;; amdgpu-corpus repo=ROCm/rocThrust kind=compiled arch=gfx90a opt=O3
	.text
	.amdgcn_target "amdgcn-amd-amdhsa--gfx90a"
	.amdhsa_code_object_version 6
	.protected	_Z17ReduceByKeyKerneliPiS_S_S_S_ ; -- Begin function _Z17ReduceByKeyKerneliPiS_S_S_S_
	.globl	_Z17ReduceByKeyKerneliPiS_S_S_S_
	.p2align	8
	.type	_Z17ReduceByKeyKerneliPiS_S_S_S_,@function
_Z17ReduceByKeyKerneliPiS_S_S_S_:       ; @_Z17ReduceByKeyKerneliPiS_S_S_S_
; %bb.0:
	v_cmp_eq_u32_e32 vcc, 0, v0
	s_and_saveexec_b64 s[0:1], vcc
	s_cbranch_execz .LBB0_14
; %bb.1:
	s_load_dword s2, s[4:5], 0x0
	s_load_dwordx8 s[8:15], s[4:5], 0x8
	s_load_dwordx2 s[16:17], s[4:5], 0x28
	s_waitcnt lgkmcnt(0)
	s_ashr_i32 s3, s2, 31
	s_lshl_b64 s[0:1], s[2:3], 2
	s_cmp_eq_u64 s[0:1], 0
	s_cbranch_scc1 .LBB0_10
; %bb.2:
	s_load_dword s4, s[10:11], 0x0
	s_load_dword s3, s[8:9], 0x0
	s_cmp_eq_u32 s2, 1
	s_cbranch_scc1 .LBB0_11
; %bb.3:
	s_add_u32 s18, s8, 4
	s_addc_u32 s19, s9, 0
	s_add_u32 s20, s10, 4
	s_addc_u32 s21, s11, 0
	s_add_u32 s22, s0, -4
	s_addc_u32 s23, s1, -1
	s_waitcnt lgkmcnt(0)
	v_mov_b32_e32 v4, s4
	v_mov_b32_e32 v3, s3
	v_mov_b32_e32 v1, 0
	s_mov_b64 s[4:5], s[12:13]
	s_mov_b64 s[6:7], s[14:15]
.LBB0_4:                                ; =>This Inner Loop Header: Depth=1
	global_load_dword v2, v1, s[18:19]
	global_load_dword v0, v1, s[20:21]
	s_waitcnt vmcnt(0)
	v_cmp_ne_u32_e32 vcc, v3, v2
	s_cbranch_vccz .LBB0_6
; %bb.5:                                ;   in Loop: Header=BB0_4 Depth=1
	s_add_u32 s2, s6, 4
	s_addc_u32 s3, s7, 0
	v_pk_mov_b32 v[6:7], s[4:5], s[4:5] op_sel:[0,1]
	s_add_u32 s0, s4, 4
	flat_store_dword v[6:7], v3
	v_pk_mov_b32 v[6:7], s[6:7], s[6:7] op_sel:[0,1]
	s_addc_u32 s1, s5, 0
	s_mov_b64 s[10:11], s[2:3]
	flat_store_dword v[6:7], v4
	s_mov_b64 s[8:9], s[0:1]
	s_cbranch_execz .LBB0_7
	s_branch .LBB0_8
.LBB0_6:                                ;   in Loop: Header=BB0_4 Depth=1
                                        ; implicit-def: $sgpr2_sgpr3
                                        ; implicit-def: $vgpr2
                                        ; implicit-def: $sgpr8_sgpr9_sgpr10_sgpr11
.LBB0_7:                                ;   in Loop: Header=BB0_4 Depth=1
	s_mov_b64 s[10:11], s[6:7]
	s_waitcnt vmcnt(0)
	v_add_u32_e32 v0, v0, v4
	s_mov_b64 s[8:9], s[4:5]
	v_mov_b32_e32 v2, v3
	s_mov_b64 s[0:1], s[4:5]
	s_mov_b64 s[2:3], s[6:7]
.LBB0_8:                                ;   in Loop: Header=BB0_4 Depth=1
	s_add_u32 s18, s18, 4
	s_addc_u32 s19, s19, 0
	s_add_u32 s20, s20, 4
	s_addc_u32 s21, s21, 0
	s_add_u32 s22, s22, -4
	s_addc_u32 s23, s23, -1
	s_cmp_lg_u64 s[22:23], 0
	s_cbranch_scc0 .LBB0_12
; %bb.9:                                ;   in Loop: Header=BB0_4 Depth=1
	v_mov_b32_e32 v3, v2
	s_waitcnt vmcnt(0)
	v_mov_b32_e32 v4, v0
	s_mov_b64 s[4:5], s[0:1]
	s_mov_b64 s[6:7], s[2:3]
	s_branch .LBB0_4
.LBB0_10:
	s_mov_b64 s[0:1], s[12:13]
	s_mov_b64 s[2:3], s[14:15]
	s_branch .LBB0_13
.LBB0_11:
	s_mov_b64 s[8:9], s[12:13]
	s_waitcnt lgkmcnt(0)
	v_mov_b32_e32 v0, s4
	v_mov_b32_e32 v2, s3
	s_mov_b64 s[2:3], s[14:15]
	s_mov_b64 s[0:1], s[12:13]
	;; [unrolled: 1-line block ×3, first 2 shown]
.LBB0_12:
	v_pk_mov_b32 v[4:5], s[0:1], s[0:1] op_sel:[0,1]
	flat_store_dword v[4:5], v2
	v_pk_mov_b32 v[2:3], s[2:3], s[2:3] op_sel:[0,1]
	s_add_u32 s2, s10, 4
	s_addc_u32 s3, s11, 0
	s_add_u32 s0, s8, 4
	s_addc_u32 s1, s9, 0
	s_waitcnt vmcnt(0)
	flat_store_dword v[2:3], v0
.LBB0_13:
	s_sub_u32 s2, s14, s2
	s_subb_u32 s3, s15, s3
	s_sub_u32 s0, s12, s0
	s_subb_u32 s1, s13, s1
	v_mov_b32_e32 v0, s0
	v_mov_b32_e32 v1, s2
	v_alignbit_b32 v0, s1, v0, 2
	v_alignbit_b32 v1, s3, v1, 2
	v_mov_b32_e32 v2, 0
	v_sub_u32_e32 v1, 0, v1
	v_sub_u32_e32 v0, 0, v0
	global_store_dwordx2 v2, v[0:1], s[16:17]
.LBB0_14:
	s_endpgm
	.section	.rodata,"a",@progbits
	.p2align	6, 0x0
	.amdhsa_kernel _Z17ReduceByKeyKerneliPiS_S_S_S_
		.amdhsa_group_segment_fixed_size 0
		.amdhsa_private_segment_fixed_size 0
		.amdhsa_kernarg_size 48
		.amdhsa_user_sgpr_count 6
		.amdhsa_user_sgpr_private_segment_buffer 1
		.amdhsa_user_sgpr_dispatch_ptr 0
		.amdhsa_user_sgpr_queue_ptr 0
		.amdhsa_user_sgpr_kernarg_segment_ptr 1
		.amdhsa_user_sgpr_dispatch_id 0
		.amdhsa_user_sgpr_flat_scratch_init 0
		.amdhsa_user_sgpr_kernarg_preload_length 0
		.amdhsa_user_sgpr_kernarg_preload_offset 0
		.amdhsa_user_sgpr_private_segment_size 0
		.amdhsa_uses_dynamic_stack 0
		.amdhsa_system_sgpr_private_segment_wavefront_offset 0
		.amdhsa_system_sgpr_workgroup_id_x 1
		.amdhsa_system_sgpr_workgroup_id_y 0
		.amdhsa_system_sgpr_workgroup_id_z 0
		.amdhsa_system_sgpr_workgroup_info 0
		.amdhsa_system_vgpr_workitem_id 0
		.amdhsa_next_free_vgpr 8
		.amdhsa_next_free_sgpr 24
		.amdhsa_accum_offset 8
		.amdhsa_reserve_vcc 1
		.amdhsa_reserve_flat_scratch 0
		.amdhsa_float_round_mode_32 0
		.amdhsa_float_round_mode_16_64 0
		.amdhsa_float_denorm_mode_32 3
		.amdhsa_float_denorm_mode_16_64 3
		.amdhsa_dx10_clamp 1
		.amdhsa_ieee_mode 1
		.amdhsa_fp16_overflow 0
		.amdhsa_tg_split 0
		.amdhsa_exception_fp_ieee_invalid_op 0
		.amdhsa_exception_fp_denorm_src 0
		.amdhsa_exception_fp_ieee_div_zero 0
		.amdhsa_exception_fp_ieee_overflow 0
		.amdhsa_exception_fp_ieee_underflow 0
		.amdhsa_exception_fp_ieee_inexact 0
		.amdhsa_exception_int_div_zero 0
	.end_amdhsa_kernel
	.text
.Lfunc_end0:
	.size	_Z17ReduceByKeyKerneliPiS_S_S_S_, .Lfunc_end0-_Z17ReduceByKeyKerneliPiS_S_S_S_
                                        ; -- End function
	.section	.AMDGPU.csdata,"",@progbits
; Kernel info:
; codeLenInByte = 460
; NumSgprs: 28
; NumVgprs: 8
; NumAgprs: 0
; TotalNumVgprs: 8
; ScratchSize: 0
; MemoryBound: 0
; FloatMode: 240
; IeeeMode: 1
; LDSByteSize: 0 bytes/workgroup (compile time only)
; SGPRBlocks: 3
; VGPRBlocks: 0
; NumSGPRsForWavesPerEU: 28
; NumVGPRsForWavesPerEU: 8
; AccumOffset: 8
; Occupancy: 8
; WaveLimiterHint : 0
; COMPUTE_PGM_RSRC2:SCRATCH_EN: 0
; COMPUTE_PGM_RSRC2:USER_SGPR: 6
; COMPUTE_PGM_RSRC2:TRAP_HANDLER: 0
; COMPUTE_PGM_RSRC2:TGID_X_EN: 1
; COMPUTE_PGM_RSRC2:TGID_Y_EN: 0
; COMPUTE_PGM_RSRC2:TGID_Z_EN: 0
; COMPUTE_PGM_RSRC2:TIDIG_COMP_CNT: 0
; COMPUTE_PGM_RSRC3_GFX90A:ACCUM_OFFSET: 1
; COMPUTE_PGM_RSRC3_GFX90A:TG_SPLIT: 0
	.section	.text._ZN6thrust23THRUST_200600_302600_NS11hip_rocprim14__parallel_for6kernelILj256ENS1_20__uninitialized_fill7functorINS0_10device_ptrIdEEdEEmLj1EEEvT0_T1_SA_,"axG",@progbits,_ZN6thrust23THRUST_200600_302600_NS11hip_rocprim14__parallel_for6kernelILj256ENS1_20__uninitialized_fill7functorINS0_10device_ptrIdEEdEEmLj1EEEvT0_T1_SA_,comdat
	.protected	_ZN6thrust23THRUST_200600_302600_NS11hip_rocprim14__parallel_for6kernelILj256ENS1_20__uninitialized_fill7functorINS0_10device_ptrIdEEdEEmLj1EEEvT0_T1_SA_ ; -- Begin function _ZN6thrust23THRUST_200600_302600_NS11hip_rocprim14__parallel_for6kernelILj256ENS1_20__uninitialized_fill7functorINS0_10device_ptrIdEEdEEmLj1EEEvT0_T1_SA_
	.globl	_ZN6thrust23THRUST_200600_302600_NS11hip_rocprim14__parallel_for6kernelILj256ENS1_20__uninitialized_fill7functorINS0_10device_ptrIdEEdEEmLj1EEEvT0_T1_SA_
	.p2align	8
	.type	_ZN6thrust23THRUST_200600_302600_NS11hip_rocprim14__parallel_for6kernelILj256ENS1_20__uninitialized_fill7functorINS0_10device_ptrIdEEdEEmLj1EEEvT0_T1_SA_,@function
_ZN6thrust23THRUST_200600_302600_NS11hip_rocprim14__parallel_for6kernelILj256ENS1_20__uninitialized_fill7functorINS0_10device_ptrIdEEdEEmLj1EEEvT0_T1_SA_: ; @_ZN6thrust23THRUST_200600_302600_NS11hip_rocprim14__parallel_for6kernelILj256ENS1_20__uninitialized_fill7functorINS0_10device_ptrIdEEdEEmLj1EEEvT0_T1_SA_
; %bb.0:
	s_load_dwordx8 s[8:15], s[4:5], 0x0
	s_lshl_b32 s0, s6, 8
	v_mov_b32_e32 v2, 0x100
	v_mov_b32_e32 v3, 0
	s_waitcnt lgkmcnt(0)
	s_add_u32 s0, s0, s14
	s_addc_u32 s1, 0, s15
	s_sub_u32 s2, s12, s0
	s_subb_u32 s3, s13, s1
	v_cmp_lt_u64_e32 vcc, s[2:3], v[2:3]
	s_cbranch_vccz .LBB1_2
; %bb.1:
	v_cmp_gt_u32_e32 vcc, s2, v0
	s_and_b64 s[2:3], vcc, exec
	s_cbranch_execz .LBB1_3
	s_branch .LBB1_4
.LBB1_2:
	s_mov_b64 s[2:3], 0
.LBB1_3:
	s_or_b64 s[2:3], s[2:3], exec
.LBB1_4:
	s_and_saveexec_b64 s[4:5], s[2:3]
	s_cbranch_execnz .LBB1_6
; %bb.5:
	s_endpgm
.LBB1_6:
	s_lshl_b64 s[0:1], s[0:1], 3
	v_mov_b32_e32 v1, 0
	s_add_u32 s0, s8, s0
	s_addc_u32 s1, s9, s1
	v_lshlrev_b64 v[0:1], 3, v[0:1]
	v_mov_b32_e32 v4, s1
	v_add_co_u32_e32 v0, vcc, s0, v0
	v_mov_b32_e32 v2, s10
	v_mov_b32_e32 v3, s11
	v_addc_co_u32_e32 v1, vcc, v4, v1, vcc
	flat_store_dwordx2 v[0:1], v[2:3]
	s_endpgm
	.section	.rodata,"a",@progbits
	.p2align	6, 0x0
	.amdhsa_kernel _ZN6thrust23THRUST_200600_302600_NS11hip_rocprim14__parallel_for6kernelILj256ENS1_20__uninitialized_fill7functorINS0_10device_ptrIdEEdEEmLj1EEEvT0_T1_SA_
		.amdhsa_group_segment_fixed_size 0
		.amdhsa_private_segment_fixed_size 0
		.amdhsa_kernarg_size 32
		.amdhsa_user_sgpr_count 6
		.amdhsa_user_sgpr_private_segment_buffer 1
		.amdhsa_user_sgpr_dispatch_ptr 0
		.amdhsa_user_sgpr_queue_ptr 0
		.amdhsa_user_sgpr_kernarg_segment_ptr 1
		.amdhsa_user_sgpr_dispatch_id 0
		.amdhsa_user_sgpr_flat_scratch_init 0
		.amdhsa_user_sgpr_kernarg_preload_length 0
		.amdhsa_user_sgpr_kernarg_preload_offset 0
		.amdhsa_user_sgpr_private_segment_size 0
		.amdhsa_uses_dynamic_stack 0
		.amdhsa_system_sgpr_private_segment_wavefront_offset 0
		.amdhsa_system_sgpr_workgroup_id_x 1
		.amdhsa_system_sgpr_workgroup_id_y 0
		.amdhsa_system_sgpr_workgroup_id_z 0
		.amdhsa_system_sgpr_workgroup_info 0
		.amdhsa_system_vgpr_workitem_id 0
		.amdhsa_next_free_vgpr 5
		.amdhsa_next_free_sgpr 16
		.amdhsa_accum_offset 8
		.amdhsa_reserve_vcc 1
		.amdhsa_reserve_flat_scratch 0
		.amdhsa_float_round_mode_32 0
		.amdhsa_float_round_mode_16_64 0
		.amdhsa_float_denorm_mode_32 3
		.amdhsa_float_denorm_mode_16_64 3
		.amdhsa_dx10_clamp 1
		.amdhsa_ieee_mode 1
		.amdhsa_fp16_overflow 0
		.amdhsa_tg_split 0
		.amdhsa_exception_fp_ieee_invalid_op 0
		.amdhsa_exception_fp_denorm_src 0
		.amdhsa_exception_fp_ieee_div_zero 0
		.amdhsa_exception_fp_ieee_overflow 0
		.amdhsa_exception_fp_ieee_underflow 0
		.amdhsa_exception_fp_ieee_inexact 0
		.amdhsa_exception_int_div_zero 0
	.end_amdhsa_kernel
	.section	.text._ZN6thrust23THRUST_200600_302600_NS11hip_rocprim14__parallel_for6kernelILj256ENS1_20__uninitialized_fill7functorINS0_10device_ptrIdEEdEEmLj1EEEvT0_T1_SA_,"axG",@progbits,_ZN6thrust23THRUST_200600_302600_NS11hip_rocprim14__parallel_for6kernelILj256ENS1_20__uninitialized_fill7functorINS0_10device_ptrIdEEdEEmLj1EEEvT0_T1_SA_,comdat
.Lfunc_end1:
	.size	_ZN6thrust23THRUST_200600_302600_NS11hip_rocprim14__parallel_for6kernelILj256ENS1_20__uninitialized_fill7functorINS0_10device_ptrIdEEdEEmLj1EEEvT0_T1_SA_, .Lfunc_end1-_ZN6thrust23THRUST_200600_302600_NS11hip_rocprim14__parallel_for6kernelILj256ENS1_20__uninitialized_fill7functorINS0_10device_ptrIdEEdEEmLj1EEEvT0_T1_SA_
                                        ; -- End function
	.section	.AMDGPU.csdata,"",@progbits
; Kernel info:
; codeLenInByte = 144
; NumSgprs: 20
; NumVgprs: 5
; NumAgprs: 0
; TotalNumVgprs: 5
; ScratchSize: 0
; MemoryBound: 0
; FloatMode: 240
; IeeeMode: 1
; LDSByteSize: 0 bytes/workgroup (compile time only)
; SGPRBlocks: 2
; VGPRBlocks: 0
; NumSGPRsForWavesPerEU: 20
; NumVGPRsForWavesPerEU: 5
; AccumOffset: 8
; Occupancy: 8
; WaveLimiterHint : 0
; COMPUTE_PGM_RSRC2:SCRATCH_EN: 0
; COMPUTE_PGM_RSRC2:USER_SGPR: 6
; COMPUTE_PGM_RSRC2:TRAP_HANDLER: 0
; COMPUTE_PGM_RSRC2:TGID_X_EN: 1
; COMPUTE_PGM_RSRC2:TGID_Y_EN: 0
; COMPUTE_PGM_RSRC2:TGID_Z_EN: 0
; COMPUTE_PGM_RSRC2:TIDIG_COMP_CNT: 0
; COMPUTE_PGM_RSRC3_GFX90A:ACCUM_OFFSET: 1
; COMPUTE_PGM_RSRC3_GFX90A:TG_SPLIT: 0
	.section	.text._ZN7rocprim17ROCPRIM_400000_NS6detail17trampoline_kernelINS0_14default_configENS1_25transform_config_selectorImLb0EEEZNS1_14transform_implILb0ES3_S5_NS0_17constant_iteratorImlEEPmNS0_8identityImEEEE10hipError_tT2_T3_mT4_P12ihipStream_tbEUlT_E_NS1_11comp_targetILNS1_3genE0ELNS1_11target_archE4294967295ELNS1_3gpuE0ELNS1_3repE0EEENS1_30default_config_static_selectorELNS0_4arch9wavefront6targetE1EEEvT1_,"axG",@progbits,_ZN7rocprim17ROCPRIM_400000_NS6detail17trampoline_kernelINS0_14default_configENS1_25transform_config_selectorImLb0EEEZNS1_14transform_implILb0ES3_S5_NS0_17constant_iteratorImlEEPmNS0_8identityImEEEE10hipError_tT2_T3_mT4_P12ihipStream_tbEUlT_E_NS1_11comp_targetILNS1_3genE0ELNS1_11target_archE4294967295ELNS1_3gpuE0ELNS1_3repE0EEENS1_30default_config_static_selectorELNS0_4arch9wavefront6targetE1EEEvT1_,comdat
	.protected	_ZN7rocprim17ROCPRIM_400000_NS6detail17trampoline_kernelINS0_14default_configENS1_25transform_config_selectorImLb0EEEZNS1_14transform_implILb0ES3_S5_NS0_17constant_iteratorImlEEPmNS0_8identityImEEEE10hipError_tT2_T3_mT4_P12ihipStream_tbEUlT_E_NS1_11comp_targetILNS1_3genE0ELNS1_11target_archE4294967295ELNS1_3gpuE0ELNS1_3repE0EEENS1_30default_config_static_selectorELNS0_4arch9wavefront6targetE1EEEvT1_ ; -- Begin function _ZN7rocprim17ROCPRIM_400000_NS6detail17trampoline_kernelINS0_14default_configENS1_25transform_config_selectorImLb0EEEZNS1_14transform_implILb0ES3_S5_NS0_17constant_iteratorImlEEPmNS0_8identityImEEEE10hipError_tT2_T3_mT4_P12ihipStream_tbEUlT_E_NS1_11comp_targetILNS1_3genE0ELNS1_11target_archE4294967295ELNS1_3gpuE0ELNS1_3repE0EEENS1_30default_config_static_selectorELNS0_4arch9wavefront6targetE1EEEvT1_
	.globl	_ZN7rocprim17ROCPRIM_400000_NS6detail17trampoline_kernelINS0_14default_configENS1_25transform_config_selectorImLb0EEEZNS1_14transform_implILb0ES3_S5_NS0_17constant_iteratorImlEEPmNS0_8identityImEEEE10hipError_tT2_T3_mT4_P12ihipStream_tbEUlT_E_NS1_11comp_targetILNS1_3genE0ELNS1_11target_archE4294967295ELNS1_3gpuE0ELNS1_3repE0EEENS1_30default_config_static_selectorELNS0_4arch9wavefront6targetE1EEEvT1_
	.p2align	8
	.type	_ZN7rocprim17ROCPRIM_400000_NS6detail17trampoline_kernelINS0_14default_configENS1_25transform_config_selectorImLb0EEEZNS1_14transform_implILb0ES3_S5_NS0_17constant_iteratorImlEEPmNS0_8identityImEEEE10hipError_tT2_T3_mT4_P12ihipStream_tbEUlT_E_NS1_11comp_targetILNS1_3genE0ELNS1_11target_archE4294967295ELNS1_3gpuE0ELNS1_3repE0EEENS1_30default_config_static_selectorELNS0_4arch9wavefront6targetE1EEEvT1_,@function
_ZN7rocprim17ROCPRIM_400000_NS6detail17trampoline_kernelINS0_14default_configENS1_25transform_config_selectorImLb0EEEZNS1_14transform_implILb0ES3_S5_NS0_17constant_iteratorImlEEPmNS0_8identityImEEEE10hipError_tT2_T3_mT4_P12ihipStream_tbEUlT_E_NS1_11comp_targetILNS1_3genE0ELNS1_11target_archE4294967295ELNS1_3gpuE0ELNS1_3repE0EEENS1_30default_config_static_selectorELNS0_4arch9wavefront6targetE1EEEvT1_: ; @_ZN7rocprim17ROCPRIM_400000_NS6detail17trampoline_kernelINS0_14default_configENS1_25transform_config_selectorImLb0EEEZNS1_14transform_implILb0ES3_S5_NS0_17constant_iteratorImlEEPmNS0_8identityImEEEE10hipError_tT2_T3_mT4_P12ihipStream_tbEUlT_E_NS1_11comp_targetILNS1_3genE0ELNS1_11target_archE4294967295ELNS1_3gpuE0ELNS1_3repE0EEENS1_30default_config_static_selectorELNS0_4arch9wavefront6targetE1EEEvT1_
; %bb.0:
	.section	.rodata,"a",@progbits
	.p2align	6, 0x0
	.amdhsa_kernel _ZN7rocprim17ROCPRIM_400000_NS6detail17trampoline_kernelINS0_14default_configENS1_25transform_config_selectorImLb0EEEZNS1_14transform_implILb0ES3_S5_NS0_17constant_iteratorImlEEPmNS0_8identityImEEEE10hipError_tT2_T3_mT4_P12ihipStream_tbEUlT_E_NS1_11comp_targetILNS1_3genE0ELNS1_11target_archE4294967295ELNS1_3gpuE0ELNS1_3repE0EEENS1_30default_config_static_selectorELNS0_4arch9wavefront6targetE1EEEvT1_
		.amdhsa_group_segment_fixed_size 0
		.amdhsa_private_segment_fixed_size 0
		.amdhsa_kernarg_size 48
		.amdhsa_user_sgpr_count 6
		.amdhsa_user_sgpr_private_segment_buffer 1
		.amdhsa_user_sgpr_dispatch_ptr 0
		.amdhsa_user_sgpr_queue_ptr 0
		.amdhsa_user_sgpr_kernarg_segment_ptr 1
		.amdhsa_user_sgpr_dispatch_id 0
		.amdhsa_user_sgpr_flat_scratch_init 0
		.amdhsa_user_sgpr_kernarg_preload_length 0
		.amdhsa_user_sgpr_kernarg_preload_offset 0
		.amdhsa_user_sgpr_private_segment_size 0
		.amdhsa_uses_dynamic_stack 0
		.amdhsa_system_sgpr_private_segment_wavefront_offset 0
		.amdhsa_system_sgpr_workgroup_id_x 1
		.amdhsa_system_sgpr_workgroup_id_y 0
		.amdhsa_system_sgpr_workgroup_id_z 0
		.amdhsa_system_sgpr_workgroup_info 0
		.amdhsa_system_vgpr_workitem_id 0
		.amdhsa_next_free_vgpr 1
		.amdhsa_next_free_sgpr 0
		.amdhsa_accum_offset 4
		.amdhsa_reserve_vcc 0
		.amdhsa_reserve_flat_scratch 0
		.amdhsa_float_round_mode_32 0
		.amdhsa_float_round_mode_16_64 0
		.amdhsa_float_denorm_mode_32 3
		.amdhsa_float_denorm_mode_16_64 3
		.amdhsa_dx10_clamp 1
		.amdhsa_ieee_mode 1
		.amdhsa_fp16_overflow 0
		.amdhsa_tg_split 0
		.amdhsa_exception_fp_ieee_invalid_op 0
		.amdhsa_exception_fp_denorm_src 0
		.amdhsa_exception_fp_ieee_div_zero 0
		.amdhsa_exception_fp_ieee_overflow 0
		.amdhsa_exception_fp_ieee_underflow 0
		.amdhsa_exception_fp_ieee_inexact 0
		.amdhsa_exception_int_div_zero 0
	.end_amdhsa_kernel
	.section	.text._ZN7rocprim17ROCPRIM_400000_NS6detail17trampoline_kernelINS0_14default_configENS1_25transform_config_selectorImLb0EEEZNS1_14transform_implILb0ES3_S5_NS0_17constant_iteratorImlEEPmNS0_8identityImEEEE10hipError_tT2_T3_mT4_P12ihipStream_tbEUlT_E_NS1_11comp_targetILNS1_3genE0ELNS1_11target_archE4294967295ELNS1_3gpuE0ELNS1_3repE0EEENS1_30default_config_static_selectorELNS0_4arch9wavefront6targetE1EEEvT1_,"axG",@progbits,_ZN7rocprim17ROCPRIM_400000_NS6detail17trampoline_kernelINS0_14default_configENS1_25transform_config_selectorImLb0EEEZNS1_14transform_implILb0ES3_S5_NS0_17constant_iteratorImlEEPmNS0_8identityImEEEE10hipError_tT2_T3_mT4_P12ihipStream_tbEUlT_E_NS1_11comp_targetILNS1_3genE0ELNS1_11target_archE4294967295ELNS1_3gpuE0ELNS1_3repE0EEENS1_30default_config_static_selectorELNS0_4arch9wavefront6targetE1EEEvT1_,comdat
.Lfunc_end2:
	.size	_ZN7rocprim17ROCPRIM_400000_NS6detail17trampoline_kernelINS0_14default_configENS1_25transform_config_selectorImLb0EEEZNS1_14transform_implILb0ES3_S5_NS0_17constant_iteratorImlEEPmNS0_8identityImEEEE10hipError_tT2_T3_mT4_P12ihipStream_tbEUlT_E_NS1_11comp_targetILNS1_3genE0ELNS1_11target_archE4294967295ELNS1_3gpuE0ELNS1_3repE0EEENS1_30default_config_static_selectorELNS0_4arch9wavefront6targetE1EEEvT1_, .Lfunc_end2-_ZN7rocprim17ROCPRIM_400000_NS6detail17trampoline_kernelINS0_14default_configENS1_25transform_config_selectorImLb0EEEZNS1_14transform_implILb0ES3_S5_NS0_17constant_iteratorImlEEPmNS0_8identityImEEEE10hipError_tT2_T3_mT4_P12ihipStream_tbEUlT_E_NS1_11comp_targetILNS1_3genE0ELNS1_11target_archE4294967295ELNS1_3gpuE0ELNS1_3repE0EEENS1_30default_config_static_selectorELNS0_4arch9wavefront6targetE1EEEvT1_
                                        ; -- End function
	.section	.AMDGPU.csdata,"",@progbits
; Kernel info:
; codeLenInByte = 0
; NumSgprs: 4
; NumVgprs: 0
; NumAgprs: 0
; TotalNumVgprs: 0
; ScratchSize: 0
; MemoryBound: 0
; FloatMode: 240
; IeeeMode: 1
; LDSByteSize: 0 bytes/workgroup (compile time only)
; SGPRBlocks: 0
; VGPRBlocks: 0
; NumSGPRsForWavesPerEU: 4
; NumVGPRsForWavesPerEU: 1
; AccumOffset: 4
; Occupancy: 8
; WaveLimiterHint : 0
; COMPUTE_PGM_RSRC2:SCRATCH_EN: 0
; COMPUTE_PGM_RSRC2:USER_SGPR: 6
; COMPUTE_PGM_RSRC2:TRAP_HANDLER: 0
; COMPUTE_PGM_RSRC2:TGID_X_EN: 1
; COMPUTE_PGM_RSRC2:TGID_Y_EN: 0
; COMPUTE_PGM_RSRC2:TGID_Z_EN: 0
; COMPUTE_PGM_RSRC2:TIDIG_COMP_CNT: 0
; COMPUTE_PGM_RSRC3_GFX90A:ACCUM_OFFSET: 0
; COMPUTE_PGM_RSRC3_GFX90A:TG_SPLIT: 0
	.section	.text._ZN7rocprim17ROCPRIM_400000_NS6detail17trampoline_kernelINS0_14default_configENS1_25transform_config_selectorImLb0EEEZNS1_14transform_implILb0ES3_S5_NS0_17constant_iteratorImlEEPmNS0_8identityImEEEE10hipError_tT2_T3_mT4_P12ihipStream_tbEUlT_E_NS1_11comp_targetILNS1_3genE5ELNS1_11target_archE942ELNS1_3gpuE9ELNS1_3repE0EEENS1_30default_config_static_selectorELNS0_4arch9wavefront6targetE1EEEvT1_,"axG",@progbits,_ZN7rocprim17ROCPRIM_400000_NS6detail17trampoline_kernelINS0_14default_configENS1_25transform_config_selectorImLb0EEEZNS1_14transform_implILb0ES3_S5_NS0_17constant_iteratorImlEEPmNS0_8identityImEEEE10hipError_tT2_T3_mT4_P12ihipStream_tbEUlT_E_NS1_11comp_targetILNS1_3genE5ELNS1_11target_archE942ELNS1_3gpuE9ELNS1_3repE0EEENS1_30default_config_static_selectorELNS0_4arch9wavefront6targetE1EEEvT1_,comdat
	.protected	_ZN7rocprim17ROCPRIM_400000_NS6detail17trampoline_kernelINS0_14default_configENS1_25transform_config_selectorImLb0EEEZNS1_14transform_implILb0ES3_S5_NS0_17constant_iteratorImlEEPmNS0_8identityImEEEE10hipError_tT2_T3_mT4_P12ihipStream_tbEUlT_E_NS1_11comp_targetILNS1_3genE5ELNS1_11target_archE942ELNS1_3gpuE9ELNS1_3repE0EEENS1_30default_config_static_selectorELNS0_4arch9wavefront6targetE1EEEvT1_ ; -- Begin function _ZN7rocprim17ROCPRIM_400000_NS6detail17trampoline_kernelINS0_14default_configENS1_25transform_config_selectorImLb0EEEZNS1_14transform_implILb0ES3_S5_NS0_17constant_iteratorImlEEPmNS0_8identityImEEEE10hipError_tT2_T3_mT4_P12ihipStream_tbEUlT_E_NS1_11comp_targetILNS1_3genE5ELNS1_11target_archE942ELNS1_3gpuE9ELNS1_3repE0EEENS1_30default_config_static_selectorELNS0_4arch9wavefront6targetE1EEEvT1_
	.globl	_ZN7rocprim17ROCPRIM_400000_NS6detail17trampoline_kernelINS0_14default_configENS1_25transform_config_selectorImLb0EEEZNS1_14transform_implILb0ES3_S5_NS0_17constant_iteratorImlEEPmNS0_8identityImEEEE10hipError_tT2_T3_mT4_P12ihipStream_tbEUlT_E_NS1_11comp_targetILNS1_3genE5ELNS1_11target_archE942ELNS1_3gpuE9ELNS1_3repE0EEENS1_30default_config_static_selectorELNS0_4arch9wavefront6targetE1EEEvT1_
	.p2align	8
	.type	_ZN7rocprim17ROCPRIM_400000_NS6detail17trampoline_kernelINS0_14default_configENS1_25transform_config_selectorImLb0EEEZNS1_14transform_implILb0ES3_S5_NS0_17constant_iteratorImlEEPmNS0_8identityImEEEE10hipError_tT2_T3_mT4_P12ihipStream_tbEUlT_E_NS1_11comp_targetILNS1_3genE5ELNS1_11target_archE942ELNS1_3gpuE9ELNS1_3repE0EEENS1_30default_config_static_selectorELNS0_4arch9wavefront6targetE1EEEvT1_,@function
_ZN7rocprim17ROCPRIM_400000_NS6detail17trampoline_kernelINS0_14default_configENS1_25transform_config_selectorImLb0EEEZNS1_14transform_implILb0ES3_S5_NS0_17constant_iteratorImlEEPmNS0_8identityImEEEE10hipError_tT2_T3_mT4_P12ihipStream_tbEUlT_E_NS1_11comp_targetILNS1_3genE5ELNS1_11target_archE942ELNS1_3gpuE9ELNS1_3repE0EEENS1_30default_config_static_selectorELNS0_4arch9wavefront6targetE1EEEvT1_: ; @_ZN7rocprim17ROCPRIM_400000_NS6detail17trampoline_kernelINS0_14default_configENS1_25transform_config_selectorImLb0EEEZNS1_14transform_implILb0ES3_S5_NS0_17constant_iteratorImlEEPmNS0_8identityImEEEE10hipError_tT2_T3_mT4_P12ihipStream_tbEUlT_E_NS1_11comp_targetILNS1_3genE5ELNS1_11target_archE942ELNS1_3gpuE9ELNS1_3repE0EEENS1_30default_config_static_selectorELNS0_4arch9wavefront6targetE1EEEvT1_
; %bb.0:
	.section	.rodata,"a",@progbits
	.p2align	6, 0x0
	.amdhsa_kernel _ZN7rocprim17ROCPRIM_400000_NS6detail17trampoline_kernelINS0_14default_configENS1_25transform_config_selectorImLb0EEEZNS1_14transform_implILb0ES3_S5_NS0_17constant_iteratorImlEEPmNS0_8identityImEEEE10hipError_tT2_T3_mT4_P12ihipStream_tbEUlT_E_NS1_11comp_targetILNS1_3genE5ELNS1_11target_archE942ELNS1_3gpuE9ELNS1_3repE0EEENS1_30default_config_static_selectorELNS0_4arch9wavefront6targetE1EEEvT1_
		.amdhsa_group_segment_fixed_size 0
		.amdhsa_private_segment_fixed_size 0
		.amdhsa_kernarg_size 48
		.amdhsa_user_sgpr_count 6
		.amdhsa_user_sgpr_private_segment_buffer 1
		.amdhsa_user_sgpr_dispatch_ptr 0
		.amdhsa_user_sgpr_queue_ptr 0
		.amdhsa_user_sgpr_kernarg_segment_ptr 1
		.amdhsa_user_sgpr_dispatch_id 0
		.amdhsa_user_sgpr_flat_scratch_init 0
		.amdhsa_user_sgpr_kernarg_preload_length 0
		.amdhsa_user_sgpr_kernarg_preload_offset 0
		.amdhsa_user_sgpr_private_segment_size 0
		.amdhsa_uses_dynamic_stack 0
		.amdhsa_system_sgpr_private_segment_wavefront_offset 0
		.amdhsa_system_sgpr_workgroup_id_x 1
		.amdhsa_system_sgpr_workgroup_id_y 0
		.amdhsa_system_sgpr_workgroup_id_z 0
		.amdhsa_system_sgpr_workgroup_info 0
		.amdhsa_system_vgpr_workitem_id 0
		.amdhsa_next_free_vgpr 1
		.amdhsa_next_free_sgpr 0
		.amdhsa_accum_offset 4
		.amdhsa_reserve_vcc 0
		.amdhsa_reserve_flat_scratch 0
		.amdhsa_float_round_mode_32 0
		.amdhsa_float_round_mode_16_64 0
		.amdhsa_float_denorm_mode_32 3
		.amdhsa_float_denorm_mode_16_64 3
		.amdhsa_dx10_clamp 1
		.amdhsa_ieee_mode 1
		.amdhsa_fp16_overflow 0
		.amdhsa_tg_split 0
		.amdhsa_exception_fp_ieee_invalid_op 0
		.amdhsa_exception_fp_denorm_src 0
		.amdhsa_exception_fp_ieee_div_zero 0
		.amdhsa_exception_fp_ieee_overflow 0
		.amdhsa_exception_fp_ieee_underflow 0
		.amdhsa_exception_fp_ieee_inexact 0
		.amdhsa_exception_int_div_zero 0
	.end_amdhsa_kernel
	.section	.text._ZN7rocprim17ROCPRIM_400000_NS6detail17trampoline_kernelINS0_14default_configENS1_25transform_config_selectorImLb0EEEZNS1_14transform_implILb0ES3_S5_NS0_17constant_iteratorImlEEPmNS0_8identityImEEEE10hipError_tT2_T3_mT4_P12ihipStream_tbEUlT_E_NS1_11comp_targetILNS1_3genE5ELNS1_11target_archE942ELNS1_3gpuE9ELNS1_3repE0EEENS1_30default_config_static_selectorELNS0_4arch9wavefront6targetE1EEEvT1_,"axG",@progbits,_ZN7rocprim17ROCPRIM_400000_NS6detail17trampoline_kernelINS0_14default_configENS1_25transform_config_selectorImLb0EEEZNS1_14transform_implILb0ES3_S5_NS0_17constant_iteratorImlEEPmNS0_8identityImEEEE10hipError_tT2_T3_mT4_P12ihipStream_tbEUlT_E_NS1_11comp_targetILNS1_3genE5ELNS1_11target_archE942ELNS1_3gpuE9ELNS1_3repE0EEENS1_30default_config_static_selectorELNS0_4arch9wavefront6targetE1EEEvT1_,comdat
.Lfunc_end3:
	.size	_ZN7rocprim17ROCPRIM_400000_NS6detail17trampoline_kernelINS0_14default_configENS1_25transform_config_selectorImLb0EEEZNS1_14transform_implILb0ES3_S5_NS0_17constant_iteratorImlEEPmNS0_8identityImEEEE10hipError_tT2_T3_mT4_P12ihipStream_tbEUlT_E_NS1_11comp_targetILNS1_3genE5ELNS1_11target_archE942ELNS1_3gpuE9ELNS1_3repE0EEENS1_30default_config_static_selectorELNS0_4arch9wavefront6targetE1EEEvT1_, .Lfunc_end3-_ZN7rocprim17ROCPRIM_400000_NS6detail17trampoline_kernelINS0_14default_configENS1_25transform_config_selectorImLb0EEEZNS1_14transform_implILb0ES3_S5_NS0_17constant_iteratorImlEEPmNS0_8identityImEEEE10hipError_tT2_T3_mT4_P12ihipStream_tbEUlT_E_NS1_11comp_targetILNS1_3genE5ELNS1_11target_archE942ELNS1_3gpuE9ELNS1_3repE0EEENS1_30default_config_static_selectorELNS0_4arch9wavefront6targetE1EEEvT1_
                                        ; -- End function
	.section	.AMDGPU.csdata,"",@progbits
; Kernel info:
; codeLenInByte = 0
; NumSgprs: 4
; NumVgprs: 0
; NumAgprs: 0
; TotalNumVgprs: 0
; ScratchSize: 0
; MemoryBound: 0
; FloatMode: 240
; IeeeMode: 1
; LDSByteSize: 0 bytes/workgroup (compile time only)
; SGPRBlocks: 0
; VGPRBlocks: 0
; NumSGPRsForWavesPerEU: 4
; NumVGPRsForWavesPerEU: 1
; AccumOffset: 4
; Occupancy: 8
; WaveLimiterHint : 0
; COMPUTE_PGM_RSRC2:SCRATCH_EN: 0
; COMPUTE_PGM_RSRC2:USER_SGPR: 6
; COMPUTE_PGM_RSRC2:TRAP_HANDLER: 0
; COMPUTE_PGM_RSRC2:TGID_X_EN: 1
; COMPUTE_PGM_RSRC2:TGID_Y_EN: 0
; COMPUTE_PGM_RSRC2:TGID_Z_EN: 0
; COMPUTE_PGM_RSRC2:TIDIG_COMP_CNT: 0
; COMPUTE_PGM_RSRC3_GFX90A:ACCUM_OFFSET: 0
; COMPUTE_PGM_RSRC3_GFX90A:TG_SPLIT: 0
	.section	.text._ZN7rocprim17ROCPRIM_400000_NS6detail17trampoline_kernelINS0_14default_configENS1_25transform_config_selectorImLb0EEEZNS1_14transform_implILb0ES3_S5_NS0_17constant_iteratorImlEEPmNS0_8identityImEEEE10hipError_tT2_T3_mT4_P12ihipStream_tbEUlT_E_NS1_11comp_targetILNS1_3genE4ELNS1_11target_archE910ELNS1_3gpuE8ELNS1_3repE0EEENS1_30default_config_static_selectorELNS0_4arch9wavefront6targetE1EEEvT1_,"axG",@progbits,_ZN7rocprim17ROCPRIM_400000_NS6detail17trampoline_kernelINS0_14default_configENS1_25transform_config_selectorImLb0EEEZNS1_14transform_implILb0ES3_S5_NS0_17constant_iteratorImlEEPmNS0_8identityImEEEE10hipError_tT2_T3_mT4_P12ihipStream_tbEUlT_E_NS1_11comp_targetILNS1_3genE4ELNS1_11target_archE910ELNS1_3gpuE8ELNS1_3repE0EEENS1_30default_config_static_selectorELNS0_4arch9wavefront6targetE1EEEvT1_,comdat
	.protected	_ZN7rocprim17ROCPRIM_400000_NS6detail17trampoline_kernelINS0_14default_configENS1_25transform_config_selectorImLb0EEEZNS1_14transform_implILb0ES3_S5_NS0_17constant_iteratorImlEEPmNS0_8identityImEEEE10hipError_tT2_T3_mT4_P12ihipStream_tbEUlT_E_NS1_11comp_targetILNS1_3genE4ELNS1_11target_archE910ELNS1_3gpuE8ELNS1_3repE0EEENS1_30default_config_static_selectorELNS0_4arch9wavefront6targetE1EEEvT1_ ; -- Begin function _ZN7rocprim17ROCPRIM_400000_NS6detail17trampoline_kernelINS0_14default_configENS1_25transform_config_selectorImLb0EEEZNS1_14transform_implILb0ES3_S5_NS0_17constant_iteratorImlEEPmNS0_8identityImEEEE10hipError_tT2_T3_mT4_P12ihipStream_tbEUlT_E_NS1_11comp_targetILNS1_3genE4ELNS1_11target_archE910ELNS1_3gpuE8ELNS1_3repE0EEENS1_30default_config_static_selectorELNS0_4arch9wavefront6targetE1EEEvT1_
	.globl	_ZN7rocprim17ROCPRIM_400000_NS6detail17trampoline_kernelINS0_14default_configENS1_25transform_config_selectorImLb0EEEZNS1_14transform_implILb0ES3_S5_NS0_17constant_iteratorImlEEPmNS0_8identityImEEEE10hipError_tT2_T3_mT4_P12ihipStream_tbEUlT_E_NS1_11comp_targetILNS1_3genE4ELNS1_11target_archE910ELNS1_3gpuE8ELNS1_3repE0EEENS1_30default_config_static_selectorELNS0_4arch9wavefront6targetE1EEEvT1_
	.p2align	8
	.type	_ZN7rocprim17ROCPRIM_400000_NS6detail17trampoline_kernelINS0_14default_configENS1_25transform_config_selectorImLb0EEEZNS1_14transform_implILb0ES3_S5_NS0_17constant_iteratorImlEEPmNS0_8identityImEEEE10hipError_tT2_T3_mT4_P12ihipStream_tbEUlT_E_NS1_11comp_targetILNS1_3genE4ELNS1_11target_archE910ELNS1_3gpuE8ELNS1_3repE0EEENS1_30default_config_static_selectorELNS0_4arch9wavefront6targetE1EEEvT1_,@function
_ZN7rocprim17ROCPRIM_400000_NS6detail17trampoline_kernelINS0_14default_configENS1_25transform_config_selectorImLb0EEEZNS1_14transform_implILb0ES3_S5_NS0_17constant_iteratorImlEEPmNS0_8identityImEEEE10hipError_tT2_T3_mT4_P12ihipStream_tbEUlT_E_NS1_11comp_targetILNS1_3genE4ELNS1_11target_archE910ELNS1_3gpuE8ELNS1_3repE0EEENS1_30default_config_static_selectorELNS0_4arch9wavefront6targetE1EEEvT1_: ; @_ZN7rocprim17ROCPRIM_400000_NS6detail17trampoline_kernelINS0_14default_configENS1_25transform_config_selectorImLb0EEEZNS1_14transform_implILb0ES3_S5_NS0_17constant_iteratorImlEEPmNS0_8identityImEEEE10hipError_tT2_T3_mT4_P12ihipStream_tbEUlT_E_NS1_11comp_targetILNS1_3genE4ELNS1_11target_archE910ELNS1_3gpuE8ELNS1_3repE0EEENS1_30default_config_static_selectorELNS0_4arch9wavefront6targetE1EEEvT1_
; %bb.0:
	s_load_dwordx2 s[0:1], s[4:5], 0x10
	s_load_dwordx2 s[2:3], s[4:5], 0x20
	;; [unrolled: 1-line block ×3, first 2 shown]
	s_load_dword s7, s[4:5], 0x30
	v_lshlrev_b32_e32 v8, 3, v0
	s_waitcnt lgkmcnt(0)
	s_lshl_b64 s[0:1], s[0:1], 3
	s_add_u32 s12, s2, s0
	s_addc_u32 s13, s3, s1
	s_lshl_b32 s2, s6, 9
	s_add_i32 s7, s7, -1
	s_mov_b32 s3, 0
	s_cmp_eq_u32 s6, s7
	s_cbranch_scc1 .LBB4_3
; %bb.1:
	s_lshl_b64 s[0:1], s[2:3], 3
	s_add_u32 s0, s12, s0
	s_addc_u32 s1, s13, s1
	v_mov_b32_e32 v1, s1
	v_add_co_u32_e32 v4, vcc, s0, v8
	v_pk_mov_b32 v[2:3], s[8:9], s[8:9] op_sel:[0,1]
	v_addc_co_u32_e32 v5, vcc, 0, v1, vcc
	global_store_dwordx2 v8, v[2:3], s[0:1]
	s_mov_b64 s[6:7], -1
	s_cbranch_execz .LBB4_4
; %bb.2:
	v_pk_mov_b32 v[6:7], s[8:9], s[8:9] op_sel:[0,1]
	s_and_saveexec_b64 s[0:1], s[6:7]
	s_cbranch_execnz .LBB4_9
	s_branch .LBB4_10
.LBB4_3:
	s_mov_b64 s[6:7], 0
                                        ; implicit-def: $vgpr4_vgpr5
.LBB4_4:
	s_load_dword s0, s[4:5], 0x18
	v_or_b32_e32 v1, 0x100, v0
	s_mov_b32 s10, s8
	s_mov_b32 s11, s9
	s_waitcnt lgkmcnt(0)
	s_sub_i32 s0, s0, s2
	s_lshl_b64 s[2:3], s[2:3], 3
	s_add_u32 s2, s12, s2
	s_addc_u32 s3, s13, s3
	v_cmp_gt_u32_e32 vcc, s0, v1
	v_cmp_gt_u32_e64 s[0:1], s0, v0
	v_pk_mov_b32 v[0:1], s[8:9], s[8:9] op_sel:[0,1]
	v_mov_b32_e32 v5, s3
	v_add_co_u32_e64 v4, s[2:3], s2, v8
	v_pk_mov_b32 v[2:3], s[10:11], s[10:11] op_sel:[0,1]
	v_addc_co_u32_e64 v5, s[2:3], 0, v5, s[2:3]
	s_and_saveexec_b64 s[2:3], s[0:1]
	s_cbranch_execz .LBB4_6
; %bb.5:
	global_store_dwordx2 v[4:5], v[0:1], off
.LBB4_6:
	s_or_b64 exec, exec, s[2:3]
                                        ; implicit-def: $vgpr6_vgpr7
	s_and_saveexec_b64 s[0:1], vcc
; %bb.7:
	v_mov_b32_e32 v0, s11
	v_cndmask_b32_e32 v7, v3, v0, vcc
	v_mov_b32_e32 v0, s10
	v_cndmask_b32_e32 v6, v2, v0, vcc
	s_or_b64 s[6:7], s[6:7], exec
; %bb.8:
	s_or_b64 exec, exec, s[0:1]
	s_and_saveexec_b64 s[0:1], s[6:7]
	s_cbranch_execz .LBB4_10
.LBB4_9:
	global_store_dwordx2 v[4:5], v[6:7], off offset:2048
.LBB4_10:
	s_endpgm
	.section	.rodata,"a",@progbits
	.p2align	6, 0x0
	.amdhsa_kernel _ZN7rocprim17ROCPRIM_400000_NS6detail17trampoline_kernelINS0_14default_configENS1_25transform_config_selectorImLb0EEEZNS1_14transform_implILb0ES3_S5_NS0_17constant_iteratorImlEEPmNS0_8identityImEEEE10hipError_tT2_T3_mT4_P12ihipStream_tbEUlT_E_NS1_11comp_targetILNS1_3genE4ELNS1_11target_archE910ELNS1_3gpuE8ELNS1_3repE0EEENS1_30default_config_static_selectorELNS0_4arch9wavefront6targetE1EEEvT1_
		.amdhsa_group_segment_fixed_size 0
		.amdhsa_private_segment_fixed_size 0
		.amdhsa_kernarg_size 304
		.amdhsa_user_sgpr_count 6
		.amdhsa_user_sgpr_private_segment_buffer 1
		.amdhsa_user_sgpr_dispatch_ptr 0
		.amdhsa_user_sgpr_queue_ptr 0
		.amdhsa_user_sgpr_kernarg_segment_ptr 1
		.amdhsa_user_sgpr_dispatch_id 0
		.amdhsa_user_sgpr_flat_scratch_init 0
		.amdhsa_user_sgpr_kernarg_preload_length 0
		.amdhsa_user_sgpr_kernarg_preload_offset 0
		.amdhsa_user_sgpr_private_segment_size 0
		.amdhsa_uses_dynamic_stack 0
		.amdhsa_system_sgpr_private_segment_wavefront_offset 0
		.amdhsa_system_sgpr_workgroup_id_x 1
		.amdhsa_system_sgpr_workgroup_id_y 0
		.amdhsa_system_sgpr_workgroup_id_z 0
		.amdhsa_system_sgpr_workgroup_info 0
		.amdhsa_system_vgpr_workitem_id 0
		.amdhsa_next_free_vgpr 9
		.amdhsa_next_free_sgpr 14
		.amdhsa_accum_offset 12
		.amdhsa_reserve_vcc 1
		.amdhsa_reserve_flat_scratch 0
		.amdhsa_float_round_mode_32 0
		.amdhsa_float_round_mode_16_64 0
		.amdhsa_float_denorm_mode_32 3
		.amdhsa_float_denorm_mode_16_64 3
		.amdhsa_dx10_clamp 1
		.amdhsa_ieee_mode 1
		.amdhsa_fp16_overflow 0
		.amdhsa_tg_split 0
		.amdhsa_exception_fp_ieee_invalid_op 0
		.amdhsa_exception_fp_denorm_src 0
		.amdhsa_exception_fp_ieee_div_zero 0
		.amdhsa_exception_fp_ieee_overflow 0
		.amdhsa_exception_fp_ieee_underflow 0
		.amdhsa_exception_fp_ieee_inexact 0
		.amdhsa_exception_int_div_zero 0
	.end_amdhsa_kernel
	.section	.text._ZN7rocprim17ROCPRIM_400000_NS6detail17trampoline_kernelINS0_14default_configENS1_25transform_config_selectorImLb0EEEZNS1_14transform_implILb0ES3_S5_NS0_17constant_iteratorImlEEPmNS0_8identityImEEEE10hipError_tT2_T3_mT4_P12ihipStream_tbEUlT_E_NS1_11comp_targetILNS1_3genE4ELNS1_11target_archE910ELNS1_3gpuE8ELNS1_3repE0EEENS1_30default_config_static_selectorELNS0_4arch9wavefront6targetE1EEEvT1_,"axG",@progbits,_ZN7rocprim17ROCPRIM_400000_NS6detail17trampoline_kernelINS0_14default_configENS1_25transform_config_selectorImLb0EEEZNS1_14transform_implILb0ES3_S5_NS0_17constant_iteratorImlEEPmNS0_8identityImEEEE10hipError_tT2_T3_mT4_P12ihipStream_tbEUlT_E_NS1_11comp_targetILNS1_3genE4ELNS1_11target_archE910ELNS1_3gpuE8ELNS1_3repE0EEENS1_30default_config_static_selectorELNS0_4arch9wavefront6targetE1EEEvT1_,comdat
.Lfunc_end4:
	.size	_ZN7rocprim17ROCPRIM_400000_NS6detail17trampoline_kernelINS0_14default_configENS1_25transform_config_selectorImLb0EEEZNS1_14transform_implILb0ES3_S5_NS0_17constant_iteratorImlEEPmNS0_8identityImEEEE10hipError_tT2_T3_mT4_P12ihipStream_tbEUlT_E_NS1_11comp_targetILNS1_3genE4ELNS1_11target_archE910ELNS1_3gpuE8ELNS1_3repE0EEENS1_30default_config_static_selectorELNS0_4arch9wavefront6targetE1EEEvT1_, .Lfunc_end4-_ZN7rocprim17ROCPRIM_400000_NS6detail17trampoline_kernelINS0_14default_configENS1_25transform_config_selectorImLb0EEEZNS1_14transform_implILb0ES3_S5_NS0_17constant_iteratorImlEEPmNS0_8identityImEEEE10hipError_tT2_T3_mT4_P12ihipStream_tbEUlT_E_NS1_11comp_targetILNS1_3genE4ELNS1_11target_archE910ELNS1_3gpuE8ELNS1_3repE0EEENS1_30default_config_static_selectorELNS0_4arch9wavefront6targetE1EEEvT1_
                                        ; -- End function
	.section	.AMDGPU.csdata,"",@progbits
; Kernel info:
; codeLenInByte = 304
; NumSgprs: 18
; NumVgprs: 9
; NumAgprs: 0
; TotalNumVgprs: 9
; ScratchSize: 0
; MemoryBound: 0
; FloatMode: 240
; IeeeMode: 1
; LDSByteSize: 0 bytes/workgroup (compile time only)
; SGPRBlocks: 2
; VGPRBlocks: 1
; NumSGPRsForWavesPerEU: 18
; NumVGPRsForWavesPerEU: 9
; AccumOffset: 12
; Occupancy: 8
; WaveLimiterHint : 0
; COMPUTE_PGM_RSRC2:SCRATCH_EN: 0
; COMPUTE_PGM_RSRC2:USER_SGPR: 6
; COMPUTE_PGM_RSRC2:TRAP_HANDLER: 0
; COMPUTE_PGM_RSRC2:TGID_X_EN: 1
; COMPUTE_PGM_RSRC2:TGID_Y_EN: 0
; COMPUTE_PGM_RSRC2:TGID_Z_EN: 0
; COMPUTE_PGM_RSRC2:TIDIG_COMP_CNT: 0
; COMPUTE_PGM_RSRC3_GFX90A:ACCUM_OFFSET: 2
; COMPUTE_PGM_RSRC3_GFX90A:TG_SPLIT: 0
	.section	.text._ZN7rocprim17ROCPRIM_400000_NS6detail17trampoline_kernelINS0_14default_configENS1_25transform_config_selectorImLb0EEEZNS1_14transform_implILb0ES3_S5_NS0_17constant_iteratorImlEEPmNS0_8identityImEEEE10hipError_tT2_T3_mT4_P12ihipStream_tbEUlT_E_NS1_11comp_targetILNS1_3genE3ELNS1_11target_archE908ELNS1_3gpuE7ELNS1_3repE0EEENS1_30default_config_static_selectorELNS0_4arch9wavefront6targetE1EEEvT1_,"axG",@progbits,_ZN7rocprim17ROCPRIM_400000_NS6detail17trampoline_kernelINS0_14default_configENS1_25transform_config_selectorImLb0EEEZNS1_14transform_implILb0ES3_S5_NS0_17constant_iteratorImlEEPmNS0_8identityImEEEE10hipError_tT2_T3_mT4_P12ihipStream_tbEUlT_E_NS1_11comp_targetILNS1_3genE3ELNS1_11target_archE908ELNS1_3gpuE7ELNS1_3repE0EEENS1_30default_config_static_selectorELNS0_4arch9wavefront6targetE1EEEvT1_,comdat
	.protected	_ZN7rocprim17ROCPRIM_400000_NS6detail17trampoline_kernelINS0_14default_configENS1_25transform_config_selectorImLb0EEEZNS1_14transform_implILb0ES3_S5_NS0_17constant_iteratorImlEEPmNS0_8identityImEEEE10hipError_tT2_T3_mT4_P12ihipStream_tbEUlT_E_NS1_11comp_targetILNS1_3genE3ELNS1_11target_archE908ELNS1_3gpuE7ELNS1_3repE0EEENS1_30default_config_static_selectorELNS0_4arch9wavefront6targetE1EEEvT1_ ; -- Begin function _ZN7rocprim17ROCPRIM_400000_NS6detail17trampoline_kernelINS0_14default_configENS1_25transform_config_selectorImLb0EEEZNS1_14transform_implILb0ES3_S5_NS0_17constant_iteratorImlEEPmNS0_8identityImEEEE10hipError_tT2_T3_mT4_P12ihipStream_tbEUlT_E_NS1_11comp_targetILNS1_3genE3ELNS1_11target_archE908ELNS1_3gpuE7ELNS1_3repE0EEENS1_30default_config_static_selectorELNS0_4arch9wavefront6targetE1EEEvT1_
	.globl	_ZN7rocprim17ROCPRIM_400000_NS6detail17trampoline_kernelINS0_14default_configENS1_25transform_config_selectorImLb0EEEZNS1_14transform_implILb0ES3_S5_NS0_17constant_iteratorImlEEPmNS0_8identityImEEEE10hipError_tT2_T3_mT4_P12ihipStream_tbEUlT_E_NS1_11comp_targetILNS1_3genE3ELNS1_11target_archE908ELNS1_3gpuE7ELNS1_3repE0EEENS1_30default_config_static_selectorELNS0_4arch9wavefront6targetE1EEEvT1_
	.p2align	8
	.type	_ZN7rocprim17ROCPRIM_400000_NS6detail17trampoline_kernelINS0_14default_configENS1_25transform_config_selectorImLb0EEEZNS1_14transform_implILb0ES3_S5_NS0_17constant_iteratorImlEEPmNS0_8identityImEEEE10hipError_tT2_T3_mT4_P12ihipStream_tbEUlT_E_NS1_11comp_targetILNS1_3genE3ELNS1_11target_archE908ELNS1_3gpuE7ELNS1_3repE0EEENS1_30default_config_static_selectorELNS0_4arch9wavefront6targetE1EEEvT1_,@function
_ZN7rocprim17ROCPRIM_400000_NS6detail17trampoline_kernelINS0_14default_configENS1_25transform_config_selectorImLb0EEEZNS1_14transform_implILb0ES3_S5_NS0_17constant_iteratorImlEEPmNS0_8identityImEEEE10hipError_tT2_T3_mT4_P12ihipStream_tbEUlT_E_NS1_11comp_targetILNS1_3genE3ELNS1_11target_archE908ELNS1_3gpuE7ELNS1_3repE0EEENS1_30default_config_static_selectorELNS0_4arch9wavefront6targetE1EEEvT1_: ; @_ZN7rocprim17ROCPRIM_400000_NS6detail17trampoline_kernelINS0_14default_configENS1_25transform_config_selectorImLb0EEEZNS1_14transform_implILb0ES3_S5_NS0_17constant_iteratorImlEEPmNS0_8identityImEEEE10hipError_tT2_T3_mT4_P12ihipStream_tbEUlT_E_NS1_11comp_targetILNS1_3genE3ELNS1_11target_archE908ELNS1_3gpuE7ELNS1_3repE0EEENS1_30default_config_static_selectorELNS0_4arch9wavefront6targetE1EEEvT1_
; %bb.0:
	.section	.rodata,"a",@progbits
	.p2align	6, 0x0
	.amdhsa_kernel _ZN7rocprim17ROCPRIM_400000_NS6detail17trampoline_kernelINS0_14default_configENS1_25transform_config_selectorImLb0EEEZNS1_14transform_implILb0ES3_S5_NS0_17constant_iteratorImlEEPmNS0_8identityImEEEE10hipError_tT2_T3_mT4_P12ihipStream_tbEUlT_E_NS1_11comp_targetILNS1_3genE3ELNS1_11target_archE908ELNS1_3gpuE7ELNS1_3repE0EEENS1_30default_config_static_selectorELNS0_4arch9wavefront6targetE1EEEvT1_
		.amdhsa_group_segment_fixed_size 0
		.amdhsa_private_segment_fixed_size 0
		.amdhsa_kernarg_size 48
		.amdhsa_user_sgpr_count 6
		.amdhsa_user_sgpr_private_segment_buffer 1
		.amdhsa_user_sgpr_dispatch_ptr 0
		.amdhsa_user_sgpr_queue_ptr 0
		.amdhsa_user_sgpr_kernarg_segment_ptr 1
		.amdhsa_user_sgpr_dispatch_id 0
		.amdhsa_user_sgpr_flat_scratch_init 0
		.amdhsa_user_sgpr_kernarg_preload_length 0
		.amdhsa_user_sgpr_kernarg_preload_offset 0
		.amdhsa_user_sgpr_private_segment_size 0
		.amdhsa_uses_dynamic_stack 0
		.amdhsa_system_sgpr_private_segment_wavefront_offset 0
		.amdhsa_system_sgpr_workgroup_id_x 1
		.amdhsa_system_sgpr_workgroup_id_y 0
		.amdhsa_system_sgpr_workgroup_id_z 0
		.amdhsa_system_sgpr_workgroup_info 0
		.amdhsa_system_vgpr_workitem_id 0
		.amdhsa_next_free_vgpr 1
		.amdhsa_next_free_sgpr 0
		.amdhsa_accum_offset 4
		.amdhsa_reserve_vcc 0
		.amdhsa_reserve_flat_scratch 0
		.amdhsa_float_round_mode_32 0
		.amdhsa_float_round_mode_16_64 0
		.amdhsa_float_denorm_mode_32 3
		.amdhsa_float_denorm_mode_16_64 3
		.amdhsa_dx10_clamp 1
		.amdhsa_ieee_mode 1
		.amdhsa_fp16_overflow 0
		.amdhsa_tg_split 0
		.amdhsa_exception_fp_ieee_invalid_op 0
		.amdhsa_exception_fp_denorm_src 0
		.amdhsa_exception_fp_ieee_div_zero 0
		.amdhsa_exception_fp_ieee_overflow 0
		.amdhsa_exception_fp_ieee_underflow 0
		.amdhsa_exception_fp_ieee_inexact 0
		.amdhsa_exception_int_div_zero 0
	.end_amdhsa_kernel
	.section	.text._ZN7rocprim17ROCPRIM_400000_NS6detail17trampoline_kernelINS0_14default_configENS1_25transform_config_selectorImLb0EEEZNS1_14transform_implILb0ES3_S5_NS0_17constant_iteratorImlEEPmNS0_8identityImEEEE10hipError_tT2_T3_mT4_P12ihipStream_tbEUlT_E_NS1_11comp_targetILNS1_3genE3ELNS1_11target_archE908ELNS1_3gpuE7ELNS1_3repE0EEENS1_30default_config_static_selectorELNS0_4arch9wavefront6targetE1EEEvT1_,"axG",@progbits,_ZN7rocprim17ROCPRIM_400000_NS6detail17trampoline_kernelINS0_14default_configENS1_25transform_config_selectorImLb0EEEZNS1_14transform_implILb0ES3_S5_NS0_17constant_iteratorImlEEPmNS0_8identityImEEEE10hipError_tT2_T3_mT4_P12ihipStream_tbEUlT_E_NS1_11comp_targetILNS1_3genE3ELNS1_11target_archE908ELNS1_3gpuE7ELNS1_3repE0EEENS1_30default_config_static_selectorELNS0_4arch9wavefront6targetE1EEEvT1_,comdat
.Lfunc_end5:
	.size	_ZN7rocprim17ROCPRIM_400000_NS6detail17trampoline_kernelINS0_14default_configENS1_25transform_config_selectorImLb0EEEZNS1_14transform_implILb0ES3_S5_NS0_17constant_iteratorImlEEPmNS0_8identityImEEEE10hipError_tT2_T3_mT4_P12ihipStream_tbEUlT_E_NS1_11comp_targetILNS1_3genE3ELNS1_11target_archE908ELNS1_3gpuE7ELNS1_3repE0EEENS1_30default_config_static_selectorELNS0_4arch9wavefront6targetE1EEEvT1_, .Lfunc_end5-_ZN7rocprim17ROCPRIM_400000_NS6detail17trampoline_kernelINS0_14default_configENS1_25transform_config_selectorImLb0EEEZNS1_14transform_implILb0ES3_S5_NS0_17constant_iteratorImlEEPmNS0_8identityImEEEE10hipError_tT2_T3_mT4_P12ihipStream_tbEUlT_E_NS1_11comp_targetILNS1_3genE3ELNS1_11target_archE908ELNS1_3gpuE7ELNS1_3repE0EEENS1_30default_config_static_selectorELNS0_4arch9wavefront6targetE1EEEvT1_
                                        ; -- End function
	.section	.AMDGPU.csdata,"",@progbits
; Kernel info:
; codeLenInByte = 0
; NumSgprs: 4
; NumVgprs: 0
; NumAgprs: 0
; TotalNumVgprs: 0
; ScratchSize: 0
; MemoryBound: 0
; FloatMode: 240
; IeeeMode: 1
; LDSByteSize: 0 bytes/workgroup (compile time only)
; SGPRBlocks: 0
; VGPRBlocks: 0
; NumSGPRsForWavesPerEU: 4
; NumVGPRsForWavesPerEU: 1
; AccumOffset: 4
; Occupancy: 8
; WaveLimiterHint : 0
; COMPUTE_PGM_RSRC2:SCRATCH_EN: 0
; COMPUTE_PGM_RSRC2:USER_SGPR: 6
; COMPUTE_PGM_RSRC2:TRAP_HANDLER: 0
; COMPUTE_PGM_RSRC2:TGID_X_EN: 1
; COMPUTE_PGM_RSRC2:TGID_Y_EN: 0
; COMPUTE_PGM_RSRC2:TGID_Z_EN: 0
; COMPUTE_PGM_RSRC2:TIDIG_COMP_CNT: 0
; COMPUTE_PGM_RSRC3_GFX90A:ACCUM_OFFSET: 0
; COMPUTE_PGM_RSRC3_GFX90A:TG_SPLIT: 0
	.section	.text._ZN7rocprim17ROCPRIM_400000_NS6detail17trampoline_kernelINS0_14default_configENS1_25transform_config_selectorImLb0EEEZNS1_14transform_implILb0ES3_S5_NS0_17constant_iteratorImlEEPmNS0_8identityImEEEE10hipError_tT2_T3_mT4_P12ihipStream_tbEUlT_E_NS1_11comp_targetILNS1_3genE2ELNS1_11target_archE906ELNS1_3gpuE6ELNS1_3repE0EEENS1_30default_config_static_selectorELNS0_4arch9wavefront6targetE1EEEvT1_,"axG",@progbits,_ZN7rocprim17ROCPRIM_400000_NS6detail17trampoline_kernelINS0_14default_configENS1_25transform_config_selectorImLb0EEEZNS1_14transform_implILb0ES3_S5_NS0_17constant_iteratorImlEEPmNS0_8identityImEEEE10hipError_tT2_T3_mT4_P12ihipStream_tbEUlT_E_NS1_11comp_targetILNS1_3genE2ELNS1_11target_archE906ELNS1_3gpuE6ELNS1_3repE0EEENS1_30default_config_static_selectorELNS0_4arch9wavefront6targetE1EEEvT1_,comdat
	.protected	_ZN7rocprim17ROCPRIM_400000_NS6detail17trampoline_kernelINS0_14default_configENS1_25transform_config_selectorImLb0EEEZNS1_14transform_implILb0ES3_S5_NS0_17constant_iteratorImlEEPmNS0_8identityImEEEE10hipError_tT2_T3_mT4_P12ihipStream_tbEUlT_E_NS1_11comp_targetILNS1_3genE2ELNS1_11target_archE906ELNS1_3gpuE6ELNS1_3repE0EEENS1_30default_config_static_selectorELNS0_4arch9wavefront6targetE1EEEvT1_ ; -- Begin function _ZN7rocprim17ROCPRIM_400000_NS6detail17trampoline_kernelINS0_14default_configENS1_25transform_config_selectorImLb0EEEZNS1_14transform_implILb0ES3_S5_NS0_17constant_iteratorImlEEPmNS0_8identityImEEEE10hipError_tT2_T3_mT4_P12ihipStream_tbEUlT_E_NS1_11comp_targetILNS1_3genE2ELNS1_11target_archE906ELNS1_3gpuE6ELNS1_3repE0EEENS1_30default_config_static_selectorELNS0_4arch9wavefront6targetE1EEEvT1_
	.globl	_ZN7rocprim17ROCPRIM_400000_NS6detail17trampoline_kernelINS0_14default_configENS1_25transform_config_selectorImLb0EEEZNS1_14transform_implILb0ES3_S5_NS0_17constant_iteratorImlEEPmNS0_8identityImEEEE10hipError_tT2_T3_mT4_P12ihipStream_tbEUlT_E_NS1_11comp_targetILNS1_3genE2ELNS1_11target_archE906ELNS1_3gpuE6ELNS1_3repE0EEENS1_30default_config_static_selectorELNS0_4arch9wavefront6targetE1EEEvT1_
	.p2align	8
	.type	_ZN7rocprim17ROCPRIM_400000_NS6detail17trampoline_kernelINS0_14default_configENS1_25transform_config_selectorImLb0EEEZNS1_14transform_implILb0ES3_S5_NS0_17constant_iteratorImlEEPmNS0_8identityImEEEE10hipError_tT2_T3_mT4_P12ihipStream_tbEUlT_E_NS1_11comp_targetILNS1_3genE2ELNS1_11target_archE906ELNS1_3gpuE6ELNS1_3repE0EEENS1_30default_config_static_selectorELNS0_4arch9wavefront6targetE1EEEvT1_,@function
_ZN7rocprim17ROCPRIM_400000_NS6detail17trampoline_kernelINS0_14default_configENS1_25transform_config_selectorImLb0EEEZNS1_14transform_implILb0ES3_S5_NS0_17constant_iteratorImlEEPmNS0_8identityImEEEE10hipError_tT2_T3_mT4_P12ihipStream_tbEUlT_E_NS1_11comp_targetILNS1_3genE2ELNS1_11target_archE906ELNS1_3gpuE6ELNS1_3repE0EEENS1_30default_config_static_selectorELNS0_4arch9wavefront6targetE1EEEvT1_: ; @_ZN7rocprim17ROCPRIM_400000_NS6detail17trampoline_kernelINS0_14default_configENS1_25transform_config_selectorImLb0EEEZNS1_14transform_implILb0ES3_S5_NS0_17constant_iteratorImlEEPmNS0_8identityImEEEE10hipError_tT2_T3_mT4_P12ihipStream_tbEUlT_E_NS1_11comp_targetILNS1_3genE2ELNS1_11target_archE906ELNS1_3gpuE6ELNS1_3repE0EEENS1_30default_config_static_selectorELNS0_4arch9wavefront6targetE1EEEvT1_
; %bb.0:
	.section	.rodata,"a",@progbits
	.p2align	6, 0x0
	.amdhsa_kernel _ZN7rocprim17ROCPRIM_400000_NS6detail17trampoline_kernelINS0_14default_configENS1_25transform_config_selectorImLb0EEEZNS1_14transform_implILb0ES3_S5_NS0_17constant_iteratorImlEEPmNS0_8identityImEEEE10hipError_tT2_T3_mT4_P12ihipStream_tbEUlT_E_NS1_11comp_targetILNS1_3genE2ELNS1_11target_archE906ELNS1_3gpuE6ELNS1_3repE0EEENS1_30default_config_static_selectorELNS0_4arch9wavefront6targetE1EEEvT1_
		.amdhsa_group_segment_fixed_size 0
		.amdhsa_private_segment_fixed_size 0
		.amdhsa_kernarg_size 48
		.amdhsa_user_sgpr_count 6
		.amdhsa_user_sgpr_private_segment_buffer 1
		.amdhsa_user_sgpr_dispatch_ptr 0
		.amdhsa_user_sgpr_queue_ptr 0
		.amdhsa_user_sgpr_kernarg_segment_ptr 1
		.amdhsa_user_sgpr_dispatch_id 0
		.amdhsa_user_sgpr_flat_scratch_init 0
		.amdhsa_user_sgpr_kernarg_preload_length 0
		.amdhsa_user_sgpr_kernarg_preload_offset 0
		.amdhsa_user_sgpr_private_segment_size 0
		.amdhsa_uses_dynamic_stack 0
		.amdhsa_system_sgpr_private_segment_wavefront_offset 0
		.amdhsa_system_sgpr_workgroup_id_x 1
		.amdhsa_system_sgpr_workgroup_id_y 0
		.amdhsa_system_sgpr_workgroup_id_z 0
		.amdhsa_system_sgpr_workgroup_info 0
		.amdhsa_system_vgpr_workitem_id 0
		.amdhsa_next_free_vgpr 1
		.amdhsa_next_free_sgpr 0
		.amdhsa_accum_offset 4
		.amdhsa_reserve_vcc 0
		.amdhsa_reserve_flat_scratch 0
		.amdhsa_float_round_mode_32 0
		.amdhsa_float_round_mode_16_64 0
		.amdhsa_float_denorm_mode_32 3
		.amdhsa_float_denorm_mode_16_64 3
		.amdhsa_dx10_clamp 1
		.amdhsa_ieee_mode 1
		.amdhsa_fp16_overflow 0
		.amdhsa_tg_split 0
		.amdhsa_exception_fp_ieee_invalid_op 0
		.amdhsa_exception_fp_denorm_src 0
		.amdhsa_exception_fp_ieee_div_zero 0
		.amdhsa_exception_fp_ieee_overflow 0
		.amdhsa_exception_fp_ieee_underflow 0
		.amdhsa_exception_fp_ieee_inexact 0
		.amdhsa_exception_int_div_zero 0
	.end_amdhsa_kernel
	.section	.text._ZN7rocprim17ROCPRIM_400000_NS6detail17trampoline_kernelINS0_14default_configENS1_25transform_config_selectorImLb0EEEZNS1_14transform_implILb0ES3_S5_NS0_17constant_iteratorImlEEPmNS0_8identityImEEEE10hipError_tT2_T3_mT4_P12ihipStream_tbEUlT_E_NS1_11comp_targetILNS1_3genE2ELNS1_11target_archE906ELNS1_3gpuE6ELNS1_3repE0EEENS1_30default_config_static_selectorELNS0_4arch9wavefront6targetE1EEEvT1_,"axG",@progbits,_ZN7rocprim17ROCPRIM_400000_NS6detail17trampoline_kernelINS0_14default_configENS1_25transform_config_selectorImLb0EEEZNS1_14transform_implILb0ES3_S5_NS0_17constant_iteratorImlEEPmNS0_8identityImEEEE10hipError_tT2_T3_mT4_P12ihipStream_tbEUlT_E_NS1_11comp_targetILNS1_3genE2ELNS1_11target_archE906ELNS1_3gpuE6ELNS1_3repE0EEENS1_30default_config_static_selectorELNS0_4arch9wavefront6targetE1EEEvT1_,comdat
.Lfunc_end6:
	.size	_ZN7rocprim17ROCPRIM_400000_NS6detail17trampoline_kernelINS0_14default_configENS1_25transform_config_selectorImLb0EEEZNS1_14transform_implILb0ES3_S5_NS0_17constant_iteratorImlEEPmNS0_8identityImEEEE10hipError_tT2_T3_mT4_P12ihipStream_tbEUlT_E_NS1_11comp_targetILNS1_3genE2ELNS1_11target_archE906ELNS1_3gpuE6ELNS1_3repE0EEENS1_30default_config_static_selectorELNS0_4arch9wavefront6targetE1EEEvT1_, .Lfunc_end6-_ZN7rocprim17ROCPRIM_400000_NS6detail17trampoline_kernelINS0_14default_configENS1_25transform_config_selectorImLb0EEEZNS1_14transform_implILb0ES3_S5_NS0_17constant_iteratorImlEEPmNS0_8identityImEEEE10hipError_tT2_T3_mT4_P12ihipStream_tbEUlT_E_NS1_11comp_targetILNS1_3genE2ELNS1_11target_archE906ELNS1_3gpuE6ELNS1_3repE0EEENS1_30default_config_static_selectorELNS0_4arch9wavefront6targetE1EEEvT1_
                                        ; -- End function
	.section	.AMDGPU.csdata,"",@progbits
; Kernel info:
; codeLenInByte = 0
; NumSgprs: 4
; NumVgprs: 0
; NumAgprs: 0
; TotalNumVgprs: 0
; ScratchSize: 0
; MemoryBound: 0
; FloatMode: 240
; IeeeMode: 1
; LDSByteSize: 0 bytes/workgroup (compile time only)
; SGPRBlocks: 0
; VGPRBlocks: 0
; NumSGPRsForWavesPerEU: 4
; NumVGPRsForWavesPerEU: 1
; AccumOffset: 4
; Occupancy: 8
; WaveLimiterHint : 0
; COMPUTE_PGM_RSRC2:SCRATCH_EN: 0
; COMPUTE_PGM_RSRC2:USER_SGPR: 6
; COMPUTE_PGM_RSRC2:TRAP_HANDLER: 0
; COMPUTE_PGM_RSRC2:TGID_X_EN: 1
; COMPUTE_PGM_RSRC2:TGID_Y_EN: 0
; COMPUTE_PGM_RSRC2:TGID_Z_EN: 0
; COMPUTE_PGM_RSRC2:TIDIG_COMP_CNT: 0
; COMPUTE_PGM_RSRC3_GFX90A:ACCUM_OFFSET: 0
; COMPUTE_PGM_RSRC3_GFX90A:TG_SPLIT: 0
	.section	.text._ZN7rocprim17ROCPRIM_400000_NS6detail17trampoline_kernelINS0_14default_configENS1_25transform_config_selectorImLb0EEEZNS1_14transform_implILb0ES3_S5_NS0_17constant_iteratorImlEEPmNS0_8identityImEEEE10hipError_tT2_T3_mT4_P12ihipStream_tbEUlT_E_NS1_11comp_targetILNS1_3genE10ELNS1_11target_archE1201ELNS1_3gpuE5ELNS1_3repE0EEENS1_30default_config_static_selectorELNS0_4arch9wavefront6targetE1EEEvT1_,"axG",@progbits,_ZN7rocprim17ROCPRIM_400000_NS6detail17trampoline_kernelINS0_14default_configENS1_25transform_config_selectorImLb0EEEZNS1_14transform_implILb0ES3_S5_NS0_17constant_iteratorImlEEPmNS0_8identityImEEEE10hipError_tT2_T3_mT4_P12ihipStream_tbEUlT_E_NS1_11comp_targetILNS1_3genE10ELNS1_11target_archE1201ELNS1_3gpuE5ELNS1_3repE0EEENS1_30default_config_static_selectorELNS0_4arch9wavefront6targetE1EEEvT1_,comdat
	.protected	_ZN7rocprim17ROCPRIM_400000_NS6detail17trampoline_kernelINS0_14default_configENS1_25transform_config_selectorImLb0EEEZNS1_14transform_implILb0ES3_S5_NS0_17constant_iteratorImlEEPmNS0_8identityImEEEE10hipError_tT2_T3_mT4_P12ihipStream_tbEUlT_E_NS1_11comp_targetILNS1_3genE10ELNS1_11target_archE1201ELNS1_3gpuE5ELNS1_3repE0EEENS1_30default_config_static_selectorELNS0_4arch9wavefront6targetE1EEEvT1_ ; -- Begin function _ZN7rocprim17ROCPRIM_400000_NS6detail17trampoline_kernelINS0_14default_configENS1_25transform_config_selectorImLb0EEEZNS1_14transform_implILb0ES3_S5_NS0_17constant_iteratorImlEEPmNS0_8identityImEEEE10hipError_tT2_T3_mT4_P12ihipStream_tbEUlT_E_NS1_11comp_targetILNS1_3genE10ELNS1_11target_archE1201ELNS1_3gpuE5ELNS1_3repE0EEENS1_30default_config_static_selectorELNS0_4arch9wavefront6targetE1EEEvT1_
	.globl	_ZN7rocprim17ROCPRIM_400000_NS6detail17trampoline_kernelINS0_14default_configENS1_25transform_config_selectorImLb0EEEZNS1_14transform_implILb0ES3_S5_NS0_17constant_iteratorImlEEPmNS0_8identityImEEEE10hipError_tT2_T3_mT4_P12ihipStream_tbEUlT_E_NS1_11comp_targetILNS1_3genE10ELNS1_11target_archE1201ELNS1_3gpuE5ELNS1_3repE0EEENS1_30default_config_static_selectorELNS0_4arch9wavefront6targetE1EEEvT1_
	.p2align	8
	.type	_ZN7rocprim17ROCPRIM_400000_NS6detail17trampoline_kernelINS0_14default_configENS1_25transform_config_selectorImLb0EEEZNS1_14transform_implILb0ES3_S5_NS0_17constant_iteratorImlEEPmNS0_8identityImEEEE10hipError_tT2_T3_mT4_P12ihipStream_tbEUlT_E_NS1_11comp_targetILNS1_3genE10ELNS1_11target_archE1201ELNS1_3gpuE5ELNS1_3repE0EEENS1_30default_config_static_selectorELNS0_4arch9wavefront6targetE1EEEvT1_,@function
_ZN7rocprim17ROCPRIM_400000_NS6detail17trampoline_kernelINS0_14default_configENS1_25transform_config_selectorImLb0EEEZNS1_14transform_implILb0ES3_S5_NS0_17constant_iteratorImlEEPmNS0_8identityImEEEE10hipError_tT2_T3_mT4_P12ihipStream_tbEUlT_E_NS1_11comp_targetILNS1_3genE10ELNS1_11target_archE1201ELNS1_3gpuE5ELNS1_3repE0EEENS1_30default_config_static_selectorELNS0_4arch9wavefront6targetE1EEEvT1_: ; @_ZN7rocprim17ROCPRIM_400000_NS6detail17trampoline_kernelINS0_14default_configENS1_25transform_config_selectorImLb0EEEZNS1_14transform_implILb0ES3_S5_NS0_17constant_iteratorImlEEPmNS0_8identityImEEEE10hipError_tT2_T3_mT4_P12ihipStream_tbEUlT_E_NS1_11comp_targetILNS1_3genE10ELNS1_11target_archE1201ELNS1_3gpuE5ELNS1_3repE0EEENS1_30default_config_static_selectorELNS0_4arch9wavefront6targetE1EEEvT1_
; %bb.0:
	.section	.rodata,"a",@progbits
	.p2align	6, 0x0
	.amdhsa_kernel _ZN7rocprim17ROCPRIM_400000_NS6detail17trampoline_kernelINS0_14default_configENS1_25transform_config_selectorImLb0EEEZNS1_14transform_implILb0ES3_S5_NS0_17constant_iteratorImlEEPmNS0_8identityImEEEE10hipError_tT2_T3_mT4_P12ihipStream_tbEUlT_E_NS1_11comp_targetILNS1_3genE10ELNS1_11target_archE1201ELNS1_3gpuE5ELNS1_3repE0EEENS1_30default_config_static_selectorELNS0_4arch9wavefront6targetE1EEEvT1_
		.amdhsa_group_segment_fixed_size 0
		.amdhsa_private_segment_fixed_size 0
		.amdhsa_kernarg_size 48
		.amdhsa_user_sgpr_count 6
		.amdhsa_user_sgpr_private_segment_buffer 1
		.amdhsa_user_sgpr_dispatch_ptr 0
		.amdhsa_user_sgpr_queue_ptr 0
		.amdhsa_user_sgpr_kernarg_segment_ptr 1
		.amdhsa_user_sgpr_dispatch_id 0
		.amdhsa_user_sgpr_flat_scratch_init 0
		.amdhsa_user_sgpr_kernarg_preload_length 0
		.amdhsa_user_sgpr_kernarg_preload_offset 0
		.amdhsa_user_sgpr_private_segment_size 0
		.amdhsa_uses_dynamic_stack 0
		.amdhsa_system_sgpr_private_segment_wavefront_offset 0
		.amdhsa_system_sgpr_workgroup_id_x 1
		.amdhsa_system_sgpr_workgroup_id_y 0
		.amdhsa_system_sgpr_workgroup_id_z 0
		.amdhsa_system_sgpr_workgroup_info 0
		.amdhsa_system_vgpr_workitem_id 0
		.amdhsa_next_free_vgpr 1
		.amdhsa_next_free_sgpr 0
		.amdhsa_accum_offset 4
		.amdhsa_reserve_vcc 0
		.amdhsa_reserve_flat_scratch 0
		.amdhsa_float_round_mode_32 0
		.amdhsa_float_round_mode_16_64 0
		.amdhsa_float_denorm_mode_32 3
		.amdhsa_float_denorm_mode_16_64 3
		.amdhsa_dx10_clamp 1
		.amdhsa_ieee_mode 1
		.amdhsa_fp16_overflow 0
		.amdhsa_tg_split 0
		.amdhsa_exception_fp_ieee_invalid_op 0
		.amdhsa_exception_fp_denorm_src 0
		.amdhsa_exception_fp_ieee_div_zero 0
		.amdhsa_exception_fp_ieee_overflow 0
		.amdhsa_exception_fp_ieee_underflow 0
		.amdhsa_exception_fp_ieee_inexact 0
		.amdhsa_exception_int_div_zero 0
	.end_amdhsa_kernel
	.section	.text._ZN7rocprim17ROCPRIM_400000_NS6detail17trampoline_kernelINS0_14default_configENS1_25transform_config_selectorImLb0EEEZNS1_14transform_implILb0ES3_S5_NS0_17constant_iteratorImlEEPmNS0_8identityImEEEE10hipError_tT2_T3_mT4_P12ihipStream_tbEUlT_E_NS1_11comp_targetILNS1_3genE10ELNS1_11target_archE1201ELNS1_3gpuE5ELNS1_3repE0EEENS1_30default_config_static_selectorELNS0_4arch9wavefront6targetE1EEEvT1_,"axG",@progbits,_ZN7rocprim17ROCPRIM_400000_NS6detail17trampoline_kernelINS0_14default_configENS1_25transform_config_selectorImLb0EEEZNS1_14transform_implILb0ES3_S5_NS0_17constant_iteratorImlEEPmNS0_8identityImEEEE10hipError_tT2_T3_mT4_P12ihipStream_tbEUlT_E_NS1_11comp_targetILNS1_3genE10ELNS1_11target_archE1201ELNS1_3gpuE5ELNS1_3repE0EEENS1_30default_config_static_selectorELNS0_4arch9wavefront6targetE1EEEvT1_,comdat
.Lfunc_end7:
	.size	_ZN7rocprim17ROCPRIM_400000_NS6detail17trampoline_kernelINS0_14default_configENS1_25transform_config_selectorImLb0EEEZNS1_14transform_implILb0ES3_S5_NS0_17constant_iteratorImlEEPmNS0_8identityImEEEE10hipError_tT2_T3_mT4_P12ihipStream_tbEUlT_E_NS1_11comp_targetILNS1_3genE10ELNS1_11target_archE1201ELNS1_3gpuE5ELNS1_3repE0EEENS1_30default_config_static_selectorELNS0_4arch9wavefront6targetE1EEEvT1_, .Lfunc_end7-_ZN7rocprim17ROCPRIM_400000_NS6detail17trampoline_kernelINS0_14default_configENS1_25transform_config_selectorImLb0EEEZNS1_14transform_implILb0ES3_S5_NS0_17constant_iteratorImlEEPmNS0_8identityImEEEE10hipError_tT2_T3_mT4_P12ihipStream_tbEUlT_E_NS1_11comp_targetILNS1_3genE10ELNS1_11target_archE1201ELNS1_3gpuE5ELNS1_3repE0EEENS1_30default_config_static_selectorELNS0_4arch9wavefront6targetE1EEEvT1_
                                        ; -- End function
	.section	.AMDGPU.csdata,"",@progbits
; Kernel info:
; codeLenInByte = 0
; NumSgprs: 4
; NumVgprs: 0
; NumAgprs: 0
; TotalNumVgprs: 0
; ScratchSize: 0
; MemoryBound: 0
; FloatMode: 240
; IeeeMode: 1
; LDSByteSize: 0 bytes/workgroup (compile time only)
; SGPRBlocks: 0
; VGPRBlocks: 0
; NumSGPRsForWavesPerEU: 4
; NumVGPRsForWavesPerEU: 1
; AccumOffset: 4
; Occupancy: 8
; WaveLimiterHint : 0
; COMPUTE_PGM_RSRC2:SCRATCH_EN: 0
; COMPUTE_PGM_RSRC2:USER_SGPR: 6
; COMPUTE_PGM_RSRC2:TRAP_HANDLER: 0
; COMPUTE_PGM_RSRC2:TGID_X_EN: 1
; COMPUTE_PGM_RSRC2:TGID_Y_EN: 0
; COMPUTE_PGM_RSRC2:TGID_Z_EN: 0
; COMPUTE_PGM_RSRC2:TIDIG_COMP_CNT: 0
; COMPUTE_PGM_RSRC3_GFX90A:ACCUM_OFFSET: 0
; COMPUTE_PGM_RSRC3_GFX90A:TG_SPLIT: 0
	.section	.text._ZN7rocprim17ROCPRIM_400000_NS6detail17trampoline_kernelINS0_14default_configENS1_25transform_config_selectorImLb0EEEZNS1_14transform_implILb0ES3_S5_NS0_17constant_iteratorImlEEPmNS0_8identityImEEEE10hipError_tT2_T3_mT4_P12ihipStream_tbEUlT_E_NS1_11comp_targetILNS1_3genE10ELNS1_11target_archE1200ELNS1_3gpuE4ELNS1_3repE0EEENS1_30default_config_static_selectorELNS0_4arch9wavefront6targetE1EEEvT1_,"axG",@progbits,_ZN7rocprim17ROCPRIM_400000_NS6detail17trampoline_kernelINS0_14default_configENS1_25transform_config_selectorImLb0EEEZNS1_14transform_implILb0ES3_S5_NS0_17constant_iteratorImlEEPmNS0_8identityImEEEE10hipError_tT2_T3_mT4_P12ihipStream_tbEUlT_E_NS1_11comp_targetILNS1_3genE10ELNS1_11target_archE1200ELNS1_3gpuE4ELNS1_3repE0EEENS1_30default_config_static_selectorELNS0_4arch9wavefront6targetE1EEEvT1_,comdat
	.protected	_ZN7rocprim17ROCPRIM_400000_NS6detail17trampoline_kernelINS0_14default_configENS1_25transform_config_selectorImLb0EEEZNS1_14transform_implILb0ES3_S5_NS0_17constant_iteratorImlEEPmNS0_8identityImEEEE10hipError_tT2_T3_mT4_P12ihipStream_tbEUlT_E_NS1_11comp_targetILNS1_3genE10ELNS1_11target_archE1200ELNS1_3gpuE4ELNS1_3repE0EEENS1_30default_config_static_selectorELNS0_4arch9wavefront6targetE1EEEvT1_ ; -- Begin function _ZN7rocprim17ROCPRIM_400000_NS6detail17trampoline_kernelINS0_14default_configENS1_25transform_config_selectorImLb0EEEZNS1_14transform_implILb0ES3_S5_NS0_17constant_iteratorImlEEPmNS0_8identityImEEEE10hipError_tT2_T3_mT4_P12ihipStream_tbEUlT_E_NS1_11comp_targetILNS1_3genE10ELNS1_11target_archE1200ELNS1_3gpuE4ELNS1_3repE0EEENS1_30default_config_static_selectorELNS0_4arch9wavefront6targetE1EEEvT1_
	.globl	_ZN7rocprim17ROCPRIM_400000_NS6detail17trampoline_kernelINS0_14default_configENS1_25transform_config_selectorImLb0EEEZNS1_14transform_implILb0ES3_S5_NS0_17constant_iteratorImlEEPmNS0_8identityImEEEE10hipError_tT2_T3_mT4_P12ihipStream_tbEUlT_E_NS1_11comp_targetILNS1_3genE10ELNS1_11target_archE1200ELNS1_3gpuE4ELNS1_3repE0EEENS1_30default_config_static_selectorELNS0_4arch9wavefront6targetE1EEEvT1_
	.p2align	8
	.type	_ZN7rocprim17ROCPRIM_400000_NS6detail17trampoline_kernelINS0_14default_configENS1_25transform_config_selectorImLb0EEEZNS1_14transform_implILb0ES3_S5_NS0_17constant_iteratorImlEEPmNS0_8identityImEEEE10hipError_tT2_T3_mT4_P12ihipStream_tbEUlT_E_NS1_11comp_targetILNS1_3genE10ELNS1_11target_archE1200ELNS1_3gpuE4ELNS1_3repE0EEENS1_30default_config_static_selectorELNS0_4arch9wavefront6targetE1EEEvT1_,@function
_ZN7rocprim17ROCPRIM_400000_NS6detail17trampoline_kernelINS0_14default_configENS1_25transform_config_selectorImLb0EEEZNS1_14transform_implILb0ES3_S5_NS0_17constant_iteratorImlEEPmNS0_8identityImEEEE10hipError_tT2_T3_mT4_P12ihipStream_tbEUlT_E_NS1_11comp_targetILNS1_3genE10ELNS1_11target_archE1200ELNS1_3gpuE4ELNS1_3repE0EEENS1_30default_config_static_selectorELNS0_4arch9wavefront6targetE1EEEvT1_: ; @_ZN7rocprim17ROCPRIM_400000_NS6detail17trampoline_kernelINS0_14default_configENS1_25transform_config_selectorImLb0EEEZNS1_14transform_implILb0ES3_S5_NS0_17constant_iteratorImlEEPmNS0_8identityImEEEE10hipError_tT2_T3_mT4_P12ihipStream_tbEUlT_E_NS1_11comp_targetILNS1_3genE10ELNS1_11target_archE1200ELNS1_3gpuE4ELNS1_3repE0EEENS1_30default_config_static_selectorELNS0_4arch9wavefront6targetE1EEEvT1_
; %bb.0:
	.section	.rodata,"a",@progbits
	.p2align	6, 0x0
	.amdhsa_kernel _ZN7rocprim17ROCPRIM_400000_NS6detail17trampoline_kernelINS0_14default_configENS1_25transform_config_selectorImLb0EEEZNS1_14transform_implILb0ES3_S5_NS0_17constant_iteratorImlEEPmNS0_8identityImEEEE10hipError_tT2_T3_mT4_P12ihipStream_tbEUlT_E_NS1_11comp_targetILNS1_3genE10ELNS1_11target_archE1200ELNS1_3gpuE4ELNS1_3repE0EEENS1_30default_config_static_selectorELNS0_4arch9wavefront6targetE1EEEvT1_
		.amdhsa_group_segment_fixed_size 0
		.amdhsa_private_segment_fixed_size 0
		.amdhsa_kernarg_size 48
		.amdhsa_user_sgpr_count 6
		.amdhsa_user_sgpr_private_segment_buffer 1
		.amdhsa_user_sgpr_dispatch_ptr 0
		.amdhsa_user_sgpr_queue_ptr 0
		.amdhsa_user_sgpr_kernarg_segment_ptr 1
		.amdhsa_user_sgpr_dispatch_id 0
		.amdhsa_user_sgpr_flat_scratch_init 0
		.amdhsa_user_sgpr_kernarg_preload_length 0
		.amdhsa_user_sgpr_kernarg_preload_offset 0
		.amdhsa_user_sgpr_private_segment_size 0
		.amdhsa_uses_dynamic_stack 0
		.amdhsa_system_sgpr_private_segment_wavefront_offset 0
		.amdhsa_system_sgpr_workgroup_id_x 1
		.amdhsa_system_sgpr_workgroup_id_y 0
		.amdhsa_system_sgpr_workgroup_id_z 0
		.amdhsa_system_sgpr_workgroup_info 0
		.amdhsa_system_vgpr_workitem_id 0
		.amdhsa_next_free_vgpr 1
		.amdhsa_next_free_sgpr 0
		.amdhsa_accum_offset 4
		.amdhsa_reserve_vcc 0
		.amdhsa_reserve_flat_scratch 0
		.amdhsa_float_round_mode_32 0
		.amdhsa_float_round_mode_16_64 0
		.amdhsa_float_denorm_mode_32 3
		.amdhsa_float_denorm_mode_16_64 3
		.amdhsa_dx10_clamp 1
		.amdhsa_ieee_mode 1
		.amdhsa_fp16_overflow 0
		.amdhsa_tg_split 0
		.amdhsa_exception_fp_ieee_invalid_op 0
		.amdhsa_exception_fp_denorm_src 0
		.amdhsa_exception_fp_ieee_div_zero 0
		.amdhsa_exception_fp_ieee_overflow 0
		.amdhsa_exception_fp_ieee_underflow 0
		.amdhsa_exception_fp_ieee_inexact 0
		.amdhsa_exception_int_div_zero 0
	.end_amdhsa_kernel
	.section	.text._ZN7rocprim17ROCPRIM_400000_NS6detail17trampoline_kernelINS0_14default_configENS1_25transform_config_selectorImLb0EEEZNS1_14transform_implILb0ES3_S5_NS0_17constant_iteratorImlEEPmNS0_8identityImEEEE10hipError_tT2_T3_mT4_P12ihipStream_tbEUlT_E_NS1_11comp_targetILNS1_3genE10ELNS1_11target_archE1200ELNS1_3gpuE4ELNS1_3repE0EEENS1_30default_config_static_selectorELNS0_4arch9wavefront6targetE1EEEvT1_,"axG",@progbits,_ZN7rocprim17ROCPRIM_400000_NS6detail17trampoline_kernelINS0_14default_configENS1_25transform_config_selectorImLb0EEEZNS1_14transform_implILb0ES3_S5_NS0_17constant_iteratorImlEEPmNS0_8identityImEEEE10hipError_tT2_T3_mT4_P12ihipStream_tbEUlT_E_NS1_11comp_targetILNS1_3genE10ELNS1_11target_archE1200ELNS1_3gpuE4ELNS1_3repE0EEENS1_30default_config_static_selectorELNS0_4arch9wavefront6targetE1EEEvT1_,comdat
.Lfunc_end8:
	.size	_ZN7rocprim17ROCPRIM_400000_NS6detail17trampoline_kernelINS0_14default_configENS1_25transform_config_selectorImLb0EEEZNS1_14transform_implILb0ES3_S5_NS0_17constant_iteratorImlEEPmNS0_8identityImEEEE10hipError_tT2_T3_mT4_P12ihipStream_tbEUlT_E_NS1_11comp_targetILNS1_3genE10ELNS1_11target_archE1200ELNS1_3gpuE4ELNS1_3repE0EEENS1_30default_config_static_selectorELNS0_4arch9wavefront6targetE1EEEvT1_, .Lfunc_end8-_ZN7rocprim17ROCPRIM_400000_NS6detail17trampoline_kernelINS0_14default_configENS1_25transform_config_selectorImLb0EEEZNS1_14transform_implILb0ES3_S5_NS0_17constant_iteratorImlEEPmNS0_8identityImEEEE10hipError_tT2_T3_mT4_P12ihipStream_tbEUlT_E_NS1_11comp_targetILNS1_3genE10ELNS1_11target_archE1200ELNS1_3gpuE4ELNS1_3repE0EEENS1_30default_config_static_selectorELNS0_4arch9wavefront6targetE1EEEvT1_
                                        ; -- End function
	.section	.AMDGPU.csdata,"",@progbits
; Kernel info:
; codeLenInByte = 0
; NumSgprs: 4
; NumVgprs: 0
; NumAgprs: 0
; TotalNumVgprs: 0
; ScratchSize: 0
; MemoryBound: 0
; FloatMode: 240
; IeeeMode: 1
; LDSByteSize: 0 bytes/workgroup (compile time only)
; SGPRBlocks: 0
; VGPRBlocks: 0
; NumSGPRsForWavesPerEU: 4
; NumVGPRsForWavesPerEU: 1
; AccumOffset: 4
; Occupancy: 8
; WaveLimiterHint : 0
; COMPUTE_PGM_RSRC2:SCRATCH_EN: 0
; COMPUTE_PGM_RSRC2:USER_SGPR: 6
; COMPUTE_PGM_RSRC2:TRAP_HANDLER: 0
; COMPUTE_PGM_RSRC2:TGID_X_EN: 1
; COMPUTE_PGM_RSRC2:TGID_Y_EN: 0
; COMPUTE_PGM_RSRC2:TGID_Z_EN: 0
; COMPUTE_PGM_RSRC2:TIDIG_COMP_CNT: 0
; COMPUTE_PGM_RSRC3_GFX90A:ACCUM_OFFSET: 0
; COMPUTE_PGM_RSRC3_GFX90A:TG_SPLIT: 0
	.section	.text._ZN7rocprim17ROCPRIM_400000_NS6detail17trampoline_kernelINS0_14default_configENS1_25transform_config_selectorImLb0EEEZNS1_14transform_implILb0ES3_S5_NS0_17constant_iteratorImlEEPmNS0_8identityImEEEE10hipError_tT2_T3_mT4_P12ihipStream_tbEUlT_E_NS1_11comp_targetILNS1_3genE9ELNS1_11target_archE1100ELNS1_3gpuE3ELNS1_3repE0EEENS1_30default_config_static_selectorELNS0_4arch9wavefront6targetE1EEEvT1_,"axG",@progbits,_ZN7rocprim17ROCPRIM_400000_NS6detail17trampoline_kernelINS0_14default_configENS1_25transform_config_selectorImLb0EEEZNS1_14transform_implILb0ES3_S5_NS0_17constant_iteratorImlEEPmNS0_8identityImEEEE10hipError_tT2_T3_mT4_P12ihipStream_tbEUlT_E_NS1_11comp_targetILNS1_3genE9ELNS1_11target_archE1100ELNS1_3gpuE3ELNS1_3repE0EEENS1_30default_config_static_selectorELNS0_4arch9wavefront6targetE1EEEvT1_,comdat
	.protected	_ZN7rocprim17ROCPRIM_400000_NS6detail17trampoline_kernelINS0_14default_configENS1_25transform_config_selectorImLb0EEEZNS1_14transform_implILb0ES3_S5_NS0_17constant_iteratorImlEEPmNS0_8identityImEEEE10hipError_tT2_T3_mT4_P12ihipStream_tbEUlT_E_NS1_11comp_targetILNS1_3genE9ELNS1_11target_archE1100ELNS1_3gpuE3ELNS1_3repE0EEENS1_30default_config_static_selectorELNS0_4arch9wavefront6targetE1EEEvT1_ ; -- Begin function _ZN7rocprim17ROCPRIM_400000_NS6detail17trampoline_kernelINS0_14default_configENS1_25transform_config_selectorImLb0EEEZNS1_14transform_implILb0ES3_S5_NS0_17constant_iteratorImlEEPmNS0_8identityImEEEE10hipError_tT2_T3_mT4_P12ihipStream_tbEUlT_E_NS1_11comp_targetILNS1_3genE9ELNS1_11target_archE1100ELNS1_3gpuE3ELNS1_3repE0EEENS1_30default_config_static_selectorELNS0_4arch9wavefront6targetE1EEEvT1_
	.globl	_ZN7rocprim17ROCPRIM_400000_NS6detail17trampoline_kernelINS0_14default_configENS1_25transform_config_selectorImLb0EEEZNS1_14transform_implILb0ES3_S5_NS0_17constant_iteratorImlEEPmNS0_8identityImEEEE10hipError_tT2_T3_mT4_P12ihipStream_tbEUlT_E_NS1_11comp_targetILNS1_3genE9ELNS1_11target_archE1100ELNS1_3gpuE3ELNS1_3repE0EEENS1_30default_config_static_selectorELNS0_4arch9wavefront6targetE1EEEvT1_
	.p2align	8
	.type	_ZN7rocprim17ROCPRIM_400000_NS6detail17trampoline_kernelINS0_14default_configENS1_25transform_config_selectorImLb0EEEZNS1_14transform_implILb0ES3_S5_NS0_17constant_iteratorImlEEPmNS0_8identityImEEEE10hipError_tT2_T3_mT4_P12ihipStream_tbEUlT_E_NS1_11comp_targetILNS1_3genE9ELNS1_11target_archE1100ELNS1_3gpuE3ELNS1_3repE0EEENS1_30default_config_static_selectorELNS0_4arch9wavefront6targetE1EEEvT1_,@function
_ZN7rocprim17ROCPRIM_400000_NS6detail17trampoline_kernelINS0_14default_configENS1_25transform_config_selectorImLb0EEEZNS1_14transform_implILb0ES3_S5_NS0_17constant_iteratorImlEEPmNS0_8identityImEEEE10hipError_tT2_T3_mT4_P12ihipStream_tbEUlT_E_NS1_11comp_targetILNS1_3genE9ELNS1_11target_archE1100ELNS1_3gpuE3ELNS1_3repE0EEENS1_30default_config_static_selectorELNS0_4arch9wavefront6targetE1EEEvT1_: ; @_ZN7rocprim17ROCPRIM_400000_NS6detail17trampoline_kernelINS0_14default_configENS1_25transform_config_selectorImLb0EEEZNS1_14transform_implILb0ES3_S5_NS0_17constant_iteratorImlEEPmNS0_8identityImEEEE10hipError_tT2_T3_mT4_P12ihipStream_tbEUlT_E_NS1_11comp_targetILNS1_3genE9ELNS1_11target_archE1100ELNS1_3gpuE3ELNS1_3repE0EEENS1_30default_config_static_selectorELNS0_4arch9wavefront6targetE1EEEvT1_
; %bb.0:
	.section	.rodata,"a",@progbits
	.p2align	6, 0x0
	.amdhsa_kernel _ZN7rocprim17ROCPRIM_400000_NS6detail17trampoline_kernelINS0_14default_configENS1_25transform_config_selectorImLb0EEEZNS1_14transform_implILb0ES3_S5_NS0_17constant_iteratorImlEEPmNS0_8identityImEEEE10hipError_tT2_T3_mT4_P12ihipStream_tbEUlT_E_NS1_11comp_targetILNS1_3genE9ELNS1_11target_archE1100ELNS1_3gpuE3ELNS1_3repE0EEENS1_30default_config_static_selectorELNS0_4arch9wavefront6targetE1EEEvT1_
		.amdhsa_group_segment_fixed_size 0
		.amdhsa_private_segment_fixed_size 0
		.amdhsa_kernarg_size 48
		.amdhsa_user_sgpr_count 6
		.amdhsa_user_sgpr_private_segment_buffer 1
		.amdhsa_user_sgpr_dispatch_ptr 0
		.amdhsa_user_sgpr_queue_ptr 0
		.amdhsa_user_sgpr_kernarg_segment_ptr 1
		.amdhsa_user_sgpr_dispatch_id 0
		.amdhsa_user_sgpr_flat_scratch_init 0
		.amdhsa_user_sgpr_kernarg_preload_length 0
		.amdhsa_user_sgpr_kernarg_preload_offset 0
		.amdhsa_user_sgpr_private_segment_size 0
		.amdhsa_uses_dynamic_stack 0
		.amdhsa_system_sgpr_private_segment_wavefront_offset 0
		.amdhsa_system_sgpr_workgroup_id_x 1
		.amdhsa_system_sgpr_workgroup_id_y 0
		.amdhsa_system_sgpr_workgroup_id_z 0
		.amdhsa_system_sgpr_workgroup_info 0
		.amdhsa_system_vgpr_workitem_id 0
		.amdhsa_next_free_vgpr 1
		.amdhsa_next_free_sgpr 0
		.amdhsa_accum_offset 4
		.amdhsa_reserve_vcc 0
		.amdhsa_reserve_flat_scratch 0
		.amdhsa_float_round_mode_32 0
		.amdhsa_float_round_mode_16_64 0
		.amdhsa_float_denorm_mode_32 3
		.amdhsa_float_denorm_mode_16_64 3
		.amdhsa_dx10_clamp 1
		.amdhsa_ieee_mode 1
		.amdhsa_fp16_overflow 0
		.amdhsa_tg_split 0
		.amdhsa_exception_fp_ieee_invalid_op 0
		.amdhsa_exception_fp_denorm_src 0
		.amdhsa_exception_fp_ieee_div_zero 0
		.amdhsa_exception_fp_ieee_overflow 0
		.amdhsa_exception_fp_ieee_underflow 0
		.amdhsa_exception_fp_ieee_inexact 0
		.amdhsa_exception_int_div_zero 0
	.end_amdhsa_kernel
	.section	.text._ZN7rocprim17ROCPRIM_400000_NS6detail17trampoline_kernelINS0_14default_configENS1_25transform_config_selectorImLb0EEEZNS1_14transform_implILb0ES3_S5_NS0_17constant_iteratorImlEEPmNS0_8identityImEEEE10hipError_tT2_T3_mT4_P12ihipStream_tbEUlT_E_NS1_11comp_targetILNS1_3genE9ELNS1_11target_archE1100ELNS1_3gpuE3ELNS1_3repE0EEENS1_30default_config_static_selectorELNS0_4arch9wavefront6targetE1EEEvT1_,"axG",@progbits,_ZN7rocprim17ROCPRIM_400000_NS6detail17trampoline_kernelINS0_14default_configENS1_25transform_config_selectorImLb0EEEZNS1_14transform_implILb0ES3_S5_NS0_17constant_iteratorImlEEPmNS0_8identityImEEEE10hipError_tT2_T3_mT4_P12ihipStream_tbEUlT_E_NS1_11comp_targetILNS1_3genE9ELNS1_11target_archE1100ELNS1_3gpuE3ELNS1_3repE0EEENS1_30default_config_static_selectorELNS0_4arch9wavefront6targetE1EEEvT1_,comdat
.Lfunc_end9:
	.size	_ZN7rocprim17ROCPRIM_400000_NS6detail17trampoline_kernelINS0_14default_configENS1_25transform_config_selectorImLb0EEEZNS1_14transform_implILb0ES3_S5_NS0_17constant_iteratorImlEEPmNS0_8identityImEEEE10hipError_tT2_T3_mT4_P12ihipStream_tbEUlT_E_NS1_11comp_targetILNS1_3genE9ELNS1_11target_archE1100ELNS1_3gpuE3ELNS1_3repE0EEENS1_30default_config_static_selectorELNS0_4arch9wavefront6targetE1EEEvT1_, .Lfunc_end9-_ZN7rocprim17ROCPRIM_400000_NS6detail17trampoline_kernelINS0_14default_configENS1_25transform_config_selectorImLb0EEEZNS1_14transform_implILb0ES3_S5_NS0_17constant_iteratorImlEEPmNS0_8identityImEEEE10hipError_tT2_T3_mT4_P12ihipStream_tbEUlT_E_NS1_11comp_targetILNS1_3genE9ELNS1_11target_archE1100ELNS1_3gpuE3ELNS1_3repE0EEENS1_30default_config_static_selectorELNS0_4arch9wavefront6targetE1EEEvT1_
                                        ; -- End function
	.section	.AMDGPU.csdata,"",@progbits
; Kernel info:
; codeLenInByte = 0
; NumSgprs: 4
; NumVgprs: 0
; NumAgprs: 0
; TotalNumVgprs: 0
; ScratchSize: 0
; MemoryBound: 0
; FloatMode: 240
; IeeeMode: 1
; LDSByteSize: 0 bytes/workgroup (compile time only)
; SGPRBlocks: 0
; VGPRBlocks: 0
; NumSGPRsForWavesPerEU: 4
; NumVGPRsForWavesPerEU: 1
; AccumOffset: 4
; Occupancy: 8
; WaveLimiterHint : 0
; COMPUTE_PGM_RSRC2:SCRATCH_EN: 0
; COMPUTE_PGM_RSRC2:USER_SGPR: 6
; COMPUTE_PGM_RSRC2:TRAP_HANDLER: 0
; COMPUTE_PGM_RSRC2:TGID_X_EN: 1
; COMPUTE_PGM_RSRC2:TGID_Y_EN: 0
; COMPUTE_PGM_RSRC2:TGID_Z_EN: 0
; COMPUTE_PGM_RSRC2:TIDIG_COMP_CNT: 0
; COMPUTE_PGM_RSRC3_GFX90A:ACCUM_OFFSET: 0
; COMPUTE_PGM_RSRC3_GFX90A:TG_SPLIT: 0
	.section	.text._ZN7rocprim17ROCPRIM_400000_NS6detail17trampoline_kernelINS0_14default_configENS1_25transform_config_selectorImLb0EEEZNS1_14transform_implILb0ES3_S5_NS0_17constant_iteratorImlEEPmNS0_8identityImEEEE10hipError_tT2_T3_mT4_P12ihipStream_tbEUlT_E_NS1_11comp_targetILNS1_3genE8ELNS1_11target_archE1030ELNS1_3gpuE2ELNS1_3repE0EEENS1_30default_config_static_selectorELNS0_4arch9wavefront6targetE1EEEvT1_,"axG",@progbits,_ZN7rocprim17ROCPRIM_400000_NS6detail17trampoline_kernelINS0_14default_configENS1_25transform_config_selectorImLb0EEEZNS1_14transform_implILb0ES3_S5_NS0_17constant_iteratorImlEEPmNS0_8identityImEEEE10hipError_tT2_T3_mT4_P12ihipStream_tbEUlT_E_NS1_11comp_targetILNS1_3genE8ELNS1_11target_archE1030ELNS1_3gpuE2ELNS1_3repE0EEENS1_30default_config_static_selectorELNS0_4arch9wavefront6targetE1EEEvT1_,comdat
	.protected	_ZN7rocprim17ROCPRIM_400000_NS6detail17trampoline_kernelINS0_14default_configENS1_25transform_config_selectorImLb0EEEZNS1_14transform_implILb0ES3_S5_NS0_17constant_iteratorImlEEPmNS0_8identityImEEEE10hipError_tT2_T3_mT4_P12ihipStream_tbEUlT_E_NS1_11comp_targetILNS1_3genE8ELNS1_11target_archE1030ELNS1_3gpuE2ELNS1_3repE0EEENS1_30default_config_static_selectorELNS0_4arch9wavefront6targetE1EEEvT1_ ; -- Begin function _ZN7rocprim17ROCPRIM_400000_NS6detail17trampoline_kernelINS0_14default_configENS1_25transform_config_selectorImLb0EEEZNS1_14transform_implILb0ES3_S5_NS0_17constant_iteratorImlEEPmNS0_8identityImEEEE10hipError_tT2_T3_mT4_P12ihipStream_tbEUlT_E_NS1_11comp_targetILNS1_3genE8ELNS1_11target_archE1030ELNS1_3gpuE2ELNS1_3repE0EEENS1_30default_config_static_selectorELNS0_4arch9wavefront6targetE1EEEvT1_
	.globl	_ZN7rocprim17ROCPRIM_400000_NS6detail17trampoline_kernelINS0_14default_configENS1_25transform_config_selectorImLb0EEEZNS1_14transform_implILb0ES3_S5_NS0_17constant_iteratorImlEEPmNS0_8identityImEEEE10hipError_tT2_T3_mT4_P12ihipStream_tbEUlT_E_NS1_11comp_targetILNS1_3genE8ELNS1_11target_archE1030ELNS1_3gpuE2ELNS1_3repE0EEENS1_30default_config_static_selectorELNS0_4arch9wavefront6targetE1EEEvT1_
	.p2align	8
	.type	_ZN7rocprim17ROCPRIM_400000_NS6detail17trampoline_kernelINS0_14default_configENS1_25transform_config_selectorImLb0EEEZNS1_14transform_implILb0ES3_S5_NS0_17constant_iteratorImlEEPmNS0_8identityImEEEE10hipError_tT2_T3_mT4_P12ihipStream_tbEUlT_E_NS1_11comp_targetILNS1_3genE8ELNS1_11target_archE1030ELNS1_3gpuE2ELNS1_3repE0EEENS1_30default_config_static_selectorELNS0_4arch9wavefront6targetE1EEEvT1_,@function
_ZN7rocprim17ROCPRIM_400000_NS6detail17trampoline_kernelINS0_14default_configENS1_25transform_config_selectorImLb0EEEZNS1_14transform_implILb0ES3_S5_NS0_17constant_iteratorImlEEPmNS0_8identityImEEEE10hipError_tT2_T3_mT4_P12ihipStream_tbEUlT_E_NS1_11comp_targetILNS1_3genE8ELNS1_11target_archE1030ELNS1_3gpuE2ELNS1_3repE0EEENS1_30default_config_static_selectorELNS0_4arch9wavefront6targetE1EEEvT1_: ; @_ZN7rocprim17ROCPRIM_400000_NS6detail17trampoline_kernelINS0_14default_configENS1_25transform_config_selectorImLb0EEEZNS1_14transform_implILb0ES3_S5_NS0_17constant_iteratorImlEEPmNS0_8identityImEEEE10hipError_tT2_T3_mT4_P12ihipStream_tbEUlT_E_NS1_11comp_targetILNS1_3genE8ELNS1_11target_archE1030ELNS1_3gpuE2ELNS1_3repE0EEENS1_30default_config_static_selectorELNS0_4arch9wavefront6targetE1EEEvT1_
; %bb.0:
	.section	.rodata,"a",@progbits
	.p2align	6, 0x0
	.amdhsa_kernel _ZN7rocprim17ROCPRIM_400000_NS6detail17trampoline_kernelINS0_14default_configENS1_25transform_config_selectorImLb0EEEZNS1_14transform_implILb0ES3_S5_NS0_17constant_iteratorImlEEPmNS0_8identityImEEEE10hipError_tT2_T3_mT4_P12ihipStream_tbEUlT_E_NS1_11comp_targetILNS1_3genE8ELNS1_11target_archE1030ELNS1_3gpuE2ELNS1_3repE0EEENS1_30default_config_static_selectorELNS0_4arch9wavefront6targetE1EEEvT1_
		.amdhsa_group_segment_fixed_size 0
		.amdhsa_private_segment_fixed_size 0
		.amdhsa_kernarg_size 48
		.amdhsa_user_sgpr_count 6
		.amdhsa_user_sgpr_private_segment_buffer 1
		.amdhsa_user_sgpr_dispatch_ptr 0
		.amdhsa_user_sgpr_queue_ptr 0
		.amdhsa_user_sgpr_kernarg_segment_ptr 1
		.amdhsa_user_sgpr_dispatch_id 0
		.amdhsa_user_sgpr_flat_scratch_init 0
		.amdhsa_user_sgpr_kernarg_preload_length 0
		.amdhsa_user_sgpr_kernarg_preload_offset 0
		.amdhsa_user_sgpr_private_segment_size 0
		.amdhsa_uses_dynamic_stack 0
		.amdhsa_system_sgpr_private_segment_wavefront_offset 0
		.amdhsa_system_sgpr_workgroup_id_x 1
		.amdhsa_system_sgpr_workgroup_id_y 0
		.amdhsa_system_sgpr_workgroup_id_z 0
		.amdhsa_system_sgpr_workgroup_info 0
		.amdhsa_system_vgpr_workitem_id 0
		.amdhsa_next_free_vgpr 1
		.amdhsa_next_free_sgpr 0
		.amdhsa_accum_offset 4
		.amdhsa_reserve_vcc 0
		.amdhsa_reserve_flat_scratch 0
		.amdhsa_float_round_mode_32 0
		.amdhsa_float_round_mode_16_64 0
		.amdhsa_float_denorm_mode_32 3
		.amdhsa_float_denorm_mode_16_64 3
		.amdhsa_dx10_clamp 1
		.amdhsa_ieee_mode 1
		.amdhsa_fp16_overflow 0
		.amdhsa_tg_split 0
		.amdhsa_exception_fp_ieee_invalid_op 0
		.amdhsa_exception_fp_denorm_src 0
		.amdhsa_exception_fp_ieee_div_zero 0
		.amdhsa_exception_fp_ieee_overflow 0
		.amdhsa_exception_fp_ieee_underflow 0
		.amdhsa_exception_fp_ieee_inexact 0
		.amdhsa_exception_int_div_zero 0
	.end_amdhsa_kernel
	.section	.text._ZN7rocprim17ROCPRIM_400000_NS6detail17trampoline_kernelINS0_14default_configENS1_25transform_config_selectorImLb0EEEZNS1_14transform_implILb0ES3_S5_NS0_17constant_iteratorImlEEPmNS0_8identityImEEEE10hipError_tT2_T3_mT4_P12ihipStream_tbEUlT_E_NS1_11comp_targetILNS1_3genE8ELNS1_11target_archE1030ELNS1_3gpuE2ELNS1_3repE0EEENS1_30default_config_static_selectorELNS0_4arch9wavefront6targetE1EEEvT1_,"axG",@progbits,_ZN7rocprim17ROCPRIM_400000_NS6detail17trampoline_kernelINS0_14default_configENS1_25transform_config_selectorImLb0EEEZNS1_14transform_implILb0ES3_S5_NS0_17constant_iteratorImlEEPmNS0_8identityImEEEE10hipError_tT2_T3_mT4_P12ihipStream_tbEUlT_E_NS1_11comp_targetILNS1_3genE8ELNS1_11target_archE1030ELNS1_3gpuE2ELNS1_3repE0EEENS1_30default_config_static_selectorELNS0_4arch9wavefront6targetE1EEEvT1_,comdat
.Lfunc_end10:
	.size	_ZN7rocprim17ROCPRIM_400000_NS6detail17trampoline_kernelINS0_14default_configENS1_25transform_config_selectorImLb0EEEZNS1_14transform_implILb0ES3_S5_NS0_17constant_iteratorImlEEPmNS0_8identityImEEEE10hipError_tT2_T3_mT4_P12ihipStream_tbEUlT_E_NS1_11comp_targetILNS1_3genE8ELNS1_11target_archE1030ELNS1_3gpuE2ELNS1_3repE0EEENS1_30default_config_static_selectorELNS0_4arch9wavefront6targetE1EEEvT1_, .Lfunc_end10-_ZN7rocprim17ROCPRIM_400000_NS6detail17trampoline_kernelINS0_14default_configENS1_25transform_config_selectorImLb0EEEZNS1_14transform_implILb0ES3_S5_NS0_17constant_iteratorImlEEPmNS0_8identityImEEEE10hipError_tT2_T3_mT4_P12ihipStream_tbEUlT_E_NS1_11comp_targetILNS1_3genE8ELNS1_11target_archE1030ELNS1_3gpuE2ELNS1_3repE0EEENS1_30default_config_static_selectorELNS0_4arch9wavefront6targetE1EEEvT1_
                                        ; -- End function
	.section	.AMDGPU.csdata,"",@progbits
; Kernel info:
; codeLenInByte = 0
; NumSgprs: 4
; NumVgprs: 0
; NumAgprs: 0
; TotalNumVgprs: 0
; ScratchSize: 0
; MemoryBound: 0
; FloatMode: 240
; IeeeMode: 1
; LDSByteSize: 0 bytes/workgroup (compile time only)
; SGPRBlocks: 0
; VGPRBlocks: 0
; NumSGPRsForWavesPerEU: 4
; NumVGPRsForWavesPerEU: 1
; AccumOffset: 4
; Occupancy: 8
; WaveLimiterHint : 0
; COMPUTE_PGM_RSRC2:SCRATCH_EN: 0
; COMPUTE_PGM_RSRC2:USER_SGPR: 6
; COMPUTE_PGM_RSRC2:TRAP_HANDLER: 0
; COMPUTE_PGM_RSRC2:TGID_X_EN: 1
; COMPUTE_PGM_RSRC2:TGID_Y_EN: 0
; COMPUTE_PGM_RSRC2:TGID_Z_EN: 0
; COMPUTE_PGM_RSRC2:TIDIG_COMP_CNT: 0
; COMPUTE_PGM_RSRC3_GFX90A:ACCUM_OFFSET: 0
; COMPUTE_PGM_RSRC3_GFX90A:TG_SPLIT: 0
	.section	.text._ZN7rocprim17ROCPRIM_400000_NS6detail25reduce_by_key_init_kernelINS1_19lookback_scan_stateINS0_5tupleIJjdEEELb0ELb0EEEdNS1_16block_id_wrapperIjLb0EEEEEvT_jbjPmPT0_T1_,"axG",@progbits,_ZN7rocprim17ROCPRIM_400000_NS6detail25reduce_by_key_init_kernelINS1_19lookback_scan_stateINS0_5tupleIJjdEEELb0ELb0EEEdNS1_16block_id_wrapperIjLb0EEEEEvT_jbjPmPT0_T1_,comdat
	.protected	_ZN7rocprim17ROCPRIM_400000_NS6detail25reduce_by_key_init_kernelINS1_19lookback_scan_stateINS0_5tupleIJjdEEELb0ELb0EEEdNS1_16block_id_wrapperIjLb0EEEEEvT_jbjPmPT0_T1_ ; -- Begin function _ZN7rocprim17ROCPRIM_400000_NS6detail25reduce_by_key_init_kernelINS1_19lookback_scan_stateINS0_5tupleIJjdEEELb0ELb0EEEdNS1_16block_id_wrapperIjLb0EEEEEvT_jbjPmPT0_T1_
	.globl	_ZN7rocprim17ROCPRIM_400000_NS6detail25reduce_by_key_init_kernelINS1_19lookback_scan_stateINS0_5tupleIJjdEEELb0ELb0EEEdNS1_16block_id_wrapperIjLb0EEEEEvT_jbjPmPT0_T1_
	.p2align	8
	.type	_ZN7rocprim17ROCPRIM_400000_NS6detail25reduce_by_key_init_kernelINS1_19lookback_scan_stateINS0_5tupleIJjdEEELb0ELb0EEEdNS1_16block_id_wrapperIjLb0EEEEEvT_jbjPmPT0_T1_,@function
_ZN7rocprim17ROCPRIM_400000_NS6detail25reduce_by_key_init_kernelINS1_19lookback_scan_stateINS0_5tupleIJjdEEELb0ELb0EEEdNS1_16block_id_wrapperIjLb0EEEEEvT_jbjPmPT0_T1_: ; @_ZN7rocprim17ROCPRIM_400000_NS6detail25reduce_by_key_init_kernelINS1_19lookback_scan_stateINS0_5tupleIJjdEEELb0ELb0EEEdNS1_16block_id_wrapperIjLb0EEEEEvT_jbjPmPT0_T1_
; %bb.0:
	s_load_dwordx8 s[8:15], s[4:5], 0x18
	s_load_dword s0, s[4:5], 0x4c
	s_load_dwordx2 s[16:17], s[4:5], 0x10
	s_waitcnt lgkmcnt(0)
	s_and_b32 s1, s9, 1
	s_and_b32 s0, s0, 0xffff
	s_mul_i32 s6, s6, s0
	s_cmp_eq_u32 s1, 0
	v_add_u32_e32 v0, s6, v0
	s_mov_b64 s[0:1], -1
	s_cbranch_scc1 .LBB11_5
; %bb.1:
	s_andn2_b64 vcc, exec, s[0:1]
	s_cbranch_vccz .LBB11_11
.LBB11_2:
	v_cmp_gt_u32_e32 vcc, s8, v0
	s_and_saveexec_b64 s[0:1], vcc
	s_cbranch_execnz .LBB11_14
.LBB11_3:
	s_or_b64 exec, exec, s[0:1]
	v_cmp_gt_u32_e32 vcc, 64, v0
	s_and_saveexec_b64 s[0:1], vcc
	s_cbranch_execnz .LBB11_15
.LBB11_4:
	s_endpgm
.LBB11_5:
	s_cmp_lt_u32 s10, s8
	s_cselect_b32 s0, s10, 0
	v_cmp_eq_u32_e32 vcc, s0, v0
	s_and_saveexec_b64 s[6:7], vcc
	s_cbranch_execz .LBB11_10
; %bb.6:
	s_add_i32 s10, s10, 64
	v_mov_b32_e32 v1, s10
	global_load_ubyte v1, v1, s[16:17] glc
	s_load_dwordx4 s[0:3], s[4:5], 0x0
	s_add_u32 s4, s16, s10
	s_mov_b32 s11, 0
	s_addc_u32 s5, s17, 0
	s_waitcnt vmcnt(0)
	v_cmp_ne_u16_e32 vcc, 0, v1
	v_readfirstlane_b32 s9, v1
	s_cbranch_vccnz .LBB11_9
; %bb.7:
	v_mov_b32_e32 v1, 0
.LBB11_8:                               ; =>This Inner Loop Header: Depth=1
	global_load_ubyte v2, v1, s[4:5] glc
	s_waitcnt vmcnt(0)
	v_cmp_eq_u16_e32 vcc, 0, v2
	v_readfirstlane_b32 s9, v2
	s_cbranch_vccnz .LBB11_8
.LBB11_9:
	s_and_b32 s4, 0xffff, s9
	s_cmp_eq_u32 s4, 1
	s_waitcnt lgkmcnt(0)
	s_cselect_b32 s3, s1, s3
	s_cselect_b32 s2, s0, s2
	s_lshl_b64 s[0:1], s[10:11], 4
	v_mov_b32_e32 v1, 0
	s_add_u32 s0, s2, s0
	buffer_wbinvl1_vol
	s_addc_u32 s1, s3, s1
	global_load_dwordx2 v[2:3], v1, s[12:13]
	global_load_dword v6, v1, s[0:1]
	global_load_dwordx2 v[4:5], v1, s[0:1] offset:8
	s_waitcnt vmcnt(1)
	v_add_co_u32_e32 v2, vcc, v2, v6
	v_addc_co_u32_e32 v3, vcc, 0, v3, vcc
	global_store_dwordx2 v1, v[2:3], s[12:13]
	s_waitcnt vmcnt(1)
	global_store_dwordx2 v1, v[4:5], s[14:15]
.LBB11_10:
	s_or_b64 exec, exec, s[6:7]
	s_cbranch_execnz .LBB11_2
.LBB11_11:
	s_cmp_lg_u64 s[12:13], 0
	s_cselect_b64 s[0:1], -1, 0
	v_cmp_eq_u32_e32 vcc, 0, v0
	s_and_b64 s[2:3], s[0:1], vcc
	s_and_saveexec_b64 s[0:1], s[2:3]
	s_cbranch_execz .LBB11_13
; %bb.12:
	v_mov_b32_e32 v2, 0
	v_mov_b32_e32 v3, v2
	global_store_dwordx2 v2, v[2:3], s[12:13]
.LBB11_13:
	s_or_b64 exec, exec, s[0:1]
	v_cmp_gt_u32_e32 vcc, s8, v0
	s_and_saveexec_b64 s[0:1], vcc
	s_cbranch_execz .LBB11_3
.LBB11_14:
	v_add_u32_e32 v1, 64, v0
	v_mov_b32_e32 v2, 0
	global_store_byte v1, v2, s[16:17]
	s_or_b64 exec, exec, s[0:1]
	v_cmp_gt_u32_e32 vcc, 64, v0
	s_and_saveexec_b64 s[0:1], vcc
	s_cbranch_execz .LBB11_4
.LBB11_15:
	v_mov_b32_e32 v1, 0xff
	global_store_byte v0, v1, s[16:17]
	s_endpgm
	.section	.rodata,"a",@progbits
	.p2align	6, 0x0
	.amdhsa_kernel _ZN7rocprim17ROCPRIM_400000_NS6detail25reduce_by_key_init_kernelINS1_19lookback_scan_stateINS0_5tupleIJjdEEELb0ELb0EEEdNS1_16block_id_wrapperIjLb0EEEEEvT_jbjPmPT0_T1_
		.amdhsa_group_segment_fixed_size 0
		.amdhsa_private_segment_fixed_size 0
		.amdhsa_kernarg_size 320
		.amdhsa_user_sgpr_count 6
		.amdhsa_user_sgpr_private_segment_buffer 1
		.amdhsa_user_sgpr_dispatch_ptr 0
		.amdhsa_user_sgpr_queue_ptr 0
		.amdhsa_user_sgpr_kernarg_segment_ptr 1
		.amdhsa_user_sgpr_dispatch_id 0
		.amdhsa_user_sgpr_flat_scratch_init 0
		.amdhsa_user_sgpr_kernarg_preload_length 0
		.amdhsa_user_sgpr_kernarg_preload_offset 0
		.amdhsa_user_sgpr_private_segment_size 0
		.amdhsa_uses_dynamic_stack 0
		.amdhsa_system_sgpr_private_segment_wavefront_offset 0
		.amdhsa_system_sgpr_workgroup_id_x 1
		.amdhsa_system_sgpr_workgroup_id_y 0
		.amdhsa_system_sgpr_workgroup_id_z 0
		.amdhsa_system_sgpr_workgroup_info 0
		.amdhsa_system_vgpr_workitem_id 0
		.amdhsa_next_free_vgpr 7
		.amdhsa_next_free_sgpr 18
		.amdhsa_accum_offset 8
		.amdhsa_reserve_vcc 1
		.amdhsa_reserve_flat_scratch 0
		.amdhsa_float_round_mode_32 0
		.amdhsa_float_round_mode_16_64 0
		.amdhsa_float_denorm_mode_32 3
		.amdhsa_float_denorm_mode_16_64 3
		.amdhsa_dx10_clamp 1
		.amdhsa_ieee_mode 1
		.amdhsa_fp16_overflow 0
		.amdhsa_tg_split 0
		.amdhsa_exception_fp_ieee_invalid_op 0
		.amdhsa_exception_fp_denorm_src 0
		.amdhsa_exception_fp_ieee_div_zero 0
		.amdhsa_exception_fp_ieee_overflow 0
		.amdhsa_exception_fp_ieee_underflow 0
		.amdhsa_exception_fp_ieee_inexact 0
		.amdhsa_exception_int_div_zero 0
	.end_amdhsa_kernel
	.section	.text._ZN7rocprim17ROCPRIM_400000_NS6detail25reduce_by_key_init_kernelINS1_19lookback_scan_stateINS0_5tupleIJjdEEELb0ELb0EEEdNS1_16block_id_wrapperIjLb0EEEEEvT_jbjPmPT0_T1_,"axG",@progbits,_ZN7rocprim17ROCPRIM_400000_NS6detail25reduce_by_key_init_kernelINS1_19lookback_scan_stateINS0_5tupleIJjdEEELb0ELb0EEEdNS1_16block_id_wrapperIjLb0EEEEEvT_jbjPmPT0_T1_,comdat
.Lfunc_end11:
	.size	_ZN7rocprim17ROCPRIM_400000_NS6detail25reduce_by_key_init_kernelINS1_19lookback_scan_stateINS0_5tupleIJjdEEELb0ELb0EEEdNS1_16block_id_wrapperIjLb0EEEEEvT_jbjPmPT0_T1_, .Lfunc_end11-_ZN7rocprim17ROCPRIM_400000_NS6detail25reduce_by_key_init_kernelINS1_19lookback_scan_stateINS0_5tupleIJjdEEELb0ELb0EEEdNS1_16block_id_wrapperIjLb0EEEEEvT_jbjPmPT0_T1_
                                        ; -- End function
	.section	.AMDGPU.csdata,"",@progbits
; Kernel info:
; codeLenInByte = 420
; NumSgprs: 22
; NumVgprs: 7
; NumAgprs: 0
; TotalNumVgprs: 7
; ScratchSize: 0
; MemoryBound: 0
; FloatMode: 240
; IeeeMode: 1
; LDSByteSize: 0 bytes/workgroup (compile time only)
; SGPRBlocks: 2
; VGPRBlocks: 0
; NumSGPRsForWavesPerEU: 22
; NumVGPRsForWavesPerEU: 7
; AccumOffset: 8
; Occupancy: 8
; WaveLimiterHint : 0
; COMPUTE_PGM_RSRC2:SCRATCH_EN: 0
; COMPUTE_PGM_RSRC2:USER_SGPR: 6
; COMPUTE_PGM_RSRC2:TRAP_HANDLER: 0
; COMPUTE_PGM_RSRC2:TGID_X_EN: 1
; COMPUTE_PGM_RSRC2:TGID_Y_EN: 0
; COMPUTE_PGM_RSRC2:TGID_Z_EN: 0
; COMPUTE_PGM_RSRC2:TIDIG_COMP_CNT: 0
; COMPUTE_PGM_RSRC3_GFX90A:ACCUM_OFFSET: 1
; COMPUTE_PGM_RSRC3_GFX90A:TG_SPLIT: 0
	.section	.text._ZN7rocprim17ROCPRIM_400000_NS6detail17trampoline_kernelINS0_14default_configENS1_29reduce_by_key_config_selectorIddN6thrust23THRUST_200600_302600_NS4plusIdEEEEZZNS1_33reduce_by_key_impl_wrapped_configILNS1_25lookback_scan_determinismE0ES3_S9_NS6_6detail15normal_iteratorINS6_10device_ptrIdEEEESG_SG_SG_PmS8_NS6_8equal_toIdEEEE10hipError_tPvRmT2_T3_mT4_T5_T6_T7_T8_P12ihipStream_tbENKUlT_T0_E_clISt17integral_constantIbLb0EES11_EEDaSW_SX_EUlSW_E_NS1_11comp_targetILNS1_3genE0ELNS1_11target_archE4294967295ELNS1_3gpuE0ELNS1_3repE0EEENS1_30default_config_static_selectorELNS0_4arch9wavefront6targetE1EEEvT1_,"axG",@progbits,_ZN7rocprim17ROCPRIM_400000_NS6detail17trampoline_kernelINS0_14default_configENS1_29reduce_by_key_config_selectorIddN6thrust23THRUST_200600_302600_NS4plusIdEEEEZZNS1_33reduce_by_key_impl_wrapped_configILNS1_25lookback_scan_determinismE0ES3_S9_NS6_6detail15normal_iteratorINS6_10device_ptrIdEEEESG_SG_SG_PmS8_NS6_8equal_toIdEEEE10hipError_tPvRmT2_T3_mT4_T5_T6_T7_T8_P12ihipStream_tbENKUlT_T0_E_clISt17integral_constantIbLb0EES11_EEDaSW_SX_EUlSW_E_NS1_11comp_targetILNS1_3genE0ELNS1_11target_archE4294967295ELNS1_3gpuE0ELNS1_3repE0EEENS1_30default_config_static_selectorELNS0_4arch9wavefront6targetE1EEEvT1_,comdat
	.protected	_ZN7rocprim17ROCPRIM_400000_NS6detail17trampoline_kernelINS0_14default_configENS1_29reduce_by_key_config_selectorIddN6thrust23THRUST_200600_302600_NS4plusIdEEEEZZNS1_33reduce_by_key_impl_wrapped_configILNS1_25lookback_scan_determinismE0ES3_S9_NS6_6detail15normal_iteratorINS6_10device_ptrIdEEEESG_SG_SG_PmS8_NS6_8equal_toIdEEEE10hipError_tPvRmT2_T3_mT4_T5_T6_T7_T8_P12ihipStream_tbENKUlT_T0_E_clISt17integral_constantIbLb0EES11_EEDaSW_SX_EUlSW_E_NS1_11comp_targetILNS1_3genE0ELNS1_11target_archE4294967295ELNS1_3gpuE0ELNS1_3repE0EEENS1_30default_config_static_selectorELNS0_4arch9wavefront6targetE1EEEvT1_ ; -- Begin function _ZN7rocprim17ROCPRIM_400000_NS6detail17trampoline_kernelINS0_14default_configENS1_29reduce_by_key_config_selectorIddN6thrust23THRUST_200600_302600_NS4plusIdEEEEZZNS1_33reduce_by_key_impl_wrapped_configILNS1_25lookback_scan_determinismE0ES3_S9_NS6_6detail15normal_iteratorINS6_10device_ptrIdEEEESG_SG_SG_PmS8_NS6_8equal_toIdEEEE10hipError_tPvRmT2_T3_mT4_T5_T6_T7_T8_P12ihipStream_tbENKUlT_T0_E_clISt17integral_constantIbLb0EES11_EEDaSW_SX_EUlSW_E_NS1_11comp_targetILNS1_3genE0ELNS1_11target_archE4294967295ELNS1_3gpuE0ELNS1_3repE0EEENS1_30default_config_static_selectorELNS0_4arch9wavefront6targetE1EEEvT1_
	.globl	_ZN7rocprim17ROCPRIM_400000_NS6detail17trampoline_kernelINS0_14default_configENS1_29reduce_by_key_config_selectorIddN6thrust23THRUST_200600_302600_NS4plusIdEEEEZZNS1_33reduce_by_key_impl_wrapped_configILNS1_25lookback_scan_determinismE0ES3_S9_NS6_6detail15normal_iteratorINS6_10device_ptrIdEEEESG_SG_SG_PmS8_NS6_8equal_toIdEEEE10hipError_tPvRmT2_T3_mT4_T5_T6_T7_T8_P12ihipStream_tbENKUlT_T0_E_clISt17integral_constantIbLb0EES11_EEDaSW_SX_EUlSW_E_NS1_11comp_targetILNS1_3genE0ELNS1_11target_archE4294967295ELNS1_3gpuE0ELNS1_3repE0EEENS1_30default_config_static_selectorELNS0_4arch9wavefront6targetE1EEEvT1_
	.p2align	8
	.type	_ZN7rocprim17ROCPRIM_400000_NS6detail17trampoline_kernelINS0_14default_configENS1_29reduce_by_key_config_selectorIddN6thrust23THRUST_200600_302600_NS4plusIdEEEEZZNS1_33reduce_by_key_impl_wrapped_configILNS1_25lookback_scan_determinismE0ES3_S9_NS6_6detail15normal_iteratorINS6_10device_ptrIdEEEESG_SG_SG_PmS8_NS6_8equal_toIdEEEE10hipError_tPvRmT2_T3_mT4_T5_T6_T7_T8_P12ihipStream_tbENKUlT_T0_E_clISt17integral_constantIbLb0EES11_EEDaSW_SX_EUlSW_E_NS1_11comp_targetILNS1_3genE0ELNS1_11target_archE4294967295ELNS1_3gpuE0ELNS1_3repE0EEENS1_30default_config_static_selectorELNS0_4arch9wavefront6targetE1EEEvT1_,@function
_ZN7rocprim17ROCPRIM_400000_NS6detail17trampoline_kernelINS0_14default_configENS1_29reduce_by_key_config_selectorIddN6thrust23THRUST_200600_302600_NS4plusIdEEEEZZNS1_33reduce_by_key_impl_wrapped_configILNS1_25lookback_scan_determinismE0ES3_S9_NS6_6detail15normal_iteratorINS6_10device_ptrIdEEEESG_SG_SG_PmS8_NS6_8equal_toIdEEEE10hipError_tPvRmT2_T3_mT4_T5_T6_T7_T8_P12ihipStream_tbENKUlT_T0_E_clISt17integral_constantIbLb0EES11_EEDaSW_SX_EUlSW_E_NS1_11comp_targetILNS1_3genE0ELNS1_11target_archE4294967295ELNS1_3gpuE0ELNS1_3repE0EEENS1_30default_config_static_selectorELNS0_4arch9wavefront6targetE1EEEvT1_: ; @_ZN7rocprim17ROCPRIM_400000_NS6detail17trampoline_kernelINS0_14default_configENS1_29reduce_by_key_config_selectorIddN6thrust23THRUST_200600_302600_NS4plusIdEEEEZZNS1_33reduce_by_key_impl_wrapped_configILNS1_25lookback_scan_determinismE0ES3_S9_NS6_6detail15normal_iteratorINS6_10device_ptrIdEEEESG_SG_SG_PmS8_NS6_8equal_toIdEEEE10hipError_tPvRmT2_T3_mT4_T5_T6_T7_T8_P12ihipStream_tbENKUlT_T0_E_clISt17integral_constantIbLb0EES11_EEDaSW_SX_EUlSW_E_NS1_11comp_targetILNS1_3genE0ELNS1_11target_archE4294967295ELNS1_3gpuE0ELNS1_3repE0EEENS1_30default_config_static_selectorELNS0_4arch9wavefront6targetE1EEEvT1_
; %bb.0:
	.section	.rodata,"a",@progbits
	.p2align	6, 0x0
	.amdhsa_kernel _ZN7rocprim17ROCPRIM_400000_NS6detail17trampoline_kernelINS0_14default_configENS1_29reduce_by_key_config_selectorIddN6thrust23THRUST_200600_302600_NS4plusIdEEEEZZNS1_33reduce_by_key_impl_wrapped_configILNS1_25lookback_scan_determinismE0ES3_S9_NS6_6detail15normal_iteratorINS6_10device_ptrIdEEEESG_SG_SG_PmS8_NS6_8equal_toIdEEEE10hipError_tPvRmT2_T3_mT4_T5_T6_T7_T8_P12ihipStream_tbENKUlT_T0_E_clISt17integral_constantIbLb0EES11_EEDaSW_SX_EUlSW_E_NS1_11comp_targetILNS1_3genE0ELNS1_11target_archE4294967295ELNS1_3gpuE0ELNS1_3repE0EEENS1_30default_config_static_selectorELNS0_4arch9wavefront6targetE1EEEvT1_
		.amdhsa_group_segment_fixed_size 0
		.amdhsa_private_segment_fixed_size 0
		.amdhsa_kernarg_size 136
		.amdhsa_user_sgpr_count 6
		.amdhsa_user_sgpr_private_segment_buffer 1
		.amdhsa_user_sgpr_dispatch_ptr 0
		.amdhsa_user_sgpr_queue_ptr 0
		.amdhsa_user_sgpr_kernarg_segment_ptr 1
		.amdhsa_user_sgpr_dispatch_id 0
		.amdhsa_user_sgpr_flat_scratch_init 0
		.amdhsa_user_sgpr_kernarg_preload_length 0
		.amdhsa_user_sgpr_kernarg_preload_offset 0
		.amdhsa_user_sgpr_private_segment_size 0
		.amdhsa_uses_dynamic_stack 0
		.amdhsa_system_sgpr_private_segment_wavefront_offset 0
		.amdhsa_system_sgpr_workgroup_id_x 1
		.amdhsa_system_sgpr_workgroup_id_y 0
		.amdhsa_system_sgpr_workgroup_id_z 0
		.amdhsa_system_sgpr_workgroup_info 0
		.amdhsa_system_vgpr_workitem_id 0
		.amdhsa_next_free_vgpr 1
		.amdhsa_next_free_sgpr 0
		.amdhsa_accum_offset 4
		.amdhsa_reserve_vcc 0
		.amdhsa_reserve_flat_scratch 0
		.amdhsa_float_round_mode_32 0
		.amdhsa_float_round_mode_16_64 0
		.amdhsa_float_denorm_mode_32 3
		.amdhsa_float_denorm_mode_16_64 3
		.amdhsa_dx10_clamp 1
		.amdhsa_ieee_mode 1
		.amdhsa_fp16_overflow 0
		.amdhsa_tg_split 0
		.amdhsa_exception_fp_ieee_invalid_op 0
		.amdhsa_exception_fp_denorm_src 0
		.amdhsa_exception_fp_ieee_div_zero 0
		.amdhsa_exception_fp_ieee_overflow 0
		.amdhsa_exception_fp_ieee_underflow 0
		.amdhsa_exception_fp_ieee_inexact 0
		.amdhsa_exception_int_div_zero 0
	.end_amdhsa_kernel
	.section	.text._ZN7rocprim17ROCPRIM_400000_NS6detail17trampoline_kernelINS0_14default_configENS1_29reduce_by_key_config_selectorIddN6thrust23THRUST_200600_302600_NS4plusIdEEEEZZNS1_33reduce_by_key_impl_wrapped_configILNS1_25lookback_scan_determinismE0ES3_S9_NS6_6detail15normal_iteratorINS6_10device_ptrIdEEEESG_SG_SG_PmS8_NS6_8equal_toIdEEEE10hipError_tPvRmT2_T3_mT4_T5_T6_T7_T8_P12ihipStream_tbENKUlT_T0_E_clISt17integral_constantIbLb0EES11_EEDaSW_SX_EUlSW_E_NS1_11comp_targetILNS1_3genE0ELNS1_11target_archE4294967295ELNS1_3gpuE0ELNS1_3repE0EEENS1_30default_config_static_selectorELNS0_4arch9wavefront6targetE1EEEvT1_,"axG",@progbits,_ZN7rocprim17ROCPRIM_400000_NS6detail17trampoline_kernelINS0_14default_configENS1_29reduce_by_key_config_selectorIddN6thrust23THRUST_200600_302600_NS4plusIdEEEEZZNS1_33reduce_by_key_impl_wrapped_configILNS1_25lookback_scan_determinismE0ES3_S9_NS6_6detail15normal_iteratorINS6_10device_ptrIdEEEESG_SG_SG_PmS8_NS6_8equal_toIdEEEE10hipError_tPvRmT2_T3_mT4_T5_T6_T7_T8_P12ihipStream_tbENKUlT_T0_E_clISt17integral_constantIbLb0EES11_EEDaSW_SX_EUlSW_E_NS1_11comp_targetILNS1_3genE0ELNS1_11target_archE4294967295ELNS1_3gpuE0ELNS1_3repE0EEENS1_30default_config_static_selectorELNS0_4arch9wavefront6targetE1EEEvT1_,comdat
.Lfunc_end12:
	.size	_ZN7rocprim17ROCPRIM_400000_NS6detail17trampoline_kernelINS0_14default_configENS1_29reduce_by_key_config_selectorIddN6thrust23THRUST_200600_302600_NS4plusIdEEEEZZNS1_33reduce_by_key_impl_wrapped_configILNS1_25lookback_scan_determinismE0ES3_S9_NS6_6detail15normal_iteratorINS6_10device_ptrIdEEEESG_SG_SG_PmS8_NS6_8equal_toIdEEEE10hipError_tPvRmT2_T3_mT4_T5_T6_T7_T8_P12ihipStream_tbENKUlT_T0_E_clISt17integral_constantIbLb0EES11_EEDaSW_SX_EUlSW_E_NS1_11comp_targetILNS1_3genE0ELNS1_11target_archE4294967295ELNS1_3gpuE0ELNS1_3repE0EEENS1_30default_config_static_selectorELNS0_4arch9wavefront6targetE1EEEvT1_, .Lfunc_end12-_ZN7rocprim17ROCPRIM_400000_NS6detail17trampoline_kernelINS0_14default_configENS1_29reduce_by_key_config_selectorIddN6thrust23THRUST_200600_302600_NS4plusIdEEEEZZNS1_33reduce_by_key_impl_wrapped_configILNS1_25lookback_scan_determinismE0ES3_S9_NS6_6detail15normal_iteratorINS6_10device_ptrIdEEEESG_SG_SG_PmS8_NS6_8equal_toIdEEEE10hipError_tPvRmT2_T3_mT4_T5_T6_T7_T8_P12ihipStream_tbENKUlT_T0_E_clISt17integral_constantIbLb0EES11_EEDaSW_SX_EUlSW_E_NS1_11comp_targetILNS1_3genE0ELNS1_11target_archE4294967295ELNS1_3gpuE0ELNS1_3repE0EEENS1_30default_config_static_selectorELNS0_4arch9wavefront6targetE1EEEvT1_
                                        ; -- End function
	.section	.AMDGPU.csdata,"",@progbits
; Kernel info:
; codeLenInByte = 0
; NumSgprs: 4
; NumVgprs: 0
; NumAgprs: 0
; TotalNumVgprs: 0
; ScratchSize: 0
; MemoryBound: 0
; FloatMode: 240
; IeeeMode: 1
; LDSByteSize: 0 bytes/workgroup (compile time only)
; SGPRBlocks: 0
; VGPRBlocks: 0
; NumSGPRsForWavesPerEU: 4
; NumVGPRsForWavesPerEU: 1
; AccumOffset: 4
; Occupancy: 8
; WaveLimiterHint : 0
; COMPUTE_PGM_RSRC2:SCRATCH_EN: 0
; COMPUTE_PGM_RSRC2:USER_SGPR: 6
; COMPUTE_PGM_RSRC2:TRAP_HANDLER: 0
; COMPUTE_PGM_RSRC2:TGID_X_EN: 1
; COMPUTE_PGM_RSRC2:TGID_Y_EN: 0
; COMPUTE_PGM_RSRC2:TGID_Z_EN: 0
; COMPUTE_PGM_RSRC2:TIDIG_COMP_CNT: 0
; COMPUTE_PGM_RSRC3_GFX90A:ACCUM_OFFSET: 0
; COMPUTE_PGM_RSRC3_GFX90A:TG_SPLIT: 0
	.section	.text._ZN7rocprim17ROCPRIM_400000_NS6detail17trampoline_kernelINS0_14default_configENS1_29reduce_by_key_config_selectorIddN6thrust23THRUST_200600_302600_NS4plusIdEEEEZZNS1_33reduce_by_key_impl_wrapped_configILNS1_25lookback_scan_determinismE0ES3_S9_NS6_6detail15normal_iteratorINS6_10device_ptrIdEEEESG_SG_SG_PmS8_NS6_8equal_toIdEEEE10hipError_tPvRmT2_T3_mT4_T5_T6_T7_T8_P12ihipStream_tbENKUlT_T0_E_clISt17integral_constantIbLb0EES11_EEDaSW_SX_EUlSW_E_NS1_11comp_targetILNS1_3genE5ELNS1_11target_archE942ELNS1_3gpuE9ELNS1_3repE0EEENS1_30default_config_static_selectorELNS0_4arch9wavefront6targetE1EEEvT1_,"axG",@progbits,_ZN7rocprim17ROCPRIM_400000_NS6detail17trampoline_kernelINS0_14default_configENS1_29reduce_by_key_config_selectorIddN6thrust23THRUST_200600_302600_NS4plusIdEEEEZZNS1_33reduce_by_key_impl_wrapped_configILNS1_25lookback_scan_determinismE0ES3_S9_NS6_6detail15normal_iteratorINS6_10device_ptrIdEEEESG_SG_SG_PmS8_NS6_8equal_toIdEEEE10hipError_tPvRmT2_T3_mT4_T5_T6_T7_T8_P12ihipStream_tbENKUlT_T0_E_clISt17integral_constantIbLb0EES11_EEDaSW_SX_EUlSW_E_NS1_11comp_targetILNS1_3genE5ELNS1_11target_archE942ELNS1_3gpuE9ELNS1_3repE0EEENS1_30default_config_static_selectorELNS0_4arch9wavefront6targetE1EEEvT1_,comdat
	.protected	_ZN7rocprim17ROCPRIM_400000_NS6detail17trampoline_kernelINS0_14default_configENS1_29reduce_by_key_config_selectorIddN6thrust23THRUST_200600_302600_NS4plusIdEEEEZZNS1_33reduce_by_key_impl_wrapped_configILNS1_25lookback_scan_determinismE0ES3_S9_NS6_6detail15normal_iteratorINS6_10device_ptrIdEEEESG_SG_SG_PmS8_NS6_8equal_toIdEEEE10hipError_tPvRmT2_T3_mT4_T5_T6_T7_T8_P12ihipStream_tbENKUlT_T0_E_clISt17integral_constantIbLb0EES11_EEDaSW_SX_EUlSW_E_NS1_11comp_targetILNS1_3genE5ELNS1_11target_archE942ELNS1_3gpuE9ELNS1_3repE0EEENS1_30default_config_static_selectorELNS0_4arch9wavefront6targetE1EEEvT1_ ; -- Begin function _ZN7rocprim17ROCPRIM_400000_NS6detail17trampoline_kernelINS0_14default_configENS1_29reduce_by_key_config_selectorIddN6thrust23THRUST_200600_302600_NS4plusIdEEEEZZNS1_33reduce_by_key_impl_wrapped_configILNS1_25lookback_scan_determinismE0ES3_S9_NS6_6detail15normal_iteratorINS6_10device_ptrIdEEEESG_SG_SG_PmS8_NS6_8equal_toIdEEEE10hipError_tPvRmT2_T3_mT4_T5_T6_T7_T8_P12ihipStream_tbENKUlT_T0_E_clISt17integral_constantIbLb0EES11_EEDaSW_SX_EUlSW_E_NS1_11comp_targetILNS1_3genE5ELNS1_11target_archE942ELNS1_3gpuE9ELNS1_3repE0EEENS1_30default_config_static_selectorELNS0_4arch9wavefront6targetE1EEEvT1_
	.globl	_ZN7rocprim17ROCPRIM_400000_NS6detail17trampoline_kernelINS0_14default_configENS1_29reduce_by_key_config_selectorIddN6thrust23THRUST_200600_302600_NS4plusIdEEEEZZNS1_33reduce_by_key_impl_wrapped_configILNS1_25lookback_scan_determinismE0ES3_S9_NS6_6detail15normal_iteratorINS6_10device_ptrIdEEEESG_SG_SG_PmS8_NS6_8equal_toIdEEEE10hipError_tPvRmT2_T3_mT4_T5_T6_T7_T8_P12ihipStream_tbENKUlT_T0_E_clISt17integral_constantIbLb0EES11_EEDaSW_SX_EUlSW_E_NS1_11comp_targetILNS1_3genE5ELNS1_11target_archE942ELNS1_3gpuE9ELNS1_3repE0EEENS1_30default_config_static_selectorELNS0_4arch9wavefront6targetE1EEEvT1_
	.p2align	8
	.type	_ZN7rocprim17ROCPRIM_400000_NS6detail17trampoline_kernelINS0_14default_configENS1_29reduce_by_key_config_selectorIddN6thrust23THRUST_200600_302600_NS4plusIdEEEEZZNS1_33reduce_by_key_impl_wrapped_configILNS1_25lookback_scan_determinismE0ES3_S9_NS6_6detail15normal_iteratorINS6_10device_ptrIdEEEESG_SG_SG_PmS8_NS6_8equal_toIdEEEE10hipError_tPvRmT2_T3_mT4_T5_T6_T7_T8_P12ihipStream_tbENKUlT_T0_E_clISt17integral_constantIbLb0EES11_EEDaSW_SX_EUlSW_E_NS1_11comp_targetILNS1_3genE5ELNS1_11target_archE942ELNS1_3gpuE9ELNS1_3repE0EEENS1_30default_config_static_selectorELNS0_4arch9wavefront6targetE1EEEvT1_,@function
_ZN7rocprim17ROCPRIM_400000_NS6detail17trampoline_kernelINS0_14default_configENS1_29reduce_by_key_config_selectorIddN6thrust23THRUST_200600_302600_NS4plusIdEEEEZZNS1_33reduce_by_key_impl_wrapped_configILNS1_25lookback_scan_determinismE0ES3_S9_NS6_6detail15normal_iteratorINS6_10device_ptrIdEEEESG_SG_SG_PmS8_NS6_8equal_toIdEEEE10hipError_tPvRmT2_T3_mT4_T5_T6_T7_T8_P12ihipStream_tbENKUlT_T0_E_clISt17integral_constantIbLb0EES11_EEDaSW_SX_EUlSW_E_NS1_11comp_targetILNS1_3genE5ELNS1_11target_archE942ELNS1_3gpuE9ELNS1_3repE0EEENS1_30default_config_static_selectorELNS0_4arch9wavefront6targetE1EEEvT1_: ; @_ZN7rocprim17ROCPRIM_400000_NS6detail17trampoline_kernelINS0_14default_configENS1_29reduce_by_key_config_selectorIddN6thrust23THRUST_200600_302600_NS4plusIdEEEEZZNS1_33reduce_by_key_impl_wrapped_configILNS1_25lookback_scan_determinismE0ES3_S9_NS6_6detail15normal_iteratorINS6_10device_ptrIdEEEESG_SG_SG_PmS8_NS6_8equal_toIdEEEE10hipError_tPvRmT2_T3_mT4_T5_T6_T7_T8_P12ihipStream_tbENKUlT_T0_E_clISt17integral_constantIbLb0EES11_EEDaSW_SX_EUlSW_E_NS1_11comp_targetILNS1_3genE5ELNS1_11target_archE942ELNS1_3gpuE9ELNS1_3repE0EEENS1_30default_config_static_selectorELNS0_4arch9wavefront6targetE1EEEvT1_
; %bb.0:
	.section	.rodata,"a",@progbits
	.p2align	6, 0x0
	.amdhsa_kernel _ZN7rocprim17ROCPRIM_400000_NS6detail17trampoline_kernelINS0_14default_configENS1_29reduce_by_key_config_selectorIddN6thrust23THRUST_200600_302600_NS4plusIdEEEEZZNS1_33reduce_by_key_impl_wrapped_configILNS1_25lookback_scan_determinismE0ES3_S9_NS6_6detail15normal_iteratorINS6_10device_ptrIdEEEESG_SG_SG_PmS8_NS6_8equal_toIdEEEE10hipError_tPvRmT2_T3_mT4_T5_T6_T7_T8_P12ihipStream_tbENKUlT_T0_E_clISt17integral_constantIbLb0EES11_EEDaSW_SX_EUlSW_E_NS1_11comp_targetILNS1_3genE5ELNS1_11target_archE942ELNS1_3gpuE9ELNS1_3repE0EEENS1_30default_config_static_selectorELNS0_4arch9wavefront6targetE1EEEvT1_
		.amdhsa_group_segment_fixed_size 0
		.amdhsa_private_segment_fixed_size 0
		.amdhsa_kernarg_size 136
		.amdhsa_user_sgpr_count 6
		.amdhsa_user_sgpr_private_segment_buffer 1
		.amdhsa_user_sgpr_dispatch_ptr 0
		.amdhsa_user_sgpr_queue_ptr 0
		.amdhsa_user_sgpr_kernarg_segment_ptr 1
		.amdhsa_user_sgpr_dispatch_id 0
		.amdhsa_user_sgpr_flat_scratch_init 0
		.amdhsa_user_sgpr_kernarg_preload_length 0
		.amdhsa_user_sgpr_kernarg_preload_offset 0
		.amdhsa_user_sgpr_private_segment_size 0
		.amdhsa_uses_dynamic_stack 0
		.amdhsa_system_sgpr_private_segment_wavefront_offset 0
		.amdhsa_system_sgpr_workgroup_id_x 1
		.amdhsa_system_sgpr_workgroup_id_y 0
		.amdhsa_system_sgpr_workgroup_id_z 0
		.amdhsa_system_sgpr_workgroup_info 0
		.amdhsa_system_vgpr_workitem_id 0
		.amdhsa_next_free_vgpr 1
		.amdhsa_next_free_sgpr 0
		.amdhsa_accum_offset 4
		.amdhsa_reserve_vcc 0
		.amdhsa_reserve_flat_scratch 0
		.amdhsa_float_round_mode_32 0
		.amdhsa_float_round_mode_16_64 0
		.amdhsa_float_denorm_mode_32 3
		.amdhsa_float_denorm_mode_16_64 3
		.amdhsa_dx10_clamp 1
		.amdhsa_ieee_mode 1
		.amdhsa_fp16_overflow 0
		.amdhsa_tg_split 0
		.amdhsa_exception_fp_ieee_invalid_op 0
		.amdhsa_exception_fp_denorm_src 0
		.amdhsa_exception_fp_ieee_div_zero 0
		.amdhsa_exception_fp_ieee_overflow 0
		.amdhsa_exception_fp_ieee_underflow 0
		.amdhsa_exception_fp_ieee_inexact 0
		.amdhsa_exception_int_div_zero 0
	.end_amdhsa_kernel
	.section	.text._ZN7rocprim17ROCPRIM_400000_NS6detail17trampoline_kernelINS0_14default_configENS1_29reduce_by_key_config_selectorIddN6thrust23THRUST_200600_302600_NS4plusIdEEEEZZNS1_33reduce_by_key_impl_wrapped_configILNS1_25lookback_scan_determinismE0ES3_S9_NS6_6detail15normal_iteratorINS6_10device_ptrIdEEEESG_SG_SG_PmS8_NS6_8equal_toIdEEEE10hipError_tPvRmT2_T3_mT4_T5_T6_T7_T8_P12ihipStream_tbENKUlT_T0_E_clISt17integral_constantIbLb0EES11_EEDaSW_SX_EUlSW_E_NS1_11comp_targetILNS1_3genE5ELNS1_11target_archE942ELNS1_3gpuE9ELNS1_3repE0EEENS1_30default_config_static_selectorELNS0_4arch9wavefront6targetE1EEEvT1_,"axG",@progbits,_ZN7rocprim17ROCPRIM_400000_NS6detail17trampoline_kernelINS0_14default_configENS1_29reduce_by_key_config_selectorIddN6thrust23THRUST_200600_302600_NS4plusIdEEEEZZNS1_33reduce_by_key_impl_wrapped_configILNS1_25lookback_scan_determinismE0ES3_S9_NS6_6detail15normal_iteratorINS6_10device_ptrIdEEEESG_SG_SG_PmS8_NS6_8equal_toIdEEEE10hipError_tPvRmT2_T3_mT4_T5_T6_T7_T8_P12ihipStream_tbENKUlT_T0_E_clISt17integral_constantIbLb0EES11_EEDaSW_SX_EUlSW_E_NS1_11comp_targetILNS1_3genE5ELNS1_11target_archE942ELNS1_3gpuE9ELNS1_3repE0EEENS1_30default_config_static_selectorELNS0_4arch9wavefront6targetE1EEEvT1_,comdat
.Lfunc_end13:
	.size	_ZN7rocprim17ROCPRIM_400000_NS6detail17trampoline_kernelINS0_14default_configENS1_29reduce_by_key_config_selectorIddN6thrust23THRUST_200600_302600_NS4plusIdEEEEZZNS1_33reduce_by_key_impl_wrapped_configILNS1_25lookback_scan_determinismE0ES3_S9_NS6_6detail15normal_iteratorINS6_10device_ptrIdEEEESG_SG_SG_PmS8_NS6_8equal_toIdEEEE10hipError_tPvRmT2_T3_mT4_T5_T6_T7_T8_P12ihipStream_tbENKUlT_T0_E_clISt17integral_constantIbLb0EES11_EEDaSW_SX_EUlSW_E_NS1_11comp_targetILNS1_3genE5ELNS1_11target_archE942ELNS1_3gpuE9ELNS1_3repE0EEENS1_30default_config_static_selectorELNS0_4arch9wavefront6targetE1EEEvT1_, .Lfunc_end13-_ZN7rocprim17ROCPRIM_400000_NS6detail17trampoline_kernelINS0_14default_configENS1_29reduce_by_key_config_selectorIddN6thrust23THRUST_200600_302600_NS4plusIdEEEEZZNS1_33reduce_by_key_impl_wrapped_configILNS1_25lookback_scan_determinismE0ES3_S9_NS6_6detail15normal_iteratorINS6_10device_ptrIdEEEESG_SG_SG_PmS8_NS6_8equal_toIdEEEE10hipError_tPvRmT2_T3_mT4_T5_T6_T7_T8_P12ihipStream_tbENKUlT_T0_E_clISt17integral_constantIbLb0EES11_EEDaSW_SX_EUlSW_E_NS1_11comp_targetILNS1_3genE5ELNS1_11target_archE942ELNS1_3gpuE9ELNS1_3repE0EEENS1_30default_config_static_selectorELNS0_4arch9wavefront6targetE1EEEvT1_
                                        ; -- End function
	.section	.AMDGPU.csdata,"",@progbits
; Kernel info:
; codeLenInByte = 0
; NumSgprs: 4
; NumVgprs: 0
; NumAgprs: 0
; TotalNumVgprs: 0
; ScratchSize: 0
; MemoryBound: 0
; FloatMode: 240
; IeeeMode: 1
; LDSByteSize: 0 bytes/workgroup (compile time only)
; SGPRBlocks: 0
; VGPRBlocks: 0
; NumSGPRsForWavesPerEU: 4
; NumVGPRsForWavesPerEU: 1
; AccumOffset: 4
; Occupancy: 8
; WaveLimiterHint : 0
; COMPUTE_PGM_RSRC2:SCRATCH_EN: 0
; COMPUTE_PGM_RSRC2:USER_SGPR: 6
; COMPUTE_PGM_RSRC2:TRAP_HANDLER: 0
; COMPUTE_PGM_RSRC2:TGID_X_EN: 1
; COMPUTE_PGM_RSRC2:TGID_Y_EN: 0
; COMPUTE_PGM_RSRC2:TGID_Z_EN: 0
; COMPUTE_PGM_RSRC2:TIDIG_COMP_CNT: 0
; COMPUTE_PGM_RSRC3_GFX90A:ACCUM_OFFSET: 0
; COMPUTE_PGM_RSRC3_GFX90A:TG_SPLIT: 0
	.section	.text._ZN7rocprim17ROCPRIM_400000_NS6detail17trampoline_kernelINS0_14default_configENS1_29reduce_by_key_config_selectorIddN6thrust23THRUST_200600_302600_NS4plusIdEEEEZZNS1_33reduce_by_key_impl_wrapped_configILNS1_25lookback_scan_determinismE0ES3_S9_NS6_6detail15normal_iteratorINS6_10device_ptrIdEEEESG_SG_SG_PmS8_NS6_8equal_toIdEEEE10hipError_tPvRmT2_T3_mT4_T5_T6_T7_T8_P12ihipStream_tbENKUlT_T0_E_clISt17integral_constantIbLb0EES11_EEDaSW_SX_EUlSW_E_NS1_11comp_targetILNS1_3genE4ELNS1_11target_archE910ELNS1_3gpuE8ELNS1_3repE0EEENS1_30default_config_static_selectorELNS0_4arch9wavefront6targetE1EEEvT1_,"axG",@progbits,_ZN7rocprim17ROCPRIM_400000_NS6detail17trampoline_kernelINS0_14default_configENS1_29reduce_by_key_config_selectorIddN6thrust23THRUST_200600_302600_NS4plusIdEEEEZZNS1_33reduce_by_key_impl_wrapped_configILNS1_25lookback_scan_determinismE0ES3_S9_NS6_6detail15normal_iteratorINS6_10device_ptrIdEEEESG_SG_SG_PmS8_NS6_8equal_toIdEEEE10hipError_tPvRmT2_T3_mT4_T5_T6_T7_T8_P12ihipStream_tbENKUlT_T0_E_clISt17integral_constantIbLb0EES11_EEDaSW_SX_EUlSW_E_NS1_11comp_targetILNS1_3genE4ELNS1_11target_archE910ELNS1_3gpuE8ELNS1_3repE0EEENS1_30default_config_static_selectorELNS0_4arch9wavefront6targetE1EEEvT1_,comdat
	.protected	_ZN7rocprim17ROCPRIM_400000_NS6detail17trampoline_kernelINS0_14default_configENS1_29reduce_by_key_config_selectorIddN6thrust23THRUST_200600_302600_NS4plusIdEEEEZZNS1_33reduce_by_key_impl_wrapped_configILNS1_25lookback_scan_determinismE0ES3_S9_NS6_6detail15normal_iteratorINS6_10device_ptrIdEEEESG_SG_SG_PmS8_NS6_8equal_toIdEEEE10hipError_tPvRmT2_T3_mT4_T5_T6_T7_T8_P12ihipStream_tbENKUlT_T0_E_clISt17integral_constantIbLb0EES11_EEDaSW_SX_EUlSW_E_NS1_11comp_targetILNS1_3genE4ELNS1_11target_archE910ELNS1_3gpuE8ELNS1_3repE0EEENS1_30default_config_static_selectorELNS0_4arch9wavefront6targetE1EEEvT1_ ; -- Begin function _ZN7rocprim17ROCPRIM_400000_NS6detail17trampoline_kernelINS0_14default_configENS1_29reduce_by_key_config_selectorIddN6thrust23THRUST_200600_302600_NS4plusIdEEEEZZNS1_33reduce_by_key_impl_wrapped_configILNS1_25lookback_scan_determinismE0ES3_S9_NS6_6detail15normal_iteratorINS6_10device_ptrIdEEEESG_SG_SG_PmS8_NS6_8equal_toIdEEEE10hipError_tPvRmT2_T3_mT4_T5_T6_T7_T8_P12ihipStream_tbENKUlT_T0_E_clISt17integral_constantIbLb0EES11_EEDaSW_SX_EUlSW_E_NS1_11comp_targetILNS1_3genE4ELNS1_11target_archE910ELNS1_3gpuE8ELNS1_3repE0EEENS1_30default_config_static_selectorELNS0_4arch9wavefront6targetE1EEEvT1_
	.globl	_ZN7rocprim17ROCPRIM_400000_NS6detail17trampoline_kernelINS0_14default_configENS1_29reduce_by_key_config_selectorIddN6thrust23THRUST_200600_302600_NS4plusIdEEEEZZNS1_33reduce_by_key_impl_wrapped_configILNS1_25lookback_scan_determinismE0ES3_S9_NS6_6detail15normal_iteratorINS6_10device_ptrIdEEEESG_SG_SG_PmS8_NS6_8equal_toIdEEEE10hipError_tPvRmT2_T3_mT4_T5_T6_T7_T8_P12ihipStream_tbENKUlT_T0_E_clISt17integral_constantIbLb0EES11_EEDaSW_SX_EUlSW_E_NS1_11comp_targetILNS1_3genE4ELNS1_11target_archE910ELNS1_3gpuE8ELNS1_3repE0EEENS1_30default_config_static_selectorELNS0_4arch9wavefront6targetE1EEEvT1_
	.p2align	8
	.type	_ZN7rocprim17ROCPRIM_400000_NS6detail17trampoline_kernelINS0_14default_configENS1_29reduce_by_key_config_selectorIddN6thrust23THRUST_200600_302600_NS4plusIdEEEEZZNS1_33reduce_by_key_impl_wrapped_configILNS1_25lookback_scan_determinismE0ES3_S9_NS6_6detail15normal_iteratorINS6_10device_ptrIdEEEESG_SG_SG_PmS8_NS6_8equal_toIdEEEE10hipError_tPvRmT2_T3_mT4_T5_T6_T7_T8_P12ihipStream_tbENKUlT_T0_E_clISt17integral_constantIbLb0EES11_EEDaSW_SX_EUlSW_E_NS1_11comp_targetILNS1_3genE4ELNS1_11target_archE910ELNS1_3gpuE8ELNS1_3repE0EEENS1_30default_config_static_selectorELNS0_4arch9wavefront6targetE1EEEvT1_,@function
_ZN7rocprim17ROCPRIM_400000_NS6detail17trampoline_kernelINS0_14default_configENS1_29reduce_by_key_config_selectorIddN6thrust23THRUST_200600_302600_NS4plusIdEEEEZZNS1_33reduce_by_key_impl_wrapped_configILNS1_25lookback_scan_determinismE0ES3_S9_NS6_6detail15normal_iteratorINS6_10device_ptrIdEEEESG_SG_SG_PmS8_NS6_8equal_toIdEEEE10hipError_tPvRmT2_T3_mT4_T5_T6_T7_T8_P12ihipStream_tbENKUlT_T0_E_clISt17integral_constantIbLb0EES11_EEDaSW_SX_EUlSW_E_NS1_11comp_targetILNS1_3genE4ELNS1_11target_archE910ELNS1_3gpuE8ELNS1_3repE0EEENS1_30default_config_static_selectorELNS0_4arch9wavefront6targetE1EEEvT1_: ; @_ZN7rocprim17ROCPRIM_400000_NS6detail17trampoline_kernelINS0_14default_configENS1_29reduce_by_key_config_selectorIddN6thrust23THRUST_200600_302600_NS4plusIdEEEEZZNS1_33reduce_by_key_impl_wrapped_configILNS1_25lookback_scan_determinismE0ES3_S9_NS6_6detail15normal_iteratorINS6_10device_ptrIdEEEESG_SG_SG_PmS8_NS6_8equal_toIdEEEE10hipError_tPvRmT2_T3_mT4_T5_T6_T7_T8_P12ihipStream_tbENKUlT_T0_E_clISt17integral_constantIbLb0EES11_EEDaSW_SX_EUlSW_E_NS1_11comp_targetILNS1_3genE4ELNS1_11target_archE910ELNS1_3gpuE8ELNS1_3repE0EEENS1_30default_config_static_selectorELNS0_4arch9wavefront6targetE1EEEvT1_
; %bb.0:
	s_load_dwordx8 s[52:59], s[4:5], 0x0
	s_load_dwordx4 s[60:63], s[4:5], 0x20
	s_load_dwordx16 s[36:51], s[4:5], 0x38
	s_waitcnt lgkmcnt(0)
	s_lshl_b64 s[0:1], s[54:55], 3
	s_add_u32 s2, s52, s0
	s_addc_u32 s3, s53, s1
	s_add_u32 s8, s56, s0
	s_addc_u32 s9, s57, s1
	s_mul_i32 s0, s44, s43
	s_mul_hi_u32 s1, s44, s42
	s_add_i32 s0, s1, s0
	s_mul_i32 s1, s45, s42
	s_add_i32 s10, s0, s1
	s_mul_i32 s0, s6, 0xf00
	s_mov_b32 s1, 0
	s_lshl_b64 s[0:1], s[0:1], 3
	s_add_u32 s7, s2, s0
	s_addc_u32 s64, s3, s1
	s_add_u32 s56, s8, s0
	s_mul_i32 s11, s44, s42
	s_addc_u32 s57, s9, s1
	s_add_u32 s52, s11, s6
	s_addc_u32 s53, s10, 0
	s_add_u32 s2, s46, -1
	s_addc_u32 s3, s47, -1
	s_cmp_eq_u64 s[52:53], s[2:3]
	s_cselect_b64 s[34:35], -1, 0
	s_cmp_lg_u64 s[52:53], s[2:3]
	s_mov_b64 s[0:1], -1
	s_cselect_b64 s[54:55], -1, 0
	s_mul_i32 s33, s2, 0xfffff100
	s_and_b64 vcc, exec, s[34:35]
	s_cbranch_vccnz .LBB14_2
; %bb.1:
	v_lshlrev_b32_e32 v80, 3, v0
	v_mov_b32_e32 v1, s64
	v_add_co_u32_e32 v2, vcc, s7, v80
	v_addc_co_u32_e32 v3, vcc, 0, v1, vcc
	v_add_co_u32_e32 v4, vcc, 0x1000, v2
	v_addc_co_u32_e32 v5, vcc, 0, v3, vcc
	flat_load_dwordx2 v[6:7], v[2:3]
	flat_load_dwordx2 v[8:9], v[2:3] offset:2048
	flat_load_dwordx2 v[10:11], v[4:5]
	flat_load_dwordx2 v[12:13], v[4:5] offset:2048
	v_add_co_u32_e32 v4, vcc, 0x2000, v2
	v_addc_co_u32_e32 v5, vcc, 0, v3, vcc
	v_add_co_u32_e32 v14, vcc, 0x3000, v2
	v_addc_co_u32_e32 v15, vcc, 0, v3, vcc
	flat_load_dwordx2 v[16:17], v[4:5]
	flat_load_dwordx2 v[18:19], v[4:5] offset:2048
	flat_load_dwordx2 v[20:21], v[14:15]
	flat_load_dwordx2 v[22:23], v[14:15] offset:2048
	;; [unrolled: 8-line block ×3, first 2 shown]
	v_add_co_u32_e32 v4, vcc, 0x6000, v2
	v_addc_co_u32_e32 v5, vcc, 0, v3, vcc
	v_add_co_u32_e32 v2, vcc, 0x7000, v2
	v_addc_co_u32_e32 v3, vcc, 0, v3, vcc
	flat_load_dwordx2 v[14:15], v[4:5]
	flat_load_dwordx2 v[32:33], v[4:5] offset:2048
	flat_load_dwordx2 v[34:35], v[2:3]
	v_mov_b32_e32 v36, s57
	s_movk_i32 s0, 0x1000
	s_movk_i32 s11, 0x70
	;; [unrolled: 1-line block ×3, first 2 shown]
	v_mad_u32_u24 v1, v0, s11, v80
	s_movk_i32 s2, 0x3000
	s_movk_i32 s3, 0x4000
	;; [unrolled: 1-line block ×5, first 2 shown]
	s_waitcnt vmcnt(0) lgkmcnt(0)
	ds_write2st64_b64 v80, v[6:7], v[8:9] offset1:4
	ds_write2st64_b64 v80, v[10:11], v[12:13] offset0:8 offset1:12
	ds_write2st64_b64 v80, v[16:17], v[18:19] offset0:16 offset1:20
	;; [unrolled: 1-line block ×6, first 2 shown]
	ds_write_b64 v80, v[34:35] offset:28672
	v_add_co_u32_e32 v30, vcc, s56, v80
	v_addc_co_u32_e32 v31, vcc, 0, v36, vcc
	v_add_co_u32_e32 v32, vcc, s0, v30
	v_addc_co_u32_e32 v33, vcc, 0, v31, vcc
	s_waitcnt lgkmcnt(0)
	s_barrier
	ds_read2_b64 v[26:29], v1 offset1:1
	ds_read2_b64 v[22:25], v1 offset0:2 offset1:3
	ds_read2_b64 v[18:21], v1 offset0:4 offset1:5
	;; [unrolled: 1-line block ×6, first 2 shown]
	ds_read_b64 v[74:75], v1 offset:112
	s_waitcnt lgkmcnt(0)
	s_barrier
	flat_load_dwordx2 v[34:35], v[30:31]
	flat_load_dwordx2 v[36:37], v[30:31] offset:2048
	flat_load_dwordx2 v[38:39], v[32:33]
	flat_load_dwordx2 v[40:41], v[32:33] offset:2048
	v_add_co_u32_e32 v32, vcc, s1, v30
	v_addc_co_u32_e32 v33, vcc, 0, v31, vcc
	v_add_co_u32_e32 v42, vcc, s2, v30
	v_addc_co_u32_e32 v43, vcc, 0, v31, vcc
	flat_load_dwordx2 v[44:45], v[32:33]
	flat_load_dwordx2 v[46:47], v[32:33] offset:2048
	flat_load_dwordx2 v[48:49], v[42:43]
	flat_load_dwordx2 v[50:51], v[42:43] offset:2048
	v_add_co_u32_e32 v32, vcc, s3, v30
	v_addc_co_u32_e32 v33, vcc, 0, v31, vcc
	v_add_co_u32_e32 v42, vcc, s8, v30
	v_addc_co_u32_e32 v43, vcc, 0, v31, vcc
	;; [unrolled: 8-line block ×3, first 2 shown]
	flat_load_dwordx2 v[42:43], v[32:33]
	flat_load_dwordx2 v[76:77], v[32:33] offset:2048
	flat_load_dwordx2 v[78:79], v[30:31]
	v_mov_b32_e32 v58, v26
	v_mov_b32_e32 v59, v27
	;; [unrolled: 1-line block ×14, first 2 shown]
	s_waitcnt vmcnt(0) lgkmcnt(0)
	ds_write2st64_b64 v80, v[34:35], v[36:37] offset1:4
	ds_write2st64_b64 v80, v[38:39], v[40:41] offset0:8 offset1:12
	ds_write2st64_b64 v80, v[44:45], v[46:47] offset0:16 offset1:20
	;; [unrolled: 1-line block ×6, first 2 shown]
	ds_write_b64 v80, v[78:79] offset:28672
	s_waitcnt lgkmcnt(0)
	s_barrier
	s_load_dwordx2 s[46:47], s[4:5], 0x78
	s_add_i32 s33, s33, s48
	s_cbranch_execz .LBB14_3
	s_branch .LBB14_50
.LBB14_2:
                                        ; implicit-def: $vgpr74_vgpr75
                                        ; implicit-def: $vgpr2_vgpr3
                                        ; implicit-def: $vgpr6_vgpr7
                                        ; implicit-def: $vgpr10_vgpr11
                                        ; implicit-def: $vgpr14_vgpr15
                                        ; implicit-def: $vgpr18_vgpr19
                                        ; implicit-def: $vgpr22_vgpr23
                                        ; implicit-def: $vgpr26_vgpr27
                                        ; implicit-def: $vgpr1
                                        ; implicit-def: $vgpr66_vgpr67_vgpr68_vgpr69
                                        ; implicit-def: $vgpr62_vgpr63_vgpr64_vgpr65
                                        ; implicit-def: $vgpr58_vgpr59_vgpr60_vgpr61
                                        ; implicit-def: $vgpr70_vgpr71_vgpr72_vgpr73
	s_load_dwordx2 s[46:47], s[4:5], 0x78
	s_andn2_b64 vcc, exec, s[0:1]
	s_add_i32 s33, s33, s48
	s_cbranch_vccnz .LBB14_50
.LBB14_3:
	v_cmp_gt_u32_e32 vcc, s33, v0
                                        ; implicit-def: $vgpr2_vgpr3
	s_and_saveexec_b64 s[2:3], vcc
	s_cbranch_execz .LBB14_5
; %bb.4:
	v_lshlrev_b32_e32 v1, 3, v0
	v_mov_b32_e32 v3, s64
	v_add_co_u32_e64 v2, s[0:1], s7, v1
	v_addc_co_u32_e64 v3, s[0:1], 0, v3, s[0:1]
	flat_load_dwordx2 v[2:3], v[2:3]
.LBB14_5:
	s_or_b64 exec, exec, s[2:3]
	v_or_b32_e32 v1, 0x100, v0
	v_cmp_gt_u32_e64 s[0:1], s33, v1
                                        ; implicit-def: $vgpr4_vgpr5
	s_and_saveexec_b64 s[4:5], s[0:1]
	s_cbranch_execz .LBB14_7
; %bb.6:
	v_lshlrev_b32_e32 v1, 3, v0
	v_mov_b32_e32 v5, s64
	v_add_co_u32_e64 v4, s[2:3], s7, v1
	v_addc_co_u32_e64 v5, s[2:3], 0, v5, s[2:3]
	flat_load_dwordx2 v[4:5], v[4:5] offset:2048
.LBB14_7:
	s_or_b64 exec, exec, s[4:5]
	v_or_b32_e32 v1, 0x200, v0
	v_cmp_gt_u32_e64 s[2:3], s33, v1
	v_lshlrev_b32_e32 v36, 3, v1
                                        ; implicit-def: $vgpr6_vgpr7
	s_and_saveexec_b64 s[8:9], s[2:3]
	s_cbranch_execz .LBB14_9
; %bb.8:
	v_mov_b32_e32 v1, s64
	v_add_co_u32_e64 v6, s[4:5], s7, v36
	v_addc_co_u32_e64 v7, s[4:5], 0, v1, s[4:5]
	flat_load_dwordx2 v[6:7], v[6:7]
.LBB14_9:
	s_or_b64 exec, exec, s[8:9]
	v_or_b32_e32 v1, 0x300, v0
	v_cmp_gt_u32_e64 s[4:5], s33, v1
	v_lshlrev_b32_e32 v38, 3, v1
                                        ; implicit-def: $vgpr8_vgpr9
	s_and_saveexec_b64 s[10:11], s[4:5]
	s_cbranch_execz .LBB14_11
; %bb.10:
	v_mov_b32_e32 v1, s64
	v_add_co_u32_e64 v8, s[8:9], s7, v38
	v_addc_co_u32_e64 v9, s[8:9], 0, v1, s[8:9]
	flat_load_dwordx2 v[8:9], v[8:9]
.LBB14_11:
	s_or_b64 exec, exec, s[10:11]
	v_or_b32_e32 v1, 0x400, v0
	v_cmp_gt_u32_e64 s[28:29], s33, v1
	v_lshlrev_b32_e32 v40, 3, v1
                                        ; implicit-def: $vgpr10_vgpr11
	s_and_saveexec_b64 s[10:11], s[28:29]
	s_cbranch_execz .LBB14_13
; %bb.12:
	v_mov_b32_e32 v1, s64
	v_add_co_u32_e64 v10, s[8:9], s7, v40
	v_addc_co_u32_e64 v11, s[8:9], 0, v1, s[8:9]
	flat_load_dwordx2 v[10:11], v[10:11]
.LBB14_13:
	s_or_b64 exec, exec, s[10:11]
	v_or_b32_e32 v1, 0x500, v0
	v_cmp_gt_u32_e64 s[8:9], s33, v1
	v_lshlrev_b32_e32 v42, 3, v1
                                        ; implicit-def: $vgpr12_vgpr13
	s_and_saveexec_b64 s[12:13], s[8:9]
	s_cbranch_execz .LBB14_15
; %bb.14:
	v_mov_b32_e32 v1, s64
	v_add_co_u32_e64 v12, s[10:11], s7, v42
	v_addc_co_u32_e64 v13, s[10:11], 0, v1, s[10:11]
	flat_load_dwordx2 v[12:13], v[12:13]
.LBB14_15:
	s_or_b64 exec, exec, s[12:13]
	v_or_b32_e32 v1, 0x600, v0
	v_cmp_gt_u32_e64 s[10:11], s33, v1
	v_lshlrev_b32_e32 v44, 3, v1
                                        ; implicit-def: $vgpr14_vgpr15
	s_and_saveexec_b64 s[14:15], s[10:11]
	s_cbranch_execz .LBB14_17
; %bb.16:
	v_mov_b32_e32 v1, s64
	v_add_co_u32_e64 v14, s[12:13], s7, v44
	v_addc_co_u32_e64 v15, s[12:13], 0, v1, s[12:13]
	flat_load_dwordx2 v[14:15], v[14:15]
.LBB14_17:
	s_or_b64 exec, exec, s[14:15]
	v_or_b32_e32 v1, 0x700, v0
	v_cmp_gt_u32_e64 s[12:13], s33, v1
	v_lshlrev_b32_e32 v46, 3, v1
                                        ; implicit-def: $vgpr16_vgpr17
	s_and_saveexec_b64 s[16:17], s[12:13]
	s_cbranch_execz .LBB14_19
; %bb.18:
	v_mov_b32_e32 v1, s64
	v_add_co_u32_e64 v16, s[14:15], s7, v46
	v_addc_co_u32_e64 v17, s[14:15], 0, v1, s[14:15]
	flat_load_dwordx2 v[16:17], v[16:17]
.LBB14_19:
	s_or_b64 exec, exec, s[16:17]
	v_or_b32_e32 v1, 0x800, v0
	v_cmp_gt_u32_e64 s[14:15], s33, v1
	v_lshlrev_b32_e32 v48, 3, v1
                                        ; implicit-def: $vgpr18_vgpr19
	s_and_saveexec_b64 s[18:19], s[14:15]
	s_cbranch_execz .LBB14_21
; %bb.20:
	v_mov_b32_e32 v1, s64
	v_add_co_u32_e64 v18, s[16:17], s7, v48
	v_addc_co_u32_e64 v19, s[16:17], 0, v1, s[16:17]
	flat_load_dwordx2 v[18:19], v[18:19]
.LBB14_21:
	s_or_b64 exec, exec, s[18:19]
	v_or_b32_e32 v1, 0x900, v0
	v_cmp_gt_u32_e64 s[16:17], s33, v1
	v_lshlrev_b32_e32 v50, 3, v1
                                        ; implicit-def: $vgpr20_vgpr21
	s_and_saveexec_b64 s[20:21], s[16:17]
	s_cbranch_execz .LBB14_23
; %bb.22:
	v_mov_b32_e32 v1, s64
	v_add_co_u32_e64 v20, s[18:19], s7, v50
	v_addc_co_u32_e64 v21, s[18:19], 0, v1, s[18:19]
	flat_load_dwordx2 v[20:21], v[20:21]
.LBB14_23:
	s_or_b64 exec, exec, s[20:21]
	v_or_b32_e32 v1, 0xa00, v0
	v_cmp_gt_u32_e64 s[18:19], s33, v1
	v_lshlrev_b32_e32 v52, 3, v1
                                        ; implicit-def: $vgpr22_vgpr23
	s_and_saveexec_b64 s[22:23], s[18:19]
	s_cbranch_execz .LBB14_25
; %bb.24:
	v_mov_b32_e32 v1, s64
	v_add_co_u32_e64 v22, s[20:21], s7, v52
	v_addc_co_u32_e64 v23, s[20:21], 0, v1, s[20:21]
	flat_load_dwordx2 v[22:23], v[22:23]
.LBB14_25:
	s_or_b64 exec, exec, s[22:23]
	v_or_b32_e32 v1, 0xb00, v0
	v_cmp_gt_u32_e64 s[20:21], s33, v1
	v_lshlrev_b32_e32 v54, 3, v1
                                        ; implicit-def: $vgpr24_vgpr25
	s_and_saveexec_b64 s[24:25], s[20:21]
	s_cbranch_execz .LBB14_27
; %bb.26:
	v_mov_b32_e32 v1, s64
	v_add_co_u32_e64 v24, s[22:23], s7, v54
	v_addc_co_u32_e64 v25, s[22:23], 0, v1, s[22:23]
	flat_load_dwordx2 v[24:25], v[24:25]
.LBB14_27:
	s_or_b64 exec, exec, s[24:25]
	v_or_b32_e32 v1, 0xc00, v0
	v_cmp_gt_u32_e64 s[22:23], s33, v1
	v_lshlrev_b32_e32 v56, 3, v1
                                        ; implicit-def: $vgpr26_vgpr27
	s_and_saveexec_b64 s[26:27], s[22:23]
	s_cbranch_execz .LBB14_29
; %bb.28:
	v_mov_b32_e32 v1, s64
	v_add_co_u32_e64 v26, s[24:25], s7, v56
	v_addc_co_u32_e64 v27, s[24:25], 0, v1, s[24:25]
	flat_load_dwordx2 v[26:27], v[26:27]
.LBB14_29:
	s_or_b64 exec, exec, s[26:27]
	v_or_b32_e32 v1, 0xd00, v0
	v_cmp_gt_u32_e64 s[24:25], s33, v1
	v_lshlrev_b32_e32 v58, 3, v1
                                        ; implicit-def: $vgpr28_vgpr29
	s_and_saveexec_b64 s[30:31], s[24:25]
	s_cbranch_execz .LBB14_31
; %bb.30:
	v_mov_b32_e32 v1, s64
	v_add_co_u32_e64 v28, s[26:27], s7, v58
	v_addc_co_u32_e64 v29, s[26:27], 0, v1, s[26:27]
	flat_load_dwordx2 v[28:29], v[28:29]
.LBB14_31:
	s_or_b64 exec, exec, s[30:31]
	v_or_b32_e32 v1, 0xe00, v0
	v_cmp_gt_u32_e64 s[26:27], s33, v1
	v_lshlrev_b32_e32 v61, 3, v1
                                        ; implicit-def: $vgpr30_vgpr31
	s_and_saveexec_b64 s[44:45], s[26:27]
	s_cbranch_execz .LBB14_33
; %bb.32:
	v_mov_b32_e32 v1, s64
	v_add_co_u32_e64 v30, s[30:31], s7, v61
	v_addc_co_u32_e64 v31, s[30:31], 0, v1, s[30:31]
	flat_load_dwordx2 v[30:31], v[30:31]
.LBB14_33:
	s_or_b64 exec, exec, s[44:45]
	v_lshlrev_b32_e32 v60, 3, v0
	s_movk_i32 s30, 0x70
	v_mad_u32_u24 v1, v0, s30, v60
	s_waitcnt vmcnt(0) lgkmcnt(0)
	ds_write2st64_b64 v60, v[2:3], v[4:5] offset1:4
	ds_write2st64_b64 v60, v[6:7], v[8:9] offset0:8 offset1:12
	ds_write2st64_b64 v60, v[10:11], v[12:13] offset0:16 offset1:20
	;; [unrolled: 1-line block ×6, first 2 shown]
	ds_write_b64 v60, v[30:31] offset:28672
	s_waitcnt lgkmcnt(0)
	s_barrier
	ds_read2_b64 v[26:29], v1 offset1:1
	ds_read2_b64 v[22:25], v1 offset0:2 offset1:3
	ds_read2_b64 v[18:21], v1 offset0:4 offset1:5
	;; [unrolled: 1-line block ×6, first 2 shown]
	ds_read_b64 v[74:75], v1 offset:112
	s_waitcnt lgkmcnt(0)
	s_barrier
	s_waitcnt lgkmcnt(0)
                                        ; implicit-def: $vgpr30_vgpr31
	s_and_saveexec_b64 s[30:31], vcc
	s_cbranch_execnz .LBB14_57
; %bb.34:
	s_or_b64 exec, exec, s[30:31]
                                        ; implicit-def: $vgpr32_vgpr33
	s_and_saveexec_b64 s[30:31], s[0:1]
	s_cbranch_execnz .LBB14_58
.LBB14_35:
	s_or_b64 exec, exec, s[30:31]
                                        ; implicit-def: $vgpr34_vgpr35
	s_and_saveexec_b64 s[0:1], s[2:3]
	s_cbranch_execnz .LBB14_59
.LBB14_36:
	s_or_b64 exec, exec, s[0:1]
                                        ; implicit-def: $vgpr36_vgpr37
	s_and_saveexec_b64 s[0:1], s[4:5]
	s_cbranch_execnz .LBB14_60
.LBB14_37:
	s_or_b64 exec, exec, s[0:1]
                                        ; implicit-def: $vgpr38_vgpr39
	s_and_saveexec_b64 s[0:1], s[28:29]
	s_cbranch_execnz .LBB14_61
.LBB14_38:
	s_or_b64 exec, exec, s[0:1]
                                        ; implicit-def: $vgpr40_vgpr41
	s_and_saveexec_b64 s[0:1], s[8:9]
	s_cbranch_execnz .LBB14_62
.LBB14_39:
	s_or_b64 exec, exec, s[0:1]
                                        ; implicit-def: $vgpr42_vgpr43
	s_and_saveexec_b64 s[0:1], s[10:11]
	s_cbranch_execnz .LBB14_63
.LBB14_40:
	s_or_b64 exec, exec, s[0:1]
                                        ; implicit-def: $vgpr44_vgpr45
	s_and_saveexec_b64 s[0:1], s[12:13]
	s_cbranch_execnz .LBB14_64
.LBB14_41:
	s_or_b64 exec, exec, s[0:1]
                                        ; implicit-def: $vgpr46_vgpr47
	s_and_saveexec_b64 s[0:1], s[14:15]
	s_cbranch_execnz .LBB14_65
.LBB14_42:
	s_or_b64 exec, exec, s[0:1]
                                        ; implicit-def: $vgpr48_vgpr49
	s_and_saveexec_b64 s[0:1], s[16:17]
	s_cbranch_execnz .LBB14_66
.LBB14_43:
	s_or_b64 exec, exec, s[0:1]
                                        ; implicit-def: $vgpr50_vgpr51
	s_and_saveexec_b64 s[0:1], s[18:19]
	s_cbranch_execnz .LBB14_67
.LBB14_44:
	s_or_b64 exec, exec, s[0:1]
                                        ; implicit-def: $vgpr52_vgpr53
	s_and_saveexec_b64 s[0:1], s[20:21]
	s_cbranch_execnz .LBB14_68
.LBB14_45:
	s_or_b64 exec, exec, s[0:1]
                                        ; implicit-def: $vgpr54_vgpr55
	s_and_saveexec_b64 s[0:1], s[22:23]
	s_cbranch_execnz .LBB14_69
.LBB14_46:
	s_or_b64 exec, exec, s[0:1]
                                        ; implicit-def: $vgpr56_vgpr57
	s_and_saveexec_b64 s[0:1], s[24:25]
	s_cbranch_execnz .LBB14_70
.LBB14_47:
	s_or_b64 exec, exec, s[0:1]
                                        ; implicit-def: $vgpr58_vgpr59
	s_and_saveexec_b64 s[0:1], s[26:27]
	s_cbranch_execz .LBB14_49
.LBB14_48:
	v_mov_b32_e32 v59, s57
	v_add_co_u32_e32 v58, vcc, s56, v61
	v_addc_co_u32_e32 v59, vcc, 0, v59, vcc
	flat_load_dwordx2 v[58:59], v[58:59]
.LBB14_49:
	s_or_b64 exec, exec, s[0:1]
	s_waitcnt vmcnt(0) lgkmcnt(0)
	ds_write2st64_b64 v60, v[30:31], v[32:33] offset1:4
	ds_write2st64_b64 v60, v[34:35], v[36:37] offset0:8 offset1:12
	ds_write2st64_b64 v60, v[38:39], v[40:41] offset0:16 offset1:20
	;; [unrolled: 1-line block ×6, first 2 shown]
	ds_write_b64 v60, v[58:59] offset:28672
	v_mov_b32_e32 v58, v26
	v_mov_b32_e32 v59, v27
	;; [unrolled: 1-line block ×14, first 2 shown]
	s_waitcnt lgkmcnt(0)
	s_barrier
.LBB14_50:
	s_waitcnt lgkmcnt(0)
	ds_read2_b64 v[54:57], v1 offset1:1
	ds_read2_b64 v[50:53], v1 offset0:2 offset1:3
	ds_read2_b64 v[46:49], v1 offset0:4 offset1:5
	;; [unrolled: 1-line block ×6, first 2 shown]
	ds_read_b64 v[72:73], v1 offset:112
	s_cmp_eq_u64 s[52:53], 0
	s_cselect_b64 s[44:45], -1, 0
	s_cmp_lg_u64 s[52:53], 0
	s_mov_b64 s[56:57], 0
	s_cselect_b64 s[30:31], -1, 0
	s_and_b64 vcc, exec, s[54:55]
	s_waitcnt lgkmcnt(0)
	s_barrier
	s_cbranch_vccz .LBB14_56
; %bb.51:
	s_and_b64 vcc, exec, s[30:31]
	s_cbranch_vccz .LBB14_71
; %bb.52:
	v_mov_b32_e32 v1, s64
	v_add_co_u32_e64 v76, vcc, -8, s7
	v_addc_co_u32_e32 v77, vcc, -1, v1, vcc
	flat_load_dwordx2 v[76:77], v[76:77]
	v_lshlrev_b32_e32 v1, 3, v0
	v_cmp_neq_f64_e32 vcc, v[4:5], v[74:75]
	v_cmp_neq_f64_e64 s[0:1], v[2:3], v[4:5]
	v_cmp_neq_f64_e64 s[2:3], v[8:9], v[2:3]
	;; [unrolled: 1-line block ×13, first 2 shown]
	v_cmp_ne_u32_e64 s[28:29], 0, v0
	ds_write_b64 v1, v[74:75]
	s_waitcnt lgkmcnt(0)
	s_barrier
	s_and_saveexec_b64 s[54:55], s[28:29]
	s_cbranch_execz .LBB14_54
; %bb.53:
	v_add_u32_e32 v1, -8, v1
	s_waitcnt vmcnt(0)
	ds_read_b64 v[76:77], v1
.LBB14_54:
	s_or_b64 exec, exec, s[54:55]
	v_cndmask_b32_e64 v1, 0, 1, vcc
	v_cndmask_b32_e64 v100, 0, 1, s[0:1]
	v_cndmask_b32_e64 v101, 0, 1, s[2:3]
	;; [unrolled: 1-line block ×13, first 2 shown]
	s_waitcnt vmcnt(0) lgkmcnt(0)
	v_cmp_neq_f64_e64 s[0:1], v[76:77], v[26:27]
	s_mov_b64 s[56:57], -1
.LBB14_55:
                                        ; implicit-def: $sgpr4
	s_branch .LBB14_83
.LBB14_56:
                                        ; implicit-def: $sgpr0_sgpr1
                                        ; implicit-def: $vgpr1
                                        ; implicit-def: $vgpr100
                                        ; implicit-def: $vgpr101
                                        ; implicit-def: $vgpr102
                                        ; implicit-def: $vgpr103
                                        ; implicit-def: $vgpr104
                                        ; implicit-def: $vgpr105
                                        ; implicit-def: $vgpr106
                                        ; implicit-def: $vgpr107
                                        ; implicit-def: $vgpr108
                                        ; implicit-def: $vgpr109
                                        ; implicit-def: $vgpr110
                                        ; implicit-def: $vgpr111
                                        ; implicit-def: $vgpr112
                                        ; implicit-def: $sgpr4
	s_cbranch_execnz .LBB14_75
	s_branch .LBB14_83
.LBB14_57:
	v_mov_b32_e32 v31, s57
	v_add_co_u32_e32 v30, vcc, s56, v60
	v_addc_co_u32_e32 v31, vcc, 0, v31, vcc
	flat_load_dwordx2 v[30:31], v[30:31]
	s_or_b64 exec, exec, s[30:31]
                                        ; implicit-def: $vgpr32_vgpr33
	s_and_saveexec_b64 s[30:31], s[0:1]
	s_cbranch_execz .LBB14_35
.LBB14_58:
	v_mov_b32_e32 v33, s57
	v_add_co_u32_e32 v32, vcc, s56, v60
	v_addc_co_u32_e32 v33, vcc, 0, v33, vcc
	flat_load_dwordx2 v[32:33], v[32:33] offset:2048
	s_or_b64 exec, exec, s[30:31]
                                        ; implicit-def: $vgpr34_vgpr35
	s_and_saveexec_b64 s[0:1], s[2:3]
	s_cbranch_execz .LBB14_36
.LBB14_59:
	v_mov_b32_e32 v35, s57
	v_add_co_u32_e32 v34, vcc, s56, v36
	v_addc_co_u32_e32 v35, vcc, 0, v35, vcc
	flat_load_dwordx2 v[34:35], v[34:35]
	s_or_b64 exec, exec, s[0:1]
                                        ; implicit-def: $vgpr36_vgpr37
	s_and_saveexec_b64 s[0:1], s[4:5]
	s_cbranch_execz .LBB14_37
.LBB14_60:
	v_mov_b32_e32 v37, s57
	v_add_co_u32_e32 v36, vcc, s56, v38
	v_addc_co_u32_e32 v37, vcc, 0, v37, vcc
	flat_load_dwordx2 v[36:37], v[36:37]
	s_or_b64 exec, exec, s[0:1]
                                        ; implicit-def: $vgpr38_vgpr39
	s_and_saveexec_b64 s[0:1], s[28:29]
	s_cbranch_execz .LBB14_38
.LBB14_61:
	v_mov_b32_e32 v39, s57
	v_add_co_u32_e32 v38, vcc, s56, v40
	v_addc_co_u32_e32 v39, vcc, 0, v39, vcc
	flat_load_dwordx2 v[38:39], v[38:39]
	s_or_b64 exec, exec, s[0:1]
                                        ; implicit-def: $vgpr40_vgpr41
	s_and_saveexec_b64 s[0:1], s[8:9]
	s_cbranch_execz .LBB14_39
.LBB14_62:
	v_mov_b32_e32 v41, s57
	v_add_co_u32_e32 v40, vcc, s56, v42
	v_addc_co_u32_e32 v41, vcc, 0, v41, vcc
	flat_load_dwordx2 v[40:41], v[40:41]
	s_or_b64 exec, exec, s[0:1]
                                        ; implicit-def: $vgpr42_vgpr43
	s_and_saveexec_b64 s[0:1], s[10:11]
	s_cbranch_execz .LBB14_40
.LBB14_63:
	v_mov_b32_e32 v43, s57
	v_add_co_u32_e32 v42, vcc, s56, v44
	v_addc_co_u32_e32 v43, vcc, 0, v43, vcc
	flat_load_dwordx2 v[42:43], v[42:43]
	s_or_b64 exec, exec, s[0:1]
                                        ; implicit-def: $vgpr44_vgpr45
	s_and_saveexec_b64 s[0:1], s[12:13]
	s_cbranch_execz .LBB14_41
.LBB14_64:
	v_mov_b32_e32 v45, s57
	v_add_co_u32_e32 v44, vcc, s56, v46
	v_addc_co_u32_e32 v45, vcc, 0, v45, vcc
	flat_load_dwordx2 v[44:45], v[44:45]
	s_or_b64 exec, exec, s[0:1]
                                        ; implicit-def: $vgpr46_vgpr47
	s_and_saveexec_b64 s[0:1], s[14:15]
	s_cbranch_execz .LBB14_42
.LBB14_65:
	v_mov_b32_e32 v47, s57
	v_add_co_u32_e32 v46, vcc, s56, v48
	v_addc_co_u32_e32 v47, vcc, 0, v47, vcc
	flat_load_dwordx2 v[46:47], v[46:47]
	s_or_b64 exec, exec, s[0:1]
                                        ; implicit-def: $vgpr48_vgpr49
	s_and_saveexec_b64 s[0:1], s[16:17]
	s_cbranch_execz .LBB14_43
.LBB14_66:
	v_mov_b32_e32 v49, s57
	v_add_co_u32_e32 v48, vcc, s56, v50
	v_addc_co_u32_e32 v49, vcc, 0, v49, vcc
	flat_load_dwordx2 v[48:49], v[48:49]
	s_or_b64 exec, exec, s[0:1]
                                        ; implicit-def: $vgpr50_vgpr51
	s_and_saveexec_b64 s[0:1], s[18:19]
	s_cbranch_execz .LBB14_44
.LBB14_67:
	v_mov_b32_e32 v51, s57
	v_add_co_u32_e32 v50, vcc, s56, v52
	v_addc_co_u32_e32 v51, vcc, 0, v51, vcc
	flat_load_dwordx2 v[50:51], v[50:51]
	s_or_b64 exec, exec, s[0:1]
                                        ; implicit-def: $vgpr52_vgpr53
	s_and_saveexec_b64 s[0:1], s[20:21]
	s_cbranch_execz .LBB14_45
.LBB14_68:
	v_mov_b32_e32 v53, s57
	v_add_co_u32_e32 v52, vcc, s56, v54
	v_addc_co_u32_e32 v53, vcc, 0, v53, vcc
	flat_load_dwordx2 v[52:53], v[52:53]
	s_or_b64 exec, exec, s[0:1]
                                        ; implicit-def: $vgpr54_vgpr55
	s_and_saveexec_b64 s[0:1], s[22:23]
	s_cbranch_execz .LBB14_46
.LBB14_69:
	v_mov_b32_e32 v55, s57
	v_add_co_u32_e32 v54, vcc, s56, v56
	v_addc_co_u32_e32 v55, vcc, 0, v55, vcc
	flat_load_dwordx2 v[54:55], v[54:55]
	s_or_b64 exec, exec, s[0:1]
                                        ; implicit-def: $vgpr56_vgpr57
	s_and_saveexec_b64 s[0:1], s[24:25]
	s_cbranch_execz .LBB14_47
.LBB14_70:
	v_mov_b32_e32 v57, s57
	v_add_co_u32_e32 v56, vcc, s56, v58
	v_addc_co_u32_e32 v57, vcc, 0, v57, vcc
	flat_load_dwordx2 v[56:57], v[56:57]
	s_or_b64 exec, exec, s[0:1]
                                        ; implicit-def: $vgpr58_vgpr59
	s_and_saveexec_b64 s[0:1], s[26:27]
	s_cbranch_execnz .LBB14_48
	s_branch .LBB14_49
.LBB14_71:
                                        ; implicit-def: $sgpr0_sgpr1
                                        ; implicit-def: $vgpr1
                                        ; implicit-def: $vgpr100
                                        ; implicit-def: $vgpr101
                                        ; implicit-def: $vgpr102
                                        ; implicit-def: $vgpr103
                                        ; implicit-def: $vgpr104
                                        ; implicit-def: $vgpr105
                                        ; implicit-def: $vgpr106
                                        ; implicit-def: $vgpr107
                                        ; implicit-def: $vgpr108
                                        ; implicit-def: $vgpr109
                                        ; implicit-def: $vgpr110
                                        ; implicit-def: $vgpr111
                                        ; implicit-def: $vgpr112
	s_cbranch_execz .LBB14_55
; %bb.72:
	v_cmp_neq_f64_e32 vcc, v[28:29], v[58:59]
	v_cndmask_b32_e64 v112, 0, 1, vcc
	v_cmp_neq_f64_e32 vcc, v[28:29], v[60:61]
	v_cndmask_b32_e64 v111, 0, 1, vcc
	;; [unrolled: 2-line block ×13, first 2 shown]
	v_cmp_neq_f64_e32 vcc, v[4:5], v[74:75]
	v_lshlrev_b32_e32 v76, 3, v0
	v_cndmask_b32_e64 v1, 0, 1, vcc
	v_cmp_ne_u32_e32 vcc, 0, v0
	ds_write_b64 v76, v[74:75]
	s_waitcnt lgkmcnt(0)
	s_barrier
	s_waitcnt lgkmcnt(0)
                                        ; implicit-def: $sgpr0_sgpr1
	s_and_saveexec_b64 s[2:3], vcc
	s_xor_b64 s[2:3], exec, s[2:3]
	s_cbranch_execz .LBB14_74
; %bb.73:
	v_add_u32_e32 v58, -8, v76
	ds_read_b64 v[58:59], v58
	s_or_b64 s[56:57], s[56:57], exec
	s_waitcnt lgkmcnt(0)
	v_cmp_neq_f64_e32 vcc, v[58:59], v[26:27]
	s_and_b64 s[0:1], vcc, exec
.LBB14_74:
	s_or_b64 exec, exec, s[2:3]
	s_mov_b32 s4, 1
	s_branch .LBB14_83
.LBB14_75:
	s_mul_hi_u32 s1, s52, 0xfffff100
	s_mul_i32 s0, s53, 0xfffff100
	s_sub_i32 s1, s1, s52
	s_add_i32 s1, s1, s0
	s_mul_i32 s0, s52, 0xfffff100
	s_add_u32 s48, s0, s48
	s_addc_u32 s49, s1, s49
	s_and_b64 vcc, exec, s[30:31]
	v_cmp_neq_f64_e64 s[28:29], v[4:5], v[74:75]
	v_cmp_neq_f64_e64 s[26:27], v[2:3], v[4:5]
	;; [unrolled: 1-line block ×14, first 2 shown]
	v_mad_u32_u24 v58, v0, 15, 14
	v_mad_u32_u24 v88, v0, 15, 13
	;; [unrolled: 1-line block ×14, first 2 shown]
	v_cmp_ne_u32_e64 s[8:9], 0, v0
	s_cbranch_vccz .LBB14_80
; %bb.76:
	v_mov_b32_e32 v1, s64
	v_add_co_u32_e64 v90, vcc, -8, s7
	v_addc_co_u32_e32 v91, vcc, -1, v1, vcc
	flat_load_dwordx2 v[90:91], v[90:91]
	v_mov_b32_e32 v59, 0
	v_cmp_gt_u64_e32 vcc, s[48:49], v[58:59]
	v_mov_b32_e32 v89, v59
	s_and_b64 s[28:29], vcc, s[28:29]
	v_cmp_gt_u64_e32 vcc, s[48:49], v[88:89]
	v_mov_b32_e32 v87, v59
	s_and_b64 s[26:27], vcc, s[26:27]
	;; [unrolled: 3-line block ×13, first 2 shown]
	v_cmp_gt_u64_e32 vcc, s[48:49], v[60:61]
	v_lshlrev_b32_e32 v1, 3, v0
	v_mul_u32_u24_e32 v92, 15, v0
	s_and_b64 s[0:1], vcc, s[0:1]
	ds_write_b64 v1, v[74:75]
	s_waitcnt lgkmcnt(0)
	s_barrier
	s_and_saveexec_b64 s[52:53], s[8:9]
	s_cbranch_execz .LBB14_78
; %bb.77:
	v_add_u32_e32 v1, -8, v1
	s_waitcnt vmcnt(0)
	ds_read_b64 v[90:91], v1
.LBB14_78:
	s_or_b64 exec, exec, s[52:53]
	v_mov_b32_e32 v93, v59
	v_cndmask_b32_e64 v112, 0, 1, s[0:1]
	v_cmp_gt_u64_e32 vcc, s[48:49], v[92:93]
	s_waitcnt vmcnt(0) lgkmcnt(0)
	v_cmp_neq_f64_e64 s[0:1], v[90:91], v[26:27]
	v_cndmask_b32_e64 v1, 0, 1, s[28:29]
	v_cndmask_b32_e64 v100, 0, 1, s[26:27]
	;; [unrolled: 1-line block ×13, first 2 shown]
	s_and_b64 s[0:1], vcc, s[0:1]
	s_mov_b64 s[56:57], -1
.LBB14_79:
                                        ; implicit-def: $sgpr4
	v_mov_b32_e32 v113, s4
	s_and_saveexec_b64 s[2:3], s[56:57]
	s_cbranch_execnz .LBB14_84
	s_branch .LBB14_85
.LBB14_80:
                                        ; implicit-def: $sgpr0_sgpr1
                                        ; implicit-def: $vgpr1
                                        ; implicit-def: $vgpr100
                                        ; implicit-def: $vgpr101
                                        ; implicit-def: $vgpr102
                                        ; implicit-def: $vgpr103
                                        ; implicit-def: $vgpr104
                                        ; implicit-def: $vgpr105
                                        ; implicit-def: $vgpr106
                                        ; implicit-def: $vgpr107
                                        ; implicit-def: $vgpr108
                                        ; implicit-def: $vgpr109
                                        ; implicit-def: $vgpr110
                                        ; implicit-def: $vgpr111
                                        ; implicit-def: $vgpr112
	s_cbranch_execz .LBB14_79
; %bb.81:
	v_mov_b32_e32 v59, 0
	v_cmp_gt_u64_e32 vcc, s[48:49], v[58:59]
	v_cmp_neq_f64_e64 s[0:1], v[4:5], v[74:75]
	s_and_b64 s[0:1], vcc, s[0:1]
	v_mov_b32_e32 v89, v59
	v_cndmask_b32_e64 v1, 0, 1, s[0:1]
	v_cmp_gt_u64_e32 vcc, s[48:49], v[88:89]
	v_cmp_neq_f64_e64 s[0:1], v[2:3], v[4:5]
	s_and_b64 s[0:1], vcc, s[0:1]
	v_mov_b32_e32 v87, v59
	v_cndmask_b32_e64 v100, 0, 1, s[0:1]
	;; [unrolled: 5-line block ×13, first 2 shown]
	v_cmp_gt_u64_e32 vcc, s[48:49], v[60:61]
	v_cmp_neq_f64_e64 s[0:1], v[26:27], v[28:29]
	s_and_b64 s[0:1], vcc, s[0:1]
	v_lshlrev_b32_e32 v90, 3, v0
	s_mov_b32 s4, 1
	v_cndmask_b32_e64 v112, 0, 1, s[0:1]
	v_cmp_ne_u32_e32 vcc, 0, v0
	ds_write_b64 v90, v[74:75]
	s_waitcnt lgkmcnt(0)
	s_barrier
	s_waitcnt lgkmcnt(0)
                                        ; implicit-def: $sgpr0_sgpr1
	s_and_saveexec_b64 s[2:3], vcc
	s_cbranch_execz .LBB14_220
; %bb.82:
	v_add_u32_e32 v58, -8, v90
	ds_read_b64 v[60:61], v58
	v_mul_u32_u24_e32 v58, 15, v0
	v_cmp_gt_u64_e32 vcc, s[48:49], v[58:59]
	s_or_b64 s[56:57], s[56:57], exec
	s_waitcnt lgkmcnt(0)
	v_cmp_neq_f64_e64 s[0:1], v[60:61], v[26:27]
	s_and_b64 s[0:1], vcc, s[0:1]
	s_and_b64 s[0:1], s[0:1], exec
	s_or_b64 exec, exec, s[2:3]
.LBB14_83:
	v_mov_b32_e32 v113, s4
	s_and_saveexec_b64 s[2:3], s[56:57]
.LBB14_84:
	v_cndmask_b32_e64 v113, 0, 1, s[0:1]
.LBB14_85:
	s_or_b64 exec, exec, s[2:3]
	s_cmp_eq_u64 s[42:43], 0
	v_add3_u32 v58, v112, v113, v111
	s_cselect_b64 s[30:31], -1, 0
	s_cmp_lg_u32 s6, 0
	v_add_f64 v[98:99], v[54:55], v[56:57]
	v_cmp_eq_u32_e64 s[24:25], 0, v112
	v_cmp_eq_u32_e64 s[22:23], 0, v111
	;; [unrolled: 1-line block ×3, first 2 shown]
	v_add3_u32 v115, v58, v110, v109
	v_cmp_eq_u32_e64 s[18:19], 0, v109
	v_cmp_eq_u32_e64 s[16:17], 0, v108
	;; [unrolled: 1-line block ×10, first 2 shown]
	v_cmp_eq_u32_e32 vcc, 0, v1
	v_mbcnt_lo_u32_b32 v114, -1, 0
	s_cbranch_scc0 .LBB14_152
; %bb.86:
	v_cndmask_b32_e64 v59, v57, v99, s[24:25]
	v_cndmask_b32_e64 v58, v56, v98, s[24:25]
	v_add_f64 v[58:59], v[50:51], v[58:59]
	v_cndmask_b32_e64 v59, v51, v59, s[22:23]
	v_cndmask_b32_e64 v58, v50, v58, s[22:23]
	v_add_f64 v[58:59], v[52:53], v[58:59]
	;; [unrolled: 3-line block ×11, first 2 shown]
	v_add3_u32 v60, v115, v108, v107
	v_cndmask_b32_e64 v59, v31, v59, s[2:3]
	v_cndmask_b32_e64 v58, v30, v58, s[2:3]
	v_add3_u32 v60, v60, v106, v105
	v_add_f64 v[58:59], v[32:33], v[58:59]
	v_add3_u32 v60, v60, v104, v103
	v_cndmask_b32_e64 v59, v33, v59, s[0:1]
	v_cndmask_b32_e64 v58, v32, v58, s[0:1]
	v_add3_u32 v60, v60, v102, v101
	v_add_f64 v[58:59], v[72:73], v[58:59]
	v_mbcnt_hi_u32_b32 v70, -1, v114
	v_add3_u32 v64, v60, v100, v1
	v_cndmask_b32_e32 v61, v73, v59, vcc
	v_cndmask_b32_e32 v60, v72, v58, vcc
	v_and_b32_e32 v62, 15, v70
	v_mov_b32_dpp v63, v64 row_shr:1 row_mask:0xf bank_mask:0xf
	v_mov_b32_dpp v58, v60 row_shr:1 row_mask:0xf bank_mask:0xf
	v_mov_b32_dpp v59, v61 row_shr:1 row_mask:0xf bank_mask:0xf
	v_cmp_ne_u32_e32 vcc, 0, v62
	s_and_saveexec_b64 s[26:27], vcc
; %bb.87:
	v_add_u32_e32 v63, v63, v64
	v_add_f64 v[58:59], v[60:61], v[58:59]
	v_cmp_eq_u32_e32 vcc, 0, v64
	v_cndmask_b32_e32 v61, v61, v59, vcc
	v_cndmask_b32_e32 v60, v60, v58, vcc
	v_mov_b32_e32 v64, v63
; %bb.88:
	s_or_b64 exec, exec, s[26:27]
	s_nop 0
	v_mov_b32_dpp v63, v64 row_shr:2 row_mask:0xf bank_mask:0xf
	v_mov_b32_dpp v58, v60 row_shr:2 row_mask:0xf bank_mask:0xf
	v_mov_b32_dpp v59, v61 row_shr:2 row_mask:0xf bank_mask:0xf
	v_cmp_lt_u32_e32 vcc, 1, v62
	s_and_saveexec_b64 s[26:27], vcc
; %bb.89:
	v_add_u32_e32 v63, v63, v64
	v_add_f64 v[58:59], v[60:61], v[58:59]
	v_cmp_eq_u32_e32 vcc, 0, v64
	v_cndmask_b32_e32 v61, v61, v59, vcc
	v_cndmask_b32_e32 v60, v60, v58, vcc
	v_mov_b32_e32 v64, v63
; %bb.90:
	s_or_b64 exec, exec, s[26:27]
	s_nop 0
	v_mov_b32_dpp v63, v64 row_shr:4 row_mask:0xf bank_mask:0xf
	v_mov_b32_dpp v58, v60 row_shr:4 row_mask:0xf bank_mask:0xf
	v_mov_b32_dpp v59, v61 row_shr:4 row_mask:0xf bank_mask:0xf
	v_cmp_lt_u32_e32 vcc, 3, v62
	;; [unrolled: 15-line block ×3, first 2 shown]
	s_and_saveexec_b64 s[26:27], vcc
; %bb.93:
	v_add_u32_e32 v62, v63, v64
	v_add_f64 v[58:59], v[60:61], v[58:59]
	v_cmp_eq_u32_e32 vcc, 0, v64
	v_cndmask_b32_e32 v61, v61, v59, vcc
	v_cndmask_b32_e32 v60, v60, v58, vcc
	v_mov_b32_e32 v64, v62
; %bb.94:
	s_or_b64 exec, exec, s[26:27]
	v_and_b32_e32 v63, 16, v70
	v_mov_b32_dpp v62, v64 row_bcast:15 row_mask:0xf bank_mask:0xf
	v_mov_b32_dpp v58, v60 row_bcast:15 row_mask:0xf bank_mask:0xf
	;; [unrolled: 1-line block ×3, first 2 shown]
	v_cmp_ne_u32_e32 vcc, 0, v63
	s_and_saveexec_b64 s[26:27], vcc
; %bb.95:
	v_add_u32_e32 v62, v62, v64
	v_add_f64 v[58:59], v[60:61], v[58:59]
	v_cmp_eq_u32_e32 vcc, 0, v64
	v_cndmask_b32_e32 v61, v61, v59, vcc
	v_cndmask_b32_e32 v60, v60, v58, vcc
	v_mov_b32_e32 v64, v62
; %bb.96:
	s_or_b64 exec, exec, s[26:27]
	s_nop 0
	v_mov_b32_dpp v62, v64 row_bcast:31 row_mask:0xf bank_mask:0xf
	v_mov_b32_dpp v58, v60 row_bcast:31 row_mask:0xf bank_mask:0xf
	;; [unrolled: 1-line block ×3, first 2 shown]
	v_cmp_lt_u32_e32 vcc, 31, v70
	s_and_saveexec_b64 s[26:27], vcc
; %bb.97:
	v_add_u32_e32 v62, v62, v64
	v_add_f64 v[58:59], v[60:61], v[58:59]
	v_cmp_eq_u32_e32 vcc, 0, v64
	v_cndmask_b32_e32 v61, v61, v59, vcc
	v_cndmask_b32_e32 v60, v60, v58, vcc
	v_mov_b32_e32 v64, v62
; %bb.98:
	s_or_b64 exec, exec, s[26:27]
	v_lshrrev_b32_e32 v58, 6, v0
	v_or_b32_e32 v59, 63, v0
	v_cmp_eq_u32_e32 vcc, v59, v0
	v_lshlrev_b32_e32 v65, 4, v58
	s_and_saveexec_b64 s[26:27], vcc
	s_cbranch_execz .LBB14_100
; %bb.99:
	ds_write_b32 v65, v64 offset:4128
	ds_write_b64 v65, v[60:61] offset:4136
.LBB14_100:
	s_or_b64 exec, exec, s[26:27]
	v_cmp_gt_u32_e32 vcc, 4, v0
	s_waitcnt lgkmcnt(0)
	s_barrier
	s_and_saveexec_b64 s[26:27], vcc
	s_cbranch_execz .LBB14_106
; %bb.101:
	v_lshlrev_b32_e32 v66, 4, v0
	ds_read_b32 v67, v66 offset:4128
	ds_read_b64 v[58:59], v66 offset:4136
	v_and_b32_e32 v68, 3, v70
	v_cmp_ne_u32_e32 vcc, 0, v68
	s_waitcnt lgkmcnt(1)
	v_mov_b32_dpp v69, v67 row_shr:1 row_mask:0xf bank_mask:0xf
	s_waitcnt lgkmcnt(0)
	v_mov_b32_dpp v62, v58 row_shr:1 row_mask:0xf bank_mask:0xf
	v_mov_b32_dpp v63, v59 row_shr:1 row_mask:0xf bank_mask:0xf
	s_and_saveexec_b64 s[42:43], vcc
; %bb.102:
	v_add_u32_e32 v69, v69, v67
	v_add_f64 v[62:63], v[58:59], v[62:63]
	v_cmp_eq_u32_e32 vcc, 0, v67
	v_cndmask_b32_e32 v59, v59, v63, vcc
	v_cndmask_b32_e32 v58, v58, v62, vcc
	v_mov_b32_e32 v67, v69
; %bb.103:
	s_or_b64 exec, exec, s[42:43]
	s_nop 0
	v_mov_b32_dpp v69, v67 row_shr:2 row_mask:0xf bank_mask:0xf
	v_mov_b32_dpp v62, v58 row_shr:2 row_mask:0xf bank_mask:0xf
	;; [unrolled: 1-line block ×3, first 2 shown]
	v_cmp_lt_u32_e32 vcc, 1, v68
	s_and_saveexec_b64 s[42:43], vcc
; %bb.104:
	v_add_u32_e32 v68, v69, v67
	v_add_f64 v[62:63], v[58:59], v[62:63]
	v_cmp_eq_u32_e32 vcc, 0, v67
	v_cndmask_b32_e32 v59, v59, v63, vcc
	v_cndmask_b32_e32 v58, v58, v62, vcc
	v_mov_b32_e32 v67, v68
; %bb.105:
	s_or_b64 exec, exec, s[42:43]
	ds_write_b32 v66, v67 offset:4128
	ds_write_b64 v66, v[58:59] offset:4136
.LBB14_106:
	s_or_b64 exec, exec, s[26:27]
	v_cmp_gt_u32_e32 vcc, 64, v0
	v_cmp_lt_u32_e64 s[26:27], 63, v0
	v_pk_mov_b32 v[58:59], 0, 0
	v_mov_b32_e32 v76, 0
	s_waitcnt lgkmcnt(0)
	s_barrier
	s_and_saveexec_b64 s[42:43], s[26:27]
	s_cbranch_execz .LBB14_108
; %bb.107:
	ds_read_b32 v76, v65 offset:4112
	ds_read_b64 v[58:59], v65 offset:4120
	v_cmp_eq_u32_e64 s[26:27], 0, v64
	s_waitcnt lgkmcnt(1)
	v_add_u32_e32 v65, v76, v64
	s_waitcnt lgkmcnt(0)
	v_add_f64 v[62:63], v[60:61], v[58:59]
	v_cndmask_b32_e64 v61, v61, v63, s[26:27]
	v_cndmask_b32_e64 v60, v60, v62, s[26:27]
	v_mov_b32_e32 v64, v65
.LBB14_108:
	s_or_b64 exec, exec, s[42:43]
	v_add_u32_e32 v62, -1, v70
	v_and_b32_e32 v63, 64, v70
	v_cmp_lt_i32_e64 s[26:27], v62, v63
	v_cndmask_b32_e64 v62, v62, v70, s[26:27]
	v_lshlrev_b32_e32 v62, 2, v62
	ds_bpermute_b32 v77, v62, v64
	ds_bpermute_b32 v78, v62, v60
	;; [unrolled: 1-line block ×3, first 2 shown]
	v_cmp_eq_u32_e64 s[26:27], 0, v70
	s_and_saveexec_b64 s[42:43], vcc
	s_cbranch_execz .LBB14_151
; %bb.109:
	v_mov_b32_e32 v65, 0
	ds_read_b32 v80, v65 offset:4176
	ds_read_b64 v[60:61], v65 offset:4184
	s_and_saveexec_b64 s[48:49], s[26:27]
	s_cbranch_execz .LBB14_111
; %bb.110:
	s_add_i32 s52, s6, 64
	s_mov_b32 s53, 0
	s_lshl_b64 s[54:55], s[52:53], 4
	s_add_u32 s54, s36, s54
	s_addc_u32 s55, s37, s55
	v_mov_b32_e32 v62, s52
	v_mov_b32_e32 v63, 1
	s_waitcnt lgkmcnt(1)
	global_store_dword v65, v80, s[54:55]
	s_waitcnt lgkmcnt(0)
	global_store_dwordx2 v65, v[60:61], s[54:55] offset:8
	s_waitcnt vmcnt(0)
	buffer_wbinvl1_vol
	global_store_byte v62, v63, s[40:41]
.LBB14_111:
	s_or_b64 exec, exec, s[48:49]
	v_xad_u32 v62, v70, -1, s6
	v_add_u32_e32 v64, 64, v62
	global_load_ubyte v81, v64, s[40:41] glc
	s_waitcnt vmcnt(0)
	v_cmp_eq_u16_e32 vcc, 0, v81
	s_and_saveexec_b64 s[48:49], vcc
	s_cbranch_execz .LBB14_115
; %bb.112:
	v_mov_b32_e32 v63, s41
	v_add_co_u32_e32 v66, vcc, s40, v64
	v_addc_co_u32_e32 v67, vcc, 0, v63, vcc
	s_mov_b64 s[52:53], 0
.LBB14_113:                             ; =>This Inner Loop Header: Depth=1
	global_load_ubyte v81, v[66:67], off glc
	s_waitcnt vmcnt(0)
	v_cmp_ne_u16_e32 vcc, 0, v81
	s_or_b64 s[52:53], vcc, s[52:53]
	s_andn2_b64 exec, exec, s[52:53]
	s_cbranch_execnz .LBB14_113
; %bb.114:
	s_or_b64 exec, exec, s[52:53]
.LBB14_115:
	s_or_b64 exec, exec, s[48:49]
	v_mov_b32_e32 v63, s39
	v_mov_b32_e32 v66, s37
	v_cmp_eq_u16_e32 vcc, 1, v81
	v_cndmask_b32_e32 v63, v63, v66, vcc
	v_mov_b32_e32 v66, s38
	v_mov_b32_e32 v67, s36
	v_cndmask_b32_e32 v66, v66, v67, vcc
	v_lshlrev_b64 v[64:65], 4, v[64:65]
	v_add_co_u32_e32 v64, vcc, v66, v64
	v_addc_co_u32_e32 v65, vcc, v63, v65, vcc
	s_waitcnt lgkmcnt(0)
	buffer_wbinvl1_vol
	global_load_dword v71, v[64:65], off
	global_load_dwordx2 v[68:69], v[64:65], off offset:8
	v_cmp_eq_u16_e32 vcc, 2, v81
	v_lshlrev_b64 v[64:65], v70, -1
	v_and_b32_e32 v82, 63, v70
	v_and_b32_e32 v63, vcc_hi, v65
	v_and_b32_e32 v85, vcc_lo, v64
	v_cmp_ne_u32_e32 vcc, 63, v82
	v_addc_co_u32_e32 v66, vcc, 0, v70, vcc
	v_lshlrev_b32_e32 v83, 2, v66
	v_or_b32_e32 v63, 0x80000000, v63
	v_ffbl_b32_e32 v63, v63
	v_add_u32_e32 v63, 32, v63
	v_ffbl_b32_e32 v85, v85
	v_min_u32_e32 v63, v85, v63
	v_cmp_lt_u32_e32 vcc, v82, v63
	s_waitcnt vmcnt(1)
	ds_bpermute_b32 v84, v83, v71
	s_waitcnt vmcnt(0)
	ds_bpermute_b32 v66, v83, v68
	ds_bpermute_b32 v67, v83, v69
	s_and_saveexec_b64 s[48:49], vcc
	s_cbranch_execz .LBB14_117
; %bb.116:
	s_waitcnt lgkmcnt(2)
	v_add_u32_e32 v84, v84, v71
	s_waitcnt lgkmcnt(0)
	v_add_f64 v[66:67], v[68:69], v[66:67]
	v_cmp_eq_u32_e32 vcc, 0, v71
	v_cndmask_b32_e32 v69, v69, v67, vcc
	v_cndmask_b32_e32 v68, v68, v66, vcc
	v_mov_b32_e32 v71, v84
.LBB14_117:
	s_or_b64 exec, exec, s[48:49]
	v_cmp_gt_u32_e32 vcc, 62, v82
	s_waitcnt lgkmcnt(1)
	v_cndmask_b32_e64 v66, 0, 1, vcc
	v_lshlrev_b32_e32 v66, 1, v66
	v_add_lshl_u32 v84, v66, v70, 2
	ds_bpermute_b32 v86, v84, v71
	ds_bpermute_b32 v66, v84, v68
	s_waitcnt lgkmcnt(2)
	ds_bpermute_b32 v67, v84, v69
	v_add_u32_e32 v85, 2, v82
	v_cmp_le_u32_e32 vcc, v85, v63
	s_and_saveexec_b64 s[48:49], vcc
	s_cbranch_execz .LBB14_119
; %bb.118:
	s_waitcnt lgkmcnt(2)
	v_add_u32_e32 v86, v86, v71
	s_waitcnt lgkmcnt(0)
	v_add_f64 v[66:67], v[68:69], v[66:67]
	v_cmp_eq_u32_e32 vcc, 0, v71
	v_cndmask_b32_e32 v69, v69, v67, vcc
	v_cndmask_b32_e32 v68, v68, v66, vcc
	v_mov_b32_e32 v71, v86
.LBB14_119:
	s_or_b64 exec, exec, s[48:49]
	v_cmp_gt_u32_e32 vcc, 60, v82
	s_waitcnt lgkmcnt(1)
	v_cndmask_b32_e64 v66, 0, 1, vcc
	v_lshlrev_b32_e32 v66, 2, v66
	v_add_lshl_u32 v86, v66, v70, 2
	ds_bpermute_b32 v88, v86, v71
	ds_bpermute_b32 v66, v86, v68
	s_waitcnt lgkmcnt(2)
	ds_bpermute_b32 v67, v86, v69
	v_add_u32_e32 v87, 4, v82
	v_cmp_le_u32_e32 vcc, v87, v63
	;; [unrolled: 24-line block ×5, first 2 shown]
	s_and_saveexec_b64 s[48:49], vcc
	s_cbranch_execz .LBB14_127
; %bb.126:
	s_waitcnt lgkmcnt(2)
	v_add_u32_e32 v63, v70, v71
	s_waitcnt lgkmcnt(0)
	v_add_f64 v[66:67], v[68:69], v[66:67]
	v_cmp_eq_u32_e32 vcc, 0, v71
	v_cndmask_b32_e32 v69, v69, v67, vcc
	v_cndmask_b32_e32 v68, v68, v66, vcc
	v_mov_b32_e32 v71, v63
.LBB14_127:
	s_or_b64 exec, exec, s[48:49]
	v_mov_b32_e32 v63, 0
	v_mov_b32_e32 v95, 2
	s_branch .LBB14_129
.LBB14_128:                             ;   in Loop: Header=BB14_129 Depth=1
	s_or_b64 exec, exec, s[48:49]
	v_add_f64 v[68:69], v[66:67], v[68:69]
	v_cmp_eq_u32_e32 vcc, 0, v93
	v_subrev_u32_e32 v62, 64, v62
	s_waitcnt lgkmcnt(0)
	v_add_u32_e32 v71, v96, v93
	v_cndmask_b32_e32 v69, v67, v69, vcc
	v_cndmask_b32_e32 v68, v66, v68, vcc
.LBB14_129:                             ; =>This Loop Header: Depth=1
                                        ;     Child Loop BB14_132 Depth 2
	v_cmp_ne_u16_sdwa s[48:49], v81, v95 src0_sel:BYTE_0 src1_sel:DWORD
	s_waitcnt lgkmcnt(0)
	v_pk_mov_b32 v[66:67], v[68:69], v[68:69] op_sel:[0,1]
	v_cndmask_b32_e64 v68, 0, 1, s[48:49]
	;;#ASMSTART
	;;#ASMEND
	v_cmp_ne_u32_e32 vcc, 0, v68
	s_cmp_lg_u64 vcc, exec
	v_mov_b32_e32 v93, v71
	s_cbranch_scc1 .LBB14_146
; %bb.130:                              ;   in Loop: Header=BB14_129 Depth=1
	global_load_ubyte v81, v62, s[40:41] glc
	s_waitcnt vmcnt(0)
	v_cmp_eq_u16_e32 vcc, 0, v81
	s_and_saveexec_b64 s[48:49], vcc
	s_cbranch_execz .LBB14_134
; %bb.131:                              ;   in Loop: Header=BB14_129 Depth=1
	v_mov_b32_e32 v69, s41
	v_add_co_u32_e32 v68, vcc, s40, v62
	v_addc_co_u32_e32 v69, vcc, 0, v69, vcc
	s_mov_b64 s[52:53], 0
.LBB14_132:                             ;   Parent Loop BB14_129 Depth=1
                                        ; =>  This Inner Loop Header: Depth=2
	global_load_ubyte v81, v[68:69], off glc
	s_waitcnt vmcnt(0)
	v_cmp_ne_u16_e32 vcc, 0, v81
	s_or_b64 s[52:53], vcc, s[52:53]
	s_andn2_b64 exec, exec, s[52:53]
	s_cbranch_execnz .LBB14_132
; %bb.133:                              ;   in Loop: Header=BB14_129 Depth=1
	s_or_b64 exec, exec, s[52:53]
.LBB14_134:                             ;   in Loop: Header=BB14_129 Depth=1
	s_or_b64 exec, exec, s[48:49]
	v_mov_b32_e32 v68, s39
	v_mov_b32_e32 v69, s37
	v_cmp_eq_u16_e32 vcc, 1, v81
	v_cndmask_b32_e32 v70, v68, v69, vcc
	v_mov_b32_e32 v68, s38
	v_mov_b32_e32 v69, s36
	v_cndmask_b32_e32 v71, v68, v69, vcc
	v_lshlrev_b64 v[68:69], 4, v[62:63]
	v_add_co_u32_e32 v68, vcc, v71, v68
	v_addc_co_u32_e32 v69, vcc, v70, v69, vcc
	buffer_wbinvl1_vol
	global_load_dword v96, v[68:69], off
	s_nop 0
	global_load_dwordx2 v[68:69], v[68:69], off offset:8
	v_cmp_eq_u16_e32 vcc, 2, v81
	v_and_b32_e32 v70, vcc_hi, v65
	v_or_b32_e32 v70, 0x80000000, v70
	v_ffbl_b32_e32 v117, v70
	v_and_b32_e32 v97, vcc_lo, v64
	v_add_u32_e32 v117, 32, v117
	v_ffbl_b32_e32 v97, v97
	v_min_u32_e32 v97, v97, v117
	v_cmp_lt_u32_e32 vcc, v82, v97
	s_waitcnt vmcnt(1)
	ds_bpermute_b32 v116, v83, v96
	s_waitcnt vmcnt(0)
	ds_bpermute_b32 v70, v83, v68
	ds_bpermute_b32 v71, v83, v69
	s_and_saveexec_b64 s[48:49], vcc
	s_cbranch_execz .LBB14_136
; %bb.135:                              ;   in Loop: Header=BB14_129 Depth=1
	s_waitcnt lgkmcnt(2)
	v_add_u32_e32 v116, v116, v96
	s_waitcnt lgkmcnt(0)
	v_add_f64 v[70:71], v[68:69], v[70:71]
	v_cmp_eq_u32_e32 vcc, 0, v96
	v_cndmask_b32_e32 v69, v69, v71, vcc
	v_cndmask_b32_e32 v68, v68, v70, vcc
	v_mov_b32_e32 v96, v116
.LBB14_136:                             ;   in Loop: Header=BB14_129 Depth=1
	s_or_b64 exec, exec, s[48:49]
	s_waitcnt lgkmcnt(2)
	ds_bpermute_b32 v116, v84, v96
	s_waitcnt lgkmcnt(2)
	ds_bpermute_b32 v70, v84, v68
	s_waitcnt lgkmcnt(2)
	ds_bpermute_b32 v71, v84, v69
	v_cmp_le_u32_e32 vcc, v85, v97
	s_and_saveexec_b64 s[48:49], vcc
	s_cbranch_execz .LBB14_138
; %bb.137:                              ;   in Loop: Header=BB14_129 Depth=1
	s_waitcnt lgkmcnt(2)
	v_add_u32_e32 v116, v116, v96
	s_waitcnt lgkmcnt(0)
	v_add_f64 v[70:71], v[68:69], v[70:71]
	v_cmp_eq_u32_e32 vcc, 0, v96
	v_cndmask_b32_e32 v69, v69, v71, vcc
	v_cndmask_b32_e32 v68, v68, v70, vcc
	v_mov_b32_e32 v96, v116
.LBB14_138:                             ;   in Loop: Header=BB14_129 Depth=1
	s_or_b64 exec, exec, s[48:49]
	s_waitcnt lgkmcnt(2)
	ds_bpermute_b32 v116, v86, v96
	s_waitcnt lgkmcnt(2)
	ds_bpermute_b32 v70, v86, v68
	s_waitcnt lgkmcnt(2)
	ds_bpermute_b32 v71, v86, v69
	v_cmp_le_u32_e32 vcc, v87, v97
	s_and_saveexec_b64 s[48:49], vcc
	s_cbranch_execz .LBB14_140
; %bb.139:                              ;   in Loop: Header=BB14_129 Depth=1
	s_waitcnt lgkmcnt(2)
	v_add_u32_e32 v116, v116, v96
	s_waitcnt lgkmcnt(0)
	v_add_f64 v[70:71], v[68:69], v[70:71]
	v_cmp_eq_u32_e32 vcc, 0, v96
	v_cndmask_b32_e32 v69, v69, v71, vcc
	v_cndmask_b32_e32 v68, v68, v70, vcc
	v_mov_b32_e32 v96, v116
.LBB14_140:                             ;   in Loop: Header=BB14_129 Depth=1
	s_or_b64 exec, exec, s[48:49]
	s_waitcnt lgkmcnt(2)
	ds_bpermute_b32 v116, v88, v96
	s_waitcnt lgkmcnt(2)
	ds_bpermute_b32 v70, v88, v68
	s_waitcnt lgkmcnt(2)
	ds_bpermute_b32 v71, v88, v69
	v_cmp_le_u32_e32 vcc, v89, v97
	s_and_saveexec_b64 s[48:49], vcc
	s_cbranch_execz .LBB14_142
; %bb.141:                              ;   in Loop: Header=BB14_129 Depth=1
	s_waitcnt lgkmcnt(2)
	v_add_u32_e32 v116, v116, v96
	s_waitcnt lgkmcnt(0)
	v_add_f64 v[70:71], v[68:69], v[70:71]
	v_cmp_eq_u32_e32 vcc, 0, v96
	v_cndmask_b32_e32 v69, v69, v71, vcc
	v_cndmask_b32_e32 v68, v68, v70, vcc
	v_mov_b32_e32 v96, v116
.LBB14_142:                             ;   in Loop: Header=BB14_129 Depth=1
	s_or_b64 exec, exec, s[48:49]
	s_waitcnt lgkmcnt(2)
	ds_bpermute_b32 v116, v90, v96
	s_waitcnt lgkmcnt(2)
	ds_bpermute_b32 v70, v90, v68
	s_waitcnt lgkmcnt(2)
	ds_bpermute_b32 v71, v90, v69
	v_cmp_le_u32_e32 vcc, v91, v97
	s_and_saveexec_b64 s[48:49], vcc
	s_cbranch_execz .LBB14_144
; %bb.143:                              ;   in Loop: Header=BB14_129 Depth=1
	s_waitcnt lgkmcnt(2)
	v_add_u32_e32 v116, v116, v96
	s_waitcnt lgkmcnt(0)
	v_add_f64 v[70:71], v[68:69], v[70:71]
	v_cmp_eq_u32_e32 vcc, 0, v96
	v_cndmask_b32_e32 v69, v69, v71, vcc
	v_cndmask_b32_e32 v68, v68, v70, vcc
	v_mov_b32_e32 v96, v116
.LBB14_144:                             ;   in Loop: Header=BB14_129 Depth=1
	s_or_b64 exec, exec, s[48:49]
	s_waitcnt lgkmcnt(2)
	ds_bpermute_b32 v116, v92, v96
	s_waitcnt lgkmcnt(2)
	ds_bpermute_b32 v70, v92, v68
	s_waitcnt lgkmcnt(2)
	ds_bpermute_b32 v71, v92, v69
	v_cmp_le_u32_e32 vcc, v94, v97
	s_and_saveexec_b64 s[48:49], vcc
	s_cbranch_execz .LBB14_128
; %bb.145:                              ;   in Loop: Header=BB14_129 Depth=1
	s_waitcnt lgkmcnt(2)
	v_add_u32_e32 v97, v116, v96
	s_waitcnt lgkmcnt(0)
	v_add_f64 v[70:71], v[68:69], v[70:71]
	v_cmp_eq_u32_e32 vcc, 0, v96
	v_cndmask_b32_e32 v69, v69, v71, vcc
	v_cndmask_b32_e32 v68, v68, v70, vcc
	v_mov_b32_e32 v96, v97
	s_branch .LBB14_128
.LBB14_146:                             ;   in Loop: Header=BB14_129 Depth=1
                                        ; implicit-def: $vgpr68_vgpr69
                                        ; implicit-def: $vgpr71
                                        ; implicit-def: $vgpr81
	s_cbranch_execz .LBB14_129
; %bb.147:
	s_and_saveexec_b64 s[36:37], s[26:27]
	s_cbranch_execz .LBB14_149
; %bb.148:
	s_mov_b32 s7, 0
	s_add_i32 s6, s6, 64
	s_lshl_b64 s[48:49], s[6:7], 4
	v_add_f64 v[62:63], v[60:61], v[66:67]
	v_cmp_eq_u32_e32 vcc, 0, v80
	s_add_u32 s48, s38, s48
	v_add_u32_e32 v64, v93, v80
	v_cndmask_b32_e32 v63, v61, v63, vcc
	v_cndmask_b32_e32 v62, v60, v62, vcc
	s_addc_u32 s49, s39, s49
	v_mov_b32_e32 v65, 0
	global_store_dword v65, v64, s[48:49]
	global_store_dwordx2 v65, v[62:63], s[48:49] offset:8
	v_mov_b32_e32 v62, s6
	v_mov_b32_e32 v63, 2
	s_waitcnt vmcnt(0)
	buffer_wbinvl1_vol
	global_store_byte v62, v63, s[40:41]
	ds_write_b32 v65, v80 offset:4096
	ds_write_b64 v65, v[60:61] offset:4104
	ds_write_b32 v65, v93 offset:4112
	ds_write_b64 v65, v[66:67] offset:4120
.LBB14_149:
	s_or_b64 exec, exec, s[36:37]
	v_cmp_eq_u32_e32 vcc, 0, v0
	s_and_b64 exec, exec, vcc
	s_cbranch_execz .LBB14_151
; %bb.150:
	v_mov_b32_e32 v60, 0
	ds_write_b32 v60, v93 offset:4176
	ds_write_b64 v60, v[66:67] offset:4184
.LBB14_151:
	s_or_b64 exec, exec, s[42:43]
	v_mov_b32_e32 v64, 0
	s_waitcnt lgkmcnt(0)
	s_barrier
	ds_read_b64 v[60:61], v64 offset:4184
	ds_read_b32 v65, v64 offset:4176
	v_cndmask_b32_e64 v59, v79, v59, s[26:27]
	v_cndmask_b32_e64 v58, v78, v58, s[26:27]
	;; [unrolled: 1-line block ×3, first 2 shown]
	s_waitcnt lgkmcnt(1)
	v_add_f64 v[62:63], v[58:59], v[60:61]
	v_cmp_eq_u32_e32 vcc, 0, v66
	v_cndmask_b32_e32 v58, v58, v62, vcc
	v_cndmask_b32_e32 v62, v59, v63, vcc
	v_cmp_eq_u32_e32 vcc, 0, v0
	v_cndmask_b32_e32 v97, v62, v61, vcc
	v_cndmask_b32_e32 v96, v58, v60, vcc
	v_cndmask_b32_e64 v59, v66, 0, vcc
	v_add_f64 v[60:61], v[54:55], v[96:97]
	v_cmp_eq_u32_e32 vcc, 0, v113
	v_cndmask_b32_e32 v95, v55, v61, vcc
	v_cndmask_b32_e32 v94, v54, v60, vcc
	v_add_f64 v[60:61], v[56:57], v[94:95]
	v_cndmask_b32_e64 v93, v57, v61, s[24:25]
	v_cndmask_b32_e64 v92, v56, v60, s[24:25]
	v_add_f64 v[60:61], v[50:51], v[92:93]
	v_cndmask_b32_e64 v91, v51, v61, s[22:23]
	v_cndmask_b32_e64 v90, v50, v60, s[22:23]
	v_add_f64 v[60:61], v[52:53], v[90:91]
	v_cndmask_b32_e64 v89, v53, v61, s[20:21]
	v_cndmask_b32_e64 v88, v52, v60, s[20:21]
	v_add_f64 v[60:61], v[46:47], v[88:89]
	v_cndmask_b32_e64 v87, v47, v61, s[18:19]
	v_cndmask_b32_e64 v86, v46, v60, s[18:19]
	v_add_f64 v[60:61], v[48:49], v[86:87]
	v_cndmask_b32_e64 v85, v49, v61, s[16:17]
	v_cndmask_b32_e64 v84, v48, v60, s[16:17]
	v_add_f64 v[60:61], v[42:43], v[84:85]
	v_cndmask_b32_e64 v83, v43, v61, s[14:15]
	v_cndmask_b32_e64 v82, v42, v60, s[14:15]
	v_add_f64 v[60:61], v[44:45], v[82:83]
	v_cndmask_b32_e64 v81, v45, v61, s[12:13]
	v_cndmask_b32_e64 v80, v44, v60, s[12:13]
	v_add_f64 v[60:61], v[38:39], v[80:81]
	v_cndmask_b32_e64 v79, v39, v61, s[10:11]
	v_cndmask_b32_e64 v78, v38, v60, s[10:11]
	v_add_f64 v[60:61], v[40:41], v[78:79]
	v_cndmask_b32_e64 v77, v41, v61, s[8:9]
	v_cndmask_b32_e64 v76, v40, v60, s[8:9]
	v_add_f64 v[60:61], v[34:35], v[76:77]
	v_cndmask_b32_e64 v71, v35, v61, s[28:29]
	v_cndmask_b32_e64 v70, v34, v60, s[28:29]
	v_add_f64 v[60:61], v[36:37], v[70:71]
	s_waitcnt lgkmcnt(0)
	s_barrier
	ds_read_b32 v58, v64 offset:4096
	ds_read_b64 v[116:117], v64 offset:4104
	ds_read_b32 v62, v64 offset:4112
	ds_read_b64 v[118:119], v64 offset:4120
	v_cndmask_b32_e64 v69, v37, v61, s[4:5]
	v_cndmask_b32_e64 v68, v36, v60, s[4:5]
	v_add_f64 v[60:61], v[30:31], v[68:69]
	v_cndmask_b32_e64 v67, v31, v61, s[2:3]
	v_cndmask_b32_e64 v66, v30, v60, s[2:3]
	v_add_f64 v[60:61], v[32:33], v[66:67]
	v_add_u32_e32 v59, v65, v59
	v_cndmask_b32_e64 v65, v33, v61, s[0:1]
	v_cndmask_b32_e64 v64, v32, v60, s[0:1]
	s_waitcnt lgkmcnt(0)
	v_add_f64 v[60:61], v[118:119], v[116:117]
	v_cmp_eq_u32_e32 vcc, 0, v58
	v_cndmask_b32_e32 v61, v117, v61, vcc
	v_cndmask_b32_e32 v60, v116, v60, vcc
	s_branch .LBB14_180
.LBB14_152:
                                        ; implicit-def: $vgpr58
                                        ; implicit-def: $vgpr60_vgpr61
                                        ; implicit-def: $vgpr62
                                        ; implicit-def: $vgpr96_vgpr97
                                        ; implicit-def: $vgpr94_vgpr95
                                        ; implicit-def: $vgpr92_vgpr93
                                        ; implicit-def: $vgpr90_vgpr91
                                        ; implicit-def: $vgpr88_vgpr89
                                        ; implicit-def: $vgpr86_vgpr87
                                        ; implicit-def: $vgpr84_vgpr85
                                        ; implicit-def: $vgpr82_vgpr83
                                        ; implicit-def: $vgpr80_vgpr81
                                        ; implicit-def: $vgpr78_vgpr79
                                        ; implicit-def: $vgpr76_vgpr77
                                        ; implicit-def: $vgpr70_vgpr71
                                        ; implicit-def: $vgpr68_vgpr69
                                        ; implicit-def: $vgpr66_vgpr67
                                        ; implicit-def: $vgpr64_vgpr65
                                        ; implicit-def: $vgpr59
	s_cbranch_execz .LBB14_180
; %bb.153:
	s_and_b64 s[0:1], s[30:31], exec
	s_cselect_b32 s1, 0, s47
	s_cselect_b32 s0, 0, s46
	s_cmp_eq_u64 s[0:1], 0
	v_pk_mov_b32 v[62:63], v[54:55], v[54:55] op_sel:[0,1]
	s_cbranch_scc1 .LBB14_155
; %bb.154:
	v_mov_b32_e32 v58, 0
	global_load_dwordx2 v[62:63], v58, s[0:1]
.LBB14_155:
	v_cmp_eq_u32_e32 vcc, 0, v112
	v_cndmask_b32_e32 v59, v57, v99, vcc
	v_cndmask_b32_e32 v58, v56, v98, vcc
	v_add_f64 v[58:59], v[50:51], v[58:59]
	v_cmp_eq_u32_e64 s[0:1], 0, v111
	v_cndmask_b32_e64 v59, v51, v59, s[0:1]
	v_cndmask_b32_e64 v58, v50, v58, s[0:1]
	v_add_f64 v[58:59], v[52:53], v[58:59]
	v_cmp_eq_u32_e64 s[2:3], 0, v110
	v_cndmask_b32_e64 v59, v53, v59, s[2:3]
	v_cndmask_b32_e64 v58, v52, v58, s[2:3]
	;; [unrolled: 4-line block ×10, first 2 shown]
	v_add_f64 v[58:59], v[30:31], v[58:59]
	v_cmp_eq_u32_e64 s[16:17], 0, v101
	v_add3_u32 v60, v115, v108, v107
	v_cndmask_b32_e64 v59, v31, v59, s[16:17]
	v_cndmask_b32_e64 v58, v30, v58, s[16:17]
	v_add3_u32 v60, v60, v106, v105
	v_add_f64 v[58:59], v[32:33], v[58:59]
	v_cmp_eq_u32_e64 s[20:21], 0, v100
	v_add3_u32 v60, v60, v104, v103
	v_cndmask_b32_e64 v59, v33, v59, s[20:21]
	v_cndmask_b32_e64 v58, v32, v58, s[20:21]
	v_add3_u32 v60, v60, v102, v101
	v_add_f64 v[58:59], v[72:73], v[58:59]
	v_cmp_eq_u32_e64 s[24:25], 0, v1
	v_mbcnt_hi_u32_b32 v66, -1, v114
	v_add3_u32 v67, v60, v100, v1
	v_cndmask_b32_e64 v59, v73, v59, s[24:25]
	v_cndmask_b32_e64 v58, v72, v58, s[24:25]
	v_and_b32_e32 v64, 15, v66
	v_mov_b32_dpp v65, v67 row_shr:1 row_mask:0xf bank_mask:0xf
	v_mov_b32_dpp v60, v58 row_shr:1 row_mask:0xf bank_mask:0xf
	;; [unrolled: 1-line block ×3, first 2 shown]
	v_cmp_ne_u32_e64 s[24:25], 0, v64
	s_and_saveexec_b64 s[26:27], s[24:25]
; %bb.156:
	v_add_u32_e32 v65, v65, v67
	v_add_f64 v[60:61], v[58:59], v[60:61]
	v_cmp_eq_u32_e64 s[24:25], 0, v67
	v_cndmask_b32_e64 v59, v59, v61, s[24:25]
	v_cndmask_b32_e64 v58, v58, v60, s[24:25]
	v_mov_b32_e32 v67, v65
; %bb.157:
	s_or_b64 exec, exec, s[26:27]
	s_nop 0
	v_mov_b32_dpp v65, v67 row_shr:2 row_mask:0xf bank_mask:0xf
	v_mov_b32_dpp v60, v58 row_shr:2 row_mask:0xf bank_mask:0xf
	v_mov_b32_dpp v61, v59 row_shr:2 row_mask:0xf bank_mask:0xf
	v_cmp_lt_u32_e64 s[24:25], 1, v64
	s_and_saveexec_b64 s[26:27], s[24:25]
; %bb.158:
	v_add_u32_e32 v65, v65, v67
	v_add_f64 v[60:61], v[58:59], v[60:61]
	v_cmp_eq_u32_e64 s[24:25], 0, v67
	v_cndmask_b32_e64 v59, v59, v61, s[24:25]
	v_cndmask_b32_e64 v58, v58, v60, s[24:25]
	v_mov_b32_e32 v67, v65
; %bb.159:
	s_or_b64 exec, exec, s[26:27]
	s_nop 0
	v_mov_b32_dpp v65, v67 row_shr:4 row_mask:0xf bank_mask:0xf
	v_mov_b32_dpp v60, v58 row_shr:4 row_mask:0xf bank_mask:0xf
	v_mov_b32_dpp v61, v59 row_shr:4 row_mask:0xf bank_mask:0xf
	v_cmp_lt_u32_e64 s[24:25], 3, v64
	;; [unrolled: 15-line block ×3, first 2 shown]
	s_and_saveexec_b64 s[26:27], s[24:25]
; %bb.162:
	v_add_u32_e32 v64, v65, v67
	v_add_f64 v[60:61], v[58:59], v[60:61]
	v_cmp_eq_u32_e64 s[24:25], 0, v67
	v_cndmask_b32_e64 v59, v59, v61, s[24:25]
	v_cndmask_b32_e64 v58, v58, v60, s[24:25]
	v_mov_b32_e32 v67, v64
; %bb.163:
	s_or_b64 exec, exec, s[26:27]
	v_and_b32_e32 v65, 16, v66
	v_mov_b32_dpp v64, v67 row_bcast:15 row_mask:0xf bank_mask:0xf
	v_mov_b32_dpp v60, v58 row_bcast:15 row_mask:0xf bank_mask:0xf
	;; [unrolled: 1-line block ×3, first 2 shown]
	v_cmp_ne_u32_e64 s[24:25], 0, v65
	s_and_saveexec_b64 s[26:27], s[24:25]
; %bb.164:
	v_add_u32_e32 v64, v64, v67
	v_add_f64 v[60:61], v[58:59], v[60:61]
	v_cmp_eq_u32_e64 s[24:25], 0, v67
	v_cndmask_b32_e64 v59, v59, v61, s[24:25]
	v_cndmask_b32_e64 v58, v58, v60, s[24:25]
	v_mov_b32_e32 v67, v64
; %bb.165:
	s_or_b64 exec, exec, s[26:27]
	s_nop 0
	v_mov_b32_dpp v64, v67 row_bcast:31 row_mask:0xf bank_mask:0xf
	v_mov_b32_dpp v60, v58 row_bcast:31 row_mask:0xf bank_mask:0xf
	;; [unrolled: 1-line block ×3, first 2 shown]
	v_cmp_lt_u32_e64 s[24:25], 31, v66
	s_and_saveexec_b64 s[26:27], s[24:25]
; %bb.166:
	v_add_u32_e32 v64, v64, v67
	v_add_f64 v[60:61], v[58:59], v[60:61]
	v_cmp_eq_u32_e64 s[24:25], 0, v67
	v_cndmask_b32_e64 v59, v59, v61, s[24:25]
	v_cndmask_b32_e64 v58, v58, v60, s[24:25]
	v_mov_b32_e32 v67, v64
; %bb.167:
	s_or_b64 exec, exec, s[26:27]
	v_lshrrev_b32_e32 v60, 6, v0
	v_or_b32_e32 v61, 63, v0
	v_cmp_eq_u32_e64 s[24:25], v61, v0
	v_lshlrev_b32_e32 v68, 4, v60
	s_and_saveexec_b64 s[26:27], s[24:25]
	s_cbranch_execz .LBB14_169
; %bb.168:
	ds_write_b32 v68, v67 offset:4128
	ds_write_b64 v68, v[58:59] offset:4136
.LBB14_169:
	s_or_b64 exec, exec, s[26:27]
	v_cmp_gt_u32_e64 s[24:25], 4, v0
	s_waitcnt lgkmcnt(0)
	s_barrier
	s_and_saveexec_b64 s[26:27], s[24:25]
	s_cbranch_execz .LBB14_175
; %bb.170:
	v_lshlrev_b32_e32 v69, 4, v0
	ds_read_b32 v70, v69 offset:4128
	ds_read_b64 v[60:61], v69 offset:4136
	v_and_b32_e32 v71, 3, v66
	v_cmp_ne_u32_e64 s[24:25], 0, v71
	s_waitcnt lgkmcnt(1)
	v_mov_b32_dpp v72, v70 row_shr:1 row_mask:0xf bank_mask:0xf
	s_waitcnt lgkmcnt(0)
	v_mov_b32_dpp v64, v60 row_shr:1 row_mask:0xf bank_mask:0xf
	v_mov_b32_dpp v65, v61 row_shr:1 row_mask:0xf bank_mask:0xf
	s_and_saveexec_b64 s[28:29], s[24:25]
; %bb.171:
	v_add_u32_e32 v72, v72, v70
	v_add_f64 v[64:65], v[60:61], v[64:65]
	v_cmp_eq_u32_e64 s[24:25], 0, v70
	v_cndmask_b32_e64 v61, v61, v65, s[24:25]
	v_cndmask_b32_e64 v60, v60, v64, s[24:25]
	v_mov_b32_e32 v70, v72
; %bb.172:
	s_or_b64 exec, exec, s[28:29]
	s_nop 0
	v_mov_b32_dpp v72, v70 row_shr:2 row_mask:0xf bank_mask:0xf
	v_mov_b32_dpp v64, v60 row_shr:2 row_mask:0xf bank_mask:0xf
	;; [unrolled: 1-line block ×3, first 2 shown]
	v_cmp_lt_u32_e64 s[24:25], 1, v71
	s_and_saveexec_b64 s[28:29], s[24:25]
; %bb.173:
	v_add_u32_e32 v71, v72, v70
	v_add_f64 v[64:65], v[60:61], v[64:65]
	v_cmp_eq_u32_e64 s[24:25], 0, v70
	v_cndmask_b32_e64 v61, v61, v65, s[24:25]
	v_cndmask_b32_e64 v60, v60, v64, s[24:25]
	v_mov_b32_e32 v70, v71
; %bb.174:
	s_or_b64 exec, exec, s[28:29]
	ds_write_b32 v69, v70 offset:4128
	ds_write_b64 v69, v[60:61] offset:4136
.LBB14_175:
	s_or_b64 exec, exec, s[26:27]
	v_cmp_lt_u32_e64 s[24:25], 63, v0
	v_mov_b32_e32 v64, 0
	v_mov_b32_e32 v65, 0
	s_waitcnt vmcnt(0)
	v_pk_mov_b32 v[60:61], v[62:63], v[62:63] op_sel:[0,1]
	s_waitcnt lgkmcnt(0)
	s_barrier
	s_and_saveexec_b64 s[26:27], s[24:25]
	s_cbranch_execz .LBB14_177
; %bb.176:
	ds_read_b64 v[60:61], v68 offset:4120
	ds_read_b32 v65, v68 offset:4112
	s_waitcnt lgkmcnt(1)
	v_add_f64 v[68:69], v[62:63], v[60:61]
	s_waitcnt lgkmcnt(0)
	v_cmp_eq_u32_e64 s[24:25], 0, v65
	v_cndmask_b32_e64 v61, v61, v69, s[24:25]
	v_cndmask_b32_e64 v60, v60, v68, s[24:25]
.LBB14_177:
	s_or_b64 exec, exec, s[26:27]
	v_add_f64 v[68:69], v[58:59], v[60:61]
	v_cmp_eq_u32_e64 s[24:25], 0, v67
	v_add_u32_e32 v70, v65, v67
	v_cndmask_b32_e64 v58, v58, v68, s[24:25]
	v_add_u32_e32 v67, -1, v66
	v_and_b32_e32 v68, 64, v66
	v_cndmask_b32_e64 v59, v59, v69, s[24:25]
	v_cmp_lt_i32_e64 s[24:25], v67, v68
	v_cndmask_b32_e64 v67, v67, v66, s[24:25]
	v_lshlrev_b32_e32 v67, 2, v67
	ds_bpermute_b32 v68, v67, v70
	ds_bpermute_b32 v69, v67, v59
	;; [unrolled: 1-line block ×3, first 2 shown]
	v_cmp_eq_u32_e64 s[24:25], 0, v66
	v_cmp_eq_u32_e64 s[26:27], 0, v113
	s_waitcnt lgkmcnt(2)
	v_cndmask_b32_e64 v59, v68, v65, s[24:25]
	s_waitcnt lgkmcnt(1)
	v_cndmask_b32_e64 v97, v69, v61, s[24:25]
	;; [unrolled: 2-line block ×3, first 2 shown]
	v_cmp_eq_u32_e64 s[24:25], 0, v0
	v_cndmask_b32_e64 v61, v97, v63, s[24:25]
	v_cndmask_b32_e64 v60, v96, v62, s[24:25]
	v_add_f64 v[60:61], v[54:55], v[60:61]
	v_cndmask_b32_e64 v95, v55, v61, s[26:27]
	v_cndmask_b32_e64 v94, v54, v60, s[26:27]
	v_add_f64 v[54:55], v[56:57], v[94:95]
	v_cndmask_b32_e32 v93, v57, v55, vcc
	v_cndmask_b32_e32 v92, v56, v54, vcc
	v_add_f64 v[54:55], v[50:51], v[92:93]
	v_cndmask_b32_e64 v91, v51, v55, s[0:1]
	v_cndmask_b32_e64 v90, v50, v54, s[0:1]
	v_add_f64 v[50:51], v[52:53], v[90:91]
	v_cndmask_b32_e64 v89, v53, v51, s[2:3]
	v_cndmask_b32_e64 v88, v52, v50, s[2:3]
	;; [unrolled: 3-line block ×10, first 2 shown]
	ds_read_b32 v58, v64 offset:4176
	ds_read_b64 v[36:37], v64 offset:4184
	v_add_f64 v[34:35], v[30:31], v[68:69]
	v_cndmask_b32_e64 v67, v31, v35, s[16:17]
	v_cndmask_b32_e64 v66, v30, v34, s[16:17]
	v_add_f64 v[30:31], v[32:33], v[66:67]
	v_cndmask_b32_e64 v65, v33, v31, s[20:21]
	v_cndmask_b32_e64 v64, v32, v30, s[20:21]
	s_waitcnt lgkmcnt(0)
	v_add_f64 v[30:31], v[62:63], v[36:37]
	v_cmp_eq_u32_e32 vcc, 0, v58
	v_cndmask_b32_e32 v61, v37, v31, vcc
	v_cndmask_b32_e32 v60, v36, v30, vcc
	s_and_saveexec_b64 s[0:1], s[24:25]
	s_cbranch_execz .LBB14_179
; %bb.178:
	v_mov_b32_e32 v59, 0
	v_mov_b32_e32 v30, 2
	v_pk_mov_b32 v[96:97], v[62:63], v[62:63] op_sel:[0,1]
	global_store_dword v59, v58, s[38:39] offset:1024
	global_store_dwordx2 v59, v[60:61], s[38:39] offset:1032
	s_waitcnt vmcnt(0)
	buffer_wbinvl1_vol
	global_store_byte v59, v30, s[40:41] offset:64
.LBB14_179:
	s_or_b64 exec, exec, s[0:1]
	v_mov_b32_e32 v62, 0
.LBB14_180:
	s_and_b64 s[0:1], s[30:31], exec
	s_cselect_b32 s1, 0, s51
	s_cselect_b32 s0, 0, s50
	s_cmp_eq_u64 s[0:1], 0
	v_pk_mov_b32 v[30:31], 0, 0
	s_barrier
	s_cbranch_scc1 .LBB14_182
; %bb.181:
	v_mov_b32_e32 v30, 0
	global_load_dwordx2 v[30:31], v30, s[0:1]
.LBB14_182:
	s_waitcnt vmcnt(0)
	v_lshlrev_b64 v[32:33], 3, v[30:31]
	v_mov_b32_e32 v34, s59
	v_add_co_u32_e32 v50, vcc, s58, v32
	v_mov_b32_e32 v63, 0
	v_addc_co_u32_e32 v51, vcc, v34, v33, vcc
	v_lshlrev_b64 v[34:35], 3, v[62:63]
	v_add_co_u32_e32 v50, vcc, v50, v34
	v_addc_co_u32_e32 v51, vcc, v51, v35, vcc
	v_cmp_eq_u32_e32 vcc, 0, v113
	v_cndmask_b32_e64 v52, 1, 2, vcc
	v_cmp_eq_u32_e32 vcc, 0, v112
	v_cndmask_b32_e64 v53, 1, 2, vcc
	v_cmp_eq_u32_e32 vcc, 0, v111
	v_and_b32_e32 v52, v53, v52
	v_cndmask_b32_e64 v53, 1, 2, vcc
	v_cmp_eq_u32_e32 vcc, 0, v110
	v_add_u32_e32 v49, v59, v113
	v_and_b32_e32 v52, v52, v53
	v_cndmask_b32_e64 v53, 1, 2, vcc
	v_cmp_eq_u32_e32 vcc, 0, v109
	v_add_u32_e32 v48, v49, v112
	;; [unrolled: 4-line block ×12, first 2 shown]
	v_and_b32_e32 v52, v52, v53
	v_cndmask_b32_e64 v53, 1, 2, vcc
	s_movk_i32 s30, 0x100
	v_add_u32_e32 v37, v38, v101
	v_and_b32_e32 v52, v52, v53
	v_cmp_gt_u32_e32 vcc, s30, v58
	v_add_u32_e32 v36, v37, v100
	v_cmp_ne_u32_e64 s[28:29], 0, v113
	v_cmp_ne_u32_e64 s[26:27], 0, v112
	;; [unrolled: 1-line block ×15, first 2 shown]
	s_mov_b64 s[36:37], -1
	v_cmp_gt_i16_e64 s[30:31], 2, v52
	s_cbranch_vccz .LBB14_189
; %bb.183:
	s_and_saveexec_b64 s[36:37], s[30:31]
	s_cbranch_execz .LBB14_188
; %bb.184:
	v_cmp_ne_u16_e32 vcc, 1, v52
	s_mov_b64 s[38:39], 0
	s_and_saveexec_b64 s[30:31], vcc
	s_xor_b64 s[30:31], exec, s[30:31]
	s_cbranch_execnz .LBB14_221
; %bb.185:
	s_andn2_saveexec_b64 s[30:31], s[30:31]
	s_cbranch_execnz .LBB14_237
.LBB14_186:
	s_or_b64 exec, exec, s[30:31]
	s_and_b64 exec, exec, s[38:39]
	s_cbranch_execz .LBB14_188
.LBB14_187:
	v_sub_u32_e32 v54, v36, v62
	v_mov_b32_e32 v55, 0
	v_lshlrev_b64 v[54:55], 3, v[54:55]
	v_add_co_u32_e32 v54, vcc, v50, v54
	v_addc_co_u32_e32 v55, vcc, v51, v55, vcc
	global_store_dwordx2 v[54:55], v[74:75], off
.LBB14_188:
	s_or_b64 exec, exec, s[36:37]
	s_mov_b64 s[36:37], 0
.LBB14_189:
	s_and_b64 vcc, exec, s[36:37]
	s_cbranch_vccz .LBB14_199
; %bb.190:
	v_cmp_gt_i16_e32 vcc, 2, v52
	s_and_saveexec_b64 s[30:31], vcc
	s_cbranch_execz .LBB14_195
; %bb.191:
	v_cmp_ne_u16_e32 vcc, 1, v52
	s_mov_b64 s[38:39], 0
	s_and_saveexec_b64 s[36:37], vcc
	s_xor_b64 s[36:37], exec, s[36:37]
	s_cbranch_execnz .LBB14_238
; %bb.192:
	s_andn2_saveexec_b64 s[0:1], s[36:37]
	s_cbranch_execnz .LBB14_254
.LBB14_193:
	s_or_b64 exec, exec, s[0:1]
	s_and_b64 exec, exec, s[38:39]
	s_cbranch_execz .LBB14_195
.LBB14_194:
	v_sub_u32_e32 v2, v36, v62
	v_lshlrev_b32_e32 v2, 3, v2
	ds_write_b64 v2, v[74:75]
.LBB14_195:
	s_or_b64 exec, exec, s[30:31]
	v_cmp_lt_u32_e32 vcc, v0, v58
	s_waitcnt lgkmcnt(0)
	s_barrier
	s_and_saveexec_b64 s[0:1], vcc
	s_cbranch_execz .LBB14_198
; %bb.196:
	v_lshlrev_b32_e32 v4, 3, v0
	s_mov_b64 s[2:3], 0
	v_mov_b32_e32 v3, 0
	v_mov_b32_e32 v2, v0
.LBB14_197:                             ; =>This Inner Loop Header: Depth=1
	v_lshlrev_b64 v[6:7], 3, v[2:3]
	ds_read_b64 v[8:9], v4
	v_add_co_u32_e32 v6, vcc, v50, v6
	v_add_u32_e32 v2, 0x100, v2
	v_addc_co_u32_e32 v7, vcc, v51, v7, vcc
	v_cmp_ge_u32_e32 vcc, v2, v58
	v_add_u32_e32 v4, 0x800, v4
	s_or_b64 s[2:3], vcc, s[2:3]
	s_waitcnt lgkmcnt(0)
	global_store_dwordx2 v[6:7], v[8:9], off
	s_andn2_b64 exec, exec, s[2:3]
	s_cbranch_execnz .LBB14_197
.LBB14_198:
	s_or_b64 exec, exec, s[0:1]
.LBB14_199:
	s_cmpk_lg_i32 s33, 0xf00
	s_cselect_b64 s[0:1], -1, 0
	v_cndmask_b32_e64 v2, 0, 1, s[44:45]
	s_and_b64 s[0:1], s[34:35], s[0:1]
	v_cmp_eq_u32_e32 vcc, 0, v0
	v_sub_u32_e32 v3, v58, v2
	v_cndmask_b32_e64 v4, 0, 1, s[0:1]
	s_and_b64 s[0:1], vcc, s[44:45]
	v_add_u32_e32 v4, v3, v4
	v_cndmask_b32_e64 v3, v113, 0, s[0:1]
	s_mul_hi_u32 s0, s33, 0x88888889
	s_lshr_b32 s0, s0, 3
	v_mad_i32_i24 v5, v0, -15, s33
	v_cmp_eq_u32_e32 vcc, s0, v0
	v_cmp_ne_u32_e64 s[0:1], 0, v5
	v_cndmask_b32_e64 v6, 1, v3, s[0:1]
	v_cmp_ne_u32_e64 s[0:1], 1, v5
	v_cndmask_b32_e64 v7, 1, v112, s[0:1]
	v_cmp_ne_u32_e64 s[0:1], 2, v5
	v_cndmask_b32_e64 v8, 1, v111, s[0:1]
	v_cmp_ne_u32_e64 s[0:1], 3, v5
	v_cndmask_b32_e64 v9, 1, v110, s[0:1]
	v_cmp_ne_u32_e64 s[0:1], 4, v5
	v_cndmask_b32_e64 v10, 1, v109, s[0:1]
	v_cmp_ne_u32_e64 s[0:1], 5, v5
	v_cndmask_b32_e64 v11, 1, v108, s[0:1]
	v_cmp_ne_u32_e64 s[0:1], 6, v5
	v_cndmask_b32_e64 v12, 1, v107, s[0:1]
	v_cmp_ne_u32_e64 s[0:1], 7, v5
	v_cndmask_b32_e64 v13, 1, v106, s[0:1]
	v_cmp_ne_u32_e64 s[0:1], 8, v5
	v_cndmask_b32_e64 v14, 1, v105, s[0:1]
	v_cmp_ne_u32_e64 s[0:1], 9, v5
	v_cndmask_b32_e64 v15, 1, v104, s[0:1]
	v_cmp_ne_u32_e64 s[0:1], 10, v5
	v_cndmask_b32_e64 v16, 1, v103, s[0:1]
	v_cmp_ne_u32_e64 s[0:1], 11, v5
	v_cndmask_b32_e64 v17, 1, v102, s[0:1]
	v_cmp_ne_u32_e64 s[0:1], 12, v5
	v_cndmask_b32_e64 v18, 1, v101, s[0:1]
	v_cmp_ne_u32_e64 s[0:1], 13, v5
	v_cndmask_b32_e64 v19, 1, v100, s[0:1]
	v_cmp_ne_u32_e64 s[0:1], 14, v5
	v_cndmask_b32_e64 v5, 1, v1, s[0:1]
	s_and_b64 vcc, s[34:35], vcc
	v_cndmask_b32_e32 v20, v1, v5, vcc
	v_cndmask_b32_e32 v19, v100, v19, vcc
	;; [unrolled: 1-line block ×15, first 2 shown]
	v_mov_b32_e32 v1, s61
	v_add_co_u32_e32 v5, vcc, s60, v32
	v_addc_co_u32_e32 v6, vcc, v1, v33, vcc
	v_add_co_u32_e32 v1, vcc, v5, v34
	v_addc_co_u32_e32 v5, vcc, v6, v35, vcc
	v_lshlrev_b32_e32 v6, 3, v2
	v_add_co_u32_e32 v6, vcc, v6, v1
	v_addc_co_u32_e32 v7, vcc, 0, v5, vcc
	v_add_co_u32_e32 v6, vcc, -8, v6
	v_addc_co_u32_e32 v7, vcc, -1, v7, vcc
	v_cmp_eq_u32_e32 vcc, 0, v3
	v_cmp_ne_u32_e64 s[28:29], 0, v3
	v_cndmask_b32_e64 v3, 1, 2, vcc
	v_cmp_eq_u32_e32 vcc, 0, v21
	v_cmp_ne_u32_e64 s[26:27], 0, v21
	v_cndmask_b32_e64 v21, 1, 2, vcc
	v_cmp_eq_u32_e32 vcc, 0, v8
	v_and_b32_e32 v3, v21, v3
	v_cmp_ne_u32_e64 s[24:25], 0, v8
	v_cndmask_b32_e64 v8, 1, 2, vcc
	v_cmp_eq_u32_e32 vcc, 0, v9
	v_and_b32_e32 v3, v3, v8
	v_cndmask_b32_e64 v8, 1, 2, vcc
	v_cmp_eq_u32_e32 vcc, 0, v10
	v_and_b32_e32 v3, v3, v8
	;; [unrolled: 3-line block ×12, first 2 shown]
	v_cndmask_b32_e64 v8, 1, 2, vcc
	s_movk_i32 s30, 0x100
	v_and_b32_e32 v3, v3, v8
	v_cmp_gt_u32_e32 vcc, s30, v4
	v_add_u32_e32 v2, v62, v2
	v_cmp_ne_u32_e64 s[22:23], 0, v9
	v_cmp_ne_u32_e64 s[20:21], 0, v10
	;; [unrolled: 1-line block ×12, first 2 shown]
	s_mov_b64 s[36:37], -1
	v_cmp_gt_i16_e64 s[30:31], 2, v3
	s_barrier
	s_cbranch_vccz .LBB14_206
; %bb.200:
	s_and_saveexec_b64 s[36:37], s[30:31]
	s_cbranch_execz .LBB14_205
; %bb.201:
	v_cmp_ne_u16_e32 vcc, 1, v3
	s_mov_b64 s[38:39], 0
	s_and_saveexec_b64 s[30:31], vcc
	s_xor_b64 s[30:31], exec, s[30:31]
	s_cbranch_execnz .LBB14_255
; %bb.202:
	s_andn2_saveexec_b64 s[30:31], s[30:31]
	s_cbranch_execnz .LBB14_271
.LBB14_203:
	s_or_b64 exec, exec, s[30:31]
	s_and_b64 exec, exec, s[38:39]
	s_cbranch_execz .LBB14_205
.LBB14_204:
	v_sub_u32_e32 v8, v36, v2
	v_mov_b32_e32 v9, 0
	v_lshlrev_b64 v[8:9], 3, v[8:9]
	v_add_co_u32_e32 v8, vcc, v6, v8
	v_addc_co_u32_e32 v9, vcc, v7, v9, vcc
	global_store_dwordx2 v[8:9], v[64:65], off
.LBB14_205:
	s_or_b64 exec, exec, s[36:37]
	s_mov_b64 s[36:37], 0
.LBB14_206:
	s_and_b64 vcc, exec, s[36:37]
	s_cbranch_vccz .LBB14_216
; %bb.207:
	v_cmp_gt_i16_e32 vcc, 2, v3
	s_and_saveexec_b64 s[30:31], vcc
	s_cbranch_execz .LBB14_212
; %bb.208:
	v_cmp_ne_u16_e32 vcc, 1, v3
	s_mov_b64 s[38:39], 0
	s_and_saveexec_b64 s[36:37], vcc
	s_xor_b64 s[36:37], exec, s[36:37]
	s_cbranch_execnz .LBB14_272
; %bb.209:
	s_andn2_saveexec_b64 s[0:1], s[36:37]
	s_cbranch_execnz .LBB14_288
.LBB14_210:
	s_or_b64 exec, exec, s[0:1]
	s_and_b64 exec, exec, s[38:39]
	s_cbranch_execz .LBB14_212
.LBB14_211:
	v_sub_u32_e32 v2, v36, v2
	v_lshlrev_b32_e32 v2, 3, v2
	ds_write_b64 v2, v[64:65]
.LBB14_212:
	s_or_b64 exec, exec, s[30:31]
	v_cmp_lt_u32_e32 vcc, v0, v4
	s_waitcnt lgkmcnt(0)
	s_barrier
	s_and_saveexec_b64 s[0:1], vcc
	s_cbranch_execz .LBB14_215
; %bb.213:
	v_lshlrev_b32_e32 v8, 3, v0
	s_mov_b64 s[2:3], 0
	v_mov_b32_e32 v3, 0
	v_mov_b32_e32 v2, v0
.LBB14_214:                             ; =>This Inner Loop Header: Depth=1
	v_lshlrev_b64 v[10:11], 3, v[2:3]
	ds_read_b64 v[12:13], v8
	v_add_co_u32_e32 v10, vcc, v6, v10
	v_add_u32_e32 v2, 0x100, v2
	v_addc_co_u32_e32 v11, vcc, v7, v11, vcc
	v_cmp_ge_u32_e32 vcc, v2, v4
	v_add_u32_e32 v8, 0x800, v8
	s_or_b64 s[2:3], vcc, s[2:3]
	s_waitcnt lgkmcnt(0)
	global_store_dwordx2 v[10:11], v[12:13], off
	s_andn2_b64 exec, exec, s[2:3]
	s_cbranch_execnz .LBB14_214
.LBB14_215:
	s_or_b64 exec, exec, s[0:1]
.LBB14_216:
	s_movk_i32 s0, 0xff
	v_cmp_eq_u32_e32 vcc, s0, v0
	s_and_b64 s[0:1], vcc, s[34:35]
	s_and_saveexec_b64 s[2:3], s[0:1]
	s_cbranch_execz .LBB14_219
; %bb.217:
	v_add_co_u32_e32 v0, vcc, v58, v62
	v_addc_co_u32_e64 v3, s[0:1], 0, 0, vcc
	v_add_co_u32_e32 v2, vcc, v0, v30
	v_mov_b32_e32 v59, 0
	v_addc_co_u32_e32 v3, vcc, v3, v31, vcc
	s_cmpk_lg_i32 s33, 0xf00
	global_store_dwordx2 v59, v[2:3], s[62:63]
	s_cbranch_scc1 .LBB14_219
; %bb.218:
	v_lshlrev_b64 v[2:3], 3, v[58:59]
	v_add_co_u32_e32 v0, vcc, v1, v2
	v_addc_co_u32_e32 v1, vcc, v5, v3, vcc
	global_store_dwordx2 v[0:1], v[60:61], off offset:-8
.LBB14_219:
	s_endpgm
.LBB14_220:
	s_or_b64 exec, exec, s[2:3]
	v_mov_b32_e32 v113, s4
	s_and_saveexec_b64 s[2:3], s[56:57]
	s_cbranch_execnz .LBB14_84
	s_branch .LBB14_85
.LBB14_221:
	s_and_saveexec_b64 s[38:39], s[28:29]
	s_cbranch_execnz .LBB14_289
; %bb.222:
	s_or_b64 exec, exec, s[38:39]
	s_and_saveexec_b64 s[38:39], s[26:27]
	s_cbranch_execnz .LBB14_290
.LBB14_223:
	s_or_b64 exec, exec, s[38:39]
	s_and_saveexec_b64 s[38:39], s[24:25]
	s_cbranch_execnz .LBB14_291
.LBB14_224:
	s_or_b64 exec, exec, s[38:39]
	s_and_saveexec_b64 s[38:39], s[22:23]
	s_cbranch_execnz .LBB14_292
.LBB14_225:
	s_or_b64 exec, exec, s[38:39]
	s_and_saveexec_b64 s[38:39], s[20:21]
	s_cbranch_execnz .LBB14_293
.LBB14_226:
	s_or_b64 exec, exec, s[38:39]
	s_and_saveexec_b64 s[38:39], s[18:19]
	s_cbranch_execnz .LBB14_294
.LBB14_227:
	s_or_b64 exec, exec, s[38:39]
	s_and_saveexec_b64 s[38:39], s[16:17]
	s_cbranch_execnz .LBB14_295
.LBB14_228:
	s_or_b64 exec, exec, s[38:39]
	s_and_saveexec_b64 s[38:39], s[14:15]
	s_cbranch_execnz .LBB14_296
.LBB14_229:
	s_or_b64 exec, exec, s[38:39]
	s_and_saveexec_b64 s[38:39], s[12:13]
	s_cbranch_execnz .LBB14_297
.LBB14_230:
	s_or_b64 exec, exec, s[38:39]
	s_and_saveexec_b64 s[38:39], s[10:11]
	s_cbranch_execnz .LBB14_298
.LBB14_231:
	s_or_b64 exec, exec, s[38:39]
	s_and_saveexec_b64 s[38:39], s[8:9]
	s_cbranch_execnz .LBB14_299
.LBB14_232:
	s_or_b64 exec, exec, s[38:39]
	s_and_saveexec_b64 s[38:39], s[6:7]
	s_cbranch_execnz .LBB14_300
.LBB14_233:
	s_or_b64 exec, exec, s[38:39]
	s_and_saveexec_b64 s[38:39], s[4:5]
	s_cbranch_execnz .LBB14_301
.LBB14_234:
	s_or_b64 exec, exec, s[38:39]
	s_and_saveexec_b64 s[38:39], s[2:3]
	s_cbranch_execz .LBB14_236
.LBB14_235:
	v_sub_u32_e32 v54, v37, v62
	v_mov_b32_e32 v55, 0
	v_lshlrev_b64 v[54:55], 3, v[54:55]
	v_add_co_u32_e32 v54, vcc, v50, v54
	v_addc_co_u32_e32 v55, vcc, v51, v55, vcc
	global_store_dwordx2 v[54:55], v[4:5], off
.LBB14_236:
	s_or_b64 exec, exec, s[38:39]
	s_and_b64 s[38:39], s[0:1], exec
	s_andn2_saveexec_b64 s[30:31], s[30:31]
	s_cbranch_execz .LBB14_186
.LBB14_237:
	v_sub_u32_e32 v54, v59, v62
	v_mov_b32_e32 v55, 0
	v_lshlrev_b64 v[56:57], 3, v[54:55]
	v_add_co_u32_e32 v56, vcc, v50, v56
	v_addc_co_u32_e32 v57, vcc, v51, v57, vcc
	v_sub_u32_e32 v54, v49, v62
	global_store_dwordx2 v[56:57], v[26:27], off
	v_lshlrev_b64 v[56:57], 3, v[54:55]
	v_add_co_u32_e32 v56, vcc, v50, v56
	v_addc_co_u32_e32 v57, vcc, v51, v57, vcc
	v_sub_u32_e32 v54, v48, v62
	global_store_dwordx2 v[56:57], v[28:29], off
	;; [unrolled: 5-line block ×12, first 2 shown]
	v_lshlrev_b64 v[56:57], 3, v[54:55]
	v_add_co_u32_e32 v56, vcc, v50, v56
	v_sub_u32_e32 v54, v37, v62
	v_addc_co_u32_e32 v57, vcc, v51, v57, vcc
	v_lshlrev_b64 v[54:55], 3, v[54:55]
	v_add_co_u32_e32 v54, vcc, v50, v54
	v_addc_co_u32_e32 v55, vcc, v51, v55, vcc
	s_or_b64 s[38:39], s[38:39], exec
	global_store_dwordx2 v[56:57], v[2:3], off
	global_store_dwordx2 v[54:55], v[4:5], off
	s_or_b64 exec, exec, s[30:31]
	s_and_b64 exec, exec, s[38:39]
	s_cbranch_execnz .LBB14_187
	s_branch .LBB14_188
.LBB14_238:
	s_and_saveexec_b64 s[38:39], s[28:29]
	s_cbranch_execnz .LBB14_302
; %bb.239:
	s_or_b64 exec, exec, s[38:39]
	s_and_saveexec_b64 s[28:29], s[26:27]
	s_cbranch_execnz .LBB14_303
.LBB14_240:
	s_or_b64 exec, exec, s[28:29]
	s_and_saveexec_b64 s[26:27], s[24:25]
	s_cbranch_execnz .LBB14_304
.LBB14_241:
	s_or_b64 exec, exec, s[26:27]
	s_and_saveexec_b64 s[24:25], s[22:23]
	s_cbranch_execnz .LBB14_305
.LBB14_242:
	s_or_b64 exec, exec, s[24:25]
	s_and_saveexec_b64 s[22:23], s[20:21]
	s_cbranch_execnz .LBB14_306
.LBB14_243:
	s_or_b64 exec, exec, s[22:23]
	s_and_saveexec_b64 s[20:21], s[18:19]
	s_cbranch_execnz .LBB14_307
.LBB14_244:
	s_or_b64 exec, exec, s[20:21]
	s_and_saveexec_b64 s[18:19], s[16:17]
	s_cbranch_execnz .LBB14_308
.LBB14_245:
	s_or_b64 exec, exec, s[18:19]
	s_and_saveexec_b64 s[16:17], s[14:15]
	s_cbranch_execnz .LBB14_309
.LBB14_246:
	s_or_b64 exec, exec, s[16:17]
	s_and_saveexec_b64 s[14:15], s[12:13]
	s_cbranch_execnz .LBB14_310
.LBB14_247:
	s_or_b64 exec, exec, s[14:15]
	s_and_saveexec_b64 s[12:13], s[10:11]
	s_cbranch_execnz .LBB14_311
.LBB14_248:
	s_or_b64 exec, exec, s[12:13]
	s_and_saveexec_b64 s[10:11], s[8:9]
	s_cbranch_execnz .LBB14_312
.LBB14_249:
	s_or_b64 exec, exec, s[10:11]
	s_and_saveexec_b64 s[8:9], s[6:7]
	s_cbranch_execnz .LBB14_313
.LBB14_250:
	s_or_b64 exec, exec, s[8:9]
	s_and_saveexec_b64 s[6:7], s[4:5]
	s_cbranch_execnz .LBB14_314
.LBB14_251:
	s_or_b64 exec, exec, s[6:7]
	s_and_saveexec_b64 s[4:5], s[2:3]
	s_cbranch_execz .LBB14_253
.LBB14_252:
	v_sub_u32_e32 v2, v37, v62
	v_lshlrev_b32_e32 v2, 3, v2
	ds_write_b64 v2, v[4:5]
.LBB14_253:
	s_or_b64 exec, exec, s[4:5]
	s_and_b64 s[38:39], s[0:1], exec
                                        ; implicit-def: $vgpr2_vgpr3
                                        ; implicit-def: $vgpr6_vgpr7
                                        ; implicit-def: $vgpr10_vgpr11
                                        ; implicit-def: $vgpr14_vgpr15
                                        ; implicit-def: $vgpr18_vgpr19
                                        ; implicit-def: $vgpr22_vgpr23
                                        ; implicit-def: $vgpr26_vgpr27
	s_andn2_saveexec_b64 s[0:1], s[36:37]
	s_cbranch_execz .LBB14_193
.LBB14_254:
	v_sub_u32_e32 v52, v59, v62
	v_lshlrev_b32_e32 v52, 3, v52
	ds_write_b64 v52, v[26:27]
	v_sub_u32_e32 v26, v49, v62
	v_lshlrev_b32_e32 v26, 3, v26
	ds_write_b64 v26, v[28:29]
	;; [unrolled: 3-line block ×13, first 2 shown]
	v_sub_u32_e32 v2, v37, v62
	v_lshlrev_b32_e32 v2, 3, v2
	s_or_b64 s[38:39], s[38:39], exec
	ds_write_b64 v2, v[4:5]
	s_or_b64 exec, exec, s[0:1]
	s_and_b64 exec, exec, s[38:39]
	s_cbranch_execnz .LBB14_194
	s_branch .LBB14_195
.LBB14_255:
	s_and_saveexec_b64 s[38:39], s[28:29]
	s_cbranch_execnz .LBB14_315
; %bb.256:
	s_or_b64 exec, exec, s[38:39]
	s_and_saveexec_b64 s[38:39], s[26:27]
	s_cbranch_execnz .LBB14_316
.LBB14_257:
	s_or_b64 exec, exec, s[38:39]
	s_and_saveexec_b64 s[38:39], s[24:25]
	s_cbranch_execnz .LBB14_317
.LBB14_258:
	s_or_b64 exec, exec, s[38:39]
	s_and_saveexec_b64 s[38:39], s[22:23]
	s_cbranch_execnz .LBB14_318
.LBB14_259:
	s_or_b64 exec, exec, s[38:39]
	s_and_saveexec_b64 s[38:39], s[20:21]
	s_cbranch_execnz .LBB14_319
.LBB14_260:
	s_or_b64 exec, exec, s[38:39]
	s_and_saveexec_b64 s[38:39], s[18:19]
	s_cbranch_execnz .LBB14_320
.LBB14_261:
	s_or_b64 exec, exec, s[38:39]
	s_and_saveexec_b64 s[38:39], s[16:17]
	s_cbranch_execnz .LBB14_321
.LBB14_262:
	s_or_b64 exec, exec, s[38:39]
	s_and_saveexec_b64 s[38:39], s[14:15]
	s_cbranch_execnz .LBB14_322
.LBB14_263:
	s_or_b64 exec, exec, s[38:39]
	s_and_saveexec_b64 s[38:39], s[12:13]
	s_cbranch_execnz .LBB14_323
.LBB14_264:
	s_or_b64 exec, exec, s[38:39]
	s_and_saveexec_b64 s[38:39], s[10:11]
	s_cbranch_execnz .LBB14_324
.LBB14_265:
	s_or_b64 exec, exec, s[38:39]
	s_and_saveexec_b64 s[38:39], s[8:9]
	s_cbranch_execnz .LBB14_325
.LBB14_266:
	s_or_b64 exec, exec, s[38:39]
	s_and_saveexec_b64 s[38:39], s[6:7]
	s_cbranch_execnz .LBB14_326
.LBB14_267:
	s_or_b64 exec, exec, s[38:39]
	s_and_saveexec_b64 s[38:39], s[4:5]
	s_cbranch_execnz .LBB14_327
.LBB14_268:
	s_or_b64 exec, exec, s[38:39]
	s_and_saveexec_b64 s[38:39], s[2:3]
	s_cbranch_execz .LBB14_270
.LBB14_269:
	v_sub_u32_e32 v8, v37, v2
	v_mov_b32_e32 v9, 0
	v_lshlrev_b64 v[8:9], 3, v[8:9]
	v_add_co_u32_e32 v8, vcc, v6, v8
	v_addc_co_u32_e32 v9, vcc, v7, v9, vcc
	global_store_dwordx2 v[8:9], v[66:67], off
.LBB14_270:
	s_or_b64 exec, exec, s[38:39]
	s_and_b64 s[38:39], s[0:1], exec
	s_andn2_saveexec_b64 s[30:31], s[30:31]
	s_cbranch_execz .LBB14_203
.LBB14_271:
	v_sub_u32_e32 v8, v59, v2
	v_mov_b32_e32 v9, 0
	v_lshlrev_b64 v[10:11], 3, v[8:9]
	v_add_co_u32_e32 v10, vcc, v6, v10
	v_addc_co_u32_e32 v11, vcc, v7, v11, vcc
	v_sub_u32_e32 v8, v49, v2
	global_store_dwordx2 v[10:11], v[96:97], off
	v_lshlrev_b64 v[10:11], 3, v[8:9]
	v_add_co_u32_e32 v10, vcc, v6, v10
	v_addc_co_u32_e32 v11, vcc, v7, v11, vcc
	v_sub_u32_e32 v8, v48, v2
	global_store_dwordx2 v[10:11], v[94:95], off
	;; [unrolled: 5-line block ×12, first 2 shown]
	v_lshlrev_b64 v[10:11], 3, v[8:9]
	v_add_co_u32_e32 v10, vcc, v6, v10
	v_sub_u32_e32 v8, v37, v2
	v_addc_co_u32_e32 v11, vcc, v7, v11, vcc
	v_lshlrev_b64 v[8:9], 3, v[8:9]
	v_add_co_u32_e32 v8, vcc, v6, v8
	v_addc_co_u32_e32 v9, vcc, v7, v9, vcc
	s_or_b64 s[38:39], s[38:39], exec
	global_store_dwordx2 v[10:11], v[68:69], off
	global_store_dwordx2 v[8:9], v[66:67], off
	s_or_b64 exec, exec, s[30:31]
	s_and_b64 exec, exec, s[38:39]
	s_cbranch_execnz .LBB14_204
	s_branch .LBB14_205
.LBB14_272:
	s_and_saveexec_b64 s[38:39], s[28:29]
	s_cbranch_execnz .LBB14_328
; %bb.273:
	s_or_b64 exec, exec, s[38:39]
	s_and_saveexec_b64 s[28:29], s[26:27]
	s_cbranch_execnz .LBB14_329
.LBB14_274:
	s_or_b64 exec, exec, s[28:29]
	s_and_saveexec_b64 s[26:27], s[24:25]
	s_cbranch_execnz .LBB14_330
.LBB14_275:
	s_or_b64 exec, exec, s[26:27]
	s_and_saveexec_b64 s[24:25], s[22:23]
	s_cbranch_execnz .LBB14_331
.LBB14_276:
	s_or_b64 exec, exec, s[24:25]
	s_and_saveexec_b64 s[22:23], s[20:21]
	s_cbranch_execnz .LBB14_332
.LBB14_277:
	s_or_b64 exec, exec, s[22:23]
	s_and_saveexec_b64 s[20:21], s[18:19]
	s_cbranch_execnz .LBB14_333
.LBB14_278:
	s_or_b64 exec, exec, s[20:21]
	s_and_saveexec_b64 s[18:19], s[16:17]
	s_cbranch_execnz .LBB14_334
.LBB14_279:
	s_or_b64 exec, exec, s[18:19]
	s_and_saveexec_b64 s[16:17], s[14:15]
	s_cbranch_execnz .LBB14_335
.LBB14_280:
	s_or_b64 exec, exec, s[16:17]
	s_and_saveexec_b64 s[14:15], s[12:13]
	s_cbranch_execnz .LBB14_336
.LBB14_281:
	s_or_b64 exec, exec, s[14:15]
	s_and_saveexec_b64 s[12:13], s[10:11]
	s_cbranch_execnz .LBB14_337
.LBB14_282:
	s_or_b64 exec, exec, s[12:13]
	s_and_saveexec_b64 s[10:11], s[8:9]
	s_cbranch_execnz .LBB14_338
.LBB14_283:
	s_or_b64 exec, exec, s[10:11]
	s_and_saveexec_b64 s[8:9], s[6:7]
	s_cbranch_execnz .LBB14_339
.LBB14_284:
	s_or_b64 exec, exec, s[8:9]
	s_and_saveexec_b64 s[6:7], s[4:5]
	s_cbranch_execnz .LBB14_340
.LBB14_285:
	s_or_b64 exec, exec, s[6:7]
	s_and_saveexec_b64 s[4:5], s[2:3]
	s_cbranch_execz .LBB14_287
.LBB14_286:
	v_sub_u32_e32 v3, v37, v2
	v_lshlrev_b32_e32 v3, 3, v3
	ds_write_b64 v3, v[66:67]
.LBB14_287:
	s_or_b64 exec, exec, s[4:5]
	s_and_b64 s[38:39], s[0:1], exec
                                        ; implicit-def: $vgpr96_vgpr97
                                        ; implicit-def: $vgpr94_vgpr95
                                        ; implicit-def: $vgpr92_vgpr93
                                        ; implicit-def: $vgpr90_vgpr91
                                        ; implicit-def: $vgpr88_vgpr89
                                        ; implicit-def: $vgpr86_vgpr87
                                        ; implicit-def: $vgpr84_vgpr85
                                        ; implicit-def: $vgpr82_vgpr83
                                        ; implicit-def: $vgpr80_vgpr81
                                        ; implicit-def: $vgpr78_vgpr79
                                        ; implicit-def: $vgpr76_vgpr77
                                        ; implicit-def: $vgpr70_vgpr71
                                        ; implicit-def: $vgpr68_vgpr69
                                        ; implicit-def: $vgpr66_vgpr67
                                        ; implicit-def: $vgpr59
                                        ; implicit-def: $vgpr49
                                        ; implicit-def: $vgpr48
                                        ; implicit-def: $vgpr47
                                        ; implicit-def: $vgpr46
                                        ; implicit-def: $vgpr45
                                        ; implicit-def: $vgpr44
                                        ; implicit-def: $vgpr43
                                        ; implicit-def: $vgpr42
                                        ; implicit-def: $vgpr41
                                        ; implicit-def: $vgpr40
                                        ; implicit-def: $vgpr39
                                        ; implicit-def: $vgpr38
                                        ; implicit-def: $vgpr37
	s_andn2_saveexec_b64 s[0:1], s[36:37]
	s_cbranch_execz .LBB14_210
.LBB14_288:
	v_sub_u32_e32 v3, v59, v2
	v_lshlrev_b32_e32 v3, 3, v3
	ds_write_b64 v3, v[96:97]
	v_sub_u32_e32 v3, v49, v2
	v_lshlrev_b32_e32 v3, 3, v3
	ds_write_b64 v3, v[94:95]
	;; [unrolled: 3-line block ×13, first 2 shown]
	v_sub_u32_e32 v3, v37, v2
	v_lshlrev_b32_e32 v3, 3, v3
	s_or_b64 s[38:39], s[38:39], exec
	ds_write_b64 v3, v[66:67]
	s_or_b64 exec, exec, s[0:1]
	s_and_b64 exec, exec, s[38:39]
	s_cbranch_execnz .LBB14_211
	s_branch .LBB14_212
.LBB14_289:
	v_sub_u32_e32 v54, v59, v62
	v_mov_b32_e32 v55, 0
	v_lshlrev_b64 v[54:55], 3, v[54:55]
	v_add_co_u32_e32 v54, vcc, v50, v54
	v_addc_co_u32_e32 v55, vcc, v51, v55, vcc
	global_store_dwordx2 v[54:55], v[26:27], off
	s_or_b64 exec, exec, s[38:39]
	s_and_saveexec_b64 s[38:39], s[26:27]
	s_cbranch_execz .LBB14_223
.LBB14_290:
	v_sub_u32_e32 v54, v49, v62
	v_mov_b32_e32 v55, 0
	v_lshlrev_b64 v[54:55], 3, v[54:55]
	v_add_co_u32_e32 v54, vcc, v50, v54
	v_addc_co_u32_e32 v55, vcc, v51, v55, vcc
	global_store_dwordx2 v[54:55], v[28:29], off
	s_or_b64 exec, exec, s[38:39]
	s_and_saveexec_b64 s[38:39], s[24:25]
	s_cbranch_execz .LBB14_224
.LBB14_291:
	v_sub_u32_e32 v54, v48, v62
	v_mov_b32_e32 v55, 0
	v_lshlrev_b64 v[54:55], 3, v[54:55]
	v_add_co_u32_e32 v54, vcc, v50, v54
	v_addc_co_u32_e32 v55, vcc, v51, v55, vcc
	global_store_dwordx2 v[54:55], v[22:23], off
	s_or_b64 exec, exec, s[38:39]
	s_and_saveexec_b64 s[38:39], s[22:23]
	s_cbranch_execz .LBB14_225
.LBB14_292:
	v_sub_u32_e32 v54, v47, v62
	v_mov_b32_e32 v55, 0
	v_lshlrev_b64 v[54:55], 3, v[54:55]
	v_add_co_u32_e32 v54, vcc, v50, v54
	v_addc_co_u32_e32 v55, vcc, v51, v55, vcc
	global_store_dwordx2 v[54:55], v[24:25], off
	s_or_b64 exec, exec, s[38:39]
	s_and_saveexec_b64 s[38:39], s[20:21]
	s_cbranch_execz .LBB14_226
.LBB14_293:
	v_sub_u32_e32 v54, v46, v62
	v_mov_b32_e32 v55, 0
	v_lshlrev_b64 v[54:55], 3, v[54:55]
	v_add_co_u32_e32 v54, vcc, v50, v54
	v_addc_co_u32_e32 v55, vcc, v51, v55, vcc
	global_store_dwordx2 v[54:55], v[18:19], off
	s_or_b64 exec, exec, s[38:39]
	s_and_saveexec_b64 s[38:39], s[18:19]
	s_cbranch_execz .LBB14_227
.LBB14_294:
	v_sub_u32_e32 v54, v45, v62
	v_mov_b32_e32 v55, 0
	v_lshlrev_b64 v[54:55], 3, v[54:55]
	v_add_co_u32_e32 v54, vcc, v50, v54
	v_addc_co_u32_e32 v55, vcc, v51, v55, vcc
	global_store_dwordx2 v[54:55], v[20:21], off
	s_or_b64 exec, exec, s[38:39]
	s_and_saveexec_b64 s[38:39], s[16:17]
	s_cbranch_execz .LBB14_228
.LBB14_295:
	v_sub_u32_e32 v54, v44, v62
	v_mov_b32_e32 v55, 0
	v_lshlrev_b64 v[54:55], 3, v[54:55]
	v_add_co_u32_e32 v54, vcc, v50, v54
	v_addc_co_u32_e32 v55, vcc, v51, v55, vcc
	global_store_dwordx2 v[54:55], v[14:15], off
	s_or_b64 exec, exec, s[38:39]
	s_and_saveexec_b64 s[38:39], s[14:15]
	s_cbranch_execz .LBB14_229
.LBB14_296:
	v_sub_u32_e32 v54, v43, v62
	v_mov_b32_e32 v55, 0
	v_lshlrev_b64 v[54:55], 3, v[54:55]
	v_add_co_u32_e32 v54, vcc, v50, v54
	v_addc_co_u32_e32 v55, vcc, v51, v55, vcc
	global_store_dwordx2 v[54:55], v[16:17], off
	s_or_b64 exec, exec, s[38:39]
	s_and_saveexec_b64 s[38:39], s[12:13]
	s_cbranch_execz .LBB14_230
.LBB14_297:
	v_sub_u32_e32 v54, v42, v62
	v_mov_b32_e32 v55, 0
	v_lshlrev_b64 v[54:55], 3, v[54:55]
	v_add_co_u32_e32 v54, vcc, v50, v54
	v_addc_co_u32_e32 v55, vcc, v51, v55, vcc
	global_store_dwordx2 v[54:55], v[10:11], off
	s_or_b64 exec, exec, s[38:39]
	s_and_saveexec_b64 s[38:39], s[10:11]
	s_cbranch_execz .LBB14_231
.LBB14_298:
	v_sub_u32_e32 v54, v41, v62
	v_mov_b32_e32 v55, 0
	v_lshlrev_b64 v[54:55], 3, v[54:55]
	v_add_co_u32_e32 v54, vcc, v50, v54
	v_addc_co_u32_e32 v55, vcc, v51, v55, vcc
	global_store_dwordx2 v[54:55], v[12:13], off
	s_or_b64 exec, exec, s[38:39]
	s_and_saveexec_b64 s[38:39], s[8:9]
	s_cbranch_execz .LBB14_232
.LBB14_299:
	v_sub_u32_e32 v54, v40, v62
	v_mov_b32_e32 v55, 0
	v_lshlrev_b64 v[54:55], 3, v[54:55]
	v_add_co_u32_e32 v54, vcc, v50, v54
	v_addc_co_u32_e32 v55, vcc, v51, v55, vcc
	global_store_dwordx2 v[54:55], v[6:7], off
	s_or_b64 exec, exec, s[38:39]
	s_and_saveexec_b64 s[38:39], s[6:7]
	s_cbranch_execz .LBB14_233
.LBB14_300:
	v_sub_u32_e32 v54, v39, v62
	v_mov_b32_e32 v55, 0
	v_lshlrev_b64 v[54:55], 3, v[54:55]
	v_add_co_u32_e32 v54, vcc, v50, v54
	v_addc_co_u32_e32 v55, vcc, v51, v55, vcc
	global_store_dwordx2 v[54:55], v[8:9], off
	s_or_b64 exec, exec, s[38:39]
	s_and_saveexec_b64 s[38:39], s[4:5]
	s_cbranch_execz .LBB14_234
.LBB14_301:
	v_sub_u32_e32 v54, v38, v62
	v_mov_b32_e32 v55, 0
	v_lshlrev_b64 v[54:55], 3, v[54:55]
	v_add_co_u32_e32 v54, vcc, v50, v54
	v_addc_co_u32_e32 v55, vcc, v51, v55, vcc
	global_store_dwordx2 v[54:55], v[2:3], off
	s_or_b64 exec, exec, s[38:39]
	s_and_saveexec_b64 s[38:39], s[2:3]
	s_cbranch_execnz .LBB14_235
	s_branch .LBB14_236
.LBB14_302:
	v_sub_u32_e32 v52, v59, v62
	v_lshlrev_b32_e32 v52, 3, v52
	ds_write_b64 v52, v[26:27]
	s_or_b64 exec, exec, s[38:39]
	s_and_saveexec_b64 s[28:29], s[26:27]
	s_cbranch_execz .LBB14_240
.LBB14_303:
	v_sub_u32_e32 v26, v49, v62
	v_lshlrev_b32_e32 v26, 3, v26
	ds_write_b64 v26, v[28:29]
	s_or_b64 exec, exec, s[28:29]
	s_and_saveexec_b64 s[26:27], s[24:25]
	s_cbranch_execz .LBB14_241
.LBB14_304:
	v_sub_u32_e32 v26, v48, v62
	v_lshlrev_b32_e32 v26, 3, v26
	ds_write_b64 v26, v[22:23]
	s_or_b64 exec, exec, s[26:27]
	s_and_saveexec_b64 s[24:25], s[22:23]
	s_cbranch_execz .LBB14_242
.LBB14_305:
	v_sub_u32_e32 v22, v47, v62
	v_lshlrev_b32_e32 v22, 3, v22
	ds_write_b64 v22, v[24:25]
	s_or_b64 exec, exec, s[24:25]
	s_and_saveexec_b64 s[22:23], s[20:21]
	s_cbranch_execz .LBB14_243
.LBB14_306:
	v_sub_u32_e32 v22, v46, v62
	v_lshlrev_b32_e32 v22, 3, v22
	ds_write_b64 v22, v[18:19]
	s_or_b64 exec, exec, s[22:23]
	s_and_saveexec_b64 s[20:21], s[18:19]
	s_cbranch_execz .LBB14_244
.LBB14_307:
	v_sub_u32_e32 v18, v45, v62
	v_lshlrev_b32_e32 v18, 3, v18
	ds_write_b64 v18, v[20:21]
	s_or_b64 exec, exec, s[20:21]
	s_and_saveexec_b64 s[18:19], s[16:17]
	s_cbranch_execz .LBB14_245
.LBB14_308:
	v_sub_u32_e32 v18, v44, v62
	v_lshlrev_b32_e32 v18, 3, v18
	ds_write_b64 v18, v[14:15]
	s_or_b64 exec, exec, s[18:19]
	s_and_saveexec_b64 s[16:17], s[14:15]
	s_cbranch_execz .LBB14_246
.LBB14_309:
	v_sub_u32_e32 v14, v43, v62
	v_lshlrev_b32_e32 v14, 3, v14
	ds_write_b64 v14, v[16:17]
	s_or_b64 exec, exec, s[16:17]
	s_and_saveexec_b64 s[14:15], s[12:13]
	s_cbranch_execz .LBB14_247
.LBB14_310:
	v_sub_u32_e32 v14, v42, v62
	v_lshlrev_b32_e32 v14, 3, v14
	ds_write_b64 v14, v[10:11]
	s_or_b64 exec, exec, s[14:15]
	s_and_saveexec_b64 s[12:13], s[10:11]
	s_cbranch_execz .LBB14_248
.LBB14_311:
	v_sub_u32_e32 v10, v41, v62
	v_lshlrev_b32_e32 v10, 3, v10
	ds_write_b64 v10, v[12:13]
	s_or_b64 exec, exec, s[12:13]
	s_and_saveexec_b64 s[10:11], s[8:9]
	s_cbranch_execz .LBB14_249
.LBB14_312:
	v_sub_u32_e32 v10, v40, v62
	v_lshlrev_b32_e32 v10, 3, v10
	ds_write_b64 v10, v[6:7]
	s_or_b64 exec, exec, s[10:11]
	s_and_saveexec_b64 s[8:9], s[6:7]
	s_cbranch_execz .LBB14_250
.LBB14_313:
	v_sub_u32_e32 v6, v39, v62
	v_lshlrev_b32_e32 v6, 3, v6
	ds_write_b64 v6, v[8:9]
	s_or_b64 exec, exec, s[8:9]
	s_and_saveexec_b64 s[6:7], s[4:5]
	s_cbranch_execz .LBB14_251
.LBB14_314:
	v_sub_u32_e32 v6, v38, v62
	v_lshlrev_b32_e32 v6, 3, v6
	ds_write_b64 v6, v[2:3]
	s_or_b64 exec, exec, s[6:7]
	s_and_saveexec_b64 s[4:5], s[2:3]
	s_cbranch_execnz .LBB14_252
	s_branch .LBB14_253
.LBB14_315:
	v_sub_u32_e32 v8, v59, v2
	v_mov_b32_e32 v9, 0
	v_lshlrev_b64 v[8:9], 3, v[8:9]
	v_add_co_u32_e32 v8, vcc, v6, v8
	v_addc_co_u32_e32 v9, vcc, v7, v9, vcc
	global_store_dwordx2 v[8:9], v[96:97], off
	s_or_b64 exec, exec, s[38:39]
	s_and_saveexec_b64 s[38:39], s[26:27]
	s_cbranch_execz .LBB14_257
.LBB14_316:
	v_sub_u32_e32 v8, v49, v2
	v_mov_b32_e32 v9, 0
	v_lshlrev_b64 v[8:9], 3, v[8:9]
	v_add_co_u32_e32 v8, vcc, v6, v8
	v_addc_co_u32_e32 v9, vcc, v7, v9, vcc
	global_store_dwordx2 v[8:9], v[94:95], off
	s_or_b64 exec, exec, s[38:39]
	s_and_saveexec_b64 s[38:39], s[24:25]
	s_cbranch_execz .LBB14_258
.LBB14_317:
	v_sub_u32_e32 v8, v48, v2
	v_mov_b32_e32 v9, 0
	v_lshlrev_b64 v[8:9], 3, v[8:9]
	v_add_co_u32_e32 v8, vcc, v6, v8
	v_addc_co_u32_e32 v9, vcc, v7, v9, vcc
	global_store_dwordx2 v[8:9], v[92:93], off
	s_or_b64 exec, exec, s[38:39]
	s_and_saveexec_b64 s[38:39], s[22:23]
	s_cbranch_execz .LBB14_259
.LBB14_318:
	v_sub_u32_e32 v8, v47, v2
	v_mov_b32_e32 v9, 0
	v_lshlrev_b64 v[8:9], 3, v[8:9]
	v_add_co_u32_e32 v8, vcc, v6, v8
	v_addc_co_u32_e32 v9, vcc, v7, v9, vcc
	global_store_dwordx2 v[8:9], v[90:91], off
	s_or_b64 exec, exec, s[38:39]
	s_and_saveexec_b64 s[38:39], s[20:21]
	s_cbranch_execz .LBB14_260
.LBB14_319:
	v_sub_u32_e32 v8, v46, v2
	v_mov_b32_e32 v9, 0
	v_lshlrev_b64 v[8:9], 3, v[8:9]
	v_add_co_u32_e32 v8, vcc, v6, v8
	v_addc_co_u32_e32 v9, vcc, v7, v9, vcc
	global_store_dwordx2 v[8:9], v[88:89], off
	s_or_b64 exec, exec, s[38:39]
	s_and_saveexec_b64 s[38:39], s[18:19]
	s_cbranch_execz .LBB14_261
.LBB14_320:
	v_sub_u32_e32 v8, v45, v2
	v_mov_b32_e32 v9, 0
	v_lshlrev_b64 v[8:9], 3, v[8:9]
	v_add_co_u32_e32 v8, vcc, v6, v8
	v_addc_co_u32_e32 v9, vcc, v7, v9, vcc
	global_store_dwordx2 v[8:9], v[86:87], off
	s_or_b64 exec, exec, s[38:39]
	s_and_saveexec_b64 s[38:39], s[16:17]
	s_cbranch_execz .LBB14_262
.LBB14_321:
	v_sub_u32_e32 v8, v44, v2
	v_mov_b32_e32 v9, 0
	v_lshlrev_b64 v[8:9], 3, v[8:9]
	v_add_co_u32_e32 v8, vcc, v6, v8
	v_addc_co_u32_e32 v9, vcc, v7, v9, vcc
	global_store_dwordx2 v[8:9], v[84:85], off
	s_or_b64 exec, exec, s[38:39]
	s_and_saveexec_b64 s[38:39], s[14:15]
	s_cbranch_execz .LBB14_263
.LBB14_322:
	v_sub_u32_e32 v8, v43, v2
	v_mov_b32_e32 v9, 0
	v_lshlrev_b64 v[8:9], 3, v[8:9]
	v_add_co_u32_e32 v8, vcc, v6, v8
	v_addc_co_u32_e32 v9, vcc, v7, v9, vcc
	global_store_dwordx2 v[8:9], v[82:83], off
	s_or_b64 exec, exec, s[38:39]
	s_and_saveexec_b64 s[38:39], s[12:13]
	s_cbranch_execz .LBB14_264
.LBB14_323:
	v_sub_u32_e32 v8, v42, v2
	v_mov_b32_e32 v9, 0
	v_lshlrev_b64 v[8:9], 3, v[8:9]
	v_add_co_u32_e32 v8, vcc, v6, v8
	v_addc_co_u32_e32 v9, vcc, v7, v9, vcc
	global_store_dwordx2 v[8:9], v[80:81], off
	s_or_b64 exec, exec, s[38:39]
	s_and_saveexec_b64 s[38:39], s[10:11]
	s_cbranch_execz .LBB14_265
.LBB14_324:
	v_sub_u32_e32 v8, v41, v2
	v_mov_b32_e32 v9, 0
	v_lshlrev_b64 v[8:9], 3, v[8:9]
	v_add_co_u32_e32 v8, vcc, v6, v8
	v_addc_co_u32_e32 v9, vcc, v7, v9, vcc
	global_store_dwordx2 v[8:9], v[78:79], off
	s_or_b64 exec, exec, s[38:39]
	s_and_saveexec_b64 s[38:39], s[8:9]
	s_cbranch_execz .LBB14_266
.LBB14_325:
	v_sub_u32_e32 v8, v40, v2
	v_mov_b32_e32 v9, 0
	v_lshlrev_b64 v[8:9], 3, v[8:9]
	v_add_co_u32_e32 v8, vcc, v6, v8
	v_addc_co_u32_e32 v9, vcc, v7, v9, vcc
	global_store_dwordx2 v[8:9], v[76:77], off
	s_or_b64 exec, exec, s[38:39]
	s_and_saveexec_b64 s[38:39], s[6:7]
	s_cbranch_execz .LBB14_267
.LBB14_326:
	v_sub_u32_e32 v8, v39, v2
	v_mov_b32_e32 v9, 0
	v_lshlrev_b64 v[8:9], 3, v[8:9]
	v_add_co_u32_e32 v8, vcc, v6, v8
	v_addc_co_u32_e32 v9, vcc, v7, v9, vcc
	global_store_dwordx2 v[8:9], v[70:71], off
	s_or_b64 exec, exec, s[38:39]
	s_and_saveexec_b64 s[38:39], s[4:5]
	s_cbranch_execz .LBB14_268
.LBB14_327:
	v_sub_u32_e32 v8, v38, v2
	v_mov_b32_e32 v9, 0
	v_lshlrev_b64 v[8:9], 3, v[8:9]
	v_add_co_u32_e32 v8, vcc, v6, v8
	v_addc_co_u32_e32 v9, vcc, v7, v9, vcc
	global_store_dwordx2 v[8:9], v[68:69], off
	s_or_b64 exec, exec, s[38:39]
	s_and_saveexec_b64 s[38:39], s[2:3]
	s_cbranch_execnz .LBB14_269
	s_branch .LBB14_270
.LBB14_328:
	v_sub_u32_e32 v3, v59, v2
	v_lshlrev_b32_e32 v3, 3, v3
	ds_write_b64 v3, v[96:97]
	s_or_b64 exec, exec, s[38:39]
	s_and_saveexec_b64 s[28:29], s[26:27]
	s_cbranch_execz .LBB14_274
.LBB14_329:
	v_sub_u32_e32 v3, v49, v2
	v_lshlrev_b32_e32 v3, 3, v3
	ds_write_b64 v3, v[94:95]
	s_or_b64 exec, exec, s[28:29]
	s_and_saveexec_b64 s[26:27], s[24:25]
	s_cbranch_execz .LBB14_275
.LBB14_330:
	v_sub_u32_e32 v3, v48, v2
	v_lshlrev_b32_e32 v3, 3, v3
	ds_write_b64 v3, v[92:93]
	s_or_b64 exec, exec, s[26:27]
	s_and_saveexec_b64 s[24:25], s[22:23]
	s_cbranch_execz .LBB14_276
.LBB14_331:
	v_sub_u32_e32 v3, v47, v2
	v_lshlrev_b32_e32 v3, 3, v3
	ds_write_b64 v3, v[90:91]
	s_or_b64 exec, exec, s[24:25]
	s_and_saveexec_b64 s[22:23], s[20:21]
	s_cbranch_execz .LBB14_277
.LBB14_332:
	v_sub_u32_e32 v3, v46, v2
	v_lshlrev_b32_e32 v3, 3, v3
	ds_write_b64 v3, v[88:89]
	s_or_b64 exec, exec, s[22:23]
	s_and_saveexec_b64 s[20:21], s[18:19]
	s_cbranch_execz .LBB14_278
.LBB14_333:
	v_sub_u32_e32 v3, v45, v2
	v_lshlrev_b32_e32 v3, 3, v3
	ds_write_b64 v3, v[86:87]
	s_or_b64 exec, exec, s[20:21]
	s_and_saveexec_b64 s[18:19], s[16:17]
	s_cbranch_execz .LBB14_279
.LBB14_334:
	v_sub_u32_e32 v3, v44, v2
	v_lshlrev_b32_e32 v3, 3, v3
	ds_write_b64 v3, v[84:85]
	s_or_b64 exec, exec, s[18:19]
	s_and_saveexec_b64 s[16:17], s[14:15]
	s_cbranch_execz .LBB14_280
.LBB14_335:
	v_sub_u32_e32 v3, v43, v2
	v_lshlrev_b32_e32 v3, 3, v3
	ds_write_b64 v3, v[82:83]
	s_or_b64 exec, exec, s[16:17]
	s_and_saveexec_b64 s[14:15], s[12:13]
	s_cbranch_execz .LBB14_281
.LBB14_336:
	v_sub_u32_e32 v3, v42, v2
	v_lshlrev_b32_e32 v3, 3, v3
	ds_write_b64 v3, v[80:81]
	s_or_b64 exec, exec, s[14:15]
	s_and_saveexec_b64 s[12:13], s[10:11]
	s_cbranch_execz .LBB14_282
.LBB14_337:
	v_sub_u32_e32 v3, v41, v2
	v_lshlrev_b32_e32 v3, 3, v3
	ds_write_b64 v3, v[78:79]
	s_or_b64 exec, exec, s[12:13]
	s_and_saveexec_b64 s[10:11], s[8:9]
	s_cbranch_execz .LBB14_283
.LBB14_338:
	v_sub_u32_e32 v3, v40, v2
	v_lshlrev_b32_e32 v3, 3, v3
	ds_write_b64 v3, v[76:77]
	s_or_b64 exec, exec, s[10:11]
	s_and_saveexec_b64 s[8:9], s[6:7]
	s_cbranch_execz .LBB14_284
.LBB14_339:
	v_sub_u32_e32 v3, v39, v2
	v_lshlrev_b32_e32 v3, 3, v3
	ds_write_b64 v3, v[70:71]
	s_or_b64 exec, exec, s[8:9]
	s_and_saveexec_b64 s[6:7], s[4:5]
	s_cbranch_execz .LBB14_285
.LBB14_340:
	v_sub_u32_e32 v3, v38, v2
	v_lshlrev_b32_e32 v3, 3, v3
	ds_write_b64 v3, v[68:69]
	s_or_b64 exec, exec, s[6:7]
	s_and_saveexec_b64 s[4:5], s[2:3]
	s_cbranch_execnz .LBB14_286
	s_branch .LBB14_287
	.section	.rodata,"a",@progbits
	.p2align	6, 0x0
	.amdhsa_kernel _ZN7rocprim17ROCPRIM_400000_NS6detail17trampoline_kernelINS0_14default_configENS1_29reduce_by_key_config_selectorIddN6thrust23THRUST_200600_302600_NS4plusIdEEEEZZNS1_33reduce_by_key_impl_wrapped_configILNS1_25lookback_scan_determinismE0ES3_S9_NS6_6detail15normal_iteratorINS6_10device_ptrIdEEEESG_SG_SG_PmS8_NS6_8equal_toIdEEEE10hipError_tPvRmT2_T3_mT4_T5_T6_T7_T8_P12ihipStream_tbENKUlT_T0_E_clISt17integral_constantIbLb0EES11_EEDaSW_SX_EUlSW_E_NS1_11comp_targetILNS1_3genE4ELNS1_11target_archE910ELNS1_3gpuE8ELNS1_3repE0EEENS1_30default_config_static_selectorELNS0_4arch9wavefront6targetE1EEEvT1_
		.amdhsa_group_segment_fixed_size 30720
		.amdhsa_private_segment_fixed_size 0
		.amdhsa_kernarg_size 136
		.amdhsa_user_sgpr_count 6
		.amdhsa_user_sgpr_private_segment_buffer 1
		.amdhsa_user_sgpr_dispatch_ptr 0
		.amdhsa_user_sgpr_queue_ptr 0
		.amdhsa_user_sgpr_kernarg_segment_ptr 1
		.amdhsa_user_sgpr_dispatch_id 0
		.amdhsa_user_sgpr_flat_scratch_init 0
		.amdhsa_user_sgpr_kernarg_preload_length 0
		.amdhsa_user_sgpr_kernarg_preload_offset 0
		.amdhsa_user_sgpr_private_segment_size 0
		.amdhsa_uses_dynamic_stack 0
		.amdhsa_system_sgpr_private_segment_wavefront_offset 0
		.amdhsa_system_sgpr_workgroup_id_x 1
		.amdhsa_system_sgpr_workgroup_id_y 0
		.amdhsa_system_sgpr_workgroup_id_z 0
		.amdhsa_system_sgpr_workgroup_info 0
		.amdhsa_system_vgpr_workitem_id 0
		.amdhsa_next_free_vgpr 120
		.amdhsa_next_free_sgpr 65
		.amdhsa_accum_offset 120
		.amdhsa_reserve_vcc 1
		.amdhsa_reserve_flat_scratch 0
		.amdhsa_float_round_mode_32 0
		.amdhsa_float_round_mode_16_64 0
		.amdhsa_float_denorm_mode_32 3
		.amdhsa_float_denorm_mode_16_64 3
		.amdhsa_dx10_clamp 1
		.amdhsa_ieee_mode 1
		.amdhsa_fp16_overflow 0
		.amdhsa_tg_split 0
		.amdhsa_exception_fp_ieee_invalid_op 0
		.amdhsa_exception_fp_denorm_src 0
		.amdhsa_exception_fp_ieee_div_zero 0
		.amdhsa_exception_fp_ieee_overflow 0
		.amdhsa_exception_fp_ieee_underflow 0
		.amdhsa_exception_fp_ieee_inexact 0
		.amdhsa_exception_int_div_zero 0
	.end_amdhsa_kernel
	.section	.text._ZN7rocprim17ROCPRIM_400000_NS6detail17trampoline_kernelINS0_14default_configENS1_29reduce_by_key_config_selectorIddN6thrust23THRUST_200600_302600_NS4plusIdEEEEZZNS1_33reduce_by_key_impl_wrapped_configILNS1_25lookback_scan_determinismE0ES3_S9_NS6_6detail15normal_iteratorINS6_10device_ptrIdEEEESG_SG_SG_PmS8_NS6_8equal_toIdEEEE10hipError_tPvRmT2_T3_mT4_T5_T6_T7_T8_P12ihipStream_tbENKUlT_T0_E_clISt17integral_constantIbLb0EES11_EEDaSW_SX_EUlSW_E_NS1_11comp_targetILNS1_3genE4ELNS1_11target_archE910ELNS1_3gpuE8ELNS1_3repE0EEENS1_30default_config_static_selectorELNS0_4arch9wavefront6targetE1EEEvT1_,"axG",@progbits,_ZN7rocprim17ROCPRIM_400000_NS6detail17trampoline_kernelINS0_14default_configENS1_29reduce_by_key_config_selectorIddN6thrust23THRUST_200600_302600_NS4plusIdEEEEZZNS1_33reduce_by_key_impl_wrapped_configILNS1_25lookback_scan_determinismE0ES3_S9_NS6_6detail15normal_iteratorINS6_10device_ptrIdEEEESG_SG_SG_PmS8_NS6_8equal_toIdEEEE10hipError_tPvRmT2_T3_mT4_T5_T6_T7_T8_P12ihipStream_tbENKUlT_T0_E_clISt17integral_constantIbLb0EES11_EEDaSW_SX_EUlSW_E_NS1_11comp_targetILNS1_3genE4ELNS1_11target_archE910ELNS1_3gpuE8ELNS1_3repE0EEENS1_30default_config_static_selectorELNS0_4arch9wavefront6targetE1EEEvT1_,comdat
.Lfunc_end14:
	.size	_ZN7rocprim17ROCPRIM_400000_NS6detail17trampoline_kernelINS0_14default_configENS1_29reduce_by_key_config_selectorIddN6thrust23THRUST_200600_302600_NS4plusIdEEEEZZNS1_33reduce_by_key_impl_wrapped_configILNS1_25lookback_scan_determinismE0ES3_S9_NS6_6detail15normal_iteratorINS6_10device_ptrIdEEEESG_SG_SG_PmS8_NS6_8equal_toIdEEEE10hipError_tPvRmT2_T3_mT4_T5_T6_T7_T8_P12ihipStream_tbENKUlT_T0_E_clISt17integral_constantIbLb0EES11_EEDaSW_SX_EUlSW_E_NS1_11comp_targetILNS1_3genE4ELNS1_11target_archE910ELNS1_3gpuE8ELNS1_3repE0EEENS1_30default_config_static_selectorELNS0_4arch9wavefront6targetE1EEEvT1_, .Lfunc_end14-_ZN7rocprim17ROCPRIM_400000_NS6detail17trampoline_kernelINS0_14default_configENS1_29reduce_by_key_config_selectorIddN6thrust23THRUST_200600_302600_NS4plusIdEEEEZZNS1_33reduce_by_key_impl_wrapped_configILNS1_25lookback_scan_determinismE0ES3_S9_NS6_6detail15normal_iteratorINS6_10device_ptrIdEEEESG_SG_SG_PmS8_NS6_8equal_toIdEEEE10hipError_tPvRmT2_T3_mT4_T5_T6_T7_T8_P12ihipStream_tbENKUlT_T0_E_clISt17integral_constantIbLb0EES11_EEDaSW_SX_EUlSW_E_NS1_11comp_targetILNS1_3genE4ELNS1_11target_archE910ELNS1_3gpuE8ELNS1_3repE0EEENS1_30default_config_static_selectorELNS0_4arch9wavefront6targetE1EEEvT1_
                                        ; -- End function
	.section	.AMDGPU.csdata,"",@progbits
; Kernel info:
; codeLenInByte = 16472
; NumSgprs: 69
; NumVgprs: 120
; NumAgprs: 0
; TotalNumVgprs: 120
; ScratchSize: 0
; MemoryBound: 0
; FloatMode: 240
; IeeeMode: 1
; LDSByteSize: 30720 bytes/workgroup (compile time only)
; SGPRBlocks: 8
; VGPRBlocks: 14
; NumSGPRsForWavesPerEU: 69
; NumVGPRsForWavesPerEU: 120
; AccumOffset: 120
; Occupancy: 2
; WaveLimiterHint : 1
; COMPUTE_PGM_RSRC2:SCRATCH_EN: 0
; COMPUTE_PGM_RSRC2:USER_SGPR: 6
; COMPUTE_PGM_RSRC2:TRAP_HANDLER: 0
; COMPUTE_PGM_RSRC2:TGID_X_EN: 1
; COMPUTE_PGM_RSRC2:TGID_Y_EN: 0
; COMPUTE_PGM_RSRC2:TGID_Z_EN: 0
; COMPUTE_PGM_RSRC2:TIDIG_COMP_CNT: 0
; COMPUTE_PGM_RSRC3_GFX90A:ACCUM_OFFSET: 29
; COMPUTE_PGM_RSRC3_GFX90A:TG_SPLIT: 0
	.section	.text._ZN7rocprim17ROCPRIM_400000_NS6detail17trampoline_kernelINS0_14default_configENS1_29reduce_by_key_config_selectorIddN6thrust23THRUST_200600_302600_NS4plusIdEEEEZZNS1_33reduce_by_key_impl_wrapped_configILNS1_25lookback_scan_determinismE0ES3_S9_NS6_6detail15normal_iteratorINS6_10device_ptrIdEEEESG_SG_SG_PmS8_NS6_8equal_toIdEEEE10hipError_tPvRmT2_T3_mT4_T5_T6_T7_T8_P12ihipStream_tbENKUlT_T0_E_clISt17integral_constantIbLb0EES11_EEDaSW_SX_EUlSW_E_NS1_11comp_targetILNS1_3genE3ELNS1_11target_archE908ELNS1_3gpuE7ELNS1_3repE0EEENS1_30default_config_static_selectorELNS0_4arch9wavefront6targetE1EEEvT1_,"axG",@progbits,_ZN7rocprim17ROCPRIM_400000_NS6detail17trampoline_kernelINS0_14default_configENS1_29reduce_by_key_config_selectorIddN6thrust23THRUST_200600_302600_NS4plusIdEEEEZZNS1_33reduce_by_key_impl_wrapped_configILNS1_25lookback_scan_determinismE0ES3_S9_NS6_6detail15normal_iteratorINS6_10device_ptrIdEEEESG_SG_SG_PmS8_NS6_8equal_toIdEEEE10hipError_tPvRmT2_T3_mT4_T5_T6_T7_T8_P12ihipStream_tbENKUlT_T0_E_clISt17integral_constantIbLb0EES11_EEDaSW_SX_EUlSW_E_NS1_11comp_targetILNS1_3genE3ELNS1_11target_archE908ELNS1_3gpuE7ELNS1_3repE0EEENS1_30default_config_static_selectorELNS0_4arch9wavefront6targetE1EEEvT1_,comdat
	.protected	_ZN7rocprim17ROCPRIM_400000_NS6detail17trampoline_kernelINS0_14default_configENS1_29reduce_by_key_config_selectorIddN6thrust23THRUST_200600_302600_NS4plusIdEEEEZZNS1_33reduce_by_key_impl_wrapped_configILNS1_25lookback_scan_determinismE0ES3_S9_NS6_6detail15normal_iteratorINS6_10device_ptrIdEEEESG_SG_SG_PmS8_NS6_8equal_toIdEEEE10hipError_tPvRmT2_T3_mT4_T5_T6_T7_T8_P12ihipStream_tbENKUlT_T0_E_clISt17integral_constantIbLb0EES11_EEDaSW_SX_EUlSW_E_NS1_11comp_targetILNS1_3genE3ELNS1_11target_archE908ELNS1_3gpuE7ELNS1_3repE0EEENS1_30default_config_static_selectorELNS0_4arch9wavefront6targetE1EEEvT1_ ; -- Begin function _ZN7rocprim17ROCPRIM_400000_NS6detail17trampoline_kernelINS0_14default_configENS1_29reduce_by_key_config_selectorIddN6thrust23THRUST_200600_302600_NS4plusIdEEEEZZNS1_33reduce_by_key_impl_wrapped_configILNS1_25lookback_scan_determinismE0ES3_S9_NS6_6detail15normal_iteratorINS6_10device_ptrIdEEEESG_SG_SG_PmS8_NS6_8equal_toIdEEEE10hipError_tPvRmT2_T3_mT4_T5_T6_T7_T8_P12ihipStream_tbENKUlT_T0_E_clISt17integral_constantIbLb0EES11_EEDaSW_SX_EUlSW_E_NS1_11comp_targetILNS1_3genE3ELNS1_11target_archE908ELNS1_3gpuE7ELNS1_3repE0EEENS1_30default_config_static_selectorELNS0_4arch9wavefront6targetE1EEEvT1_
	.globl	_ZN7rocprim17ROCPRIM_400000_NS6detail17trampoline_kernelINS0_14default_configENS1_29reduce_by_key_config_selectorIddN6thrust23THRUST_200600_302600_NS4plusIdEEEEZZNS1_33reduce_by_key_impl_wrapped_configILNS1_25lookback_scan_determinismE0ES3_S9_NS6_6detail15normal_iteratorINS6_10device_ptrIdEEEESG_SG_SG_PmS8_NS6_8equal_toIdEEEE10hipError_tPvRmT2_T3_mT4_T5_T6_T7_T8_P12ihipStream_tbENKUlT_T0_E_clISt17integral_constantIbLb0EES11_EEDaSW_SX_EUlSW_E_NS1_11comp_targetILNS1_3genE3ELNS1_11target_archE908ELNS1_3gpuE7ELNS1_3repE0EEENS1_30default_config_static_selectorELNS0_4arch9wavefront6targetE1EEEvT1_
	.p2align	8
	.type	_ZN7rocprim17ROCPRIM_400000_NS6detail17trampoline_kernelINS0_14default_configENS1_29reduce_by_key_config_selectorIddN6thrust23THRUST_200600_302600_NS4plusIdEEEEZZNS1_33reduce_by_key_impl_wrapped_configILNS1_25lookback_scan_determinismE0ES3_S9_NS6_6detail15normal_iteratorINS6_10device_ptrIdEEEESG_SG_SG_PmS8_NS6_8equal_toIdEEEE10hipError_tPvRmT2_T3_mT4_T5_T6_T7_T8_P12ihipStream_tbENKUlT_T0_E_clISt17integral_constantIbLb0EES11_EEDaSW_SX_EUlSW_E_NS1_11comp_targetILNS1_3genE3ELNS1_11target_archE908ELNS1_3gpuE7ELNS1_3repE0EEENS1_30default_config_static_selectorELNS0_4arch9wavefront6targetE1EEEvT1_,@function
_ZN7rocprim17ROCPRIM_400000_NS6detail17trampoline_kernelINS0_14default_configENS1_29reduce_by_key_config_selectorIddN6thrust23THRUST_200600_302600_NS4plusIdEEEEZZNS1_33reduce_by_key_impl_wrapped_configILNS1_25lookback_scan_determinismE0ES3_S9_NS6_6detail15normal_iteratorINS6_10device_ptrIdEEEESG_SG_SG_PmS8_NS6_8equal_toIdEEEE10hipError_tPvRmT2_T3_mT4_T5_T6_T7_T8_P12ihipStream_tbENKUlT_T0_E_clISt17integral_constantIbLb0EES11_EEDaSW_SX_EUlSW_E_NS1_11comp_targetILNS1_3genE3ELNS1_11target_archE908ELNS1_3gpuE7ELNS1_3repE0EEENS1_30default_config_static_selectorELNS0_4arch9wavefront6targetE1EEEvT1_: ; @_ZN7rocprim17ROCPRIM_400000_NS6detail17trampoline_kernelINS0_14default_configENS1_29reduce_by_key_config_selectorIddN6thrust23THRUST_200600_302600_NS4plusIdEEEEZZNS1_33reduce_by_key_impl_wrapped_configILNS1_25lookback_scan_determinismE0ES3_S9_NS6_6detail15normal_iteratorINS6_10device_ptrIdEEEESG_SG_SG_PmS8_NS6_8equal_toIdEEEE10hipError_tPvRmT2_T3_mT4_T5_T6_T7_T8_P12ihipStream_tbENKUlT_T0_E_clISt17integral_constantIbLb0EES11_EEDaSW_SX_EUlSW_E_NS1_11comp_targetILNS1_3genE3ELNS1_11target_archE908ELNS1_3gpuE7ELNS1_3repE0EEENS1_30default_config_static_selectorELNS0_4arch9wavefront6targetE1EEEvT1_
; %bb.0:
	.section	.rodata,"a",@progbits
	.p2align	6, 0x0
	.amdhsa_kernel _ZN7rocprim17ROCPRIM_400000_NS6detail17trampoline_kernelINS0_14default_configENS1_29reduce_by_key_config_selectorIddN6thrust23THRUST_200600_302600_NS4plusIdEEEEZZNS1_33reduce_by_key_impl_wrapped_configILNS1_25lookback_scan_determinismE0ES3_S9_NS6_6detail15normal_iteratorINS6_10device_ptrIdEEEESG_SG_SG_PmS8_NS6_8equal_toIdEEEE10hipError_tPvRmT2_T3_mT4_T5_T6_T7_T8_P12ihipStream_tbENKUlT_T0_E_clISt17integral_constantIbLb0EES11_EEDaSW_SX_EUlSW_E_NS1_11comp_targetILNS1_3genE3ELNS1_11target_archE908ELNS1_3gpuE7ELNS1_3repE0EEENS1_30default_config_static_selectorELNS0_4arch9wavefront6targetE1EEEvT1_
		.amdhsa_group_segment_fixed_size 0
		.amdhsa_private_segment_fixed_size 0
		.amdhsa_kernarg_size 136
		.amdhsa_user_sgpr_count 6
		.amdhsa_user_sgpr_private_segment_buffer 1
		.amdhsa_user_sgpr_dispatch_ptr 0
		.amdhsa_user_sgpr_queue_ptr 0
		.amdhsa_user_sgpr_kernarg_segment_ptr 1
		.amdhsa_user_sgpr_dispatch_id 0
		.amdhsa_user_sgpr_flat_scratch_init 0
		.amdhsa_user_sgpr_kernarg_preload_length 0
		.amdhsa_user_sgpr_kernarg_preload_offset 0
		.amdhsa_user_sgpr_private_segment_size 0
		.amdhsa_uses_dynamic_stack 0
		.amdhsa_system_sgpr_private_segment_wavefront_offset 0
		.amdhsa_system_sgpr_workgroup_id_x 1
		.amdhsa_system_sgpr_workgroup_id_y 0
		.amdhsa_system_sgpr_workgroup_id_z 0
		.amdhsa_system_sgpr_workgroup_info 0
		.amdhsa_system_vgpr_workitem_id 0
		.amdhsa_next_free_vgpr 1
		.amdhsa_next_free_sgpr 0
		.amdhsa_accum_offset 4
		.amdhsa_reserve_vcc 0
		.amdhsa_reserve_flat_scratch 0
		.amdhsa_float_round_mode_32 0
		.amdhsa_float_round_mode_16_64 0
		.amdhsa_float_denorm_mode_32 3
		.amdhsa_float_denorm_mode_16_64 3
		.amdhsa_dx10_clamp 1
		.amdhsa_ieee_mode 1
		.amdhsa_fp16_overflow 0
		.amdhsa_tg_split 0
		.amdhsa_exception_fp_ieee_invalid_op 0
		.amdhsa_exception_fp_denorm_src 0
		.amdhsa_exception_fp_ieee_div_zero 0
		.amdhsa_exception_fp_ieee_overflow 0
		.amdhsa_exception_fp_ieee_underflow 0
		.amdhsa_exception_fp_ieee_inexact 0
		.amdhsa_exception_int_div_zero 0
	.end_amdhsa_kernel
	.section	.text._ZN7rocprim17ROCPRIM_400000_NS6detail17trampoline_kernelINS0_14default_configENS1_29reduce_by_key_config_selectorIddN6thrust23THRUST_200600_302600_NS4plusIdEEEEZZNS1_33reduce_by_key_impl_wrapped_configILNS1_25lookback_scan_determinismE0ES3_S9_NS6_6detail15normal_iteratorINS6_10device_ptrIdEEEESG_SG_SG_PmS8_NS6_8equal_toIdEEEE10hipError_tPvRmT2_T3_mT4_T5_T6_T7_T8_P12ihipStream_tbENKUlT_T0_E_clISt17integral_constantIbLb0EES11_EEDaSW_SX_EUlSW_E_NS1_11comp_targetILNS1_3genE3ELNS1_11target_archE908ELNS1_3gpuE7ELNS1_3repE0EEENS1_30default_config_static_selectorELNS0_4arch9wavefront6targetE1EEEvT1_,"axG",@progbits,_ZN7rocprim17ROCPRIM_400000_NS6detail17trampoline_kernelINS0_14default_configENS1_29reduce_by_key_config_selectorIddN6thrust23THRUST_200600_302600_NS4plusIdEEEEZZNS1_33reduce_by_key_impl_wrapped_configILNS1_25lookback_scan_determinismE0ES3_S9_NS6_6detail15normal_iteratorINS6_10device_ptrIdEEEESG_SG_SG_PmS8_NS6_8equal_toIdEEEE10hipError_tPvRmT2_T3_mT4_T5_T6_T7_T8_P12ihipStream_tbENKUlT_T0_E_clISt17integral_constantIbLb0EES11_EEDaSW_SX_EUlSW_E_NS1_11comp_targetILNS1_3genE3ELNS1_11target_archE908ELNS1_3gpuE7ELNS1_3repE0EEENS1_30default_config_static_selectorELNS0_4arch9wavefront6targetE1EEEvT1_,comdat
.Lfunc_end15:
	.size	_ZN7rocprim17ROCPRIM_400000_NS6detail17trampoline_kernelINS0_14default_configENS1_29reduce_by_key_config_selectorIddN6thrust23THRUST_200600_302600_NS4plusIdEEEEZZNS1_33reduce_by_key_impl_wrapped_configILNS1_25lookback_scan_determinismE0ES3_S9_NS6_6detail15normal_iteratorINS6_10device_ptrIdEEEESG_SG_SG_PmS8_NS6_8equal_toIdEEEE10hipError_tPvRmT2_T3_mT4_T5_T6_T7_T8_P12ihipStream_tbENKUlT_T0_E_clISt17integral_constantIbLb0EES11_EEDaSW_SX_EUlSW_E_NS1_11comp_targetILNS1_3genE3ELNS1_11target_archE908ELNS1_3gpuE7ELNS1_3repE0EEENS1_30default_config_static_selectorELNS0_4arch9wavefront6targetE1EEEvT1_, .Lfunc_end15-_ZN7rocprim17ROCPRIM_400000_NS6detail17trampoline_kernelINS0_14default_configENS1_29reduce_by_key_config_selectorIddN6thrust23THRUST_200600_302600_NS4plusIdEEEEZZNS1_33reduce_by_key_impl_wrapped_configILNS1_25lookback_scan_determinismE0ES3_S9_NS6_6detail15normal_iteratorINS6_10device_ptrIdEEEESG_SG_SG_PmS8_NS6_8equal_toIdEEEE10hipError_tPvRmT2_T3_mT4_T5_T6_T7_T8_P12ihipStream_tbENKUlT_T0_E_clISt17integral_constantIbLb0EES11_EEDaSW_SX_EUlSW_E_NS1_11comp_targetILNS1_3genE3ELNS1_11target_archE908ELNS1_3gpuE7ELNS1_3repE0EEENS1_30default_config_static_selectorELNS0_4arch9wavefront6targetE1EEEvT1_
                                        ; -- End function
	.section	.AMDGPU.csdata,"",@progbits
; Kernel info:
; codeLenInByte = 0
; NumSgprs: 4
; NumVgprs: 0
; NumAgprs: 0
; TotalNumVgprs: 0
; ScratchSize: 0
; MemoryBound: 0
; FloatMode: 240
; IeeeMode: 1
; LDSByteSize: 0 bytes/workgroup (compile time only)
; SGPRBlocks: 0
; VGPRBlocks: 0
; NumSGPRsForWavesPerEU: 4
; NumVGPRsForWavesPerEU: 1
; AccumOffset: 4
; Occupancy: 8
; WaveLimiterHint : 0
; COMPUTE_PGM_RSRC2:SCRATCH_EN: 0
; COMPUTE_PGM_RSRC2:USER_SGPR: 6
; COMPUTE_PGM_RSRC2:TRAP_HANDLER: 0
; COMPUTE_PGM_RSRC2:TGID_X_EN: 1
; COMPUTE_PGM_RSRC2:TGID_Y_EN: 0
; COMPUTE_PGM_RSRC2:TGID_Z_EN: 0
; COMPUTE_PGM_RSRC2:TIDIG_COMP_CNT: 0
; COMPUTE_PGM_RSRC3_GFX90A:ACCUM_OFFSET: 0
; COMPUTE_PGM_RSRC3_GFX90A:TG_SPLIT: 0
	.section	.text._ZN7rocprim17ROCPRIM_400000_NS6detail17trampoline_kernelINS0_14default_configENS1_29reduce_by_key_config_selectorIddN6thrust23THRUST_200600_302600_NS4plusIdEEEEZZNS1_33reduce_by_key_impl_wrapped_configILNS1_25lookback_scan_determinismE0ES3_S9_NS6_6detail15normal_iteratorINS6_10device_ptrIdEEEESG_SG_SG_PmS8_NS6_8equal_toIdEEEE10hipError_tPvRmT2_T3_mT4_T5_T6_T7_T8_P12ihipStream_tbENKUlT_T0_E_clISt17integral_constantIbLb0EES11_EEDaSW_SX_EUlSW_E_NS1_11comp_targetILNS1_3genE2ELNS1_11target_archE906ELNS1_3gpuE6ELNS1_3repE0EEENS1_30default_config_static_selectorELNS0_4arch9wavefront6targetE1EEEvT1_,"axG",@progbits,_ZN7rocprim17ROCPRIM_400000_NS6detail17trampoline_kernelINS0_14default_configENS1_29reduce_by_key_config_selectorIddN6thrust23THRUST_200600_302600_NS4plusIdEEEEZZNS1_33reduce_by_key_impl_wrapped_configILNS1_25lookback_scan_determinismE0ES3_S9_NS6_6detail15normal_iteratorINS6_10device_ptrIdEEEESG_SG_SG_PmS8_NS6_8equal_toIdEEEE10hipError_tPvRmT2_T3_mT4_T5_T6_T7_T8_P12ihipStream_tbENKUlT_T0_E_clISt17integral_constantIbLb0EES11_EEDaSW_SX_EUlSW_E_NS1_11comp_targetILNS1_3genE2ELNS1_11target_archE906ELNS1_3gpuE6ELNS1_3repE0EEENS1_30default_config_static_selectorELNS0_4arch9wavefront6targetE1EEEvT1_,comdat
	.protected	_ZN7rocprim17ROCPRIM_400000_NS6detail17trampoline_kernelINS0_14default_configENS1_29reduce_by_key_config_selectorIddN6thrust23THRUST_200600_302600_NS4plusIdEEEEZZNS1_33reduce_by_key_impl_wrapped_configILNS1_25lookback_scan_determinismE0ES3_S9_NS6_6detail15normal_iteratorINS6_10device_ptrIdEEEESG_SG_SG_PmS8_NS6_8equal_toIdEEEE10hipError_tPvRmT2_T3_mT4_T5_T6_T7_T8_P12ihipStream_tbENKUlT_T0_E_clISt17integral_constantIbLb0EES11_EEDaSW_SX_EUlSW_E_NS1_11comp_targetILNS1_3genE2ELNS1_11target_archE906ELNS1_3gpuE6ELNS1_3repE0EEENS1_30default_config_static_selectorELNS0_4arch9wavefront6targetE1EEEvT1_ ; -- Begin function _ZN7rocprim17ROCPRIM_400000_NS6detail17trampoline_kernelINS0_14default_configENS1_29reduce_by_key_config_selectorIddN6thrust23THRUST_200600_302600_NS4plusIdEEEEZZNS1_33reduce_by_key_impl_wrapped_configILNS1_25lookback_scan_determinismE0ES3_S9_NS6_6detail15normal_iteratorINS6_10device_ptrIdEEEESG_SG_SG_PmS8_NS6_8equal_toIdEEEE10hipError_tPvRmT2_T3_mT4_T5_T6_T7_T8_P12ihipStream_tbENKUlT_T0_E_clISt17integral_constantIbLb0EES11_EEDaSW_SX_EUlSW_E_NS1_11comp_targetILNS1_3genE2ELNS1_11target_archE906ELNS1_3gpuE6ELNS1_3repE0EEENS1_30default_config_static_selectorELNS0_4arch9wavefront6targetE1EEEvT1_
	.globl	_ZN7rocprim17ROCPRIM_400000_NS6detail17trampoline_kernelINS0_14default_configENS1_29reduce_by_key_config_selectorIddN6thrust23THRUST_200600_302600_NS4plusIdEEEEZZNS1_33reduce_by_key_impl_wrapped_configILNS1_25lookback_scan_determinismE0ES3_S9_NS6_6detail15normal_iteratorINS6_10device_ptrIdEEEESG_SG_SG_PmS8_NS6_8equal_toIdEEEE10hipError_tPvRmT2_T3_mT4_T5_T6_T7_T8_P12ihipStream_tbENKUlT_T0_E_clISt17integral_constantIbLb0EES11_EEDaSW_SX_EUlSW_E_NS1_11comp_targetILNS1_3genE2ELNS1_11target_archE906ELNS1_3gpuE6ELNS1_3repE0EEENS1_30default_config_static_selectorELNS0_4arch9wavefront6targetE1EEEvT1_
	.p2align	8
	.type	_ZN7rocprim17ROCPRIM_400000_NS6detail17trampoline_kernelINS0_14default_configENS1_29reduce_by_key_config_selectorIddN6thrust23THRUST_200600_302600_NS4plusIdEEEEZZNS1_33reduce_by_key_impl_wrapped_configILNS1_25lookback_scan_determinismE0ES3_S9_NS6_6detail15normal_iteratorINS6_10device_ptrIdEEEESG_SG_SG_PmS8_NS6_8equal_toIdEEEE10hipError_tPvRmT2_T3_mT4_T5_T6_T7_T8_P12ihipStream_tbENKUlT_T0_E_clISt17integral_constantIbLb0EES11_EEDaSW_SX_EUlSW_E_NS1_11comp_targetILNS1_3genE2ELNS1_11target_archE906ELNS1_3gpuE6ELNS1_3repE0EEENS1_30default_config_static_selectorELNS0_4arch9wavefront6targetE1EEEvT1_,@function
_ZN7rocprim17ROCPRIM_400000_NS6detail17trampoline_kernelINS0_14default_configENS1_29reduce_by_key_config_selectorIddN6thrust23THRUST_200600_302600_NS4plusIdEEEEZZNS1_33reduce_by_key_impl_wrapped_configILNS1_25lookback_scan_determinismE0ES3_S9_NS6_6detail15normal_iteratorINS6_10device_ptrIdEEEESG_SG_SG_PmS8_NS6_8equal_toIdEEEE10hipError_tPvRmT2_T3_mT4_T5_T6_T7_T8_P12ihipStream_tbENKUlT_T0_E_clISt17integral_constantIbLb0EES11_EEDaSW_SX_EUlSW_E_NS1_11comp_targetILNS1_3genE2ELNS1_11target_archE906ELNS1_3gpuE6ELNS1_3repE0EEENS1_30default_config_static_selectorELNS0_4arch9wavefront6targetE1EEEvT1_: ; @_ZN7rocprim17ROCPRIM_400000_NS6detail17trampoline_kernelINS0_14default_configENS1_29reduce_by_key_config_selectorIddN6thrust23THRUST_200600_302600_NS4plusIdEEEEZZNS1_33reduce_by_key_impl_wrapped_configILNS1_25lookback_scan_determinismE0ES3_S9_NS6_6detail15normal_iteratorINS6_10device_ptrIdEEEESG_SG_SG_PmS8_NS6_8equal_toIdEEEE10hipError_tPvRmT2_T3_mT4_T5_T6_T7_T8_P12ihipStream_tbENKUlT_T0_E_clISt17integral_constantIbLb0EES11_EEDaSW_SX_EUlSW_E_NS1_11comp_targetILNS1_3genE2ELNS1_11target_archE906ELNS1_3gpuE6ELNS1_3repE0EEENS1_30default_config_static_selectorELNS0_4arch9wavefront6targetE1EEEvT1_
; %bb.0:
	.section	.rodata,"a",@progbits
	.p2align	6, 0x0
	.amdhsa_kernel _ZN7rocprim17ROCPRIM_400000_NS6detail17trampoline_kernelINS0_14default_configENS1_29reduce_by_key_config_selectorIddN6thrust23THRUST_200600_302600_NS4plusIdEEEEZZNS1_33reduce_by_key_impl_wrapped_configILNS1_25lookback_scan_determinismE0ES3_S9_NS6_6detail15normal_iteratorINS6_10device_ptrIdEEEESG_SG_SG_PmS8_NS6_8equal_toIdEEEE10hipError_tPvRmT2_T3_mT4_T5_T6_T7_T8_P12ihipStream_tbENKUlT_T0_E_clISt17integral_constantIbLb0EES11_EEDaSW_SX_EUlSW_E_NS1_11comp_targetILNS1_3genE2ELNS1_11target_archE906ELNS1_3gpuE6ELNS1_3repE0EEENS1_30default_config_static_selectorELNS0_4arch9wavefront6targetE1EEEvT1_
		.amdhsa_group_segment_fixed_size 0
		.amdhsa_private_segment_fixed_size 0
		.amdhsa_kernarg_size 136
		.amdhsa_user_sgpr_count 6
		.amdhsa_user_sgpr_private_segment_buffer 1
		.amdhsa_user_sgpr_dispatch_ptr 0
		.amdhsa_user_sgpr_queue_ptr 0
		.amdhsa_user_sgpr_kernarg_segment_ptr 1
		.amdhsa_user_sgpr_dispatch_id 0
		.amdhsa_user_sgpr_flat_scratch_init 0
		.amdhsa_user_sgpr_kernarg_preload_length 0
		.amdhsa_user_sgpr_kernarg_preload_offset 0
		.amdhsa_user_sgpr_private_segment_size 0
		.amdhsa_uses_dynamic_stack 0
		.amdhsa_system_sgpr_private_segment_wavefront_offset 0
		.amdhsa_system_sgpr_workgroup_id_x 1
		.amdhsa_system_sgpr_workgroup_id_y 0
		.amdhsa_system_sgpr_workgroup_id_z 0
		.amdhsa_system_sgpr_workgroup_info 0
		.amdhsa_system_vgpr_workitem_id 0
		.amdhsa_next_free_vgpr 1
		.amdhsa_next_free_sgpr 0
		.amdhsa_accum_offset 4
		.amdhsa_reserve_vcc 0
		.amdhsa_reserve_flat_scratch 0
		.amdhsa_float_round_mode_32 0
		.amdhsa_float_round_mode_16_64 0
		.amdhsa_float_denorm_mode_32 3
		.amdhsa_float_denorm_mode_16_64 3
		.amdhsa_dx10_clamp 1
		.amdhsa_ieee_mode 1
		.amdhsa_fp16_overflow 0
		.amdhsa_tg_split 0
		.amdhsa_exception_fp_ieee_invalid_op 0
		.amdhsa_exception_fp_denorm_src 0
		.amdhsa_exception_fp_ieee_div_zero 0
		.amdhsa_exception_fp_ieee_overflow 0
		.amdhsa_exception_fp_ieee_underflow 0
		.amdhsa_exception_fp_ieee_inexact 0
		.amdhsa_exception_int_div_zero 0
	.end_amdhsa_kernel
	.section	.text._ZN7rocprim17ROCPRIM_400000_NS6detail17trampoline_kernelINS0_14default_configENS1_29reduce_by_key_config_selectorIddN6thrust23THRUST_200600_302600_NS4plusIdEEEEZZNS1_33reduce_by_key_impl_wrapped_configILNS1_25lookback_scan_determinismE0ES3_S9_NS6_6detail15normal_iteratorINS6_10device_ptrIdEEEESG_SG_SG_PmS8_NS6_8equal_toIdEEEE10hipError_tPvRmT2_T3_mT4_T5_T6_T7_T8_P12ihipStream_tbENKUlT_T0_E_clISt17integral_constantIbLb0EES11_EEDaSW_SX_EUlSW_E_NS1_11comp_targetILNS1_3genE2ELNS1_11target_archE906ELNS1_3gpuE6ELNS1_3repE0EEENS1_30default_config_static_selectorELNS0_4arch9wavefront6targetE1EEEvT1_,"axG",@progbits,_ZN7rocprim17ROCPRIM_400000_NS6detail17trampoline_kernelINS0_14default_configENS1_29reduce_by_key_config_selectorIddN6thrust23THRUST_200600_302600_NS4plusIdEEEEZZNS1_33reduce_by_key_impl_wrapped_configILNS1_25lookback_scan_determinismE0ES3_S9_NS6_6detail15normal_iteratorINS6_10device_ptrIdEEEESG_SG_SG_PmS8_NS6_8equal_toIdEEEE10hipError_tPvRmT2_T3_mT4_T5_T6_T7_T8_P12ihipStream_tbENKUlT_T0_E_clISt17integral_constantIbLb0EES11_EEDaSW_SX_EUlSW_E_NS1_11comp_targetILNS1_3genE2ELNS1_11target_archE906ELNS1_3gpuE6ELNS1_3repE0EEENS1_30default_config_static_selectorELNS0_4arch9wavefront6targetE1EEEvT1_,comdat
.Lfunc_end16:
	.size	_ZN7rocprim17ROCPRIM_400000_NS6detail17trampoline_kernelINS0_14default_configENS1_29reduce_by_key_config_selectorIddN6thrust23THRUST_200600_302600_NS4plusIdEEEEZZNS1_33reduce_by_key_impl_wrapped_configILNS1_25lookback_scan_determinismE0ES3_S9_NS6_6detail15normal_iteratorINS6_10device_ptrIdEEEESG_SG_SG_PmS8_NS6_8equal_toIdEEEE10hipError_tPvRmT2_T3_mT4_T5_T6_T7_T8_P12ihipStream_tbENKUlT_T0_E_clISt17integral_constantIbLb0EES11_EEDaSW_SX_EUlSW_E_NS1_11comp_targetILNS1_3genE2ELNS1_11target_archE906ELNS1_3gpuE6ELNS1_3repE0EEENS1_30default_config_static_selectorELNS0_4arch9wavefront6targetE1EEEvT1_, .Lfunc_end16-_ZN7rocprim17ROCPRIM_400000_NS6detail17trampoline_kernelINS0_14default_configENS1_29reduce_by_key_config_selectorIddN6thrust23THRUST_200600_302600_NS4plusIdEEEEZZNS1_33reduce_by_key_impl_wrapped_configILNS1_25lookback_scan_determinismE0ES3_S9_NS6_6detail15normal_iteratorINS6_10device_ptrIdEEEESG_SG_SG_PmS8_NS6_8equal_toIdEEEE10hipError_tPvRmT2_T3_mT4_T5_T6_T7_T8_P12ihipStream_tbENKUlT_T0_E_clISt17integral_constantIbLb0EES11_EEDaSW_SX_EUlSW_E_NS1_11comp_targetILNS1_3genE2ELNS1_11target_archE906ELNS1_3gpuE6ELNS1_3repE0EEENS1_30default_config_static_selectorELNS0_4arch9wavefront6targetE1EEEvT1_
                                        ; -- End function
	.section	.AMDGPU.csdata,"",@progbits
; Kernel info:
; codeLenInByte = 0
; NumSgprs: 4
; NumVgprs: 0
; NumAgprs: 0
; TotalNumVgprs: 0
; ScratchSize: 0
; MemoryBound: 0
; FloatMode: 240
; IeeeMode: 1
; LDSByteSize: 0 bytes/workgroup (compile time only)
; SGPRBlocks: 0
; VGPRBlocks: 0
; NumSGPRsForWavesPerEU: 4
; NumVGPRsForWavesPerEU: 1
; AccumOffset: 4
; Occupancy: 8
; WaveLimiterHint : 0
; COMPUTE_PGM_RSRC2:SCRATCH_EN: 0
; COMPUTE_PGM_RSRC2:USER_SGPR: 6
; COMPUTE_PGM_RSRC2:TRAP_HANDLER: 0
; COMPUTE_PGM_RSRC2:TGID_X_EN: 1
; COMPUTE_PGM_RSRC2:TGID_Y_EN: 0
; COMPUTE_PGM_RSRC2:TGID_Z_EN: 0
; COMPUTE_PGM_RSRC2:TIDIG_COMP_CNT: 0
; COMPUTE_PGM_RSRC3_GFX90A:ACCUM_OFFSET: 0
; COMPUTE_PGM_RSRC3_GFX90A:TG_SPLIT: 0
	.section	.text._ZN7rocprim17ROCPRIM_400000_NS6detail17trampoline_kernelINS0_14default_configENS1_29reduce_by_key_config_selectorIddN6thrust23THRUST_200600_302600_NS4plusIdEEEEZZNS1_33reduce_by_key_impl_wrapped_configILNS1_25lookback_scan_determinismE0ES3_S9_NS6_6detail15normal_iteratorINS6_10device_ptrIdEEEESG_SG_SG_PmS8_NS6_8equal_toIdEEEE10hipError_tPvRmT2_T3_mT4_T5_T6_T7_T8_P12ihipStream_tbENKUlT_T0_E_clISt17integral_constantIbLb0EES11_EEDaSW_SX_EUlSW_E_NS1_11comp_targetILNS1_3genE10ELNS1_11target_archE1201ELNS1_3gpuE5ELNS1_3repE0EEENS1_30default_config_static_selectorELNS0_4arch9wavefront6targetE1EEEvT1_,"axG",@progbits,_ZN7rocprim17ROCPRIM_400000_NS6detail17trampoline_kernelINS0_14default_configENS1_29reduce_by_key_config_selectorIddN6thrust23THRUST_200600_302600_NS4plusIdEEEEZZNS1_33reduce_by_key_impl_wrapped_configILNS1_25lookback_scan_determinismE0ES3_S9_NS6_6detail15normal_iteratorINS6_10device_ptrIdEEEESG_SG_SG_PmS8_NS6_8equal_toIdEEEE10hipError_tPvRmT2_T3_mT4_T5_T6_T7_T8_P12ihipStream_tbENKUlT_T0_E_clISt17integral_constantIbLb0EES11_EEDaSW_SX_EUlSW_E_NS1_11comp_targetILNS1_3genE10ELNS1_11target_archE1201ELNS1_3gpuE5ELNS1_3repE0EEENS1_30default_config_static_selectorELNS0_4arch9wavefront6targetE1EEEvT1_,comdat
	.protected	_ZN7rocprim17ROCPRIM_400000_NS6detail17trampoline_kernelINS0_14default_configENS1_29reduce_by_key_config_selectorIddN6thrust23THRUST_200600_302600_NS4plusIdEEEEZZNS1_33reduce_by_key_impl_wrapped_configILNS1_25lookback_scan_determinismE0ES3_S9_NS6_6detail15normal_iteratorINS6_10device_ptrIdEEEESG_SG_SG_PmS8_NS6_8equal_toIdEEEE10hipError_tPvRmT2_T3_mT4_T5_T6_T7_T8_P12ihipStream_tbENKUlT_T0_E_clISt17integral_constantIbLb0EES11_EEDaSW_SX_EUlSW_E_NS1_11comp_targetILNS1_3genE10ELNS1_11target_archE1201ELNS1_3gpuE5ELNS1_3repE0EEENS1_30default_config_static_selectorELNS0_4arch9wavefront6targetE1EEEvT1_ ; -- Begin function _ZN7rocprim17ROCPRIM_400000_NS6detail17trampoline_kernelINS0_14default_configENS1_29reduce_by_key_config_selectorIddN6thrust23THRUST_200600_302600_NS4plusIdEEEEZZNS1_33reduce_by_key_impl_wrapped_configILNS1_25lookback_scan_determinismE0ES3_S9_NS6_6detail15normal_iteratorINS6_10device_ptrIdEEEESG_SG_SG_PmS8_NS6_8equal_toIdEEEE10hipError_tPvRmT2_T3_mT4_T5_T6_T7_T8_P12ihipStream_tbENKUlT_T0_E_clISt17integral_constantIbLb0EES11_EEDaSW_SX_EUlSW_E_NS1_11comp_targetILNS1_3genE10ELNS1_11target_archE1201ELNS1_3gpuE5ELNS1_3repE0EEENS1_30default_config_static_selectorELNS0_4arch9wavefront6targetE1EEEvT1_
	.globl	_ZN7rocprim17ROCPRIM_400000_NS6detail17trampoline_kernelINS0_14default_configENS1_29reduce_by_key_config_selectorIddN6thrust23THRUST_200600_302600_NS4plusIdEEEEZZNS1_33reduce_by_key_impl_wrapped_configILNS1_25lookback_scan_determinismE0ES3_S9_NS6_6detail15normal_iteratorINS6_10device_ptrIdEEEESG_SG_SG_PmS8_NS6_8equal_toIdEEEE10hipError_tPvRmT2_T3_mT4_T5_T6_T7_T8_P12ihipStream_tbENKUlT_T0_E_clISt17integral_constantIbLb0EES11_EEDaSW_SX_EUlSW_E_NS1_11comp_targetILNS1_3genE10ELNS1_11target_archE1201ELNS1_3gpuE5ELNS1_3repE0EEENS1_30default_config_static_selectorELNS0_4arch9wavefront6targetE1EEEvT1_
	.p2align	8
	.type	_ZN7rocprim17ROCPRIM_400000_NS6detail17trampoline_kernelINS0_14default_configENS1_29reduce_by_key_config_selectorIddN6thrust23THRUST_200600_302600_NS4plusIdEEEEZZNS1_33reduce_by_key_impl_wrapped_configILNS1_25lookback_scan_determinismE0ES3_S9_NS6_6detail15normal_iteratorINS6_10device_ptrIdEEEESG_SG_SG_PmS8_NS6_8equal_toIdEEEE10hipError_tPvRmT2_T3_mT4_T5_T6_T7_T8_P12ihipStream_tbENKUlT_T0_E_clISt17integral_constantIbLb0EES11_EEDaSW_SX_EUlSW_E_NS1_11comp_targetILNS1_3genE10ELNS1_11target_archE1201ELNS1_3gpuE5ELNS1_3repE0EEENS1_30default_config_static_selectorELNS0_4arch9wavefront6targetE1EEEvT1_,@function
_ZN7rocprim17ROCPRIM_400000_NS6detail17trampoline_kernelINS0_14default_configENS1_29reduce_by_key_config_selectorIddN6thrust23THRUST_200600_302600_NS4plusIdEEEEZZNS1_33reduce_by_key_impl_wrapped_configILNS1_25lookback_scan_determinismE0ES3_S9_NS6_6detail15normal_iteratorINS6_10device_ptrIdEEEESG_SG_SG_PmS8_NS6_8equal_toIdEEEE10hipError_tPvRmT2_T3_mT4_T5_T6_T7_T8_P12ihipStream_tbENKUlT_T0_E_clISt17integral_constantIbLb0EES11_EEDaSW_SX_EUlSW_E_NS1_11comp_targetILNS1_3genE10ELNS1_11target_archE1201ELNS1_3gpuE5ELNS1_3repE0EEENS1_30default_config_static_selectorELNS0_4arch9wavefront6targetE1EEEvT1_: ; @_ZN7rocprim17ROCPRIM_400000_NS6detail17trampoline_kernelINS0_14default_configENS1_29reduce_by_key_config_selectorIddN6thrust23THRUST_200600_302600_NS4plusIdEEEEZZNS1_33reduce_by_key_impl_wrapped_configILNS1_25lookback_scan_determinismE0ES3_S9_NS6_6detail15normal_iteratorINS6_10device_ptrIdEEEESG_SG_SG_PmS8_NS6_8equal_toIdEEEE10hipError_tPvRmT2_T3_mT4_T5_T6_T7_T8_P12ihipStream_tbENKUlT_T0_E_clISt17integral_constantIbLb0EES11_EEDaSW_SX_EUlSW_E_NS1_11comp_targetILNS1_3genE10ELNS1_11target_archE1201ELNS1_3gpuE5ELNS1_3repE0EEENS1_30default_config_static_selectorELNS0_4arch9wavefront6targetE1EEEvT1_
; %bb.0:
	.section	.rodata,"a",@progbits
	.p2align	6, 0x0
	.amdhsa_kernel _ZN7rocprim17ROCPRIM_400000_NS6detail17trampoline_kernelINS0_14default_configENS1_29reduce_by_key_config_selectorIddN6thrust23THRUST_200600_302600_NS4plusIdEEEEZZNS1_33reduce_by_key_impl_wrapped_configILNS1_25lookback_scan_determinismE0ES3_S9_NS6_6detail15normal_iteratorINS6_10device_ptrIdEEEESG_SG_SG_PmS8_NS6_8equal_toIdEEEE10hipError_tPvRmT2_T3_mT4_T5_T6_T7_T8_P12ihipStream_tbENKUlT_T0_E_clISt17integral_constantIbLb0EES11_EEDaSW_SX_EUlSW_E_NS1_11comp_targetILNS1_3genE10ELNS1_11target_archE1201ELNS1_3gpuE5ELNS1_3repE0EEENS1_30default_config_static_selectorELNS0_4arch9wavefront6targetE1EEEvT1_
		.amdhsa_group_segment_fixed_size 0
		.amdhsa_private_segment_fixed_size 0
		.amdhsa_kernarg_size 136
		.amdhsa_user_sgpr_count 6
		.amdhsa_user_sgpr_private_segment_buffer 1
		.amdhsa_user_sgpr_dispatch_ptr 0
		.amdhsa_user_sgpr_queue_ptr 0
		.amdhsa_user_sgpr_kernarg_segment_ptr 1
		.amdhsa_user_sgpr_dispatch_id 0
		.amdhsa_user_sgpr_flat_scratch_init 0
		.amdhsa_user_sgpr_kernarg_preload_length 0
		.amdhsa_user_sgpr_kernarg_preload_offset 0
		.amdhsa_user_sgpr_private_segment_size 0
		.amdhsa_uses_dynamic_stack 0
		.amdhsa_system_sgpr_private_segment_wavefront_offset 0
		.amdhsa_system_sgpr_workgroup_id_x 1
		.amdhsa_system_sgpr_workgroup_id_y 0
		.amdhsa_system_sgpr_workgroup_id_z 0
		.amdhsa_system_sgpr_workgroup_info 0
		.amdhsa_system_vgpr_workitem_id 0
		.amdhsa_next_free_vgpr 1
		.amdhsa_next_free_sgpr 0
		.amdhsa_accum_offset 4
		.amdhsa_reserve_vcc 0
		.amdhsa_reserve_flat_scratch 0
		.amdhsa_float_round_mode_32 0
		.amdhsa_float_round_mode_16_64 0
		.amdhsa_float_denorm_mode_32 3
		.amdhsa_float_denorm_mode_16_64 3
		.amdhsa_dx10_clamp 1
		.amdhsa_ieee_mode 1
		.amdhsa_fp16_overflow 0
		.amdhsa_tg_split 0
		.amdhsa_exception_fp_ieee_invalid_op 0
		.amdhsa_exception_fp_denorm_src 0
		.amdhsa_exception_fp_ieee_div_zero 0
		.amdhsa_exception_fp_ieee_overflow 0
		.amdhsa_exception_fp_ieee_underflow 0
		.amdhsa_exception_fp_ieee_inexact 0
		.amdhsa_exception_int_div_zero 0
	.end_amdhsa_kernel
	.section	.text._ZN7rocprim17ROCPRIM_400000_NS6detail17trampoline_kernelINS0_14default_configENS1_29reduce_by_key_config_selectorIddN6thrust23THRUST_200600_302600_NS4plusIdEEEEZZNS1_33reduce_by_key_impl_wrapped_configILNS1_25lookback_scan_determinismE0ES3_S9_NS6_6detail15normal_iteratorINS6_10device_ptrIdEEEESG_SG_SG_PmS8_NS6_8equal_toIdEEEE10hipError_tPvRmT2_T3_mT4_T5_T6_T7_T8_P12ihipStream_tbENKUlT_T0_E_clISt17integral_constantIbLb0EES11_EEDaSW_SX_EUlSW_E_NS1_11comp_targetILNS1_3genE10ELNS1_11target_archE1201ELNS1_3gpuE5ELNS1_3repE0EEENS1_30default_config_static_selectorELNS0_4arch9wavefront6targetE1EEEvT1_,"axG",@progbits,_ZN7rocprim17ROCPRIM_400000_NS6detail17trampoline_kernelINS0_14default_configENS1_29reduce_by_key_config_selectorIddN6thrust23THRUST_200600_302600_NS4plusIdEEEEZZNS1_33reduce_by_key_impl_wrapped_configILNS1_25lookback_scan_determinismE0ES3_S9_NS6_6detail15normal_iteratorINS6_10device_ptrIdEEEESG_SG_SG_PmS8_NS6_8equal_toIdEEEE10hipError_tPvRmT2_T3_mT4_T5_T6_T7_T8_P12ihipStream_tbENKUlT_T0_E_clISt17integral_constantIbLb0EES11_EEDaSW_SX_EUlSW_E_NS1_11comp_targetILNS1_3genE10ELNS1_11target_archE1201ELNS1_3gpuE5ELNS1_3repE0EEENS1_30default_config_static_selectorELNS0_4arch9wavefront6targetE1EEEvT1_,comdat
.Lfunc_end17:
	.size	_ZN7rocprim17ROCPRIM_400000_NS6detail17trampoline_kernelINS0_14default_configENS1_29reduce_by_key_config_selectorIddN6thrust23THRUST_200600_302600_NS4plusIdEEEEZZNS1_33reduce_by_key_impl_wrapped_configILNS1_25lookback_scan_determinismE0ES3_S9_NS6_6detail15normal_iteratorINS6_10device_ptrIdEEEESG_SG_SG_PmS8_NS6_8equal_toIdEEEE10hipError_tPvRmT2_T3_mT4_T5_T6_T7_T8_P12ihipStream_tbENKUlT_T0_E_clISt17integral_constantIbLb0EES11_EEDaSW_SX_EUlSW_E_NS1_11comp_targetILNS1_3genE10ELNS1_11target_archE1201ELNS1_3gpuE5ELNS1_3repE0EEENS1_30default_config_static_selectorELNS0_4arch9wavefront6targetE1EEEvT1_, .Lfunc_end17-_ZN7rocprim17ROCPRIM_400000_NS6detail17trampoline_kernelINS0_14default_configENS1_29reduce_by_key_config_selectorIddN6thrust23THRUST_200600_302600_NS4plusIdEEEEZZNS1_33reduce_by_key_impl_wrapped_configILNS1_25lookback_scan_determinismE0ES3_S9_NS6_6detail15normal_iteratorINS6_10device_ptrIdEEEESG_SG_SG_PmS8_NS6_8equal_toIdEEEE10hipError_tPvRmT2_T3_mT4_T5_T6_T7_T8_P12ihipStream_tbENKUlT_T0_E_clISt17integral_constantIbLb0EES11_EEDaSW_SX_EUlSW_E_NS1_11comp_targetILNS1_3genE10ELNS1_11target_archE1201ELNS1_3gpuE5ELNS1_3repE0EEENS1_30default_config_static_selectorELNS0_4arch9wavefront6targetE1EEEvT1_
                                        ; -- End function
	.section	.AMDGPU.csdata,"",@progbits
; Kernel info:
; codeLenInByte = 0
; NumSgprs: 4
; NumVgprs: 0
; NumAgprs: 0
; TotalNumVgprs: 0
; ScratchSize: 0
; MemoryBound: 0
; FloatMode: 240
; IeeeMode: 1
; LDSByteSize: 0 bytes/workgroup (compile time only)
; SGPRBlocks: 0
; VGPRBlocks: 0
; NumSGPRsForWavesPerEU: 4
; NumVGPRsForWavesPerEU: 1
; AccumOffset: 4
; Occupancy: 8
; WaveLimiterHint : 0
; COMPUTE_PGM_RSRC2:SCRATCH_EN: 0
; COMPUTE_PGM_RSRC2:USER_SGPR: 6
; COMPUTE_PGM_RSRC2:TRAP_HANDLER: 0
; COMPUTE_PGM_RSRC2:TGID_X_EN: 1
; COMPUTE_PGM_RSRC2:TGID_Y_EN: 0
; COMPUTE_PGM_RSRC2:TGID_Z_EN: 0
; COMPUTE_PGM_RSRC2:TIDIG_COMP_CNT: 0
; COMPUTE_PGM_RSRC3_GFX90A:ACCUM_OFFSET: 0
; COMPUTE_PGM_RSRC3_GFX90A:TG_SPLIT: 0
	.section	.text._ZN7rocprim17ROCPRIM_400000_NS6detail17trampoline_kernelINS0_14default_configENS1_29reduce_by_key_config_selectorIddN6thrust23THRUST_200600_302600_NS4plusIdEEEEZZNS1_33reduce_by_key_impl_wrapped_configILNS1_25lookback_scan_determinismE0ES3_S9_NS6_6detail15normal_iteratorINS6_10device_ptrIdEEEESG_SG_SG_PmS8_NS6_8equal_toIdEEEE10hipError_tPvRmT2_T3_mT4_T5_T6_T7_T8_P12ihipStream_tbENKUlT_T0_E_clISt17integral_constantIbLb0EES11_EEDaSW_SX_EUlSW_E_NS1_11comp_targetILNS1_3genE10ELNS1_11target_archE1200ELNS1_3gpuE4ELNS1_3repE0EEENS1_30default_config_static_selectorELNS0_4arch9wavefront6targetE1EEEvT1_,"axG",@progbits,_ZN7rocprim17ROCPRIM_400000_NS6detail17trampoline_kernelINS0_14default_configENS1_29reduce_by_key_config_selectorIddN6thrust23THRUST_200600_302600_NS4plusIdEEEEZZNS1_33reduce_by_key_impl_wrapped_configILNS1_25lookback_scan_determinismE0ES3_S9_NS6_6detail15normal_iteratorINS6_10device_ptrIdEEEESG_SG_SG_PmS8_NS6_8equal_toIdEEEE10hipError_tPvRmT2_T3_mT4_T5_T6_T7_T8_P12ihipStream_tbENKUlT_T0_E_clISt17integral_constantIbLb0EES11_EEDaSW_SX_EUlSW_E_NS1_11comp_targetILNS1_3genE10ELNS1_11target_archE1200ELNS1_3gpuE4ELNS1_3repE0EEENS1_30default_config_static_selectorELNS0_4arch9wavefront6targetE1EEEvT1_,comdat
	.protected	_ZN7rocprim17ROCPRIM_400000_NS6detail17trampoline_kernelINS0_14default_configENS1_29reduce_by_key_config_selectorIddN6thrust23THRUST_200600_302600_NS4plusIdEEEEZZNS1_33reduce_by_key_impl_wrapped_configILNS1_25lookback_scan_determinismE0ES3_S9_NS6_6detail15normal_iteratorINS6_10device_ptrIdEEEESG_SG_SG_PmS8_NS6_8equal_toIdEEEE10hipError_tPvRmT2_T3_mT4_T5_T6_T7_T8_P12ihipStream_tbENKUlT_T0_E_clISt17integral_constantIbLb0EES11_EEDaSW_SX_EUlSW_E_NS1_11comp_targetILNS1_3genE10ELNS1_11target_archE1200ELNS1_3gpuE4ELNS1_3repE0EEENS1_30default_config_static_selectorELNS0_4arch9wavefront6targetE1EEEvT1_ ; -- Begin function _ZN7rocprim17ROCPRIM_400000_NS6detail17trampoline_kernelINS0_14default_configENS1_29reduce_by_key_config_selectorIddN6thrust23THRUST_200600_302600_NS4plusIdEEEEZZNS1_33reduce_by_key_impl_wrapped_configILNS1_25lookback_scan_determinismE0ES3_S9_NS6_6detail15normal_iteratorINS6_10device_ptrIdEEEESG_SG_SG_PmS8_NS6_8equal_toIdEEEE10hipError_tPvRmT2_T3_mT4_T5_T6_T7_T8_P12ihipStream_tbENKUlT_T0_E_clISt17integral_constantIbLb0EES11_EEDaSW_SX_EUlSW_E_NS1_11comp_targetILNS1_3genE10ELNS1_11target_archE1200ELNS1_3gpuE4ELNS1_3repE0EEENS1_30default_config_static_selectorELNS0_4arch9wavefront6targetE1EEEvT1_
	.globl	_ZN7rocprim17ROCPRIM_400000_NS6detail17trampoline_kernelINS0_14default_configENS1_29reduce_by_key_config_selectorIddN6thrust23THRUST_200600_302600_NS4plusIdEEEEZZNS1_33reduce_by_key_impl_wrapped_configILNS1_25lookback_scan_determinismE0ES3_S9_NS6_6detail15normal_iteratorINS6_10device_ptrIdEEEESG_SG_SG_PmS8_NS6_8equal_toIdEEEE10hipError_tPvRmT2_T3_mT4_T5_T6_T7_T8_P12ihipStream_tbENKUlT_T0_E_clISt17integral_constantIbLb0EES11_EEDaSW_SX_EUlSW_E_NS1_11comp_targetILNS1_3genE10ELNS1_11target_archE1200ELNS1_3gpuE4ELNS1_3repE0EEENS1_30default_config_static_selectorELNS0_4arch9wavefront6targetE1EEEvT1_
	.p2align	8
	.type	_ZN7rocprim17ROCPRIM_400000_NS6detail17trampoline_kernelINS0_14default_configENS1_29reduce_by_key_config_selectorIddN6thrust23THRUST_200600_302600_NS4plusIdEEEEZZNS1_33reduce_by_key_impl_wrapped_configILNS1_25lookback_scan_determinismE0ES3_S9_NS6_6detail15normal_iteratorINS6_10device_ptrIdEEEESG_SG_SG_PmS8_NS6_8equal_toIdEEEE10hipError_tPvRmT2_T3_mT4_T5_T6_T7_T8_P12ihipStream_tbENKUlT_T0_E_clISt17integral_constantIbLb0EES11_EEDaSW_SX_EUlSW_E_NS1_11comp_targetILNS1_3genE10ELNS1_11target_archE1200ELNS1_3gpuE4ELNS1_3repE0EEENS1_30default_config_static_selectorELNS0_4arch9wavefront6targetE1EEEvT1_,@function
_ZN7rocprim17ROCPRIM_400000_NS6detail17trampoline_kernelINS0_14default_configENS1_29reduce_by_key_config_selectorIddN6thrust23THRUST_200600_302600_NS4plusIdEEEEZZNS1_33reduce_by_key_impl_wrapped_configILNS1_25lookback_scan_determinismE0ES3_S9_NS6_6detail15normal_iteratorINS6_10device_ptrIdEEEESG_SG_SG_PmS8_NS6_8equal_toIdEEEE10hipError_tPvRmT2_T3_mT4_T5_T6_T7_T8_P12ihipStream_tbENKUlT_T0_E_clISt17integral_constantIbLb0EES11_EEDaSW_SX_EUlSW_E_NS1_11comp_targetILNS1_3genE10ELNS1_11target_archE1200ELNS1_3gpuE4ELNS1_3repE0EEENS1_30default_config_static_selectorELNS0_4arch9wavefront6targetE1EEEvT1_: ; @_ZN7rocprim17ROCPRIM_400000_NS6detail17trampoline_kernelINS0_14default_configENS1_29reduce_by_key_config_selectorIddN6thrust23THRUST_200600_302600_NS4plusIdEEEEZZNS1_33reduce_by_key_impl_wrapped_configILNS1_25lookback_scan_determinismE0ES3_S9_NS6_6detail15normal_iteratorINS6_10device_ptrIdEEEESG_SG_SG_PmS8_NS6_8equal_toIdEEEE10hipError_tPvRmT2_T3_mT4_T5_T6_T7_T8_P12ihipStream_tbENKUlT_T0_E_clISt17integral_constantIbLb0EES11_EEDaSW_SX_EUlSW_E_NS1_11comp_targetILNS1_3genE10ELNS1_11target_archE1200ELNS1_3gpuE4ELNS1_3repE0EEENS1_30default_config_static_selectorELNS0_4arch9wavefront6targetE1EEEvT1_
; %bb.0:
	.section	.rodata,"a",@progbits
	.p2align	6, 0x0
	.amdhsa_kernel _ZN7rocprim17ROCPRIM_400000_NS6detail17trampoline_kernelINS0_14default_configENS1_29reduce_by_key_config_selectorIddN6thrust23THRUST_200600_302600_NS4plusIdEEEEZZNS1_33reduce_by_key_impl_wrapped_configILNS1_25lookback_scan_determinismE0ES3_S9_NS6_6detail15normal_iteratorINS6_10device_ptrIdEEEESG_SG_SG_PmS8_NS6_8equal_toIdEEEE10hipError_tPvRmT2_T3_mT4_T5_T6_T7_T8_P12ihipStream_tbENKUlT_T0_E_clISt17integral_constantIbLb0EES11_EEDaSW_SX_EUlSW_E_NS1_11comp_targetILNS1_3genE10ELNS1_11target_archE1200ELNS1_3gpuE4ELNS1_3repE0EEENS1_30default_config_static_selectorELNS0_4arch9wavefront6targetE1EEEvT1_
		.amdhsa_group_segment_fixed_size 0
		.amdhsa_private_segment_fixed_size 0
		.amdhsa_kernarg_size 136
		.amdhsa_user_sgpr_count 6
		.amdhsa_user_sgpr_private_segment_buffer 1
		.amdhsa_user_sgpr_dispatch_ptr 0
		.amdhsa_user_sgpr_queue_ptr 0
		.amdhsa_user_sgpr_kernarg_segment_ptr 1
		.amdhsa_user_sgpr_dispatch_id 0
		.amdhsa_user_sgpr_flat_scratch_init 0
		.amdhsa_user_sgpr_kernarg_preload_length 0
		.amdhsa_user_sgpr_kernarg_preload_offset 0
		.amdhsa_user_sgpr_private_segment_size 0
		.amdhsa_uses_dynamic_stack 0
		.amdhsa_system_sgpr_private_segment_wavefront_offset 0
		.amdhsa_system_sgpr_workgroup_id_x 1
		.amdhsa_system_sgpr_workgroup_id_y 0
		.amdhsa_system_sgpr_workgroup_id_z 0
		.amdhsa_system_sgpr_workgroup_info 0
		.amdhsa_system_vgpr_workitem_id 0
		.amdhsa_next_free_vgpr 1
		.amdhsa_next_free_sgpr 0
		.amdhsa_accum_offset 4
		.amdhsa_reserve_vcc 0
		.amdhsa_reserve_flat_scratch 0
		.amdhsa_float_round_mode_32 0
		.amdhsa_float_round_mode_16_64 0
		.amdhsa_float_denorm_mode_32 3
		.amdhsa_float_denorm_mode_16_64 3
		.amdhsa_dx10_clamp 1
		.amdhsa_ieee_mode 1
		.amdhsa_fp16_overflow 0
		.amdhsa_tg_split 0
		.amdhsa_exception_fp_ieee_invalid_op 0
		.amdhsa_exception_fp_denorm_src 0
		.amdhsa_exception_fp_ieee_div_zero 0
		.amdhsa_exception_fp_ieee_overflow 0
		.amdhsa_exception_fp_ieee_underflow 0
		.amdhsa_exception_fp_ieee_inexact 0
		.amdhsa_exception_int_div_zero 0
	.end_amdhsa_kernel
	.section	.text._ZN7rocprim17ROCPRIM_400000_NS6detail17trampoline_kernelINS0_14default_configENS1_29reduce_by_key_config_selectorIddN6thrust23THRUST_200600_302600_NS4plusIdEEEEZZNS1_33reduce_by_key_impl_wrapped_configILNS1_25lookback_scan_determinismE0ES3_S9_NS6_6detail15normal_iteratorINS6_10device_ptrIdEEEESG_SG_SG_PmS8_NS6_8equal_toIdEEEE10hipError_tPvRmT2_T3_mT4_T5_T6_T7_T8_P12ihipStream_tbENKUlT_T0_E_clISt17integral_constantIbLb0EES11_EEDaSW_SX_EUlSW_E_NS1_11comp_targetILNS1_3genE10ELNS1_11target_archE1200ELNS1_3gpuE4ELNS1_3repE0EEENS1_30default_config_static_selectorELNS0_4arch9wavefront6targetE1EEEvT1_,"axG",@progbits,_ZN7rocprim17ROCPRIM_400000_NS6detail17trampoline_kernelINS0_14default_configENS1_29reduce_by_key_config_selectorIddN6thrust23THRUST_200600_302600_NS4plusIdEEEEZZNS1_33reduce_by_key_impl_wrapped_configILNS1_25lookback_scan_determinismE0ES3_S9_NS6_6detail15normal_iteratorINS6_10device_ptrIdEEEESG_SG_SG_PmS8_NS6_8equal_toIdEEEE10hipError_tPvRmT2_T3_mT4_T5_T6_T7_T8_P12ihipStream_tbENKUlT_T0_E_clISt17integral_constantIbLb0EES11_EEDaSW_SX_EUlSW_E_NS1_11comp_targetILNS1_3genE10ELNS1_11target_archE1200ELNS1_3gpuE4ELNS1_3repE0EEENS1_30default_config_static_selectorELNS0_4arch9wavefront6targetE1EEEvT1_,comdat
.Lfunc_end18:
	.size	_ZN7rocprim17ROCPRIM_400000_NS6detail17trampoline_kernelINS0_14default_configENS1_29reduce_by_key_config_selectorIddN6thrust23THRUST_200600_302600_NS4plusIdEEEEZZNS1_33reduce_by_key_impl_wrapped_configILNS1_25lookback_scan_determinismE0ES3_S9_NS6_6detail15normal_iteratorINS6_10device_ptrIdEEEESG_SG_SG_PmS8_NS6_8equal_toIdEEEE10hipError_tPvRmT2_T3_mT4_T5_T6_T7_T8_P12ihipStream_tbENKUlT_T0_E_clISt17integral_constantIbLb0EES11_EEDaSW_SX_EUlSW_E_NS1_11comp_targetILNS1_3genE10ELNS1_11target_archE1200ELNS1_3gpuE4ELNS1_3repE0EEENS1_30default_config_static_selectorELNS0_4arch9wavefront6targetE1EEEvT1_, .Lfunc_end18-_ZN7rocprim17ROCPRIM_400000_NS6detail17trampoline_kernelINS0_14default_configENS1_29reduce_by_key_config_selectorIddN6thrust23THRUST_200600_302600_NS4plusIdEEEEZZNS1_33reduce_by_key_impl_wrapped_configILNS1_25lookback_scan_determinismE0ES3_S9_NS6_6detail15normal_iteratorINS6_10device_ptrIdEEEESG_SG_SG_PmS8_NS6_8equal_toIdEEEE10hipError_tPvRmT2_T3_mT4_T5_T6_T7_T8_P12ihipStream_tbENKUlT_T0_E_clISt17integral_constantIbLb0EES11_EEDaSW_SX_EUlSW_E_NS1_11comp_targetILNS1_3genE10ELNS1_11target_archE1200ELNS1_3gpuE4ELNS1_3repE0EEENS1_30default_config_static_selectorELNS0_4arch9wavefront6targetE1EEEvT1_
                                        ; -- End function
	.section	.AMDGPU.csdata,"",@progbits
; Kernel info:
; codeLenInByte = 0
; NumSgprs: 4
; NumVgprs: 0
; NumAgprs: 0
; TotalNumVgprs: 0
; ScratchSize: 0
; MemoryBound: 0
; FloatMode: 240
; IeeeMode: 1
; LDSByteSize: 0 bytes/workgroup (compile time only)
; SGPRBlocks: 0
; VGPRBlocks: 0
; NumSGPRsForWavesPerEU: 4
; NumVGPRsForWavesPerEU: 1
; AccumOffset: 4
; Occupancy: 8
; WaveLimiterHint : 0
; COMPUTE_PGM_RSRC2:SCRATCH_EN: 0
; COMPUTE_PGM_RSRC2:USER_SGPR: 6
; COMPUTE_PGM_RSRC2:TRAP_HANDLER: 0
; COMPUTE_PGM_RSRC2:TGID_X_EN: 1
; COMPUTE_PGM_RSRC2:TGID_Y_EN: 0
; COMPUTE_PGM_RSRC2:TGID_Z_EN: 0
; COMPUTE_PGM_RSRC2:TIDIG_COMP_CNT: 0
; COMPUTE_PGM_RSRC3_GFX90A:ACCUM_OFFSET: 0
; COMPUTE_PGM_RSRC3_GFX90A:TG_SPLIT: 0
	.section	.text._ZN7rocprim17ROCPRIM_400000_NS6detail17trampoline_kernelINS0_14default_configENS1_29reduce_by_key_config_selectorIddN6thrust23THRUST_200600_302600_NS4plusIdEEEEZZNS1_33reduce_by_key_impl_wrapped_configILNS1_25lookback_scan_determinismE0ES3_S9_NS6_6detail15normal_iteratorINS6_10device_ptrIdEEEESG_SG_SG_PmS8_NS6_8equal_toIdEEEE10hipError_tPvRmT2_T3_mT4_T5_T6_T7_T8_P12ihipStream_tbENKUlT_T0_E_clISt17integral_constantIbLb0EES11_EEDaSW_SX_EUlSW_E_NS1_11comp_targetILNS1_3genE9ELNS1_11target_archE1100ELNS1_3gpuE3ELNS1_3repE0EEENS1_30default_config_static_selectorELNS0_4arch9wavefront6targetE1EEEvT1_,"axG",@progbits,_ZN7rocprim17ROCPRIM_400000_NS6detail17trampoline_kernelINS0_14default_configENS1_29reduce_by_key_config_selectorIddN6thrust23THRUST_200600_302600_NS4plusIdEEEEZZNS1_33reduce_by_key_impl_wrapped_configILNS1_25lookback_scan_determinismE0ES3_S9_NS6_6detail15normal_iteratorINS6_10device_ptrIdEEEESG_SG_SG_PmS8_NS6_8equal_toIdEEEE10hipError_tPvRmT2_T3_mT4_T5_T6_T7_T8_P12ihipStream_tbENKUlT_T0_E_clISt17integral_constantIbLb0EES11_EEDaSW_SX_EUlSW_E_NS1_11comp_targetILNS1_3genE9ELNS1_11target_archE1100ELNS1_3gpuE3ELNS1_3repE0EEENS1_30default_config_static_selectorELNS0_4arch9wavefront6targetE1EEEvT1_,comdat
	.protected	_ZN7rocprim17ROCPRIM_400000_NS6detail17trampoline_kernelINS0_14default_configENS1_29reduce_by_key_config_selectorIddN6thrust23THRUST_200600_302600_NS4plusIdEEEEZZNS1_33reduce_by_key_impl_wrapped_configILNS1_25lookback_scan_determinismE0ES3_S9_NS6_6detail15normal_iteratorINS6_10device_ptrIdEEEESG_SG_SG_PmS8_NS6_8equal_toIdEEEE10hipError_tPvRmT2_T3_mT4_T5_T6_T7_T8_P12ihipStream_tbENKUlT_T0_E_clISt17integral_constantIbLb0EES11_EEDaSW_SX_EUlSW_E_NS1_11comp_targetILNS1_3genE9ELNS1_11target_archE1100ELNS1_3gpuE3ELNS1_3repE0EEENS1_30default_config_static_selectorELNS0_4arch9wavefront6targetE1EEEvT1_ ; -- Begin function _ZN7rocprim17ROCPRIM_400000_NS6detail17trampoline_kernelINS0_14default_configENS1_29reduce_by_key_config_selectorIddN6thrust23THRUST_200600_302600_NS4plusIdEEEEZZNS1_33reduce_by_key_impl_wrapped_configILNS1_25lookback_scan_determinismE0ES3_S9_NS6_6detail15normal_iteratorINS6_10device_ptrIdEEEESG_SG_SG_PmS8_NS6_8equal_toIdEEEE10hipError_tPvRmT2_T3_mT4_T5_T6_T7_T8_P12ihipStream_tbENKUlT_T0_E_clISt17integral_constantIbLb0EES11_EEDaSW_SX_EUlSW_E_NS1_11comp_targetILNS1_3genE9ELNS1_11target_archE1100ELNS1_3gpuE3ELNS1_3repE0EEENS1_30default_config_static_selectorELNS0_4arch9wavefront6targetE1EEEvT1_
	.globl	_ZN7rocprim17ROCPRIM_400000_NS6detail17trampoline_kernelINS0_14default_configENS1_29reduce_by_key_config_selectorIddN6thrust23THRUST_200600_302600_NS4plusIdEEEEZZNS1_33reduce_by_key_impl_wrapped_configILNS1_25lookback_scan_determinismE0ES3_S9_NS6_6detail15normal_iteratorINS6_10device_ptrIdEEEESG_SG_SG_PmS8_NS6_8equal_toIdEEEE10hipError_tPvRmT2_T3_mT4_T5_T6_T7_T8_P12ihipStream_tbENKUlT_T0_E_clISt17integral_constantIbLb0EES11_EEDaSW_SX_EUlSW_E_NS1_11comp_targetILNS1_3genE9ELNS1_11target_archE1100ELNS1_3gpuE3ELNS1_3repE0EEENS1_30default_config_static_selectorELNS0_4arch9wavefront6targetE1EEEvT1_
	.p2align	8
	.type	_ZN7rocprim17ROCPRIM_400000_NS6detail17trampoline_kernelINS0_14default_configENS1_29reduce_by_key_config_selectorIddN6thrust23THRUST_200600_302600_NS4plusIdEEEEZZNS1_33reduce_by_key_impl_wrapped_configILNS1_25lookback_scan_determinismE0ES3_S9_NS6_6detail15normal_iteratorINS6_10device_ptrIdEEEESG_SG_SG_PmS8_NS6_8equal_toIdEEEE10hipError_tPvRmT2_T3_mT4_T5_T6_T7_T8_P12ihipStream_tbENKUlT_T0_E_clISt17integral_constantIbLb0EES11_EEDaSW_SX_EUlSW_E_NS1_11comp_targetILNS1_3genE9ELNS1_11target_archE1100ELNS1_3gpuE3ELNS1_3repE0EEENS1_30default_config_static_selectorELNS0_4arch9wavefront6targetE1EEEvT1_,@function
_ZN7rocprim17ROCPRIM_400000_NS6detail17trampoline_kernelINS0_14default_configENS1_29reduce_by_key_config_selectorIddN6thrust23THRUST_200600_302600_NS4plusIdEEEEZZNS1_33reduce_by_key_impl_wrapped_configILNS1_25lookback_scan_determinismE0ES3_S9_NS6_6detail15normal_iteratorINS6_10device_ptrIdEEEESG_SG_SG_PmS8_NS6_8equal_toIdEEEE10hipError_tPvRmT2_T3_mT4_T5_T6_T7_T8_P12ihipStream_tbENKUlT_T0_E_clISt17integral_constantIbLb0EES11_EEDaSW_SX_EUlSW_E_NS1_11comp_targetILNS1_3genE9ELNS1_11target_archE1100ELNS1_3gpuE3ELNS1_3repE0EEENS1_30default_config_static_selectorELNS0_4arch9wavefront6targetE1EEEvT1_: ; @_ZN7rocprim17ROCPRIM_400000_NS6detail17trampoline_kernelINS0_14default_configENS1_29reduce_by_key_config_selectorIddN6thrust23THRUST_200600_302600_NS4plusIdEEEEZZNS1_33reduce_by_key_impl_wrapped_configILNS1_25lookback_scan_determinismE0ES3_S9_NS6_6detail15normal_iteratorINS6_10device_ptrIdEEEESG_SG_SG_PmS8_NS6_8equal_toIdEEEE10hipError_tPvRmT2_T3_mT4_T5_T6_T7_T8_P12ihipStream_tbENKUlT_T0_E_clISt17integral_constantIbLb0EES11_EEDaSW_SX_EUlSW_E_NS1_11comp_targetILNS1_3genE9ELNS1_11target_archE1100ELNS1_3gpuE3ELNS1_3repE0EEENS1_30default_config_static_selectorELNS0_4arch9wavefront6targetE1EEEvT1_
; %bb.0:
	.section	.rodata,"a",@progbits
	.p2align	6, 0x0
	.amdhsa_kernel _ZN7rocprim17ROCPRIM_400000_NS6detail17trampoline_kernelINS0_14default_configENS1_29reduce_by_key_config_selectorIddN6thrust23THRUST_200600_302600_NS4plusIdEEEEZZNS1_33reduce_by_key_impl_wrapped_configILNS1_25lookback_scan_determinismE0ES3_S9_NS6_6detail15normal_iteratorINS6_10device_ptrIdEEEESG_SG_SG_PmS8_NS6_8equal_toIdEEEE10hipError_tPvRmT2_T3_mT4_T5_T6_T7_T8_P12ihipStream_tbENKUlT_T0_E_clISt17integral_constantIbLb0EES11_EEDaSW_SX_EUlSW_E_NS1_11comp_targetILNS1_3genE9ELNS1_11target_archE1100ELNS1_3gpuE3ELNS1_3repE0EEENS1_30default_config_static_selectorELNS0_4arch9wavefront6targetE1EEEvT1_
		.amdhsa_group_segment_fixed_size 0
		.amdhsa_private_segment_fixed_size 0
		.amdhsa_kernarg_size 136
		.amdhsa_user_sgpr_count 6
		.amdhsa_user_sgpr_private_segment_buffer 1
		.amdhsa_user_sgpr_dispatch_ptr 0
		.amdhsa_user_sgpr_queue_ptr 0
		.amdhsa_user_sgpr_kernarg_segment_ptr 1
		.amdhsa_user_sgpr_dispatch_id 0
		.amdhsa_user_sgpr_flat_scratch_init 0
		.amdhsa_user_sgpr_kernarg_preload_length 0
		.amdhsa_user_sgpr_kernarg_preload_offset 0
		.amdhsa_user_sgpr_private_segment_size 0
		.amdhsa_uses_dynamic_stack 0
		.amdhsa_system_sgpr_private_segment_wavefront_offset 0
		.amdhsa_system_sgpr_workgroup_id_x 1
		.amdhsa_system_sgpr_workgroup_id_y 0
		.amdhsa_system_sgpr_workgroup_id_z 0
		.amdhsa_system_sgpr_workgroup_info 0
		.amdhsa_system_vgpr_workitem_id 0
		.amdhsa_next_free_vgpr 1
		.amdhsa_next_free_sgpr 0
		.amdhsa_accum_offset 4
		.amdhsa_reserve_vcc 0
		.amdhsa_reserve_flat_scratch 0
		.amdhsa_float_round_mode_32 0
		.amdhsa_float_round_mode_16_64 0
		.amdhsa_float_denorm_mode_32 3
		.amdhsa_float_denorm_mode_16_64 3
		.amdhsa_dx10_clamp 1
		.amdhsa_ieee_mode 1
		.amdhsa_fp16_overflow 0
		.amdhsa_tg_split 0
		.amdhsa_exception_fp_ieee_invalid_op 0
		.amdhsa_exception_fp_denorm_src 0
		.amdhsa_exception_fp_ieee_div_zero 0
		.amdhsa_exception_fp_ieee_overflow 0
		.amdhsa_exception_fp_ieee_underflow 0
		.amdhsa_exception_fp_ieee_inexact 0
		.amdhsa_exception_int_div_zero 0
	.end_amdhsa_kernel
	.section	.text._ZN7rocprim17ROCPRIM_400000_NS6detail17trampoline_kernelINS0_14default_configENS1_29reduce_by_key_config_selectorIddN6thrust23THRUST_200600_302600_NS4plusIdEEEEZZNS1_33reduce_by_key_impl_wrapped_configILNS1_25lookback_scan_determinismE0ES3_S9_NS6_6detail15normal_iteratorINS6_10device_ptrIdEEEESG_SG_SG_PmS8_NS6_8equal_toIdEEEE10hipError_tPvRmT2_T3_mT4_T5_T6_T7_T8_P12ihipStream_tbENKUlT_T0_E_clISt17integral_constantIbLb0EES11_EEDaSW_SX_EUlSW_E_NS1_11comp_targetILNS1_3genE9ELNS1_11target_archE1100ELNS1_3gpuE3ELNS1_3repE0EEENS1_30default_config_static_selectorELNS0_4arch9wavefront6targetE1EEEvT1_,"axG",@progbits,_ZN7rocprim17ROCPRIM_400000_NS6detail17trampoline_kernelINS0_14default_configENS1_29reduce_by_key_config_selectorIddN6thrust23THRUST_200600_302600_NS4plusIdEEEEZZNS1_33reduce_by_key_impl_wrapped_configILNS1_25lookback_scan_determinismE0ES3_S9_NS6_6detail15normal_iteratorINS6_10device_ptrIdEEEESG_SG_SG_PmS8_NS6_8equal_toIdEEEE10hipError_tPvRmT2_T3_mT4_T5_T6_T7_T8_P12ihipStream_tbENKUlT_T0_E_clISt17integral_constantIbLb0EES11_EEDaSW_SX_EUlSW_E_NS1_11comp_targetILNS1_3genE9ELNS1_11target_archE1100ELNS1_3gpuE3ELNS1_3repE0EEENS1_30default_config_static_selectorELNS0_4arch9wavefront6targetE1EEEvT1_,comdat
.Lfunc_end19:
	.size	_ZN7rocprim17ROCPRIM_400000_NS6detail17trampoline_kernelINS0_14default_configENS1_29reduce_by_key_config_selectorIddN6thrust23THRUST_200600_302600_NS4plusIdEEEEZZNS1_33reduce_by_key_impl_wrapped_configILNS1_25lookback_scan_determinismE0ES3_S9_NS6_6detail15normal_iteratorINS6_10device_ptrIdEEEESG_SG_SG_PmS8_NS6_8equal_toIdEEEE10hipError_tPvRmT2_T3_mT4_T5_T6_T7_T8_P12ihipStream_tbENKUlT_T0_E_clISt17integral_constantIbLb0EES11_EEDaSW_SX_EUlSW_E_NS1_11comp_targetILNS1_3genE9ELNS1_11target_archE1100ELNS1_3gpuE3ELNS1_3repE0EEENS1_30default_config_static_selectorELNS0_4arch9wavefront6targetE1EEEvT1_, .Lfunc_end19-_ZN7rocprim17ROCPRIM_400000_NS6detail17trampoline_kernelINS0_14default_configENS1_29reduce_by_key_config_selectorIddN6thrust23THRUST_200600_302600_NS4plusIdEEEEZZNS1_33reduce_by_key_impl_wrapped_configILNS1_25lookback_scan_determinismE0ES3_S9_NS6_6detail15normal_iteratorINS6_10device_ptrIdEEEESG_SG_SG_PmS8_NS6_8equal_toIdEEEE10hipError_tPvRmT2_T3_mT4_T5_T6_T7_T8_P12ihipStream_tbENKUlT_T0_E_clISt17integral_constantIbLb0EES11_EEDaSW_SX_EUlSW_E_NS1_11comp_targetILNS1_3genE9ELNS1_11target_archE1100ELNS1_3gpuE3ELNS1_3repE0EEENS1_30default_config_static_selectorELNS0_4arch9wavefront6targetE1EEEvT1_
                                        ; -- End function
	.section	.AMDGPU.csdata,"",@progbits
; Kernel info:
; codeLenInByte = 0
; NumSgprs: 4
; NumVgprs: 0
; NumAgprs: 0
; TotalNumVgprs: 0
; ScratchSize: 0
; MemoryBound: 0
; FloatMode: 240
; IeeeMode: 1
; LDSByteSize: 0 bytes/workgroup (compile time only)
; SGPRBlocks: 0
; VGPRBlocks: 0
; NumSGPRsForWavesPerEU: 4
; NumVGPRsForWavesPerEU: 1
; AccumOffset: 4
; Occupancy: 8
; WaveLimiterHint : 0
; COMPUTE_PGM_RSRC2:SCRATCH_EN: 0
; COMPUTE_PGM_RSRC2:USER_SGPR: 6
; COMPUTE_PGM_RSRC2:TRAP_HANDLER: 0
; COMPUTE_PGM_RSRC2:TGID_X_EN: 1
; COMPUTE_PGM_RSRC2:TGID_Y_EN: 0
; COMPUTE_PGM_RSRC2:TGID_Z_EN: 0
; COMPUTE_PGM_RSRC2:TIDIG_COMP_CNT: 0
; COMPUTE_PGM_RSRC3_GFX90A:ACCUM_OFFSET: 0
; COMPUTE_PGM_RSRC3_GFX90A:TG_SPLIT: 0
	.section	.text._ZN7rocprim17ROCPRIM_400000_NS6detail17trampoline_kernelINS0_14default_configENS1_29reduce_by_key_config_selectorIddN6thrust23THRUST_200600_302600_NS4plusIdEEEEZZNS1_33reduce_by_key_impl_wrapped_configILNS1_25lookback_scan_determinismE0ES3_S9_NS6_6detail15normal_iteratorINS6_10device_ptrIdEEEESG_SG_SG_PmS8_NS6_8equal_toIdEEEE10hipError_tPvRmT2_T3_mT4_T5_T6_T7_T8_P12ihipStream_tbENKUlT_T0_E_clISt17integral_constantIbLb0EES11_EEDaSW_SX_EUlSW_E_NS1_11comp_targetILNS1_3genE8ELNS1_11target_archE1030ELNS1_3gpuE2ELNS1_3repE0EEENS1_30default_config_static_selectorELNS0_4arch9wavefront6targetE1EEEvT1_,"axG",@progbits,_ZN7rocprim17ROCPRIM_400000_NS6detail17trampoline_kernelINS0_14default_configENS1_29reduce_by_key_config_selectorIddN6thrust23THRUST_200600_302600_NS4plusIdEEEEZZNS1_33reduce_by_key_impl_wrapped_configILNS1_25lookback_scan_determinismE0ES3_S9_NS6_6detail15normal_iteratorINS6_10device_ptrIdEEEESG_SG_SG_PmS8_NS6_8equal_toIdEEEE10hipError_tPvRmT2_T3_mT4_T5_T6_T7_T8_P12ihipStream_tbENKUlT_T0_E_clISt17integral_constantIbLb0EES11_EEDaSW_SX_EUlSW_E_NS1_11comp_targetILNS1_3genE8ELNS1_11target_archE1030ELNS1_3gpuE2ELNS1_3repE0EEENS1_30default_config_static_selectorELNS0_4arch9wavefront6targetE1EEEvT1_,comdat
	.protected	_ZN7rocprim17ROCPRIM_400000_NS6detail17trampoline_kernelINS0_14default_configENS1_29reduce_by_key_config_selectorIddN6thrust23THRUST_200600_302600_NS4plusIdEEEEZZNS1_33reduce_by_key_impl_wrapped_configILNS1_25lookback_scan_determinismE0ES3_S9_NS6_6detail15normal_iteratorINS6_10device_ptrIdEEEESG_SG_SG_PmS8_NS6_8equal_toIdEEEE10hipError_tPvRmT2_T3_mT4_T5_T6_T7_T8_P12ihipStream_tbENKUlT_T0_E_clISt17integral_constantIbLb0EES11_EEDaSW_SX_EUlSW_E_NS1_11comp_targetILNS1_3genE8ELNS1_11target_archE1030ELNS1_3gpuE2ELNS1_3repE0EEENS1_30default_config_static_selectorELNS0_4arch9wavefront6targetE1EEEvT1_ ; -- Begin function _ZN7rocprim17ROCPRIM_400000_NS6detail17trampoline_kernelINS0_14default_configENS1_29reduce_by_key_config_selectorIddN6thrust23THRUST_200600_302600_NS4plusIdEEEEZZNS1_33reduce_by_key_impl_wrapped_configILNS1_25lookback_scan_determinismE0ES3_S9_NS6_6detail15normal_iteratorINS6_10device_ptrIdEEEESG_SG_SG_PmS8_NS6_8equal_toIdEEEE10hipError_tPvRmT2_T3_mT4_T5_T6_T7_T8_P12ihipStream_tbENKUlT_T0_E_clISt17integral_constantIbLb0EES11_EEDaSW_SX_EUlSW_E_NS1_11comp_targetILNS1_3genE8ELNS1_11target_archE1030ELNS1_3gpuE2ELNS1_3repE0EEENS1_30default_config_static_selectorELNS0_4arch9wavefront6targetE1EEEvT1_
	.globl	_ZN7rocprim17ROCPRIM_400000_NS6detail17trampoline_kernelINS0_14default_configENS1_29reduce_by_key_config_selectorIddN6thrust23THRUST_200600_302600_NS4plusIdEEEEZZNS1_33reduce_by_key_impl_wrapped_configILNS1_25lookback_scan_determinismE0ES3_S9_NS6_6detail15normal_iteratorINS6_10device_ptrIdEEEESG_SG_SG_PmS8_NS6_8equal_toIdEEEE10hipError_tPvRmT2_T3_mT4_T5_T6_T7_T8_P12ihipStream_tbENKUlT_T0_E_clISt17integral_constantIbLb0EES11_EEDaSW_SX_EUlSW_E_NS1_11comp_targetILNS1_3genE8ELNS1_11target_archE1030ELNS1_3gpuE2ELNS1_3repE0EEENS1_30default_config_static_selectorELNS0_4arch9wavefront6targetE1EEEvT1_
	.p2align	8
	.type	_ZN7rocprim17ROCPRIM_400000_NS6detail17trampoline_kernelINS0_14default_configENS1_29reduce_by_key_config_selectorIddN6thrust23THRUST_200600_302600_NS4plusIdEEEEZZNS1_33reduce_by_key_impl_wrapped_configILNS1_25lookback_scan_determinismE0ES3_S9_NS6_6detail15normal_iteratorINS6_10device_ptrIdEEEESG_SG_SG_PmS8_NS6_8equal_toIdEEEE10hipError_tPvRmT2_T3_mT4_T5_T6_T7_T8_P12ihipStream_tbENKUlT_T0_E_clISt17integral_constantIbLb0EES11_EEDaSW_SX_EUlSW_E_NS1_11comp_targetILNS1_3genE8ELNS1_11target_archE1030ELNS1_3gpuE2ELNS1_3repE0EEENS1_30default_config_static_selectorELNS0_4arch9wavefront6targetE1EEEvT1_,@function
_ZN7rocprim17ROCPRIM_400000_NS6detail17trampoline_kernelINS0_14default_configENS1_29reduce_by_key_config_selectorIddN6thrust23THRUST_200600_302600_NS4plusIdEEEEZZNS1_33reduce_by_key_impl_wrapped_configILNS1_25lookback_scan_determinismE0ES3_S9_NS6_6detail15normal_iteratorINS6_10device_ptrIdEEEESG_SG_SG_PmS8_NS6_8equal_toIdEEEE10hipError_tPvRmT2_T3_mT4_T5_T6_T7_T8_P12ihipStream_tbENKUlT_T0_E_clISt17integral_constantIbLb0EES11_EEDaSW_SX_EUlSW_E_NS1_11comp_targetILNS1_3genE8ELNS1_11target_archE1030ELNS1_3gpuE2ELNS1_3repE0EEENS1_30default_config_static_selectorELNS0_4arch9wavefront6targetE1EEEvT1_: ; @_ZN7rocprim17ROCPRIM_400000_NS6detail17trampoline_kernelINS0_14default_configENS1_29reduce_by_key_config_selectorIddN6thrust23THRUST_200600_302600_NS4plusIdEEEEZZNS1_33reduce_by_key_impl_wrapped_configILNS1_25lookback_scan_determinismE0ES3_S9_NS6_6detail15normal_iteratorINS6_10device_ptrIdEEEESG_SG_SG_PmS8_NS6_8equal_toIdEEEE10hipError_tPvRmT2_T3_mT4_T5_T6_T7_T8_P12ihipStream_tbENKUlT_T0_E_clISt17integral_constantIbLb0EES11_EEDaSW_SX_EUlSW_E_NS1_11comp_targetILNS1_3genE8ELNS1_11target_archE1030ELNS1_3gpuE2ELNS1_3repE0EEENS1_30default_config_static_selectorELNS0_4arch9wavefront6targetE1EEEvT1_
; %bb.0:
	.section	.rodata,"a",@progbits
	.p2align	6, 0x0
	.amdhsa_kernel _ZN7rocprim17ROCPRIM_400000_NS6detail17trampoline_kernelINS0_14default_configENS1_29reduce_by_key_config_selectorIddN6thrust23THRUST_200600_302600_NS4plusIdEEEEZZNS1_33reduce_by_key_impl_wrapped_configILNS1_25lookback_scan_determinismE0ES3_S9_NS6_6detail15normal_iteratorINS6_10device_ptrIdEEEESG_SG_SG_PmS8_NS6_8equal_toIdEEEE10hipError_tPvRmT2_T3_mT4_T5_T6_T7_T8_P12ihipStream_tbENKUlT_T0_E_clISt17integral_constantIbLb0EES11_EEDaSW_SX_EUlSW_E_NS1_11comp_targetILNS1_3genE8ELNS1_11target_archE1030ELNS1_3gpuE2ELNS1_3repE0EEENS1_30default_config_static_selectorELNS0_4arch9wavefront6targetE1EEEvT1_
		.amdhsa_group_segment_fixed_size 0
		.amdhsa_private_segment_fixed_size 0
		.amdhsa_kernarg_size 136
		.amdhsa_user_sgpr_count 6
		.amdhsa_user_sgpr_private_segment_buffer 1
		.amdhsa_user_sgpr_dispatch_ptr 0
		.amdhsa_user_sgpr_queue_ptr 0
		.amdhsa_user_sgpr_kernarg_segment_ptr 1
		.amdhsa_user_sgpr_dispatch_id 0
		.amdhsa_user_sgpr_flat_scratch_init 0
		.amdhsa_user_sgpr_kernarg_preload_length 0
		.amdhsa_user_sgpr_kernarg_preload_offset 0
		.amdhsa_user_sgpr_private_segment_size 0
		.amdhsa_uses_dynamic_stack 0
		.amdhsa_system_sgpr_private_segment_wavefront_offset 0
		.amdhsa_system_sgpr_workgroup_id_x 1
		.amdhsa_system_sgpr_workgroup_id_y 0
		.amdhsa_system_sgpr_workgroup_id_z 0
		.amdhsa_system_sgpr_workgroup_info 0
		.amdhsa_system_vgpr_workitem_id 0
		.amdhsa_next_free_vgpr 1
		.amdhsa_next_free_sgpr 0
		.amdhsa_accum_offset 4
		.amdhsa_reserve_vcc 0
		.amdhsa_reserve_flat_scratch 0
		.amdhsa_float_round_mode_32 0
		.amdhsa_float_round_mode_16_64 0
		.amdhsa_float_denorm_mode_32 3
		.amdhsa_float_denorm_mode_16_64 3
		.amdhsa_dx10_clamp 1
		.amdhsa_ieee_mode 1
		.amdhsa_fp16_overflow 0
		.amdhsa_tg_split 0
		.amdhsa_exception_fp_ieee_invalid_op 0
		.amdhsa_exception_fp_denorm_src 0
		.amdhsa_exception_fp_ieee_div_zero 0
		.amdhsa_exception_fp_ieee_overflow 0
		.amdhsa_exception_fp_ieee_underflow 0
		.amdhsa_exception_fp_ieee_inexact 0
		.amdhsa_exception_int_div_zero 0
	.end_amdhsa_kernel
	.section	.text._ZN7rocprim17ROCPRIM_400000_NS6detail17trampoline_kernelINS0_14default_configENS1_29reduce_by_key_config_selectorIddN6thrust23THRUST_200600_302600_NS4plusIdEEEEZZNS1_33reduce_by_key_impl_wrapped_configILNS1_25lookback_scan_determinismE0ES3_S9_NS6_6detail15normal_iteratorINS6_10device_ptrIdEEEESG_SG_SG_PmS8_NS6_8equal_toIdEEEE10hipError_tPvRmT2_T3_mT4_T5_T6_T7_T8_P12ihipStream_tbENKUlT_T0_E_clISt17integral_constantIbLb0EES11_EEDaSW_SX_EUlSW_E_NS1_11comp_targetILNS1_3genE8ELNS1_11target_archE1030ELNS1_3gpuE2ELNS1_3repE0EEENS1_30default_config_static_selectorELNS0_4arch9wavefront6targetE1EEEvT1_,"axG",@progbits,_ZN7rocprim17ROCPRIM_400000_NS6detail17trampoline_kernelINS0_14default_configENS1_29reduce_by_key_config_selectorIddN6thrust23THRUST_200600_302600_NS4plusIdEEEEZZNS1_33reduce_by_key_impl_wrapped_configILNS1_25lookback_scan_determinismE0ES3_S9_NS6_6detail15normal_iteratorINS6_10device_ptrIdEEEESG_SG_SG_PmS8_NS6_8equal_toIdEEEE10hipError_tPvRmT2_T3_mT4_T5_T6_T7_T8_P12ihipStream_tbENKUlT_T0_E_clISt17integral_constantIbLb0EES11_EEDaSW_SX_EUlSW_E_NS1_11comp_targetILNS1_3genE8ELNS1_11target_archE1030ELNS1_3gpuE2ELNS1_3repE0EEENS1_30default_config_static_selectorELNS0_4arch9wavefront6targetE1EEEvT1_,comdat
.Lfunc_end20:
	.size	_ZN7rocprim17ROCPRIM_400000_NS6detail17trampoline_kernelINS0_14default_configENS1_29reduce_by_key_config_selectorIddN6thrust23THRUST_200600_302600_NS4plusIdEEEEZZNS1_33reduce_by_key_impl_wrapped_configILNS1_25lookback_scan_determinismE0ES3_S9_NS6_6detail15normal_iteratorINS6_10device_ptrIdEEEESG_SG_SG_PmS8_NS6_8equal_toIdEEEE10hipError_tPvRmT2_T3_mT4_T5_T6_T7_T8_P12ihipStream_tbENKUlT_T0_E_clISt17integral_constantIbLb0EES11_EEDaSW_SX_EUlSW_E_NS1_11comp_targetILNS1_3genE8ELNS1_11target_archE1030ELNS1_3gpuE2ELNS1_3repE0EEENS1_30default_config_static_selectorELNS0_4arch9wavefront6targetE1EEEvT1_, .Lfunc_end20-_ZN7rocprim17ROCPRIM_400000_NS6detail17trampoline_kernelINS0_14default_configENS1_29reduce_by_key_config_selectorIddN6thrust23THRUST_200600_302600_NS4plusIdEEEEZZNS1_33reduce_by_key_impl_wrapped_configILNS1_25lookback_scan_determinismE0ES3_S9_NS6_6detail15normal_iteratorINS6_10device_ptrIdEEEESG_SG_SG_PmS8_NS6_8equal_toIdEEEE10hipError_tPvRmT2_T3_mT4_T5_T6_T7_T8_P12ihipStream_tbENKUlT_T0_E_clISt17integral_constantIbLb0EES11_EEDaSW_SX_EUlSW_E_NS1_11comp_targetILNS1_3genE8ELNS1_11target_archE1030ELNS1_3gpuE2ELNS1_3repE0EEENS1_30default_config_static_selectorELNS0_4arch9wavefront6targetE1EEEvT1_
                                        ; -- End function
	.section	.AMDGPU.csdata,"",@progbits
; Kernel info:
; codeLenInByte = 0
; NumSgprs: 4
; NumVgprs: 0
; NumAgprs: 0
; TotalNumVgprs: 0
; ScratchSize: 0
; MemoryBound: 0
; FloatMode: 240
; IeeeMode: 1
; LDSByteSize: 0 bytes/workgroup (compile time only)
; SGPRBlocks: 0
; VGPRBlocks: 0
; NumSGPRsForWavesPerEU: 4
; NumVGPRsForWavesPerEU: 1
; AccumOffset: 4
; Occupancy: 8
; WaveLimiterHint : 0
; COMPUTE_PGM_RSRC2:SCRATCH_EN: 0
; COMPUTE_PGM_RSRC2:USER_SGPR: 6
; COMPUTE_PGM_RSRC2:TRAP_HANDLER: 0
; COMPUTE_PGM_RSRC2:TGID_X_EN: 1
; COMPUTE_PGM_RSRC2:TGID_Y_EN: 0
; COMPUTE_PGM_RSRC2:TGID_Z_EN: 0
; COMPUTE_PGM_RSRC2:TIDIG_COMP_CNT: 0
; COMPUTE_PGM_RSRC3_GFX90A:ACCUM_OFFSET: 0
; COMPUTE_PGM_RSRC3_GFX90A:TG_SPLIT: 0
	.section	.text._ZN7rocprim17ROCPRIM_400000_NS6detail25reduce_by_key_init_kernelINS1_19lookback_scan_stateINS0_5tupleIJjdEEELb1ELb0EEEdNS1_16block_id_wrapperIjLb1EEEEEvT_jbjPmPT0_T1_,"axG",@progbits,_ZN7rocprim17ROCPRIM_400000_NS6detail25reduce_by_key_init_kernelINS1_19lookback_scan_stateINS0_5tupleIJjdEEELb1ELb0EEEdNS1_16block_id_wrapperIjLb1EEEEEvT_jbjPmPT0_T1_,comdat
	.protected	_ZN7rocprim17ROCPRIM_400000_NS6detail25reduce_by_key_init_kernelINS1_19lookback_scan_stateINS0_5tupleIJjdEEELb1ELb0EEEdNS1_16block_id_wrapperIjLb1EEEEEvT_jbjPmPT0_T1_ ; -- Begin function _ZN7rocprim17ROCPRIM_400000_NS6detail25reduce_by_key_init_kernelINS1_19lookback_scan_stateINS0_5tupleIJjdEEELb1ELb0EEEdNS1_16block_id_wrapperIjLb1EEEEEvT_jbjPmPT0_T1_
	.globl	_ZN7rocprim17ROCPRIM_400000_NS6detail25reduce_by_key_init_kernelINS1_19lookback_scan_stateINS0_5tupleIJjdEEELb1ELb0EEEdNS1_16block_id_wrapperIjLb1EEEEEvT_jbjPmPT0_T1_
	.p2align	8
	.type	_ZN7rocprim17ROCPRIM_400000_NS6detail25reduce_by_key_init_kernelINS1_19lookback_scan_stateINS0_5tupleIJjdEEELb1ELb0EEEdNS1_16block_id_wrapperIjLb1EEEEEvT_jbjPmPT0_T1_,@function
_ZN7rocprim17ROCPRIM_400000_NS6detail25reduce_by_key_init_kernelINS1_19lookback_scan_stateINS0_5tupleIJjdEEELb1ELb0EEEdNS1_16block_id_wrapperIjLb1EEEEEvT_jbjPmPT0_T1_: ; @_ZN7rocprim17ROCPRIM_400000_NS6detail25reduce_by_key_init_kernelINS1_19lookback_scan_stateINS0_5tupleIJjdEEELb1ELb0EEEdNS1_16block_id_wrapperIjLb1EEEEEvT_jbjPmPT0_T1_
; %bb.0:
	s_load_dwordx8 s[8:15], s[4:5], 0x18
	s_load_dword s0, s[4:5], 0x4c
	s_load_dwordx2 s[18:19], s[4:5], 0x38
	s_load_dwordx2 s[16:17], s[4:5], 0x10
	s_waitcnt lgkmcnt(0)
	s_and_b32 s1, s9, 1
	s_and_b32 s0, s0, 0xffff
	s_mul_i32 s6, s6, s0
	s_cmp_eq_u32 s1, 0
	v_add_u32_e32 v0, s6, v0
	s_mov_b64 s[0:1], -1
	s_cbranch_scc1 .LBB21_6
; %bb.1:
	s_andn2_b64 vcc, exec, s[0:1]
	v_cmp_eq_u32_e64 s[0:1], 0, v0
	s_cbranch_vccz .LBB21_16
.LBB21_2:
	v_cmp_eq_u32_e32 vcc, 0, v0
	s_and_saveexec_b64 s[0:1], vcc
	s_cbranch_execnz .LBB21_19
.LBB21_3:
	s_or_b64 exec, exec, s[0:1]
	v_cmp_gt_u32_e32 vcc, s8, v0
	s_and_saveexec_b64 s[0:1], vcc
	s_cbranch_execnz .LBB21_20
.LBB21_4:
	s_or_b64 exec, exec, s[0:1]
	v_cmp_gt_u32_e32 vcc, 64, v0
	s_and_saveexec_b64 s[0:1], vcc
	s_cbranch_execnz .LBB21_21
.LBB21_5:
	s_endpgm
.LBB21_6:
	s_cmp_lt_u32 s10, s8
	s_cselect_b32 s0, s10, 0
	v_cmp_eq_u32_e32 vcc, s0, v0
	s_and_saveexec_b64 s[6:7], vcc
	s_cbranch_execz .LBB21_15
; %bb.7:
	s_add_i32 s10, s10, 64
	v_mov_b32_e32 v1, s10
	global_load_ubyte v1, v1, s[16:17] glc
	s_load_dwordx4 s[0:3], s[4:5], 0x0
	s_add_u32 s4, s16, s10
	s_mov_b32 s11, 0
	s_addc_u32 s5, s17, 0
	s_waitcnt vmcnt(0)
	v_cmp_ne_u16_e32 vcc, 0, v1
	v_readfirstlane_b32 s9, v1
	s_cbranch_vccz .LBB21_9
; %bb.8:
	s_and_b32 s4, 0xffff, s9
	s_branch .LBB21_14
.LBB21_9:
	s_mov_b32 s9, 1
	v_mov_b32_e32 v1, 0
.LBB21_10:                              ; =>This Loop Header: Depth=1
                                        ;     Child Loop BB21_11 Depth 2
	s_max_u32 s20, s9, 1
.LBB21_11:                              ;   Parent Loop BB21_10 Depth=1
                                        ; =>  This Inner Loop Header: Depth=2
	s_add_i32 s20, s20, -1
	s_cmp_eq_u32 s20, 0
	s_sleep 1
	s_cbranch_scc0 .LBB21_11
; %bb.12:                               ;   in Loop: Header=BB21_10 Depth=1
	global_load_ubyte v2, v1, s[4:5] glc
	s_cmp_lt_u32 s9, 32
	s_cselect_b64 s[20:21], -1, 0
	s_cmp_lg_u64 s[20:21], 0
	s_addc_u32 s9, s9, 0
	s_waitcnt vmcnt(0)
	v_cmp_ne_u16_e32 vcc, 0, v2
	v_readfirstlane_b32 s20, v2
	s_cbranch_vccz .LBB21_10
; %bb.13:
	s_and_b32 s4, 0xffff, s20
.LBB21_14:
	s_cmp_eq_u32 s4, 1
	s_waitcnt lgkmcnt(0)
	s_cselect_b32 s3, s1, s3
	s_cselect_b32 s2, s0, s2
	s_lshl_b64 s[0:1], s[10:11], 4
	v_mov_b32_e32 v1, 0
	s_add_u32 s0, s2, s0
	buffer_wbinvl1_vol
	s_addc_u32 s1, s3, s1
	global_load_dwordx2 v[2:3], v1, s[12:13]
	global_load_dword v6, v1, s[0:1]
	global_load_dwordx2 v[4:5], v1, s[0:1] offset:8
	s_waitcnt vmcnt(1)
	v_add_co_u32_e32 v2, vcc, v2, v6
	v_addc_co_u32_e32 v3, vcc, 0, v3, vcc
	global_store_dwordx2 v1, v[2:3], s[12:13]
	s_waitcnt vmcnt(1)
	global_store_dwordx2 v1, v[4:5], s[14:15]
.LBB21_15:
	s_or_b64 exec, exec, s[6:7]
	v_cmp_eq_u32_e64 s[0:1], 0, v0
	s_cbranch_execnz .LBB21_2
.LBB21_16:
	s_cmp_lg_u64 s[12:13], 0
	s_cselect_b64 s[2:3], -1, 0
	s_and_b64 s[2:3], s[2:3], s[0:1]
	s_and_saveexec_b64 s[0:1], s[2:3]
	s_cbranch_execz .LBB21_18
; %bb.17:
	v_mov_b32_e32 v2, 0
	v_mov_b32_e32 v3, v2
	global_store_dwordx2 v2, v[2:3], s[12:13]
.LBB21_18:
	s_or_b64 exec, exec, s[0:1]
	v_cmp_eq_u32_e32 vcc, 0, v0
	s_and_saveexec_b64 s[0:1], vcc
	s_cbranch_execz .LBB21_3
.LBB21_19:
	v_mov_b32_e32 v1, 0
	global_store_dword v1, v1, s[18:19]
	s_or_b64 exec, exec, s[0:1]
	v_cmp_gt_u32_e32 vcc, s8, v0
	s_and_saveexec_b64 s[0:1], vcc
	s_cbranch_execz .LBB21_4
.LBB21_20:
	v_add_u32_e32 v1, 64, v0
	v_mov_b32_e32 v2, 0
	global_store_byte v1, v2, s[16:17]
	s_or_b64 exec, exec, s[0:1]
	v_cmp_gt_u32_e32 vcc, 64, v0
	s_and_saveexec_b64 s[0:1], vcc
	s_cbranch_execz .LBB21_5
.LBB21_21:
	v_mov_b32_e32 v1, 0xff
	global_store_byte v0, v1, s[16:17]
	s_endpgm
	.section	.rodata,"a",@progbits
	.p2align	6, 0x0
	.amdhsa_kernel _ZN7rocprim17ROCPRIM_400000_NS6detail25reduce_by_key_init_kernelINS1_19lookback_scan_stateINS0_5tupleIJjdEEELb1ELb0EEEdNS1_16block_id_wrapperIjLb1EEEEEvT_jbjPmPT0_T1_
		.amdhsa_group_segment_fixed_size 0
		.amdhsa_private_segment_fixed_size 0
		.amdhsa_kernarg_size 320
		.amdhsa_user_sgpr_count 6
		.amdhsa_user_sgpr_private_segment_buffer 1
		.amdhsa_user_sgpr_dispatch_ptr 0
		.amdhsa_user_sgpr_queue_ptr 0
		.amdhsa_user_sgpr_kernarg_segment_ptr 1
		.amdhsa_user_sgpr_dispatch_id 0
		.amdhsa_user_sgpr_flat_scratch_init 0
		.amdhsa_user_sgpr_kernarg_preload_length 0
		.amdhsa_user_sgpr_kernarg_preload_offset 0
		.amdhsa_user_sgpr_private_segment_size 0
		.amdhsa_uses_dynamic_stack 0
		.amdhsa_system_sgpr_private_segment_wavefront_offset 0
		.amdhsa_system_sgpr_workgroup_id_x 1
		.amdhsa_system_sgpr_workgroup_id_y 0
		.amdhsa_system_sgpr_workgroup_id_z 0
		.amdhsa_system_sgpr_workgroup_info 0
		.amdhsa_system_vgpr_workitem_id 0
		.amdhsa_next_free_vgpr 7
		.amdhsa_next_free_sgpr 22
		.amdhsa_accum_offset 8
		.amdhsa_reserve_vcc 1
		.amdhsa_reserve_flat_scratch 0
		.amdhsa_float_round_mode_32 0
		.amdhsa_float_round_mode_16_64 0
		.amdhsa_float_denorm_mode_32 3
		.amdhsa_float_denorm_mode_16_64 3
		.amdhsa_dx10_clamp 1
		.amdhsa_ieee_mode 1
		.amdhsa_fp16_overflow 0
		.amdhsa_tg_split 0
		.amdhsa_exception_fp_ieee_invalid_op 0
		.amdhsa_exception_fp_denorm_src 0
		.amdhsa_exception_fp_ieee_div_zero 0
		.amdhsa_exception_fp_ieee_overflow 0
		.amdhsa_exception_fp_ieee_underflow 0
		.amdhsa_exception_fp_ieee_inexact 0
		.amdhsa_exception_int_div_zero 0
	.end_amdhsa_kernel
	.section	.text._ZN7rocprim17ROCPRIM_400000_NS6detail25reduce_by_key_init_kernelINS1_19lookback_scan_stateINS0_5tupleIJjdEEELb1ELb0EEEdNS1_16block_id_wrapperIjLb1EEEEEvT_jbjPmPT0_T1_,"axG",@progbits,_ZN7rocprim17ROCPRIM_400000_NS6detail25reduce_by_key_init_kernelINS1_19lookback_scan_stateINS0_5tupleIJjdEEELb1ELb0EEEdNS1_16block_id_wrapperIjLb1EEEEEvT_jbjPmPT0_T1_,comdat
.Lfunc_end21:
	.size	_ZN7rocprim17ROCPRIM_400000_NS6detail25reduce_by_key_init_kernelINS1_19lookback_scan_stateINS0_5tupleIJjdEEELb1ELb0EEEdNS1_16block_id_wrapperIjLb1EEEEEvT_jbjPmPT0_T1_, .Lfunc_end21-_ZN7rocprim17ROCPRIM_400000_NS6detail25reduce_by_key_init_kernelINS1_19lookback_scan_stateINS0_5tupleIJjdEEELb1ELb0EEEdNS1_16block_id_wrapperIjLb1EEEEEvT_jbjPmPT0_T1_
                                        ; -- End function
	.section	.AMDGPU.csdata,"",@progbits
; Kernel info:
; codeLenInByte = 536
; NumSgprs: 26
; NumVgprs: 7
; NumAgprs: 0
; TotalNumVgprs: 7
; ScratchSize: 0
; MemoryBound: 0
; FloatMode: 240
; IeeeMode: 1
; LDSByteSize: 0 bytes/workgroup (compile time only)
; SGPRBlocks: 3
; VGPRBlocks: 0
; NumSGPRsForWavesPerEU: 26
; NumVGPRsForWavesPerEU: 7
; AccumOffset: 8
; Occupancy: 8
; WaveLimiterHint : 0
; COMPUTE_PGM_RSRC2:SCRATCH_EN: 0
; COMPUTE_PGM_RSRC2:USER_SGPR: 6
; COMPUTE_PGM_RSRC2:TRAP_HANDLER: 0
; COMPUTE_PGM_RSRC2:TGID_X_EN: 1
; COMPUTE_PGM_RSRC2:TGID_Y_EN: 0
; COMPUTE_PGM_RSRC2:TGID_Z_EN: 0
; COMPUTE_PGM_RSRC2:TIDIG_COMP_CNT: 0
; COMPUTE_PGM_RSRC3_GFX90A:ACCUM_OFFSET: 1
; COMPUTE_PGM_RSRC3_GFX90A:TG_SPLIT: 0
	.section	.text._ZN7rocprim17ROCPRIM_400000_NS6detail17trampoline_kernelINS0_14default_configENS1_29reduce_by_key_config_selectorIddN6thrust23THRUST_200600_302600_NS4plusIdEEEEZZNS1_33reduce_by_key_impl_wrapped_configILNS1_25lookback_scan_determinismE0ES3_S9_NS6_6detail15normal_iteratorINS6_10device_ptrIdEEEESG_SG_SG_PmS8_NS6_8equal_toIdEEEE10hipError_tPvRmT2_T3_mT4_T5_T6_T7_T8_P12ihipStream_tbENKUlT_T0_E_clISt17integral_constantIbLb1EES11_EEDaSW_SX_EUlSW_E_NS1_11comp_targetILNS1_3genE0ELNS1_11target_archE4294967295ELNS1_3gpuE0ELNS1_3repE0EEENS1_30default_config_static_selectorELNS0_4arch9wavefront6targetE1EEEvT1_,"axG",@progbits,_ZN7rocprim17ROCPRIM_400000_NS6detail17trampoline_kernelINS0_14default_configENS1_29reduce_by_key_config_selectorIddN6thrust23THRUST_200600_302600_NS4plusIdEEEEZZNS1_33reduce_by_key_impl_wrapped_configILNS1_25lookback_scan_determinismE0ES3_S9_NS6_6detail15normal_iteratorINS6_10device_ptrIdEEEESG_SG_SG_PmS8_NS6_8equal_toIdEEEE10hipError_tPvRmT2_T3_mT4_T5_T6_T7_T8_P12ihipStream_tbENKUlT_T0_E_clISt17integral_constantIbLb1EES11_EEDaSW_SX_EUlSW_E_NS1_11comp_targetILNS1_3genE0ELNS1_11target_archE4294967295ELNS1_3gpuE0ELNS1_3repE0EEENS1_30default_config_static_selectorELNS0_4arch9wavefront6targetE1EEEvT1_,comdat
	.protected	_ZN7rocprim17ROCPRIM_400000_NS6detail17trampoline_kernelINS0_14default_configENS1_29reduce_by_key_config_selectorIddN6thrust23THRUST_200600_302600_NS4plusIdEEEEZZNS1_33reduce_by_key_impl_wrapped_configILNS1_25lookback_scan_determinismE0ES3_S9_NS6_6detail15normal_iteratorINS6_10device_ptrIdEEEESG_SG_SG_PmS8_NS6_8equal_toIdEEEE10hipError_tPvRmT2_T3_mT4_T5_T6_T7_T8_P12ihipStream_tbENKUlT_T0_E_clISt17integral_constantIbLb1EES11_EEDaSW_SX_EUlSW_E_NS1_11comp_targetILNS1_3genE0ELNS1_11target_archE4294967295ELNS1_3gpuE0ELNS1_3repE0EEENS1_30default_config_static_selectorELNS0_4arch9wavefront6targetE1EEEvT1_ ; -- Begin function _ZN7rocprim17ROCPRIM_400000_NS6detail17trampoline_kernelINS0_14default_configENS1_29reduce_by_key_config_selectorIddN6thrust23THRUST_200600_302600_NS4plusIdEEEEZZNS1_33reduce_by_key_impl_wrapped_configILNS1_25lookback_scan_determinismE0ES3_S9_NS6_6detail15normal_iteratorINS6_10device_ptrIdEEEESG_SG_SG_PmS8_NS6_8equal_toIdEEEE10hipError_tPvRmT2_T3_mT4_T5_T6_T7_T8_P12ihipStream_tbENKUlT_T0_E_clISt17integral_constantIbLb1EES11_EEDaSW_SX_EUlSW_E_NS1_11comp_targetILNS1_3genE0ELNS1_11target_archE4294967295ELNS1_3gpuE0ELNS1_3repE0EEENS1_30default_config_static_selectorELNS0_4arch9wavefront6targetE1EEEvT1_
	.globl	_ZN7rocprim17ROCPRIM_400000_NS6detail17trampoline_kernelINS0_14default_configENS1_29reduce_by_key_config_selectorIddN6thrust23THRUST_200600_302600_NS4plusIdEEEEZZNS1_33reduce_by_key_impl_wrapped_configILNS1_25lookback_scan_determinismE0ES3_S9_NS6_6detail15normal_iteratorINS6_10device_ptrIdEEEESG_SG_SG_PmS8_NS6_8equal_toIdEEEE10hipError_tPvRmT2_T3_mT4_T5_T6_T7_T8_P12ihipStream_tbENKUlT_T0_E_clISt17integral_constantIbLb1EES11_EEDaSW_SX_EUlSW_E_NS1_11comp_targetILNS1_3genE0ELNS1_11target_archE4294967295ELNS1_3gpuE0ELNS1_3repE0EEENS1_30default_config_static_selectorELNS0_4arch9wavefront6targetE1EEEvT1_
	.p2align	8
	.type	_ZN7rocprim17ROCPRIM_400000_NS6detail17trampoline_kernelINS0_14default_configENS1_29reduce_by_key_config_selectorIddN6thrust23THRUST_200600_302600_NS4plusIdEEEEZZNS1_33reduce_by_key_impl_wrapped_configILNS1_25lookback_scan_determinismE0ES3_S9_NS6_6detail15normal_iteratorINS6_10device_ptrIdEEEESG_SG_SG_PmS8_NS6_8equal_toIdEEEE10hipError_tPvRmT2_T3_mT4_T5_T6_T7_T8_P12ihipStream_tbENKUlT_T0_E_clISt17integral_constantIbLb1EES11_EEDaSW_SX_EUlSW_E_NS1_11comp_targetILNS1_3genE0ELNS1_11target_archE4294967295ELNS1_3gpuE0ELNS1_3repE0EEENS1_30default_config_static_selectorELNS0_4arch9wavefront6targetE1EEEvT1_,@function
_ZN7rocprim17ROCPRIM_400000_NS6detail17trampoline_kernelINS0_14default_configENS1_29reduce_by_key_config_selectorIddN6thrust23THRUST_200600_302600_NS4plusIdEEEEZZNS1_33reduce_by_key_impl_wrapped_configILNS1_25lookback_scan_determinismE0ES3_S9_NS6_6detail15normal_iteratorINS6_10device_ptrIdEEEESG_SG_SG_PmS8_NS6_8equal_toIdEEEE10hipError_tPvRmT2_T3_mT4_T5_T6_T7_T8_P12ihipStream_tbENKUlT_T0_E_clISt17integral_constantIbLb1EES11_EEDaSW_SX_EUlSW_E_NS1_11comp_targetILNS1_3genE0ELNS1_11target_archE4294967295ELNS1_3gpuE0ELNS1_3repE0EEENS1_30default_config_static_selectorELNS0_4arch9wavefront6targetE1EEEvT1_: ; @_ZN7rocprim17ROCPRIM_400000_NS6detail17trampoline_kernelINS0_14default_configENS1_29reduce_by_key_config_selectorIddN6thrust23THRUST_200600_302600_NS4plusIdEEEEZZNS1_33reduce_by_key_impl_wrapped_configILNS1_25lookback_scan_determinismE0ES3_S9_NS6_6detail15normal_iteratorINS6_10device_ptrIdEEEESG_SG_SG_PmS8_NS6_8equal_toIdEEEE10hipError_tPvRmT2_T3_mT4_T5_T6_T7_T8_P12ihipStream_tbENKUlT_T0_E_clISt17integral_constantIbLb1EES11_EEDaSW_SX_EUlSW_E_NS1_11comp_targetILNS1_3genE0ELNS1_11target_archE4294967295ELNS1_3gpuE0ELNS1_3repE0EEENS1_30default_config_static_selectorELNS0_4arch9wavefront6targetE1EEEvT1_
; %bb.0:
	.section	.rodata,"a",@progbits
	.p2align	6, 0x0
	.amdhsa_kernel _ZN7rocprim17ROCPRIM_400000_NS6detail17trampoline_kernelINS0_14default_configENS1_29reduce_by_key_config_selectorIddN6thrust23THRUST_200600_302600_NS4plusIdEEEEZZNS1_33reduce_by_key_impl_wrapped_configILNS1_25lookback_scan_determinismE0ES3_S9_NS6_6detail15normal_iteratorINS6_10device_ptrIdEEEESG_SG_SG_PmS8_NS6_8equal_toIdEEEE10hipError_tPvRmT2_T3_mT4_T5_T6_T7_T8_P12ihipStream_tbENKUlT_T0_E_clISt17integral_constantIbLb1EES11_EEDaSW_SX_EUlSW_E_NS1_11comp_targetILNS1_3genE0ELNS1_11target_archE4294967295ELNS1_3gpuE0ELNS1_3repE0EEENS1_30default_config_static_selectorELNS0_4arch9wavefront6targetE1EEEvT1_
		.amdhsa_group_segment_fixed_size 0
		.amdhsa_private_segment_fixed_size 0
		.amdhsa_kernarg_size 136
		.amdhsa_user_sgpr_count 6
		.amdhsa_user_sgpr_private_segment_buffer 1
		.amdhsa_user_sgpr_dispatch_ptr 0
		.amdhsa_user_sgpr_queue_ptr 0
		.amdhsa_user_sgpr_kernarg_segment_ptr 1
		.amdhsa_user_sgpr_dispatch_id 0
		.amdhsa_user_sgpr_flat_scratch_init 0
		.amdhsa_user_sgpr_kernarg_preload_length 0
		.amdhsa_user_sgpr_kernarg_preload_offset 0
		.amdhsa_user_sgpr_private_segment_size 0
		.amdhsa_uses_dynamic_stack 0
		.amdhsa_system_sgpr_private_segment_wavefront_offset 0
		.amdhsa_system_sgpr_workgroup_id_x 1
		.amdhsa_system_sgpr_workgroup_id_y 0
		.amdhsa_system_sgpr_workgroup_id_z 0
		.amdhsa_system_sgpr_workgroup_info 0
		.amdhsa_system_vgpr_workitem_id 0
		.amdhsa_next_free_vgpr 1
		.amdhsa_next_free_sgpr 0
		.amdhsa_accum_offset 4
		.amdhsa_reserve_vcc 0
		.amdhsa_reserve_flat_scratch 0
		.amdhsa_float_round_mode_32 0
		.amdhsa_float_round_mode_16_64 0
		.amdhsa_float_denorm_mode_32 3
		.amdhsa_float_denorm_mode_16_64 3
		.amdhsa_dx10_clamp 1
		.amdhsa_ieee_mode 1
		.amdhsa_fp16_overflow 0
		.amdhsa_tg_split 0
		.amdhsa_exception_fp_ieee_invalid_op 0
		.amdhsa_exception_fp_denorm_src 0
		.amdhsa_exception_fp_ieee_div_zero 0
		.amdhsa_exception_fp_ieee_overflow 0
		.amdhsa_exception_fp_ieee_underflow 0
		.amdhsa_exception_fp_ieee_inexact 0
		.amdhsa_exception_int_div_zero 0
	.end_amdhsa_kernel
	.section	.text._ZN7rocprim17ROCPRIM_400000_NS6detail17trampoline_kernelINS0_14default_configENS1_29reduce_by_key_config_selectorIddN6thrust23THRUST_200600_302600_NS4plusIdEEEEZZNS1_33reduce_by_key_impl_wrapped_configILNS1_25lookback_scan_determinismE0ES3_S9_NS6_6detail15normal_iteratorINS6_10device_ptrIdEEEESG_SG_SG_PmS8_NS6_8equal_toIdEEEE10hipError_tPvRmT2_T3_mT4_T5_T6_T7_T8_P12ihipStream_tbENKUlT_T0_E_clISt17integral_constantIbLb1EES11_EEDaSW_SX_EUlSW_E_NS1_11comp_targetILNS1_3genE0ELNS1_11target_archE4294967295ELNS1_3gpuE0ELNS1_3repE0EEENS1_30default_config_static_selectorELNS0_4arch9wavefront6targetE1EEEvT1_,"axG",@progbits,_ZN7rocprim17ROCPRIM_400000_NS6detail17trampoline_kernelINS0_14default_configENS1_29reduce_by_key_config_selectorIddN6thrust23THRUST_200600_302600_NS4plusIdEEEEZZNS1_33reduce_by_key_impl_wrapped_configILNS1_25lookback_scan_determinismE0ES3_S9_NS6_6detail15normal_iteratorINS6_10device_ptrIdEEEESG_SG_SG_PmS8_NS6_8equal_toIdEEEE10hipError_tPvRmT2_T3_mT4_T5_T6_T7_T8_P12ihipStream_tbENKUlT_T0_E_clISt17integral_constantIbLb1EES11_EEDaSW_SX_EUlSW_E_NS1_11comp_targetILNS1_3genE0ELNS1_11target_archE4294967295ELNS1_3gpuE0ELNS1_3repE0EEENS1_30default_config_static_selectorELNS0_4arch9wavefront6targetE1EEEvT1_,comdat
.Lfunc_end22:
	.size	_ZN7rocprim17ROCPRIM_400000_NS6detail17trampoline_kernelINS0_14default_configENS1_29reduce_by_key_config_selectorIddN6thrust23THRUST_200600_302600_NS4plusIdEEEEZZNS1_33reduce_by_key_impl_wrapped_configILNS1_25lookback_scan_determinismE0ES3_S9_NS6_6detail15normal_iteratorINS6_10device_ptrIdEEEESG_SG_SG_PmS8_NS6_8equal_toIdEEEE10hipError_tPvRmT2_T3_mT4_T5_T6_T7_T8_P12ihipStream_tbENKUlT_T0_E_clISt17integral_constantIbLb1EES11_EEDaSW_SX_EUlSW_E_NS1_11comp_targetILNS1_3genE0ELNS1_11target_archE4294967295ELNS1_3gpuE0ELNS1_3repE0EEENS1_30default_config_static_selectorELNS0_4arch9wavefront6targetE1EEEvT1_, .Lfunc_end22-_ZN7rocprim17ROCPRIM_400000_NS6detail17trampoline_kernelINS0_14default_configENS1_29reduce_by_key_config_selectorIddN6thrust23THRUST_200600_302600_NS4plusIdEEEEZZNS1_33reduce_by_key_impl_wrapped_configILNS1_25lookback_scan_determinismE0ES3_S9_NS6_6detail15normal_iteratorINS6_10device_ptrIdEEEESG_SG_SG_PmS8_NS6_8equal_toIdEEEE10hipError_tPvRmT2_T3_mT4_T5_T6_T7_T8_P12ihipStream_tbENKUlT_T0_E_clISt17integral_constantIbLb1EES11_EEDaSW_SX_EUlSW_E_NS1_11comp_targetILNS1_3genE0ELNS1_11target_archE4294967295ELNS1_3gpuE0ELNS1_3repE0EEENS1_30default_config_static_selectorELNS0_4arch9wavefront6targetE1EEEvT1_
                                        ; -- End function
	.section	.AMDGPU.csdata,"",@progbits
; Kernel info:
; codeLenInByte = 0
; NumSgprs: 4
; NumVgprs: 0
; NumAgprs: 0
; TotalNumVgprs: 0
; ScratchSize: 0
; MemoryBound: 0
; FloatMode: 240
; IeeeMode: 1
; LDSByteSize: 0 bytes/workgroup (compile time only)
; SGPRBlocks: 0
; VGPRBlocks: 0
; NumSGPRsForWavesPerEU: 4
; NumVGPRsForWavesPerEU: 1
; AccumOffset: 4
; Occupancy: 8
; WaveLimiterHint : 0
; COMPUTE_PGM_RSRC2:SCRATCH_EN: 0
; COMPUTE_PGM_RSRC2:USER_SGPR: 6
; COMPUTE_PGM_RSRC2:TRAP_HANDLER: 0
; COMPUTE_PGM_RSRC2:TGID_X_EN: 1
; COMPUTE_PGM_RSRC2:TGID_Y_EN: 0
; COMPUTE_PGM_RSRC2:TGID_Z_EN: 0
; COMPUTE_PGM_RSRC2:TIDIG_COMP_CNT: 0
; COMPUTE_PGM_RSRC3_GFX90A:ACCUM_OFFSET: 0
; COMPUTE_PGM_RSRC3_GFX90A:TG_SPLIT: 0
	.section	.text._ZN7rocprim17ROCPRIM_400000_NS6detail17trampoline_kernelINS0_14default_configENS1_29reduce_by_key_config_selectorIddN6thrust23THRUST_200600_302600_NS4plusIdEEEEZZNS1_33reduce_by_key_impl_wrapped_configILNS1_25lookback_scan_determinismE0ES3_S9_NS6_6detail15normal_iteratorINS6_10device_ptrIdEEEESG_SG_SG_PmS8_NS6_8equal_toIdEEEE10hipError_tPvRmT2_T3_mT4_T5_T6_T7_T8_P12ihipStream_tbENKUlT_T0_E_clISt17integral_constantIbLb1EES11_EEDaSW_SX_EUlSW_E_NS1_11comp_targetILNS1_3genE5ELNS1_11target_archE942ELNS1_3gpuE9ELNS1_3repE0EEENS1_30default_config_static_selectorELNS0_4arch9wavefront6targetE1EEEvT1_,"axG",@progbits,_ZN7rocprim17ROCPRIM_400000_NS6detail17trampoline_kernelINS0_14default_configENS1_29reduce_by_key_config_selectorIddN6thrust23THRUST_200600_302600_NS4plusIdEEEEZZNS1_33reduce_by_key_impl_wrapped_configILNS1_25lookback_scan_determinismE0ES3_S9_NS6_6detail15normal_iteratorINS6_10device_ptrIdEEEESG_SG_SG_PmS8_NS6_8equal_toIdEEEE10hipError_tPvRmT2_T3_mT4_T5_T6_T7_T8_P12ihipStream_tbENKUlT_T0_E_clISt17integral_constantIbLb1EES11_EEDaSW_SX_EUlSW_E_NS1_11comp_targetILNS1_3genE5ELNS1_11target_archE942ELNS1_3gpuE9ELNS1_3repE0EEENS1_30default_config_static_selectorELNS0_4arch9wavefront6targetE1EEEvT1_,comdat
	.protected	_ZN7rocprim17ROCPRIM_400000_NS6detail17trampoline_kernelINS0_14default_configENS1_29reduce_by_key_config_selectorIddN6thrust23THRUST_200600_302600_NS4plusIdEEEEZZNS1_33reduce_by_key_impl_wrapped_configILNS1_25lookback_scan_determinismE0ES3_S9_NS6_6detail15normal_iteratorINS6_10device_ptrIdEEEESG_SG_SG_PmS8_NS6_8equal_toIdEEEE10hipError_tPvRmT2_T3_mT4_T5_T6_T7_T8_P12ihipStream_tbENKUlT_T0_E_clISt17integral_constantIbLb1EES11_EEDaSW_SX_EUlSW_E_NS1_11comp_targetILNS1_3genE5ELNS1_11target_archE942ELNS1_3gpuE9ELNS1_3repE0EEENS1_30default_config_static_selectorELNS0_4arch9wavefront6targetE1EEEvT1_ ; -- Begin function _ZN7rocprim17ROCPRIM_400000_NS6detail17trampoline_kernelINS0_14default_configENS1_29reduce_by_key_config_selectorIddN6thrust23THRUST_200600_302600_NS4plusIdEEEEZZNS1_33reduce_by_key_impl_wrapped_configILNS1_25lookback_scan_determinismE0ES3_S9_NS6_6detail15normal_iteratorINS6_10device_ptrIdEEEESG_SG_SG_PmS8_NS6_8equal_toIdEEEE10hipError_tPvRmT2_T3_mT4_T5_T6_T7_T8_P12ihipStream_tbENKUlT_T0_E_clISt17integral_constantIbLb1EES11_EEDaSW_SX_EUlSW_E_NS1_11comp_targetILNS1_3genE5ELNS1_11target_archE942ELNS1_3gpuE9ELNS1_3repE0EEENS1_30default_config_static_selectorELNS0_4arch9wavefront6targetE1EEEvT1_
	.globl	_ZN7rocprim17ROCPRIM_400000_NS6detail17trampoline_kernelINS0_14default_configENS1_29reduce_by_key_config_selectorIddN6thrust23THRUST_200600_302600_NS4plusIdEEEEZZNS1_33reduce_by_key_impl_wrapped_configILNS1_25lookback_scan_determinismE0ES3_S9_NS6_6detail15normal_iteratorINS6_10device_ptrIdEEEESG_SG_SG_PmS8_NS6_8equal_toIdEEEE10hipError_tPvRmT2_T3_mT4_T5_T6_T7_T8_P12ihipStream_tbENKUlT_T0_E_clISt17integral_constantIbLb1EES11_EEDaSW_SX_EUlSW_E_NS1_11comp_targetILNS1_3genE5ELNS1_11target_archE942ELNS1_3gpuE9ELNS1_3repE0EEENS1_30default_config_static_selectorELNS0_4arch9wavefront6targetE1EEEvT1_
	.p2align	8
	.type	_ZN7rocprim17ROCPRIM_400000_NS6detail17trampoline_kernelINS0_14default_configENS1_29reduce_by_key_config_selectorIddN6thrust23THRUST_200600_302600_NS4plusIdEEEEZZNS1_33reduce_by_key_impl_wrapped_configILNS1_25lookback_scan_determinismE0ES3_S9_NS6_6detail15normal_iteratorINS6_10device_ptrIdEEEESG_SG_SG_PmS8_NS6_8equal_toIdEEEE10hipError_tPvRmT2_T3_mT4_T5_T6_T7_T8_P12ihipStream_tbENKUlT_T0_E_clISt17integral_constantIbLb1EES11_EEDaSW_SX_EUlSW_E_NS1_11comp_targetILNS1_3genE5ELNS1_11target_archE942ELNS1_3gpuE9ELNS1_3repE0EEENS1_30default_config_static_selectorELNS0_4arch9wavefront6targetE1EEEvT1_,@function
_ZN7rocprim17ROCPRIM_400000_NS6detail17trampoline_kernelINS0_14default_configENS1_29reduce_by_key_config_selectorIddN6thrust23THRUST_200600_302600_NS4plusIdEEEEZZNS1_33reduce_by_key_impl_wrapped_configILNS1_25lookback_scan_determinismE0ES3_S9_NS6_6detail15normal_iteratorINS6_10device_ptrIdEEEESG_SG_SG_PmS8_NS6_8equal_toIdEEEE10hipError_tPvRmT2_T3_mT4_T5_T6_T7_T8_P12ihipStream_tbENKUlT_T0_E_clISt17integral_constantIbLb1EES11_EEDaSW_SX_EUlSW_E_NS1_11comp_targetILNS1_3genE5ELNS1_11target_archE942ELNS1_3gpuE9ELNS1_3repE0EEENS1_30default_config_static_selectorELNS0_4arch9wavefront6targetE1EEEvT1_: ; @_ZN7rocprim17ROCPRIM_400000_NS6detail17trampoline_kernelINS0_14default_configENS1_29reduce_by_key_config_selectorIddN6thrust23THRUST_200600_302600_NS4plusIdEEEEZZNS1_33reduce_by_key_impl_wrapped_configILNS1_25lookback_scan_determinismE0ES3_S9_NS6_6detail15normal_iteratorINS6_10device_ptrIdEEEESG_SG_SG_PmS8_NS6_8equal_toIdEEEE10hipError_tPvRmT2_T3_mT4_T5_T6_T7_T8_P12ihipStream_tbENKUlT_T0_E_clISt17integral_constantIbLb1EES11_EEDaSW_SX_EUlSW_E_NS1_11comp_targetILNS1_3genE5ELNS1_11target_archE942ELNS1_3gpuE9ELNS1_3repE0EEENS1_30default_config_static_selectorELNS0_4arch9wavefront6targetE1EEEvT1_
; %bb.0:
	.section	.rodata,"a",@progbits
	.p2align	6, 0x0
	.amdhsa_kernel _ZN7rocprim17ROCPRIM_400000_NS6detail17trampoline_kernelINS0_14default_configENS1_29reduce_by_key_config_selectorIddN6thrust23THRUST_200600_302600_NS4plusIdEEEEZZNS1_33reduce_by_key_impl_wrapped_configILNS1_25lookback_scan_determinismE0ES3_S9_NS6_6detail15normal_iteratorINS6_10device_ptrIdEEEESG_SG_SG_PmS8_NS6_8equal_toIdEEEE10hipError_tPvRmT2_T3_mT4_T5_T6_T7_T8_P12ihipStream_tbENKUlT_T0_E_clISt17integral_constantIbLb1EES11_EEDaSW_SX_EUlSW_E_NS1_11comp_targetILNS1_3genE5ELNS1_11target_archE942ELNS1_3gpuE9ELNS1_3repE0EEENS1_30default_config_static_selectorELNS0_4arch9wavefront6targetE1EEEvT1_
		.amdhsa_group_segment_fixed_size 0
		.amdhsa_private_segment_fixed_size 0
		.amdhsa_kernarg_size 136
		.amdhsa_user_sgpr_count 6
		.amdhsa_user_sgpr_private_segment_buffer 1
		.amdhsa_user_sgpr_dispatch_ptr 0
		.amdhsa_user_sgpr_queue_ptr 0
		.amdhsa_user_sgpr_kernarg_segment_ptr 1
		.amdhsa_user_sgpr_dispatch_id 0
		.amdhsa_user_sgpr_flat_scratch_init 0
		.amdhsa_user_sgpr_kernarg_preload_length 0
		.amdhsa_user_sgpr_kernarg_preload_offset 0
		.amdhsa_user_sgpr_private_segment_size 0
		.amdhsa_uses_dynamic_stack 0
		.amdhsa_system_sgpr_private_segment_wavefront_offset 0
		.amdhsa_system_sgpr_workgroup_id_x 1
		.amdhsa_system_sgpr_workgroup_id_y 0
		.amdhsa_system_sgpr_workgroup_id_z 0
		.amdhsa_system_sgpr_workgroup_info 0
		.amdhsa_system_vgpr_workitem_id 0
		.amdhsa_next_free_vgpr 1
		.amdhsa_next_free_sgpr 0
		.amdhsa_accum_offset 4
		.amdhsa_reserve_vcc 0
		.amdhsa_reserve_flat_scratch 0
		.amdhsa_float_round_mode_32 0
		.amdhsa_float_round_mode_16_64 0
		.amdhsa_float_denorm_mode_32 3
		.amdhsa_float_denorm_mode_16_64 3
		.amdhsa_dx10_clamp 1
		.amdhsa_ieee_mode 1
		.amdhsa_fp16_overflow 0
		.amdhsa_tg_split 0
		.amdhsa_exception_fp_ieee_invalid_op 0
		.amdhsa_exception_fp_denorm_src 0
		.amdhsa_exception_fp_ieee_div_zero 0
		.amdhsa_exception_fp_ieee_overflow 0
		.amdhsa_exception_fp_ieee_underflow 0
		.amdhsa_exception_fp_ieee_inexact 0
		.amdhsa_exception_int_div_zero 0
	.end_amdhsa_kernel
	.section	.text._ZN7rocprim17ROCPRIM_400000_NS6detail17trampoline_kernelINS0_14default_configENS1_29reduce_by_key_config_selectorIddN6thrust23THRUST_200600_302600_NS4plusIdEEEEZZNS1_33reduce_by_key_impl_wrapped_configILNS1_25lookback_scan_determinismE0ES3_S9_NS6_6detail15normal_iteratorINS6_10device_ptrIdEEEESG_SG_SG_PmS8_NS6_8equal_toIdEEEE10hipError_tPvRmT2_T3_mT4_T5_T6_T7_T8_P12ihipStream_tbENKUlT_T0_E_clISt17integral_constantIbLb1EES11_EEDaSW_SX_EUlSW_E_NS1_11comp_targetILNS1_3genE5ELNS1_11target_archE942ELNS1_3gpuE9ELNS1_3repE0EEENS1_30default_config_static_selectorELNS0_4arch9wavefront6targetE1EEEvT1_,"axG",@progbits,_ZN7rocprim17ROCPRIM_400000_NS6detail17trampoline_kernelINS0_14default_configENS1_29reduce_by_key_config_selectorIddN6thrust23THRUST_200600_302600_NS4plusIdEEEEZZNS1_33reduce_by_key_impl_wrapped_configILNS1_25lookback_scan_determinismE0ES3_S9_NS6_6detail15normal_iteratorINS6_10device_ptrIdEEEESG_SG_SG_PmS8_NS6_8equal_toIdEEEE10hipError_tPvRmT2_T3_mT4_T5_T6_T7_T8_P12ihipStream_tbENKUlT_T0_E_clISt17integral_constantIbLb1EES11_EEDaSW_SX_EUlSW_E_NS1_11comp_targetILNS1_3genE5ELNS1_11target_archE942ELNS1_3gpuE9ELNS1_3repE0EEENS1_30default_config_static_selectorELNS0_4arch9wavefront6targetE1EEEvT1_,comdat
.Lfunc_end23:
	.size	_ZN7rocprim17ROCPRIM_400000_NS6detail17trampoline_kernelINS0_14default_configENS1_29reduce_by_key_config_selectorIddN6thrust23THRUST_200600_302600_NS4plusIdEEEEZZNS1_33reduce_by_key_impl_wrapped_configILNS1_25lookback_scan_determinismE0ES3_S9_NS6_6detail15normal_iteratorINS6_10device_ptrIdEEEESG_SG_SG_PmS8_NS6_8equal_toIdEEEE10hipError_tPvRmT2_T3_mT4_T5_T6_T7_T8_P12ihipStream_tbENKUlT_T0_E_clISt17integral_constantIbLb1EES11_EEDaSW_SX_EUlSW_E_NS1_11comp_targetILNS1_3genE5ELNS1_11target_archE942ELNS1_3gpuE9ELNS1_3repE0EEENS1_30default_config_static_selectorELNS0_4arch9wavefront6targetE1EEEvT1_, .Lfunc_end23-_ZN7rocprim17ROCPRIM_400000_NS6detail17trampoline_kernelINS0_14default_configENS1_29reduce_by_key_config_selectorIddN6thrust23THRUST_200600_302600_NS4plusIdEEEEZZNS1_33reduce_by_key_impl_wrapped_configILNS1_25lookback_scan_determinismE0ES3_S9_NS6_6detail15normal_iteratorINS6_10device_ptrIdEEEESG_SG_SG_PmS8_NS6_8equal_toIdEEEE10hipError_tPvRmT2_T3_mT4_T5_T6_T7_T8_P12ihipStream_tbENKUlT_T0_E_clISt17integral_constantIbLb1EES11_EEDaSW_SX_EUlSW_E_NS1_11comp_targetILNS1_3genE5ELNS1_11target_archE942ELNS1_3gpuE9ELNS1_3repE0EEENS1_30default_config_static_selectorELNS0_4arch9wavefront6targetE1EEEvT1_
                                        ; -- End function
	.section	.AMDGPU.csdata,"",@progbits
; Kernel info:
; codeLenInByte = 0
; NumSgprs: 4
; NumVgprs: 0
; NumAgprs: 0
; TotalNumVgprs: 0
; ScratchSize: 0
; MemoryBound: 0
; FloatMode: 240
; IeeeMode: 1
; LDSByteSize: 0 bytes/workgroup (compile time only)
; SGPRBlocks: 0
; VGPRBlocks: 0
; NumSGPRsForWavesPerEU: 4
; NumVGPRsForWavesPerEU: 1
; AccumOffset: 4
; Occupancy: 8
; WaveLimiterHint : 0
; COMPUTE_PGM_RSRC2:SCRATCH_EN: 0
; COMPUTE_PGM_RSRC2:USER_SGPR: 6
; COMPUTE_PGM_RSRC2:TRAP_HANDLER: 0
; COMPUTE_PGM_RSRC2:TGID_X_EN: 1
; COMPUTE_PGM_RSRC2:TGID_Y_EN: 0
; COMPUTE_PGM_RSRC2:TGID_Z_EN: 0
; COMPUTE_PGM_RSRC2:TIDIG_COMP_CNT: 0
; COMPUTE_PGM_RSRC3_GFX90A:ACCUM_OFFSET: 0
; COMPUTE_PGM_RSRC3_GFX90A:TG_SPLIT: 0
	.section	.text._ZN7rocprim17ROCPRIM_400000_NS6detail17trampoline_kernelINS0_14default_configENS1_29reduce_by_key_config_selectorIddN6thrust23THRUST_200600_302600_NS4plusIdEEEEZZNS1_33reduce_by_key_impl_wrapped_configILNS1_25lookback_scan_determinismE0ES3_S9_NS6_6detail15normal_iteratorINS6_10device_ptrIdEEEESG_SG_SG_PmS8_NS6_8equal_toIdEEEE10hipError_tPvRmT2_T3_mT4_T5_T6_T7_T8_P12ihipStream_tbENKUlT_T0_E_clISt17integral_constantIbLb1EES11_EEDaSW_SX_EUlSW_E_NS1_11comp_targetILNS1_3genE4ELNS1_11target_archE910ELNS1_3gpuE8ELNS1_3repE0EEENS1_30default_config_static_selectorELNS0_4arch9wavefront6targetE1EEEvT1_,"axG",@progbits,_ZN7rocprim17ROCPRIM_400000_NS6detail17trampoline_kernelINS0_14default_configENS1_29reduce_by_key_config_selectorIddN6thrust23THRUST_200600_302600_NS4plusIdEEEEZZNS1_33reduce_by_key_impl_wrapped_configILNS1_25lookback_scan_determinismE0ES3_S9_NS6_6detail15normal_iteratorINS6_10device_ptrIdEEEESG_SG_SG_PmS8_NS6_8equal_toIdEEEE10hipError_tPvRmT2_T3_mT4_T5_T6_T7_T8_P12ihipStream_tbENKUlT_T0_E_clISt17integral_constantIbLb1EES11_EEDaSW_SX_EUlSW_E_NS1_11comp_targetILNS1_3genE4ELNS1_11target_archE910ELNS1_3gpuE8ELNS1_3repE0EEENS1_30default_config_static_selectorELNS0_4arch9wavefront6targetE1EEEvT1_,comdat
	.protected	_ZN7rocprim17ROCPRIM_400000_NS6detail17trampoline_kernelINS0_14default_configENS1_29reduce_by_key_config_selectorIddN6thrust23THRUST_200600_302600_NS4plusIdEEEEZZNS1_33reduce_by_key_impl_wrapped_configILNS1_25lookback_scan_determinismE0ES3_S9_NS6_6detail15normal_iteratorINS6_10device_ptrIdEEEESG_SG_SG_PmS8_NS6_8equal_toIdEEEE10hipError_tPvRmT2_T3_mT4_T5_T6_T7_T8_P12ihipStream_tbENKUlT_T0_E_clISt17integral_constantIbLb1EES11_EEDaSW_SX_EUlSW_E_NS1_11comp_targetILNS1_3genE4ELNS1_11target_archE910ELNS1_3gpuE8ELNS1_3repE0EEENS1_30default_config_static_selectorELNS0_4arch9wavefront6targetE1EEEvT1_ ; -- Begin function _ZN7rocprim17ROCPRIM_400000_NS6detail17trampoline_kernelINS0_14default_configENS1_29reduce_by_key_config_selectorIddN6thrust23THRUST_200600_302600_NS4plusIdEEEEZZNS1_33reduce_by_key_impl_wrapped_configILNS1_25lookback_scan_determinismE0ES3_S9_NS6_6detail15normal_iteratorINS6_10device_ptrIdEEEESG_SG_SG_PmS8_NS6_8equal_toIdEEEE10hipError_tPvRmT2_T3_mT4_T5_T6_T7_T8_P12ihipStream_tbENKUlT_T0_E_clISt17integral_constantIbLb1EES11_EEDaSW_SX_EUlSW_E_NS1_11comp_targetILNS1_3genE4ELNS1_11target_archE910ELNS1_3gpuE8ELNS1_3repE0EEENS1_30default_config_static_selectorELNS0_4arch9wavefront6targetE1EEEvT1_
	.globl	_ZN7rocprim17ROCPRIM_400000_NS6detail17trampoline_kernelINS0_14default_configENS1_29reduce_by_key_config_selectorIddN6thrust23THRUST_200600_302600_NS4plusIdEEEEZZNS1_33reduce_by_key_impl_wrapped_configILNS1_25lookback_scan_determinismE0ES3_S9_NS6_6detail15normal_iteratorINS6_10device_ptrIdEEEESG_SG_SG_PmS8_NS6_8equal_toIdEEEE10hipError_tPvRmT2_T3_mT4_T5_T6_T7_T8_P12ihipStream_tbENKUlT_T0_E_clISt17integral_constantIbLb1EES11_EEDaSW_SX_EUlSW_E_NS1_11comp_targetILNS1_3genE4ELNS1_11target_archE910ELNS1_3gpuE8ELNS1_3repE0EEENS1_30default_config_static_selectorELNS0_4arch9wavefront6targetE1EEEvT1_
	.p2align	8
	.type	_ZN7rocprim17ROCPRIM_400000_NS6detail17trampoline_kernelINS0_14default_configENS1_29reduce_by_key_config_selectorIddN6thrust23THRUST_200600_302600_NS4plusIdEEEEZZNS1_33reduce_by_key_impl_wrapped_configILNS1_25lookback_scan_determinismE0ES3_S9_NS6_6detail15normal_iteratorINS6_10device_ptrIdEEEESG_SG_SG_PmS8_NS6_8equal_toIdEEEE10hipError_tPvRmT2_T3_mT4_T5_T6_T7_T8_P12ihipStream_tbENKUlT_T0_E_clISt17integral_constantIbLb1EES11_EEDaSW_SX_EUlSW_E_NS1_11comp_targetILNS1_3genE4ELNS1_11target_archE910ELNS1_3gpuE8ELNS1_3repE0EEENS1_30default_config_static_selectorELNS0_4arch9wavefront6targetE1EEEvT1_,@function
_ZN7rocprim17ROCPRIM_400000_NS6detail17trampoline_kernelINS0_14default_configENS1_29reduce_by_key_config_selectorIddN6thrust23THRUST_200600_302600_NS4plusIdEEEEZZNS1_33reduce_by_key_impl_wrapped_configILNS1_25lookback_scan_determinismE0ES3_S9_NS6_6detail15normal_iteratorINS6_10device_ptrIdEEEESG_SG_SG_PmS8_NS6_8equal_toIdEEEE10hipError_tPvRmT2_T3_mT4_T5_T6_T7_T8_P12ihipStream_tbENKUlT_T0_E_clISt17integral_constantIbLb1EES11_EEDaSW_SX_EUlSW_E_NS1_11comp_targetILNS1_3genE4ELNS1_11target_archE910ELNS1_3gpuE8ELNS1_3repE0EEENS1_30default_config_static_selectorELNS0_4arch9wavefront6targetE1EEEvT1_: ; @_ZN7rocprim17ROCPRIM_400000_NS6detail17trampoline_kernelINS0_14default_configENS1_29reduce_by_key_config_selectorIddN6thrust23THRUST_200600_302600_NS4plusIdEEEEZZNS1_33reduce_by_key_impl_wrapped_configILNS1_25lookback_scan_determinismE0ES3_S9_NS6_6detail15normal_iteratorINS6_10device_ptrIdEEEESG_SG_SG_PmS8_NS6_8equal_toIdEEEE10hipError_tPvRmT2_T3_mT4_T5_T6_T7_T8_P12ihipStream_tbENKUlT_T0_E_clISt17integral_constantIbLb1EES11_EEDaSW_SX_EUlSW_E_NS1_11comp_targetILNS1_3genE4ELNS1_11target_archE910ELNS1_3gpuE8ELNS1_3repE0EEENS1_30default_config_static_selectorELNS0_4arch9wavefront6targetE1EEEvT1_
; %bb.0:
	s_load_dwordx8 s[52:59], s[4:5], 0x0
	s_load_dwordx4 s[60:63], s[4:5], 0x20
	s_load_dwordx2 s[64:65], s[4:5], 0x78
	v_cmp_ne_u32_e64 s[2:3], 0, v0
	v_cmp_eq_u32_e64 s[0:1], 0, v0
	s_and_saveexec_b64 s[6:7], s[0:1]
	s_cbranch_execz .LBB24_4
; %bb.1:
	s_mov_b64 s[10:11], exec
	v_mbcnt_lo_u32_b32 v1, s10, 0
	v_mbcnt_hi_u32_b32 v1, s11, v1
	v_cmp_eq_u32_e32 vcc, 0, v1
                                        ; implicit-def: $vgpr2
	s_and_saveexec_b64 s[8:9], vcc
	s_cbranch_execz .LBB24_3
; %bb.2:
	s_load_dwordx2 s[12:13], s[4:5], 0x80
	s_bcnt1_i32_b64 s10, s[10:11]
	v_mov_b32_e32 v2, 0
	v_mov_b32_e32 v3, s10
	s_waitcnt lgkmcnt(0)
	global_atomic_add v2, v2, v3, s[12:13] glc
.LBB24_3:
	s_or_b64 exec, exec, s[8:9]
	s_waitcnt vmcnt(0)
	v_readfirstlane_b32 s8, v2
	v_add_u32_e32 v1, s8, v1
	v_mov_b32_e32 v2, 0
	ds_write_b32 v2, v1
.LBB24_4:
	s_or_b64 exec, exec, s[6:7]
	s_load_dwordx16 s[36:51], s[4:5], 0x38
	v_mov_b32_e32 v3, 0
	s_waitcnt lgkmcnt(0)
	s_lshl_b64 s[4:5], s[54:55], 3
	s_barrier
	ds_read_b32 v1, v3
	s_add_u32 s6, s52, s4
	s_addc_u32 s7, s53, s5
	s_add_u32 s4, s56, s4
	s_mul_i32 s8, s44, s43
	s_mul_hi_u32 s9, s44, s42
	s_addc_u32 s5, s57, s5
	s_add_i32 s8, s9, s8
	s_mul_i32 s9, s45, s42
	s_add_i32 s8, s8, s9
	s_mul_i32 s9, s44, s42
	s_waitcnt lgkmcnt(0)
	v_readfirstlane_b32 s56, v1
	s_movk_i32 s10, 0xf00
	v_mul_lo_u32 v2, v1, s10
	s_add_u32 s52, s9, s56
	v_lshlrev_b64 v[2:3], 3, v[2:3]
	s_addc_u32 s53, s8, 0
	v_mov_b32_e32 v1, s7
	v_add_co_u32_e32 v78, vcc, s6, v2
	s_add_u32 s6, s46, -1
	v_addc_co_u32_e32 v79, vcc, v1, v3, vcc
	s_addc_u32 s7, s47, -1
	v_mov_b32_e32 v4, s5
	v_add_co_u32_e32 v1, vcc, s4, v2
	s_cmp_eq_u64 s[52:53], s[6:7]
	v_addc_co_u32_e32 v76, vcc, v4, v3, vcc
	s_cselect_b64 s[44:45], -1, 0
	s_cmp_lg_u64 s[52:53], s[6:7]
	s_mov_b64 s[4:5], -1
	s_cselect_b64 s[54:55], -1, 0
	s_mul_i32 s33, s6, 0xfffff100
	s_and_b64 vcc, exec, s[44:45]
	s_barrier
	s_cbranch_vccnz .LBB24_6
; %bb.5:
	v_lshlrev_b32_e32 v84, 3, v0
	v_add_co_u32_e32 v2, vcc, v78, v84
	v_addc_co_u32_e32 v3, vcc, 0, v79, vcc
	v_add_co_u32_e32 v4, vcc, 0x1000, v2
	v_addc_co_u32_e32 v5, vcc, 0, v3, vcc
	flat_load_dwordx2 v[6:7], v[2:3]
	flat_load_dwordx2 v[8:9], v[2:3] offset:2048
	flat_load_dwordx2 v[10:11], v[4:5]
	flat_load_dwordx2 v[12:13], v[4:5] offset:2048
	v_add_co_u32_e32 v4, vcc, 0x2000, v2
	v_addc_co_u32_e32 v5, vcc, 0, v3, vcc
	v_add_co_u32_e32 v14, vcc, 0x3000, v2
	v_addc_co_u32_e32 v15, vcc, 0, v3, vcc
	flat_load_dwordx2 v[16:17], v[4:5]
	flat_load_dwordx2 v[18:19], v[4:5] offset:2048
	flat_load_dwordx2 v[20:21], v[14:15]
	flat_load_dwordx2 v[22:23], v[14:15] offset:2048
	;; [unrolled: 8-line block ×3, first 2 shown]
	v_add_co_u32_e32 v4, vcc, 0x6000, v2
	v_addc_co_u32_e32 v5, vcc, 0, v3, vcc
	v_add_co_u32_e32 v2, vcc, 0x7000, v2
	v_addc_co_u32_e32 v3, vcc, 0, v3, vcc
	flat_load_dwordx2 v[14:15], v[4:5]
	flat_load_dwordx2 v[32:33], v[4:5] offset:2048
	flat_load_dwordx2 v[34:35], v[2:3]
	v_add_co_u32_e32 v36, vcc, v1, v84
	s_movk_i32 s4, 0x1000
	v_addc_co_u32_e32 v37, vcc, 0, v76, vcc
	s_movk_i32 s11, 0x70
	s_movk_i32 s5, 0x2000
	v_mad_u32_u24 v77, v0, s11, v84
	s_movk_i32 s6, 0x3000
	s_movk_i32 s7, 0x4000
	;; [unrolled: 1-line block ×5, first 2 shown]
	s_waitcnt vmcnt(0) lgkmcnt(0)
	ds_write2st64_b64 v84, v[6:7], v[8:9] offset1:4
	ds_write2st64_b64 v84, v[10:11], v[12:13] offset0:8 offset1:12
	ds_write2st64_b64 v84, v[16:17], v[18:19] offset0:16 offset1:20
	;; [unrolled: 1-line block ×6, first 2 shown]
	ds_write_b64 v84, v[34:35] offset:28672
	v_add_co_u32_e32 v30, vcc, s4, v36
	v_addc_co_u32_e32 v31, vcc, 0, v37, vcc
	s_waitcnt lgkmcnt(0)
	s_barrier
	ds_read2_b64 v[26:29], v77 offset1:1
	ds_read2_b64 v[22:25], v77 offset0:2 offset1:3
	ds_read2_b64 v[18:21], v77 offset0:4 offset1:5
	;; [unrolled: 1-line block ×6, first 2 shown]
	ds_read_b64 v[74:75], v77 offset:112
	s_waitcnt lgkmcnt(0)
	s_barrier
	flat_load_dwordx2 v[32:33], v[36:37]
	flat_load_dwordx2 v[34:35], v[36:37] offset:2048
	flat_load_dwordx2 v[38:39], v[30:31]
	flat_load_dwordx2 v[40:41], v[30:31] offset:2048
	v_add_co_u32_e32 v30, vcc, s5, v36
	v_addc_co_u32_e32 v31, vcc, 0, v37, vcc
	v_add_co_u32_e32 v42, vcc, s6, v36
	v_addc_co_u32_e32 v43, vcc, 0, v37, vcc
	flat_load_dwordx2 v[44:45], v[30:31]
	flat_load_dwordx2 v[46:47], v[30:31] offset:2048
	flat_load_dwordx2 v[48:49], v[42:43]
	flat_load_dwordx2 v[50:51], v[42:43] offset:2048
	v_add_co_u32_e32 v30, vcc, s7, v36
	v_addc_co_u32_e32 v31, vcc, 0, v37, vcc
	v_add_co_u32_e32 v42, vcc, s8, v36
	v_addc_co_u32_e32 v43, vcc, 0, v37, vcc
	;; [unrolled: 8-line block ×3, first 2 shown]
	flat_load_dwordx2 v[42:43], v[30:31]
	flat_load_dwordx2 v[80:81], v[30:31] offset:2048
	flat_load_dwordx2 v[82:83], v[36:37]
	v_mov_b32_e32 v58, v26
	v_mov_b32_e32 v59, v27
	;; [unrolled: 1-line block ×14, first 2 shown]
	s_waitcnt vmcnt(0) lgkmcnt(0)
	ds_write2st64_b64 v84, v[32:33], v[34:35] offset1:4
	ds_write2st64_b64 v84, v[38:39], v[40:41] offset0:8 offset1:12
	ds_write2st64_b64 v84, v[44:45], v[46:47] offset0:16 offset1:20
	;; [unrolled: 1-line block ×6, first 2 shown]
	ds_write_b64 v84, v[82:83] offset:28672
	s_waitcnt lgkmcnt(0)
	s_barrier
	s_add_i32 s33, s33, s48
	s_cbranch_execz .LBB24_7
	s_branch .LBB24_54
.LBB24_6:
                                        ; implicit-def: $vgpr74_vgpr75
                                        ; implicit-def: $vgpr2_vgpr3
                                        ; implicit-def: $vgpr6_vgpr7
                                        ; implicit-def: $vgpr10_vgpr11
                                        ; implicit-def: $vgpr14_vgpr15
                                        ; implicit-def: $vgpr18_vgpr19
                                        ; implicit-def: $vgpr22_vgpr23
                                        ; implicit-def: $vgpr26_vgpr27
                                        ; implicit-def: $vgpr77
                                        ; implicit-def: $vgpr66_vgpr67_vgpr68_vgpr69
                                        ; implicit-def: $vgpr62_vgpr63_vgpr64_vgpr65
                                        ; implicit-def: $vgpr58_vgpr59_vgpr60_vgpr61
                                        ; implicit-def: $vgpr70_vgpr71_vgpr72_vgpr73
	s_andn2_b64 vcc, exec, s[4:5]
	s_add_i32 s33, s33, s48
	s_cbranch_vccnz .LBB24_54
.LBB24_7:
	v_cmp_gt_u32_e32 vcc, s33, v0
                                        ; implicit-def: $vgpr2_vgpr3
	s_and_saveexec_b64 s[6:7], vcc
	s_cbranch_execz .LBB24_9
; %bb.8:
	v_lshlrev_b32_e32 v2, 3, v0
	v_add_co_u32_e64 v2, s[4:5], v78, v2
	v_addc_co_u32_e64 v3, s[4:5], 0, v79, s[4:5]
	flat_load_dwordx2 v[2:3], v[2:3]
.LBB24_9:
	s_or_b64 exec, exec, s[6:7]
	v_or_b32_e32 v4, 0x100, v0
	v_cmp_gt_u32_e64 s[4:5], s33, v4
                                        ; implicit-def: $vgpr4_vgpr5
	s_and_saveexec_b64 s[8:9], s[4:5]
	s_cbranch_execz .LBB24_11
; %bb.10:
	v_lshlrev_b32_e32 v4, 3, v0
	v_add_co_u32_e64 v4, s[6:7], v78, v4
	v_addc_co_u32_e64 v5, s[6:7], 0, v79, s[6:7]
	flat_load_dwordx2 v[4:5], v[4:5] offset:2048
.LBB24_11:
	s_or_b64 exec, exec, s[8:9]
	v_or_b32_e32 v36, 0x200, v0
	v_cmp_gt_u32_e64 s[6:7], s33, v36
                                        ; implicit-def: $vgpr6_vgpr7
	s_and_saveexec_b64 s[10:11], s[6:7]
	s_cbranch_execz .LBB24_13
; %bb.12:
	v_lshlrev_b32_e32 v6, 3, v36
	v_add_co_u32_e64 v6, s[8:9], v78, v6
	v_addc_co_u32_e64 v7, s[8:9], 0, v79, s[8:9]
	flat_load_dwordx2 v[6:7], v[6:7]
.LBB24_13:
	s_or_b64 exec, exec, s[10:11]
	v_or_b32_e32 v38, 0x300, v0
	v_cmp_gt_u32_e64 s[8:9], s33, v38
                                        ; implicit-def: $vgpr8_vgpr9
	s_and_saveexec_b64 s[12:13], s[8:9]
	s_cbranch_execz .LBB24_15
; %bb.14:
	v_lshlrev_b32_e32 v8, 3, v38
	v_add_co_u32_e64 v8, s[10:11], v78, v8
	v_addc_co_u32_e64 v9, s[10:11], 0, v79, s[10:11]
	flat_load_dwordx2 v[8:9], v[8:9]
.LBB24_15:
	s_or_b64 exec, exec, s[12:13]
	v_or_b32_e32 v40, 0x400, v0
	v_cmp_gt_u32_e64 s[10:11], s33, v40
                                        ; implicit-def: $vgpr10_vgpr11
	s_and_saveexec_b64 s[14:15], s[10:11]
	s_cbranch_execz .LBB24_17
; %bb.16:
	v_lshlrev_b32_e32 v10, 3, v40
	v_add_co_u32_e64 v10, s[12:13], v78, v10
	v_addc_co_u32_e64 v11, s[12:13], 0, v79, s[12:13]
	flat_load_dwordx2 v[10:11], v[10:11]
.LBB24_17:
	s_or_b64 exec, exec, s[14:15]
	v_or_b32_e32 v42, 0x500, v0
	v_cmp_gt_u32_e64 s[12:13], s33, v42
                                        ; implicit-def: $vgpr12_vgpr13
	s_and_saveexec_b64 s[16:17], s[12:13]
	s_cbranch_execz .LBB24_19
; %bb.18:
	v_lshlrev_b32_e32 v12, 3, v42
	v_add_co_u32_e64 v12, s[14:15], v78, v12
	v_addc_co_u32_e64 v13, s[14:15], 0, v79, s[14:15]
	flat_load_dwordx2 v[12:13], v[12:13]
.LBB24_19:
	s_or_b64 exec, exec, s[16:17]
	v_or_b32_e32 v44, 0x600, v0
	v_cmp_gt_u32_e64 s[14:15], s33, v44
                                        ; implicit-def: $vgpr14_vgpr15
	s_and_saveexec_b64 s[18:19], s[14:15]
	s_cbranch_execz .LBB24_21
; %bb.20:
	v_lshlrev_b32_e32 v14, 3, v44
	v_add_co_u32_e64 v14, s[16:17], v78, v14
	v_addc_co_u32_e64 v15, s[16:17], 0, v79, s[16:17]
	flat_load_dwordx2 v[14:15], v[14:15]
.LBB24_21:
	s_or_b64 exec, exec, s[18:19]
	v_or_b32_e32 v46, 0x700, v0
	v_cmp_gt_u32_e64 s[16:17], s33, v46
                                        ; implicit-def: $vgpr16_vgpr17
	s_and_saveexec_b64 s[20:21], s[16:17]
	s_cbranch_execz .LBB24_23
; %bb.22:
	v_lshlrev_b32_e32 v16, 3, v46
	v_add_co_u32_e64 v16, s[18:19], v78, v16
	v_addc_co_u32_e64 v17, s[18:19], 0, v79, s[18:19]
	flat_load_dwordx2 v[16:17], v[16:17]
.LBB24_23:
	s_or_b64 exec, exec, s[20:21]
	v_or_b32_e32 v48, 0x800, v0
	v_cmp_gt_u32_e64 s[18:19], s33, v48
                                        ; implicit-def: $vgpr18_vgpr19
	s_and_saveexec_b64 s[22:23], s[18:19]
	s_cbranch_execz .LBB24_25
; %bb.24:
	v_lshlrev_b32_e32 v18, 3, v48
	v_add_co_u32_e64 v18, s[20:21], v78, v18
	v_addc_co_u32_e64 v19, s[20:21], 0, v79, s[20:21]
	flat_load_dwordx2 v[18:19], v[18:19]
.LBB24_25:
	s_or_b64 exec, exec, s[22:23]
	v_or_b32_e32 v50, 0x900, v0
	v_cmp_gt_u32_e64 s[20:21], s33, v50
                                        ; implicit-def: $vgpr20_vgpr21
	s_and_saveexec_b64 s[24:25], s[20:21]
	s_cbranch_execz .LBB24_27
; %bb.26:
	v_lshlrev_b32_e32 v20, 3, v50
	v_add_co_u32_e64 v20, s[22:23], v78, v20
	v_addc_co_u32_e64 v21, s[22:23], 0, v79, s[22:23]
	flat_load_dwordx2 v[20:21], v[20:21]
.LBB24_27:
	s_or_b64 exec, exec, s[24:25]
	v_or_b32_e32 v52, 0xa00, v0
	v_cmp_gt_u32_e64 s[22:23], s33, v52
                                        ; implicit-def: $vgpr22_vgpr23
	s_and_saveexec_b64 s[26:27], s[22:23]
	s_cbranch_execz .LBB24_29
; %bb.28:
	v_lshlrev_b32_e32 v22, 3, v52
	v_add_co_u32_e64 v22, s[24:25], v78, v22
	v_addc_co_u32_e64 v23, s[24:25], 0, v79, s[24:25]
	flat_load_dwordx2 v[22:23], v[22:23]
.LBB24_29:
	s_or_b64 exec, exec, s[26:27]
	v_or_b32_e32 v54, 0xb00, v0
	v_cmp_gt_u32_e64 s[24:25], s33, v54
                                        ; implicit-def: $vgpr24_vgpr25
	s_and_saveexec_b64 s[28:29], s[24:25]
	s_cbranch_execz .LBB24_31
; %bb.30:
	v_lshlrev_b32_e32 v24, 3, v54
	v_add_co_u32_e64 v24, s[26:27], v78, v24
	v_addc_co_u32_e64 v25, s[26:27], 0, v79, s[26:27]
	flat_load_dwordx2 v[24:25], v[24:25]
.LBB24_31:
	s_or_b64 exec, exec, s[28:29]
	v_or_b32_e32 v56, 0xc00, v0
	v_cmp_gt_u32_e64 s[26:27], s33, v56
                                        ; implicit-def: $vgpr26_vgpr27
	s_and_saveexec_b64 s[30:31], s[26:27]
	s_cbranch_execz .LBB24_33
; %bb.32:
	v_lshlrev_b32_e32 v26, 3, v56
	v_add_co_u32_e64 v26, s[28:29], v78, v26
	v_addc_co_u32_e64 v27, s[28:29], 0, v79, s[28:29]
	flat_load_dwordx2 v[26:27], v[26:27]
.LBB24_33:
	s_or_b64 exec, exec, s[30:31]
	v_or_b32_e32 v58, 0xd00, v0
	v_cmp_gt_u32_e64 s[28:29], s33, v58
                                        ; implicit-def: $vgpr28_vgpr29
	s_and_saveexec_b64 s[34:35], s[28:29]
	s_cbranch_execz .LBB24_35
; %bb.34:
	v_lshlrev_b32_e32 v28, 3, v58
	v_add_co_u32_e64 v28, s[30:31], v78, v28
	v_addc_co_u32_e64 v29, s[30:31], 0, v79, s[30:31]
	flat_load_dwordx2 v[28:29], v[28:29]
.LBB24_35:
	s_or_b64 exec, exec, s[34:35]
	v_or_b32_e32 v61, 0xe00, v0
	v_cmp_gt_u32_e64 s[30:31], s33, v61
                                        ; implicit-def: $vgpr30_vgpr31
	s_and_saveexec_b64 s[46:47], s[30:31]
	s_cbranch_execz .LBB24_37
; %bb.36:
	v_lshlrev_b32_e32 v30, 3, v61
	v_add_co_u32_e64 v30, s[34:35], v78, v30
	v_addc_co_u32_e64 v31, s[34:35], 0, v79, s[34:35]
	flat_load_dwordx2 v[30:31], v[30:31]
.LBB24_37:
	s_or_b64 exec, exec, s[46:47]
	v_lshlrev_b32_e32 v60, 3, v0
	s_movk_i32 s34, 0x70
	v_mad_u32_u24 v77, v0, s34, v60
	s_waitcnt vmcnt(0) lgkmcnt(0)
	ds_write2st64_b64 v60, v[2:3], v[4:5] offset1:4
	ds_write2st64_b64 v60, v[6:7], v[8:9] offset0:8 offset1:12
	ds_write2st64_b64 v60, v[10:11], v[12:13] offset0:16 offset1:20
	;; [unrolled: 1-line block ×6, first 2 shown]
	ds_write_b64 v60, v[30:31] offset:28672
	s_waitcnt lgkmcnt(0)
	s_barrier
	ds_read2_b64 v[26:29], v77 offset1:1
	ds_read2_b64 v[22:25], v77 offset0:2 offset1:3
	ds_read2_b64 v[18:21], v77 offset0:4 offset1:5
	;; [unrolled: 1-line block ×6, first 2 shown]
	ds_read_b64 v[74:75], v77 offset:112
	s_waitcnt lgkmcnt(0)
	s_barrier
	s_waitcnt lgkmcnt(0)
                                        ; implicit-def: $vgpr30_vgpr31
	s_and_saveexec_b64 s[34:35], vcc
	s_cbranch_execnz .LBB24_61
; %bb.38:
	s_or_b64 exec, exec, s[34:35]
                                        ; implicit-def: $vgpr32_vgpr33
	s_and_saveexec_b64 s[34:35], s[4:5]
	s_cbranch_execnz .LBB24_62
.LBB24_39:
	s_or_b64 exec, exec, s[34:35]
                                        ; implicit-def: $vgpr34_vgpr35
	s_and_saveexec_b64 s[4:5], s[6:7]
	s_cbranch_execnz .LBB24_63
.LBB24_40:
	s_or_b64 exec, exec, s[4:5]
                                        ; implicit-def: $vgpr36_vgpr37
	s_and_saveexec_b64 s[4:5], s[8:9]
	s_cbranch_execnz .LBB24_64
.LBB24_41:
	s_or_b64 exec, exec, s[4:5]
                                        ; implicit-def: $vgpr38_vgpr39
	s_and_saveexec_b64 s[4:5], s[10:11]
	s_cbranch_execnz .LBB24_65
.LBB24_42:
	s_or_b64 exec, exec, s[4:5]
                                        ; implicit-def: $vgpr40_vgpr41
	s_and_saveexec_b64 s[4:5], s[12:13]
	s_cbranch_execnz .LBB24_66
.LBB24_43:
	s_or_b64 exec, exec, s[4:5]
                                        ; implicit-def: $vgpr42_vgpr43
	s_and_saveexec_b64 s[4:5], s[14:15]
	s_cbranch_execnz .LBB24_67
.LBB24_44:
	s_or_b64 exec, exec, s[4:5]
                                        ; implicit-def: $vgpr44_vgpr45
	s_and_saveexec_b64 s[4:5], s[16:17]
	s_cbranch_execnz .LBB24_68
.LBB24_45:
	s_or_b64 exec, exec, s[4:5]
                                        ; implicit-def: $vgpr46_vgpr47
	s_and_saveexec_b64 s[4:5], s[18:19]
	s_cbranch_execnz .LBB24_69
.LBB24_46:
	s_or_b64 exec, exec, s[4:5]
                                        ; implicit-def: $vgpr48_vgpr49
	s_and_saveexec_b64 s[4:5], s[20:21]
	s_cbranch_execnz .LBB24_70
.LBB24_47:
	s_or_b64 exec, exec, s[4:5]
                                        ; implicit-def: $vgpr50_vgpr51
	s_and_saveexec_b64 s[4:5], s[22:23]
	s_cbranch_execnz .LBB24_71
.LBB24_48:
	s_or_b64 exec, exec, s[4:5]
                                        ; implicit-def: $vgpr52_vgpr53
	s_and_saveexec_b64 s[4:5], s[24:25]
	s_cbranch_execnz .LBB24_72
.LBB24_49:
	s_or_b64 exec, exec, s[4:5]
                                        ; implicit-def: $vgpr54_vgpr55
	s_and_saveexec_b64 s[4:5], s[26:27]
	s_cbranch_execnz .LBB24_73
.LBB24_50:
	s_or_b64 exec, exec, s[4:5]
                                        ; implicit-def: $vgpr56_vgpr57
	s_and_saveexec_b64 s[4:5], s[28:29]
	s_cbranch_execnz .LBB24_74
.LBB24_51:
	s_or_b64 exec, exec, s[4:5]
                                        ; implicit-def: $vgpr58_vgpr59
	s_and_saveexec_b64 s[4:5], s[30:31]
	s_cbranch_execz .LBB24_53
.LBB24_52:
	v_lshlrev_b32_e32 v58, 3, v61
	v_add_co_u32_e32 v58, vcc, v1, v58
	v_addc_co_u32_e32 v59, vcc, 0, v76, vcc
	flat_load_dwordx2 v[58:59], v[58:59]
.LBB24_53:
	s_or_b64 exec, exec, s[4:5]
	s_waitcnt vmcnt(0) lgkmcnt(0)
	ds_write2st64_b64 v60, v[30:31], v[32:33] offset1:4
	ds_write2st64_b64 v60, v[34:35], v[36:37] offset0:8 offset1:12
	ds_write2st64_b64 v60, v[38:39], v[40:41] offset0:16 offset1:20
	;; [unrolled: 1-line block ×6, first 2 shown]
	ds_write_b64 v60, v[58:59] offset:28672
	v_mov_b32_e32 v58, v26
	v_mov_b32_e32 v59, v27
	;; [unrolled: 1-line block ×14, first 2 shown]
	s_waitcnt lgkmcnt(0)
	s_barrier
.LBB24_54:
	ds_read2_b64 v[54:57], v77 offset1:1
	ds_read2_b64 v[50:53], v77 offset0:2 offset1:3
	ds_read2_b64 v[46:49], v77 offset0:4 offset1:5
	ds_read2_b64 v[42:45], v77 offset0:6 offset1:7
	ds_read2_b64 v[38:41], v77 offset0:8 offset1:9
	ds_read2_b64 v[34:37], v77 offset0:10 offset1:11
	ds_read2_b64 v[30:33], v77 offset0:12 offset1:13
	ds_read_b64 v[72:73], v77 offset:112
	s_cmp_eq_u64 s[52:53], 0
	s_cselect_b64 s[46:47], -1, 0
	s_cmp_lg_u64 s[52:53], 0
	s_mov_b64 s[6:7], 0
	s_cselect_b64 s[30:31], -1, 0
	s_and_b64 vcc, exec, s[54:55]
	s_waitcnt lgkmcnt(0)
	s_barrier
	s_cbranch_vccz .LBB24_60
; %bb.55:
	s_and_b64 vcc, exec, s[30:31]
	s_cbranch_vccz .LBB24_75
; %bb.56:
	v_add_co_u32_e32 v76, vcc, -8, v78
	v_addc_co_u32_e32 v77, vcc, -1, v79, vcc
	flat_load_dwordx2 v[76:77], v[76:77]
	v_lshlrev_b32_e32 v1, 3, v0
	v_cmp_neq_f64_e32 vcc, v[4:5], v[74:75]
	v_cmp_neq_f64_e64 s[4:5], v[2:3], v[4:5]
	v_cmp_neq_f64_e64 s[6:7], v[8:9], v[2:3]
	;; [unrolled: 1-line block ×13, first 2 shown]
	ds_write_b64 v1, v[74:75]
	s_waitcnt lgkmcnt(0)
	s_barrier
	s_and_saveexec_b64 s[34:35], s[2:3]
	s_cbranch_execz .LBB24_58
; %bb.57:
	v_add_u32_e32 v1, -8, v1
	s_waitcnt vmcnt(0)
	ds_read_b64 v[76:77], v1
.LBB24_58:
	s_or_b64 exec, exec, s[34:35]
	v_cndmask_b32_e64 v1, 0, 1, vcc
	v_cndmask_b32_e64 v100, 0, 1, s[4:5]
	v_cndmask_b32_e64 v101, 0, 1, s[6:7]
	;; [unrolled: 1-line block ×13, first 2 shown]
	s_waitcnt vmcnt(0) lgkmcnt(0)
	v_cmp_neq_f64_e64 s[4:5], v[76:77], v[26:27]
	s_mov_b64 s[6:7], -1
.LBB24_59:
                                        ; implicit-def: $sgpr12
	s_branch .LBB24_87
.LBB24_60:
                                        ; implicit-def: $sgpr4_sgpr5
                                        ; implicit-def: $vgpr1
                                        ; implicit-def: $vgpr100
                                        ; implicit-def: $vgpr101
                                        ; implicit-def: $vgpr102
                                        ; implicit-def: $vgpr103
                                        ; implicit-def: $vgpr104
                                        ; implicit-def: $vgpr105
                                        ; implicit-def: $vgpr106
                                        ; implicit-def: $vgpr107
                                        ; implicit-def: $vgpr108
                                        ; implicit-def: $vgpr109
                                        ; implicit-def: $vgpr110
                                        ; implicit-def: $vgpr111
                                        ; implicit-def: $vgpr112
                                        ; implicit-def: $sgpr12
	s_cbranch_execnz .LBB24_79
	s_branch .LBB24_87
.LBB24_61:
	v_add_co_u32_e32 v30, vcc, v1, v60
	v_addc_co_u32_e32 v31, vcc, 0, v76, vcc
	flat_load_dwordx2 v[30:31], v[30:31]
	s_or_b64 exec, exec, s[34:35]
                                        ; implicit-def: $vgpr32_vgpr33
	s_and_saveexec_b64 s[34:35], s[4:5]
	s_cbranch_execz .LBB24_39
.LBB24_62:
	v_add_co_u32_e32 v32, vcc, v1, v60
	v_addc_co_u32_e32 v33, vcc, 0, v76, vcc
	flat_load_dwordx2 v[32:33], v[32:33] offset:2048
	s_or_b64 exec, exec, s[34:35]
                                        ; implicit-def: $vgpr34_vgpr35
	s_and_saveexec_b64 s[4:5], s[6:7]
	s_cbranch_execz .LBB24_40
.LBB24_63:
	v_lshlrev_b32_e32 v34, 3, v36
	v_add_co_u32_e32 v34, vcc, v1, v34
	v_addc_co_u32_e32 v35, vcc, 0, v76, vcc
	flat_load_dwordx2 v[34:35], v[34:35]
	s_or_b64 exec, exec, s[4:5]
                                        ; implicit-def: $vgpr36_vgpr37
	s_and_saveexec_b64 s[4:5], s[8:9]
	s_cbranch_execz .LBB24_41
.LBB24_64:
	v_lshlrev_b32_e32 v36, 3, v38
	v_add_co_u32_e32 v36, vcc, v1, v36
	v_addc_co_u32_e32 v37, vcc, 0, v76, vcc
	flat_load_dwordx2 v[36:37], v[36:37]
	s_or_b64 exec, exec, s[4:5]
                                        ; implicit-def: $vgpr38_vgpr39
	s_and_saveexec_b64 s[4:5], s[10:11]
	s_cbranch_execz .LBB24_42
.LBB24_65:
	v_lshlrev_b32_e32 v38, 3, v40
	v_add_co_u32_e32 v38, vcc, v1, v38
	v_addc_co_u32_e32 v39, vcc, 0, v76, vcc
	flat_load_dwordx2 v[38:39], v[38:39]
	s_or_b64 exec, exec, s[4:5]
                                        ; implicit-def: $vgpr40_vgpr41
	s_and_saveexec_b64 s[4:5], s[12:13]
	s_cbranch_execz .LBB24_43
.LBB24_66:
	v_lshlrev_b32_e32 v40, 3, v42
	v_add_co_u32_e32 v40, vcc, v1, v40
	v_addc_co_u32_e32 v41, vcc, 0, v76, vcc
	flat_load_dwordx2 v[40:41], v[40:41]
	s_or_b64 exec, exec, s[4:5]
                                        ; implicit-def: $vgpr42_vgpr43
	s_and_saveexec_b64 s[4:5], s[14:15]
	s_cbranch_execz .LBB24_44
.LBB24_67:
	v_lshlrev_b32_e32 v42, 3, v44
	v_add_co_u32_e32 v42, vcc, v1, v42
	v_addc_co_u32_e32 v43, vcc, 0, v76, vcc
	flat_load_dwordx2 v[42:43], v[42:43]
	s_or_b64 exec, exec, s[4:5]
                                        ; implicit-def: $vgpr44_vgpr45
	s_and_saveexec_b64 s[4:5], s[16:17]
	s_cbranch_execz .LBB24_45
.LBB24_68:
	v_lshlrev_b32_e32 v44, 3, v46
	v_add_co_u32_e32 v44, vcc, v1, v44
	v_addc_co_u32_e32 v45, vcc, 0, v76, vcc
	flat_load_dwordx2 v[44:45], v[44:45]
	s_or_b64 exec, exec, s[4:5]
                                        ; implicit-def: $vgpr46_vgpr47
	s_and_saveexec_b64 s[4:5], s[18:19]
	s_cbranch_execz .LBB24_46
.LBB24_69:
	v_lshlrev_b32_e32 v46, 3, v48
	v_add_co_u32_e32 v46, vcc, v1, v46
	v_addc_co_u32_e32 v47, vcc, 0, v76, vcc
	flat_load_dwordx2 v[46:47], v[46:47]
	s_or_b64 exec, exec, s[4:5]
                                        ; implicit-def: $vgpr48_vgpr49
	s_and_saveexec_b64 s[4:5], s[20:21]
	s_cbranch_execz .LBB24_47
.LBB24_70:
	v_lshlrev_b32_e32 v48, 3, v50
	v_add_co_u32_e32 v48, vcc, v1, v48
	v_addc_co_u32_e32 v49, vcc, 0, v76, vcc
	flat_load_dwordx2 v[48:49], v[48:49]
	s_or_b64 exec, exec, s[4:5]
                                        ; implicit-def: $vgpr50_vgpr51
	s_and_saveexec_b64 s[4:5], s[22:23]
	s_cbranch_execz .LBB24_48
.LBB24_71:
	v_lshlrev_b32_e32 v50, 3, v52
	v_add_co_u32_e32 v50, vcc, v1, v50
	v_addc_co_u32_e32 v51, vcc, 0, v76, vcc
	flat_load_dwordx2 v[50:51], v[50:51]
	s_or_b64 exec, exec, s[4:5]
                                        ; implicit-def: $vgpr52_vgpr53
	s_and_saveexec_b64 s[4:5], s[24:25]
	s_cbranch_execz .LBB24_49
.LBB24_72:
	v_lshlrev_b32_e32 v52, 3, v54
	v_add_co_u32_e32 v52, vcc, v1, v52
	v_addc_co_u32_e32 v53, vcc, 0, v76, vcc
	flat_load_dwordx2 v[52:53], v[52:53]
	s_or_b64 exec, exec, s[4:5]
                                        ; implicit-def: $vgpr54_vgpr55
	s_and_saveexec_b64 s[4:5], s[26:27]
	s_cbranch_execz .LBB24_50
.LBB24_73:
	v_lshlrev_b32_e32 v54, 3, v56
	v_add_co_u32_e32 v54, vcc, v1, v54
	v_addc_co_u32_e32 v55, vcc, 0, v76, vcc
	flat_load_dwordx2 v[54:55], v[54:55]
	s_or_b64 exec, exec, s[4:5]
                                        ; implicit-def: $vgpr56_vgpr57
	s_and_saveexec_b64 s[4:5], s[28:29]
	s_cbranch_execz .LBB24_51
.LBB24_74:
	v_lshlrev_b32_e32 v56, 3, v58
	v_add_co_u32_e32 v56, vcc, v1, v56
	v_addc_co_u32_e32 v57, vcc, 0, v76, vcc
	flat_load_dwordx2 v[56:57], v[56:57]
	s_or_b64 exec, exec, s[4:5]
                                        ; implicit-def: $vgpr58_vgpr59
	s_and_saveexec_b64 s[4:5], s[30:31]
	s_cbranch_execnz .LBB24_52
	s_branch .LBB24_53
.LBB24_75:
                                        ; implicit-def: $sgpr4_sgpr5
                                        ; implicit-def: $vgpr1
                                        ; implicit-def: $vgpr100
                                        ; implicit-def: $vgpr101
                                        ; implicit-def: $vgpr102
                                        ; implicit-def: $vgpr103
                                        ; implicit-def: $vgpr104
                                        ; implicit-def: $vgpr105
                                        ; implicit-def: $vgpr106
                                        ; implicit-def: $vgpr107
                                        ; implicit-def: $vgpr108
                                        ; implicit-def: $vgpr109
                                        ; implicit-def: $vgpr110
                                        ; implicit-def: $vgpr111
                                        ; implicit-def: $vgpr112
	s_cbranch_execz .LBB24_59
; %bb.76:
	v_cmp_neq_f64_e32 vcc, v[28:29], v[58:59]
	v_cndmask_b32_e64 v112, 0, 1, vcc
	v_cmp_neq_f64_e32 vcc, v[28:29], v[60:61]
	v_cndmask_b32_e64 v111, 0, 1, vcc
	;; [unrolled: 2-line block ×13, first 2 shown]
	v_cmp_neq_f64_e32 vcc, v[4:5], v[74:75]
	v_lshlrev_b32_e32 v76, 3, v0
	v_cndmask_b32_e64 v1, 0, 1, vcc
	ds_write_b64 v76, v[74:75]
	s_waitcnt lgkmcnt(0)
	s_barrier
	s_waitcnt lgkmcnt(0)
                                        ; implicit-def: $sgpr4_sgpr5
	s_and_saveexec_b64 s[8:9], s[2:3]
	s_xor_b64 s[8:9], exec, s[8:9]
	s_cbranch_execz .LBB24_78
; %bb.77:
	v_add_u32_e32 v58, -8, v76
	ds_read_b64 v[58:59], v58
	s_or_b64 s[6:7], s[6:7], exec
	s_waitcnt lgkmcnt(0)
	v_cmp_neq_f64_e32 vcc, v[58:59], v[26:27]
	s_and_b64 s[4:5], vcc, exec
.LBB24_78:
	s_or_b64 exec, exec, s[8:9]
	s_mov_b32 s12, 1
	s_branch .LBB24_87
.LBB24_79:
	s_mul_hi_u32 s5, s52, 0xfffff100
	s_mul_i32 s4, s53, 0xfffff100
	s_sub_i32 s5, s5, s52
	s_add_i32 s5, s5, s4
	s_mul_i32 s4, s52, 0xfffff100
	s_add_u32 s8, s4, s48
	s_addc_u32 s9, s5, s49
	s_and_b64 vcc, exec, s[30:31]
	s_cbranch_vccz .LBB24_84
; %bb.80:
	v_add_co_u32_e32 v58, vcc, -8, v78
	v_addc_co_u32_e32 v59, vcc, -1, v79, vcc
	flat_load_dwordx2 v[58:59], v[58:59]
	v_mad_u32_u24 v62, v0, 15, 14
	v_mov_b32_e32 v63, 0
	v_cmp_gt_u64_e32 vcc, s[8:9], v[62:63]
	v_cmp_neq_f64_e64 s[4:5], v[4:5], v[74:75]
	v_mad_u32_u24 v62, v0, 15, 13
	s_and_b64 s[6:7], vcc, s[4:5]
	v_cmp_gt_u64_e32 vcc, s[8:9], v[62:63]
	v_cmp_neq_f64_e64 s[4:5], v[2:3], v[4:5]
	v_mad_u32_u24 v62, v0, 15, 12
	s_and_b64 s[10:11], vcc, s[4:5]
	;; [unrolled: 4-line block ×13, first 2 shown]
	v_cmp_gt_u64_e32 vcc, s[8:9], v[62:63]
	v_cmp_neq_f64_e64 s[4:5], v[26:27], v[28:29]
	v_lshlrev_b32_e32 v1, 3, v0
	v_mul_u32_u24_e32 v60, 15, v0
	s_and_b64 s[4:5], vcc, s[4:5]
	ds_write_b64 v1, v[74:75]
	s_waitcnt lgkmcnt(0)
	s_barrier
	s_and_saveexec_b64 s[48:49], s[2:3]
	s_cbranch_execz .LBB24_82
; %bb.81:
	v_add_u32_e32 v1, -8, v1
	s_waitcnt vmcnt(0)
	ds_read_b64 v[58:59], v1
.LBB24_82:
	s_or_b64 exec, exec, s[48:49]
	v_mov_b32_e32 v61, v63
	v_cndmask_b32_e64 v112, 0, 1, s[4:5]
	v_cmp_gt_u64_e32 vcc, s[8:9], v[60:61]
	s_waitcnt vmcnt(0) lgkmcnt(0)
	v_cmp_neq_f64_e64 s[4:5], v[58:59], v[26:27]
	v_cndmask_b32_e64 v1, 0, 1, s[6:7]
	v_cndmask_b32_e64 v100, 0, 1, s[10:11]
	;; [unrolled: 1-line block ×13, first 2 shown]
	s_and_b64 s[4:5], vcc, s[4:5]
	s_mov_b64 s[6:7], -1
.LBB24_83:
                                        ; implicit-def: $sgpr12
	v_mov_b32_e32 v113, s12
	s_and_saveexec_b64 s[2:3], s[6:7]
	s_cbranch_execnz .LBB24_88
	s_branch .LBB24_89
.LBB24_84:
                                        ; implicit-def: $sgpr4_sgpr5
                                        ; implicit-def: $vgpr1
                                        ; implicit-def: $vgpr100
                                        ; implicit-def: $vgpr101
                                        ; implicit-def: $vgpr102
                                        ; implicit-def: $vgpr103
                                        ; implicit-def: $vgpr104
                                        ; implicit-def: $vgpr105
                                        ; implicit-def: $vgpr106
                                        ; implicit-def: $vgpr107
                                        ; implicit-def: $vgpr108
                                        ; implicit-def: $vgpr109
                                        ; implicit-def: $vgpr110
                                        ; implicit-def: $vgpr111
                                        ; implicit-def: $vgpr112
	s_cbranch_execz .LBB24_83
; %bb.85:
	v_mad_u32_u24 v58, v0, 15, 14
	v_mov_b32_e32 v59, 0
	v_cmp_gt_u64_e32 vcc, s[8:9], v[58:59]
	v_cmp_neq_f64_e64 s[4:5], v[4:5], v[74:75]
	s_and_b64 s[4:5], vcc, s[4:5]
	v_mad_u32_u24 v58, v0, 15, 13
	v_cndmask_b32_e64 v1, 0, 1, s[4:5]
	v_cmp_gt_u64_e32 vcc, s[8:9], v[58:59]
	v_cmp_neq_f64_e64 s[4:5], v[2:3], v[4:5]
	s_and_b64 s[4:5], vcc, s[4:5]
	v_mad_u32_u24 v58, v0, 15, 12
	v_cndmask_b32_e64 v100, 0, 1, s[4:5]
	;; [unrolled: 5-line block ×13, first 2 shown]
	v_cmp_gt_u64_e32 vcc, s[8:9], v[58:59]
	v_cmp_neq_f64_e64 s[4:5], v[26:27], v[28:29]
	s_and_b64 s[4:5], vcc, s[4:5]
	v_lshlrev_b32_e32 v60, 3, v0
	s_mov_b32 s12, 1
	v_cndmask_b32_e64 v112, 0, 1, s[4:5]
	ds_write_b64 v60, v[74:75]
	s_waitcnt lgkmcnt(0)
	s_barrier
	s_waitcnt lgkmcnt(0)
                                        ; implicit-def: $sgpr4_sgpr5
	s_and_saveexec_b64 s[10:11], s[2:3]
	s_cbranch_execz .LBB24_228
; %bb.86:
	v_add_u32_e32 v58, -8, v60
	ds_read_b64 v[60:61], v58
	v_mul_u32_u24_e32 v58, 15, v0
	v_cmp_gt_u64_e32 vcc, s[8:9], v[58:59]
	s_or_b64 s[6:7], s[6:7], exec
	s_waitcnt lgkmcnt(0)
	v_cmp_neq_f64_e64 s[2:3], v[60:61], v[26:27]
	s_and_b64 s[2:3], vcc, s[2:3]
	s_and_b64 s[4:5], s[2:3], exec
	s_or_b64 exec, exec, s[10:11]
.LBB24_87:
	v_mov_b32_e32 v113, s12
	s_and_saveexec_b64 s[2:3], s[6:7]
.LBB24_88:
	v_cndmask_b32_e64 v113, 0, 1, s[4:5]
.LBB24_89:
	s_or_b64 exec, exec, s[2:3]
	s_cmp_eq_u64 s[42:43], 0
	v_add3_u32 v58, v112, v113, v111
	s_cselect_b64 s[30:31], -1, 0
	s_cmp_lg_u32 s56, 0
	v_add_f64 v[98:99], v[54:55], v[56:57]
	v_cmp_eq_u32_e64 s[26:27], 0, v112
	v_cmp_eq_u32_e64 s[24:25], 0, v111
	;; [unrolled: 1-line block ×3, first 2 shown]
	v_add3_u32 v115, v58, v110, v109
	v_cmp_eq_u32_e64 s[20:21], 0, v109
	v_cmp_eq_u32_e64 s[18:19], 0, v108
	;; [unrolled: 1-line block ×10, first 2 shown]
	v_cmp_eq_u32_e32 vcc, 0, v1
	v_mbcnt_lo_u32_b32 v114, -1, 0
	s_cbranch_scc0 .LBB24_160
; %bb.90:
	v_cndmask_b32_e64 v59, v57, v99, s[26:27]
	v_cndmask_b32_e64 v58, v56, v98, s[26:27]
	v_add_f64 v[58:59], v[50:51], v[58:59]
	v_cndmask_b32_e64 v59, v51, v59, s[24:25]
	v_cndmask_b32_e64 v58, v50, v58, s[24:25]
	v_add_f64 v[58:59], v[52:53], v[58:59]
	;; [unrolled: 3-line block ×11, first 2 shown]
	v_add3_u32 v60, v115, v108, v107
	v_cndmask_b32_e64 v59, v31, v59, s[4:5]
	v_cndmask_b32_e64 v58, v30, v58, s[4:5]
	v_add3_u32 v60, v60, v106, v105
	v_add_f64 v[58:59], v[32:33], v[58:59]
	v_add3_u32 v60, v60, v104, v103
	v_cndmask_b32_e64 v59, v33, v59, s[2:3]
	v_cndmask_b32_e64 v58, v32, v58, s[2:3]
	v_add3_u32 v60, v60, v102, v101
	v_add_f64 v[58:59], v[72:73], v[58:59]
	v_mbcnt_hi_u32_b32 v70, -1, v114
	v_add3_u32 v64, v60, v100, v1
	v_cndmask_b32_e32 v61, v73, v59, vcc
	v_cndmask_b32_e32 v60, v72, v58, vcc
	v_and_b32_e32 v62, 15, v70
	v_mov_b32_dpp v63, v64 row_shr:1 row_mask:0xf bank_mask:0xf
	v_mov_b32_dpp v58, v60 row_shr:1 row_mask:0xf bank_mask:0xf
	;; [unrolled: 1-line block ×3, first 2 shown]
	v_cmp_ne_u32_e32 vcc, 0, v62
	s_and_saveexec_b64 s[28:29], vcc
; %bb.91:
	v_add_u32_e32 v63, v63, v64
	v_add_f64 v[58:59], v[60:61], v[58:59]
	v_cmp_eq_u32_e32 vcc, 0, v64
	v_cndmask_b32_e32 v61, v61, v59, vcc
	v_cndmask_b32_e32 v60, v60, v58, vcc
	v_mov_b32_e32 v64, v63
; %bb.92:
	s_or_b64 exec, exec, s[28:29]
	s_nop 0
	v_mov_b32_dpp v63, v64 row_shr:2 row_mask:0xf bank_mask:0xf
	v_mov_b32_dpp v58, v60 row_shr:2 row_mask:0xf bank_mask:0xf
	v_mov_b32_dpp v59, v61 row_shr:2 row_mask:0xf bank_mask:0xf
	v_cmp_lt_u32_e32 vcc, 1, v62
	s_and_saveexec_b64 s[28:29], vcc
; %bb.93:
	v_add_u32_e32 v63, v63, v64
	v_add_f64 v[58:59], v[60:61], v[58:59]
	v_cmp_eq_u32_e32 vcc, 0, v64
	v_cndmask_b32_e32 v61, v61, v59, vcc
	v_cndmask_b32_e32 v60, v60, v58, vcc
	v_mov_b32_e32 v64, v63
; %bb.94:
	s_or_b64 exec, exec, s[28:29]
	s_nop 0
	v_mov_b32_dpp v63, v64 row_shr:4 row_mask:0xf bank_mask:0xf
	v_mov_b32_dpp v58, v60 row_shr:4 row_mask:0xf bank_mask:0xf
	v_mov_b32_dpp v59, v61 row_shr:4 row_mask:0xf bank_mask:0xf
	v_cmp_lt_u32_e32 vcc, 3, v62
	;; [unrolled: 15-line block ×3, first 2 shown]
	s_and_saveexec_b64 s[28:29], vcc
; %bb.97:
	v_add_u32_e32 v62, v63, v64
	v_add_f64 v[58:59], v[60:61], v[58:59]
	v_cmp_eq_u32_e32 vcc, 0, v64
	v_cndmask_b32_e32 v61, v61, v59, vcc
	v_cndmask_b32_e32 v60, v60, v58, vcc
	v_mov_b32_e32 v64, v62
; %bb.98:
	s_or_b64 exec, exec, s[28:29]
	v_and_b32_e32 v63, 16, v70
	v_mov_b32_dpp v62, v64 row_bcast:15 row_mask:0xf bank_mask:0xf
	v_mov_b32_dpp v58, v60 row_bcast:15 row_mask:0xf bank_mask:0xf
	;; [unrolled: 1-line block ×3, first 2 shown]
	v_cmp_ne_u32_e32 vcc, 0, v63
	s_and_saveexec_b64 s[28:29], vcc
; %bb.99:
	v_add_u32_e32 v62, v62, v64
	v_add_f64 v[58:59], v[60:61], v[58:59]
	v_cmp_eq_u32_e32 vcc, 0, v64
	v_cndmask_b32_e32 v61, v61, v59, vcc
	v_cndmask_b32_e32 v60, v60, v58, vcc
	v_mov_b32_e32 v64, v62
; %bb.100:
	s_or_b64 exec, exec, s[28:29]
	s_nop 0
	v_mov_b32_dpp v62, v64 row_bcast:31 row_mask:0xf bank_mask:0xf
	v_mov_b32_dpp v58, v60 row_bcast:31 row_mask:0xf bank_mask:0xf
	;; [unrolled: 1-line block ×3, first 2 shown]
	v_cmp_lt_u32_e32 vcc, 31, v70
	s_and_saveexec_b64 s[28:29], vcc
; %bb.101:
	v_add_u32_e32 v62, v62, v64
	v_add_f64 v[58:59], v[60:61], v[58:59]
	v_cmp_eq_u32_e32 vcc, 0, v64
	v_cndmask_b32_e32 v61, v61, v59, vcc
	v_cndmask_b32_e32 v60, v60, v58, vcc
	v_mov_b32_e32 v64, v62
; %bb.102:
	s_or_b64 exec, exec, s[28:29]
	v_lshrrev_b32_e32 v58, 6, v0
	v_or_b32_e32 v59, 63, v0
	v_cmp_eq_u32_e32 vcc, v59, v0
	v_lshlrev_b32_e32 v65, 4, v58
	s_and_saveexec_b64 s[28:29], vcc
	s_cbranch_execz .LBB24_104
; %bb.103:
	ds_write_b32 v65, v64 offset:4128
	ds_write_b64 v65, v[60:61] offset:4136
.LBB24_104:
	s_or_b64 exec, exec, s[28:29]
	v_cmp_gt_u32_e32 vcc, 4, v0
	s_waitcnt lgkmcnt(0)
	s_barrier
	s_and_saveexec_b64 s[28:29], vcc
	s_cbranch_execz .LBB24_110
; %bb.105:
	v_lshlrev_b32_e32 v66, 4, v0
	ds_read_b32 v67, v66 offset:4128
	ds_read_b64 v[58:59], v66 offset:4136
	v_and_b32_e32 v68, 3, v70
	v_cmp_ne_u32_e32 vcc, 0, v68
	s_waitcnt lgkmcnt(1)
	v_mov_b32_dpp v69, v67 row_shr:1 row_mask:0xf bank_mask:0xf
	s_waitcnt lgkmcnt(0)
	v_mov_b32_dpp v62, v58 row_shr:1 row_mask:0xf bank_mask:0xf
	v_mov_b32_dpp v63, v59 row_shr:1 row_mask:0xf bank_mask:0xf
	s_and_saveexec_b64 s[34:35], vcc
; %bb.106:
	v_add_u32_e32 v69, v69, v67
	v_add_f64 v[62:63], v[58:59], v[62:63]
	v_cmp_eq_u32_e32 vcc, 0, v67
	v_cndmask_b32_e32 v59, v59, v63, vcc
	v_cndmask_b32_e32 v58, v58, v62, vcc
	v_mov_b32_e32 v67, v69
; %bb.107:
	s_or_b64 exec, exec, s[34:35]
	s_nop 0
	v_mov_b32_dpp v69, v67 row_shr:2 row_mask:0xf bank_mask:0xf
	v_mov_b32_dpp v62, v58 row_shr:2 row_mask:0xf bank_mask:0xf
	;; [unrolled: 1-line block ×3, first 2 shown]
	v_cmp_lt_u32_e32 vcc, 1, v68
	s_and_saveexec_b64 s[34:35], vcc
; %bb.108:
	v_add_u32_e32 v68, v69, v67
	v_add_f64 v[62:63], v[58:59], v[62:63]
	v_cmp_eq_u32_e32 vcc, 0, v67
	v_cndmask_b32_e32 v59, v59, v63, vcc
	v_cndmask_b32_e32 v58, v58, v62, vcc
	v_mov_b32_e32 v67, v68
; %bb.109:
	s_or_b64 exec, exec, s[34:35]
	ds_write_b32 v66, v67 offset:4128
	ds_write_b64 v66, v[58:59] offset:4136
.LBB24_110:
	s_or_b64 exec, exec, s[28:29]
	v_cmp_gt_u32_e32 vcc, 64, v0
	v_cmp_lt_u32_e64 s[28:29], 63, v0
	v_pk_mov_b32 v[58:59], 0, 0
	v_mov_b32_e32 v76, 0
	s_waitcnt lgkmcnt(0)
	s_barrier
	s_and_saveexec_b64 s[34:35], s[28:29]
	s_cbranch_execz .LBB24_112
; %bb.111:
	ds_read_b32 v76, v65 offset:4112
	ds_read_b64 v[58:59], v65 offset:4120
	v_cmp_eq_u32_e64 s[28:29], 0, v64
	s_waitcnt lgkmcnt(1)
	v_add_u32_e32 v65, v76, v64
	s_waitcnt lgkmcnt(0)
	v_add_f64 v[62:63], v[60:61], v[58:59]
	v_cndmask_b32_e64 v61, v61, v63, s[28:29]
	v_cndmask_b32_e64 v60, v60, v62, s[28:29]
	v_mov_b32_e32 v64, v65
.LBB24_112:
	s_or_b64 exec, exec, s[34:35]
	v_add_u32_e32 v62, -1, v70
	v_and_b32_e32 v63, 64, v70
	v_cmp_lt_i32_e64 s[28:29], v62, v63
	v_cndmask_b32_e64 v62, v62, v70, s[28:29]
	v_lshlrev_b32_e32 v62, 2, v62
	ds_bpermute_b32 v77, v62, v64
	ds_bpermute_b32 v78, v62, v60
	;; [unrolled: 1-line block ×3, first 2 shown]
	v_cmp_eq_u32_e64 s[28:29], 0, v70
	s_and_saveexec_b64 s[34:35], vcc
	s_cbranch_execz .LBB24_159
; %bb.113:
	v_mov_b32_e32 v65, 0
	ds_read_b32 v80, v65 offset:4176
	ds_read_b64 v[60:61], v65 offset:4184
	s_and_saveexec_b64 s[42:43], s[28:29]
	s_cbranch_execz .LBB24_115
; %bb.114:
	s_add_i32 s48, s56, 64
	s_mov_b32 s49, 0
	s_lshl_b64 s[52:53], s[48:49], 4
	s_add_u32 s52, s36, s52
	s_addc_u32 s53, s37, s53
	v_mov_b32_e32 v62, s48
	v_mov_b32_e32 v63, 1
	s_waitcnt lgkmcnt(1)
	global_store_dword v65, v80, s[52:53]
	s_waitcnt lgkmcnt(0)
	global_store_dwordx2 v65, v[60:61], s[52:53] offset:8
	s_waitcnt vmcnt(0)
	buffer_wbinvl1_vol
	global_store_byte v62, v63, s[40:41]
.LBB24_115:
	s_or_b64 exec, exec, s[42:43]
	v_xad_u32 v62, v70, -1, s56
	v_add_u32_e32 v64, 64, v62
	global_load_ubyte v81, v64, s[40:41] glc
	s_waitcnt vmcnt(0)
	v_cmp_eq_u16_e32 vcc, 0, v81
	s_and_saveexec_b64 s[42:43], vcc
	s_cbranch_execz .LBB24_121
; %bb.116:
	v_mov_b32_e32 v63, s41
	v_add_co_u32_e32 v66, vcc, s40, v64
	v_addc_co_u32_e32 v67, vcc, 0, v63, vcc
	s_mov_b32 s52, 1
	s_mov_b64 s[48:49], 0
.LBB24_117:                             ; =>This Loop Header: Depth=1
                                        ;     Child Loop BB24_118 Depth 2
	s_max_u32 s53, s52, 1
.LBB24_118:                             ;   Parent Loop BB24_117 Depth=1
                                        ; =>  This Inner Loop Header: Depth=2
	s_add_i32 s53, s53, -1
	s_cmp_eq_u32 s53, 0
	s_sleep 1
	s_cbranch_scc0 .LBB24_118
; %bb.119:                              ;   in Loop: Header=BB24_117 Depth=1
	global_load_ubyte v81, v[66:67], off glc
	s_cmp_lt_u32 s52, 32
	s_cselect_b64 s[54:55], -1, 0
	s_cmp_lg_u64 s[54:55], 0
	s_addc_u32 s52, s52, 0
	s_waitcnt vmcnt(0)
	v_cmp_ne_u16_e32 vcc, 0, v81
	s_or_b64 s[48:49], vcc, s[48:49]
	s_andn2_b64 exec, exec, s[48:49]
	s_cbranch_execnz .LBB24_117
; %bb.120:
	s_or_b64 exec, exec, s[48:49]
.LBB24_121:
	s_or_b64 exec, exec, s[42:43]
	v_mov_b32_e32 v63, s39
	v_mov_b32_e32 v66, s37
	v_cmp_eq_u16_e32 vcc, 1, v81
	v_cndmask_b32_e32 v63, v63, v66, vcc
	v_mov_b32_e32 v66, s38
	v_mov_b32_e32 v67, s36
	v_cndmask_b32_e32 v66, v66, v67, vcc
	v_lshlrev_b64 v[64:65], 4, v[64:65]
	v_add_co_u32_e32 v64, vcc, v66, v64
	v_addc_co_u32_e32 v65, vcc, v63, v65, vcc
	s_waitcnt lgkmcnt(0)
	buffer_wbinvl1_vol
	global_load_dword v71, v[64:65], off
	global_load_dwordx2 v[68:69], v[64:65], off offset:8
	v_cmp_eq_u16_e32 vcc, 2, v81
	v_lshlrev_b64 v[64:65], v70, -1
	v_and_b32_e32 v82, 63, v70
	v_and_b32_e32 v63, vcc_hi, v65
	v_and_b32_e32 v85, vcc_lo, v64
	v_cmp_ne_u32_e32 vcc, 63, v82
	v_addc_co_u32_e32 v66, vcc, 0, v70, vcc
	v_lshlrev_b32_e32 v83, 2, v66
	v_or_b32_e32 v63, 0x80000000, v63
	v_ffbl_b32_e32 v63, v63
	v_add_u32_e32 v63, 32, v63
	v_ffbl_b32_e32 v85, v85
	v_min_u32_e32 v63, v85, v63
	v_cmp_lt_u32_e32 vcc, v82, v63
	s_waitcnt vmcnt(1)
	ds_bpermute_b32 v84, v83, v71
	s_waitcnt vmcnt(0)
	ds_bpermute_b32 v66, v83, v68
	ds_bpermute_b32 v67, v83, v69
	s_and_saveexec_b64 s[42:43], vcc
	s_cbranch_execz .LBB24_123
; %bb.122:
	s_waitcnt lgkmcnt(2)
	v_add_u32_e32 v84, v84, v71
	s_waitcnt lgkmcnt(0)
	v_add_f64 v[66:67], v[68:69], v[66:67]
	v_cmp_eq_u32_e32 vcc, 0, v71
	v_cndmask_b32_e32 v69, v69, v67, vcc
	v_cndmask_b32_e32 v68, v68, v66, vcc
	v_mov_b32_e32 v71, v84
.LBB24_123:
	s_or_b64 exec, exec, s[42:43]
	v_cmp_gt_u32_e32 vcc, 62, v82
	s_waitcnt lgkmcnt(1)
	v_cndmask_b32_e64 v66, 0, 1, vcc
	v_lshlrev_b32_e32 v66, 1, v66
	v_add_lshl_u32 v84, v66, v70, 2
	ds_bpermute_b32 v86, v84, v71
	ds_bpermute_b32 v66, v84, v68
	s_waitcnt lgkmcnt(2)
	ds_bpermute_b32 v67, v84, v69
	v_add_u32_e32 v85, 2, v82
	v_cmp_le_u32_e32 vcc, v85, v63
	s_and_saveexec_b64 s[42:43], vcc
	s_cbranch_execz .LBB24_125
; %bb.124:
	s_waitcnt lgkmcnt(2)
	v_add_u32_e32 v86, v86, v71
	s_waitcnt lgkmcnt(0)
	v_add_f64 v[66:67], v[68:69], v[66:67]
	v_cmp_eq_u32_e32 vcc, 0, v71
	v_cndmask_b32_e32 v69, v69, v67, vcc
	v_cndmask_b32_e32 v68, v68, v66, vcc
	v_mov_b32_e32 v71, v86
.LBB24_125:
	s_or_b64 exec, exec, s[42:43]
	v_cmp_gt_u32_e32 vcc, 60, v82
	s_waitcnt lgkmcnt(1)
	v_cndmask_b32_e64 v66, 0, 1, vcc
	v_lshlrev_b32_e32 v66, 2, v66
	v_add_lshl_u32 v86, v66, v70, 2
	ds_bpermute_b32 v88, v86, v71
	ds_bpermute_b32 v66, v86, v68
	s_waitcnt lgkmcnt(2)
	ds_bpermute_b32 v67, v86, v69
	v_add_u32_e32 v87, 4, v82
	v_cmp_le_u32_e32 vcc, v87, v63
	;; [unrolled: 24-line block ×5, first 2 shown]
	s_and_saveexec_b64 s[42:43], vcc
	s_cbranch_execz .LBB24_133
; %bb.132:
	s_waitcnt lgkmcnt(2)
	v_add_u32_e32 v63, v70, v71
	s_waitcnt lgkmcnt(0)
	v_add_f64 v[66:67], v[68:69], v[66:67]
	v_cmp_eq_u32_e32 vcc, 0, v71
	v_cndmask_b32_e32 v69, v69, v67, vcc
	v_cndmask_b32_e32 v68, v68, v66, vcc
	v_mov_b32_e32 v71, v63
.LBB24_133:
	s_or_b64 exec, exec, s[42:43]
	v_mov_b32_e32 v63, 0
	v_mov_b32_e32 v95, 2
	s_branch .LBB24_135
.LBB24_134:                             ;   in Loop: Header=BB24_135 Depth=1
	s_or_b64 exec, exec, s[42:43]
	v_add_f64 v[68:69], v[66:67], v[68:69]
	v_cmp_eq_u32_e32 vcc, 0, v94
	v_subrev_u32_e32 v62, 64, v62
	s_waitcnt lgkmcnt(0)
	v_add_u32_e32 v71, v96, v94
	v_cndmask_b32_e32 v69, v67, v69, vcc
	v_cndmask_b32_e32 v68, v66, v68, vcc
.LBB24_135:                             ; =>This Loop Header: Depth=1
                                        ;     Child Loop BB24_138 Depth 2
                                        ;       Child Loop BB24_139 Depth 3
	v_cmp_ne_u16_sdwa s[42:43], v81, v95 src0_sel:BYTE_0 src1_sel:DWORD
	s_waitcnt lgkmcnt(0)
	v_pk_mov_b32 v[66:67], v[68:69], v[68:69] op_sel:[0,1]
	v_cndmask_b32_e64 v68, 0, 1, s[42:43]
	;;#ASMSTART
	;;#ASMEND
	v_cmp_ne_u32_e32 vcc, 0, v68
	s_cmp_lg_u64 vcc, exec
	v_mov_b32_e32 v94, v71
	s_cbranch_scc1 .LBB24_154
; %bb.136:                              ;   in Loop: Header=BB24_135 Depth=1
	global_load_ubyte v81, v62, s[40:41] glc
	s_waitcnt vmcnt(0)
	v_cmp_eq_u16_e32 vcc, 0, v81
	s_and_saveexec_b64 s[42:43], vcc
	s_cbranch_execz .LBB24_142
; %bb.137:                              ;   in Loop: Header=BB24_135 Depth=1
	v_mov_b32_e32 v69, s41
	v_add_co_u32_e32 v68, vcc, s40, v62
	v_addc_co_u32_e32 v69, vcc, 0, v69, vcc
	s_mov_b32 s52, 1
	s_mov_b64 s[48:49], 0
.LBB24_138:                             ;   Parent Loop BB24_135 Depth=1
                                        ; =>  This Loop Header: Depth=2
                                        ;       Child Loop BB24_139 Depth 3
	s_max_u32 s53, s52, 1
.LBB24_139:                             ;   Parent Loop BB24_135 Depth=1
                                        ;     Parent Loop BB24_138 Depth=2
                                        ; =>    This Inner Loop Header: Depth=3
	s_add_i32 s53, s53, -1
	s_cmp_eq_u32 s53, 0
	s_sleep 1
	s_cbranch_scc0 .LBB24_139
; %bb.140:                              ;   in Loop: Header=BB24_138 Depth=2
	global_load_ubyte v81, v[68:69], off glc
	s_cmp_lt_u32 s52, 32
	s_cselect_b64 s[54:55], -1, 0
	s_cmp_lg_u64 s[54:55], 0
	s_addc_u32 s52, s52, 0
	s_waitcnt vmcnt(0)
	v_cmp_ne_u16_e32 vcc, 0, v81
	s_or_b64 s[48:49], vcc, s[48:49]
	s_andn2_b64 exec, exec, s[48:49]
	s_cbranch_execnz .LBB24_138
; %bb.141:                              ;   in Loop: Header=BB24_135 Depth=1
	s_or_b64 exec, exec, s[48:49]
.LBB24_142:                             ;   in Loop: Header=BB24_135 Depth=1
	s_or_b64 exec, exec, s[42:43]
	v_mov_b32_e32 v68, s39
	v_mov_b32_e32 v69, s37
	v_cmp_eq_u16_e32 vcc, 1, v81
	v_cndmask_b32_e32 v70, v68, v69, vcc
	v_mov_b32_e32 v68, s38
	v_mov_b32_e32 v69, s36
	v_cndmask_b32_e32 v71, v68, v69, vcc
	v_lshlrev_b64 v[68:69], 4, v[62:63]
	v_add_co_u32_e32 v68, vcc, v71, v68
	v_addc_co_u32_e32 v69, vcc, v70, v69, vcc
	buffer_wbinvl1_vol
	global_load_dword v96, v[68:69], off
	s_nop 0
	global_load_dwordx2 v[68:69], v[68:69], off offset:8
	v_cmp_eq_u16_e32 vcc, 2, v81
	v_and_b32_e32 v70, vcc_hi, v65
	v_or_b32_e32 v70, 0x80000000, v70
	v_ffbl_b32_e32 v117, v70
	v_and_b32_e32 v97, vcc_lo, v64
	v_add_u32_e32 v117, 32, v117
	v_ffbl_b32_e32 v97, v97
	v_min_u32_e32 v97, v97, v117
	v_cmp_lt_u32_e32 vcc, v82, v97
	s_waitcnt vmcnt(1)
	ds_bpermute_b32 v116, v83, v96
	s_waitcnt vmcnt(0)
	ds_bpermute_b32 v70, v83, v68
	ds_bpermute_b32 v71, v83, v69
	s_and_saveexec_b64 s[42:43], vcc
	s_cbranch_execz .LBB24_144
; %bb.143:                              ;   in Loop: Header=BB24_135 Depth=1
	s_waitcnt lgkmcnt(2)
	v_add_u32_e32 v116, v116, v96
	s_waitcnt lgkmcnt(0)
	v_add_f64 v[70:71], v[68:69], v[70:71]
	v_cmp_eq_u32_e32 vcc, 0, v96
	v_cndmask_b32_e32 v69, v69, v71, vcc
	v_cndmask_b32_e32 v68, v68, v70, vcc
	v_mov_b32_e32 v96, v116
.LBB24_144:                             ;   in Loop: Header=BB24_135 Depth=1
	s_or_b64 exec, exec, s[42:43]
	s_waitcnt lgkmcnt(2)
	ds_bpermute_b32 v116, v84, v96
	s_waitcnt lgkmcnt(2)
	ds_bpermute_b32 v70, v84, v68
	s_waitcnt lgkmcnt(2)
	ds_bpermute_b32 v71, v84, v69
	v_cmp_le_u32_e32 vcc, v85, v97
	s_and_saveexec_b64 s[42:43], vcc
	s_cbranch_execz .LBB24_146
; %bb.145:                              ;   in Loop: Header=BB24_135 Depth=1
	s_waitcnt lgkmcnt(2)
	v_add_u32_e32 v116, v116, v96
	s_waitcnt lgkmcnt(0)
	v_add_f64 v[70:71], v[68:69], v[70:71]
	v_cmp_eq_u32_e32 vcc, 0, v96
	v_cndmask_b32_e32 v69, v69, v71, vcc
	v_cndmask_b32_e32 v68, v68, v70, vcc
	v_mov_b32_e32 v96, v116
.LBB24_146:                             ;   in Loop: Header=BB24_135 Depth=1
	s_or_b64 exec, exec, s[42:43]
	s_waitcnt lgkmcnt(2)
	ds_bpermute_b32 v116, v86, v96
	s_waitcnt lgkmcnt(2)
	ds_bpermute_b32 v70, v86, v68
	s_waitcnt lgkmcnt(2)
	ds_bpermute_b32 v71, v86, v69
	v_cmp_le_u32_e32 vcc, v87, v97
	;; [unrolled: 20-line block ×5, first 2 shown]
	s_and_saveexec_b64 s[42:43], vcc
	s_cbranch_execz .LBB24_134
; %bb.153:                              ;   in Loop: Header=BB24_135 Depth=1
	s_waitcnt lgkmcnt(2)
	v_add_u32_e32 v97, v116, v96
	s_waitcnt lgkmcnt(0)
	v_add_f64 v[70:71], v[68:69], v[70:71]
	v_cmp_eq_u32_e32 vcc, 0, v96
	v_cndmask_b32_e32 v69, v69, v71, vcc
	v_cndmask_b32_e32 v68, v68, v70, vcc
	v_mov_b32_e32 v96, v97
	s_branch .LBB24_134
.LBB24_154:                             ;   in Loop: Header=BB24_135 Depth=1
                                        ; implicit-def: $vgpr68_vgpr69
                                        ; implicit-def: $vgpr71
                                        ; implicit-def: $vgpr81
	s_cbranch_execz .LBB24_135
; %bb.155:
	s_and_saveexec_b64 s[36:37], s[28:29]
	s_cbranch_execz .LBB24_157
; %bb.156:
	s_mov_b32 s43, 0
	s_add_i32 s42, s56, 64
	s_lshl_b64 s[48:49], s[42:43], 4
	v_add_f64 v[62:63], v[60:61], v[66:67]
	v_cmp_eq_u32_e32 vcc, 0, v80
	s_add_u32 s48, s38, s48
	v_add_u32_e32 v64, v94, v80
	v_cndmask_b32_e32 v63, v61, v63, vcc
	v_cndmask_b32_e32 v62, v60, v62, vcc
	s_addc_u32 s49, s39, s49
	v_mov_b32_e32 v65, 0
	global_store_dword v65, v64, s[48:49]
	global_store_dwordx2 v65, v[62:63], s[48:49] offset:8
	v_mov_b32_e32 v62, s42
	v_mov_b32_e32 v63, 2
	s_waitcnt vmcnt(0)
	buffer_wbinvl1_vol
	global_store_byte v62, v63, s[40:41]
	ds_write_b32 v65, v80 offset:4096
	ds_write_b64 v65, v[60:61] offset:4104
	ds_write_b32 v65, v94 offset:4112
	ds_write_b64 v65, v[66:67] offset:4120
.LBB24_157:
	s_or_b64 exec, exec, s[36:37]
	s_and_b64 exec, exec, s[0:1]
	s_cbranch_execz .LBB24_159
; %bb.158:
	v_mov_b32_e32 v60, 0
	ds_write_b32 v60, v94 offset:4176
	ds_write_b64 v60, v[66:67] offset:4184
.LBB24_159:
	s_or_b64 exec, exec, s[34:35]
	v_mov_b32_e32 v64, 0
	s_waitcnt lgkmcnt(0)
	s_barrier
	ds_read_b64 v[60:61], v64 offset:4184
	ds_read_b32 v65, v64 offset:4176
	v_cndmask_b32_e64 v59, v79, v59, s[28:29]
	v_cndmask_b32_e64 v58, v78, v58, s[28:29]
	v_cndmask_b32_e64 v66, v77, v76, s[28:29]
	s_waitcnt lgkmcnt(1)
	v_add_f64 v[62:63], v[58:59], v[60:61]
	v_cmp_eq_u32_e32 vcc, 0, v66
	v_cndmask_b32_e32 v58, v58, v62, vcc
	v_cndmask_b32_e32 v62, v59, v63, vcc
	v_cndmask_b32_e64 v97, v62, v61, s[0:1]
	v_cndmask_b32_e64 v96, v58, v60, s[0:1]
	v_add_f64 v[60:61], v[54:55], v[96:97]
	v_cmp_eq_u32_e32 vcc, 0, v113
	v_cndmask_b32_e32 v95, v55, v61, vcc
	v_cndmask_b32_e32 v94, v54, v60, vcc
	v_add_f64 v[60:61], v[56:57], v[94:95]
	v_cndmask_b32_e64 v93, v57, v61, s[26:27]
	v_cndmask_b32_e64 v92, v56, v60, s[26:27]
	v_add_f64 v[60:61], v[50:51], v[92:93]
	v_cndmask_b32_e64 v91, v51, v61, s[24:25]
	v_cndmask_b32_e64 v90, v50, v60, s[24:25]
	;; [unrolled: 3-line block ×10, first 2 shown]
	v_add_f64 v[60:61], v[36:37], v[70:71]
	s_waitcnt lgkmcnt(0)
	s_barrier
	ds_read_b32 v58, v64 offset:4096
	ds_read_b64 v[116:117], v64 offset:4104
	ds_read_b32 v62, v64 offset:4112
	ds_read_b64 v[118:119], v64 offset:4120
	v_cndmask_b32_e64 v69, v37, v61, s[6:7]
	v_cndmask_b32_e64 v68, v36, v60, s[6:7]
	v_add_f64 v[60:61], v[30:31], v[68:69]
	v_cndmask_b32_e64 v59, v66, 0, s[0:1]
	v_cndmask_b32_e64 v67, v31, v61, s[4:5]
	v_cndmask_b32_e64 v66, v30, v60, s[4:5]
	v_add_f64 v[60:61], v[32:33], v[66:67]
	v_add_u32_e32 v59, v65, v59
	v_cndmask_b32_e64 v65, v33, v61, s[2:3]
	v_cndmask_b32_e64 v64, v32, v60, s[2:3]
	s_waitcnt lgkmcnt(0)
	v_add_f64 v[60:61], v[118:119], v[116:117]
	v_cmp_eq_u32_e32 vcc, 0, v58
	v_cndmask_b32_e32 v61, v117, v61, vcc
	v_cndmask_b32_e32 v60, v116, v60, vcc
	s_branch .LBB24_188
.LBB24_160:
                                        ; implicit-def: $vgpr58
                                        ; implicit-def: $vgpr60_vgpr61
                                        ; implicit-def: $vgpr62
                                        ; implicit-def: $vgpr96_vgpr97
                                        ; implicit-def: $vgpr94_vgpr95
                                        ; implicit-def: $vgpr92_vgpr93
                                        ; implicit-def: $vgpr90_vgpr91
                                        ; implicit-def: $vgpr88_vgpr89
                                        ; implicit-def: $vgpr86_vgpr87
                                        ; implicit-def: $vgpr84_vgpr85
                                        ; implicit-def: $vgpr82_vgpr83
                                        ; implicit-def: $vgpr80_vgpr81
                                        ; implicit-def: $vgpr78_vgpr79
                                        ; implicit-def: $vgpr76_vgpr77
                                        ; implicit-def: $vgpr70_vgpr71
                                        ; implicit-def: $vgpr68_vgpr69
                                        ; implicit-def: $vgpr66_vgpr67
                                        ; implicit-def: $vgpr64_vgpr65
                                        ; implicit-def: $vgpr59
	s_cbranch_execz .LBB24_188
; %bb.161:
	s_and_b64 s[2:3], s[30:31], exec
	s_cselect_b32 s3, 0, s65
	s_cselect_b32 s2, 0, s64
	s_cmp_eq_u64 s[2:3], 0
	v_pk_mov_b32 v[62:63], v[54:55], v[54:55] op_sel:[0,1]
	s_cbranch_scc1 .LBB24_163
; %bb.162:
	v_mov_b32_e32 v58, 0
	global_load_dwordx2 v[62:63], v58, s[2:3]
.LBB24_163:
	v_cmp_eq_u32_e32 vcc, 0, v112
	v_cndmask_b32_e32 v59, v57, v99, vcc
	v_cndmask_b32_e32 v58, v56, v98, vcc
	v_add_f64 v[58:59], v[50:51], v[58:59]
	v_cmp_eq_u32_e64 s[2:3], 0, v111
	v_cndmask_b32_e64 v59, v51, v59, s[2:3]
	v_cndmask_b32_e64 v58, v50, v58, s[2:3]
	v_add_f64 v[58:59], v[52:53], v[58:59]
	v_cmp_eq_u32_e64 s[4:5], 0, v110
	v_cndmask_b32_e64 v59, v53, v59, s[4:5]
	v_cndmask_b32_e64 v58, v52, v58, s[4:5]
	;; [unrolled: 4-line block ×10, first 2 shown]
	v_add_f64 v[58:59], v[30:31], v[58:59]
	v_cmp_eq_u32_e64 s[18:19], 0, v101
	v_add3_u32 v60, v115, v108, v107
	v_cndmask_b32_e64 v59, v31, v59, s[18:19]
	v_cndmask_b32_e64 v58, v30, v58, s[18:19]
	v_add3_u32 v60, v60, v106, v105
	v_add_f64 v[58:59], v[32:33], v[58:59]
	v_cmp_eq_u32_e64 s[22:23], 0, v100
	v_add3_u32 v60, v60, v104, v103
	v_cndmask_b32_e64 v59, v33, v59, s[22:23]
	v_cndmask_b32_e64 v58, v32, v58, s[22:23]
	v_add3_u32 v60, v60, v102, v101
	v_add_f64 v[58:59], v[72:73], v[58:59]
	v_cmp_eq_u32_e64 s[26:27], 0, v1
	v_mbcnt_hi_u32_b32 v66, -1, v114
	v_add3_u32 v67, v60, v100, v1
	v_cndmask_b32_e64 v59, v73, v59, s[26:27]
	v_cndmask_b32_e64 v58, v72, v58, s[26:27]
	v_and_b32_e32 v64, 15, v66
	v_mov_b32_dpp v65, v67 row_shr:1 row_mask:0xf bank_mask:0xf
	v_mov_b32_dpp v60, v58 row_shr:1 row_mask:0xf bank_mask:0xf
	;; [unrolled: 1-line block ×3, first 2 shown]
	v_cmp_ne_u32_e64 s[26:27], 0, v64
	s_and_saveexec_b64 s[28:29], s[26:27]
; %bb.164:
	v_add_u32_e32 v65, v65, v67
	v_add_f64 v[60:61], v[58:59], v[60:61]
	v_cmp_eq_u32_e64 s[26:27], 0, v67
	v_cndmask_b32_e64 v59, v59, v61, s[26:27]
	v_cndmask_b32_e64 v58, v58, v60, s[26:27]
	v_mov_b32_e32 v67, v65
; %bb.165:
	s_or_b64 exec, exec, s[28:29]
	s_nop 0
	v_mov_b32_dpp v65, v67 row_shr:2 row_mask:0xf bank_mask:0xf
	v_mov_b32_dpp v60, v58 row_shr:2 row_mask:0xf bank_mask:0xf
	v_mov_b32_dpp v61, v59 row_shr:2 row_mask:0xf bank_mask:0xf
	v_cmp_lt_u32_e64 s[26:27], 1, v64
	s_and_saveexec_b64 s[28:29], s[26:27]
; %bb.166:
	v_add_u32_e32 v65, v65, v67
	v_add_f64 v[60:61], v[58:59], v[60:61]
	v_cmp_eq_u32_e64 s[26:27], 0, v67
	v_cndmask_b32_e64 v59, v59, v61, s[26:27]
	v_cndmask_b32_e64 v58, v58, v60, s[26:27]
	v_mov_b32_e32 v67, v65
; %bb.167:
	s_or_b64 exec, exec, s[28:29]
	s_nop 0
	v_mov_b32_dpp v65, v67 row_shr:4 row_mask:0xf bank_mask:0xf
	v_mov_b32_dpp v60, v58 row_shr:4 row_mask:0xf bank_mask:0xf
	v_mov_b32_dpp v61, v59 row_shr:4 row_mask:0xf bank_mask:0xf
	v_cmp_lt_u32_e64 s[26:27], 3, v64
	;; [unrolled: 15-line block ×3, first 2 shown]
	s_and_saveexec_b64 s[28:29], s[26:27]
; %bb.170:
	v_add_u32_e32 v64, v65, v67
	v_add_f64 v[60:61], v[58:59], v[60:61]
	v_cmp_eq_u32_e64 s[26:27], 0, v67
	v_cndmask_b32_e64 v59, v59, v61, s[26:27]
	v_cndmask_b32_e64 v58, v58, v60, s[26:27]
	v_mov_b32_e32 v67, v64
; %bb.171:
	s_or_b64 exec, exec, s[28:29]
	v_and_b32_e32 v65, 16, v66
	v_mov_b32_dpp v64, v67 row_bcast:15 row_mask:0xf bank_mask:0xf
	v_mov_b32_dpp v60, v58 row_bcast:15 row_mask:0xf bank_mask:0xf
	;; [unrolled: 1-line block ×3, first 2 shown]
	v_cmp_ne_u32_e64 s[26:27], 0, v65
	s_and_saveexec_b64 s[28:29], s[26:27]
; %bb.172:
	v_add_u32_e32 v64, v64, v67
	v_add_f64 v[60:61], v[58:59], v[60:61]
	v_cmp_eq_u32_e64 s[26:27], 0, v67
	v_cndmask_b32_e64 v59, v59, v61, s[26:27]
	v_cndmask_b32_e64 v58, v58, v60, s[26:27]
	v_mov_b32_e32 v67, v64
; %bb.173:
	s_or_b64 exec, exec, s[28:29]
	s_nop 0
	v_mov_b32_dpp v64, v67 row_bcast:31 row_mask:0xf bank_mask:0xf
	v_mov_b32_dpp v60, v58 row_bcast:31 row_mask:0xf bank_mask:0xf
	;; [unrolled: 1-line block ×3, first 2 shown]
	v_cmp_lt_u32_e64 s[26:27], 31, v66
	s_and_saveexec_b64 s[28:29], s[26:27]
; %bb.174:
	v_add_u32_e32 v64, v64, v67
	v_add_f64 v[60:61], v[58:59], v[60:61]
	v_cmp_eq_u32_e64 s[26:27], 0, v67
	v_cndmask_b32_e64 v59, v59, v61, s[26:27]
	v_cndmask_b32_e64 v58, v58, v60, s[26:27]
	v_mov_b32_e32 v67, v64
; %bb.175:
	s_or_b64 exec, exec, s[28:29]
	v_or_b32_e32 v60, 63, v0
	v_lshrrev_b32_e32 v68, 6, v0
	v_cmp_eq_u32_e64 s[26:27], v60, v0
	s_and_saveexec_b64 s[28:29], s[26:27]
	s_cbranch_execz .LBB24_177
; %bb.176:
	v_lshlrev_b32_e32 v60, 4, v68
	ds_write_b32 v60, v67 offset:4128
	ds_write_b64 v60, v[58:59] offset:4136
.LBB24_177:
	s_or_b64 exec, exec, s[28:29]
	v_cmp_gt_u32_e64 s[26:27], 4, v0
	s_waitcnt lgkmcnt(0)
	s_barrier
	s_and_saveexec_b64 s[28:29], s[26:27]
	s_cbranch_execz .LBB24_183
; %bb.178:
	v_lshlrev_b32_e32 v69, 4, v0
	ds_read_b32 v70, v69 offset:4128
	ds_read_b64 v[60:61], v69 offset:4136
	v_and_b32_e32 v71, 3, v66
	v_cmp_ne_u32_e64 s[26:27], 0, v71
	s_waitcnt lgkmcnt(1)
	v_mov_b32_dpp v72, v70 row_shr:1 row_mask:0xf bank_mask:0xf
	s_waitcnt lgkmcnt(0)
	v_mov_b32_dpp v64, v60 row_shr:1 row_mask:0xf bank_mask:0xf
	v_mov_b32_dpp v65, v61 row_shr:1 row_mask:0xf bank_mask:0xf
	s_and_saveexec_b64 s[34:35], s[26:27]
; %bb.179:
	v_add_u32_e32 v72, v72, v70
	v_add_f64 v[64:65], v[60:61], v[64:65]
	v_cmp_eq_u32_e64 s[26:27], 0, v70
	v_cndmask_b32_e64 v61, v61, v65, s[26:27]
	v_cndmask_b32_e64 v60, v60, v64, s[26:27]
	v_mov_b32_e32 v70, v72
; %bb.180:
	s_or_b64 exec, exec, s[34:35]
	s_nop 0
	v_mov_b32_dpp v72, v70 row_shr:2 row_mask:0xf bank_mask:0xf
	v_mov_b32_dpp v64, v60 row_shr:2 row_mask:0xf bank_mask:0xf
	;; [unrolled: 1-line block ×3, first 2 shown]
	v_cmp_lt_u32_e64 s[26:27], 1, v71
	s_and_saveexec_b64 s[34:35], s[26:27]
; %bb.181:
	v_add_u32_e32 v71, v72, v70
	v_add_f64 v[64:65], v[60:61], v[64:65]
	v_cmp_eq_u32_e64 s[26:27], 0, v70
	v_cndmask_b32_e64 v61, v61, v65, s[26:27]
	v_cndmask_b32_e64 v60, v60, v64, s[26:27]
	v_mov_b32_e32 v70, v71
; %bb.182:
	s_or_b64 exec, exec, s[34:35]
	ds_write_b32 v69, v70 offset:4128
	ds_write_b64 v69, v[60:61] offset:4136
.LBB24_183:
	s_or_b64 exec, exec, s[28:29]
	v_cmp_lt_u32_e64 s[26:27], 63, v0
	v_mov_b32_e32 v64, 0
	v_mov_b32_e32 v65, 0
	s_waitcnt vmcnt(0)
	v_pk_mov_b32 v[60:61], v[62:63], v[62:63] op_sel:[0,1]
	s_waitcnt lgkmcnt(0)
	s_barrier
	s_and_saveexec_b64 s[28:29], s[26:27]
	s_cbranch_execz .LBB24_185
; %bb.184:
	v_lshlrev_b32_e32 v65, 4, v68
	ds_read_b64 v[60:61], v65 offset:4120
	ds_read_b32 v65, v65 offset:4112
	s_waitcnt lgkmcnt(1)
	v_add_f64 v[68:69], v[62:63], v[60:61]
	s_waitcnt lgkmcnt(0)
	v_cmp_eq_u32_e64 s[26:27], 0, v65
	v_cndmask_b32_e64 v61, v61, v69, s[26:27]
	v_cndmask_b32_e64 v60, v60, v68, s[26:27]
.LBB24_185:
	s_or_b64 exec, exec, s[28:29]
	v_add_f64 v[68:69], v[58:59], v[60:61]
	v_cmp_eq_u32_e64 s[26:27], 0, v67
	v_add_u32_e32 v70, v65, v67
	v_cndmask_b32_e64 v58, v58, v68, s[26:27]
	v_add_u32_e32 v67, -1, v66
	v_and_b32_e32 v68, 64, v66
	v_cndmask_b32_e64 v59, v59, v69, s[26:27]
	v_cmp_lt_i32_e64 s[26:27], v67, v68
	v_cndmask_b32_e64 v67, v67, v66, s[26:27]
	v_lshlrev_b32_e32 v67, 2, v67
	ds_bpermute_b32 v69, v67, v59
	ds_bpermute_b32 v58, v67, v58
	;; [unrolled: 1-line block ×3, first 2 shown]
	v_cmp_eq_u32_e64 s[26:27], 0, v66
	s_waitcnt lgkmcnt(2)
	v_cndmask_b32_e64 v97, v69, v61, s[26:27]
	s_waitcnt lgkmcnt(1)
	v_cndmask_b32_e64 v96, v58, v60, s[26:27]
	v_cndmask_b32_e64 v61, v97, v63, s[0:1]
	;; [unrolled: 1-line block ×3, first 2 shown]
	s_waitcnt lgkmcnt(0)
	v_cndmask_b32_e64 v59, v68, v65, s[26:27]
	v_add_f64 v[60:61], v[54:55], v[60:61]
	v_cmp_eq_u32_e64 s[26:27], 0, v113
	v_cndmask_b32_e64 v95, v55, v61, s[26:27]
	v_cndmask_b32_e64 v94, v54, v60, s[26:27]
	v_add_f64 v[54:55], v[56:57], v[94:95]
	v_cndmask_b32_e32 v93, v57, v55, vcc
	v_cndmask_b32_e32 v92, v56, v54, vcc
	v_add_f64 v[54:55], v[50:51], v[92:93]
	v_cndmask_b32_e64 v91, v51, v55, s[2:3]
	v_cndmask_b32_e64 v90, v50, v54, s[2:3]
	v_add_f64 v[50:51], v[52:53], v[90:91]
	v_cndmask_b32_e64 v89, v53, v51, s[4:5]
	v_cndmask_b32_e64 v88, v52, v50, s[4:5]
	;; [unrolled: 3-line block ×10, first 2 shown]
	ds_read_b32 v58, v64 offset:4176
	ds_read_b64 v[36:37], v64 offset:4184
	v_add_f64 v[34:35], v[30:31], v[68:69]
	v_cndmask_b32_e64 v67, v31, v35, s[18:19]
	v_cndmask_b32_e64 v66, v30, v34, s[18:19]
	v_add_f64 v[30:31], v[32:33], v[66:67]
	v_cndmask_b32_e64 v65, v33, v31, s[22:23]
	v_cndmask_b32_e64 v64, v32, v30, s[22:23]
	s_waitcnt lgkmcnt(0)
	v_add_f64 v[30:31], v[62:63], v[36:37]
	v_cmp_eq_u32_e32 vcc, 0, v58
	v_cndmask_b32_e32 v61, v37, v31, vcc
	v_cndmask_b32_e32 v60, v36, v30, vcc
	s_and_saveexec_b64 s[2:3], s[0:1]
	s_cbranch_execz .LBB24_187
; %bb.186:
	v_mov_b32_e32 v59, 0
	v_mov_b32_e32 v30, 2
	v_pk_mov_b32 v[96:97], v[62:63], v[62:63] op_sel:[0,1]
	global_store_dword v59, v58, s[38:39] offset:1024
	global_store_dwordx2 v59, v[60:61], s[38:39] offset:1032
	s_waitcnt vmcnt(0)
	buffer_wbinvl1_vol
	global_store_byte v59, v30, s[40:41] offset:64
.LBB24_187:
	s_or_b64 exec, exec, s[2:3]
	v_mov_b32_e32 v62, 0
.LBB24_188:
	s_and_b64 s[2:3], s[30:31], exec
	s_cselect_b32 s3, 0, s51
	s_cselect_b32 s2, 0, s50
	s_cmp_eq_u64 s[2:3], 0
	v_pk_mov_b32 v[30:31], 0, 0
	s_barrier
	s_cbranch_scc1 .LBB24_190
; %bb.189:
	v_mov_b32_e32 v30, 0
	global_load_dwordx2 v[30:31], v30, s[2:3]
.LBB24_190:
	s_waitcnt vmcnt(0)
	v_lshlrev_b64 v[32:33], 3, v[30:31]
	v_mov_b32_e32 v34, s59
	v_add_co_u32_e32 v50, vcc, s58, v32
	v_mov_b32_e32 v63, 0
	v_addc_co_u32_e32 v51, vcc, v34, v33, vcc
	v_lshlrev_b64 v[34:35], 3, v[62:63]
	v_add_co_u32_e32 v50, vcc, v50, v34
	v_addc_co_u32_e32 v51, vcc, v51, v35, vcc
	v_cmp_eq_u32_e32 vcc, 0, v113
	v_cndmask_b32_e64 v52, 1, 2, vcc
	v_cmp_eq_u32_e32 vcc, 0, v112
	v_cndmask_b32_e64 v53, 1, 2, vcc
	v_cmp_eq_u32_e32 vcc, 0, v111
	v_and_b32_e32 v52, v53, v52
	v_cndmask_b32_e64 v53, 1, 2, vcc
	v_cmp_eq_u32_e32 vcc, 0, v110
	v_add_u32_e32 v49, v59, v113
	v_and_b32_e32 v52, v52, v53
	v_cndmask_b32_e64 v53, 1, 2, vcc
	v_cmp_eq_u32_e32 vcc, 0, v109
	v_add_u32_e32 v48, v49, v112
	;; [unrolled: 4-line block ×12, first 2 shown]
	v_and_b32_e32 v52, v52, v53
	v_cndmask_b32_e64 v53, 1, 2, vcc
	s_movk_i32 s34, 0x100
	v_add_u32_e32 v37, v38, v101
	v_and_b32_e32 v52, v52, v53
	v_cmp_gt_u32_e32 vcc, s34, v58
	v_add_u32_e32 v36, v37, v100
	v_cmp_ne_u32_e64 s[30:31], 0, v113
	v_cmp_ne_u32_e64 s[28:29], 0, v112
	v_cmp_ne_u32_e64 s[26:27], 0, v111
	v_cmp_ne_u32_e64 s[24:25], 0, v110
	v_cmp_ne_u32_e64 s[22:23], 0, v109
	v_cmp_ne_u32_e64 s[20:21], 0, v108
	v_cmp_ne_u32_e64 s[18:19], 0, v107
	v_cmp_ne_u32_e64 s[16:17], 0, v106
	v_cmp_ne_u32_e64 s[14:15], 0, v105
	v_cmp_ne_u32_e64 s[12:13], 0, v104
	v_cmp_ne_u32_e64 s[10:11], 0, v103
	v_cmp_ne_u32_e64 s[8:9], 0, v102
	v_cmp_ne_u32_e64 s[6:7], 0, v101
	v_cmp_ne_u32_e64 s[4:5], 0, v100
	v_cmp_ne_u32_e64 s[2:3], 0, v1
	s_mov_b64 s[36:37], -1
	v_cmp_gt_i16_e64 s[34:35], 2, v52
	s_cbranch_vccz .LBB24_197
; %bb.191:
	s_and_saveexec_b64 s[36:37], s[34:35]
	s_cbranch_execz .LBB24_196
; %bb.192:
	v_cmp_ne_u16_e32 vcc, 1, v52
	s_mov_b64 s[38:39], 0
	s_and_saveexec_b64 s[34:35], vcc
	s_xor_b64 s[34:35], exec, s[34:35]
	s_cbranch_execnz .LBB24_229
; %bb.193:
	s_andn2_saveexec_b64 s[34:35], s[34:35]
	s_cbranch_execnz .LBB24_245
.LBB24_194:
	s_or_b64 exec, exec, s[34:35]
	s_and_b64 exec, exec, s[38:39]
	s_cbranch_execz .LBB24_196
.LBB24_195:
	v_sub_u32_e32 v54, v36, v62
	v_mov_b32_e32 v55, 0
	v_lshlrev_b64 v[54:55], 3, v[54:55]
	v_add_co_u32_e32 v54, vcc, v50, v54
	v_addc_co_u32_e32 v55, vcc, v51, v55, vcc
	global_store_dwordx2 v[54:55], v[74:75], off
.LBB24_196:
	s_or_b64 exec, exec, s[36:37]
	s_mov_b64 s[36:37], 0
.LBB24_197:
	s_and_b64 vcc, exec, s[36:37]
	s_cbranch_vccz .LBB24_207
; %bb.198:
	v_cmp_gt_i16_e32 vcc, 2, v52
	s_and_saveexec_b64 s[34:35], vcc
	s_cbranch_execz .LBB24_203
; %bb.199:
	v_cmp_ne_u16_e32 vcc, 1, v52
	s_mov_b64 s[38:39], 0
	s_and_saveexec_b64 s[36:37], vcc
	s_xor_b64 s[36:37], exec, s[36:37]
	s_cbranch_execnz .LBB24_246
; %bb.200:
	s_andn2_saveexec_b64 s[2:3], s[36:37]
	s_cbranch_execnz .LBB24_262
.LBB24_201:
	s_or_b64 exec, exec, s[2:3]
	s_and_b64 exec, exec, s[38:39]
	s_cbranch_execz .LBB24_203
.LBB24_202:
	v_sub_u32_e32 v2, v36, v62
	v_lshlrev_b32_e32 v2, 3, v2
	ds_write_b64 v2, v[74:75]
.LBB24_203:
	s_or_b64 exec, exec, s[34:35]
	v_cmp_lt_u32_e32 vcc, v0, v58
	s_waitcnt lgkmcnt(0)
	s_barrier
	s_and_saveexec_b64 s[2:3], vcc
	s_cbranch_execz .LBB24_206
; %bb.204:
	v_lshlrev_b32_e32 v4, 3, v0
	s_mov_b64 s[4:5], 0
	v_mov_b32_e32 v3, 0
	v_mov_b32_e32 v2, v0
.LBB24_205:                             ; =>This Inner Loop Header: Depth=1
	v_lshlrev_b64 v[6:7], 3, v[2:3]
	ds_read_b64 v[8:9], v4
	v_add_co_u32_e32 v6, vcc, v50, v6
	v_add_u32_e32 v2, 0x100, v2
	v_addc_co_u32_e32 v7, vcc, v51, v7, vcc
	v_cmp_ge_u32_e32 vcc, v2, v58
	v_add_u32_e32 v4, 0x800, v4
	s_or_b64 s[4:5], vcc, s[4:5]
	s_waitcnt lgkmcnt(0)
	global_store_dwordx2 v[6:7], v[8:9], off
	s_andn2_b64 exec, exec, s[4:5]
	s_cbranch_execnz .LBB24_205
.LBB24_206:
	s_or_b64 exec, exec, s[2:3]
.LBB24_207:
	s_cmpk_lg_i32 s33, 0xf00
	s_cselect_b64 s[2:3], -1, 0
	v_cndmask_b32_e64 v2, 0, 1, s[46:47]
	s_and_b64 s[2:3], s[2:3], s[44:45]
	v_sub_u32_e32 v3, v58, v2
	v_cndmask_b32_e64 v4, 0, 1, s[2:3]
	s_and_b64 s[0:1], s[0:1], s[46:47]
	v_add_u32_e32 v4, v3, v4
	v_cndmask_b32_e64 v3, v113, 0, s[0:1]
	s_mul_hi_u32 s0, s33, 0x88888889
	s_lshr_b32 s0, s0, 3
	v_mad_i32_i24 v5, v0, -15, s33
	v_cmp_eq_u32_e32 vcc, s0, v0
	v_cmp_ne_u32_e64 s[0:1], 0, v5
	v_cndmask_b32_e64 v6, 1, v3, s[0:1]
	v_cmp_ne_u32_e64 s[0:1], 1, v5
	v_cndmask_b32_e64 v7, 1, v112, s[0:1]
	v_cmp_ne_u32_e64 s[0:1], 2, v5
	v_cndmask_b32_e64 v8, 1, v111, s[0:1]
	v_cmp_ne_u32_e64 s[0:1], 3, v5
	v_cndmask_b32_e64 v9, 1, v110, s[0:1]
	v_cmp_ne_u32_e64 s[0:1], 4, v5
	v_cndmask_b32_e64 v10, 1, v109, s[0:1]
	v_cmp_ne_u32_e64 s[0:1], 5, v5
	v_cndmask_b32_e64 v11, 1, v108, s[0:1]
	v_cmp_ne_u32_e64 s[0:1], 6, v5
	v_cndmask_b32_e64 v12, 1, v107, s[0:1]
	v_cmp_ne_u32_e64 s[0:1], 7, v5
	v_cndmask_b32_e64 v13, 1, v106, s[0:1]
	v_cmp_ne_u32_e64 s[0:1], 8, v5
	v_cndmask_b32_e64 v14, 1, v105, s[0:1]
	v_cmp_ne_u32_e64 s[0:1], 9, v5
	v_cndmask_b32_e64 v15, 1, v104, s[0:1]
	v_cmp_ne_u32_e64 s[0:1], 10, v5
	v_cndmask_b32_e64 v16, 1, v103, s[0:1]
	v_cmp_ne_u32_e64 s[0:1], 11, v5
	v_cndmask_b32_e64 v17, 1, v102, s[0:1]
	v_cmp_ne_u32_e64 s[0:1], 12, v5
	v_cndmask_b32_e64 v18, 1, v101, s[0:1]
	v_cmp_ne_u32_e64 s[0:1], 13, v5
	v_cndmask_b32_e64 v19, 1, v100, s[0:1]
	v_cmp_ne_u32_e64 s[0:1], 14, v5
	v_cndmask_b32_e64 v5, 1, v1, s[0:1]
	s_and_b64 vcc, vcc, s[44:45]
	v_cndmask_b32_e32 v20, v1, v5, vcc
	v_cndmask_b32_e32 v19, v100, v19, vcc
	;; [unrolled: 1-line block ×15, first 2 shown]
	v_mov_b32_e32 v1, s61
	v_add_co_u32_e32 v5, vcc, s60, v32
	v_addc_co_u32_e32 v6, vcc, v1, v33, vcc
	v_add_co_u32_e32 v1, vcc, v5, v34
	v_addc_co_u32_e32 v5, vcc, v6, v35, vcc
	v_lshlrev_b32_e32 v6, 3, v2
	v_add_co_u32_e32 v6, vcc, v6, v1
	v_addc_co_u32_e32 v7, vcc, 0, v5, vcc
	v_add_co_u32_e32 v6, vcc, -8, v6
	v_addc_co_u32_e32 v7, vcc, -1, v7, vcc
	v_cmp_eq_u32_e32 vcc, 0, v3
	v_cmp_ne_u32_e64 s[28:29], 0, v3
	v_cndmask_b32_e64 v3, 1, 2, vcc
	v_cmp_eq_u32_e32 vcc, 0, v21
	v_cmp_ne_u32_e64 s[26:27], 0, v21
	v_cndmask_b32_e64 v21, 1, 2, vcc
	v_cmp_eq_u32_e32 vcc, 0, v8
	v_and_b32_e32 v3, v21, v3
	v_cmp_ne_u32_e64 s[24:25], 0, v8
	v_cndmask_b32_e64 v8, 1, 2, vcc
	v_cmp_eq_u32_e32 vcc, 0, v9
	v_and_b32_e32 v3, v3, v8
	v_cndmask_b32_e64 v8, 1, 2, vcc
	v_cmp_eq_u32_e32 vcc, 0, v10
	v_and_b32_e32 v3, v3, v8
	;; [unrolled: 3-line block ×12, first 2 shown]
	v_cndmask_b32_e64 v8, 1, 2, vcc
	s_movk_i32 s30, 0x100
	v_and_b32_e32 v3, v3, v8
	v_cmp_gt_u32_e32 vcc, s30, v4
	v_add_u32_e32 v2, v62, v2
	v_cmp_ne_u32_e64 s[22:23], 0, v9
	v_cmp_ne_u32_e64 s[20:21], 0, v10
	;; [unrolled: 1-line block ×12, first 2 shown]
	s_mov_b64 s[34:35], -1
	v_cmp_gt_i16_e64 s[30:31], 2, v3
	s_barrier
	s_cbranch_vccz .LBB24_214
; %bb.208:
	s_and_saveexec_b64 s[34:35], s[30:31]
	s_cbranch_execz .LBB24_213
; %bb.209:
	v_cmp_ne_u16_e32 vcc, 1, v3
	s_mov_b64 s[36:37], 0
	s_and_saveexec_b64 s[30:31], vcc
	s_xor_b64 s[30:31], exec, s[30:31]
	s_cbranch_execnz .LBB24_263
; %bb.210:
	s_andn2_saveexec_b64 s[30:31], s[30:31]
	s_cbranch_execnz .LBB24_279
.LBB24_211:
	s_or_b64 exec, exec, s[30:31]
	s_and_b64 exec, exec, s[36:37]
	s_cbranch_execz .LBB24_213
.LBB24_212:
	v_sub_u32_e32 v8, v36, v2
	v_mov_b32_e32 v9, 0
	v_lshlrev_b64 v[8:9], 3, v[8:9]
	v_add_co_u32_e32 v8, vcc, v6, v8
	v_addc_co_u32_e32 v9, vcc, v7, v9, vcc
	global_store_dwordx2 v[8:9], v[64:65], off
.LBB24_213:
	s_or_b64 exec, exec, s[34:35]
	s_mov_b64 s[34:35], 0
.LBB24_214:
	s_and_b64 vcc, exec, s[34:35]
	s_cbranch_vccz .LBB24_224
; %bb.215:
	v_cmp_gt_i16_e32 vcc, 2, v3
	s_and_saveexec_b64 s[30:31], vcc
	s_cbranch_execz .LBB24_220
; %bb.216:
	v_cmp_ne_u16_e32 vcc, 1, v3
	s_mov_b64 s[36:37], 0
	s_and_saveexec_b64 s[34:35], vcc
	s_xor_b64 s[34:35], exec, s[34:35]
	s_cbranch_execnz .LBB24_280
; %bb.217:
	s_andn2_saveexec_b64 s[0:1], s[34:35]
	s_cbranch_execnz .LBB24_296
.LBB24_218:
	s_or_b64 exec, exec, s[0:1]
	s_and_b64 exec, exec, s[36:37]
	s_cbranch_execz .LBB24_220
.LBB24_219:
	v_sub_u32_e32 v2, v36, v2
	v_lshlrev_b32_e32 v2, 3, v2
	ds_write_b64 v2, v[64:65]
.LBB24_220:
	s_or_b64 exec, exec, s[30:31]
	v_cmp_lt_u32_e32 vcc, v0, v4
	s_waitcnt lgkmcnt(0)
	s_barrier
	s_and_saveexec_b64 s[0:1], vcc
	s_cbranch_execz .LBB24_223
; %bb.221:
	v_lshlrev_b32_e32 v8, 3, v0
	s_mov_b64 s[2:3], 0
	v_mov_b32_e32 v3, 0
	v_mov_b32_e32 v2, v0
.LBB24_222:                             ; =>This Inner Loop Header: Depth=1
	v_lshlrev_b64 v[10:11], 3, v[2:3]
	ds_read_b64 v[12:13], v8
	v_add_co_u32_e32 v10, vcc, v6, v10
	v_add_u32_e32 v2, 0x100, v2
	v_addc_co_u32_e32 v11, vcc, v7, v11, vcc
	v_cmp_ge_u32_e32 vcc, v2, v4
	v_add_u32_e32 v8, 0x800, v8
	s_or_b64 s[2:3], vcc, s[2:3]
	s_waitcnt lgkmcnt(0)
	global_store_dwordx2 v[10:11], v[12:13], off
	s_andn2_b64 exec, exec, s[2:3]
	s_cbranch_execnz .LBB24_222
.LBB24_223:
	s_or_b64 exec, exec, s[0:1]
.LBB24_224:
	s_movk_i32 s0, 0xff
	v_cmp_eq_u32_e32 vcc, s0, v0
	s_and_b64 s[0:1], vcc, s[44:45]
	s_and_saveexec_b64 s[2:3], s[0:1]
	s_cbranch_execz .LBB24_227
; %bb.225:
	v_add_co_u32_e32 v0, vcc, v58, v62
	v_addc_co_u32_e64 v3, s[0:1], 0, 0, vcc
	v_add_co_u32_e32 v2, vcc, v0, v30
	v_mov_b32_e32 v59, 0
	v_addc_co_u32_e32 v3, vcc, v3, v31, vcc
	s_cmpk_lg_i32 s33, 0xf00
	global_store_dwordx2 v59, v[2:3], s[62:63]
	s_cbranch_scc1 .LBB24_227
; %bb.226:
	v_lshlrev_b64 v[2:3], 3, v[58:59]
	v_add_co_u32_e32 v0, vcc, v1, v2
	v_addc_co_u32_e32 v1, vcc, v5, v3, vcc
	global_store_dwordx2 v[0:1], v[60:61], off offset:-8
.LBB24_227:
	s_endpgm
.LBB24_228:
	s_or_b64 exec, exec, s[10:11]
	v_mov_b32_e32 v113, s12
	s_and_saveexec_b64 s[2:3], s[6:7]
	s_cbranch_execnz .LBB24_88
	s_branch .LBB24_89
.LBB24_229:
	s_and_saveexec_b64 s[38:39], s[30:31]
	s_cbranch_execnz .LBB24_297
; %bb.230:
	s_or_b64 exec, exec, s[38:39]
	s_and_saveexec_b64 s[38:39], s[28:29]
	s_cbranch_execnz .LBB24_298
.LBB24_231:
	s_or_b64 exec, exec, s[38:39]
	s_and_saveexec_b64 s[38:39], s[26:27]
	s_cbranch_execnz .LBB24_299
.LBB24_232:
	s_or_b64 exec, exec, s[38:39]
	s_and_saveexec_b64 s[38:39], s[24:25]
	s_cbranch_execnz .LBB24_300
.LBB24_233:
	s_or_b64 exec, exec, s[38:39]
	s_and_saveexec_b64 s[38:39], s[22:23]
	s_cbranch_execnz .LBB24_301
.LBB24_234:
	s_or_b64 exec, exec, s[38:39]
	s_and_saveexec_b64 s[38:39], s[20:21]
	s_cbranch_execnz .LBB24_302
.LBB24_235:
	s_or_b64 exec, exec, s[38:39]
	s_and_saveexec_b64 s[38:39], s[18:19]
	s_cbranch_execnz .LBB24_303
.LBB24_236:
	s_or_b64 exec, exec, s[38:39]
	s_and_saveexec_b64 s[38:39], s[16:17]
	s_cbranch_execnz .LBB24_304
.LBB24_237:
	s_or_b64 exec, exec, s[38:39]
	s_and_saveexec_b64 s[38:39], s[14:15]
	s_cbranch_execnz .LBB24_305
.LBB24_238:
	s_or_b64 exec, exec, s[38:39]
	s_and_saveexec_b64 s[38:39], s[12:13]
	s_cbranch_execnz .LBB24_306
.LBB24_239:
	s_or_b64 exec, exec, s[38:39]
	s_and_saveexec_b64 s[38:39], s[10:11]
	s_cbranch_execnz .LBB24_307
.LBB24_240:
	s_or_b64 exec, exec, s[38:39]
	s_and_saveexec_b64 s[38:39], s[8:9]
	s_cbranch_execnz .LBB24_308
.LBB24_241:
	s_or_b64 exec, exec, s[38:39]
	s_and_saveexec_b64 s[38:39], s[6:7]
	s_cbranch_execnz .LBB24_309
.LBB24_242:
	s_or_b64 exec, exec, s[38:39]
	s_and_saveexec_b64 s[38:39], s[4:5]
	s_cbranch_execz .LBB24_244
.LBB24_243:
	v_sub_u32_e32 v54, v37, v62
	v_mov_b32_e32 v55, 0
	v_lshlrev_b64 v[54:55], 3, v[54:55]
	v_add_co_u32_e32 v54, vcc, v50, v54
	v_addc_co_u32_e32 v55, vcc, v51, v55, vcc
	global_store_dwordx2 v[54:55], v[4:5], off
.LBB24_244:
	s_or_b64 exec, exec, s[38:39]
	s_and_b64 s[38:39], s[2:3], exec
	s_andn2_saveexec_b64 s[34:35], s[34:35]
	s_cbranch_execz .LBB24_194
.LBB24_245:
	v_sub_u32_e32 v54, v59, v62
	v_mov_b32_e32 v55, 0
	v_lshlrev_b64 v[56:57], 3, v[54:55]
	v_add_co_u32_e32 v56, vcc, v50, v56
	v_addc_co_u32_e32 v57, vcc, v51, v57, vcc
	v_sub_u32_e32 v54, v49, v62
	global_store_dwordx2 v[56:57], v[26:27], off
	v_lshlrev_b64 v[56:57], 3, v[54:55]
	v_add_co_u32_e32 v56, vcc, v50, v56
	v_addc_co_u32_e32 v57, vcc, v51, v57, vcc
	v_sub_u32_e32 v54, v48, v62
	global_store_dwordx2 v[56:57], v[28:29], off
	;; [unrolled: 5-line block ×12, first 2 shown]
	v_lshlrev_b64 v[56:57], 3, v[54:55]
	v_add_co_u32_e32 v56, vcc, v50, v56
	v_sub_u32_e32 v54, v37, v62
	v_addc_co_u32_e32 v57, vcc, v51, v57, vcc
	v_lshlrev_b64 v[54:55], 3, v[54:55]
	v_add_co_u32_e32 v54, vcc, v50, v54
	v_addc_co_u32_e32 v55, vcc, v51, v55, vcc
	s_or_b64 s[38:39], s[38:39], exec
	global_store_dwordx2 v[56:57], v[2:3], off
	global_store_dwordx2 v[54:55], v[4:5], off
	s_or_b64 exec, exec, s[34:35]
	s_and_b64 exec, exec, s[38:39]
	s_cbranch_execnz .LBB24_195
	s_branch .LBB24_196
.LBB24_246:
	s_and_saveexec_b64 s[38:39], s[30:31]
	s_cbranch_execnz .LBB24_310
; %bb.247:
	s_or_b64 exec, exec, s[38:39]
	s_and_saveexec_b64 s[30:31], s[28:29]
	s_cbranch_execnz .LBB24_311
.LBB24_248:
	s_or_b64 exec, exec, s[30:31]
	s_and_saveexec_b64 s[28:29], s[26:27]
	s_cbranch_execnz .LBB24_312
.LBB24_249:
	s_or_b64 exec, exec, s[28:29]
	s_and_saveexec_b64 s[26:27], s[24:25]
	s_cbranch_execnz .LBB24_313
.LBB24_250:
	s_or_b64 exec, exec, s[26:27]
	s_and_saveexec_b64 s[24:25], s[22:23]
	s_cbranch_execnz .LBB24_314
.LBB24_251:
	s_or_b64 exec, exec, s[24:25]
	s_and_saveexec_b64 s[22:23], s[20:21]
	s_cbranch_execnz .LBB24_315
.LBB24_252:
	s_or_b64 exec, exec, s[22:23]
	s_and_saveexec_b64 s[20:21], s[18:19]
	s_cbranch_execnz .LBB24_316
.LBB24_253:
	s_or_b64 exec, exec, s[20:21]
	s_and_saveexec_b64 s[18:19], s[16:17]
	s_cbranch_execnz .LBB24_317
.LBB24_254:
	s_or_b64 exec, exec, s[18:19]
	s_and_saveexec_b64 s[16:17], s[14:15]
	s_cbranch_execnz .LBB24_318
.LBB24_255:
	s_or_b64 exec, exec, s[16:17]
	s_and_saveexec_b64 s[14:15], s[12:13]
	s_cbranch_execnz .LBB24_319
.LBB24_256:
	s_or_b64 exec, exec, s[14:15]
	s_and_saveexec_b64 s[12:13], s[10:11]
	s_cbranch_execnz .LBB24_320
.LBB24_257:
	s_or_b64 exec, exec, s[12:13]
	s_and_saveexec_b64 s[10:11], s[8:9]
	s_cbranch_execnz .LBB24_321
.LBB24_258:
	s_or_b64 exec, exec, s[10:11]
	s_and_saveexec_b64 s[8:9], s[6:7]
	s_cbranch_execnz .LBB24_322
.LBB24_259:
	s_or_b64 exec, exec, s[8:9]
	s_and_saveexec_b64 s[6:7], s[4:5]
	s_cbranch_execz .LBB24_261
.LBB24_260:
	v_sub_u32_e32 v2, v37, v62
	v_lshlrev_b32_e32 v2, 3, v2
	ds_write_b64 v2, v[4:5]
.LBB24_261:
	s_or_b64 exec, exec, s[6:7]
	s_and_b64 s[38:39], s[2:3], exec
                                        ; implicit-def: $vgpr2_vgpr3
                                        ; implicit-def: $vgpr6_vgpr7
                                        ; implicit-def: $vgpr10_vgpr11
                                        ; implicit-def: $vgpr14_vgpr15
                                        ; implicit-def: $vgpr18_vgpr19
                                        ; implicit-def: $vgpr22_vgpr23
                                        ; implicit-def: $vgpr26_vgpr27
	s_andn2_saveexec_b64 s[2:3], s[36:37]
	s_cbranch_execz .LBB24_201
.LBB24_262:
	v_sub_u32_e32 v52, v59, v62
	v_lshlrev_b32_e32 v52, 3, v52
	ds_write_b64 v52, v[26:27]
	v_sub_u32_e32 v26, v49, v62
	v_lshlrev_b32_e32 v26, 3, v26
	ds_write_b64 v26, v[28:29]
	;; [unrolled: 3-line block ×13, first 2 shown]
	v_sub_u32_e32 v2, v37, v62
	v_lshlrev_b32_e32 v2, 3, v2
	s_or_b64 s[38:39], s[38:39], exec
	ds_write_b64 v2, v[4:5]
	s_or_b64 exec, exec, s[2:3]
	s_and_b64 exec, exec, s[38:39]
	s_cbranch_execnz .LBB24_202
	s_branch .LBB24_203
.LBB24_263:
	s_and_saveexec_b64 s[36:37], s[28:29]
	s_cbranch_execnz .LBB24_323
; %bb.264:
	s_or_b64 exec, exec, s[36:37]
	s_and_saveexec_b64 s[36:37], s[26:27]
	s_cbranch_execnz .LBB24_324
.LBB24_265:
	s_or_b64 exec, exec, s[36:37]
	s_and_saveexec_b64 s[36:37], s[24:25]
	s_cbranch_execnz .LBB24_325
.LBB24_266:
	s_or_b64 exec, exec, s[36:37]
	s_and_saveexec_b64 s[36:37], s[22:23]
	s_cbranch_execnz .LBB24_326
.LBB24_267:
	s_or_b64 exec, exec, s[36:37]
	s_and_saveexec_b64 s[36:37], s[20:21]
	s_cbranch_execnz .LBB24_327
.LBB24_268:
	s_or_b64 exec, exec, s[36:37]
	s_and_saveexec_b64 s[36:37], s[18:19]
	s_cbranch_execnz .LBB24_328
.LBB24_269:
	s_or_b64 exec, exec, s[36:37]
	s_and_saveexec_b64 s[36:37], s[16:17]
	s_cbranch_execnz .LBB24_329
.LBB24_270:
	s_or_b64 exec, exec, s[36:37]
	s_and_saveexec_b64 s[36:37], s[14:15]
	s_cbranch_execnz .LBB24_330
.LBB24_271:
	s_or_b64 exec, exec, s[36:37]
	s_and_saveexec_b64 s[36:37], s[12:13]
	s_cbranch_execnz .LBB24_331
.LBB24_272:
	s_or_b64 exec, exec, s[36:37]
	s_and_saveexec_b64 s[36:37], s[10:11]
	s_cbranch_execnz .LBB24_332
.LBB24_273:
	s_or_b64 exec, exec, s[36:37]
	s_and_saveexec_b64 s[36:37], s[8:9]
	s_cbranch_execnz .LBB24_333
.LBB24_274:
	s_or_b64 exec, exec, s[36:37]
	s_and_saveexec_b64 s[36:37], s[6:7]
	s_cbranch_execnz .LBB24_334
.LBB24_275:
	s_or_b64 exec, exec, s[36:37]
	s_and_saveexec_b64 s[36:37], s[4:5]
	s_cbranch_execnz .LBB24_335
.LBB24_276:
	s_or_b64 exec, exec, s[36:37]
	s_and_saveexec_b64 s[36:37], s[2:3]
	s_cbranch_execz .LBB24_278
.LBB24_277:
	v_sub_u32_e32 v8, v37, v2
	v_mov_b32_e32 v9, 0
	v_lshlrev_b64 v[8:9], 3, v[8:9]
	v_add_co_u32_e32 v8, vcc, v6, v8
	v_addc_co_u32_e32 v9, vcc, v7, v9, vcc
	global_store_dwordx2 v[8:9], v[66:67], off
.LBB24_278:
	s_or_b64 exec, exec, s[36:37]
	s_and_b64 s[36:37], s[0:1], exec
	s_andn2_saveexec_b64 s[30:31], s[30:31]
	s_cbranch_execz .LBB24_211
.LBB24_279:
	v_sub_u32_e32 v8, v59, v2
	v_mov_b32_e32 v9, 0
	v_lshlrev_b64 v[10:11], 3, v[8:9]
	v_add_co_u32_e32 v10, vcc, v6, v10
	v_addc_co_u32_e32 v11, vcc, v7, v11, vcc
	v_sub_u32_e32 v8, v49, v2
	global_store_dwordx2 v[10:11], v[96:97], off
	v_lshlrev_b64 v[10:11], 3, v[8:9]
	v_add_co_u32_e32 v10, vcc, v6, v10
	v_addc_co_u32_e32 v11, vcc, v7, v11, vcc
	v_sub_u32_e32 v8, v48, v2
	global_store_dwordx2 v[10:11], v[94:95], off
	;; [unrolled: 5-line block ×12, first 2 shown]
	v_lshlrev_b64 v[10:11], 3, v[8:9]
	v_add_co_u32_e32 v10, vcc, v6, v10
	v_sub_u32_e32 v8, v37, v2
	v_addc_co_u32_e32 v11, vcc, v7, v11, vcc
	v_lshlrev_b64 v[8:9], 3, v[8:9]
	v_add_co_u32_e32 v8, vcc, v6, v8
	v_addc_co_u32_e32 v9, vcc, v7, v9, vcc
	s_or_b64 s[36:37], s[36:37], exec
	global_store_dwordx2 v[10:11], v[68:69], off
	global_store_dwordx2 v[8:9], v[66:67], off
	s_or_b64 exec, exec, s[30:31]
	s_and_b64 exec, exec, s[36:37]
	s_cbranch_execnz .LBB24_212
	s_branch .LBB24_213
.LBB24_280:
	s_and_saveexec_b64 s[36:37], s[28:29]
	s_cbranch_execnz .LBB24_336
; %bb.281:
	s_or_b64 exec, exec, s[36:37]
	s_and_saveexec_b64 s[28:29], s[26:27]
	s_cbranch_execnz .LBB24_337
.LBB24_282:
	s_or_b64 exec, exec, s[28:29]
	s_and_saveexec_b64 s[26:27], s[24:25]
	s_cbranch_execnz .LBB24_338
.LBB24_283:
	s_or_b64 exec, exec, s[26:27]
	s_and_saveexec_b64 s[24:25], s[22:23]
	s_cbranch_execnz .LBB24_339
.LBB24_284:
	s_or_b64 exec, exec, s[24:25]
	s_and_saveexec_b64 s[22:23], s[20:21]
	s_cbranch_execnz .LBB24_340
.LBB24_285:
	s_or_b64 exec, exec, s[22:23]
	s_and_saveexec_b64 s[20:21], s[18:19]
	s_cbranch_execnz .LBB24_341
.LBB24_286:
	s_or_b64 exec, exec, s[20:21]
	s_and_saveexec_b64 s[18:19], s[16:17]
	s_cbranch_execnz .LBB24_342
.LBB24_287:
	s_or_b64 exec, exec, s[18:19]
	s_and_saveexec_b64 s[16:17], s[14:15]
	s_cbranch_execnz .LBB24_343
.LBB24_288:
	s_or_b64 exec, exec, s[16:17]
	s_and_saveexec_b64 s[14:15], s[12:13]
	s_cbranch_execnz .LBB24_344
.LBB24_289:
	s_or_b64 exec, exec, s[14:15]
	s_and_saveexec_b64 s[12:13], s[10:11]
	s_cbranch_execnz .LBB24_345
.LBB24_290:
	s_or_b64 exec, exec, s[12:13]
	s_and_saveexec_b64 s[10:11], s[8:9]
	s_cbranch_execnz .LBB24_346
.LBB24_291:
	s_or_b64 exec, exec, s[10:11]
	s_and_saveexec_b64 s[8:9], s[6:7]
	s_cbranch_execnz .LBB24_347
.LBB24_292:
	s_or_b64 exec, exec, s[8:9]
	s_and_saveexec_b64 s[6:7], s[4:5]
	s_cbranch_execnz .LBB24_348
.LBB24_293:
	s_or_b64 exec, exec, s[6:7]
	s_and_saveexec_b64 s[4:5], s[2:3]
	s_cbranch_execz .LBB24_295
.LBB24_294:
	v_sub_u32_e32 v3, v37, v2
	v_lshlrev_b32_e32 v3, 3, v3
	ds_write_b64 v3, v[66:67]
.LBB24_295:
	s_or_b64 exec, exec, s[4:5]
	s_and_b64 s[36:37], s[0:1], exec
                                        ; implicit-def: $vgpr96_vgpr97
                                        ; implicit-def: $vgpr94_vgpr95
                                        ; implicit-def: $vgpr92_vgpr93
                                        ; implicit-def: $vgpr90_vgpr91
                                        ; implicit-def: $vgpr88_vgpr89
                                        ; implicit-def: $vgpr86_vgpr87
                                        ; implicit-def: $vgpr84_vgpr85
                                        ; implicit-def: $vgpr82_vgpr83
                                        ; implicit-def: $vgpr80_vgpr81
                                        ; implicit-def: $vgpr78_vgpr79
                                        ; implicit-def: $vgpr76_vgpr77
                                        ; implicit-def: $vgpr70_vgpr71
                                        ; implicit-def: $vgpr68_vgpr69
                                        ; implicit-def: $vgpr66_vgpr67
                                        ; implicit-def: $vgpr59
                                        ; implicit-def: $vgpr49
                                        ; implicit-def: $vgpr48
                                        ; implicit-def: $vgpr47
                                        ; implicit-def: $vgpr46
                                        ; implicit-def: $vgpr45
                                        ; implicit-def: $vgpr44
                                        ; implicit-def: $vgpr43
                                        ; implicit-def: $vgpr42
                                        ; implicit-def: $vgpr41
                                        ; implicit-def: $vgpr40
                                        ; implicit-def: $vgpr39
                                        ; implicit-def: $vgpr38
                                        ; implicit-def: $vgpr37
	s_andn2_saveexec_b64 s[0:1], s[34:35]
	s_cbranch_execz .LBB24_218
.LBB24_296:
	v_sub_u32_e32 v3, v59, v2
	v_lshlrev_b32_e32 v3, 3, v3
	ds_write_b64 v3, v[96:97]
	v_sub_u32_e32 v3, v49, v2
	v_lshlrev_b32_e32 v3, 3, v3
	ds_write_b64 v3, v[94:95]
	;; [unrolled: 3-line block ×13, first 2 shown]
	v_sub_u32_e32 v3, v37, v2
	v_lshlrev_b32_e32 v3, 3, v3
	s_or_b64 s[36:37], s[36:37], exec
	ds_write_b64 v3, v[66:67]
	s_or_b64 exec, exec, s[0:1]
	s_and_b64 exec, exec, s[36:37]
	s_cbranch_execnz .LBB24_219
	s_branch .LBB24_220
.LBB24_297:
	v_sub_u32_e32 v54, v59, v62
	v_mov_b32_e32 v55, 0
	v_lshlrev_b64 v[54:55], 3, v[54:55]
	v_add_co_u32_e32 v54, vcc, v50, v54
	v_addc_co_u32_e32 v55, vcc, v51, v55, vcc
	global_store_dwordx2 v[54:55], v[26:27], off
	s_or_b64 exec, exec, s[38:39]
	s_and_saveexec_b64 s[38:39], s[28:29]
	s_cbranch_execz .LBB24_231
.LBB24_298:
	v_sub_u32_e32 v54, v49, v62
	v_mov_b32_e32 v55, 0
	v_lshlrev_b64 v[54:55], 3, v[54:55]
	v_add_co_u32_e32 v54, vcc, v50, v54
	v_addc_co_u32_e32 v55, vcc, v51, v55, vcc
	global_store_dwordx2 v[54:55], v[28:29], off
	s_or_b64 exec, exec, s[38:39]
	s_and_saveexec_b64 s[38:39], s[26:27]
	s_cbranch_execz .LBB24_232
.LBB24_299:
	v_sub_u32_e32 v54, v48, v62
	v_mov_b32_e32 v55, 0
	v_lshlrev_b64 v[54:55], 3, v[54:55]
	v_add_co_u32_e32 v54, vcc, v50, v54
	v_addc_co_u32_e32 v55, vcc, v51, v55, vcc
	global_store_dwordx2 v[54:55], v[22:23], off
	s_or_b64 exec, exec, s[38:39]
	s_and_saveexec_b64 s[38:39], s[24:25]
	s_cbranch_execz .LBB24_233
.LBB24_300:
	v_sub_u32_e32 v54, v47, v62
	v_mov_b32_e32 v55, 0
	v_lshlrev_b64 v[54:55], 3, v[54:55]
	v_add_co_u32_e32 v54, vcc, v50, v54
	v_addc_co_u32_e32 v55, vcc, v51, v55, vcc
	global_store_dwordx2 v[54:55], v[24:25], off
	s_or_b64 exec, exec, s[38:39]
	s_and_saveexec_b64 s[38:39], s[22:23]
	s_cbranch_execz .LBB24_234
.LBB24_301:
	v_sub_u32_e32 v54, v46, v62
	v_mov_b32_e32 v55, 0
	v_lshlrev_b64 v[54:55], 3, v[54:55]
	v_add_co_u32_e32 v54, vcc, v50, v54
	v_addc_co_u32_e32 v55, vcc, v51, v55, vcc
	global_store_dwordx2 v[54:55], v[18:19], off
	s_or_b64 exec, exec, s[38:39]
	s_and_saveexec_b64 s[38:39], s[20:21]
	s_cbranch_execz .LBB24_235
.LBB24_302:
	v_sub_u32_e32 v54, v45, v62
	v_mov_b32_e32 v55, 0
	v_lshlrev_b64 v[54:55], 3, v[54:55]
	v_add_co_u32_e32 v54, vcc, v50, v54
	v_addc_co_u32_e32 v55, vcc, v51, v55, vcc
	global_store_dwordx2 v[54:55], v[20:21], off
	s_or_b64 exec, exec, s[38:39]
	s_and_saveexec_b64 s[38:39], s[18:19]
	s_cbranch_execz .LBB24_236
.LBB24_303:
	v_sub_u32_e32 v54, v44, v62
	v_mov_b32_e32 v55, 0
	v_lshlrev_b64 v[54:55], 3, v[54:55]
	v_add_co_u32_e32 v54, vcc, v50, v54
	v_addc_co_u32_e32 v55, vcc, v51, v55, vcc
	global_store_dwordx2 v[54:55], v[14:15], off
	s_or_b64 exec, exec, s[38:39]
	s_and_saveexec_b64 s[38:39], s[16:17]
	s_cbranch_execz .LBB24_237
.LBB24_304:
	v_sub_u32_e32 v54, v43, v62
	v_mov_b32_e32 v55, 0
	v_lshlrev_b64 v[54:55], 3, v[54:55]
	v_add_co_u32_e32 v54, vcc, v50, v54
	v_addc_co_u32_e32 v55, vcc, v51, v55, vcc
	global_store_dwordx2 v[54:55], v[16:17], off
	s_or_b64 exec, exec, s[38:39]
	s_and_saveexec_b64 s[38:39], s[14:15]
	s_cbranch_execz .LBB24_238
.LBB24_305:
	v_sub_u32_e32 v54, v42, v62
	v_mov_b32_e32 v55, 0
	v_lshlrev_b64 v[54:55], 3, v[54:55]
	v_add_co_u32_e32 v54, vcc, v50, v54
	v_addc_co_u32_e32 v55, vcc, v51, v55, vcc
	global_store_dwordx2 v[54:55], v[10:11], off
	s_or_b64 exec, exec, s[38:39]
	s_and_saveexec_b64 s[38:39], s[12:13]
	s_cbranch_execz .LBB24_239
.LBB24_306:
	v_sub_u32_e32 v54, v41, v62
	v_mov_b32_e32 v55, 0
	v_lshlrev_b64 v[54:55], 3, v[54:55]
	v_add_co_u32_e32 v54, vcc, v50, v54
	v_addc_co_u32_e32 v55, vcc, v51, v55, vcc
	global_store_dwordx2 v[54:55], v[12:13], off
	s_or_b64 exec, exec, s[38:39]
	s_and_saveexec_b64 s[38:39], s[10:11]
	s_cbranch_execz .LBB24_240
.LBB24_307:
	v_sub_u32_e32 v54, v40, v62
	v_mov_b32_e32 v55, 0
	v_lshlrev_b64 v[54:55], 3, v[54:55]
	v_add_co_u32_e32 v54, vcc, v50, v54
	v_addc_co_u32_e32 v55, vcc, v51, v55, vcc
	global_store_dwordx2 v[54:55], v[6:7], off
	s_or_b64 exec, exec, s[38:39]
	s_and_saveexec_b64 s[38:39], s[8:9]
	s_cbranch_execz .LBB24_241
.LBB24_308:
	v_sub_u32_e32 v54, v39, v62
	v_mov_b32_e32 v55, 0
	v_lshlrev_b64 v[54:55], 3, v[54:55]
	v_add_co_u32_e32 v54, vcc, v50, v54
	v_addc_co_u32_e32 v55, vcc, v51, v55, vcc
	global_store_dwordx2 v[54:55], v[8:9], off
	s_or_b64 exec, exec, s[38:39]
	s_and_saveexec_b64 s[38:39], s[6:7]
	s_cbranch_execz .LBB24_242
.LBB24_309:
	v_sub_u32_e32 v54, v38, v62
	v_mov_b32_e32 v55, 0
	v_lshlrev_b64 v[54:55], 3, v[54:55]
	v_add_co_u32_e32 v54, vcc, v50, v54
	v_addc_co_u32_e32 v55, vcc, v51, v55, vcc
	global_store_dwordx2 v[54:55], v[2:3], off
	s_or_b64 exec, exec, s[38:39]
	s_and_saveexec_b64 s[38:39], s[4:5]
	s_cbranch_execnz .LBB24_243
	s_branch .LBB24_244
.LBB24_310:
	v_sub_u32_e32 v52, v59, v62
	v_lshlrev_b32_e32 v52, 3, v52
	ds_write_b64 v52, v[26:27]
	s_or_b64 exec, exec, s[38:39]
	s_and_saveexec_b64 s[30:31], s[28:29]
	s_cbranch_execz .LBB24_248
.LBB24_311:
	v_sub_u32_e32 v26, v49, v62
	v_lshlrev_b32_e32 v26, 3, v26
	ds_write_b64 v26, v[28:29]
	s_or_b64 exec, exec, s[30:31]
	s_and_saveexec_b64 s[28:29], s[26:27]
	s_cbranch_execz .LBB24_249
.LBB24_312:
	v_sub_u32_e32 v26, v48, v62
	v_lshlrev_b32_e32 v26, 3, v26
	ds_write_b64 v26, v[22:23]
	s_or_b64 exec, exec, s[28:29]
	s_and_saveexec_b64 s[26:27], s[24:25]
	s_cbranch_execz .LBB24_250
.LBB24_313:
	v_sub_u32_e32 v22, v47, v62
	v_lshlrev_b32_e32 v22, 3, v22
	ds_write_b64 v22, v[24:25]
	s_or_b64 exec, exec, s[26:27]
	s_and_saveexec_b64 s[24:25], s[22:23]
	s_cbranch_execz .LBB24_251
.LBB24_314:
	v_sub_u32_e32 v22, v46, v62
	v_lshlrev_b32_e32 v22, 3, v22
	ds_write_b64 v22, v[18:19]
	s_or_b64 exec, exec, s[24:25]
	s_and_saveexec_b64 s[22:23], s[20:21]
	s_cbranch_execz .LBB24_252
.LBB24_315:
	v_sub_u32_e32 v18, v45, v62
	v_lshlrev_b32_e32 v18, 3, v18
	ds_write_b64 v18, v[20:21]
	s_or_b64 exec, exec, s[22:23]
	s_and_saveexec_b64 s[20:21], s[18:19]
	s_cbranch_execz .LBB24_253
.LBB24_316:
	v_sub_u32_e32 v18, v44, v62
	v_lshlrev_b32_e32 v18, 3, v18
	ds_write_b64 v18, v[14:15]
	s_or_b64 exec, exec, s[20:21]
	s_and_saveexec_b64 s[18:19], s[16:17]
	s_cbranch_execz .LBB24_254
.LBB24_317:
	v_sub_u32_e32 v14, v43, v62
	v_lshlrev_b32_e32 v14, 3, v14
	ds_write_b64 v14, v[16:17]
	s_or_b64 exec, exec, s[18:19]
	s_and_saveexec_b64 s[16:17], s[14:15]
	s_cbranch_execz .LBB24_255
.LBB24_318:
	v_sub_u32_e32 v14, v42, v62
	v_lshlrev_b32_e32 v14, 3, v14
	ds_write_b64 v14, v[10:11]
	s_or_b64 exec, exec, s[16:17]
	s_and_saveexec_b64 s[14:15], s[12:13]
	s_cbranch_execz .LBB24_256
.LBB24_319:
	v_sub_u32_e32 v10, v41, v62
	v_lshlrev_b32_e32 v10, 3, v10
	ds_write_b64 v10, v[12:13]
	s_or_b64 exec, exec, s[14:15]
	s_and_saveexec_b64 s[12:13], s[10:11]
	s_cbranch_execz .LBB24_257
.LBB24_320:
	v_sub_u32_e32 v10, v40, v62
	v_lshlrev_b32_e32 v10, 3, v10
	ds_write_b64 v10, v[6:7]
	s_or_b64 exec, exec, s[12:13]
	s_and_saveexec_b64 s[10:11], s[8:9]
	s_cbranch_execz .LBB24_258
.LBB24_321:
	v_sub_u32_e32 v6, v39, v62
	v_lshlrev_b32_e32 v6, 3, v6
	ds_write_b64 v6, v[8:9]
	s_or_b64 exec, exec, s[10:11]
	s_and_saveexec_b64 s[8:9], s[6:7]
	s_cbranch_execz .LBB24_259
.LBB24_322:
	v_sub_u32_e32 v6, v38, v62
	v_lshlrev_b32_e32 v6, 3, v6
	ds_write_b64 v6, v[2:3]
	s_or_b64 exec, exec, s[8:9]
	s_and_saveexec_b64 s[6:7], s[4:5]
	s_cbranch_execnz .LBB24_260
	s_branch .LBB24_261
.LBB24_323:
	v_sub_u32_e32 v8, v59, v2
	v_mov_b32_e32 v9, 0
	v_lshlrev_b64 v[8:9], 3, v[8:9]
	v_add_co_u32_e32 v8, vcc, v6, v8
	v_addc_co_u32_e32 v9, vcc, v7, v9, vcc
	global_store_dwordx2 v[8:9], v[96:97], off
	s_or_b64 exec, exec, s[36:37]
	s_and_saveexec_b64 s[36:37], s[26:27]
	s_cbranch_execz .LBB24_265
.LBB24_324:
	v_sub_u32_e32 v8, v49, v2
	v_mov_b32_e32 v9, 0
	v_lshlrev_b64 v[8:9], 3, v[8:9]
	v_add_co_u32_e32 v8, vcc, v6, v8
	v_addc_co_u32_e32 v9, vcc, v7, v9, vcc
	global_store_dwordx2 v[8:9], v[94:95], off
	s_or_b64 exec, exec, s[36:37]
	s_and_saveexec_b64 s[36:37], s[24:25]
	s_cbranch_execz .LBB24_266
.LBB24_325:
	v_sub_u32_e32 v8, v48, v2
	v_mov_b32_e32 v9, 0
	v_lshlrev_b64 v[8:9], 3, v[8:9]
	v_add_co_u32_e32 v8, vcc, v6, v8
	v_addc_co_u32_e32 v9, vcc, v7, v9, vcc
	global_store_dwordx2 v[8:9], v[92:93], off
	s_or_b64 exec, exec, s[36:37]
	s_and_saveexec_b64 s[36:37], s[22:23]
	s_cbranch_execz .LBB24_267
.LBB24_326:
	v_sub_u32_e32 v8, v47, v2
	v_mov_b32_e32 v9, 0
	v_lshlrev_b64 v[8:9], 3, v[8:9]
	v_add_co_u32_e32 v8, vcc, v6, v8
	v_addc_co_u32_e32 v9, vcc, v7, v9, vcc
	global_store_dwordx2 v[8:9], v[90:91], off
	s_or_b64 exec, exec, s[36:37]
	s_and_saveexec_b64 s[36:37], s[20:21]
	s_cbranch_execz .LBB24_268
.LBB24_327:
	v_sub_u32_e32 v8, v46, v2
	v_mov_b32_e32 v9, 0
	v_lshlrev_b64 v[8:9], 3, v[8:9]
	v_add_co_u32_e32 v8, vcc, v6, v8
	v_addc_co_u32_e32 v9, vcc, v7, v9, vcc
	global_store_dwordx2 v[8:9], v[88:89], off
	s_or_b64 exec, exec, s[36:37]
	s_and_saveexec_b64 s[36:37], s[18:19]
	s_cbranch_execz .LBB24_269
.LBB24_328:
	v_sub_u32_e32 v8, v45, v2
	v_mov_b32_e32 v9, 0
	v_lshlrev_b64 v[8:9], 3, v[8:9]
	v_add_co_u32_e32 v8, vcc, v6, v8
	v_addc_co_u32_e32 v9, vcc, v7, v9, vcc
	global_store_dwordx2 v[8:9], v[86:87], off
	s_or_b64 exec, exec, s[36:37]
	s_and_saveexec_b64 s[36:37], s[16:17]
	s_cbranch_execz .LBB24_270
.LBB24_329:
	v_sub_u32_e32 v8, v44, v2
	v_mov_b32_e32 v9, 0
	v_lshlrev_b64 v[8:9], 3, v[8:9]
	v_add_co_u32_e32 v8, vcc, v6, v8
	v_addc_co_u32_e32 v9, vcc, v7, v9, vcc
	global_store_dwordx2 v[8:9], v[84:85], off
	s_or_b64 exec, exec, s[36:37]
	s_and_saveexec_b64 s[36:37], s[14:15]
	s_cbranch_execz .LBB24_271
.LBB24_330:
	v_sub_u32_e32 v8, v43, v2
	v_mov_b32_e32 v9, 0
	v_lshlrev_b64 v[8:9], 3, v[8:9]
	v_add_co_u32_e32 v8, vcc, v6, v8
	v_addc_co_u32_e32 v9, vcc, v7, v9, vcc
	global_store_dwordx2 v[8:9], v[82:83], off
	s_or_b64 exec, exec, s[36:37]
	s_and_saveexec_b64 s[36:37], s[12:13]
	s_cbranch_execz .LBB24_272
.LBB24_331:
	v_sub_u32_e32 v8, v42, v2
	v_mov_b32_e32 v9, 0
	v_lshlrev_b64 v[8:9], 3, v[8:9]
	v_add_co_u32_e32 v8, vcc, v6, v8
	v_addc_co_u32_e32 v9, vcc, v7, v9, vcc
	global_store_dwordx2 v[8:9], v[80:81], off
	s_or_b64 exec, exec, s[36:37]
	s_and_saveexec_b64 s[36:37], s[10:11]
	s_cbranch_execz .LBB24_273
.LBB24_332:
	v_sub_u32_e32 v8, v41, v2
	v_mov_b32_e32 v9, 0
	v_lshlrev_b64 v[8:9], 3, v[8:9]
	v_add_co_u32_e32 v8, vcc, v6, v8
	v_addc_co_u32_e32 v9, vcc, v7, v9, vcc
	global_store_dwordx2 v[8:9], v[78:79], off
	s_or_b64 exec, exec, s[36:37]
	s_and_saveexec_b64 s[36:37], s[8:9]
	s_cbranch_execz .LBB24_274
.LBB24_333:
	v_sub_u32_e32 v8, v40, v2
	v_mov_b32_e32 v9, 0
	v_lshlrev_b64 v[8:9], 3, v[8:9]
	v_add_co_u32_e32 v8, vcc, v6, v8
	v_addc_co_u32_e32 v9, vcc, v7, v9, vcc
	global_store_dwordx2 v[8:9], v[76:77], off
	s_or_b64 exec, exec, s[36:37]
	s_and_saveexec_b64 s[36:37], s[6:7]
	s_cbranch_execz .LBB24_275
.LBB24_334:
	v_sub_u32_e32 v8, v39, v2
	v_mov_b32_e32 v9, 0
	v_lshlrev_b64 v[8:9], 3, v[8:9]
	v_add_co_u32_e32 v8, vcc, v6, v8
	v_addc_co_u32_e32 v9, vcc, v7, v9, vcc
	global_store_dwordx2 v[8:9], v[70:71], off
	s_or_b64 exec, exec, s[36:37]
	s_and_saveexec_b64 s[36:37], s[4:5]
	s_cbranch_execz .LBB24_276
.LBB24_335:
	v_sub_u32_e32 v8, v38, v2
	v_mov_b32_e32 v9, 0
	v_lshlrev_b64 v[8:9], 3, v[8:9]
	v_add_co_u32_e32 v8, vcc, v6, v8
	v_addc_co_u32_e32 v9, vcc, v7, v9, vcc
	global_store_dwordx2 v[8:9], v[68:69], off
	s_or_b64 exec, exec, s[36:37]
	s_and_saveexec_b64 s[36:37], s[2:3]
	s_cbranch_execnz .LBB24_277
	s_branch .LBB24_278
.LBB24_336:
	v_sub_u32_e32 v3, v59, v2
	v_lshlrev_b32_e32 v3, 3, v3
	ds_write_b64 v3, v[96:97]
	s_or_b64 exec, exec, s[36:37]
	s_and_saveexec_b64 s[28:29], s[26:27]
	s_cbranch_execz .LBB24_282
.LBB24_337:
	v_sub_u32_e32 v3, v49, v2
	v_lshlrev_b32_e32 v3, 3, v3
	ds_write_b64 v3, v[94:95]
	s_or_b64 exec, exec, s[28:29]
	s_and_saveexec_b64 s[26:27], s[24:25]
	s_cbranch_execz .LBB24_283
.LBB24_338:
	v_sub_u32_e32 v3, v48, v2
	v_lshlrev_b32_e32 v3, 3, v3
	ds_write_b64 v3, v[92:93]
	s_or_b64 exec, exec, s[26:27]
	s_and_saveexec_b64 s[24:25], s[22:23]
	s_cbranch_execz .LBB24_284
.LBB24_339:
	v_sub_u32_e32 v3, v47, v2
	v_lshlrev_b32_e32 v3, 3, v3
	ds_write_b64 v3, v[90:91]
	s_or_b64 exec, exec, s[24:25]
	s_and_saveexec_b64 s[22:23], s[20:21]
	s_cbranch_execz .LBB24_285
.LBB24_340:
	v_sub_u32_e32 v3, v46, v2
	v_lshlrev_b32_e32 v3, 3, v3
	ds_write_b64 v3, v[88:89]
	s_or_b64 exec, exec, s[22:23]
	s_and_saveexec_b64 s[20:21], s[18:19]
	s_cbranch_execz .LBB24_286
.LBB24_341:
	v_sub_u32_e32 v3, v45, v2
	v_lshlrev_b32_e32 v3, 3, v3
	ds_write_b64 v3, v[86:87]
	s_or_b64 exec, exec, s[20:21]
	s_and_saveexec_b64 s[18:19], s[16:17]
	s_cbranch_execz .LBB24_287
.LBB24_342:
	v_sub_u32_e32 v3, v44, v2
	v_lshlrev_b32_e32 v3, 3, v3
	ds_write_b64 v3, v[84:85]
	s_or_b64 exec, exec, s[18:19]
	s_and_saveexec_b64 s[16:17], s[14:15]
	s_cbranch_execz .LBB24_288
.LBB24_343:
	v_sub_u32_e32 v3, v43, v2
	v_lshlrev_b32_e32 v3, 3, v3
	ds_write_b64 v3, v[82:83]
	s_or_b64 exec, exec, s[16:17]
	s_and_saveexec_b64 s[14:15], s[12:13]
	s_cbranch_execz .LBB24_289
.LBB24_344:
	v_sub_u32_e32 v3, v42, v2
	v_lshlrev_b32_e32 v3, 3, v3
	ds_write_b64 v3, v[80:81]
	s_or_b64 exec, exec, s[14:15]
	s_and_saveexec_b64 s[12:13], s[10:11]
	s_cbranch_execz .LBB24_290
.LBB24_345:
	v_sub_u32_e32 v3, v41, v2
	v_lshlrev_b32_e32 v3, 3, v3
	ds_write_b64 v3, v[78:79]
	s_or_b64 exec, exec, s[12:13]
	s_and_saveexec_b64 s[10:11], s[8:9]
	s_cbranch_execz .LBB24_291
.LBB24_346:
	v_sub_u32_e32 v3, v40, v2
	v_lshlrev_b32_e32 v3, 3, v3
	ds_write_b64 v3, v[76:77]
	s_or_b64 exec, exec, s[10:11]
	s_and_saveexec_b64 s[8:9], s[6:7]
	s_cbranch_execz .LBB24_292
.LBB24_347:
	v_sub_u32_e32 v3, v39, v2
	v_lshlrev_b32_e32 v3, 3, v3
	ds_write_b64 v3, v[70:71]
	s_or_b64 exec, exec, s[8:9]
	s_and_saveexec_b64 s[6:7], s[4:5]
	s_cbranch_execz .LBB24_293
.LBB24_348:
	v_sub_u32_e32 v3, v38, v2
	v_lshlrev_b32_e32 v3, 3, v3
	ds_write_b64 v3, v[68:69]
	s_or_b64 exec, exec, s[6:7]
	s_and_saveexec_b64 s[4:5], s[2:3]
	s_cbranch_execnz .LBB24_294
	s_branch .LBB24_295
	.section	.rodata,"a",@progbits
	.p2align	6, 0x0
	.amdhsa_kernel _ZN7rocprim17ROCPRIM_400000_NS6detail17trampoline_kernelINS0_14default_configENS1_29reduce_by_key_config_selectorIddN6thrust23THRUST_200600_302600_NS4plusIdEEEEZZNS1_33reduce_by_key_impl_wrapped_configILNS1_25lookback_scan_determinismE0ES3_S9_NS6_6detail15normal_iteratorINS6_10device_ptrIdEEEESG_SG_SG_PmS8_NS6_8equal_toIdEEEE10hipError_tPvRmT2_T3_mT4_T5_T6_T7_T8_P12ihipStream_tbENKUlT_T0_E_clISt17integral_constantIbLb1EES11_EEDaSW_SX_EUlSW_E_NS1_11comp_targetILNS1_3genE4ELNS1_11target_archE910ELNS1_3gpuE8ELNS1_3repE0EEENS1_30default_config_static_selectorELNS0_4arch9wavefront6targetE1EEEvT1_
		.amdhsa_group_segment_fixed_size 30720
		.amdhsa_private_segment_fixed_size 0
		.amdhsa_kernarg_size 136
		.amdhsa_user_sgpr_count 6
		.amdhsa_user_sgpr_private_segment_buffer 1
		.amdhsa_user_sgpr_dispatch_ptr 0
		.amdhsa_user_sgpr_queue_ptr 0
		.amdhsa_user_sgpr_kernarg_segment_ptr 1
		.amdhsa_user_sgpr_dispatch_id 0
		.amdhsa_user_sgpr_flat_scratch_init 0
		.amdhsa_user_sgpr_kernarg_preload_length 0
		.amdhsa_user_sgpr_kernarg_preload_offset 0
		.amdhsa_user_sgpr_private_segment_size 0
		.amdhsa_uses_dynamic_stack 0
		.amdhsa_system_sgpr_private_segment_wavefront_offset 0
		.amdhsa_system_sgpr_workgroup_id_x 1
		.amdhsa_system_sgpr_workgroup_id_y 0
		.amdhsa_system_sgpr_workgroup_id_z 0
		.amdhsa_system_sgpr_workgroup_info 0
		.amdhsa_system_vgpr_workitem_id 0
		.amdhsa_next_free_vgpr 120
		.amdhsa_next_free_sgpr 66
		.amdhsa_accum_offset 120
		.amdhsa_reserve_vcc 1
		.amdhsa_reserve_flat_scratch 0
		.amdhsa_float_round_mode_32 0
		.amdhsa_float_round_mode_16_64 0
		.amdhsa_float_denorm_mode_32 3
		.amdhsa_float_denorm_mode_16_64 3
		.amdhsa_dx10_clamp 1
		.amdhsa_ieee_mode 1
		.amdhsa_fp16_overflow 0
		.amdhsa_tg_split 0
		.amdhsa_exception_fp_ieee_invalid_op 0
		.amdhsa_exception_fp_denorm_src 0
		.amdhsa_exception_fp_ieee_div_zero 0
		.amdhsa_exception_fp_ieee_overflow 0
		.amdhsa_exception_fp_ieee_underflow 0
		.amdhsa_exception_fp_ieee_inexact 0
		.amdhsa_exception_int_div_zero 0
	.end_amdhsa_kernel
	.section	.text._ZN7rocprim17ROCPRIM_400000_NS6detail17trampoline_kernelINS0_14default_configENS1_29reduce_by_key_config_selectorIddN6thrust23THRUST_200600_302600_NS4plusIdEEEEZZNS1_33reduce_by_key_impl_wrapped_configILNS1_25lookback_scan_determinismE0ES3_S9_NS6_6detail15normal_iteratorINS6_10device_ptrIdEEEESG_SG_SG_PmS8_NS6_8equal_toIdEEEE10hipError_tPvRmT2_T3_mT4_T5_T6_T7_T8_P12ihipStream_tbENKUlT_T0_E_clISt17integral_constantIbLb1EES11_EEDaSW_SX_EUlSW_E_NS1_11comp_targetILNS1_3genE4ELNS1_11target_archE910ELNS1_3gpuE8ELNS1_3repE0EEENS1_30default_config_static_selectorELNS0_4arch9wavefront6targetE1EEEvT1_,"axG",@progbits,_ZN7rocprim17ROCPRIM_400000_NS6detail17trampoline_kernelINS0_14default_configENS1_29reduce_by_key_config_selectorIddN6thrust23THRUST_200600_302600_NS4plusIdEEEEZZNS1_33reduce_by_key_impl_wrapped_configILNS1_25lookback_scan_determinismE0ES3_S9_NS6_6detail15normal_iteratorINS6_10device_ptrIdEEEESG_SG_SG_PmS8_NS6_8equal_toIdEEEE10hipError_tPvRmT2_T3_mT4_T5_T6_T7_T8_P12ihipStream_tbENKUlT_T0_E_clISt17integral_constantIbLb1EES11_EEDaSW_SX_EUlSW_E_NS1_11comp_targetILNS1_3genE4ELNS1_11target_archE910ELNS1_3gpuE8ELNS1_3repE0EEENS1_30default_config_static_selectorELNS0_4arch9wavefront6targetE1EEEvT1_,comdat
.Lfunc_end24:
	.size	_ZN7rocprim17ROCPRIM_400000_NS6detail17trampoline_kernelINS0_14default_configENS1_29reduce_by_key_config_selectorIddN6thrust23THRUST_200600_302600_NS4plusIdEEEEZZNS1_33reduce_by_key_impl_wrapped_configILNS1_25lookback_scan_determinismE0ES3_S9_NS6_6detail15normal_iteratorINS6_10device_ptrIdEEEESG_SG_SG_PmS8_NS6_8equal_toIdEEEE10hipError_tPvRmT2_T3_mT4_T5_T6_T7_T8_P12ihipStream_tbENKUlT_T0_E_clISt17integral_constantIbLb1EES11_EEDaSW_SX_EUlSW_E_NS1_11comp_targetILNS1_3genE4ELNS1_11target_archE910ELNS1_3gpuE8ELNS1_3repE0EEENS1_30default_config_static_selectorELNS0_4arch9wavefront6targetE1EEEvT1_, .Lfunc_end24-_ZN7rocprim17ROCPRIM_400000_NS6detail17trampoline_kernelINS0_14default_configENS1_29reduce_by_key_config_selectorIddN6thrust23THRUST_200600_302600_NS4plusIdEEEEZZNS1_33reduce_by_key_impl_wrapped_configILNS1_25lookback_scan_determinismE0ES3_S9_NS6_6detail15normal_iteratorINS6_10device_ptrIdEEEESG_SG_SG_PmS8_NS6_8equal_toIdEEEE10hipError_tPvRmT2_T3_mT4_T5_T6_T7_T8_P12ihipStream_tbENKUlT_T0_E_clISt17integral_constantIbLb1EES11_EEDaSW_SX_EUlSW_E_NS1_11comp_targetILNS1_3genE4ELNS1_11target_archE910ELNS1_3gpuE8ELNS1_3repE0EEENS1_30default_config_static_selectorELNS0_4arch9wavefront6targetE1EEEvT1_
                                        ; -- End function
	.section	.AMDGPU.csdata,"",@progbits
; Kernel info:
; codeLenInByte = 16584
; NumSgprs: 70
; NumVgprs: 120
; NumAgprs: 0
; TotalNumVgprs: 120
; ScratchSize: 0
; MemoryBound: 0
; FloatMode: 240
; IeeeMode: 1
; LDSByteSize: 30720 bytes/workgroup (compile time only)
; SGPRBlocks: 8
; VGPRBlocks: 14
; NumSGPRsForWavesPerEU: 70
; NumVGPRsForWavesPerEU: 120
; AccumOffset: 120
; Occupancy: 2
; WaveLimiterHint : 1
; COMPUTE_PGM_RSRC2:SCRATCH_EN: 0
; COMPUTE_PGM_RSRC2:USER_SGPR: 6
; COMPUTE_PGM_RSRC2:TRAP_HANDLER: 0
; COMPUTE_PGM_RSRC2:TGID_X_EN: 1
; COMPUTE_PGM_RSRC2:TGID_Y_EN: 0
; COMPUTE_PGM_RSRC2:TGID_Z_EN: 0
; COMPUTE_PGM_RSRC2:TIDIG_COMP_CNT: 0
; COMPUTE_PGM_RSRC3_GFX90A:ACCUM_OFFSET: 29
; COMPUTE_PGM_RSRC3_GFX90A:TG_SPLIT: 0
	.section	.text._ZN7rocprim17ROCPRIM_400000_NS6detail17trampoline_kernelINS0_14default_configENS1_29reduce_by_key_config_selectorIddN6thrust23THRUST_200600_302600_NS4plusIdEEEEZZNS1_33reduce_by_key_impl_wrapped_configILNS1_25lookback_scan_determinismE0ES3_S9_NS6_6detail15normal_iteratorINS6_10device_ptrIdEEEESG_SG_SG_PmS8_NS6_8equal_toIdEEEE10hipError_tPvRmT2_T3_mT4_T5_T6_T7_T8_P12ihipStream_tbENKUlT_T0_E_clISt17integral_constantIbLb1EES11_EEDaSW_SX_EUlSW_E_NS1_11comp_targetILNS1_3genE3ELNS1_11target_archE908ELNS1_3gpuE7ELNS1_3repE0EEENS1_30default_config_static_selectorELNS0_4arch9wavefront6targetE1EEEvT1_,"axG",@progbits,_ZN7rocprim17ROCPRIM_400000_NS6detail17trampoline_kernelINS0_14default_configENS1_29reduce_by_key_config_selectorIddN6thrust23THRUST_200600_302600_NS4plusIdEEEEZZNS1_33reduce_by_key_impl_wrapped_configILNS1_25lookback_scan_determinismE0ES3_S9_NS6_6detail15normal_iteratorINS6_10device_ptrIdEEEESG_SG_SG_PmS8_NS6_8equal_toIdEEEE10hipError_tPvRmT2_T3_mT4_T5_T6_T7_T8_P12ihipStream_tbENKUlT_T0_E_clISt17integral_constantIbLb1EES11_EEDaSW_SX_EUlSW_E_NS1_11comp_targetILNS1_3genE3ELNS1_11target_archE908ELNS1_3gpuE7ELNS1_3repE0EEENS1_30default_config_static_selectorELNS0_4arch9wavefront6targetE1EEEvT1_,comdat
	.protected	_ZN7rocprim17ROCPRIM_400000_NS6detail17trampoline_kernelINS0_14default_configENS1_29reduce_by_key_config_selectorIddN6thrust23THRUST_200600_302600_NS4plusIdEEEEZZNS1_33reduce_by_key_impl_wrapped_configILNS1_25lookback_scan_determinismE0ES3_S9_NS6_6detail15normal_iteratorINS6_10device_ptrIdEEEESG_SG_SG_PmS8_NS6_8equal_toIdEEEE10hipError_tPvRmT2_T3_mT4_T5_T6_T7_T8_P12ihipStream_tbENKUlT_T0_E_clISt17integral_constantIbLb1EES11_EEDaSW_SX_EUlSW_E_NS1_11comp_targetILNS1_3genE3ELNS1_11target_archE908ELNS1_3gpuE7ELNS1_3repE0EEENS1_30default_config_static_selectorELNS0_4arch9wavefront6targetE1EEEvT1_ ; -- Begin function _ZN7rocprim17ROCPRIM_400000_NS6detail17trampoline_kernelINS0_14default_configENS1_29reduce_by_key_config_selectorIddN6thrust23THRUST_200600_302600_NS4plusIdEEEEZZNS1_33reduce_by_key_impl_wrapped_configILNS1_25lookback_scan_determinismE0ES3_S9_NS6_6detail15normal_iteratorINS6_10device_ptrIdEEEESG_SG_SG_PmS8_NS6_8equal_toIdEEEE10hipError_tPvRmT2_T3_mT4_T5_T6_T7_T8_P12ihipStream_tbENKUlT_T0_E_clISt17integral_constantIbLb1EES11_EEDaSW_SX_EUlSW_E_NS1_11comp_targetILNS1_3genE3ELNS1_11target_archE908ELNS1_3gpuE7ELNS1_3repE0EEENS1_30default_config_static_selectorELNS0_4arch9wavefront6targetE1EEEvT1_
	.globl	_ZN7rocprim17ROCPRIM_400000_NS6detail17trampoline_kernelINS0_14default_configENS1_29reduce_by_key_config_selectorIddN6thrust23THRUST_200600_302600_NS4plusIdEEEEZZNS1_33reduce_by_key_impl_wrapped_configILNS1_25lookback_scan_determinismE0ES3_S9_NS6_6detail15normal_iteratorINS6_10device_ptrIdEEEESG_SG_SG_PmS8_NS6_8equal_toIdEEEE10hipError_tPvRmT2_T3_mT4_T5_T6_T7_T8_P12ihipStream_tbENKUlT_T0_E_clISt17integral_constantIbLb1EES11_EEDaSW_SX_EUlSW_E_NS1_11comp_targetILNS1_3genE3ELNS1_11target_archE908ELNS1_3gpuE7ELNS1_3repE0EEENS1_30default_config_static_selectorELNS0_4arch9wavefront6targetE1EEEvT1_
	.p2align	8
	.type	_ZN7rocprim17ROCPRIM_400000_NS6detail17trampoline_kernelINS0_14default_configENS1_29reduce_by_key_config_selectorIddN6thrust23THRUST_200600_302600_NS4plusIdEEEEZZNS1_33reduce_by_key_impl_wrapped_configILNS1_25lookback_scan_determinismE0ES3_S9_NS6_6detail15normal_iteratorINS6_10device_ptrIdEEEESG_SG_SG_PmS8_NS6_8equal_toIdEEEE10hipError_tPvRmT2_T3_mT4_T5_T6_T7_T8_P12ihipStream_tbENKUlT_T0_E_clISt17integral_constantIbLb1EES11_EEDaSW_SX_EUlSW_E_NS1_11comp_targetILNS1_3genE3ELNS1_11target_archE908ELNS1_3gpuE7ELNS1_3repE0EEENS1_30default_config_static_selectorELNS0_4arch9wavefront6targetE1EEEvT1_,@function
_ZN7rocprim17ROCPRIM_400000_NS6detail17trampoline_kernelINS0_14default_configENS1_29reduce_by_key_config_selectorIddN6thrust23THRUST_200600_302600_NS4plusIdEEEEZZNS1_33reduce_by_key_impl_wrapped_configILNS1_25lookback_scan_determinismE0ES3_S9_NS6_6detail15normal_iteratorINS6_10device_ptrIdEEEESG_SG_SG_PmS8_NS6_8equal_toIdEEEE10hipError_tPvRmT2_T3_mT4_T5_T6_T7_T8_P12ihipStream_tbENKUlT_T0_E_clISt17integral_constantIbLb1EES11_EEDaSW_SX_EUlSW_E_NS1_11comp_targetILNS1_3genE3ELNS1_11target_archE908ELNS1_3gpuE7ELNS1_3repE0EEENS1_30default_config_static_selectorELNS0_4arch9wavefront6targetE1EEEvT1_: ; @_ZN7rocprim17ROCPRIM_400000_NS6detail17trampoline_kernelINS0_14default_configENS1_29reduce_by_key_config_selectorIddN6thrust23THRUST_200600_302600_NS4plusIdEEEEZZNS1_33reduce_by_key_impl_wrapped_configILNS1_25lookback_scan_determinismE0ES3_S9_NS6_6detail15normal_iteratorINS6_10device_ptrIdEEEESG_SG_SG_PmS8_NS6_8equal_toIdEEEE10hipError_tPvRmT2_T3_mT4_T5_T6_T7_T8_P12ihipStream_tbENKUlT_T0_E_clISt17integral_constantIbLb1EES11_EEDaSW_SX_EUlSW_E_NS1_11comp_targetILNS1_3genE3ELNS1_11target_archE908ELNS1_3gpuE7ELNS1_3repE0EEENS1_30default_config_static_selectorELNS0_4arch9wavefront6targetE1EEEvT1_
; %bb.0:
	.section	.rodata,"a",@progbits
	.p2align	6, 0x0
	.amdhsa_kernel _ZN7rocprim17ROCPRIM_400000_NS6detail17trampoline_kernelINS0_14default_configENS1_29reduce_by_key_config_selectorIddN6thrust23THRUST_200600_302600_NS4plusIdEEEEZZNS1_33reduce_by_key_impl_wrapped_configILNS1_25lookback_scan_determinismE0ES3_S9_NS6_6detail15normal_iteratorINS6_10device_ptrIdEEEESG_SG_SG_PmS8_NS6_8equal_toIdEEEE10hipError_tPvRmT2_T3_mT4_T5_T6_T7_T8_P12ihipStream_tbENKUlT_T0_E_clISt17integral_constantIbLb1EES11_EEDaSW_SX_EUlSW_E_NS1_11comp_targetILNS1_3genE3ELNS1_11target_archE908ELNS1_3gpuE7ELNS1_3repE0EEENS1_30default_config_static_selectorELNS0_4arch9wavefront6targetE1EEEvT1_
		.amdhsa_group_segment_fixed_size 0
		.amdhsa_private_segment_fixed_size 0
		.amdhsa_kernarg_size 136
		.amdhsa_user_sgpr_count 6
		.amdhsa_user_sgpr_private_segment_buffer 1
		.amdhsa_user_sgpr_dispatch_ptr 0
		.amdhsa_user_sgpr_queue_ptr 0
		.amdhsa_user_sgpr_kernarg_segment_ptr 1
		.amdhsa_user_sgpr_dispatch_id 0
		.amdhsa_user_sgpr_flat_scratch_init 0
		.amdhsa_user_sgpr_kernarg_preload_length 0
		.amdhsa_user_sgpr_kernarg_preload_offset 0
		.amdhsa_user_sgpr_private_segment_size 0
		.amdhsa_uses_dynamic_stack 0
		.amdhsa_system_sgpr_private_segment_wavefront_offset 0
		.amdhsa_system_sgpr_workgroup_id_x 1
		.amdhsa_system_sgpr_workgroup_id_y 0
		.amdhsa_system_sgpr_workgroup_id_z 0
		.amdhsa_system_sgpr_workgroup_info 0
		.amdhsa_system_vgpr_workitem_id 0
		.amdhsa_next_free_vgpr 1
		.amdhsa_next_free_sgpr 0
		.amdhsa_accum_offset 4
		.amdhsa_reserve_vcc 0
		.amdhsa_reserve_flat_scratch 0
		.amdhsa_float_round_mode_32 0
		.amdhsa_float_round_mode_16_64 0
		.amdhsa_float_denorm_mode_32 3
		.amdhsa_float_denorm_mode_16_64 3
		.amdhsa_dx10_clamp 1
		.amdhsa_ieee_mode 1
		.amdhsa_fp16_overflow 0
		.amdhsa_tg_split 0
		.amdhsa_exception_fp_ieee_invalid_op 0
		.amdhsa_exception_fp_denorm_src 0
		.amdhsa_exception_fp_ieee_div_zero 0
		.amdhsa_exception_fp_ieee_overflow 0
		.amdhsa_exception_fp_ieee_underflow 0
		.amdhsa_exception_fp_ieee_inexact 0
		.amdhsa_exception_int_div_zero 0
	.end_amdhsa_kernel
	.section	.text._ZN7rocprim17ROCPRIM_400000_NS6detail17trampoline_kernelINS0_14default_configENS1_29reduce_by_key_config_selectorIddN6thrust23THRUST_200600_302600_NS4plusIdEEEEZZNS1_33reduce_by_key_impl_wrapped_configILNS1_25lookback_scan_determinismE0ES3_S9_NS6_6detail15normal_iteratorINS6_10device_ptrIdEEEESG_SG_SG_PmS8_NS6_8equal_toIdEEEE10hipError_tPvRmT2_T3_mT4_T5_T6_T7_T8_P12ihipStream_tbENKUlT_T0_E_clISt17integral_constantIbLb1EES11_EEDaSW_SX_EUlSW_E_NS1_11comp_targetILNS1_3genE3ELNS1_11target_archE908ELNS1_3gpuE7ELNS1_3repE0EEENS1_30default_config_static_selectorELNS0_4arch9wavefront6targetE1EEEvT1_,"axG",@progbits,_ZN7rocprim17ROCPRIM_400000_NS6detail17trampoline_kernelINS0_14default_configENS1_29reduce_by_key_config_selectorIddN6thrust23THRUST_200600_302600_NS4plusIdEEEEZZNS1_33reduce_by_key_impl_wrapped_configILNS1_25lookback_scan_determinismE0ES3_S9_NS6_6detail15normal_iteratorINS6_10device_ptrIdEEEESG_SG_SG_PmS8_NS6_8equal_toIdEEEE10hipError_tPvRmT2_T3_mT4_T5_T6_T7_T8_P12ihipStream_tbENKUlT_T0_E_clISt17integral_constantIbLb1EES11_EEDaSW_SX_EUlSW_E_NS1_11comp_targetILNS1_3genE3ELNS1_11target_archE908ELNS1_3gpuE7ELNS1_3repE0EEENS1_30default_config_static_selectorELNS0_4arch9wavefront6targetE1EEEvT1_,comdat
.Lfunc_end25:
	.size	_ZN7rocprim17ROCPRIM_400000_NS6detail17trampoline_kernelINS0_14default_configENS1_29reduce_by_key_config_selectorIddN6thrust23THRUST_200600_302600_NS4plusIdEEEEZZNS1_33reduce_by_key_impl_wrapped_configILNS1_25lookback_scan_determinismE0ES3_S9_NS6_6detail15normal_iteratorINS6_10device_ptrIdEEEESG_SG_SG_PmS8_NS6_8equal_toIdEEEE10hipError_tPvRmT2_T3_mT4_T5_T6_T7_T8_P12ihipStream_tbENKUlT_T0_E_clISt17integral_constantIbLb1EES11_EEDaSW_SX_EUlSW_E_NS1_11comp_targetILNS1_3genE3ELNS1_11target_archE908ELNS1_3gpuE7ELNS1_3repE0EEENS1_30default_config_static_selectorELNS0_4arch9wavefront6targetE1EEEvT1_, .Lfunc_end25-_ZN7rocprim17ROCPRIM_400000_NS6detail17trampoline_kernelINS0_14default_configENS1_29reduce_by_key_config_selectorIddN6thrust23THRUST_200600_302600_NS4plusIdEEEEZZNS1_33reduce_by_key_impl_wrapped_configILNS1_25lookback_scan_determinismE0ES3_S9_NS6_6detail15normal_iteratorINS6_10device_ptrIdEEEESG_SG_SG_PmS8_NS6_8equal_toIdEEEE10hipError_tPvRmT2_T3_mT4_T5_T6_T7_T8_P12ihipStream_tbENKUlT_T0_E_clISt17integral_constantIbLb1EES11_EEDaSW_SX_EUlSW_E_NS1_11comp_targetILNS1_3genE3ELNS1_11target_archE908ELNS1_3gpuE7ELNS1_3repE0EEENS1_30default_config_static_selectorELNS0_4arch9wavefront6targetE1EEEvT1_
                                        ; -- End function
	.section	.AMDGPU.csdata,"",@progbits
; Kernel info:
; codeLenInByte = 0
; NumSgprs: 4
; NumVgprs: 0
; NumAgprs: 0
; TotalNumVgprs: 0
; ScratchSize: 0
; MemoryBound: 0
; FloatMode: 240
; IeeeMode: 1
; LDSByteSize: 0 bytes/workgroup (compile time only)
; SGPRBlocks: 0
; VGPRBlocks: 0
; NumSGPRsForWavesPerEU: 4
; NumVGPRsForWavesPerEU: 1
; AccumOffset: 4
; Occupancy: 8
; WaveLimiterHint : 0
; COMPUTE_PGM_RSRC2:SCRATCH_EN: 0
; COMPUTE_PGM_RSRC2:USER_SGPR: 6
; COMPUTE_PGM_RSRC2:TRAP_HANDLER: 0
; COMPUTE_PGM_RSRC2:TGID_X_EN: 1
; COMPUTE_PGM_RSRC2:TGID_Y_EN: 0
; COMPUTE_PGM_RSRC2:TGID_Z_EN: 0
; COMPUTE_PGM_RSRC2:TIDIG_COMP_CNT: 0
; COMPUTE_PGM_RSRC3_GFX90A:ACCUM_OFFSET: 0
; COMPUTE_PGM_RSRC3_GFX90A:TG_SPLIT: 0
	.section	.text._ZN7rocprim17ROCPRIM_400000_NS6detail17trampoline_kernelINS0_14default_configENS1_29reduce_by_key_config_selectorIddN6thrust23THRUST_200600_302600_NS4plusIdEEEEZZNS1_33reduce_by_key_impl_wrapped_configILNS1_25lookback_scan_determinismE0ES3_S9_NS6_6detail15normal_iteratorINS6_10device_ptrIdEEEESG_SG_SG_PmS8_NS6_8equal_toIdEEEE10hipError_tPvRmT2_T3_mT4_T5_T6_T7_T8_P12ihipStream_tbENKUlT_T0_E_clISt17integral_constantIbLb1EES11_EEDaSW_SX_EUlSW_E_NS1_11comp_targetILNS1_3genE2ELNS1_11target_archE906ELNS1_3gpuE6ELNS1_3repE0EEENS1_30default_config_static_selectorELNS0_4arch9wavefront6targetE1EEEvT1_,"axG",@progbits,_ZN7rocprim17ROCPRIM_400000_NS6detail17trampoline_kernelINS0_14default_configENS1_29reduce_by_key_config_selectorIddN6thrust23THRUST_200600_302600_NS4plusIdEEEEZZNS1_33reduce_by_key_impl_wrapped_configILNS1_25lookback_scan_determinismE0ES3_S9_NS6_6detail15normal_iteratorINS6_10device_ptrIdEEEESG_SG_SG_PmS8_NS6_8equal_toIdEEEE10hipError_tPvRmT2_T3_mT4_T5_T6_T7_T8_P12ihipStream_tbENKUlT_T0_E_clISt17integral_constantIbLb1EES11_EEDaSW_SX_EUlSW_E_NS1_11comp_targetILNS1_3genE2ELNS1_11target_archE906ELNS1_3gpuE6ELNS1_3repE0EEENS1_30default_config_static_selectorELNS0_4arch9wavefront6targetE1EEEvT1_,comdat
	.protected	_ZN7rocprim17ROCPRIM_400000_NS6detail17trampoline_kernelINS0_14default_configENS1_29reduce_by_key_config_selectorIddN6thrust23THRUST_200600_302600_NS4plusIdEEEEZZNS1_33reduce_by_key_impl_wrapped_configILNS1_25lookback_scan_determinismE0ES3_S9_NS6_6detail15normal_iteratorINS6_10device_ptrIdEEEESG_SG_SG_PmS8_NS6_8equal_toIdEEEE10hipError_tPvRmT2_T3_mT4_T5_T6_T7_T8_P12ihipStream_tbENKUlT_T0_E_clISt17integral_constantIbLb1EES11_EEDaSW_SX_EUlSW_E_NS1_11comp_targetILNS1_3genE2ELNS1_11target_archE906ELNS1_3gpuE6ELNS1_3repE0EEENS1_30default_config_static_selectorELNS0_4arch9wavefront6targetE1EEEvT1_ ; -- Begin function _ZN7rocprim17ROCPRIM_400000_NS6detail17trampoline_kernelINS0_14default_configENS1_29reduce_by_key_config_selectorIddN6thrust23THRUST_200600_302600_NS4plusIdEEEEZZNS1_33reduce_by_key_impl_wrapped_configILNS1_25lookback_scan_determinismE0ES3_S9_NS6_6detail15normal_iteratorINS6_10device_ptrIdEEEESG_SG_SG_PmS8_NS6_8equal_toIdEEEE10hipError_tPvRmT2_T3_mT4_T5_T6_T7_T8_P12ihipStream_tbENKUlT_T0_E_clISt17integral_constantIbLb1EES11_EEDaSW_SX_EUlSW_E_NS1_11comp_targetILNS1_3genE2ELNS1_11target_archE906ELNS1_3gpuE6ELNS1_3repE0EEENS1_30default_config_static_selectorELNS0_4arch9wavefront6targetE1EEEvT1_
	.globl	_ZN7rocprim17ROCPRIM_400000_NS6detail17trampoline_kernelINS0_14default_configENS1_29reduce_by_key_config_selectorIddN6thrust23THRUST_200600_302600_NS4plusIdEEEEZZNS1_33reduce_by_key_impl_wrapped_configILNS1_25lookback_scan_determinismE0ES3_S9_NS6_6detail15normal_iteratorINS6_10device_ptrIdEEEESG_SG_SG_PmS8_NS6_8equal_toIdEEEE10hipError_tPvRmT2_T3_mT4_T5_T6_T7_T8_P12ihipStream_tbENKUlT_T0_E_clISt17integral_constantIbLb1EES11_EEDaSW_SX_EUlSW_E_NS1_11comp_targetILNS1_3genE2ELNS1_11target_archE906ELNS1_3gpuE6ELNS1_3repE0EEENS1_30default_config_static_selectorELNS0_4arch9wavefront6targetE1EEEvT1_
	.p2align	8
	.type	_ZN7rocprim17ROCPRIM_400000_NS6detail17trampoline_kernelINS0_14default_configENS1_29reduce_by_key_config_selectorIddN6thrust23THRUST_200600_302600_NS4plusIdEEEEZZNS1_33reduce_by_key_impl_wrapped_configILNS1_25lookback_scan_determinismE0ES3_S9_NS6_6detail15normal_iteratorINS6_10device_ptrIdEEEESG_SG_SG_PmS8_NS6_8equal_toIdEEEE10hipError_tPvRmT2_T3_mT4_T5_T6_T7_T8_P12ihipStream_tbENKUlT_T0_E_clISt17integral_constantIbLb1EES11_EEDaSW_SX_EUlSW_E_NS1_11comp_targetILNS1_3genE2ELNS1_11target_archE906ELNS1_3gpuE6ELNS1_3repE0EEENS1_30default_config_static_selectorELNS0_4arch9wavefront6targetE1EEEvT1_,@function
_ZN7rocprim17ROCPRIM_400000_NS6detail17trampoline_kernelINS0_14default_configENS1_29reduce_by_key_config_selectorIddN6thrust23THRUST_200600_302600_NS4plusIdEEEEZZNS1_33reduce_by_key_impl_wrapped_configILNS1_25lookback_scan_determinismE0ES3_S9_NS6_6detail15normal_iteratorINS6_10device_ptrIdEEEESG_SG_SG_PmS8_NS6_8equal_toIdEEEE10hipError_tPvRmT2_T3_mT4_T5_T6_T7_T8_P12ihipStream_tbENKUlT_T0_E_clISt17integral_constantIbLb1EES11_EEDaSW_SX_EUlSW_E_NS1_11comp_targetILNS1_3genE2ELNS1_11target_archE906ELNS1_3gpuE6ELNS1_3repE0EEENS1_30default_config_static_selectorELNS0_4arch9wavefront6targetE1EEEvT1_: ; @_ZN7rocprim17ROCPRIM_400000_NS6detail17trampoline_kernelINS0_14default_configENS1_29reduce_by_key_config_selectorIddN6thrust23THRUST_200600_302600_NS4plusIdEEEEZZNS1_33reduce_by_key_impl_wrapped_configILNS1_25lookback_scan_determinismE0ES3_S9_NS6_6detail15normal_iteratorINS6_10device_ptrIdEEEESG_SG_SG_PmS8_NS6_8equal_toIdEEEE10hipError_tPvRmT2_T3_mT4_T5_T6_T7_T8_P12ihipStream_tbENKUlT_T0_E_clISt17integral_constantIbLb1EES11_EEDaSW_SX_EUlSW_E_NS1_11comp_targetILNS1_3genE2ELNS1_11target_archE906ELNS1_3gpuE6ELNS1_3repE0EEENS1_30default_config_static_selectorELNS0_4arch9wavefront6targetE1EEEvT1_
; %bb.0:
	.section	.rodata,"a",@progbits
	.p2align	6, 0x0
	.amdhsa_kernel _ZN7rocprim17ROCPRIM_400000_NS6detail17trampoline_kernelINS0_14default_configENS1_29reduce_by_key_config_selectorIddN6thrust23THRUST_200600_302600_NS4plusIdEEEEZZNS1_33reduce_by_key_impl_wrapped_configILNS1_25lookback_scan_determinismE0ES3_S9_NS6_6detail15normal_iteratorINS6_10device_ptrIdEEEESG_SG_SG_PmS8_NS6_8equal_toIdEEEE10hipError_tPvRmT2_T3_mT4_T5_T6_T7_T8_P12ihipStream_tbENKUlT_T0_E_clISt17integral_constantIbLb1EES11_EEDaSW_SX_EUlSW_E_NS1_11comp_targetILNS1_3genE2ELNS1_11target_archE906ELNS1_3gpuE6ELNS1_3repE0EEENS1_30default_config_static_selectorELNS0_4arch9wavefront6targetE1EEEvT1_
		.amdhsa_group_segment_fixed_size 0
		.amdhsa_private_segment_fixed_size 0
		.amdhsa_kernarg_size 136
		.amdhsa_user_sgpr_count 6
		.amdhsa_user_sgpr_private_segment_buffer 1
		.amdhsa_user_sgpr_dispatch_ptr 0
		.amdhsa_user_sgpr_queue_ptr 0
		.amdhsa_user_sgpr_kernarg_segment_ptr 1
		.amdhsa_user_sgpr_dispatch_id 0
		.amdhsa_user_sgpr_flat_scratch_init 0
		.amdhsa_user_sgpr_kernarg_preload_length 0
		.amdhsa_user_sgpr_kernarg_preload_offset 0
		.amdhsa_user_sgpr_private_segment_size 0
		.amdhsa_uses_dynamic_stack 0
		.amdhsa_system_sgpr_private_segment_wavefront_offset 0
		.amdhsa_system_sgpr_workgroup_id_x 1
		.amdhsa_system_sgpr_workgroup_id_y 0
		.amdhsa_system_sgpr_workgroup_id_z 0
		.amdhsa_system_sgpr_workgroup_info 0
		.amdhsa_system_vgpr_workitem_id 0
		.amdhsa_next_free_vgpr 1
		.amdhsa_next_free_sgpr 0
		.amdhsa_accum_offset 4
		.amdhsa_reserve_vcc 0
		.amdhsa_reserve_flat_scratch 0
		.amdhsa_float_round_mode_32 0
		.amdhsa_float_round_mode_16_64 0
		.amdhsa_float_denorm_mode_32 3
		.amdhsa_float_denorm_mode_16_64 3
		.amdhsa_dx10_clamp 1
		.amdhsa_ieee_mode 1
		.amdhsa_fp16_overflow 0
		.amdhsa_tg_split 0
		.amdhsa_exception_fp_ieee_invalid_op 0
		.amdhsa_exception_fp_denorm_src 0
		.amdhsa_exception_fp_ieee_div_zero 0
		.amdhsa_exception_fp_ieee_overflow 0
		.amdhsa_exception_fp_ieee_underflow 0
		.amdhsa_exception_fp_ieee_inexact 0
		.amdhsa_exception_int_div_zero 0
	.end_amdhsa_kernel
	.section	.text._ZN7rocprim17ROCPRIM_400000_NS6detail17trampoline_kernelINS0_14default_configENS1_29reduce_by_key_config_selectorIddN6thrust23THRUST_200600_302600_NS4plusIdEEEEZZNS1_33reduce_by_key_impl_wrapped_configILNS1_25lookback_scan_determinismE0ES3_S9_NS6_6detail15normal_iteratorINS6_10device_ptrIdEEEESG_SG_SG_PmS8_NS6_8equal_toIdEEEE10hipError_tPvRmT2_T3_mT4_T5_T6_T7_T8_P12ihipStream_tbENKUlT_T0_E_clISt17integral_constantIbLb1EES11_EEDaSW_SX_EUlSW_E_NS1_11comp_targetILNS1_3genE2ELNS1_11target_archE906ELNS1_3gpuE6ELNS1_3repE0EEENS1_30default_config_static_selectorELNS0_4arch9wavefront6targetE1EEEvT1_,"axG",@progbits,_ZN7rocprim17ROCPRIM_400000_NS6detail17trampoline_kernelINS0_14default_configENS1_29reduce_by_key_config_selectorIddN6thrust23THRUST_200600_302600_NS4plusIdEEEEZZNS1_33reduce_by_key_impl_wrapped_configILNS1_25lookback_scan_determinismE0ES3_S9_NS6_6detail15normal_iteratorINS6_10device_ptrIdEEEESG_SG_SG_PmS8_NS6_8equal_toIdEEEE10hipError_tPvRmT2_T3_mT4_T5_T6_T7_T8_P12ihipStream_tbENKUlT_T0_E_clISt17integral_constantIbLb1EES11_EEDaSW_SX_EUlSW_E_NS1_11comp_targetILNS1_3genE2ELNS1_11target_archE906ELNS1_3gpuE6ELNS1_3repE0EEENS1_30default_config_static_selectorELNS0_4arch9wavefront6targetE1EEEvT1_,comdat
.Lfunc_end26:
	.size	_ZN7rocprim17ROCPRIM_400000_NS6detail17trampoline_kernelINS0_14default_configENS1_29reduce_by_key_config_selectorIddN6thrust23THRUST_200600_302600_NS4plusIdEEEEZZNS1_33reduce_by_key_impl_wrapped_configILNS1_25lookback_scan_determinismE0ES3_S9_NS6_6detail15normal_iteratorINS6_10device_ptrIdEEEESG_SG_SG_PmS8_NS6_8equal_toIdEEEE10hipError_tPvRmT2_T3_mT4_T5_T6_T7_T8_P12ihipStream_tbENKUlT_T0_E_clISt17integral_constantIbLb1EES11_EEDaSW_SX_EUlSW_E_NS1_11comp_targetILNS1_3genE2ELNS1_11target_archE906ELNS1_3gpuE6ELNS1_3repE0EEENS1_30default_config_static_selectorELNS0_4arch9wavefront6targetE1EEEvT1_, .Lfunc_end26-_ZN7rocprim17ROCPRIM_400000_NS6detail17trampoline_kernelINS0_14default_configENS1_29reduce_by_key_config_selectorIddN6thrust23THRUST_200600_302600_NS4plusIdEEEEZZNS1_33reduce_by_key_impl_wrapped_configILNS1_25lookback_scan_determinismE0ES3_S9_NS6_6detail15normal_iteratorINS6_10device_ptrIdEEEESG_SG_SG_PmS8_NS6_8equal_toIdEEEE10hipError_tPvRmT2_T3_mT4_T5_T6_T7_T8_P12ihipStream_tbENKUlT_T0_E_clISt17integral_constantIbLb1EES11_EEDaSW_SX_EUlSW_E_NS1_11comp_targetILNS1_3genE2ELNS1_11target_archE906ELNS1_3gpuE6ELNS1_3repE0EEENS1_30default_config_static_selectorELNS0_4arch9wavefront6targetE1EEEvT1_
                                        ; -- End function
	.section	.AMDGPU.csdata,"",@progbits
; Kernel info:
; codeLenInByte = 0
; NumSgprs: 4
; NumVgprs: 0
; NumAgprs: 0
; TotalNumVgprs: 0
; ScratchSize: 0
; MemoryBound: 0
; FloatMode: 240
; IeeeMode: 1
; LDSByteSize: 0 bytes/workgroup (compile time only)
; SGPRBlocks: 0
; VGPRBlocks: 0
; NumSGPRsForWavesPerEU: 4
; NumVGPRsForWavesPerEU: 1
; AccumOffset: 4
; Occupancy: 8
; WaveLimiterHint : 0
; COMPUTE_PGM_RSRC2:SCRATCH_EN: 0
; COMPUTE_PGM_RSRC2:USER_SGPR: 6
; COMPUTE_PGM_RSRC2:TRAP_HANDLER: 0
; COMPUTE_PGM_RSRC2:TGID_X_EN: 1
; COMPUTE_PGM_RSRC2:TGID_Y_EN: 0
; COMPUTE_PGM_RSRC2:TGID_Z_EN: 0
; COMPUTE_PGM_RSRC2:TIDIG_COMP_CNT: 0
; COMPUTE_PGM_RSRC3_GFX90A:ACCUM_OFFSET: 0
; COMPUTE_PGM_RSRC3_GFX90A:TG_SPLIT: 0
	.section	.text._ZN7rocprim17ROCPRIM_400000_NS6detail17trampoline_kernelINS0_14default_configENS1_29reduce_by_key_config_selectorIddN6thrust23THRUST_200600_302600_NS4plusIdEEEEZZNS1_33reduce_by_key_impl_wrapped_configILNS1_25lookback_scan_determinismE0ES3_S9_NS6_6detail15normal_iteratorINS6_10device_ptrIdEEEESG_SG_SG_PmS8_NS6_8equal_toIdEEEE10hipError_tPvRmT2_T3_mT4_T5_T6_T7_T8_P12ihipStream_tbENKUlT_T0_E_clISt17integral_constantIbLb1EES11_EEDaSW_SX_EUlSW_E_NS1_11comp_targetILNS1_3genE10ELNS1_11target_archE1201ELNS1_3gpuE5ELNS1_3repE0EEENS1_30default_config_static_selectorELNS0_4arch9wavefront6targetE1EEEvT1_,"axG",@progbits,_ZN7rocprim17ROCPRIM_400000_NS6detail17trampoline_kernelINS0_14default_configENS1_29reduce_by_key_config_selectorIddN6thrust23THRUST_200600_302600_NS4plusIdEEEEZZNS1_33reduce_by_key_impl_wrapped_configILNS1_25lookback_scan_determinismE0ES3_S9_NS6_6detail15normal_iteratorINS6_10device_ptrIdEEEESG_SG_SG_PmS8_NS6_8equal_toIdEEEE10hipError_tPvRmT2_T3_mT4_T5_T6_T7_T8_P12ihipStream_tbENKUlT_T0_E_clISt17integral_constantIbLb1EES11_EEDaSW_SX_EUlSW_E_NS1_11comp_targetILNS1_3genE10ELNS1_11target_archE1201ELNS1_3gpuE5ELNS1_3repE0EEENS1_30default_config_static_selectorELNS0_4arch9wavefront6targetE1EEEvT1_,comdat
	.protected	_ZN7rocprim17ROCPRIM_400000_NS6detail17trampoline_kernelINS0_14default_configENS1_29reduce_by_key_config_selectorIddN6thrust23THRUST_200600_302600_NS4plusIdEEEEZZNS1_33reduce_by_key_impl_wrapped_configILNS1_25lookback_scan_determinismE0ES3_S9_NS6_6detail15normal_iteratorINS6_10device_ptrIdEEEESG_SG_SG_PmS8_NS6_8equal_toIdEEEE10hipError_tPvRmT2_T3_mT4_T5_T6_T7_T8_P12ihipStream_tbENKUlT_T0_E_clISt17integral_constantIbLb1EES11_EEDaSW_SX_EUlSW_E_NS1_11comp_targetILNS1_3genE10ELNS1_11target_archE1201ELNS1_3gpuE5ELNS1_3repE0EEENS1_30default_config_static_selectorELNS0_4arch9wavefront6targetE1EEEvT1_ ; -- Begin function _ZN7rocprim17ROCPRIM_400000_NS6detail17trampoline_kernelINS0_14default_configENS1_29reduce_by_key_config_selectorIddN6thrust23THRUST_200600_302600_NS4plusIdEEEEZZNS1_33reduce_by_key_impl_wrapped_configILNS1_25lookback_scan_determinismE0ES3_S9_NS6_6detail15normal_iteratorINS6_10device_ptrIdEEEESG_SG_SG_PmS8_NS6_8equal_toIdEEEE10hipError_tPvRmT2_T3_mT4_T5_T6_T7_T8_P12ihipStream_tbENKUlT_T0_E_clISt17integral_constantIbLb1EES11_EEDaSW_SX_EUlSW_E_NS1_11comp_targetILNS1_3genE10ELNS1_11target_archE1201ELNS1_3gpuE5ELNS1_3repE0EEENS1_30default_config_static_selectorELNS0_4arch9wavefront6targetE1EEEvT1_
	.globl	_ZN7rocprim17ROCPRIM_400000_NS6detail17trampoline_kernelINS0_14default_configENS1_29reduce_by_key_config_selectorIddN6thrust23THRUST_200600_302600_NS4plusIdEEEEZZNS1_33reduce_by_key_impl_wrapped_configILNS1_25lookback_scan_determinismE0ES3_S9_NS6_6detail15normal_iteratorINS6_10device_ptrIdEEEESG_SG_SG_PmS8_NS6_8equal_toIdEEEE10hipError_tPvRmT2_T3_mT4_T5_T6_T7_T8_P12ihipStream_tbENKUlT_T0_E_clISt17integral_constantIbLb1EES11_EEDaSW_SX_EUlSW_E_NS1_11comp_targetILNS1_3genE10ELNS1_11target_archE1201ELNS1_3gpuE5ELNS1_3repE0EEENS1_30default_config_static_selectorELNS0_4arch9wavefront6targetE1EEEvT1_
	.p2align	8
	.type	_ZN7rocprim17ROCPRIM_400000_NS6detail17trampoline_kernelINS0_14default_configENS1_29reduce_by_key_config_selectorIddN6thrust23THRUST_200600_302600_NS4plusIdEEEEZZNS1_33reduce_by_key_impl_wrapped_configILNS1_25lookback_scan_determinismE0ES3_S9_NS6_6detail15normal_iteratorINS6_10device_ptrIdEEEESG_SG_SG_PmS8_NS6_8equal_toIdEEEE10hipError_tPvRmT2_T3_mT4_T5_T6_T7_T8_P12ihipStream_tbENKUlT_T0_E_clISt17integral_constantIbLb1EES11_EEDaSW_SX_EUlSW_E_NS1_11comp_targetILNS1_3genE10ELNS1_11target_archE1201ELNS1_3gpuE5ELNS1_3repE0EEENS1_30default_config_static_selectorELNS0_4arch9wavefront6targetE1EEEvT1_,@function
_ZN7rocprim17ROCPRIM_400000_NS6detail17trampoline_kernelINS0_14default_configENS1_29reduce_by_key_config_selectorIddN6thrust23THRUST_200600_302600_NS4plusIdEEEEZZNS1_33reduce_by_key_impl_wrapped_configILNS1_25lookback_scan_determinismE0ES3_S9_NS6_6detail15normal_iteratorINS6_10device_ptrIdEEEESG_SG_SG_PmS8_NS6_8equal_toIdEEEE10hipError_tPvRmT2_T3_mT4_T5_T6_T7_T8_P12ihipStream_tbENKUlT_T0_E_clISt17integral_constantIbLb1EES11_EEDaSW_SX_EUlSW_E_NS1_11comp_targetILNS1_3genE10ELNS1_11target_archE1201ELNS1_3gpuE5ELNS1_3repE0EEENS1_30default_config_static_selectorELNS0_4arch9wavefront6targetE1EEEvT1_: ; @_ZN7rocprim17ROCPRIM_400000_NS6detail17trampoline_kernelINS0_14default_configENS1_29reduce_by_key_config_selectorIddN6thrust23THRUST_200600_302600_NS4plusIdEEEEZZNS1_33reduce_by_key_impl_wrapped_configILNS1_25lookback_scan_determinismE0ES3_S9_NS6_6detail15normal_iteratorINS6_10device_ptrIdEEEESG_SG_SG_PmS8_NS6_8equal_toIdEEEE10hipError_tPvRmT2_T3_mT4_T5_T6_T7_T8_P12ihipStream_tbENKUlT_T0_E_clISt17integral_constantIbLb1EES11_EEDaSW_SX_EUlSW_E_NS1_11comp_targetILNS1_3genE10ELNS1_11target_archE1201ELNS1_3gpuE5ELNS1_3repE0EEENS1_30default_config_static_selectorELNS0_4arch9wavefront6targetE1EEEvT1_
; %bb.0:
	.section	.rodata,"a",@progbits
	.p2align	6, 0x0
	.amdhsa_kernel _ZN7rocprim17ROCPRIM_400000_NS6detail17trampoline_kernelINS0_14default_configENS1_29reduce_by_key_config_selectorIddN6thrust23THRUST_200600_302600_NS4plusIdEEEEZZNS1_33reduce_by_key_impl_wrapped_configILNS1_25lookback_scan_determinismE0ES3_S9_NS6_6detail15normal_iteratorINS6_10device_ptrIdEEEESG_SG_SG_PmS8_NS6_8equal_toIdEEEE10hipError_tPvRmT2_T3_mT4_T5_T6_T7_T8_P12ihipStream_tbENKUlT_T0_E_clISt17integral_constantIbLb1EES11_EEDaSW_SX_EUlSW_E_NS1_11comp_targetILNS1_3genE10ELNS1_11target_archE1201ELNS1_3gpuE5ELNS1_3repE0EEENS1_30default_config_static_selectorELNS0_4arch9wavefront6targetE1EEEvT1_
		.amdhsa_group_segment_fixed_size 0
		.amdhsa_private_segment_fixed_size 0
		.amdhsa_kernarg_size 136
		.amdhsa_user_sgpr_count 6
		.amdhsa_user_sgpr_private_segment_buffer 1
		.amdhsa_user_sgpr_dispatch_ptr 0
		.amdhsa_user_sgpr_queue_ptr 0
		.amdhsa_user_sgpr_kernarg_segment_ptr 1
		.amdhsa_user_sgpr_dispatch_id 0
		.amdhsa_user_sgpr_flat_scratch_init 0
		.amdhsa_user_sgpr_kernarg_preload_length 0
		.amdhsa_user_sgpr_kernarg_preload_offset 0
		.amdhsa_user_sgpr_private_segment_size 0
		.amdhsa_uses_dynamic_stack 0
		.amdhsa_system_sgpr_private_segment_wavefront_offset 0
		.amdhsa_system_sgpr_workgroup_id_x 1
		.amdhsa_system_sgpr_workgroup_id_y 0
		.amdhsa_system_sgpr_workgroup_id_z 0
		.amdhsa_system_sgpr_workgroup_info 0
		.amdhsa_system_vgpr_workitem_id 0
		.amdhsa_next_free_vgpr 1
		.amdhsa_next_free_sgpr 0
		.amdhsa_accum_offset 4
		.amdhsa_reserve_vcc 0
		.amdhsa_reserve_flat_scratch 0
		.amdhsa_float_round_mode_32 0
		.amdhsa_float_round_mode_16_64 0
		.amdhsa_float_denorm_mode_32 3
		.amdhsa_float_denorm_mode_16_64 3
		.amdhsa_dx10_clamp 1
		.amdhsa_ieee_mode 1
		.amdhsa_fp16_overflow 0
		.amdhsa_tg_split 0
		.amdhsa_exception_fp_ieee_invalid_op 0
		.amdhsa_exception_fp_denorm_src 0
		.amdhsa_exception_fp_ieee_div_zero 0
		.amdhsa_exception_fp_ieee_overflow 0
		.amdhsa_exception_fp_ieee_underflow 0
		.amdhsa_exception_fp_ieee_inexact 0
		.amdhsa_exception_int_div_zero 0
	.end_amdhsa_kernel
	.section	.text._ZN7rocprim17ROCPRIM_400000_NS6detail17trampoline_kernelINS0_14default_configENS1_29reduce_by_key_config_selectorIddN6thrust23THRUST_200600_302600_NS4plusIdEEEEZZNS1_33reduce_by_key_impl_wrapped_configILNS1_25lookback_scan_determinismE0ES3_S9_NS6_6detail15normal_iteratorINS6_10device_ptrIdEEEESG_SG_SG_PmS8_NS6_8equal_toIdEEEE10hipError_tPvRmT2_T3_mT4_T5_T6_T7_T8_P12ihipStream_tbENKUlT_T0_E_clISt17integral_constantIbLb1EES11_EEDaSW_SX_EUlSW_E_NS1_11comp_targetILNS1_3genE10ELNS1_11target_archE1201ELNS1_3gpuE5ELNS1_3repE0EEENS1_30default_config_static_selectorELNS0_4arch9wavefront6targetE1EEEvT1_,"axG",@progbits,_ZN7rocprim17ROCPRIM_400000_NS6detail17trampoline_kernelINS0_14default_configENS1_29reduce_by_key_config_selectorIddN6thrust23THRUST_200600_302600_NS4plusIdEEEEZZNS1_33reduce_by_key_impl_wrapped_configILNS1_25lookback_scan_determinismE0ES3_S9_NS6_6detail15normal_iteratorINS6_10device_ptrIdEEEESG_SG_SG_PmS8_NS6_8equal_toIdEEEE10hipError_tPvRmT2_T3_mT4_T5_T6_T7_T8_P12ihipStream_tbENKUlT_T0_E_clISt17integral_constantIbLb1EES11_EEDaSW_SX_EUlSW_E_NS1_11comp_targetILNS1_3genE10ELNS1_11target_archE1201ELNS1_3gpuE5ELNS1_3repE0EEENS1_30default_config_static_selectorELNS0_4arch9wavefront6targetE1EEEvT1_,comdat
.Lfunc_end27:
	.size	_ZN7rocprim17ROCPRIM_400000_NS6detail17trampoline_kernelINS0_14default_configENS1_29reduce_by_key_config_selectorIddN6thrust23THRUST_200600_302600_NS4plusIdEEEEZZNS1_33reduce_by_key_impl_wrapped_configILNS1_25lookback_scan_determinismE0ES3_S9_NS6_6detail15normal_iteratorINS6_10device_ptrIdEEEESG_SG_SG_PmS8_NS6_8equal_toIdEEEE10hipError_tPvRmT2_T3_mT4_T5_T6_T7_T8_P12ihipStream_tbENKUlT_T0_E_clISt17integral_constantIbLb1EES11_EEDaSW_SX_EUlSW_E_NS1_11comp_targetILNS1_3genE10ELNS1_11target_archE1201ELNS1_3gpuE5ELNS1_3repE0EEENS1_30default_config_static_selectorELNS0_4arch9wavefront6targetE1EEEvT1_, .Lfunc_end27-_ZN7rocprim17ROCPRIM_400000_NS6detail17trampoline_kernelINS0_14default_configENS1_29reduce_by_key_config_selectorIddN6thrust23THRUST_200600_302600_NS4plusIdEEEEZZNS1_33reduce_by_key_impl_wrapped_configILNS1_25lookback_scan_determinismE0ES3_S9_NS6_6detail15normal_iteratorINS6_10device_ptrIdEEEESG_SG_SG_PmS8_NS6_8equal_toIdEEEE10hipError_tPvRmT2_T3_mT4_T5_T6_T7_T8_P12ihipStream_tbENKUlT_T0_E_clISt17integral_constantIbLb1EES11_EEDaSW_SX_EUlSW_E_NS1_11comp_targetILNS1_3genE10ELNS1_11target_archE1201ELNS1_3gpuE5ELNS1_3repE0EEENS1_30default_config_static_selectorELNS0_4arch9wavefront6targetE1EEEvT1_
                                        ; -- End function
	.section	.AMDGPU.csdata,"",@progbits
; Kernel info:
; codeLenInByte = 0
; NumSgprs: 4
; NumVgprs: 0
; NumAgprs: 0
; TotalNumVgprs: 0
; ScratchSize: 0
; MemoryBound: 0
; FloatMode: 240
; IeeeMode: 1
; LDSByteSize: 0 bytes/workgroup (compile time only)
; SGPRBlocks: 0
; VGPRBlocks: 0
; NumSGPRsForWavesPerEU: 4
; NumVGPRsForWavesPerEU: 1
; AccumOffset: 4
; Occupancy: 8
; WaveLimiterHint : 0
; COMPUTE_PGM_RSRC2:SCRATCH_EN: 0
; COMPUTE_PGM_RSRC2:USER_SGPR: 6
; COMPUTE_PGM_RSRC2:TRAP_HANDLER: 0
; COMPUTE_PGM_RSRC2:TGID_X_EN: 1
; COMPUTE_PGM_RSRC2:TGID_Y_EN: 0
; COMPUTE_PGM_RSRC2:TGID_Z_EN: 0
; COMPUTE_PGM_RSRC2:TIDIG_COMP_CNT: 0
; COMPUTE_PGM_RSRC3_GFX90A:ACCUM_OFFSET: 0
; COMPUTE_PGM_RSRC3_GFX90A:TG_SPLIT: 0
	.section	.text._ZN7rocprim17ROCPRIM_400000_NS6detail17trampoline_kernelINS0_14default_configENS1_29reduce_by_key_config_selectorIddN6thrust23THRUST_200600_302600_NS4plusIdEEEEZZNS1_33reduce_by_key_impl_wrapped_configILNS1_25lookback_scan_determinismE0ES3_S9_NS6_6detail15normal_iteratorINS6_10device_ptrIdEEEESG_SG_SG_PmS8_NS6_8equal_toIdEEEE10hipError_tPvRmT2_T3_mT4_T5_T6_T7_T8_P12ihipStream_tbENKUlT_T0_E_clISt17integral_constantIbLb1EES11_EEDaSW_SX_EUlSW_E_NS1_11comp_targetILNS1_3genE10ELNS1_11target_archE1200ELNS1_3gpuE4ELNS1_3repE0EEENS1_30default_config_static_selectorELNS0_4arch9wavefront6targetE1EEEvT1_,"axG",@progbits,_ZN7rocprim17ROCPRIM_400000_NS6detail17trampoline_kernelINS0_14default_configENS1_29reduce_by_key_config_selectorIddN6thrust23THRUST_200600_302600_NS4plusIdEEEEZZNS1_33reduce_by_key_impl_wrapped_configILNS1_25lookback_scan_determinismE0ES3_S9_NS6_6detail15normal_iteratorINS6_10device_ptrIdEEEESG_SG_SG_PmS8_NS6_8equal_toIdEEEE10hipError_tPvRmT2_T3_mT4_T5_T6_T7_T8_P12ihipStream_tbENKUlT_T0_E_clISt17integral_constantIbLb1EES11_EEDaSW_SX_EUlSW_E_NS1_11comp_targetILNS1_3genE10ELNS1_11target_archE1200ELNS1_3gpuE4ELNS1_3repE0EEENS1_30default_config_static_selectorELNS0_4arch9wavefront6targetE1EEEvT1_,comdat
	.protected	_ZN7rocprim17ROCPRIM_400000_NS6detail17trampoline_kernelINS0_14default_configENS1_29reduce_by_key_config_selectorIddN6thrust23THRUST_200600_302600_NS4plusIdEEEEZZNS1_33reduce_by_key_impl_wrapped_configILNS1_25lookback_scan_determinismE0ES3_S9_NS6_6detail15normal_iteratorINS6_10device_ptrIdEEEESG_SG_SG_PmS8_NS6_8equal_toIdEEEE10hipError_tPvRmT2_T3_mT4_T5_T6_T7_T8_P12ihipStream_tbENKUlT_T0_E_clISt17integral_constantIbLb1EES11_EEDaSW_SX_EUlSW_E_NS1_11comp_targetILNS1_3genE10ELNS1_11target_archE1200ELNS1_3gpuE4ELNS1_3repE0EEENS1_30default_config_static_selectorELNS0_4arch9wavefront6targetE1EEEvT1_ ; -- Begin function _ZN7rocprim17ROCPRIM_400000_NS6detail17trampoline_kernelINS0_14default_configENS1_29reduce_by_key_config_selectorIddN6thrust23THRUST_200600_302600_NS4plusIdEEEEZZNS1_33reduce_by_key_impl_wrapped_configILNS1_25lookback_scan_determinismE0ES3_S9_NS6_6detail15normal_iteratorINS6_10device_ptrIdEEEESG_SG_SG_PmS8_NS6_8equal_toIdEEEE10hipError_tPvRmT2_T3_mT4_T5_T6_T7_T8_P12ihipStream_tbENKUlT_T0_E_clISt17integral_constantIbLb1EES11_EEDaSW_SX_EUlSW_E_NS1_11comp_targetILNS1_3genE10ELNS1_11target_archE1200ELNS1_3gpuE4ELNS1_3repE0EEENS1_30default_config_static_selectorELNS0_4arch9wavefront6targetE1EEEvT1_
	.globl	_ZN7rocprim17ROCPRIM_400000_NS6detail17trampoline_kernelINS0_14default_configENS1_29reduce_by_key_config_selectorIddN6thrust23THRUST_200600_302600_NS4plusIdEEEEZZNS1_33reduce_by_key_impl_wrapped_configILNS1_25lookback_scan_determinismE0ES3_S9_NS6_6detail15normal_iteratorINS6_10device_ptrIdEEEESG_SG_SG_PmS8_NS6_8equal_toIdEEEE10hipError_tPvRmT2_T3_mT4_T5_T6_T7_T8_P12ihipStream_tbENKUlT_T0_E_clISt17integral_constantIbLb1EES11_EEDaSW_SX_EUlSW_E_NS1_11comp_targetILNS1_3genE10ELNS1_11target_archE1200ELNS1_3gpuE4ELNS1_3repE0EEENS1_30default_config_static_selectorELNS0_4arch9wavefront6targetE1EEEvT1_
	.p2align	8
	.type	_ZN7rocprim17ROCPRIM_400000_NS6detail17trampoline_kernelINS0_14default_configENS1_29reduce_by_key_config_selectorIddN6thrust23THRUST_200600_302600_NS4plusIdEEEEZZNS1_33reduce_by_key_impl_wrapped_configILNS1_25lookback_scan_determinismE0ES3_S9_NS6_6detail15normal_iteratorINS6_10device_ptrIdEEEESG_SG_SG_PmS8_NS6_8equal_toIdEEEE10hipError_tPvRmT2_T3_mT4_T5_T6_T7_T8_P12ihipStream_tbENKUlT_T0_E_clISt17integral_constantIbLb1EES11_EEDaSW_SX_EUlSW_E_NS1_11comp_targetILNS1_3genE10ELNS1_11target_archE1200ELNS1_3gpuE4ELNS1_3repE0EEENS1_30default_config_static_selectorELNS0_4arch9wavefront6targetE1EEEvT1_,@function
_ZN7rocprim17ROCPRIM_400000_NS6detail17trampoline_kernelINS0_14default_configENS1_29reduce_by_key_config_selectorIddN6thrust23THRUST_200600_302600_NS4plusIdEEEEZZNS1_33reduce_by_key_impl_wrapped_configILNS1_25lookback_scan_determinismE0ES3_S9_NS6_6detail15normal_iteratorINS6_10device_ptrIdEEEESG_SG_SG_PmS8_NS6_8equal_toIdEEEE10hipError_tPvRmT2_T3_mT4_T5_T6_T7_T8_P12ihipStream_tbENKUlT_T0_E_clISt17integral_constantIbLb1EES11_EEDaSW_SX_EUlSW_E_NS1_11comp_targetILNS1_3genE10ELNS1_11target_archE1200ELNS1_3gpuE4ELNS1_3repE0EEENS1_30default_config_static_selectorELNS0_4arch9wavefront6targetE1EEEvT1_: ; @_ZN7rocprim17ROCPRIM_400000_NS6detail17trampoline_kernelINS0_14default_configENS1_29reduce_by_key_config_selectorIddN6thrust23THRUST_200600_302600_NS4plusIdEEEEZZNS1_33reduce_by_key_impl_wrapped_configILNS1_25lookback_scan_determinismE0ES3_S9_NS6_6detail15normal_iteratorINS6_10device_ptrIdEEEESG_SG_SG_PmS8_NS6_8equal_toIdEEEE10hipError_tPvRmT2_T3_mT4_T5_T6_T7_T8_P12ihipStream_tbENKUlT_T0_E_clISt17integral_constantIbLb1EES11_EEDaSW_SX_EUlSW_E_NS1_11comp_targetILNS1_3genE10ELNS1_11target_archE1200ELNS1_3gpuE4ELNS1_3repE0EEENS1_30default_config_static_selectorELNS0_4arch9wavefront6targetE1EEEvT1_
; %bb.0:
	.section	.rodata,"a",@progbits
	.p2align	6, 0x0
	.amdhsa_kernel _ZN7rocprim17ROCPRIM_400000_NS6detail17trampoline_kernelINS0_14default_configENS1_29reduce_by_key_config_selectorIddN6thrust23THRUST_200600_302600_NS4plusIdEEEEZZNS1_33reduce_by_key_impl_wrapped_configILNS1_25lookback_scan_determinismE0ES3_S9_NS6_6detail15normal_iteratorINS6_10device_ptrIdEEEESG_SG_SG_PmS8_NS6_8equal_toIdEEEE10hipError_tPvRmT2_T3_mT4_T5_T6_T7_T8_P12ihipStream_tbENKUlT_T0_E_clISt17integral_constantIbLb1EES11_EEDaSW_SX_EUlSW_E_NS1_11comp_targetILNS1_3genE10ELNS1_11target_archE1200ELNS1_3gpuE4ELNS1_3repE0EEENS1_30default_config_static_selectorELNS0_4arch9wavefront6targetE1EEEvT1_
		.amdhsa_group_segment_fixed_size 0
		.amdhsa_private_segment_fixed_size 0
		.amdhsa_kernarg_size 136
		.amdhsa_user_sgpr_count 6
		.amdhsa_user_sgpr_private_segment_buffer 1
		.amdhsa_user_sgpr_dispatch_ptr 0
		.amdhsa_user_sgpr_queue_ptr 0
		.amdhsa_user_sgpr_kernarg_segment_ptr 1
		.amdhsa_user_sgpr_dispatch_id 0
		.amdhsa_user_sgpr_flat_scratch_init 0
		.amdhsa_user_sgpr_kernarg_preload_length 0
		.amdhsa_user_sgpr_kernarg_preload_offset 0
		.amdhsa_user_sgpr_private_segment_size 0
		.amdhsa_uses_dynamic_stack 0
		.amdhsa_system_sgpr_private_segment_wavefront_offset 0
		.amdhsa_system_sgpr_workgroup_id_x 1
		.amdhsa_system_sgpr_workgroup_id_y 0
		.amdhsa_system_sgpr_workgroup_id_z 0
		.amdhsa_system_sgpr_workgroup_info 0
		.amdhsa_system_vgpr_workitem_id 0
		.amdhsa_next_free_vgpr 1
		.amdhsa_next_free_sgpr 0
		.amdhsa_accum_offset 4
		.amdhsa_reserve_vcc 0
		.amdhsa_reserve_flat_scratch 0
		.amdhsa_float_round_mode_32 0
		.amdhsa_float_round_mode_16_64 0
		.amdhsa_float_denorm_mode_32 3
		.amdhsa_float_denorm_mode_16_64 3
		.amdhsa_dx10_clamp 1
		.amdhsa_ieee_mode 1
		.amdhsa_fp16_overflow 0
		.amdhsa_tg_split 0
		.amdhsa_exception_fp_ieee_invalid_op 0
		.amdhsa_exception_fp_denorm_src 0
		.amdhsa_exception_fp_ieee_div_zero 0
		.amdhsa_exception_fp_ieee_overflow 0
		.amdhsa_exception_fp_ieee_underflow 0
		.amdhsa_exception_fp_ieee_inexact 0
		.amdhsa_exception_int_div_zero 0
	.end_amdhsa_kernel
	.section	.text._ZN7rocprim17ROCPRIM_400000_NS6detail17trampoline_kernelINS0_14default_configENS1_29reduce_by_key_config_selectorIddN6thrust23THRUST_200600_302600_NS4plusIdEEEEZZNS1_33reduce_by_key_impl_wrapped_configILNS1_25lookback_scan_determinismE0ES3_S9_NS6_6detail15normal_iteratorINS6_10device_ptrIdEEEESG_SG_SG_PmS8_NS6_8equal_toIdEEEE10hipError_tPvRmT2_T3_mT4_T5_T6_T7_T8_P12ihipStream_tbENKUlT_T0_E_clISt17integral_constantIbLb1EES11_EEDaSW_SX_EUlSW_E_NS1_11comp_targetILNS1_3genE10ELNS1_11target_archE1200ELNS1_3gpuE4ELNS1_3repE0EEENS1_30default_config_static_selectorELNS0_4arch9wavefront6targetE1EEEvT1_,"axG",@progbits,_ZN7rocprim17ROCPRIM_400000_NS6detail17trampoline_kernelINS0_14default_configENS1_29reduce_by_key_config_selectorIddN6thrust23THRUST_200600_302600_NS4plusIdEEEEZZNS1_33reduce_by_key_impl_wrapped_configILNS1_25lookback_scan_determinismE0ES3_S9_NS6_6detail15normal_iteratorINS6_10device_ptrIdEEEESG_SG_SG_PmS8_NS6_8equal_toIdEEEE10hipError_tPvRmT2_T3_mT4_T5_T6_T7_T8_P12ihipStream_tbENKUlT_T0_E_clISt17integral_constantIbLb1EES11_EEDaSW_SX_EUlSW_E_NS1_11comp_targetILNS1_3genE10ELNS1_11target_archE1200ELNS1_3gpuE4ELNS1_3repE0EEENS1_30default_config_static_selectorELNS0_4arch9wavefront6targetE1EEEvT1_,comdat
.Lfunc_end28:
	.size	_ZN7rocprim17ROCPRIM_400000_NS6detail17trampoline_kernelINS0_14default_configENS1_29reduce_by_key_config_selectorIddN6thrust23THRUST_200600_302600_NS4plusIdEEEEZZNS1_33reduce_by_key_impl_wrapped_configILNS1_25lookback_scan_determinismE0ES3_S9_NS6_6detail15normal_iteratorINS6_10device_ptrIdEEEESG_SG_SG_PmS8_NS6_8equal_toIdEEEE10hipError_tPvRmT2_T3_mT4_T5_T6_T7_T8_P12ihipStream_tbENKUlT_T0_E_clISt17integral_constantIbLb1EES11_EEDaSW_SX_EUlSW_E_NS1_11comp_targetILNS1_3genE10ELNS1_11target_archE1200ELNS1_3gpuE4ELNS1_3repE0EEENS1_30default_config_static_selectorELNS0_4arch9wavefront6targetE1EEEvT1_, .Lfunc_end28-_ZN7rocprim17ROCPRIM_400000_NS6detail17trampoline_kernelINS0_14default_configENS1_29reduce_by_key_config_selectorIddN6thrust23THRUST_200600_302600_NS4plusIdEEEEZZNS1_33reduce_by_key_impl_wrapped_configILNS1_25lookback_scan_determinismE0ES3_S9_NS6_6detail15normal_iteratorINS6_10device_ptrIdEEEESG_SG_SG_PmS8_NS6_8equal_toIdEEEE10hipError_tPvRmT2_T3_mT4_T5_T6_T7_T8_P12ihipStream_tbENKUlT_T0_E_clISt17integral_constantIbLb1EES11_EEDaSW_SX_EUlSW_E_NS1_11comp_targetILNS1_3genE10ELNS1_11target_archE1200ELNS1_3gpuE4ELNS1_3repE0EEENS1_30default_config_static_selectorELNS0_4arch9wavefront6targetE1EEEvT1_
                                        ; -- End function
	.section	.AMDGPU.csdata,"",@progbits
; Kernel info:
; codeLenInByte = 0
; NumSgprs: 4
; NumVgprs: 0
; NumAgprs: 0
; TotalNumVgprs: 0
; ScratchSize: 0
; MemoryBound: 0
; FloatMode: 240
; IeeeMode: 1
; LDSByteSize: 0 bytes/workgroup (compile time only)
; SGPRBlocks: 0
; VGPRBlocks: 0
; NumSGPRsForWavesPerEU: 4
; NumVGPRsForWavesPerEU: 1
; AccumOffset: 4
; Occupancy: 8
; WaveLimiterHint : 0
; COMPUTE_PGM_RSRC2:SCRATCH_EN: 0
; COMPUTE_PGM_RSRC2:USER_SGPR: 6
; COMPUTE_PGM_RSRC2:TRAP_HANDLER: 0
; COMPUTE_PGM_RSRC2:TGID_X_EN: 1
; COMPUTE_PGM_RSRC2:TGID_Y_EN: 0
; COMPUTE_PGM_RSRC2:TGID_Z_EN: 0
; COMPUTE_PGM_RSRC2:TIDIG_COMP_CNT: 0
; COMPUTE_PGM_RSRC3_GFX90A:ACCUM_OFFSET: 0
; COMPUTE_PGM_RSRC3_GFX90A:TG_SPLIT: 0
	.section	.text._ZN7rocprim17ROCPRIM_400000_NS6detail17trampoline_kernelINS0_14default_configENS1_29reduce_by_key_config_selectorIddN6thrust23THRUST_200600_302600_NS4plusIdEEEEZZNS1_33reduce_by_key_impl_wrapped_configILNS1_25lookback_scan_determinismE0ES3_S9_NS6_6detail15normal_iteratorINS6_10device_ptrIdEEEESG_SG_SG_PmS8_NS6_8equal_toIdEEEE10hipError_tPvRmT2_T3_mT4_T5_T6_T7_T8_P12ihipStream_tbENKUlT_T0_E_clISt17integral_constantIbLb1EES11_EEDaSW_SX_EUlSW_E_NS1_11comp_targetILNS1_3genE9ELNS1_11target_archE1100ELNS1_3gpuE3ELNS1_3repE0EEENS1_30default_config_static_selectorELNS0_4arch9wavefront6targetE1EEEvT1_,"axG",@progbits,_ZN7rocprim17ROCPRIM_400000_NS6detail17trampoline_kernelINS0_14default_configENS1_29reduce_by_key_config_selectorIddN6thrust23THRUST_200600_302600_NS4plusIdEEEEZZNS1_33reduce_by_key_impl_wrapped_configILNS1_25lookback_scan_determinismE0ES3_S9_NS6_6detail15normal_iteratorINS6_10device_ptrIdEEEESG_SG_SG_PmS8_NS6_8equal_toIdEEEE10hipError_tPvRmT2_T3_mT4_T5_T6_T7_T8_P12ihipStream_tbENKUlT_T0_E_clISt17integral_constantIbLb1EES11_EEDaSW_SX_EUlSW_E_NS1_11comp_targetILNS1_3genE9ELNS1_11target_archE1100ELNS1_3gpuE3ELNS1_3repE0EEENS1_30default_config_static_selectorELNS0_4arch9wavefront6targetE1EEEvT1_,comdat
	.protected	_ZN7rocprim17ROCPRIM_400000_NS6detail17trampoline_kernelINS0_14default_configENS1_29reduce_by_key_config_selectorIddN6thrust23THRUST_200600_302600_NS4plusIdEEEEZZNS1_33reduce_by_key_impl_wrapped_configILNS1_25lookback_scan_determinismE0ES3_S9_NS6_6detail15normal_iteratorINS6_10device_ptrIdEEEESG_SG_SG_PmS8_NS6_8equal_toIdEEEE10hipError_tPvRmT2_T3_mT4_T5_T6_T7_T8_P12ihipStream_tbENKUlT_T0_E_clISt17integral_constantIbLb1EES11_EEDaSW_SX_EUlSW_E_NS1_11comp_targetILNS1_3genE9ELNS1_11target_archE1100ELNS1_3gpuE3ELNS1_3repE0EEENS1_30default_config_static_selectorELNS0_4arch9wavefront6targetE1EEEvT1_ ; -- Begin function _ZN7rocprim17ROCPRIM_400000_NS6detail17trampoline_kernelINS0_14default_configENS1_29reduce_by_key_config_selectorIddN6thrust23THRUST_200600_302600_NS4plusIdEEEEZZNS1_33reduce_by_key_impl_wrapped_configILNS1_25lookback_scan_determinismE0ES3_S9_NS6_6detail15normal_iteratorINS6_10device_ptrIdEEEESG_SG_SG_PmS8_NS6_8equal_toIdEEEE10hipError_tPvRmT2_T3_mT4_T5_T6_T7_T8_P12ihipStream_tbENKUlT_T0_E_clISt17integral_constantIbLb1EES11_EEDaSW_SX_EUlSW_E_NS1_11comp_targetILNS1_3genE9ELNS1_11target_archE1100ELNS1_3gpuE3ELNS1_3repE0EEENS1_30default_config_static_selectorELNS0_4arch9wavefront6targetE1EEEvT1_
	.globl	_ZN7rocprim17ROCPRIM_400000_NS6detail17trampoline_kernelINS0_14default_configENS1_29reduce_by_key_config_selectorIddN6thrust23THRUST_200600_302600_NS4plusIdEEEEZZNS1_33reduce_by_key_impl_wrapped_configILNS1_25lookback_scan_determinismE0ES3_S9_NS6_6detail15normal_iteratorINS6_10device_ptrIdEEEESG_SG_SG_PmS8_NS6_8equal_toIdEEEE10hipError_tPvRmT2_T3_mT4_T5_T6_T7_T8_P12ihipStream_tbENKUlT_T0_E_clISt17integral_constantIbLb1EES11_EEDaSW_SX_EUlSW_E_NS1_11comp_targetILNS1_3genE9ELNS1_11target_archE1100ELNS1_3gpuE3ELNS1_3repE0EEENS1_30default_config_static_selectorELNS0_4arch9wavefront6targetE1EEEvT1_
	.p2align	8
	.type	_ZN7rocprim17ROCPRIM_400000_NS6detail17trampoline_kernelINS0_14default_configENS1_29reduce_by_key_config_selectorIddN6thrust23THRUST_200600_302600_NS4plusIdEEEEZZNS1_33reduce_by_key_impl_wrapped_configILNS1_25lookback_scan_determinismE0ES3_S9_NS6_6detail15normal_iteratorINS6_10device_ptrIdEEEESG_SG_SG_PmS8_NS6_8equal_toIdEEEE10hipError_tPvRmT2_T3_mT4_T5_T6_T7_T8_P12ihipStream_tbENKUlT_T0_E_clISt17integral_constantIbLb1EES11_EEDaSW_SX_EUlSW_E_NS1_11comp_targetILNS1_3genE9ELNS1_11target_archE1100ELNS1_3gpuE3ELNS1_3repE0EEENS1_30default_config_static_selectorELNS0_4arch9wavefront6targetE1EEEvT1_,@function
_ZN7rocprim17ROCPRIM_400000_NS6detail17trampoline_kernelINS0_14default_configENS1_29reduce_by_key_config_selectorIddN6thrust23THRUST_200600_302600_NS4plusIdEEEEZZNS1_33reduce_by_key_impl_wrapped_configILNS1_25lookback_scan_determinismE0ES3_S9_NS6_6detail15normal_iteratorINS6_10device_ptrIdEEEESG_SG_SG_PmS8_NS6_8equal_toIdEEEE10hipError_tPvRmT2_T3_mT4_T5_T6_T7_T8_P12ihipStream_tbENKUlT_T0_E_clISt17integral_constantIbLb1EES11_EEDaSW_SX_EUlSW_E_NS1_11comp_targetILNS1_3genE9ELNS1_11target_archE1100ELNS1_3gpuE3ELNS1_3repE0EEENS1_30default_config_static_selectorELNS0_4arch9wavefront6targetE1EEEvT1_: ; @_ZN7rocprim17ROCPRIM_400000_NS6detail17trampoline_kernelINS0_14default_configENS1_29reduce_by_key_config_selectorIddN6thrust23THRUST_200600_302600_NS4plusIdEEEEZZNS1_33reduce_by_key_impl_wrapped_configILNS1_25lookback_scan_determinismE0ES3_S9_NS6_6detail15normal_iteratorINS6_10device_ptrIdEEEESG_SG_SG_PmS8_NS6_8equal_toIdEEEE10hipError_tPvRmT2_T3_mT4_T5_T6_T7_T8_P12ihipStream_tbENKUlT_T0_E_clISt17integral_constantIbLb1EES11_EEDaSW_SX_EUlSW_E_NS1_11comp_targetILNS1_3genE9ELNS1_11target_archE1100ELNS1_3gpuE3ELNS1_3repE0EEENS1_30default_config_static_selectorELNS0_4arch9wavefront6targetE1EEEvT1_
; %bb.0:
	.section	.rodata,"a",@progbits
	.p2align	6, 0x0
	.amdhsa_kernel _ZN7rocprim17ROCPRIM_400000_NS6detail17trampoline_kernelINS0_14default_configENS1_29reduce_by_key_config_selectorIddN6thrust23THRUST_200600_302600_NS4plusIdEEEEZZNS1_33reduce_by_key_impl_wrapped_configILNS1_25lookback_scan_determinismE0ES3_S9_NS6_6detail15normal_iteratorINS6_10device_ptrIdEEEESG_SG_SG_PmS8_NS6_8equal_toIdEEEE10hipError_tPvRmT2_T3_mT4_T5_T6_T7_T8_P12ihipStream_tbENKUlT_T0_E_clISt17integral_constantIbLb1EES11_EEDaSW_SX_EUlSW_E_NS1_11comp_targetILNS1_3genE9ELNS1_11target_archE1100ELNS1_3gpuE3ELNS1_3repE0EEENS1_30default_config_static_selectorELNS0_4arch9wavefront6targetE1EEEvT1_
		.amdhsa_group_segment_fixed_size 0
		.amdhsa_private_segment_fixed_size 0
		.amdhsa_kernarg_size 136
		.amdhsa_user_sgpr_count 6
		.amdhsa_user_sgpr_private_segment_buffer 1
		.amdhsa_user_sgpr_dispatch_ptr 0
		.amdhsa_user_sgpr_queue_ptr 0
		.amdhsa_user_sgpr_kernarg_segment_ptr 1
		.amdhsa_user_sgpr_dispatch_id 0
		.amdhsa_user_sgpr_flat_scratch_init 0
		.amdhsa_user_sgpr_kernarg_preload_length 0
		.amdhsa_user_sgpr_kernarg_preload_offset 0
		.amdhsa_user_sgpr_private_segment_size 0
		.amdhsa_uses_dynamic_stack 0
		.amdhsa_system_sgpr_private_segment_wavefront_offset 0
		.amdhsa_system_sgpr_workgroup_id_x 1
		.amdhsa_system_sgpr_workgroup_id_y 0
		.amdhsa_system_sgpr_workgroup_id_z 0
		.amdhsa_system_sgpr_workgroup_info 0
		.amdhsa_system_vgpr_workitem_id 0
		.amdhsa_next_free_vgpr 1
		.amdhsa_next_free_sgpr 0
		.amdhsa_accum_offset 4
		.amdhsa_reserve_vcc 0
		.amdhsa_reserve_flat_scratch 0
		.amdhsa_float_round_mode_32 0
		.amdhsa_float_round_mode_16_64 0
		.amdhsa_float_denorm_mode_32 3
		.amdhsa_float_denorm_mode_16_64 3
		.amdhsa_dx10_clamp 1
		.amdhsa_ieee_mode 1
		.amdhsa_fp16_overflow 0
		.amdhsa_tg_split 0
		.amdhsa_exception_fp_ieee_invalid_op 0
		.amdhsa_exception_fp_denorm_src 0
		.amdhsa_exception_fp_ieee_div_zero 0
		.amdhsa_exception_fp_ieee_overflow 0
		.amdhsa_exception_fp_ieee_underflow 0
		.amdhsa_exception_fp_ieee_inexact 0
		.amdhsa_exception_int_div_zero 0
	.end_amdhsa_kernel
	.section	.text._ZN7rocprim17ROCPRIM_400000_NS6detail17trampoline_kernelINS0_14default_configENS1_29reduce_by_key_config_selectorIddN6thrust23THRUST_200600_302600_NS4plusIdEEEEZZNS1_33reduce_by_key_impl_wrapped_configILNS1_25lookback_scan_determinismE0ES3_S9_NS6_6detail15normal_iteratorINS6_10device_ptrIdEEEESG_SG_SG_PmS8_NS6_8equal_toIdEEEE10hipError_tPvRmT2_T3_mT4_T5_T6_T7_T8_P12ihipStream_tbENKUlT_T0_E_clISt17integral_constantIbLb1EES11_EEDaSW_SX_EUlSW_E_NS1_11comp_targetILNS1_3genE9ELNS1_11target_archE1100ELNS1_3gpuE3ELNS1_3repE0EEENS1_30default_config_static_selectorELNS0_4arch9wavefront6targetE1EEEvT1_,"axG",@progbits,_ZN7rocprim17ROCPRIM_400000_NS6detail17trampoline_kernelINS0_14default_configENS1_29reduce_by_key_config_selectorIddN6thrust23THRUST_200600_302600_NS4plusIdEEEEZZNS1_33reduce_by_key_impl_wrapped_configILNS1_25lookback_scan_determinismE0ES3_S9_NS6_6detail15normal_iteratorINS6_10device_ptrIdEEEESG_SG_SG_PmS8_NS6_8equal_toIdEEEE10hipError_tPvRmT2_T3_mT4_T5_T6_T7_T8_P12ihipStream_tbENKUlT_T0_E_clISt17integral_constantIbLb1EES11_EEDaSW_SX_EUlSW_E_NS1_11comp_targetILNS1_3genE9ELNS1_11target_archE1100ELNS1_3gpuE3ELNS1_3repE0EEENS1_30default_config_static_selectorELNS0_4arch9wavefront6targetE1EEEvT1_,comdat
.Lfunc_end29:
	.size	_ZN7rocprim17ROCPRIM_400000_NS6detail17trampoline_kernelINS0_14default_configENS1_29reduce_by_key_config_selectorIddN6thrust23THRUST_200600_302600_NS4plusIdEEEEZZNS1_33reduce_by_key_impl_wrapped_configILNS1_25lookback_scan_determinismE0ES3_S9_NS6_6detail15normal_iteratorINS6_10device_ptrIdEEEESG_SG_SG_PmS8_NS6_8equal_toIdEEEE10hipError_tPvRmT2_T3_mT4_T5_T6_T7_T8_P12ihipStream_tbENKUlT_T0_E_clISt17integral_constantIbLb1EES11_EEDaSW_SX_EUlSW_E_NS1_11comp_targetILNS1_3genE9ELNS1_11target_archE1100ELNS1_3gpuE3ELNS1_3repE0EEENS1_30default_config_static_selectorELNS0_4arch9wavefront6targetE1EEEvT1_, .Lfunc_end29-_ZN7rocprim17ROCPRIM_400000_NS6detail17trampoline_kernelINS0_14default_configENS1_29reduce_by_key_config_selectorIddN6thrust23THRUST_200600_302600_NS4plusIdEEEEZZNS1_33reduce_by_key_impl_wrapped_configILNS1_25lookback_scan_determinismE0ES3_S9_NS6_6detail15normal_iteratorINS6_10device_ptrIdEEEESG_SG_SG_PmS8_NS6_8equal_toIdEEEE10hipError_tPvRmT2_T3_mT4_T5_T6_T7_T8_P12ihipStream_tbENKUlT_T0_E_clISt17integral_constantIbLb1EES11_EEDaSW_SX_EUlSW_E_NS1_11comp_targetILNS1_3genE9ELNS1_11target_archE1100ELNS1_3gpuE3ELNS1_3repE0EEENS1_30default_config_static_selectorELNS0_4arch9wavefront6targetE1EEEvT1_
                                        ; -- End function
	.section	.AMDGPU.csdata,"",@progbits
; Kernel info:
; codeLenInByte = 0
; NumSgprs: 4
; NumVgprs: 0
; NumAgprs: 0
; TotalNumVgprs: 0
; ScratchSize: 0
; MemoryBound: 0
; FloatMode: 240
; IeeeMode: 1
; LDSByteSize: 0 bytes/workgroup (compile time only)
; SGPRBlocks: 0
; VGPRBlocks: 0
; NumSGPRsForWavesPerEU: 4
; NumVGPRsForWavesPerEU: 1
; AccumOffset: 4
; Occupancy: 8
; WaveLimiterHint : 0
; COMPUTE_PGM_RSRC2:SCRATCH_EN: 0
; COMPUTE_PGM_RSRC2:USER_SGPR: 6
; COMPUTE_PGM_RSRC2:TRAP_HANDLER: 0
; COMPUTE_PGM_RSRC2:TGID_X_EN: 1
; COMPUTE_PGM_RSRC2:TGID_Y_EN: 0
; COMPUTE_PGM_RSRC2:TGID_Z_EN: 0
; COMPUTE_PGM_RSRC2:TIDIG_COMP_CNT: 0
; COMPUTE_PGM_RSRC3_GFX90A:ACCUM_OFFSET: 0
; COMPUTE_PGM_RSRC3_GFX90A:TG_SPLIT: 0
	.section	.text._ZN7rocprim17ROCPRIM_400000_NS6detail17trampoline_kernelINS0_14default_configENS1_29reduce_by_key_config_selectorIddN6thrust23THRUST_200600_302600_NS4plusIdEEEEZZNS1_33reduce_by_key_impl_wrapped_configILNS1_25lookback_scan_determinismE0ES3_S9_NS6_6detail15normal_iteratorINS6_10device_ptrIdEEEESG_SG_SG_PmS8_NS6_8equal_toIdEEEE10hipError_tPvRmT2_T3_mT4_T5_T6_T7_T8_P12ihipStream_tbENKUlT_T0_E_clISt17integral_constantIbLb1EES11_EEDaSW_SX_EUlSW_E_NS1_11comp_targetILNS1_3genE8ELNS1_11target_archE1030ELNS1_3gpuE2ELNS1_3repE0EEENS1_30default_config_static_selectorELNS0_4arch9wavefront6targetE1EEEvT1_,"axG",@progbits,_ZN7rocprim17ROCPRIM_400000_NS6detail17trampoline_kernelINS0_14default_configENS1_29reduce_by_key_config_selectorIddN6thrust23THRUST_200600_302600_NS4plusIdEEEEZZNS1_33reduce_by_key_impl_wrapped_configILNS1_25lookback_scan_determinismE0ES3_S9_NS6_6detail15normal_iteratorINS6_10device_ptrIdEEEESG_SG_SG_PmS8_NS6_8equal_toIdEEEE10hipError_tPvRmT2_T3_mT4_T5_T6_T7_T8_P12ihipStream_tbENKUlT_T0_E_clISt17integral_constantIbLb1EES11_EEDaSW_SX_EUlSW_E_NS1_11comp_targetILNS1_3genE8ELNS1_11target_archE1030ELNS1_3gpuE2ELNS1_3repE0EEENS1_30default_config_static_selectorELNS0_4arch9wavefront6targetE1EEEvT1_,comdat
	.protected	_ZN7rocprim17ROCPRIM_400000_NS6detail17trampoline_kernelINS0_14default_configENS1_29reduce_by_key_config_selectorIddN6thrust23THRUST_200600_302600_NS4plusIdEEEEZZNS1_33reduce_by_key_impl_wrapped_configILNS1_25lookback_scan_determinismE0ES3_S9_NS6_6detail15normal_iteratorINS6_10device_ptrIdEEEESG_SG_SG_PmS8_NS6_8equal_toIdEEEE10hipError_tPvRmT2_T3_mT4_T5_T6_T7_T8_P12ihipStream_tbENKUlT_T0_E_clISt17integral_constantIbLb1EES11_EEDaSW_SX_EUlSW_E_NS1_11comp_targetILNS1_3genE8ELNS1_11target_archE1030ELNS1_3gpuE2ELNS1_3repE0EEENS1_30default_config_static_selectorELNS0_4arch9wavefront6targetE1EEEvT1_ ; -- Begin function _ZN7rocprim17ROCPRIM_400000_NS6detail17trampoline_kernelINS0_14default_configENS1_29reduce_by_key_config_selectorIddN6thrust23THRUST_200600_302600_NS4plusIdEEEEZZNS1_33reduce_by_key_impl_wrapped_configILNS1_25lookback_scan_determinismE0ES3_S9_NS6_6detail15normal_iteratorINS6_10device_ptrIdEEEESG_SG_SG_PmS8_NS6_8equal_toIdEEEE10hipError_tPvRmT2_T3_mT4_T5_T6_T7_T8_P12ihipStream_tbENKUlT_T0_E_clISt17integral_constantIbLb1EES11_EEDaSW_SX_EUlSW_E_NS1_11comp_targetILNS1_3genE8ELNS1_11target_archE1030ELNS1_3gpuE2ELNS1_3repE0EEENS1_30default_config_static_selectorELNS0_4arch9wavefront6targetE1EEEvT1_
	.globl	_ZN7rocprim17ROCPRIM_400000_NS6detail17trampoline_kernelINS0_14default_configENS1_29reduce_by_key_config_selectorIddN6thrust23THRUST_200600_302600_NS4plusIdEEEEZZNS1_33reduce_by_key_impl_wrapped_configILNS1_25lookback_scan_determinismE0ES3_S9_NS6_6detail15normal_iteratorINS6_10device_ptrIdEEEESG_SG_SG_PmS8_NS6_8equal_toIdEEEE10hipError_tPvRmT2_T3_mT4_T5_T6_T7_T8_P12ihipStream_tbENKUlT_T0_E_clISt17integral_constantIbLb1EES11_EEDaSW_SX_EUlSW_E_NS1_11comp_targetILNS1_3genE8ELNS1_11target_archE1030ELNS1_3gpuE2ELNS1_3repE0EEENS1_30default_config_static_selectorELNS0_4arch9wavefront6targetE1EEEvT1_
	.p2align	8
	.type	_ZN7rocprim17ROCPRIM_400000_NS6detail17trampoline_kernelINS0_14default_configENS1_29reduce_by_key_config_selectorIddN6thrust23THRUST_200600_302600_NS4plusIdEEEEZZNS1_33reduce_by_key_impl_wrapped_configILNS1_25lookback_scan_determinismE0ES3_S9_NS6_6detail15normal_iteratorINS6_10device_ptrIdEEEESG_SG_SG_PmS8_NS6_8equal_toIdEEEE10hipError_tPvRmT2_T3_mT4_T5_T6_T7_T8_P12ihipStream_tbENKUlT_T0_E_clISt17integral_constantIbLb1EES11_EEDaSW_SX_EUlSW_E_NS1_11comp_targetILNS1_3genE8ELNS1_11target_archE1030ELNS1_3gpuE2ELNS1_3repE0EEENS1_30default_config_static_selectorELNS0_4arch9wavefront6targetE1EEEvT1_,@function
_ZN7rocprim17ROCPRIM_400000_NS6detail17trampoline_kernelINS0_14default_configENS1_29reduce_by_key_config_selectorIddN6thrust23THRUST_200600_302600_NS4plusIdEEEEZZNS1_33reduce_by_key_impl_wrapped_configILNS1_25lookback_scan_determinismE0ES3_S9_NS6_6detail15normal_iteratorINS6_10device_ptrIdEEEESG_SG_SG_PmS8_NS6_8equal_toIdEEEE10hipError_tPvRmT2_T3_mT4_T5_T6_T7_T8_P12ihipStream_tbENKUlT_T0_E_clISt17integral_constantIbLb1EES11_EEDaSW_SX_EUlSW_E_NS1_11comp_targetILNS1_3genE8ELNS1_11target_archE1030ELNS1_3gpuE2ELNS1_3repE0EEENS1_30default_config_static_selectorELNS0_4arch9wavefront6targetE1EEEvT1_: ; @_ZN7rocprim17ROCPRIM_400000_NS6detail17trampoline_kernelINS0_14default_configENS1_29reduce_by_key_config_selectorIddN6thrust23THRUST_200600_302600_NS4plusIdEEEEZZNS1_33reduce_by_key_impl_wrapped_configILNS1_25lookback_scan_determinismE0ES3_S9_NS6_6detail15normal_iteratorINS6_10device_ptrIdEEEESG_SG_SG_PmS8_NS6_8equal_toIdEEEE10hipError_tPvRmT2_T3_mT4_T5_T6_T7_T8_P12ihipStream_tbENKUlT_T0_E_clISt17integral_constantIbLb1EES11_EEDaSW_SX_EUlSW_E_NS1_11comp_targetILNS1_3genE8ELNS1_11target_archE1030ELNS1_3gpuE2ELNS1_3repE0EEENS1_30default_config_static_selectorELNS0_4arch9wavefront6targetE1EEEvT1_
; %bb.0:
	.section	.rodata,"a",@progbits
	.p2align	6, 0x0
	.amdhsa_kernel _ZN7rocprim17ROCPRIM_400000_NS6detail17trampoline_kernelINS0_14default_configENS1_29reduce_by_key_config_selectorIddN6thrust23THRUST_200600_302600_NS4plusIdEEEEZZNS1_33reduce_by_key_impl_wrapped_configILNS1_25lookback_scan_determinismE0ES3_S9_NS6_6detail15normal_iteratorINS6_10device_ptrIdEEEESG_SG_SG_PmS8_NS6_8equal_toIdEEEE10hipError_tPvRmT2_T3_mT4_T5_T6_T7_T8_P12ihipStream_tbENKUlT_T0_E_clISt17integral_constantIbLb1EES11_EEDaSW_SX_EUlSW_E_NS1_11comp_targetILNS1_3genE8ELNS1_11target_archE1030ELNS1_3gpuE2ELNS1_3repE0EEENS1_30default_config_static_selectorELNS0_4arch9wavefront6targetE1EEEvT1_
		.amdhsa_group_segment_fixed_size 0
		.amdhsa_private_segment_fixed_size 0
		.amdhsa_kernarg_size 136
		.amdhsa_user_sgpr_count 6
		.amdhsa_user_sgpr_private_segment_buffer 1
		.amdhsa_user_sgpr_dispatch_ptr 0
		.amdhsa_user_sgpr_queue_ptr 0
		.amdhsa_user_sgpr_kernarg_segment_ptr 1
		.amdhsa_user_sgpr_dispatch_id 0
		.amdhsa_user_sgpr_flat_scratch_init 0
		.amdhsa_user_sgpr_kernarg_preload_length 0
		.amdhsa_user_sgpr_kernarg_preload_offset 0
		.amdhsa_user_sgpr_private_segment_size 0
		.amdhsa_uses_dynamic_stack 0
		.amdhsa_system_sgpr_private_segment_wavefront_offset 0
		.amdhsa_system_sgpr_workgroup_id_x 1
		.amdhsa_system_sgpr_workgroup_id_y 0
		.amdhsa_system_sgpr_workgroup_id_z 0
		.amdhsa_system_sgpr_workgroup_info 0
		.amdhsa_system_vgpr_workitem_id 0
		.amdhsa_next_free_vgpr 1
		.amdhsa_next_free_sgpr 0
		.amdhsa_accum_offset 4
		.amdhsa_reserve_vcc 0
		.amdhsa_reserve_flat_scratch 0
		.amdhsa_float_round_mode_32 0
		.amdhsa_float_round_mode_16_64 0
		.amdhsa_float_denorm_mode_32 3
		.amdhsa_float_denorm_mode_16_64 3
		.amdhsa_dx10_clamp 1
		.amdhsa_ieee_mode 1
		.amdhsa_fp16_overflow 0
		.amdhsa_tg_split 0
		.amdhsa_exception_fp_ieee_invalid_op 0
		.amdhsa_exception_fp_denorm_src 0
		.amdhsa_exception_fp_ieee_div_zero 0
		.amdhsa_exception_fp_ieee_overflow 0
		.amdhsa_exception_fp_ieee_underflow 0
		.amdhsa_exception_fp_ieee_inexact 0
		.amdhsa_exception_int_div_zero 0
	.end_amdhsa_kernel
	.section	.text._ZN7rocprim17ROCPRIM_400000_NS6detail17trampoline_kernelINS0_14default_configENS1_29reduce_by_key_config_selectorIddN6thrust23THRUST_200600_302600_NS4plusIdEEEEZZNS1_33reduce_by_key_impl_wrapped_configILNS1_25lookback_scan_determinismE0ES3_S9_NS6_6detail15normal_iteratorINS6_10device_ptrIdEEEESG_SG_SG_PmS8_NS6_8equal_toIdEEEE10hipError_tPvRmT2_T3_mT4_T5_T6_T7_T8_P12ihipStream_tbENKUlT_T0_E_clISt17integral_constantIbLb1EES11_EEDaSW_SX_EUlSW_E_NS1_11comp_targetILNS1_3genE8ELNS1_11target_archE1030ELNS1_3gpuE2ELNS1_3repE0EEENS1_30default_config_static_selectorELNS0_4arch9wavefront6targetE1EEEvT1_,"axG",@progbits,_ZN7rocprim17ROCPRIM_400000_NS6detail17trampoline_kernelINS0_14default_configENS1_29reduce_by_key_config_selectorIddN6thrust23THRUST_200600_302600_NS4plusIdEEEEZZNS1_33reduce_by_key_impl_wrapped_configILNS1_25lookback_scan_determinismE0ES3_S9_NS6_6detail15normal_iteratorINS6_10device_ptrIdEEEESG_SG_SG_PmS8_NS6_8equal_toIdEEEE10hipError_tPvRmT2_T3_mT4_T5_T6_T7_T8_P12ihipStream_tbENKUlT_T0_E_clISt17integral_constantIbLb1EES11_EEDaSW_SX_EUlSW_E_NS1_11comp_targetILNS1_3genE8ELNS1_11target_archE1030ELNS1_3gpuE2ELNS1_3repE0EEENS1_30default_config_static_selectorELNS0_4arch9wavefront6targetE1EEEvT1_,comdat
.Lfunc_end30:
	.size	_ZN7rocprim17ROCPRIM_400000_NS6detail17trampoline_kernelINS0_14default_configENS1_29reduce_by_key_config_selectorIddN6thrust23THRUST_200600_302600_NS4plusIdEEEEZZNS1_33reduce_by_key_impl_wrapped_configILNS1_25lookback_scan_determinismE0ES3_S9_NS6_6detail15normal_iteratorINS6_10device_ptrIdEEEESG_SG_SG_PmS8_NS6_8equal_toIdEEEE10hipError_tPvRmT2_T3_mT4_T5_T6_T7_T8_P12ihipStream_tbENKUlT_T0_E_clISt17integral_constantIbLb1EES11_EEDaSW_SX_EUlSW_E_NS1_11comp_targetILNS1_3genE8ELNS1_11target_archE1030ELNS1_3gpuE2ELNS1_3repE0EEENS1_30default_config_static_selectorELNS0_4arch9wavefront6targetE1EEEvT1_, .Lfunc_end30-_ZN7rocprim17ROCPRIM_400000_NS6detail17trampoline_kernelINS0_14default_configENS1_29reduce_by_key_config_selectorIddN6thrust23THRUST_200600_302600_NS4plusIdEEEEZZNS1_33reduce_by_key_impl_wrapped_configILNS1_25lookback_scan_determinismE0ES3_S9_NS6_6detail15normal_iteratorINS6_10device_ptrIdEEEESG_SG_SG_PmS8_NS6_8equal_toIdEEEE10hipError_tPvRmT2_T3_mT4_T5_T6_T7_T8_P12ihipStream_tbENKUlT_T0_E_clISt17integral_constantIbLb1EES11_EEDaSW_SX_EUlSW_E_NS1_11comp_targetILNS1_3genE8ELNS1_11target_archE1030ELNS1_3gpuE2ELNS1_3repE0EEENS1_30default_config_static_selectorELNS0_4arch9wavefront6targetE1EEEvT1_
                                        ; -- End function
	.section	.AMDGPU.csdata,"",@progbits
; Kernel info:
; codeLenInByte = 0
; NumSgprs: 4
; NumVgprs: 0
; NumAgprs: 0
; TotalNumVgprs: 0
; ScratchSize: 0
; MemoryBound: 0
; FloatMode: 240
; IeeeMode: 1
; LDSByteSize: 0 bytes/workgroup (compile time only)
; SGPRBlocks: 0
; VGPRBlocks: 0
; NumSGPRsForWavesPerEU: 4
; NumVGPRsForWavesPerEU: 1
; AccumOffset: 4
; Occupancy: 8
; WaveLimiterHint : 0
; COMPUTE_PGM_RSRC2:SCRATCH_EN: 0
; COMPUTE_PGM_RSRC2:USER_SGPR: 6
; COMPUTE_PGM_RSRC2:TRAP_HANDLER: 0
; COMPUTE_PGM_RSRC2:TGID_X_EN: 1
; COMPUTE_PGM_RSRC2:TGID_Y_EN: 0
; COMPUTE_PGM_RSRC2:TGID_Z_EN: 0
; COMPUTE_PGM_RSRC2:TIDIG_COMP_CNT: 0
; COMPUTE_PGM_RSRC3_GFX90A:ACCUM_OFFSET: 0
; COMPUTE_PGM_RSRC3_GFX90A:TG_SPLIT: 0
	.section	.text._ZN7rocprim17ROCPRIM_400000_NS6detail25reduce_by_key_init_kernelINS1_19lookback_scan_stateINS0_5tupleIJjdEEELb1ELb0EEEdNS1_16block_id_wrapperIjLb0EEEEEvT_jbjPmPT0_T1_,"axG",@progbits,_ZN7rocprim17ROCPRIM_400000_NS6detail25reduce_by_key_init_kernelINS1_19lookback_scan_stateINS0_5tupleIJjdEEELb1ELb0EEEdNS1_16block_id_wrapperIjLb0EEEEEvT_jbjPmPT0_T1_,comdat
	.protected	_ZN7rocprim17ROCPRIM_400000_NS6detail25reduce_by_key_init_kernelINS1_19lookback_scan_stateINS0_5tupleIJjdEEELb1ELb0EEEdNS1_16block_id_wrapperIjLb0EEEEEvT_jbjPmPT0_T1_ ; -- Begin function _ZN7rocprim17ROCPRIM_400000_NS6detail25reduce_by_key_init_kernelINS1_19lookback_scan_stateINS0_5tupleIJjdEEELb1ELb0EEEdNS1_16block_id_wrapperIjLb0EEEEEvT_jbjPmPT0_T1_
	.globl	_ZN7rocprim17ROCPRIM_400000_NS6detail25reduce_by_key_init_kernelINS1_19lookback_scan_stateINS0_5tupleIJjdEEELb1ELb0EEEdNS1_16block_id_wrapperIjLb0EEEEEvT_jbjPmPT0_T1_
	.p2align	8
	.type	_ZN7rocprim17ROCPRIM_400000_NS6detail25reduce_by_key_init_kernelINS1_19lookback_scan_stateINS0_5tupleIJjdEEELb1ELb0EEEdNS1_16block_id_wrapperIjLb0EEEEEvT_jbjPmPT0_T1_,@function
_ZN7rocprim17ROCPRIM_400000_NS6detail25reduce_by_key_init_kernelINS1_19lookback_scan_stateINS0_5tupleIJjdEEELb1ELb0EEEdNS1_16block_id_wrapperIjLb0EEEEEvT_jbjPmPT0_T1_: ; @_ZN7rocprim17ROCPRIM_400000_NS6detail25reduce_by_key_init_kernelINS1_19lookback_scan_stateINS0_5tupleIJjdEEELb1ELb0EEEdNS1_16block_id_wrapperIjLb0EEEEEvT_jbjPmPT0_T1_
; %bb.0:
	s_load_dwordx8 s[8:15], s[4:5], 0x18
	s_load_dword s0, s[4:5], 0x4c
	s_load_dwordx2 s[16:17], s[4:5], 0x10
	s_waitcnt lgkmcnt(0)
	s_and_b32 s1, s9, 1
	s_and_b32 s0, s0, 0xffff
	s_mul_i32 s6, s6, s0
	s_cmp_eq_u32 s1, 0
	v_add_u32_e32 v0, s6, v0
	s_mov_b64 s[0:1], -1
	s_cbranch_scc1 .LBB31_5
; %bb.1:
	s_andn2_b64 vcc, exec, s[0:1]
	s_cbranch_vccz .LBB31_15
.LBB31_2:
	v_cmp_gt_u32_e32 vcc, s8, v0
	s_and_saveexec_b64 s[0:1], vcc
	s_cbranch_execnz .LBB31_18
.LBB31_3:
	s_or_b64 exec, exec, s[0:1]
	v_cmp_gt_u32_e32 vcc, 64, v0
	s_and_saveexec_b64 s[0:1], vcc
	s_cbranch_execnz .LBB31_19
.LBB31_4:
	s_endpgm
.LBB31_5:
	s_cmp_lt_u32 s10, s8
	s_cselect_b32 s0, s10, 0
	v_cmp_eq_u32_e32 vcc, s0, v0
	s_and_saveexec_b64 s[6:7], vcc
	s_cbranch_execz .LBB31_14
; %bb.6:
	s_add_i32 s10, s10, 64
	v_mov_b32_e32 v1, s10
	global_load_ubyte v1, v1, s[16:17] glc
	s_load_dwordx4 s[0:3], s[4:5], 0x0
	s_add_u32 s4, s16, s10
	s_mov_b32 s11, 0
	s_addc_u32 s5, s17, 0
	s_waitcnt vmcnt(0)
	v_cmp_ne_u16_e32 vcc, 0, v1
	v_readfirstlane_b32 s9, v1
	s_cbranch_vccz .LBB31_8
; %bb.7:
	s_and_b32 s4, 0xffff, s9
	s_branch .LBB31_13
.LBB31_8:
	s_mov_b32 s9, 1
	v_mov_b32_e32 v1, 0
.LBB31_9:                               ; =>This Loop Header: Depth=1
                                        ;     Child Loop BB31_10 Depth 2
	s_max_u32 s18, s9, 1
.LBB31_10:                              ;   Parent Loop BB31_9 Depth=1
                                        ; =>  This Inner Loop Header: Depth=2
	s_add_i32 s18, s18, -1
	s_cmp_eq_u32 s18, 0
	s_sleep 1
	s_cbranch_scc0 .LBB31_10
; %bb.11:                               ;   in Loop: Header=BB31_9 Depth=1
	global_load_ubyte v2, v1, s[4:5] glc
	s_cmp_lt_u32 s9, 32
	s_cselect_b64 s[18:19], -1, 0
	s_cmp_lg_u64 s[18:19], 0
	s_addc_u32 s9, s9, 0
	s_waitcnt vmcnt(0)
	v_cmp_ne_u16_e32 vcc, 0, v2
	v_readfirstlane_b32 s18, v2
	s_cbranch_vccz .LBB31_9
; %bb.12:
	s_and_b32 s4, 0xffff, s18
.LBB31_13:
	s_cmp_eq_u32 s4, 1
	s_waitcnt lgkmcnt(0)
	s_cselect_b32 s3, s1, s3
	s_cselect_b32 s2, s0, s2
	s_lshl_b64 s[0:1], s[10:11], 4
	v_mov_b32_e32 v1, 0
	s_add_u32 s0, s2, s0
	buffer_wbinvl1_vol
	s_addc_u32 s1, s3, s1
	global_load_dwordx2 v[2:3], v1, s[12:13]
	global_load_dword v6, v1, s[0:1]
	global_load_dwordx2 v[4:5], v1, s[0:1] offset:8
	s_waitcnt vmcnt(1)
	v_add_co_u32_e32 v2, vcc, v2, v6
	v_addc_co_u32_e32 v3, vcc, 0, v3, vcc
	global_store_dwordx2 v1, v[2:3], s[12:13]
	s_waitcnt vmcnt(1)
	global_store_dwordx2 v1, v[4:5], s[14:15]
.LBB31_14:
	s_or_b64 exec, exec, s[6:7]
	s_cbranch_execnz .LBB31_2
.LBB31_15:
	s_cmp_lg_u64 s[12:13], 0
	s_cselect_b64 s[0:1], -1, 0
	v_cmp_eq_u32_e32 vcc, 0, v0
	s_and_b64 s[2:3], s[0:1], vcc
	s_and_saveexec_b64 s[0:1], s[2:3]
	s_cbranch_execz .LBB31_17
; %bb.16:
	v_mov_b32_e32 v2, 0
	v_mov_b32_e32 v3, v2
	global_store_dwordx2 v2, v[2:3], s[12:13]
.LBB31_17:
	s_or_b64 exec, exec, s[0:1]
	v_cmp_gt_u32_e32 vcc, s8, v0
	s_and_saveexec_b64 s[0:1], vcc
	s_cbranch_execz .LBB31_3
.LBB31_18:
	v_add_u32_e32 v1, 64, v0
	v_mov_b32_e32 v2, 0
	global_store_byte v1, v2, s[16:17]
	s_or_b64 exec, exec, s[0:1]
	v_cmp_gt_u32_e32 vcc, 64, v0
	s_and_saveexec_b64 s[0:1], vcc
	s_cbranch_execz .LBB31_4
.LBB31_19:
	v_mov_b32_e32 v1, 0xff
	global_store_byte v0, v1, s[16:17]
	s_endpgm
	.section	.rodata,"a",@progbits
	.p2align	6, 0x0
	.amdhsa_kernel _ZN7rocprim17ROCPRIM_400000_NS6detail25reduce_by_key_init_kernelINS1_19lookback_scan_stateINS0_5tupleIJjdEEELb1ELb0EEEdNS1_16block_id_wrapperIjLb0EEEEEvT_jbjPmPT0_T1_
		.amdhsa_group_segment_fixed_size 0
		.amdhsa_private_segment_fixed_size 0
		.amdhsa_kernarg_size 320
		.amdhsa_user_sgpr_count 6
		.amdhsa_user_sgpr_private_segment_buffer 1
		.amdhsa_user_sgpr_dispatch_ptr 0
		.amdhsa_user_sgpr_queue_ptr 0
		.amdhsa_user_sgpr_kernarg_segment_ptr 1
		.amdhsa_user_sgpr_dispatch_id 0
		.amdhsa_user_sgpr_flat_scratch_init 0
		.amdhsa_user_sgpr_kernarg_preload_length 0
		.amdhsa_user_sgpr_kernarg_preload_offset 0
		.amdhsa_user_sgpr_private_segment_size 0
		.amdhsa_uses_dynamic_stack 0
		.amdhsa_system_sgpr_private_segment_wavefront_offset 0
		.amdhsa_system_sgpr_workgroup_id_x 1
		.amdhsa_system_sgpr_workgroup_id_y 0
		.amdhsa_system_sgpr_workgroup_id_z 0
		.amdhsa_system_sgpr_workgroup_info 0
		.amdhsa_system_vgpr_workitem_id 0
		.amdhsa_next_free_vgpr 7
		.amdhsa_next_free_sgpr 20
		.amdhsa_accum_offset 8
		.amdhsa_reserve_vcc 1
		.amdhsa_reserve_flat_scratch 0
		.amdhsa_float_round_mode_32 0
		.amdhsa_float_round_mode_16_64 0
		.amdhsa_float_denorm_mode_32 3
		.amdhsa_float_denorm_mode_16_64 3
		.amdhsa_dx10_clamp 1
		.amdhsa_ieee_mode 1
		.amdhsa_fp16_overflow 0
		.amdhsa_tg_split 0
		.amdhsa_exception_fp_ieee_invalid_op 0
		.amdhsa_exception_fp_denorm_src 0
		.amdhsa_exception_fp_ieee_div_zero 0
		.amdhsa_exception_fp_ieee_overflow 0
		.amdhsa_exception_fp_ieee_underflow 0
		.amdhsa_exception_fp_ieee_inexact 0
		.amdhsa_exception_int_div_zero 0
	.end_amdhsa_kernel
	.section	.text._ZN7rocprim17ROCPRIM_400000_NS6detail25reduce_by_key_init_kernelINS1_19lookback_scan_stateINS0_5tupleIJjdEEELb1ELb0EEEdNS1_16block_id_wrapperIjLb0EEEEEvT_jbjPmPT0_T1_,"axG",@progbits,_ZN7rocprim17ROCPRIM_400000_NS6detail25reduce_by_key_init_kernelINS1_19lookback_scan_stateINS0_5tupleIJjdEEELb1ELb0EEEdNS1_16block_id_wrapperIjLb0EEEEEvT_jbjPmPT0_T1_,comdat
.Lfunc_end31:
	.size	_ZN7rocprim17ROCPRIM_400000_NS6detail25reduce_by_key_init_kernelINS1_19lookback_scan_stateINS0_5tupleIJjdEEELb1ELb0EEEdNS1_16block_id_wrapperIjLb0EEEEEvT_jbjPmPT0_T1_, .Lfunc_end31-_ZN7rocprim17ROCPRIM_400000_NS6detail25reduce_by_key_init_kernelINS1_19lookback_scan_stateINS0_5tupleIJjdEEELb1ELb0EEEdNS1_16block_id_wrapperIjLb0EEEEEvT_jbjPmPT0_T1_
                                        ; -- End function
	.section	.AMDGPU.csdata,"",@progbits
; Kernel info:
; codeLenInByte = 472
; NumSgprs: 24
; NumVgprs: 7
; NumAgprs: 0
; TotalNumVgprs: 7
; ScratchSize: 0
; MemoryBound: 0
; FloatMode: 240
; IeeeMode: 1
; LDSByteSize: 0 bytes/workgroup (compile time only)
; SGPRBlocks: 2
; VGPRBlocks: 0
; NumSGPRsForWavesPerEU: 24
; NumVGPRsForWavesPerEU: 7
; AccumOffset: 8
; Occupancy: 8
; WaveLimiterHint : 0
; COMPUTE_PGM_RSRC2:SCRATCH_EN: 0
; COMPUTE_PGM_RSRC2:USER_SGPR: 6
; COMPUTE_PGM_RSRC2:TRAP_HANDLER: 0
; COMPUTE_PGM_RSRC2:TGID_X_EN: 1
; COMPUTE_PGM_RSRC2:TGID_Y_EN: 0
; COMPUTE_PGM_RSRC2:TGID_Z_EN: 0
; COMPUTE_PGM_RSRC2:TIDIG_COMP_CNT: 0
; COMPUTE_PGM_RSRC3_GFX90A:ACCUM_OFFSET: 1
; COMPUTE_PGM_RSRC3_GFX90A:TG_SPLIT: 0
	.section	.text._ZN7rocprim17ROCPRIM_400000_NS6detail17trampoline_kernelINS0_14default_configENS1_29reduce_by_key_config_selectorIddN6thrust23THRUST_200600_302600_NS4plusIdEEEEZZNS1_33reduce_by_key_impl_wrapped_configILNS1_25lookback_scan_determinismE0ES3_S9_NS6_6detail15normal_iteratorINS6_10device_ptrIdEEEESG_SG_SG_PmS8_NS6_8equal_toIdEEEE10hipError_tPvRmT2_T3_mT4_T5_T6_T7_T8_P12ihipStream_tbENKUlT_T0_E_clISt17integral_constantIbLb1EES10_IbLb0EEEEDaSW_SX_EUlSW_E_NS1_11comp_targetILNS1_3genE0ELNS1_11target_archE4294967295ELNS1_3gpuE0ELNS1_3repE0EEENS1_30default_config_static_selectorELNS0_4arch9wavefront6targetE1EEEvT1_,"axG",@progbits,_ZN7rocprim17ROCPRIM_400000_NS6detail17trampoline_kernelINS0_14default_configENS1_29reduce_by_key_config_selectorIddN6thrust23THRUST_200600_302600_NS4plusIdEEEEZZNS1_33reduce_by_key_impl_wrapped_configILNS1_25lookback_scan_determinismE0ES3_S9_NS6_6detail15normal_iteratorINS6_10device_ptrIdEEEESG_SG_SG_PmS8_NS6_8equal_toIdEEEE10hipError_tPvRmT2_T3_mT4_T5_T6_T7_T8_P12ihipStream_tbENKUlT_T0_E_clISt17integral_constantIbLb1EES10_IbLb0EEEEDaSW_SX_EUlSW_E_NS1_11comp_targetILNS1_3genE0ELNS1_11target_archE4294967295ELNS1_3gpuE0ELNS1_3repE0EEENS1_30default_config_static_selectorELNS0_4arch9wavefront6targetE1EEEvT1_,comdat
	.protected	_ZN7rocprim17ROCPRIM_400000_NS6detail17trampoline_kernelINS0_14default_configENS1_29reduce_by_key_config_selectorIddN6thrust23THRUST_200600_302600_NS4plusIdEEEEZZNS1_33reduce_by_key_impl_wrapped_configILNS1_25lookback_scan_determinismE0ES3_S9_NS6_6detail15normal_iteratorINS6_10device_ptrIdEEEESG_SG_SG_PmS8_NS6_8equal_toIdEEEE10hipError_tPvRmT2_T3_mT4_T5_T6_T7_T8_P12ihipStream_tbENKUlT_T0_E_clISt17integral_constantIbLb1EES10_IbLb0EEEEDaSW_SX_EUlSW_E_NS1_11comp_targetILNS1_3genE0ELNS1_11target_archE4294967295ELNS1_3gpuE0ELNS1_3repE0EEENS1_30default_config_static_selectorELNS0_4arch9wavefront6targetE1EEEvT1_ ; -- Begin function _ZN7rocprim17ROCPRIM_400000_NS6detail17trampoline_kernelINS0_14default_configENS1_29reduce_by_key_config_selectorIddN6thrust23THRUST_200600_302600_NS4plusIdEEEEZZNS1_33reduce_by_key_impl_wrapped_configILNS1_25lookback_scan_determinismE0ES3_S9_NS6_6detail15normal_iteratorINS6_10device_ptrIdEEEESG_SG_SG_PmS8_NS6_8equal_toIdEEEE10hipError_tPvRmT2_T3_mT4_T5_T6_T7_T8_P12ihipStream_tbENKUlT_T0_E_clISt17integral_constantIbLb1EES10_IbLb0EEEEDaSW_SX_EUlSW_E_NS1_11comp_targetILNS1_3genE0ELNS1_11target_archE4294967295ELNS1_3gpuE0ELNS1_3repE0EEENS1_30default_config_static_selectorELNS0_4arch9wavefront6targetE1EEEvT1_
	.globl	_ZN7rocprim17ROCPRIM_400000_NS6detail17trampoline_kernelINS0_14default_configENS1_29reduce_by_key_config_selectorIddN6thrust23THRUST_200600_302600_NS4plusIdEEEEZZNS1_33reduce_by_key_impl_wrapped_configILNS1_25lookback_scan_determinismE0ES3_S9_NS6_6detail15normal_iteratorINS6_10device_ptrIdEEEESG_SG_SG_PmS8_NS6_8equal_toIdEEEE10hipError_tPvRmT2_T3_mT4_T5_T6_T7_T8_P12ihipStream_tbENKUlT_T0_E_clISt17integral_constantIbLb1EES10_IbLb0EEEEDaSW_SX_EUlSW_E_NS1_11comp_targetILNS1_3genE0ELNS1_11target_archE4294967295ELNS1_3gpuE0ELNS1_3repE0EEENS1_30default_config_static_selectorELNS0_4arch9wavefront6targetE1EEEvT1_
	.p2align	8
	.type	_ZN7rocprim17ROCPRIM_400000_NS6detail17trampoline_kernelINS0_14default_configENS1_29reduce_by_key_config_selectorIddN6thrust23THRUST_200600_302600_NS4plusIdEEEEZZNS1_33reduce_by_key_impl_wrapped_configILNS1_25lookback_scan_determinismE0ES3_S9_NS6_6detail15normal_iteratorINS6_10device_ptrIdEEEESG_SG_SG_PmS8_NS6_8equal_toIdEEEE10hipError_tPvRmT2_T3_mT4_T5_T6_T7_T8_P12ihipStream_tbENKUlT_T0_E_clISt17integral_constantIbLb1EES10_IbLb0EEEEDaSW_SX_EUlSW_E_NS1_11comp_targetILNS1_3genE0ELNS1_11target_archE4294967295ELNS1_3gpuE0ELNS1_3repE0EEENS1_30default_config_static_selectorELNS0_4arch9wavefront6targetE1EEEvT1_,@function
_ZN7rocprim17ROCPRIM_400000_NS6detail17trampoline_kernelINS0_14default_configENS1_29reduce_by_key_config_selectorIddN6thrust23THRUST_200600_302600_NS4plusIdEEEEZZNS1_33reduce_by_key_impl_wrapped_configILNS1_25lookback_scan_determinismE0ES3_S9_NS6_6detail15normal_iteratorINS6_10device_ptrIdEEEESG_SG_SG_PmS8_NS6_8equal_toIdEEEE10hipError_tPvRmT2_T3_mT4_T5_T6_T7_T8_P12ihipStream_tbENKUlT_T0_E_clISt17integral_constantIbLb1EES10_IbLb0EEEEDaSW_SX_EUlSW_E_NS1_11comp_targetILNS1_3genE0ELNS1_11target_archE4294967295ELNS1_3gpuE0ELNS1_3repE0EEENS1_30default_config_static_selectorELNS0_4arch9wavefront6targetE1EEEvT1_: ; @_ZN7rocprim17ROCPRIM_400000_NS6detail17trampoline_kernelINS0_14default_configENS1_29reduce_by_key_config_selectorIddN6thrust23THRUST_200600_302600_NS4plusIdEEEEZZNS1_33reduce_by_key_impl_wrapped_configILNS1_25lookback_scan_determinismE0ES3_S9_NS6_6detail15normal_iteratorINS6_10device_ptrIdEEEESG_SG_SG_PmS8_NS6_8equal_toIdEEEE10hipError_tPvRmT2_T3_mT4_T5_T6_T7_T8_P12ihipStream_tbENKUlT_T0_E_clISt17integral_constantIbLb1EES10_IbLb0EEEEDaSW_SX_EUlSW_E_NS1_11comp_targetILNS1_3genE0ELNS1_11target_archE4294967295ELNS1_3gpuE0ELNS1_3repE0EEENS1_30default_config_static_selectorELNS0_4arch9wavefront6targetE1EEEvT1_
; %bb.0:
	.section	.rodata,"a",@progbits
	.p2align	6, 0x0
	.amdhsa_kernel _ZN7rocprim17ROCPRIM_400000_NS6detail17trampoline_kernelINS0_14default_configENS1_29reduce_by_key_config_selectorIddN6thrust23THRUST_200600_302600_NS4plusIdEEEEZZNS1_33reduce_by_key_impl_wrapped_configILNS1_25lookback_scan_determinismE0ES3_S9_NS6_6detail15normal_iteratorINS6_10device_ptrIdEEEESG_SG_SG_PmS8_NS6_8equal_toIdEEEE10hipError_tPvRmT2_T3_mT4_T5_T6_T7_T8_P12ihipStream_tbENKUlT_T0_E_clISt17integral_constantIbLb1EES10_IbLb0EEEEDaSW_SX_EUlSW_E_NS1_11comp_targetILNS1_3genE0ELNS1_11target_archE4294967295ELNS1_3gpuE0ELNS1_3repE0EEENS1_30default_config_static_selectorELNS0_4arch9wavefront6targetE1EEEvT1_
		.amdhsa_group_segment_fixed_size 0
		.amdhsa_private_segment_fixed_size 0
		.amdhsa_kernarg_size 136
		.amdhsa_user_sgpr_count 6
		.amdhsa_user_sgpr_private_segment_buffer 1
		.amdhsa_user_sgpr_dispatch_ptr 0
		.amdhsa_user_sgpr_queue_ptr 0
		.amdhsa_user_sgpr_kernarg_segment_ptr 1
		.amdhsa_user_sgpr_dispatch_id 0
		.amdhsa_user_sgpr_flat_scratch_init 0
		.amdhsa_user_sgpr_kernarg_preload_length 0
		.amdhsa_user_sgpr_kernarg_preload_offset 0
		.amdhsa_user_sgpr_private_segment_size 0
		.amdhsa_uses_dynamic_stack 0
		.amdhsa_system_sgpr_private_segment_wavefront_offset 0
		.amdhsa_system_sgpr_workgroup_id_x 1
		.amdhsa_system_sgpr_workgroup_id_y 0
		.amdhsa_system_sgpr_workgroup_id_z 0
		.amdhsa_system_sgpr_workgroup_info 0
		.amdhsa_system_vgpr_workitem_id 0
		.amdhsa_next_free_vgpr 1
		.amdhsa_next_free_sgpr 0
		.amdhsa_accum_offset 4
		.amdhsa_reserve_vcc 0
		.amdhsa_reserve_flat_scratch 0
		.amdhsa_float_round_mode_32 0
		.amdhsa_float_round_mode_16_64 0
		.amdhsa_float_denorm_mode_32 3
		.amdhsa_float_denorm_mode_16_64 3
		.amdhsa_dx10_clamp 1
		.amdhsa_ieee_mode 1
		.amdhsa_fp16_overflow 0
		.amdhsa_tg_split 0
		.amdhsa_exception_fp_ieee_invalid_op 0
		.amdhsa_exception_fp_denorm_src 0
		.amdhsa_exception_fp_ieee_div_zero 0
		.amdhsa_exception_fp_ieee_overflow 0
		.amdhsa_exception_fp_ieee_underflow 0
		.amdhsa_exception_fp_ieee_inexact 0
		.amdhsa_exception_int_div_zero 0
	.end_amdhsa_kernel
	.section	.text._ZN7rocprim17ROCPRIM_400000_NS6detail17trampoline_kernelINS0_14default_configENS1_29reduce_by_key_config_selectorIddN6thrust23THRUST_200600_302600_NS4plusIdEEEEZZNS1_33reduce_by_key_impl_wrapped_configILNS1_25lookback_scan_determinismE0ES3_S9_NS6_6detail15normal_iteratorINS6_10device_ptrIdEEEESG_SG_SG_PmS8_NS6_8equal_toIdEEEE10hipError_tPvRmT2_T3_mT4_T5_T6_T7_T8_P12ihipStream_tbENKUlT_T0_E_clISt17integral_constantIbLb1EES10_IbLb0EEEEDaSW_SX_EUlSW_E_NS1_11comp_targetILNS1_3genE0ELNS1_11target_archE4294967295ELNS1_3gpuE0ELNS1_3repE0EEENS1_30default_config_static_selectorELNS0_4arch9wavefront6targetE1EEEvT1_,"axG",@progbits,_ZN7rocprim17ROCPRIM_400000_NS6detail17trampoline_kernelINS0_14default_configENS1_29reduce_by_key_config_selectorIddN6thrust23THRUST_200600_302600_NS4plusIdEEEEZZNS1_33reduce_by_key_impl_wrapped_configILNS1_25lookback_scan_determinismE0ES3_S9_NS6_6detail15normal_iteratorINS6_10device_ptrIdEEEESG_SG_SG_PmS8_NS6_8equal_toIdEEEE10hipError_tPvRmT2_T3_mT4_T5_T6_T7_T8_P12ihipStream_tbENKUlT_T0_E_clISt17integral_constantIbLb1EES10_IbLb0EEEEDaSW_SX_EUlSW_E_NS1_11comp_targetILNS1_3genE0ELNS1_11target_archE4294967295ELNS1_3gpuE0ELNS1_3repE0EEENS1_30default_config_static_selectorELNS0_4arch9wavefront6targetE1EEEvT1_,comdat
.Lfunc_end32:
	.size	_ZN7rocprim17ROCPRIM_400000_NS6detail17trampoline_kernelINS0_14default_configENS1_29reduce_by_key_config_selectorIddN6thrust23THRUST_200600_302600_NS4plusIdEEEEZZNS1_33reduce_by_key_impl_wrapped_configILNS1_25lookback_scan_determinismE0ES3_S9_NS6_6detail15normal_iteratorINS6_10device_ptrIdEEEESG_SG_SG_PmS8_NS6_8equal_toIdEEEE10hipError_tPvRmT2_T3_mT4_T5_T6_T7_T8_P12ihipStream_tbENKUlT_T0_E_clISt17integral_constantIbLb1EES10_IbLb0EEEEDaSW_SX_EUlSW_E_NS1_11comp_targetILNS1_3genE0ELNS1_11target_archE4294967295ELNS1_3gpuE0ELNS1_3repE0EEENS1_30default_config_static_selectorELNS0_4arch9wavefront6targetE1EEEvT1_, .Lfunc_end32-_ZN7rocprim17ROCPRIM_400000_NS6detail17trampoline_kernelINS0_14default_configENS1_29reduce_by_key_config_selectorIddN6thrust23THRUST_200600_302600_NS4plusIdEEEEZZNS1_33reduce_by_key_impl_wrapped_configILNS1_25lookback_scan_determinismE0ES3_S9_NS6_6detail15normal_iteratorINS6_10device_ptrIdEEEESG_SG_SG_PmS8_NS6_8equal_toIdEEEE10hipError_tPvRmT2_T3_mT4_T5_T6_T7_T8_P12ihipStream_tbENKUlT_T0_E_clISt17integral_constantIbLb1EES10_IbLb0EEEEDaSW_SX_EUlSW_E_NS1_11comp_targetILNS1_3genE0ELNS1_11target_archE4294967295ELNS1_3gpuE0ELNS1_3repE0EEENS1_30default_config_static_selectorELNS0_4arch9wavefront6targetE1EEEvT1_
                                        ; -- End function
	.section	.AMDGPU.csdata,"",@progbits
; Kernel info:
; codeLenInByte = 0
; NumSgprs: 4
; NumVgprs: 0
; NumAgprs: 0
; TotalNumVgprs: 0
; ScratchSize: 0
; MemoryBound: 0
; FloatMode: 240
; IeeeMode: 1
; LDSByteSize: 0 bytes/workgroup (compile time only)
; SGPRBlocks: 0
; VGPRBlocks: 0
; NumSGPRsForWavesPerEU: 4
; NumVGPRsForWavesPerEU: 1
; AccumOffset: 4
; Occupancy: 8
; WaveLimiterHint : 0
; COMPUTE_PGM_RSRC2:SCRATCH_EN: 0
; COMPUTE_PGM_RSRC2:USER_SGPR: 6
; COMPUTE_PGM_RSRC2:TRAP_HANDLER: 0
; COMPUTE_PGM_RSRC2:TGID_X_EN: 1
; COMPUTE_PGM_RSRC2:TGID_Y_EN: 0
; COMPUTE_PGM_RSRC2:TGID_Z_EN: 0
; COMPUTE_PGM_RSRC2:TIDIG_COMP_CNT: 0
; COMPUTE_PGM_RSRC3_GFX90A:ACCUM_OFFSET: 0
; COMPUTE_PGM_RSRC3_GFX90A:TG_SPLIT: 0
	.section	.text._ZN7rocprim17ROCPRIM_400000_NS6detail17trampoline_kernelINS0_14default_configENS1_29reduce_by_key_config_selectorIddN6thrust23THRUST_200600_302600_NS4plusIdEEEEZZNS1_33reduce_by_key_impl_wrapped_configILNS1_25lookback_scan_determinismE0ES3_S9_NS6_6detail15normal_iteratorINS6_10device_ptrIdEEEESG_SG_SG_PmS8_NS6_8equal_toIdEEEE10hipError_tPvRmT2_T3_mT4_T5_T6_T7_T8_P12ihipStream_tbENKUlT_T0_E_clISt17integral_constantIbLb1EES10_IbLb0EEEEDaSW_SX_EUlSW_E_NS1_11comp_targetILNS1_3genE5ELNS1_11target_archE942ELNS1_3gpuE9ELNS1_3repE0EEENS1_30default_config_static_selectorELNS0_4arch9wavefront6targetE1EEEvT1_,"axG",@progbits,_ZN7rocprim17ROCPRIM_400000_NS6detail17trampoline_kernelINS0_14default_configENS1_29reduce_by_key_config_selectorIddN6thrust23THRUST_200600_302600_NS4plusIdEEEEZZNS1_33reduce_by_key_impl_wrapped_configILNS1_25lookback_scan_determinismE0ES3_S9_NS6_6detail15normal_iteratorINS6_10device_ptrIdEEEESG_SG_SG_PmS8_NS6_8equal_toIdEEEE10hipError_tPvRmT2_T3_mT4_T5_T6_T7_T8_P12ihipStream_tbENKUlT_T0_E_clISt17integral_constantIbLb1EES10_IbLb0EEEEDaSW_SX_EUlSW_E_NS1_11comp_targetILNS1_3genE5ELNS1_11target_archE942ELNS1_3gpuE9ELNS1_3repE0EEENS1_30default_config_static_selectorELNS0_4arch9wavefront6targetE1EEEvT1_,comdat
	.protected	_ZN7rocprim17ROCPRIM_400000_NS6detail17trampoline_kernelINS0_14default_configENS1_29reduce_by_key_config_selectorIddN6thrust23THRUST_200600_302600_NS4plusIdEEEEZZNS1_33reduce_by_key_impl_wrapped_configILNS1_25lookback_scan_determinismE0ES3_S9_NS6_6detail15normal_iteratorINS6_10device_ptrIdEEEESG_SG_SG_PmS8_NS6_8equal_toIdEEEE10hipError_tPvRmT2_T3_mT4_T5_T6_T7_T8_P12ihipStream_tbENKUlT_T0_E_clISt17integral_constantIbLb1EES10_IbLb0EEEEDaSW_SX_EUlSW_E_NS1_11comp_targetILNS1_3genE5ELNS1_11target_archE942ELNS1_3gpuE9ELNS1_3repE0EEENS1_30default_config_static_selectorELNS0_4arch9wavefront6targetE1EEEvT1_ ; -- Begin function _ZN7rocprim17ROCPRIM_400000_NS6detail17trampoline_kernelINS0_14default_configENS1_29reduce_by_key_config_selectorIddN6thrust23THRUST_200600_302600_NS4plusIdEEEEZZNS1_33reduce_by_key_impl_wrapped_configILNS1_25lookback_scan_determinismE0ES3_S9_NS6_6detail15normal_iteratorINS6_10device_ptrIdEEEESG_SG_SG_PmS8_NS6_8equal_toIdEEEE10hipError_tPvRmT2_T3_mT4_T5_T6_T7_T8_P12ihipStream_tbENKUlT_T0_E_clISt17integral_constantIbLb1EES10_IbLb0EEEEDaSW_SX_EUlSW_E_NS1_11comp_targetILNS1_3genE5ELNS1_11target_archE942ELNS1_3gpuE9ELNS1_3repE0EEENS1_30default_config_static_selectorELNS0_4arch9wavefront6targetE1EEEvT1_
	.globl	_ZN7rocprim17ROCPRIM_400000_NS6detail17trampoline_kernelINS0_14default_configENS1_29reduce_by_key_config_selectorIddN6thrust23THRUST_200600_302600_NS4plusIdEEEEZZNS1_33reduce_by_key_impl_wrapped_configILNS1_25lookback_scan_determinismE0ES3_S9_NS6_6detail15normal_iteratorINS6_10device_ptrIdEEEESG_SG_SG_PmS8_NS6_8equal_toIdEEEE10hipError_tPvRmT2_T3_mT4_T5_T6_T7_T8_P12ihipStream_tbENKUlT_T0_E_clISt17integral_constantIbLb1EES10_IbLb0EEEEDaSW_SX_EUlSW_E_NS1_11comp_targetILNS1_3genE5ELNS1_11target_archE942ELNS1_3gpuE9ELNS1_3repE0EEENS1_30default_config_static_selectorELNS0_4arch9wavefront6targetE1EEEvT1_
	.p2align	8
	.type	_ZN7rocprim17ROCPRIM_400000_NS6detail17trampoline_kernelINS0_14default_configENS1_29reduce_by_key_config_selectorIddN6thrust23THRUST_200600_302600_NS4plusIdEEEEZZNS1_33reduce_by_key_impl_wrapped_configILNS1_25lookback_scan_determinismE0ES3_S9_NS6_6detail15normal_iteratorINS6_10device_ptrIdEEEESG_SG_SG_PmS8_NS6_8equal_toIdEEEE10hipError_tPvRmT2_T3_mT4_T5_T6_T7_T8_P12ihipStream_tbENKUlT_T0_E_clISt17integral_constantIbLb1EES10_IbLb0EEEEDaSW_SX_EUlSW_E_NS1_11comp_targetILNS1_3genE5ELNS1_11target_archE942ELNS1_3gpuE9ELNS1_3repE0EEENS1_30default_config_static_selectorELNS0_4arch9wavefront6targetE1EEEvT1_,@function
_ZN7rocprim17ROCPRIM_400000_NS6detail17trampoline_kernelINS0_14default_configENS1_29reduce_by_key_config_selectorIddN6thrust23THRUST_200600_302600_NS4plusIdEEEEZZNS1_33reduce_by_key_impl_wrapped_configILNS1_25lookback_scan_determinismE0ES3_S9_NS6_6detail15normal_iteratorINS6_10device_ptrIdEEEESG_SG_SG_PmS8_NS6_8equal_toIdEEEE10hipError_tPvRmT2_T3_mT4_T5_T6_T7_T8_P12ihipStream_tbENKUlT_T0_E_clISt17integral_constantIbLb1EES10_IbLb0EEEEDaSW_SX_EUlSW_E_NS1_11comp_targetILNS1_3genE5ELNS1_11target_archE942ELNS1_3gpuE9ELNS1_3repE0EEENS1_30default_config_static_selectorELNS0_4arch9wavefront6targetE1EEEvT1_: ; @_ZN7rocprim17ROCPRIM_400000_NS6detail17trampoline_kernelINS0_14default_configENS1_29reduce_by_key_config_selectorIddN6thrust23THRUST_200600_302600_NS4plusIdEEEEZZNS1_33reduce_by_key_impl_wrapped_configILNS1_25lookback_scan_determinismE0ES3_S9_NS6_6detail15normal_iteratorINS6_10device_ptrIdEEEESG_SG_SG_PmS8_NS6_8equal_toIdEEEE10hipError_tPvRmT2_T3_mT4_T5_T6_T7_T8_P12ihipStream_tbENKUlT_T0_E_clISt17integral_constantIbLb1EES10_IbLb0EEEEDaSW_SX_EUlSW_E_NS1_11comp_targetILNS1_3genE5ELNS1_11target_archE942ELNS1_3gpuE9ELNS1_3repE0EEENS1_30default_config_static_selectorELNS0_4arch9wavefront6targetE1EEEvT1_
; %bb.0:
	.section	.rodata,"a",@progbits
	.p2align	6, 0x0
	.amdhsa_kernel _ZN7rocprim17ROCPRIM_400000_NS6detail17trampoline_kernelINS0_14default_configENS1_29reduce_by_key_config_selectorIddN6thrust23THRUST_200600_302600_NS4plusIdEEEEZZNS1_33reduce_by_key_impl_wrapped_configILNS1_25lookback_scan_determinismE0ES3_S9_NS6_6detail15normal_iteratorINS6_10device_ptrIdEEEESG_SG_SG_PmS8_NS6_8equal_toIdEEEE10hipError_tPvRmT2_T3_mT4_T5_T6_T7_T8_P12ihipStream_tbENKUlT_T0_E_clISt17integral_constantIbLb1EES10_IbLb0EEEEDaSW_SX_EUlSW_E_NS1_11comp_targetILNS1_3genE5ELNS1_11target_archE942ELNS1_3gpuE9ELNS1_3repE0EEENS1_30default_config_static_selectorELNS0_4arch9wavefront6targetE1EEEvT1_
		.amdhsa_group_segment_fixed_size 0
		.amdhsa_private_segment_fixed_size 0
		.amdhsa_kernarg_size 136
		.amdhsa_user_sgpr_count 6
		.amdhsa_user_sgpr_private_segment_buffer 1
		.amdhsa_user_sgpr_dispatch_ptr 0
		.amdhsa_user_sgpr_queue_ptr 0
		.amdhsa_user_sgpr_kernarg_segment_ptr 1
		.amdhsa_user_sgpr_dispatch_id 0
		.amdhsa_user_sgpr_flat_scratch_init 0
		.amdhsa_user_sgpr_kernarg_preload_length 0
		.amdhsa_user_sgpr_kernarg_preload_offset 0
		.amdhsa_user_sgpr_private_segment_size 0
		.amdhsa_uses_dynamic_stack 0
		.amdhsa_system_sgpr_private_segment_wavefront_offset 0
		.amdhsa_system_sgpr_workgroup_id_x 1
		.amdhsa_system_sgpr_workgroup_id_y 0
		.amdhsa_system_sgpr_workgroup_id_z 0
		.amdhsa_system_sgpr_workgroup_info 0
		.amdhsa_system_vgpr_workitem_id 0
		.amdhsa_next_free_vgpr 1
		.amdhsa_next_free_sgpr 0
		.amdhsa_accum_offset 4
		.amdhsa_reserve_vcc 0
		.amdhsa_reserve_flat_scratch 0
		.amdhsa_float_round_mode_32 0
		.amdhsa_float_round_mode_16_64 0
		.amdhsa_float_denorm_mode_32 3
		.amdhsa_float_denorm_mode_16_64 3
		.amdhsa_dx10_clamp 1
		.amdhsa_ieee_mode 1
		.amdhsa_fp16_overflow 0
		.amdhsa_tg_split 0
		.amdhsa_exception_fp_ieee_invalid_op 0
		.amdhsa_exception_fp_denorm_src 0
		.amdhsa_exception_fp_ieee_div_zero 0
		.amdhsa_exception_fp_ieee_overflow 0
		.amdhsa_exception_fp_ieee_underflow 0
		.amdhsa_exception_fp_ieee_inexact 0
		.amdhsa_exception_int_div_zero 0
	.end_amdhsa_kernel
	.section	.text._ZN7rocprim17ROCPRIM_400000_NS6detail17trampoline_kernelINS0_14default_configENS1_29reduce_by_key_config_selectorIddN6thrust23THRUST_200600_302600_NS4plusIdEEEEZZNS1_33reduce_by_key_impl_wrapped_configILNS1_25lookback_scan_determinismE0ES3_S9_NS6_6detail15normal_iteratorINS6_10device_ptrIdEEEESG_SG_SG_PmS8_NS6_8equal_toIdEEEE10hipError_tPvRmT2_T3_mT4_T5_T6_T7_T8_P12ihipStream_tbENKUlT_T0_E_clISt17integral_constantIbLb1EES10_IbLb0EEEEDaSW_SX_EUlSW_E_NS1_11comp_targetILNS1_3genE5ELNS1_11target_archE942ELNS1_3gpuE9ELNS1_3repE0EEENS1_30default_config_static_selectorELNS0_4arch9wavefront6targetE1EEEvT1_,"axG",@progbits,_ZN7rocprim17ROCPRIM_400000_NS6detail17trampoline_kernelINS0_14default_configENS1_29reduce_by_key_config_selectorIddN6thrust23THRUST_200600_302600_NS4plusIdEEEEZZNS1_33reduce_by_key_impl_wrapped_configILNS1_25lookback_scan_determinismE0ES3_S9_NS6_6detail15normal_iteratorINS6_10device_ptrIdEEEESG_SG_SG_PmS8_NS6_8equal_toIdEEEE10hipError_tPvRmT2_T3_mT4_T5_T6_T7_T8_P12ihipStream_tbENKUlT_T0_E_clISt17integral_constantIbLb1EES10_IbLb0EEEEDaSW_SX_EUlSW_E_NS1_11comp_targetILNS1_3genE5ELNS1_11target_archE942ELNS1_3gpuE9ELNS1_3repE0EEENS1_30default_config_static_selectorELNS0_4arch9wavefront6targetE1EEEvT1_,comdat
.Lfunc_end33:
	.size	_ZN7rocprim17ROCPRIM_400000_NS6detail17trampoline_kernelINS0_14default_configENS1_29reduce_by_key_config_selectorIddN6thrust23THRUST_200600_302600_NS4plusIdEEEEZZNS1_33reduce_by_key_impl_wrapped_configILNS1_25lookback_scan_determinismE0ES3_S9_NS6_6detail15normal_iteratorINS6_10device_ptrIdEEEESG_SG_SG_PmS8_NS6_8equal_toIdEEEE10hipError_tPvRmT2_T3_mT4_T5_T6_T7_T8_P12ihipStream_tbENKUlT_T0_E_clISt17integral_constantIbLb1EES10_IbLb0EEEEDaSW_SX_EUlSW_E_NS1_11comp_targetILNS1_3genE5ELNS1_11target_archE942ELNS1_3gpuE9ELNS1_3repE0EEENS1_30default_config_static_selectorELNS0_4arch9wavefront6targetE1EEEvT1_, .Lfunc_end33-_ZN7rocprim17ROCPRIM_400000_NS6detail17trampoline_kernelINS0_14default_configENS1_29reduce_by_key_config_selectorIddN6thrust23THRUST_200600_302600_NS4plusIdEEEEZZNS1_33reduce_by_key_impl_wrapped_configILNS1_25lookback_scan_determinismE0ES3_S9_NS6_6detail15normal_iteratorINS6_10device_ptrIdEEEESG_SG_SG_PmS8_NS6_8equal_toIdEEEE10hipError_tPvRmT2_T3_mT4_T5_T6_T7_T8_P12ihipStream_tbENKUlT_T0_E_clISt17integral_constantIbLb1EES10_IbLb0EEEEDaSW_SX_EUlSW_E_NS1_11comp_targetILNS1_3genE5ELNS1_11target_archE942ELNS1_3gpuE9ELNS1_3repE0EEENS1_30default_config_static_selectorELNS0_4arch9wavefront6targetE1EEEvT1_
                                        ; -- End function
	.section	.AMDGPU.csdata,"",@progbits
; Kernel info:
; codeLenInByte = 0
; NumSgprs: 4
; NumVgprs: 0
; NumAgprs: 0
; TotalNumVgprs: 0
; ScratchSize: 0
; MemoryBound: 0
; FloatMode: 240
; IeeeMode: 1
; LDSByteSize: 0 bytes/workgroup (compile time only)
; SGPRBlocks: 0
; VGPRBlocks: 0
; NumSGPRsForWavesPerEU: 4
; NumVGPRsForWavesPerEU: 1
; AccumOffset: 4
; Occupancy: 8
; WaveLimiterHint : 0
; COMPUTE_PGM_RSRC2:SCRATCH_EN: 0
; COMPUTE_PGM_RSRC2:USER_SGPR: 6
; COMPUTE_PGM_RSRC2:TRAP_HANDLER: 0
; COMPUTE_PGM_RSRC2:TGID_X_EN: 1
; COMPUTE_PGM_RSRC2:TGID_Y_EN: 0
; COMPUTE_PGM_RSRC2:TGID_Z_EN: 0
; COMPUTE_PGM_RSRC2:TIDIG_COMP_CNT: 0
; COMPUTE_PGM_RSRC3_GFX90A:ACCUM_OFFSET: 0
; COMPUTE_PGM_RSRC3_GFX90A:TG_SPLIT: 0
	.section	.text._ZN7rocprim17ROCPRIM_400000_NS6detail17trampoline_kernelINS0_14default_configENS1_29reduce_by_key_config_selectorIddN6thrust23THRUST_200600_302600_NS4plusIdEEEEZZNS1_33reduce_by_key_impl_wrapped_configILNS1_25lookback_scan_determinismE0ES3_S9_NS6_6detail15normal_iteratorINS6_10device_ptrIdEEEESG_SG_SG_PmS8_NS6_8equal_toIdEEEE10hipError_tPvRmT2_T3_mT4_T5_T6_T7_T8_P12ihipStream_tbENKUlT_T0_E_clISt17integral_constantIbLb1EES10_IbLb0EEEEDaSW_SX_EUlSW_E_NS1_11comp_targetILNS1_3genE4ELNS1_11target_archE910ELNS1_3gpuE8ELNS1_3repE0EEENS1_30default_config_static_selectorELNS0_4arch9wavefront6targetE1EEEvT1_,"axG",@progbits,_ZN7rocprim17ROCPRIM_400000_NS6detail17trampoline_kernelINS0_14default_configENS1_29reduce_by_key_config_selectorIddN6thrust23THRUST_200600_302600_NS4plusIdEEEEZZNS1_33reduce_by_key_impl_wrapped_configILNS1_25lookback_scan_determinismE0ES3_S9_NS6_6detail15normal_iteratorINS6_10device_ptrIdEEEESG_SG_SG_PmS8_NS6_8equal_toIdEEEE10hipError_tPvRmT2_T3_mT4_T5_T6_T7_T8_P12ihipStream_tbENKUlT_T0_E_clISt17integral_constantIbLb1EES10_IbLb0EEEEDaSW_SX_EUlSW_E_NS1_11comp_targetILNS1_3genE4ELNS1_11target_archE910ELNS1_3gpuE8ELNS1_3repE0EEENS1_30default_config_static_selectorELNS0_4arch9wavefront6targetE1EEEvT1_,comdat
	.protected	_ZN7rocprim17ROCPRIM_400000_NS6detail17trampoline_kernelINS0_14default_configENS1_29reduce_by_key_config_selectorIddN6thrust23THRUST_200600_302600_NS4plusIdEEEEZZNS1_33reduce_by_key_impl_wrapped_configILNS1_25lookback_scan_determinismE0ES3_S9_NS6_6detail15normal_iteratorINS6_10device_ptrIdEEEESG_SG_SG_PmS8_NS6_8equal_toIdEEEE10hipError_tPvRmT2_T3_mT4_T5_T6_T7_T8_P12ihipStream_tbENKUlT_T0_E_clISt17integral_constantIbLb1EES10_IbLb0EEEEDaSW_SX_EUlSW_E_NS1_11comp_targetILNS1_3genE4ELNS1_11target_archE910ELNS1_3gpuE8ELNS1_3repE0EEENS1_30default_config_static_selectorELNS0_4arch9wavefront6targetE1EEEvT1_ ; -- Begin function _ZN7rocprim17ROCPRIM_400000_NS6detail17trampoline_kernelINS0_14default_configENS1_29reduce_by_key_config_selectorIddN6thrust23THRUST_200600_302600_NS4plusIdEEEEZZNS1_33reduce_by_key_impl_wrapped_configILNS1_25lookback_scan_determinismE0ES3_S9_NS6_6detail15normal_iteratorINS6_10device_ptrIdEEEESG_SG_SG_PmS8_NS6_8equal_toIdEEEE10hipError_tPvRmT2_T3_mT4_T5_T6_T7_T8_P12ihipStream_tbENKUlT_T0_E_clISt17integral_constantIbLb1EES10_IbLb0EEEEDaSW_SX_EUlSW_E_NS1_11comp_targetILNS1_3genE4ELNS1_11target_archE910ELNS1_3gpuE8ELNS1_3repE0EEENS1_30default_config_static_selectorELNS0_4arch9wavefront6targetE1EEEvT1_
	.globl	_ZN7rocprim17ROCPRIM_400000_NS6detail17trampoline_kernelINS0_14default_configENS1_29reduce_by_key_config_selectorIddN6thrust23THRUST_200600_302600_NS4plusIdEEEEZZNS1_33reduce_by_key_impl_wrapped_configILNS1_25lookback_scan_determinismE0ES3_S9_NS6_6detail15normal_iteratorINS6_10device_ptrIdEEEESG_SG_SG_PmS8_NS6_8equal_toIdEEEE10hipError_tPvRmT2_T3_mT4_T5_T6_T7_T8_P12ihipStream_tbENKUlT_T0_E_clISt17integral_constantIbLb1EES10_IbLb0EEEEDaSW_SX_EUlSW_E_NS1_11comp_targetILNS1_3genE4ELNS1_11target_archE910ELNS1_3gpuE8ELNS1_3repE0EEENS1_30default_config_static_selectorELNS0_4arch9wavefront6targetE1EEEvT1_
	.p2align	8
	.type	_ZN7rocprim17ROCPRIM_400000_NS6detail17trampoline_kernelINS0_14default_configENS1_29reduce_by_key_config_selectorIddN6thrust23THRUST_200600_302600_NS4plusIdEEEEZZNS1_33reduce_by_key_impl_wrapped_configILNS1_25lookback_scan_determinismE0ES3_S9_NS6_6detail15normal_iteratorINS6_10device_ptrIdEEEESG_SG_SG_PmS8_NS6_8equal_toIdEEEE10hipError_tPvRmT2_T3_mT4_T5_T6_T7_T8_P12ihipStream_tbENKUlT_T0_E_clISt17integral_constantIbLb1EES10_IbLb0EEEEDaSW_SX_EUlSW_E_NS1_11comp_targetILNS1_3genE4ELNS1_11target_archE910ELNS1_3gpuE8ELNS1_3repE0EEENS1_30default_config_static_selectorELNS0_4arch9wavefront6targetE1EEEvT1_,@function
_ZN7rocprim17ROCPRIM_400000_NS6detail17trampoline_kernelINS0_14default_configENS1_29reduce_by_key_config_selectorIddN6thrust23THRUST_200600_302600_NS4plusIdEEEEZZNS1_33reduce_by_key_impl_wrapped_configILNS1_25lookback_scan_determinismE0ES3_S9_NS6_6detail15normal_iteratorINS6_10device_ptrIdEEEESG_SG_SG_PmS8_NS6_8equal_toIdEEEE10hipError_tPvRmT2_T3_mT4_T5_T6_T7_T8_P12ihipStream_tbENKUlT_T0_E_clISt17integral_constantIbLb1EES10_IbLb0EEEEDaSW_SX_EUlSW_E_NS1_11comp_targetILNS1_3genE4ELNS1_11target_archE910ELNS1_3gpuE8ELNS1_3repE0EEENS1_30default_config_static_selectorELNS0_4arch9wavefront6targetE1EEEvT1_: ; @_ZN7rocprim17ROCPRIM_400000_NS6detail17trampoline_kernelINS0_14default_configENS1_29reduce_by_key_config_selectorIddN6thrust23THRUST_200600_302600_NS4plusIdEEEEZZNS1_33reduce_by_key_impl_wrapped_configILNS1_25lookback_scan_determinismE0ES3_S9_NS6_6detail15normal_iteratorINS6_10device_ptrIdEEEESG_SG_SG_PmS8_NS6_8equal_toIdEEEE10hipError_tPvRmT2_T3_mT4_T5_T6_T7_T8_P12ihipStream_tbENKUlT_T0_E_clISt17integral_constantIbLb1EES10_IbLb0EEEEDaSW_SX_EUlSW_E_NS1_11comp_targetILNS1_3genE4ELNS1_11target_archE910ELNS1_3gpuE8ELNS1_3repE0EEENS1_30default_config_static_selectorELNS0_4arch9wavefront6targetE1EEEvT1_
; %bb.0:
	s_load_dwordx8 s[52:59], s[4:5], 0x0
	s_load_dwordx4 s[60:63], s[4:5], 0x20
	s_load_dwordx16 s[36:51], s[4:5], 0x38
	s_waitcnt lgkmcnt(0)
	s_lshl_b64 s[0:1], s[54:55], 3
	s_add_u32 s2, s52, s0
	s_addc_u32 s3, s53, s1
	s_add_u32 s8, s56, s0
	s_addc_u32 s9, s57, s1
	s_mul_i32 s0, s44, s43
	s_mul_hi_u32 s1, s44, s42
	s_add_i32 s0, s1, s0
	s_mul_i32 s1, s45, s42
	s_add_i32 s10, s0, s1
	s_mul_i32 s0, s6, 0xf00
	s_mov_b32 s1, 0
	s_lshl_b64 s[0:1], s[0:1], 3
	s_add_u32 s7, s2, s0
	s_addc_u32 s56, s3, s1
	s_add_u32 s57, s8, s0
	s_mul_i32 s11, s44, s42
	s_addc_u32 s64, s9, s1
	s_add_u32 s52, s11, s6
	s_addc_u32 s53, s10, 0
	s_add_u32 s2, s46, -1
	s_addc_u32 s3, s47, -1
	s_cmp_eq_u64 s[52:53], s[2:3]
	s_cselect_b64 s[34:35], -1, 0
	s_cmp_lg_u64 s[52:53], s[2:3]
	s_mov_b64 s[0:1], -1
	s_cselect_b64 s[54:55], -1, 0
	s_mul_i32 s33, s2, 0xfffff100
	s_and_b64 vcc, exec, s[34:35]
	s_cbranch_vccnz .LBB34_2
; %bb.1:
	v_lshlrev_b32_e32 v80, 3, v0
	v_mov_b32_e32 v1, s56
	v_add_co_u32_e32 v2, vcc, s7, v80
	v_addc_co_u32_e32 v3, vcc, 0, v1, vcc
	v_add_co_u32_e32 v4, vcc, 0x1000, v2
	v_addc_co_u32_e32 v5, vcc, 0, v3, vcc
	flat_load_dwordx2 v[6:7], v[2:3]
	flat_load_dwordx2 v[8:9], v[2:3] offset:2048
	flat_load_dwordx2 v[10:11], v[4:5]
	flat_load_dwordx2 v[12:13], v[4:5] offset:2048
	v_add_co_u32_e32 v4, vcc, 0x2000, v2
	v_addc_co_u32_e32 v5, vcc, 0, v3, vcc
	v_add_co_u32_e32 v14, vcc, 0x3000, v2
	v_addc_co_u32_e32 v15, vcc, 0, v3, vcc
	flat_load_dwordx2 v[16:17], v[4:5]
	flat_load_dwordx2 v[18:19], v[4:5] offset:2048
	flat_load_dwordx2 v[20:21], v[14:15]
	flat_load_dwordx2 v[22:23], v[14:15] offset:2048
	;; [unrolled: 8-line block ×3, first 2 shown]
	v_add_co_u32_e32 v4, vcc, 0x6000, v2
	v_addc_co_u32_e32 v5, vcc, 0, v3, vcc
	v_add_co_u32_e32 v2, vcc, 0x7000, v2
	v_addc_co_u32_e32 v3, vcc, 0, v3, vcc
	flat_load_dwordx2 v[14:15], v[4:5]
	flat_load_dwordx2 v[32:33], v[4:5] offset:2048
	flat_load_dwordx2 v[34:35], v[2:3]
	v_mov_b32_e32 v36, s64
	s_movk_i32 s0, 0x1000
	s_movk_i32 s11, 0x70
	;; [unrolled: 1-line block ×3, first 2 shown]
	v_mad_u32_u24 v1, v0, s11, v80
	s_movk_i32 s2, 0x3000
	s_movk_i32 s3, 0x4000
	s_movk_i32 s8, 0x5000
	s_movk_i32 s9, 0x6000
	s_movk_i32 s10, 0x7000
	s_waitcnt vmcnt(0) lgkmcnt(0)
	ds_write2st64_b64 v80, v[6:7], v[8:9] offset1:4
	ds_write2st64_b64 v80, v[10:11], v[12:13] offset0:8 offset1:12
	ds_write2st64_b64 v80, v[16:17], v[18:19] offset0:16 offset1:20
	;; [unrolled: 1-line block ×6, first 2 shown]
	ds_write_b64 v80, v[34:35] offset:28672
	v_add_co_u32_e32 v30, vcc, s57, v80
	v_addc_co_u32_e32 v31, vcc, 0, v36, vcc
	v_add_co_u32_e32 v32, vcc, s0, v30
	v_addc_co_u32_e32 v33, vcc, 0, v31, vcc
	s_waitcnt lgkmcnt(0)
	s_barrier
	ds_read2_b64 v[26:29], v1 offset1:1
	ds_read2_b64 v[22:25], v1 offset0:2 offset1:3
	ds_read2_b64 v[18:21], v1 offset0:4 offset1:5
	ds_read2_b64 v[14:17], v1 offset0:6 offset1:7
	ds_read2_b64 v[10:13], v1 offset0:8 offset1:9
	ds_read2_b64 v[6:9], v1 offset0:10 offset1:11
	ds_read2_b64 v[2:5], v1 offset0:12 offset1:13
	ds_read_b64 v[74:75], v1 offset:112
	s_waitcnt lgkmcnt(0)
	s_barrier
	flat_load_dwordx2 v[34:35], v[30:31]
	flat_load_dwordx2 v[36:37], v[30:31] offset:2048
	flat_load_dwordx2 v[38:39], v[32:33]
	flat_load_dwordx2 v[40:41], v[32:33] offset:2048
	v_add_co_u32_e32 v32, vcc, s1, v30
	v_addc_co_u32_e32 v33, vcc, 0, v31, vcc
	v_add_co_u32_e32 v42, vcc, s2, v30
	v_addc_co_u32_e32 v43, vcc, 0, v31, vcc
	flat_load_dwordx2 v[44:45], v[32:33]
	flat_load_dwordx2 v[46:47], v[32:33] offset:2048
	flat_load_dwordx2 v[48:49], v[42:43]
	flat_load_dwordx2 v[50:51], v[42:43] offset:2048
	v_add_co_u32_e32 v32, vcc, s3, v30
	v_addc_co_u32_e32 v33, vcc, 0, v31, vcc
	v_add_co_u32_e32 v42, vcc, s8, v30
	v_addc_co_u32_e32 v43, vcc, 0, v31, vcc
	;; [unrolled: 8-line block ×3, first 2 shown]
	flat_load_dwordx2 v[42:43], v[32:33]
	flat_load_dwordx2 v[76:77], v[32:33] offset:2048
	flat_load_dwordx2 v[78:79], v[30:31]
	v_mov_b32_e32 v58, v26
	v_mov_b32_e32 v59, v27
	;; [unrolled: 1-line block ×14, first 2 shown]
	s_waitcnt vmcnt(0) lgkmcnt(0)
	ds_write2st64_b64 v80, v[34:35], v[36:37] offset1:4
	ds_write2st64_b64 v80, v[38:39], v[40:41] offset0:8 offset1:12
	ds_write2st64_b64 v80, v[44:45], v[46:47] offset0:16 offset1:20
	;; [unrolled: 1-line block ×6, first 2 shown]
	ds_write_b64 v80, v[78:79] offset:28672
	s_waitcnt lgkmcnt(0)
	s_barrier
	s_load_dwordx2 s[46:47], s[4:5], 0x78
	s_add_i32 s33, s33, s48
	s_cbranch_execz .LBB34_3
	s_branch .LBB34_50
.LBB34_2:
                                        ; implicit-def: $vgpr74_vgpr75
                                        ; implicit-def: $vgpr2_vgpr3
                                        ; implicit-def: $vgpr6_vgpr7
                                        ; implicit-def: $vgpr10_vgpr11
                                        ; implicit-def: $vgpr14_vgpr15
                                        ; implicit-def: $vgpr18_vgpr19
                                        ; implicit-def: $vgpr22_vgpr23
                                        ; implicit-def: $vgpr26_vgpr27
                                        ; implicit-def: $vgpr1
                                        ; implicit-def: $vgpr66_vgpr67_vgpr68_vgpr69
                                        ; implicit-def: $vgpr62_vgpr63_vgpr64_vgpr65
                                        ; implicit-def: $vgpr58_vgpr59_vgpr60_vgpr61
                                        ; implicit-def: $vgpr70_vgpr71_vgpr72_vgpr73
	s_load_dwordx2 s[46:47], s[4:5], 0x78
	s_andn2_b64 vcc, exec, s[0:1]
	s_add_i32 s33, s33, s48
	s_cbranch_vccnz .LBB34_50
.LBB34_3:
	v_cmp_gt_u32_e32 vcc, s33, v0
                                        ; implicit-def: $vgpr2_vgpr3
	s_and_saveexec_b64 s[2:3], vcc
	s_cbranch_execz .LBB34_5
; %bb.4:
	v_lshlrev_b32_e32 v1, 3, v0
	v_mov_b32_e32 v3, s56
	v_add_co_u32_e64 v2, s[0:1], s7, v1
	v_addc_co_u32_e64 v3, s[0:1], 0, v3, s[0:1]
	flat_load_dwordx2 v[2:3], v[2:3]
.LBB34_5:
	s_or_b64 exec, exec, s[2:3]
	v_or_b32_e32 v1, 0x100, v0
	v_cmp_gt_u32_e64 s[0:1], s33, v1
                                        ; implicit-def: $vgpr4_vgpr5
	s_and_saveexec_b64 s[4:5], s[0:1]
	s_cbranch_execz .LBB34_7
; %bb.6:
	v_lshlrev_b32_e32 v1, 3, v0
	v_mov_b32_e32 v5, s56
	v_add_co_u32_e64 v4, s[2:3], s7, v1
	v_addc_co_u32_e64 v5, s[2:3], 0, v5, s[2:3]
	flat_load_dwordx2 v[4:5], v[4:5] offset:2048
.LBB34_7:
	s_or_b64 exec, exec, s[4:5]
	v_or_b32_e32 v36, 0x200, v0
	v_cmp_gt_u32_e64 s[2:3], s33, v36
                                        ; implicit-def: $vgpr6_vgpr7
	s_and_saveexec_b64 s[8:9], s[2:3]
	s_cbranch_execz .LBB34_9
; %bb.8:
	v_lshlrev_b32_e32 v1, 3, v36
	v_mov_b32_e32 v7, s56
	v_add_co_u32_e64 v6, s[4:5], s7, v1
	v_addc_co_u32_e64 v7, s[4:5], 0, v7, s[4:5]
	flat_load_dwordx2 v[6:7], v[6:7]
.LBB34_9:
	s_or_b64 exec, exec, s[8:9]
	v_or_b32_e32 v38, 0x300, v0
	v_cmp_gt_u32_e64 s[4:5], s33, v38
                                        ; implicit-def: $vgpr8_vgpr9
	s_and_saveexec_b64 s[10:11], s[4:5]
	s_cbranch_execz .LBB34_11
; %bb.10:
	v_lshlrev_b32_e32 v1, 3, v38
	v_mov_b32_e32 v9, s56
	v_add_co_u32_e64 v8, s[8:9], s7, v1
	v_addc_co_u32_e64 v9, s[8:9], 0, v9, s[8:9]
	flat_load_dwordx2 v[8:9], v[8:9]
.LBB34_11:
	s_or_b64 exec, exec, s[10:11]
	v_or_b32_e32 v40, 0x400, v0
	v_cmp_gt_u32_e64 s[28:29], s33, v40
                                        ; implicit-def: $vgpr10_vgpr11
	s_and_saveexec_b64 s[10:11], s[28:29]
	s_cbranch_execz .LBB34_13
; %bb.12:
	v_lshlrev_b32_e32 v1, 3, v40
	v_mov_b32_e32 v11, s56
	v_add_co_u32_e64 v10, s[8:9], s7, v1
	v_addc_co_u32_e64 v11, s[8:9], 0, v11, s[8:9]
	flat_load_dwordx2 v[10:11], v[10:11]
.LBB34_13:
	s_or_b64 exec, exec, s[10:11]
	v_or_b32_e32 v42, 0x500, v0
	v_cmp_gt_u32_e64 s[8:9], s33, v42
                                        ; implicit-def: $vgpr12_vgpr13
	s_and_saveexec_b64 s[12:13], s[8:9]
	s_cbranch_execz .LBB34_15
; %bb.14:
	v_lshlrev_b32_e32 v1, 3, v42
	v_mov_b32_e32 v13, s56
	v_add_co_u32_e64 v12, s[10:11], s7, v1
	v_addc_co_u32_e64 v13, s[10:11], 0, v13, s[10:11]
	flat_load_dwordx2 v[12:13], v[12:13]
.LBB34_15:
	s_or_b64 exec, exec, s[12:13]
	v_or_b32_e32 v44, 0x600, v0
	v_cmp_gt_u32_e64 s[10:11], s33, v44
                                        ; implicit-def: $vgpr14_vgpr15
	s_and_saveexec_b64 s[14:15], s[10:11]
	s_cbranch_execz .LBB34_17
; %bb.16:
	v_lshlrev_b32_e32 v1, 3, v44
	v_mov_b32_e32 v15, s56
	v_add_co_u32_e64 v14, s[12:13], s7, v1
	v_addc_co_u32_e64 v15, s[12:13], 0, v15, s[12:13]
	flat_load_dwordx2 v[14:15], v[14:15]
.LBB34_17:
	s_or_b64 exec, exec, s[14:15]
	v_or_b32_e32 v46, 0x700, v0
	v_cmp_gt_u32_e64 s[12:13], s33, v46
                                        ; implicit-def: $vgpr16_vgpr17
	s_and_saveexec_b64 s[16:17], s[12:13]
	s_cbranch_execz .LBB34_19
; %bb.18:
	v_lshlrev_b32_e32 v1, 3, v46
	v_mov_b32_e32 v17, s56
	v_add_co_u32_e64 v16, s[14:15], s7, v1
	v_addc_co_u32_e64 v17, s[14:15], 0, v17, s[14:15]
	flat_load_dwordx2 v[16:17], v[16:17]
.LBB34_19:
	s_or_b64 exec, exec, s[16:17]
	v_or_b32_e32 v48, 0x800, v0
	v_cmp_gt_u32_e64 s[14:15], s33, v48
                                        ; implicit-def: $vgpr18_vgpr19
	s_and_saveexec_b64 s[18:19], s[14:15]
	s_cbranch_execz .LBB34_21
; %bb.20:
	v_lshlrev_b32_e32 v1, 3, v48
	v_mov_b32_e32 v19, s56
	v_add_co_u32_e64 v18, s[16:17], s7, v1
	v_addc_co_u32_e64 v19, s[16:17], 0, v19, s[16:17]
	flat_load_dwordx2 v[18:19], v[18:19]
.LBB34_21:
	s_or_b64 exec, exec, s[18:19]
	v_or_b32_e32 v50, 0x900, v0
	v_cmp_gt_u32_e64 s[16:17], s33, v50
                                        ; implicit-def: $vgpr20_vgpr21
	s_and_saveexec_b64 s[20:21], s[16:17]
	s_cbranch_execz .LBB34_23
; %bb.22:
	v_lshlrev_b32_e32 v1, 3, v50
	v_mov_b32_e32 v21, s56
	v_add_co_u32_e64 v20, s[18:19], s7, v1
	v_addc_co_u32_e64 v21, s[18:19], 0, v21, s[18:19]
	flat_load_dwordx2 v[20:21], v[20:21]
.LBB34_23:
	s_or_b64 exec, exec, s[20:21]
	v_or_b32_e32 v52, 0xa00, v0
	v_cmp_gt_u32_e64 s[18:19], s33, v52
                                        ; implicit-def: $vgpr22_vgpr23
	s_and_saveexec_b64 s[22:23], s[18:19]
	s_cbranch_execz .LBB34_25
; %bb.24:
	v_lshlrev_b32_e32 v1, 3, v52
	v_mov_b32_e32 v23, s56
	v_add_co_u32_e64 v22, s[20:21], s7, v1
	v_addc_co_u32_e64 v23, s[20:21], 0, v23, s[20:21]
	flat_load_dwordx2 v[22:23], v[22:23]
.LBB34_25:
	s_or_b64 exec, exec, s[22:23]
	v_or_b32_e32 v54, 0xb00, v0
	v_cmp_gt_u32_e64 s[20:21], s33, v54
                                        ; implicit-def: $vgpr24_vgpr25
	s_and_saveexec_b64 s[24:25], s[20:21]
	s_cbranch_execz .LBB34_27
; %bb.26:
	v_lshlrev_b32_e32 v1, 3, v54
	v_mov_b32_e32 v25, s56
	v_add_co_u32_e64 v24, s[22:23], s7, v1
	v_addc_co_u32_e64 v25, s[22:23], 0, v25, s[22:23]
	flat_load_dwordx2 v[24:25], v[24:25]
.LBB34_27:
	s_or_b64 exec, exec, s[24:25]
	v_or_b32_e32 v56, 0xc00, v0
	v_cmp_gt_u32_e64 s[22:23], s33, v56
                                        ; implicit-def: $vgpr26_vgpr27
	s_and_saveexec_b64 s[26:27], s[22:23]
	s_cbranch_execz .LBB34_29
; %bb.28:
	v_lshlrev_b32_e32 v1, 3, v56
	v_mov_b32_e32 v27, s56
	v_add_co_u32_e64 v26, s[24:25], s7, v1
	v_addc_co_u32_e64 v27, s[24:25], 0, v27, s[24:25]
	flat_load_dwordx2 v[26:27], v[26:27]
.LBB34_29:
	s_or_b64 exec, exec, s[26:27]
	v_or_b32_e32 v58, 0xd00, v0
	v_cmp_gt_u32_e64 s[24:25], s33, v58
                                        ; implicit-def: $vgpr28_vgpr29
	s_and_saveexec_b64 s[30:31], s[24:25]
	s_cbranch_execz .LBB34_31
; %bb.30:
	v_lshlrev_b32_e32 v1, 3, v58
	v_mov_b32_e32 v29, s56
	v_add_co_u32_e64 v28, s[26:27], s7, v1
	v_addc_co_u32_e64 v29, s[26:27], 0, v29, s[26:27]
	flat_load_dwordx2 v[28:29], v[28:29]
.LBB34_31:
	s_or_b64 exec, exec, s[30:31]
	v_or_b32_e32 v61, 0xe00, v0
	v_cmp_gt_u32_e64 s[26:27], s33, v61
                                        ; implicit-def: $vgpr30_vgpr31
	s_and_saveexec_b64 s[44:45], s[26:27]
	s_cbranch_execz .LBB34_33
; %bb.32:
	v_lshlrev_b32_e32 v1, 3, v61
	v_mov_b32_e32 v31, s56
	v_add_co_u32_e64 v30, s[30:31], s7, v1
	v_addc_co_u32_e64 v31, s[30:31], 0, v31, s[30:31]
	flat_load_dwordx2 v[30:31], v[30:31]
.LBB34_33:
	s_or_b64 exec, exec, s[44:45]
	v_lshlrev_b32_e32 v60, 3, v0
	s_movk_i32 s30, 0x70
	v_mad_u32_u24 v1, v0, s30, v60
	s_waitcnt vmcnt(0) lgkmcnt(0)
	ds_write2st64_b64 v60, v[2:3], v[4:5] offset1:4
	ds_write2st64_b64 v60, v[6:7], v[8:9] offset0:8 offset1:12
	ds_write2st64_b64 v60, v[10:11], v[12:13] offset0:16 offset1:20
	;; [unrolled: 1-line block ×6, first 2 shown]
	ds_write_b64 v60, v[30:31] offset:28672
	s_waitcnt lgkmcnt(0)
	s_barrier
	ds_read2_b64 v[26:29], v1 offset1:1
	ds_read2_b64 v[22:25], v1 offset0:2 offset1:3
	ds_read2_b64 v[18:21], v1 offset0:4 offset1:5
	;; [unrolled: 1-line block ×6, first 2 shown]
	ds_read_b64 v[74:75], v1 offset:112
	s_waitcnt lgkmcnt(0)
	s_barrier
	s_waitcnt lgkmcnt(0)
                                        ; implicit-def: $vgpr30_vgpr31
	s_and_saveexec_b64 s[30:31], vcc
	s_cbranch_execnz .LBB34_57
; %bb.34:
	s_or_b64 exec, exec, s[30:31]
                                        ; implicit-def: $vgpr32_vgpr33
	s_and_saveexec_b64 s[30:31], s[0:1]
	s_cbranch_execnz .LBB34_58
.LBB34_35:
	s_or_b64 exec, exec, s[30:31]
                                        ; implicit-def: $vgpr34_vgpr35
	s_and_saveexec_b64 s[0:1], s[2:3]
	s_cbranch_execnz .LBB34_59
.LBB34_36:
	s_or_b64 exec, exec, s[0:1]
                                        ; implicit-def: $vgpr36_vgpr37
	s_and_saveexec_b64 s[0:1], s[4:5]
	s_cbranch_execnz .LBB34_60
.LBB34_37:
	s_or_b64 exec, exec, s[0:1]
                                        ; implicit-def: $vgpr38_vgpr39
	s_and_saveexec_b64 s[0:1], s[28:29]
	s_cbranch_execnz .LBB34_61
.LBB34_38:
	s_or_b64 exec, exec, s[0:1]
                                        ; implicit-def: $vgpr40_vgpr41
	s_and_saveexec_b64 s[0:1], s[8:9]
	s_cbranch_execnz .LBB34_62
.LBB34_39:
	s_or_b64 exec, exec, s[0:1]
                                        ; implicit-def: $vgpr42_vgpr43
	s_and_saveexec_b64 s[0:1], s[10:11]
	s_cbranch_execnz .LBB34_63
.LBB34_40:
	s_or_b64 exec, exec, s[0:1]
                                        ; implicit-def: $vgpr44_vgpr45
	s_and_saveexec_b64 s[0:1], s[12:13]
	s_cbranch_execnz .LBB34_64
.LBB34_41:
	s_or_b64 exec, exec, s[0:1]
                                        ; implicit-def: $vgpr46_vgpr47
	s_and_saveexec_b64 s[0:1], s[14:15]
	s_cbranch_execnz .LBB34_65
.LBB34_42:
	s_or_b64 exec, exec, s[0:1]
                                        ; implicit-def: $vgpr48_vgpr49
	s_and_saveexec_b64 s[0:1], s[16:17]
	s_cbranch_execnz .LBB34_66
.LBB34_43:
	s_or_b64 exec, exec, s[0:1]
                                        ; implicit-def: $vgpr50_vgpr51
	s_and_saveexec_b64 s[0:1], s[18:19]
	s_cbranch_execnz .LBB34_67
.LBB34_44:
	s_or_b64 exec, exec, s[0:1]
                                        ; implicit-def: $vgpr52_vgpr53
	s_and_saveexec_b64 s[0:1], s[20:21]
	s_cbranch_execnz .LBB34_68
.LBB34_45:
	s_or_b64 exec, exec, s[0:1]
                                        ; implicit-def: $vgpr54_vgpr55
	s_and_saveexec_b64 s[0:1], s[22:23]
	s_cbranch_execnz .LBB34_69
.LBB34_46:
	s_or_b64 exec, exec, s[0:1]
                                        ; implicit-def: $vgpr56_vgpr57
	s_and_saveexec_b64 s[0:1], s[24:25]
	s_cbranch_execnz .LBB34_70
.LBB34_47:
	s_or_b64 exec, exec, s[0:1]
                                        ; implicit-def: $vgpr58_vgpr59
	s_and_saveexec_b64 s[0:1], s[26:27]
	s_cbranch_execz .LBB34_49
.LBB34_48:
	v_lshlrev_b32_e32 v58, 3, v61
	v_mov_b32_e32 v59, s64
	v_add_co_u32_e32 v58, vcc, s57, v58
	v_addc_co_u32_e32 v59, vcc, 0, v59, vcc
	flat_load_dwordx2 v[58:59], v[58:59]
.LBB34_49:
	s_or_b64 exec, exec, s[0:1]
	s_waitcnt vmcnt(0) lgkmcnt(0)
	ds_write2st64_b64 v60, v[30:31], v[32:33] offset1:4
	ds_write2st64_b64 v60, v[34:35], v[36:37] offset0:8 offset1:12
	ds_write2st64_b64 v60, v[38:39], v[40:41] offset0:16 offset1:20
	;; [unrolled: 1-line block ×6, first 2 shown]
	ds_write_b64 v60, v[58:59] offset:28672
	v_mov_b32_e32 v58, v26
	v_mov_b32_e32 v59, v27
	;; [unrolled: 1-line block ×14, first 2 shown]
	s_waitcnt lgkmcnt(0)
	s_barrier
.LBB34_50:
	s_waitcnt lgkmcnt(0)
	ds_read2_b64 v[54:57], v1 offset1:1
	ds_read2_b64 v[50:53], v1 offset0:2 offset1:3
	ds_read2_b64 v[46:49], v1 offset0:4 offset1:5
	;; [unrolled: 1-line block ×6, first 2 shown]
	ds_read_b64 v[72:73], v1 offset:112
	s_cmp_eq_u64 s[52:53], 0
	s_cselect_b64 s[44:45], -1, 0
	s_cmp_lg_u64 s[52:53], 0
	s_mov_b64 s[2:3], 0
	s_cselect_b64 s[30:31], -1, 0
	s_and_b64 vcc, exec, s[54:55]
	s_waitcnt lgkmcnt(0)
	s_barrier
	s_cbranch_vccz .LBB34_56
; %bb.51:
	s_and_b64 vcc, exec, s[30:31]
	s_cbranch_vccz .LBB34_71
; %bb.52:
	v_mov_b32_e32 v1, s56
	v_add_co_u32_e64 v76, vcc, -8, s7
	v_addc_co_u32_e32 v77, vcc, -1, v1, vcc
	flat_load_dwordx2 v[76:77], v[76:77]
	v_lshlrev_b32_e32 v1, 3, v0
	v_cmp_neq_f64_e32 vcc, v[4:5], v[74:75]
	v_cmp_neq_f64_e64 s[0:1], v[2:3], v[4:5]
	v_cmp_neq_f64_e64 s[2:3], v[8:9], v[2:3]
	;; [unrolled: 1-line block ×13, first 2 shown]
	v_cmp_ne_u32_e64 s[28:29], 0, v0
	ds_write_b64 v1, v[74:75]
	s_waitcnt lgkmcnt(0)
	s_barrier
	s_and_saveexec_b64 s[54:55], s[28:29]
	s_cbranch_execz .LBB34_54
; %bb.53:
	v_add_u32_e32 v1, -8, v1
	s_waitcnt vmcnt(0)
	ds_read_b64 v[76:77], v1
.LBB34_54:
	s_or_b64 exec, exec, s[54:55]
	v_cndmask_b32_e64 v1, 0, 1, vcc
	v_cndmask_b32_e64 v100, 0, 1, s[0:1]
	v_cndmask_b32_e64 v101, 0, 1, s[2:3]
	v_cndmask_b32_e64 v102, 0, 1, s[4:5]
	v_cndmask_b32_e64 v103, 0, 1, s[26:27]
	v_cndmask_b32_e64 v104, 0, 1, s[8:9]
	v_cndmask_b32_e64 v105, 0, 1, s[10:11]
	v_cndmask_b32_e64 v106, 0, 1, s[12:13]
	v_cndmask_b32_e64 v107, 0, 1, s[14:15]
	v_cndmask_b32_e64 v108, 0, 1, s[16:17]
	v_cndmask_b32_e64 v109, 0, 1, s[18:19]
	v_cndmask_b32_e64 v110, 0, 1, s[20:21]
	v_cndmask_b32_e64 v111, 0, 1, s[22:23]
	v_cndmask_b32_e64 v112, 0, 1, s[24:25]
	s_waitcnt vmcnt(0) lgkmcnt(0)
	v_cmp_neq_f64_e64 s[0:1], v[76:77], v[26:27]
	s_mov_b64 s[2:3], -1
.LBB34_55:
                                        ; implicit-def: $sgpr10
	s_branch .LBB34_83
.LBB34_56:
                                        ; implicit-def: $sgpr0_sgpr1
                                        ; implicit-def: $vgpr1
                                        ; implicit-def: $vgpr100
                                        ; implicit-def: $vgpr101
                                        ; implicit-def: $vgpr102
                                        ; implicit-def: $vgpr103
                                        ; implicit-def: $vgpr104
                                        ; implicit-def: $vgpr105
                                        ; implicit-def: $vgpr106
                                        ; implicit-def: $vgpr107
                                        ; implicit-def: $vgpr108
                                        ; implicit-def: $vgpr109
                                        ; implicit-def: $vgpr110
                                        ; implicit-def: $vgpr111
                                        ; implicit-def: $vgpr112
                                        ; implicit-def: $sgpr10
	s_cbranch_execnz .LBB34_75
	s_branch .LBB34_83
.LBB34_57:
	v_mov_b32_e32 v31, s64
	v_add_co_u32_e32 v30, vcc, s57, v60
	v_addc_co_u32_e32 v31, vcc, 0, v31, vcc
	flat_load_dwordx2 v[30:31], v[30:31]
	s_or_b64 exec, exec, s[30:31]
                                        ; implicit-def: $vgpr32_vgpr33
	s_and_saveexec_b64 s[30:31], s[0:1]
	s_cbranch_execz .LBB34_35
.LBB34_58:
	v_mov_b32_e32 v33, s64
	v_add_co_u32_e32 v32, vcc, s57, v60
	v_addc_co_u32_e32 v33, vcc, 0, v33, vcc
	flat_load_dwordx2 v[32:33], v[32:33] offset:2048
	s_or_b64 exec, exec, s[30:31]
                                        ; implicit-def: $vgpr34_vgpr35
	s_and_saveexec_b64 s[0:1], s[2:3]
	s_cbranch_execz .LBB34_36
.LBB34_59:
	v_lshlrev_b32_e32 v34, 3, v36
	v_mov_b32_e32 v35, s64
	v_add_co_u32_e32 v34, vcc, s57, v34
	v_addc_co_u32_e32 v35, vcc, 0, v35, vcc
	flat_load_dwordx2 v[34:35], v[34:35]
	s_or_b64 exec, exec, s[0:1]
                                        ; implicit-def: $vgpr36_vgpr37
	s_and_saveexec_b64 s[0:1], s[4:5]
	s_cbranch_execz .LBB34_37
.LBB34_60:
	v_lshlrev_b32_e32 v36, 3, v38
	v_mov_b32_e32 v37, s64
	v_add_co_u32_e32 v36, vcc, s57, v36
	v_addc_co_u32_e32 v37, vcc, 0, v37, vcc
	flat_load_dwordx2 v[36:37], v[36:37]
	s_or_b64 exec, exec, s[0:1]
                                        ; implicit-def: $vgpr38_vgpr39
	s_and_saveexec_b64 s[0:1], s[28:29]
	s_cbranch_execz .LBB34_38
.LBB34_61:
	v_lshlrev_b32_e32 v38, 3, v40
	v_mov_b32_e32 v39, s64
	v_add_co_u32_e32 v38, vcc, s57, v38
	v_addc_co_u32_e32 v39, vcc, 0, v39, vcc
	flat_load_dwordx2 v[38:39], v[38:39]
	s_or_b64 exec, exec, s[0:1]
                                        ; implicit-def: $vgpr40_vgpr41
	s_and_saveexec_b64 s[0:1], s[8:9]
	s_cbranch_execz .LBB34_39
.LBB34_62:
	v_lshlrev_b32_e32 v40, 3, v42
	v_mov_b32_e32 v41, s64
	v_add_co_u32_e32 v40, vcc, s57, v40
	v_addc_co_u32_e32 v41, vcc, 0, v41, vcc
	flat_load_dwordx2 v[40:41], v[40:41]
	s_or_b64 exec, exec, s[0:1]
                                        ; implicit-def: $vgpr42_vgpr43
	s_and_saveexec_b64 s[0:1], s[10:11]
	s_cbranch_execz .LBB34_40
.LBB34_63:
	v_lshlrev_b32_e32 v42, 3, v44
	v_mov_b32_e32 v43, s64
	v_add_co_u32_e32 v42, vcc, s57, v42
	v_addc_co_u32_e32 v43, vcc, 0, v43, vcc
	flat_load_dwordx2 v[42:43], v[42:43]
	s_or_b64 exec, exec, s[0:1]
                                        ; implicit-def: $vgpr44_vgpr45
	s_and_saveexec_b64 s[0:1], s[12:13]
	s_cbranch_execz .LBB34_41
.LBB34_64:
	v_lshlrev_b32_e32 v44, 3, v46
	v_mov_b32_e32 v45, s64
	v_add_co_u32_e32 v44, vcc, s57, v44
	v_addc_co_u32_e32 v45, vcc, 0, v45, vcc
	flat_load_dwordx2 v[44:45], v[44:45]
	s_or_b64 exec, exec, s[0:1]
                                        ; implicit-def: $vgpr46_vgpr47
	s_and_saveexec_b64 s[0:1], s[14:15]
	s_cbranch_execz .LBB34_42
.LBB34_65:
	v_lshlrev_b32_e32 v46, 3, v48
	v_mov_b32_e32 v47, s64
	v_add_co_u32_e32 v46, vcc, s57, v46
	v_addc_co_u32_e32 v47, vcc, 0, v47, vcc
	flat_load_dwordx2 v[46:47], v[46:47]
	s_or_b64 exec, exec, s[0:1]
                                        ; implicit-def: $vgpr48_vgpr49
	s_and_saveexec_b64 s[0:1], s[16:17]
	s_cbranch_execz .LBB34_43
.LBB34_66:
	v_lshlrev_b32_e32 v48, 3, v50
	v_mov_b32_e32 v49, s64
	v_add_co_u32_e32 v48, vcc, s57, v48
	v_addc_co_u32_e32 v49, vcc, 0, v49, vcc
	flat_load_dwordx2 v[48:49], v[48:49]
	s_or_b64 exec, exec, s[0:1]
                                        ; implicit-def: $vgpr50_vgpr51
	s_and_saveexec_b64 s[0:1], s[18:19]
	s_cbranch_execz .LBB34_44
.LBB34_67:
	v_lshlrev_b32_e32 v50, 3, v52
	v_mov_b32_e32 v51, s64
	v_add_co_u32_e32 v50, vcc, s57, v50
	v_addc_co_u32_e32 v51, vcc, 0, v51, vcc
	flat_load_dwordx2 v[50:51], v[50:51]
	s_or_b64 exec, exec, s[0:1]
                                        ; implicit-def: $vgpr52_vgpr53
	s_and_saveexec_b64 s[0:1], s[20:21]
	s_cbranch_execz .LBB34_45
.LBB34_68:
	v_lshlrev_b32_e32 v52, 3, v54
	v_mov_b32_e32 v53, s64
	v_add_co_u32_e32 v52, vcc, s57, v52
	v_addc_co_u32_e32 v53, vcc, 0, v53, vcc
	flat_load_dwordx2 v[52:53], v[52:53]
	s_or_b64 exec, exec, s[0:1]
                                        ; implicit-def: $vgpr54_vgpr55
	s_and_saveexec_b64 s[0:1], s[22:23]
	s_cbranch_execz .LBB34_46
.LBB34_69:
	v_lshlrev_b32_e32 v54, 3, v56
	v_mov_b32_e32 v55, s64
	v_add_co_u32_e32 v54, vcc, s57, v54
	v_addc_co_u32_e32 v55, vcc, 0, v55, vcc
	flat_load_dwordx2 v[54:55], v[54:55]
	s_or_b64 exec, exec, s[0:1]
                                        ; implicit-def: $vgpr56_vgpr57
	s_and_saveexec_b64 s[0:1], s[24:25]
	s_cbranch_execz .LBB34_47
.LBB34_70:
	v_lshlrev_b32_e32 v56, 3, v58
	v_mov_b32_e32 v57, s64
	v_add_co_u32_e32 v56, vcc, s57, v56
	v_addc_co_u32_e32 v57, vcc, 0, v57, vcc
	flat_load_dwordx2 v[56:57], v[56:57]
	s_or_b64 exec, exec, s[0:1]
                                        ; implicit-def: $vgpr58_vgpr59
	s_and_saveexec_b64 s[0:1], s[26:27]
	s_cbranch_execnz .LBB34_48
	s_branch .LBB34_49
.LBB34_71:
                                        ; implicit-def: $sgpr0_sgpr1
                                        ; implicit-def: $vgpr1
                                        ; implicit-def: $vgpr100
                                        ; implicit-def: $vgpr101
                                        ; implicit-def: $vgpr102
                                        ; implicit-def: $vgpr103
                                        ; implicit-def: $vgpr104
                                        ; implicit-def: $vgpr105
                                        ; implicit-def: $vgpr106
                                        ; implicit-def: $vgpr107
                                        ; implicit-def: $vgpr108
                                        ; implicit-def: $vgpr109
                                        ; implicit-def: $vgpr110
                                        ; implicit-def: $vgpr111
                                        ; implicit-def: $vgpr112
	s_cbranch_execz .LBB34_55
; %bb.72:
	v_cmp_neq_f64_e32 vcc, v[28:29], v[58:59]
	v_cndmask_b32_e64 v112, 0, 1, vcc
	v_cmp_neq_f64_e32 vcc, v[28:29], v[60:61]
	v_cndmask_b32_e64 v111, 0, 1, vcc
	;; [unrolled: 2-line block ×13, first 2 shown]
	v_cmp_neq_f64_e32 vcc, v[4:5], v[74:75]
	v_lshlrev_b32_e32 v76, 3, v0
	v_cndmask_b32_e64 v1, 0, 1, vcc
	v_cmp_ne_u32_e32 vcc, 0, v0
	ds_write_b64 v76, v[74:75]
	s_waitcnt lgkmcnt(0)
	s_barrier
	s_waitcnt lgkmcnt(0)
                                        ; implicit-def: $sgpr0_sgpr1
	s_and_saveexec_b64 s[4:5], vcc
	s_xor_b64 s[4:5], exec, s[4:5]
	s_cbranch_execz .LBB34_74
; %bb.73:
	v_add_u32_e32 v58, -8, v76
	ds_read_b64 v[58:59], v58
	s_or_b64 s[2:3], s[2:3], exec
	s_waitcnt lgkmcnt(0)
	v_cmp_neq_f64_e32 vcc, v[58:59], v[26:27]
	s_and_b64 s[0:1], vcc, exec
.LBB34_74:
	s_or_b64 exec, exec, s[4:5]
	s_mov_b32 s10, 1
	s_branch .LBB34_83
.LBB34_75:
	s_mul_hi_u32 s1, s52, 0xfffff100
	s_mul_i32 s0, s53, 0xfffff100
	s_sub_i32 s1, s1, s52
	s_add_i32 s1, s1, s0
	s_mul_i32 s0, s52, 0xfffff100
	s_add_u32 s4, s0, s48
	s_addc_u32 s5, s1, s49
	s_and_b64 vcc, exec, s[30:31]
	s_cbranch_vccz .LBB34_80
; %bb.76:
	v_mov_b32_e32 v1, s56
	v_add_co_u32_e64 v58, vcc, -8, s7
	v_addc_co_u32_e32 v59, vcc, -1, v1, vcc
	flat_load_dwordx2 v[58:59], v[58:59]
	v_mad_u32_u24 v62, v0, 15, 14
	v_mov_b32_e32 v63, 0
	v_cmp_gt_u64_e32 vcc, s[4:5], v[62:63]
	v_cmp_neq_f64_e64 s[0:1], v[4:5], v[74:75]
	v_mad_u32_u24 v62, v0, 15, 13
	s_and_b64 s[2:3], vcc, s[0:1]
	v_cmp_gt_u64_e32 vcc, s[4:5], v[62:63]
	v_cmp_neq_f64_e64 s[0:1], v[2:3], v[4:5]
	v_mad_u32_u24 v62, v0, 15, 12
	s_and_b64 s[8:9], vcc, s[0:1]
	v_cmp_gt_u64_e32 vcc, s[4:5], v[62:63]
	v_cmp_neq_f64_e64 s[0:1], v[8:9], v[2:3]
	v_mad_u32_u24 v62, v0, 15, 11
	s_and_b64 s[10:11], vcc, s[0:1]
	v_cmp_gt_u64_e32 vcc, s[4:5], v[62:63]
	v_cmp_neq_f64_e64 s[0:1], v[6:7], v[8:9]
	v_mad_u32_u24 v62, v0, 15, 10
	s_and_b64 s[12:13], vcc, s[0:1]
	v_cmp_gt_u64_e32 vcc, s[4:5], v[62:63]
	v_cmp_neq_f64_e64 s[0:1], v[12:13], v[6:7]
	v_mad_u32_u24 v62, v0, 15, 9
	s_and_b64 s[14:15], vcc, s[0:1]
	v_cmp_gt_u64_e32 vcc, s[4:5], v[62:63]
	v_cmp_neq_f64_e64 s[0:1], v[10:11], v[12:13]
	v_mad_u32_u24 v62, v0, 15, 8
	s_and_b64 s[16:17], vcc, s[0:1]
	v_cmp_gt_u64_e32 vcc, s[4:5], v[62:63]
	v_cmp_neq_f64_e64 s[0:1], v[16:17], v[10:11]
	v_mad_u32_u24 v62, v0, 15, 7
	s_and_b64 s[18:19], vcc, s[0:1]
	v_cmp_gt_u64_e32 vcc, s[4:5], v[62:63]
	v_cmp_neq_f64_e64 s[0:1], v[14:15], v[16:17]
	v_mad_u32_u24 v62, v0, 15, 6
	s_and_b64 s[20:21], vcc, s[0:1]
	v_cmp_gt_u64_e32 vcc, s[4:5], v[62:63]
	v_cmp_neq_f64_e64 s[0:1], v[20:21], v[14:15]
	v_mad_u32_u24 v62, v0, 15, 5
	s_and_b64 s[22:23], vcc, s[0:1]
	v_cmp_gt_u64_e32 vcc, s[4:5], v[62:63]
	v_cmp_neq_f64_e64 s[0:1], v[18:19], v[20:21]
	v_mad_u32_u24 v62, v0, 15, 4
	s_and_b64 s[24:25], vcc, s[0:1]
	v_cmp_gt_u64_e32 vcc, s[4:5], v[62:63]
	v_cmp_neq_f64_e64 s[0:1], v[24:25], v[18:19]
	v_mad_u32_u24 v62, v0, 15, 3
	s_and_b64 s[26:27], vcc, s[0:1]
	v_cmp_gt_u64_e32 vcc, s[4:5], v[62:63]
	v_cmp_neq_f64_e64 s[0:1], v[22:23], v[24:25]
	v_mad_u32_u24 v62, v0, 15, 2
	s_and_b64 s[28:29], vcc, s[0:1]
	v_cmp_gt_u64_e32 vcc, s[4:5], v[62:63]
	v_cmp_neq_f64_e64 s[0:1], v[28:29], v[22:23]
	v_mad_u32_u24 v62, v0, 15, 1
	s_and_b64 s[30:31], vcc, s[0:1]
	v_cmp_gt_u64_e32 vcc, s[4:5], v[62:63]
	v_cmp_neq_f64_e64 s[0:1], v[26:27], v[28:29]
	v_lshlrev_b32_e32 v1, 3, v0
	v_mul_u32_u24_e32 v60, 15, v0
	s_and_b64 s[0:1], vcc, s[0:1]
	v_cmp_ne_u32_e32 vcc, 0, v0
	ds_write_b64 v1, v[74:75]
	s_waitcnt lgkmcnt(0)
	s_barrier
	s_and_saveexec_b64 s[48:49], vcc
	s_cbranch_execz .LBB34_78
; %bb.77:
	v_add_u32_e32 v1, -8, v1
	s_waitcnt vmcnt(0)
	ds_read_b64 v[58:59], v1
.LBB34_78:
	s_or_b64 exec, exec, s[48:49]
	v_mov_b32_e32 v61, v63
	v_cndmask_b32_e64 v112, 0, 1, s[0:1]
	v_cmp_gt_u64_e32 vcc, s[4:5], v[60:61]
	s_waitcnt vmcnt(0) lgkmcnt(0)
	v_cmp_neq_f64_e64 s[0:1], v[58:59], v[26:27]
	v_cndmask_b32_e64 v1, 0, 1, s[2:3]
	v_cndmask_b32_e64 v100, 0, 1, s[8:9]
	;; [unrolled: 1-line block ×13, first 2 shown]
	s_and_b64 s[0:1], vcc, s[0:1]
	s_mov_b64 s[2:3], -1
.LBB34_79:
                                        ; implicit-def: $sgpr10
	v_mov_b32_e32 v113, s10
	s_and_saveexec_b64 s[4:5], s[2:3]
	s_cbranch_execnz .LBB34_84
	s_branch .LBB34_85
.LBB34_80:
                                        ; implicit-def: $sgpr0_sgpr1
                                        ; implicit-def: $vgpr1
                                        ; implicit-def: $vgpr100
                                        ; implicit-def: $vgpr101
                                        ; implicit-def: $vgpr102
                                        ; implicit-def: $vgpr103
                                        ; implicit-def: $vgpr104
                                        ; implicit-def: $vgpr105
                                        ; implicit-def: $vgpr106
                                        ; implicit-def: $vgpr107
                                        ; implicit-def: $vgpr108
                                        ; implicit-def: $vgpr109
                                        ; implicit-def: $vgpr110
                                        ; implicit-def: $vgpr111
                                        ; implicit-def: $vgpr112
	s_cbranch_execz .LBB34_79
; %bb.81:
	v_mad_u32_u24 v58, v0, 15, 14
	v_mov_b32_e32 v59, 0
	v_cmp_gt_u64_e32 vcc, s[4:5], v[58:59]
	v_cmp_neq_f64_e64 s[0:1], v[4:5], v[74:75]
	s_and_b64 s[0:1], vcc, s[0:1]
	v_mad_u32_u24 v58, v0, 15, 13
	v_cndmask_b32_e64 v1, 0, 1, s[0:1]
	v_cmp_gt_u64_e32 vcc, s[4:5], v[58:59]
	v_cmp_neq_f64_e64 s[0:1], v[2:3], v[4:5]
	s_and_b64 s[0:1], vcc, s[0:1]
	v_mad_u32_u24 v58, v0, 15, 12
	v_cndmask_b32_e64 v100, 0, 1, s[0:1]
	;; [unrolled: 5-line block ×13, first 2 shown]
	v_cmp_gt_u64_e32 vcc, s[4:5], v[58:59]
	v_cmp_neq_f64_e64 s[0:1], v[26:27], v[28:29]
	s_and_b64 s[0:1], vcc, s[0:1]
	v_lshlrev_b32_e32 v60, 3, v0
	s_mov_b32 s10, 1
	v_cndmask_b32_e64 v112, 0, 1, s[0:1]
	v_cmp_ne_u32_e32 vcc, 0, v0
	ds_write_b64 v60, v[74:75]
	s_waitcnt lgkmcnt(0)
	s_barrier
	s_waitcnt lgkmcnt(0)
                                        ; implicit-def: $sgpr0_sgpr1
	s_and_saveexec_b64 s[8:9], vcc
	s_cbranch_execz .LBB34_224
; %bb.82:
	v_add_u32_e32 v58, -8, v60
	ds_read_b64 v[60:61], v58
	v_mul_u32_u24_e32 v58, 15, v0
	v_cmp_gt_u64_e32 vcc, s[4:5], v[58:59]
	s_or_b64 s[2:3], s[2:3], exec
	s_waitcnt lgkmcnt(0)
	v_cmp_neq_f64_e64 s[0:1], v[60:61], v[26:27]
	s_and_b64 s[0:1], vcc, s[0:1]
	s_and_b64 s[0:1], s[0:1], exec
	s_or_b64 exec, exec, s[8:9]
.LBB34_83:
	v_mov_b32_e32 v113, s10
	s_and_saveexec_b64 s[4:5], s[2:3]
.LBB34_84:
	v_cndmask_b32_e64 v113, 0, 1, s[0:1]
.LBB34_85:
	s_or_b64 exec, exec, s[4:5]
	s_cmp_eq_u64 s[42:43], 0
	v_add3_u32 v58, v112, v113, v111
	s_cselect_b64 s[30:31], -1, 0
	s_cmp_lg_u32 s6, 0
	v_add_f64 v[98:99], v[54:55], v[56:57]
	v_cmp_eq_u32_e64 s[24:25], 0, v112
	v_cmp_eq_u32_e64 s[22:23], 0, v111
	;; [unrolled: 1-line block ×3, first 2 shown]
	v_add3_u32 v115, v58, v110, v109
	v_cmp_eq_u32_e64 s[18:19], 0, v109
	v_cmp_eq_u32_e64 s[16:17], 0, v108
	;; [unrolled: 1-line block ×10, first 2 shown]
	v_cmp_eq_u32_e32 vcc, 0, v1
	v_mbcnt_lo_u32_b32 v114, -1, 0
	s_cbranch_scc0 .LBB34_156
; %bb.86:
	v_cndmask_b32_e64 v59, v57, v99, s[24:25]
	v_cndmask_b32_e64 v58, v56, v98, s[24:25]
	v_add_f64 v[58:59], v[50:51], v[58:59]
	v_cndmask_b32_e64 v59, v51, v59, s[22:23]
	v_cndmask_b32_e64 v58, v50, v58, s[22:23]
	v_add_f64 v[58:59], v[52:53], v[58:59]
	v_cndmask_b32_e64 v59, v53, v59, s[20:21]
	v_cndmask_b32_e64 v58, v52, v58, s[20:21]
	v_add_f64 v[58:59], v[46:47], v[58:59]
	v_cndmask_b32_e64 v59, v47, v59, s[18:19]
	v_cndmask_b32_e64 v58, v46, v58, s[18:19]
	v_add_f64 v[58:59], v[48:49], v[58:59]
	v_cndmask_b32_e64 v59, v49, v59, s[16:17]
	v_cndmask_b32_e64 v58, v48, v58, s[16:17]
	v_add_f64 v[58:59], v[42:43], v[58:59]
	v_cndmask_b32_e64 v59, v43, v59, s[14:15]
	v_cndmask_b32_e64 v58, v42, v58, s[14:15]
	v_add_f64 v[58:59], v[44:45], v[58:59]
	v_cndmask_b32_e64 v59, v45, v59, s[12:13]
	v_cndmask_b32_e64 v58, v44, v58, s[12:13]
	v_add_f64 v[58:59], v[38:39], v[58:59]
	v_cndmask_b32_e64 v59, v39, v59, s[10:11]
	v_cndmask_b32_e64 v58, v38, v58, s[10:11]
	v_add_f64 v[58:59], v[40:41], v[58:59]
	v_cndmask_b32_e64 v59, v41, v59, s[8:9]
	v_cndmask_b32_e64 v58, v40, v58, s[8:9]
	v_add_f64 v[58:59], v[34:35], v[58:59]
	v_cndmask_b32_e64 v59, v35, v59, s[28:29]
	v_cndmask_b32_e64 v58, v34, v58, s[28:29]
	v_add_f64 v[58:59], v[36:37], v[58:59]
	v_cndmask_b32_e64 v59, v37, v59, s[4:5]
	v_cndmask_b32_e64 v58, v36, v58, s[4:5]
	v_add_f64 v[58:59], v[30:31], v[58:59]
	v_add3_u32 v60, v115, v108, v107
	v_cndmask_b32_e64 v59, v31, v59, s[2:3]
	v_cndmask_b32_e64 v58, v30, v58, s[2:3]
	v_add3_u32 v60, v60, v106, v105
	v_add_f64 v[58:59], v[32:33], v[58:59]
	v_add3_u32 v60, v60, v104, v103
	v_cndmask_b32_e64 v59, v33, v59, s[0:1]
	v_cndmask_b32_e64 v58, v32, v58, s[0:1]
	v_add3_u32 v60, v60, v102, v101
	v_add_f64 v[58:59], v[72:73], v[58:59]
	v_mbcnt_hi_u32_b32 v70, -1, v114
	v_add3_u32 v64, v60, v100, v1
	v_cndmask_b32_e32 v61, v73, v59, vcc
	v_cndmask_b32_e32 v60, v72, v58, vcc
	v_and_b32_e32 v62, 15, v70
	v_mov_b32_dpp v63, v64 row_shr:1 row_mask:0xf bank_mask:0xf
	v_mov_b32_dpp v58, v60 row_shr:1 row_mask:0xf bank_mask:0xf
	;; [unrolled: 1-line block ×3, first 2 shown]
	v_cmp_ne_u32_e32 vcc, 0, v62
	s_and_saveexec_b64 s[26:27], vcc
; %bb.87:
	v_add_u32_e32 v63, v63, v64
	v_add_f64 v[58:59], v[60:61], v[58:59]
	v_cmp_eq_u32_e32 vcc, 0, v64
	v_cndmask_b32_e32 v61, v61, v59, vcc
	v_cndmask_b32_e32 v60, v60, v58, vcc
	v_mov_b32_e32 v64, v63
; %bb.88:
	s_or_b64 exec, exec, s[26:27]
	s_nop 0
	v_mov_b32_dpp v63, v64 row_shr:2 row_mask:0xf bank_mask:0xf
	v_mov_b32_dpp v58, v60 row_shr:2 row_mask:0xf bank_mask:0xf
	v_mov_b32_dpp v59, v61 row_shr:2 row_mask:0xf bank_mask:0xf
	v_cmp_lt_u32_e32 vcc, 1, v62
	s_and_saveexec_b64 s[26:27], vcc
; %bb.89:
	v_add_u32_e32 v63, v63, v64
	v_add_f64 v[58:59], v[60:61], v[58:59]
	v_cmp_eq_u32_e32 vcc, 0, v64
	v_cndmask_b32_e32 v61, v61, v59, vcc
	v_cndmask_b32_e32 v60, v60, v58, vcc
	v_mov_b32_e32 v64, v63
; %bb.90:
	s_or_b64 exec, exec, s[26:27]
	s_nop 0
	v_mov_b32_dpp v63, v64 row_shr:4 row_mask:0xf bank_mask:0xf
	v_mov_b32_dpp v58, v60 row_shr:4 row_mask:0xf bank_mask:0xf
	v_mov_b32_dpp v59, v61 row_shr:4 row_mask:0xf bank_mask:0xf
	v_cmp_lt_u32_e32 vcc, 3, v62
	;; [unrolled: 15-line block ×3, first 2 shown]
	s_and_saveexec_b64 s[26:27], vcc
; %bb.93:
	v_add_u32_e32 v62, v63, v64
	v_add_f64 v[58:59], v[60:61], v[58:59]
	v_cmp_eq_u32_e32 vcc, 0, v64
	v_cndmask_b32_e32 v61, v61, v59, vcc
	v_cndmask_b32_e32 v60, v60, v58, vcc
	v_mov_b32_e32 v64, v62
; %bb.94:
	s_or_b64 exec, exec, s[26:27]
	v_and_b32_e32 v63, 16, v70
	v_mov_b32_dpp v62, v64 row_bcast:15 row_mask:0xf bank_mask:0xf
	v_mov_b32_dpp v58, v60 row_bcast:15 row_mask:0xf bank_mask:0xf
	;; [unrolled: 1-line block ×3, first 2 shown]
	v_cmp_ne_u32_e32 vcc, 0, v63
	s_and_saveexec_b64 s[26:27], vcc
; %bb.95:
	v_add_u32_e32 v62, v62, v64
	v_add_f64 v[58:59], v[60:61], v[58:59]
	v_cmp_eq_u32_e32 vcc, 0, v64
	v_cndmask_b32_e32 v61, v61, v59, vcc
	v_cndmask_b32_e32 v60, v60, v58, vcc
	v_mov_b32_e32 v64, v62
; %bb.96:
	s_or_b64 exec, exec, s[26:27]
	s_nop 0
	v_mov_b32_dpp v62, v64 row_bcast:31 row_mask:0xf bank_mask:0xf
	v_mov_b32_dpp v58, v60 row_bcast:31 row_mask:0xf bank_mask:0xf
	;; [unrolled: 1-line block ×3, first 2 shown]
	v_cmp_lt_u32_e32 vcc, 31, v70
	s_and_saveexec_b64 s[26:27], vcc
; %bb.97:
	v_add_u32_e32 v62, v62, v64
	v_add_f64 v[58:59], v[60:61], v[58:59]
	v_cmp_eq_u32_e32 vcc, 0, v64
	v_cndmask_b32_e32 v61, v61, v59, vcc
	v_cndmask_b32_e32 v60, v60, v58, vcc
	v_mov_b32_e32 v64, v62
; %bb.98:
	s_or_b64 exec, exec, s[26:27]
	v_lshrrev_b32_e32 v58, 6, v0
	v_or_b32_e32 v59, 63, v0
	v_cmp_eq_u32_e32 vcc, v59, v0
	v_lshlrev_b32_e32 v65, 4, v58
	s_and_saveexec_b64 s[26:27], vcc
	s_cbranch_execz .LBB34_100
; %bb.99:
	ds_write_b32 v65, v64 offset:4128
	ds_write_b64 v65, v[60:61] offset:4136
.LBB34_100:
	s_or_b64 exec, exec, s[26:27]
	v_cmp_gt_u32_e32 vcc, 4, v0
	s_waitcnt lgkmcnt(0)
	s_barrier
	s_and_saveexec_b64 s[26:27], vcc
	s_cbranch_execz .LBB34_106
; %bb.101:
	v_lshlrev_b32_e32 v66, 4, v0
	ds_read_b32 v67, v66 offset:4128
	ds_read_b64 v[58:59], v66 offset:4136
	v_and_b32_e32 v68, 3, v70
	v_cmp_ne_u32_e32 vcc, 0, v68
	s_waitcnt lgkmcnt(1)
	v_mov_b32_dpp v69, v67 row_shr:1 row_mask:0xf bank_mask:0xf
	s_waitcnt lgkmcnt(0)
	v_mov_b32_dpp v62, v58 row_shr:1 row_mask:0xf bank_mask:0xf
	v_mov_b32_dpp v63, v59 row_shr:1 row_mask:0xf bank_mask:0xf
	s_and_saveexec_b64 s[42:43], vcc
; %bb.102:
	v_add_u32_e32 v69, v69, v67
	v_add_f64 v[62:63], v[58:59], v[62:63]
	v_cmp_eq_u32_e32 vcc, 0, v67
	v_cndmask_b32_e32 v59, v59, v63, vcc
	v_cndmask_b32_e32 v58, v58, v62, vcc
	v_mov_b32_e32 v67, v69
; %bb.103:
	s_or_b64 exec, exec, s[42:43]
	s_nop 0
	v_mov_b32_dpp v69, v67 row_shr:2 row_mask:0xf bank_mask:0xf
	v_mov_b32_dpp v62, v58 row_shr:2 row_mask:0xf bank_mask:0xf
	;; [unrolled: 1-line block ×3, first 2 shown]
	v_cmp_lt_u32_e32 vcc, 1, v68
	s_and_saveexec_b64 s[42:43], vcc
; %bb.104:
	v_add_u32_e32 v68, v69, v67
	v_add_f64 v[62:63], v[58:59], v[62:63]
	v_cmp_eq_u32_e32 vcc, 0, v67
	v_cndmask_b32_e32 v59, v59, v63, vcc
	v_cndmask_b32_e32 v58, v58, v62, vcc
	v_mov_b32_e32 v67, v68
; %bb.105:
	s_or_b64 exec, exec, s[42:43]
	ds_write_b32 v66, v67 offset:4128
	ds_write_b64 v66, v[58:59] offset:4136
.LBB34_106:
	s_or_b64 exec, exec, s[26:27]
	v_cmp_gt_u32_e32 vcc, 64, v0
	v_cmp_lt_u32_e64 s[26:27], 63, v0
	v_pk_mov_b32 v[58:59], 0, 0
	v_mov_b32_e32 v76, 0
	s_waitcnt lgkmcnt(0)
	s_barrier
	s_and_saveexec_b64 s[42:43], s[26:27]
	s_cbranch_execz .LBB34_108
; %bb.107:
	ds_read_b32 v76, v65 offset:4112
	ds_read_b64 v[58:59], v65 offset:4120
	v_cmp_eq_u32_e64 s[26:27], 0, v64
	s_waitcnt lgkmcnt(1)
	v_add_u32_e32 v65, v76, v64
	s_waitcnt lgkmcnt(0)
	v_add_f64 v[62:63], v[60:61], v[58:59]
	v_cndmask_b32_e64 v61, v61, v63, s[26:27]
	v_cndmask_b32_e64 v60, v60, v62, s[26:27]
	v_mov_b32_e32 v64, v65
.LBB34_108:
	s_or_b64 exec, exec, s[42:43]
	v_add_u32_e32 v62, -1, v70
	v_and_b32_e32 v63, 64, v70
	v_cmp_lt_i32_e64 s[26:27], v62, v63
	v_cndmask_b32_e64 v62, v62, v70, s[26:27]
	v_lshlrev_b32_e32 v62, 2, v62
	ds_bpermute_b32 v77, v62, v64
	ds_bpermute_b32 v78, v62, v60
	;; [unrolled: 1-line block ×3, first 2 shown]
	v_cmp_eq_u32_e64 s[26:27], 0, v70
	s_and_saveexec_b64 s[42:43], vcc
	s_cbranch_execz .LBB34_155
; %bb.109:
	v_mov_b32_e32 v65, 0
	ds_read_b32 v80, v65 offset:4176
	ds_read_b64 v[60:61], v65 offset:4184
	s_and_saveexec_b64 s[48:49], s[26:27]
	s_cbranch_execz .LBB34_111
; %bb.110:
	s_add_i32 s52, s6, 64
	s_mov_b32 s53, 0
	s_lshl_b64 s[54:55], s[52:53], 4
	s_add_u32 s54, s36, s54
	s_addc_u32 s55, s37, s55
	v_mov_b32_e32 v62, s52
	v_mov_b32_e32 v63, 1
	s_waitcnt lgkmcnt(1)
	global_store_dword v65, v80, s[54:55]
	s_waitcnt lgkmcnt(0)
	global_store_dwordx2 v65, v[60:61], s[54:55] offset:8
	s_waitcnt vmcnt(0)
	buffer_wbinvl1_vol
	global_store_byte v62, v63, s[40:41]
.LBB34_111:
	s_or_b64 exec, exec, s[48:49]
	v_xad_u32 v62, v70, -1, s6
	v_add_u32_e32 v64, 64, v62
	global_load_ubyte v81, v64, s[40:41] glc
	s_waitcnt vmcnt(0)
	v_cmp_eq_u16_e32 vcc, 0, v81
	s_and_saveexec_b64 s[48:49], vcc
	s_cbranch_execz .LBB34_117
; %bb.112:
	v_mov_b32_e32 v63, s41
	v_add_co_u32_e32 v66, vcc, s40, v64
	v_addc_co_u32_e32 v67, vcc, 0, v63, vcc
	s_mov_b32 s7, 1
	s_mov_b64 s[52:53], 0
.LBB34_113:                             ; =>This Loop Header: Depth=1
                                        ;     Child Loop BB34_114 Depth 2
	s_max_u32 s54, s7, 1
.LBB34_114:                             ;   Parent Loop BB34_113 Depth=1
                                        ; =>  This Inner Loop Header: Depth=2
	s_add_i32 s54, s54, -1
	s_cmp_eq_u32 s54, 0
	s_sleep 1
	s_cbranch_scc0 .LBB34_114
; %bb.115:                              ;   in Loop: Header=BB34_113 Depth=1
	global_load_ubyte v81, v[66:67], off glc
	s_cmp_lt_u32 s7, 32
	s_cselect_b64 s[54:55], -1, 0
	s_cmp_lg_u64 s[54:55], 0
	s_addc_u32 s7, s7, 0
	s_waitcnt vmcnt(0)
	v_cmp_ne_u16_e32 vcc, 0, v81
	s_or_b64 s[52:53], vcc, s[52:53]
	s_andn2_b64 exec, exec, s[52:53]
	s_cbranch_execnz .LBB34_113
; %bb.116:
	s_or_b64 exec, exec, s[52:53]
.LBB34_117:
	s_or_b64 exec, exec, s[48:49]
	v_mov_b32_e32 v63, s39
	v_mov_b32_e32 v66, s37
	v_cmp_eq_u16_e32 vcc, 1, v81
	v_cndmask_b32_e32 v63, v63, v66, vcc
	v_mov_b32_e32 v66, s38
	v_mov_b32_e32 v67, s36
	v_cndmask_b32_e32 v66, v66, v67, vcc
	v_lshlrev_b64 v[64:65], 4, v[64:65]
	v_add_co_u32_e32 v64, vcc, v66, v64
	v_addc_co_u32_e32 v65, vcc, v63, v65, vcc
	s_waitcnt lgkmcnt(0)
	buffer_wbinvl1_vol
	global_load_dword v71, v[64:65], off
	global_load_dwordx2 v[68:69], v[64:65], off offset:8
	v_cmp_eq_u16_e32 vcc, 2, v81
	v_lshlrev_b64 v[64:65], v70, -1
	v_and_b32_e32 v82, 63, v70
	v_and_b32_e32 v63, vcc_hi, v65
	v_and_b32_e32 v85, vcc_lo, v64
	v_cmp_ne_u32_e32 vcc, 63, v82
	v_addc_co_u32_e32 v66, vcc, 0, v70, vcc
	v_lshlrev_b32_e32 v83, 2, v66
	v_or_b32_e32 v63, 0x80000000, v63
	v_ffbl_b32_e32 v63, v63
	v_add_u32_e32 v63, 32, v63
	v_ffbl_b32_e32 v85, v85
	v_min_u32_e32 v63, v85, v63
	v_cmp_lt_u32_e32 vcc, v82, v63
	s_waitcnt vmcnt(1)
	ds_bpermute_b32 v84, v83, v71
	s_waitcnt vmcnt(0)
	ds_bpermute_b32 v66, v83, v68
	ds_bpermute_b32 v67, v83, v69
	s_and_saveexec_b64 s[48:49], vcc
	s_cbranch_execz .LBB34_119
; %bb.118:
	s_waitcnt lgkmcnt(2)
	v_add_u32_e32 v84, v84, v71
	s_waitcnt lgkmcnt(0)
	v_add_f64 v[66:67], v[68:69], v[66:67]
	v_cmp_eq_u32_e32 vcc, 0, v71
	v_cndmask_b32_e32 v69, v69, v67, vcc
	v_cndmask_b32_e32 v68, v68, v66, vcc
	v_mov_b32_e32 v71, v84
.LBB34_119:
	s_or_b64 exec, exec, s[48:49]
	v_cmp_gt_u32_e32 vcc, 62, v82
	s_waitcnt lgkmcnt(1)
	v_cndmask_b32_e64 v66, 0, 1, vcc
	v_lshlrev_b32_e32 v66, 1, v66
	v_add_lshl_u32 v84, v66, v70, 2
	ds_bpermute_b32 v86, v84, v71
	ds_bpermute_b32 v66, v84, v68
	s_waitcnt lgkmcnt(2)
	ds_bpermute_b32 v67, v84, v69
	v_add_u32_e32 v85, 2, v82
	v_cmp_le_u32_e32 vcc, v85, v63
	s_and_saveexec_b64 s[48:49], vcc
	s_cbranch_execz .LBB34_121
; %bb.120:
	s_waitcnt lgkmcnt(2)
	v_add_u32_e32 v86, v86, v71
	s_waitcnt lgkmcnt(0)
	v_add_f64 v[66:67], v[68:69], v[66:67]
	v_cmp_eq_u32_e32 vcc, 0, v71
	v_cndmask_b32_e32 v69, v69, v67, vcc
	v_cndmask_b32_e32 v68, v68, v66, vcc
	v_mov_b32_e32 v71, v86
.LBB34_121:
	s_or_b64 exec, exec, s[48:49]
	v_cmp_gt_u32_e32 vcc, 60, v82
	s_waitcnt lgkmcnt(1)
	v_cndmask_b32_e64 v66, 0, 1, vcc
	v_lshlrev_b32_e32 v66, 2, v66
	v_add_lshl_u32 v86, v66, v70, 2
	ds_bpermute_b32 v88, v86, v71
	ds_bpermute_b32 v66, v86, v68
	s_waitcnt lgkmcnt(2)
	ds_bpermute_b32 v67, v86, v69
	v_add_u32_e32 v87, 4, v82
	v_cmp_le_u32_e32 vcc, v87, v63
	;; [unrolled: 24-line block ×5, first 2 shown]
	s_and_saveexec_b64 s[48:49], vcc
	s_cbranch_execz .LBB34_129
; %bb.128:
	s_waitcnt lgkmcnt(2)
	v_add_u32_e32 v63, v70, v71
	s_waitcnt lgkmcnt(0)
	v_add_f64 v[66:67], v[68:69], v[66:67]
	v_cmp_eq_u32_e32 vcc, 0, v71
	v_cndmask_b32_e32 v69, v69, v67, vcc
	v_cndmask_b32_e32 v68, v68, v66, vcc
	v_mov_b32_e32 v71, v63
.LBB34_129:
	s_or_b64 exec, exec, s[48:49]
	v_mov_b32_e32 v63, 0
	v_mov_b32_e32 v95, 2
	s_branch .LBB34_131
.LBB34_130:                             ;   in Loop: Header=BB34_131 Depth=1
	s_or_b64 exec, exec, s[48:49]
	v_add_f64 v[68:69], v[66:67], v[68:69]
	v_cmp_eq_u32_e32 vcc, 0, v93
	v_subrev_u32_e32 v62, 64, v62
	s_waitcnt lgkmcnt(0)
	v_add_u32_e32 v71, v96, v93
	v_cndmask_b32_e32 v69, v67, v69, vcc
	v_cndmask_b32_e32 v68, v66, v68, vcc
.LBB34_131:                             ; =>This Loop Header: Depth=1
                                        ;     Child Loop BB34_134 Depth 2
                                        ;       Child Loop BB34_135 Depth 3
	v_cmp_ne_u16_sdwa s[48:49], v81, v95 src0_sel:BYTE_0 src1_sel:DWORD
	s_waitcnt lgkmcnt(0)
	v_pk_mov_b32 v[66:67], v[68:69], v[68:69] op_sel:[0,1]
	v_cndmask_b32_e64 v68, 0, 1, s[48:49]
	;;#ASMSTART
	;;#ASMEND
	v_cmp_ne_u32_e32 vcc, 0, v68
	s_cmp_lg_u64 vcc, exec
	v_mov_b32_e32 v93, v71
	s_cbranch_scc1 .LBB34_150
; %bb.132:                              ;   in Loop: Header=BB34_131 Depth=1
	global_load_ubyte v81, v62, s[40:41] glc
	s_waitcnt vmcnt(0)
	v_cmp_eq_u16_e32 vcc, 0, v81
	s_and_saveexec_b64 s[48:49], vcc
	s_cbranch_execz .LBB34_138
; %bb.133:                              ;   in Loop: Header=BB34_131 Depth=1
	v_mov_b32_e32 v69, s41
	v_add_co_u32_e32 v68, vcc, s40, v62
	v_addc_co_u32_e32 v69, vcc, 0, v69, vcc
	s_mov_b32 s7, 1
	s_mov_b64 s[52:53], 0
.LBB34_134:                             ;   Parent Loop BB34_131 Depth=1
                                        ; =>  This Loop Header: Depth=2
                                        ;       Child Loop BB34_135 Depth 3
	s_max_u32 s54, s7, 1
.LBB34_135:                             ;   Parent Loop BB34_131 Depth=1
                                        ;     Parent Loop BB34_134 Depth=2
                                        ; =>    This Inner Loop Header: Depth=3
	s_add_i32 s54, s54, -1
	s_cmp_eq_u32 s54, 0
	s_sleep 1
	s_cbranch_scc0 .LBB34_135
; %bb.136:                              ;   in Loop: Header=BB34_134 Depth=2
	global_load_ubyte v81, v[68:69], off glc
	s_cmp_lt_u32 s7, 32
	s_cselect_b64 s[54:55], -1, 0
	s_cmp_lg_u64 s[54:55], 0
	s_addc_u32 s7, s7, 0
	s_waitcnt vmcnt(0)
	v_cmp_ne_u16_e32 vcc, 0, v81
	s_or_b64 s[52:53], vcc, s[52:53]
	s_andn2_b64 exec, exec, s[52:53]
	s_cbranch_execnz .LBB34_134
; %bb.137:                              ;   in Loop: Header=BB34_131 Depth=1
	s_or_b64 exec, exec, s[52:53]
.LBB34_138:                             ;   in Loop: Header=BB34_131 Depth=1
	s_or_b64 exec, exec, s[48:49]
	v_mov_b32_e32 v68, s39
	v_mov_b32_e32 v69, s37
	v_cmp_eq_u16_e32 vcc, 1, v81
	v_cndmask_b32_e32 v70, v68, v69, vcc
	v_mov_b32_e32 v68, s38
	v_mov_b32_e32 v69, s36
	v_cndmask_b32_e32 v71, v68, v69, vcc
	v_lshlrev_b64 v[68:69], 4, v[62:63]
	v_add_co_u32_e32 v68, vcc, v71, v68
	v_addc_co_u32_e32 v69, vcc, v70, v69, vcc
	buffer_wbinvl1_vol
	global_load_dword v96, v[68:69], off
	s_nop 0
	global_load_dwordx2 v[68:69], v[68:69], off offset:8
	v_cmp_eq_u16_e32 vcc, 2, v81
	v_and_b32_e32 v70, vcc_hi, v65
	v_or_b32_e32 v70, 0x80000000, v70
	v_ffbl_b32_e32 v117, v70
	v_and_b32_e32 v97, vcc_lo, v64
	v_add_u32_e32 v117, 32, v117
	v_ffbl_b32_e32 v97, v97
	v_min_u32_e32 v97, v97, v117
	v_cmp_lt_u32_e32 vcc, v82, v97
	s_waitcnt vmcnt(1)
	ds_bpermute_b32 v116, v83, v96
	s_waitcnt vmcnt(0)
	ds_bpermute_b32 v70, v83, v68
	ds_bpermute_b32 v71, v83, v69
	s_and_saveexec_b64 s[48:49], vcc
	s_cbranch_execz .LBB34_140
; %bb.139:                              ;   in Loop: Header=BB34_131 Depth=1
	s_waitcnt lgkmcnt(2)
	v_add_u32_e32 v116, v116, v96
	s_waitcnt lgkmcnt(0)
	v_add_f64 v[70:71], v[68:69], v[70:71]
	v_cmp_eq_u32_e32 vcc, 0, v96
	v_cndmask_b32_e32 v69, v69, v71, vcc
	v_cndmask_b32_e32 v68, v68, v70, vcc
	v_mov_b32_e32 v96, v116
.LBB34_140:                             ;   in Loop: Header=BB34_131 Depth=1
	s_or_b64 exec, exec, s[48:49]
	s_waitcnt lgkmcnt(2)
	ds_bpermute_b32 v116, v84, v96
	s_waitcnt lgkmcnt(2)
	ds_bpermute_b32 v70, v84, v68
	s_waitcnt lgkmcnt(2)
	ds_bpermute_b32 v71, v84, v69
	v_cmp_le_u32_e32 vcc, v85, v97
	s_and_saveexec_b64 s[48:49], vcc
	s_cbranch_execz .LBB34_142
; %bb.141:                              ;   in Loop: Header=BB34_131 Depth=1
	s_waitcnt lgkmcnt(2)
	v_add_u32_e32 v116, v116, v96
	s_waitcnt lgkmcnt(0)
	v_add_f64 v[70:71], v[68:69], v[70:71]
	v_cmp_eq_u32_e32 vcc, 0, v96
	v_cndmask_b32_e32 v69, v69, v71, vcc
	v_cndmask_b32_e32 v68, v68, v70, vcc
	v_mov_b32_e32 v96, v116
.LBB34_142:                             ;   in Loop: Header=BB34_131 Depth=1
	s_or_b64 exec, exec, s[48:49]
	s_waitcnt lgkmcnt(2)
	ds_bpermute_b32 v116, v86, v96
	s_waitcnt lgkmcnt(2)
	ds_bpermute_b32 v70, v86, v68
	s_waitcnt lgkmcnt(2)
	ds_bpermute_b32 v71, v86, v69
	v_cmp_le_u32_e32 vcc, v87, v97
	s_and_saveexec_b64 s[48:49], vcc
	s_cbranch_execz .LBB34_144
; %bb.143:                              ;   in Loop: Header=BB34_131 Depth=1
	s_waitcnt lgkmcnt(2)
	v_add_u32_e32 v116, v116, v96
	s_waitcnt lgkmcnt(0)
	v_add_f64 v[70:71], v[68:69], v[70:71]
	v_cmp_eq_u32_e32 vcc, 0, v96
	v_cndmask_b32_e32 v69, v69, v71, vcc
	v_cndmask_b32_e32 v68, v68, v70, vcc
	v_mov_b32_e32 v96, v116
.LBB34_144:                             ;   in Loop: Header=BB34_131 Depth=1
	s_or_b64 exec, exec, s[48:49]
	s_waitcnt lgkmcnt(2)
	ds_bpermute_b32 v116, v88, v96
	s_waitcnt lgkmcnt(2)
	ds_bpermute_b32 v70, v88, v68
	s_waitcnt lgkmcnt(2)
	ds_bpermute_b32 v71, v88, v69
	v_cmp_le_u32_e32 vcc, v89, v97
	s_and_saveexec_b64 s[48:49], vcc
	s_cbranch_execz .LBB34_146
; %bb.145:                              ;   in Loop: Header=BB34_131 Depth=1
	s_waitcnt lgkmcnt(2)
	v_add_u32_e32 v116, v116, v96
	s_waitcnt lgkmcnt(0)
	v_add_f64 v[70:71], v[68:69], v[70:71]
	v_cmp_eq_u32_e32 vcc, 0, v96
	v_cndmask_b32_e32 v69, v69, v71, vcc
	v_cndmask_b32_e32 v68, v68, v70, vcc
	v_mov_b32_e32 v96, v116
.LBB34_146:                             ;   in Loop: Header=BB34_131 Depth=1
	s_or_b64 exec, exec, s[48:49]
	s_waitcnt lgkmcnt(2)
	ds_bpermute_b32 v116, v90, v96
	s_waitcnt lgkmcnt(2)
	ds_bpermute_b32 v70, v90, v68
	s_waitcnt lgkmcnt(2)
	ds_bpermute_b32 v71, v90, v69
	v_cmp_le_u32_e32 vcc, v91, v97
	s_and_saveexec_b64 s[48:49], vcc
	s_cbranch_execz .LBB34_148
; %bb.147:                              ;   in Loop: Header=BB34_131 Depth=1
	s_waitcnt lgkmcnt(2)
	v_add_u32_e32 v116, v116, v96
	s_waitcnt lgkmcnt(0)
	v_add_f64 v[70:71], v[68:69], v[70:71]
	v_cmp_eq_u32_e32 vcc, 0, v96
	v_cndmask_b32_e32 v69, v69, v71, vcc
	v_cndmask_b32_e32 v68, v68, v70, vcc
	v_mov_b32_e32 v96, v116
.LBB34_148:                             ;   in Loop: Header=BB34_131 Depth=1
	s_or_b64 exec, exec, s[48:49]
	s_waitcnt lgkmcnt(2)
	ds_bpermute_b32 v116, v92, v96
	s_waitcnt lgkmcnt(2)
	ds_bpermute_b32 v70, v92, v68
	s_waitcnt lgkmcnt(2)
	ds_bpermute_b32 v71, v92, v69
	v_cmp_le_u32_e32 vcc, v94, v97
	s_and_saveexec_b64 s[48:49], vcc
	s_cbranch_execz .LBB34_130
; %bb.149:                              ;   in Loop: Header=BB34_131 Depth=1
	s_waitcnt lgkmcnt(2)
	v_add_u32_e32 v97, v116, v96
	s_waitcnt lgkmcnt(0)
	v_add_f64 v[70:71], v[68:69], v[70:71]
	v_cmp_eq_u32_e32 vcc, 0, v96
	v_cndmask_b32_e32 v69, v69, v71, vcc
	v_cndmask_b32_e32 v68, v68, v70, vcc
	v_mov_b32_e32 v96, v97
	s_branch .LBB34_130
.LBB34_150:                             ;   in Loop: Header=BB34_131 Depth=1
                                        ; implicit-def: $vgpr68_vgpr69
                                        ; implicit-def: $vgpr71
                                        ; implicit-def: $vgpr81
	s_cbranch_execz .LBB34_131
; %bb.151:
	s_and_saveexec_b64 s[36:37], s[26:27]
	s_cbranch_execz .LBB34_153
; %bb.152:
	s_mov_b32 s7, 0
	s_add_i32 s6, s6, 64
	s_lshl_b64 s[48:49], s[6:7], 4
	v_add_f64 v[62:63], v[60:61], v[66:67]
	v_cmp_eq_u32_e32 vcc, 0, v80
	s_add_u32 s48, s38, s48
	v_add_u32_e32 v64, v93, v80
	v_cndmask_b32_e32 v63, v61, v63, vcc
	v_cndmask_b32_e32 v62, v60, v62, vcc
	s_addc_u32 s49, s39, s49
	v_mov_b32_e32 v65, 0
	global_store_dword v65, v64, s[48:49]
	global_store_dwordx2 v65, v[62:63], s[48:49] offset:8
	v_mov_b32_e32 v62, s6
	v_mov_b32_e32 v63, 2
	s_waitcnt vmcnt(0)
	buffer_wbinvl1_vol
	global_store_byte v62, v63, s[40:41]
	ds_write_b32 v65, v80 offset:4096
	ds_write_b64 v65, v[60:61] offset:4104
	ds_write_b32 v65, v93 offset:4112
	ds_write_b64 v65, v[66:67] offset:4120
.LBB34_153:
	s_or_b64 exec, exec, s[36:37]
	v_cmp_eq_u32_e32 vcc, 0, v0
	s_and_b64 exec, exec, vcc
	s_cbranch_execz .LBB34_155
; %bb.154:
	v_mov_b32_e32 v60, 0
	ds_write_b32 v60, v93 offset:4176
	ds_write_b64 v60, v[66:67] offset:4184
.LBB34_155:
	s_or_b64 exec, exec, s[42:43]
	v_mov_b32_e32 v64, 0
	s_waitcnt lgkmcnt(0)
	s_barrier
	ds_read_b64 v[60:61], v64 offset:4184
	ds_read_b32 v65, v64 offset:4176
	v_cndmask_b32_e64 v59, v79, v59, s[26:27]
	v_cndmask_b32_e64 v58, v78, v58, s[26:27]
	;; [unrolled: 1-line block ×3, first 2 shown]
	s_waitcnt lgkmcnt(1)
	v_add_f64 v[62:63], v[58:59], v[60:61]
	v_cmp_eq_u32_e32 vcc, 0, v66
	v_cndmask_b32_e32 v58, v58, v62, vcc
	v_cndmask_b32_e32 v62, v59, v63, vcc
	v_cmp_eq_u32_e32 vcc, 0, v0
	v_cndmask_b32_e32 v97, v62, v61, vcc
	v_cndmask_b32_e32 v96, v58, v60, vcc
	v_cndmask_b32_e64 v59, v66, 0, vcc
	v_add_f64 v[60:61], v[54:55], v[96:97]
	v_cmp_eq_u32_e32 vcc, 0, v113
	v_cndmask_b32_e32 v95, v55, v61, vcc
	v_cndmask_b32_e32 v94, v54, v60, vcc
	v_add_f64 v[60:61], v[56:57], v[94:95]
	v_cndmask_b32_e64 v93, v57, v61, s[24:25]
	v_cndmask_b32_e64 v92, v56, v60, s[24:25]
	v_add_f64 v[60:61], v[50:51], v[92:93]
	v_cndmask_b32_e64 v91, v51, v61, s[22:23]
	v_cndmask_b32_e64 v90, v50, v60, s[22:23]
	;; [unrolled: 3-line block ×10, first 2 shown]
	v_add_f64 v[60:61], v[36:37], v[70:71]
	s_waitcnt lgkmcnt(0)
	s_barrier
	ds_read_b32 v58, v64 offset:4096
	ds_read_b64 v[116:117], v64 offset:4104
	ds_read_b32 v62, v64 offset:4112
	ds_read_b64 v[118:119], v64 offset:4120
	v_cndmask_b32_e64 v69, v37, v61, s[4:5]
	v_cndmask_b32_e64 v68, v36, v60, s[4:5]
	v_add_f64 v[60:61], v[30:31], v[68:69]
	v_cndmask_b32_e64 v67, v31, v61, s[2:3]
	v_cndmask_b32_e64 v66, v30, v60, s[2:3]
	v_add_f64 v[60:61], v[32:33], v[66:67]
	v_add_u32_e32 v59, v65, v59
	v_cndmask_b32_e64 v65, v33, v61, s[0:1]
	v_cndmask_b32_e64 v64, v32, v60, s[0:1]
	s_waitcnt lgkmcnt(0)
	v_add_f64 v[60:61], v[118:119], v[116:117]
	v_cmp_eq_u32_e32 vcc, 0, v58
	v_cndmask_b32_e32 v61, v117, v61, vcc
	v_cndmask_b32_e32 v60, v116, v60, vcc
	s_branch .LBB34_184
.LBB34_156:
                                        ; implicit-def: $vgpr58
                                        ; implicit-def: $vgpr60_vgpr61
                                        ; implicit-def: $vgpr62
                                        ; implicit-def: $vgpr96_vgpr97
                                        ; implicit-def: $vgpr94_vgpr95
                                        ; implicit-def: $vgpr92_vgpr93
                                        ; implicit-def: $vgpr90_vgpr91
                                        ; implicit-def: $vgpr88_vgpr89
                                        ; implicit-def: $vgpr86_vgpr87
                                        ; implicit-def: $vgpr84_vgpr85
                                        ; implicit-def: $vgpr82_vgpr83
                                        ; implicit-def: $vgpr80_vgpr81
                                        ; implicit-def: $vgpr78_vgpr79
                                        ; implicit-def: $vgpr76_vgpr77
                                        ; implicit-def: $vgpr70_vgpr71
                                        ; implicit-def: $vgpr68_vgpr69
                                        ; implicit-def: $vgpr66_vgpr67
                                        ; implicit-def: $vgpr64_vgpr65
                                        ; implicit-def: $vgpr59
	s_cbranch_execz .LBB34_184
; %bb.157:
	s_and_b64 s[0:1], s[30:31], exec
	s_cselect_b32 s1, 0, s47
	s_cselect_b32 s0, 0, s46
	s_cmp_eq_u64 s[0:1], 0
	v_pk_mov_b32 v[62:63], v[54:55], v[54:55] op_sel:[0,1]
	s_cbranch_scc1 .LBB34_159
; %bb.158:
	v_mov_b32_e32 v58, 0
	global_load_dwordx2 v[62:63], v58, s[0:1]
.LBB34_159:
	v_cmp_eq_u32_e32 vcc, 0, v112
	v_cndmask_b32_e32 v59, v57, v99, vcc
	v_cndmask_b32_e32 v58, v56, v98, vcc
	v_add_f64 v[58:59], v[50:51], v[58:59]
	v_cmp_eq_u32_e64 s[0:1], 0, v111
	v_cndmask_b32_e64 v59, v51, v59, s[0:1]
	v_cndmask_b32_e64 v58, v50, v58, s[0:1]
	v_add_f64 v[58:59], v[52:53], v[58:59]
	v_cmp_eq_u32_e64 s[2:3], 0, v110
	v_cndmask_b32_e64 v59, v53, v59, s[2:3]
	v_cndmask_b32_e64 v58, v52, v58, s[2:3]
	;; [unrolled: 4-line block ×10, first 2 shown]
	v_add_f64 v[58:59], v[30:31], v[58:59]
	v_cmp_eq_u32_e64 s[16:17], 0, v101
	v_add3_u32 v60, v115, v108, v107
	v_cndmask_b32_e64 v59, v31, v59, s[16:17]
	v_cndmask_b32_e64 v58, v30, v58, s[16:17]
	v_add3_u32 v60, v60, v106, v105
	v_add_f64 v[58:59], v[32:33], v[58:59]
	v_cmp_eq_u32_e64 s[20:21], 0, v100
	v_add3_u32 v60, v60, v104, v103
	v_cndmask_b32_e64 v59, v33, v59, s[20:21]
	v_cndmask_b32_e64 v58, v32, v58, s[20:21]
	v_add3_u32 v60, v60, v102, v101
	v_add_f64 v[58:59], v[72:73], v[58:59]
	v_cmp_eq_u32_e64 s[24:25], 0, v1
	v_mbcnt_hi_u32_b32 v66, -1, v114
	v_add3_u32 v67, v60, v100, v1
	v_cndmask_b32_e64 v59, v73, v59, s[24:25]
	v_cndmask_b32_e64 v58, v72, v58, s[24:25]
	v_and_b32_e32 v64, 15, v66
	v_mov_b32_dpp v65, v67 row_shr:1 row_mask:0xf bank_mask:0xf
	v_mov_b32_dpp v60, v58 row_shr:1 row_mask:0xf bank_mask:0xf
	;; [unrolled: 1-line block ×3, first 2 shown]
	v_cmp_ne_u32_e64 s[24:25], 0, v64
	s_and_saveexec_b64 s[26:27], s[24:25]
; %bb.160:
	v_add_u32_e32 v65, v65, v67
	v_add_f64 v[60:61], v[58:59], v[60:61]
	v_cmp_eq_u32_e64 s[24:25], 0, v67
	v_cndmask_b32_e64 v59, v59, v61, s[24:25]
	v_cndmask_b32_e64 v58, v58, v60, s[24:25]
	v_mov_b32_e32 v67, v65
; %bb.161:
	s_or_b64 exec, exec, s[26:27]
	s_nop 0
	v_mov_b32_dpp v65, v67 row_shr:2 row_mask:0xf bank_mask:0xf
	v_mov_b32_dpp v60, v58 row_shr:2 row_mask:0xf bank_mask:0xf
	v_mov_b32_dpp v61, v59 row_shr:2 row_mask:0xf bank_mask:0xf
	v_cmp_lt_u32_e64 s[24:25], 1, v64
	s_and_saveexec_b64 s[26:27], s[24:25]
; %bb.162:
	v_add_u32_e32 v65, v65, v67
	v_add_f64 v[60:61], v[58:59], v[60:61]
	v_cmp_eq_u32_e64 s[24:25], 0, v67
	v_cndmask_b32_e64 v59, v59, v61, s[24:25]
	v_cndmask_b32_e64 v58, v58, v60, s[24:25]
	v_mov_b32_e32 v67, v65
; %bb.163:
	s_or_b64 exec, exec, s[26:27]
	s_nop 0
	v_mov_b32_dpp v65, v67 row_shr:4 row_mask:0xf bank_mask:0xf
	v_mov_b32_dpp v60, v58 row_shr:4 row_mask:0xf bank_mask:0xf
	v_mov_b32_dpp v61, v59 row_shr:4 row_mask:0xf bank_mask:0xf
	v_cmp_lt_u32_e64 s[24:25], 3, v64
	;; [unrolled: 15-line block ×3, first 2 shown]
	s_and_saveexec_b64 s[26:27], s[24:25]
; %bb.166:
	v_add_u32_e32 v64, v65, v67
	v_add_f64 v[60:61], v[58:59], v[60:61]
	v_cmp_eq_u32_e64 s[24:25], 0, v67
	v_cndmask_b32_e64 v59, v59, v61, s[24:25]
	v_cndmask_b32_e64 v58, v58, v60, s[24:25]
	v_mov_b32_e32 v67, v64
; %bb.167:
	s_or_b64 exec, exec, s[26:27]
	v_and_b32_e32 v65, 16, v66
	v_mov_b32_dpp v64, v67 row_bcast:15 row_mask:0xf bank_mask:0xf
	v_mov_b32_dpp v60, v58 row_bcast:15 row_mask:0xf bank_mask:0xf
	;; [unrolled: 1-line block ×3, first 2 shown]
	v_cmp_ne_u32_e64 s[24:25], 0, v65
	s_and_saveexec_b64 s[26:27], s[24:25]
; %bb.168:
	v_add_u32_e32 v64, v64, v67
	v_add_f64 v[60:61], v[58:59], v[60:61]
	v_cmp_eq_u32_e64 s[24:25], 0, v67
	v_cndmask_b32_e64 v59, v59, v61, s[24:25]
	v_cndmask_b32_e64 v58, v58, v60, s[24:25]
	v_mov_b32_e32 v67, v64
; %bb.169:
	s_or_b64 exec, exec, s[26:27]
	s_nop 0
	v_mov_b32_dpp v64, v67 row_bcast:31 row_mask:0xf bank_mask:0xf
	v_mov_b32_dpp v60, v58 row_bcast:31 row_mask:0xf bank_mask:0xf
	;; [unrolled: 1-line block ×3, first 2 shown]
	v_cmp_lt_u32_e64 s[24:25], 31, v66
	s_and_saveexec_b64 s[26:27], s[24:25]
; %bb.170:
	v_add_u32_e32 v64, v64, v67
	v_add_f64 v[60:61], v[58:59], v[60:61]
	v_cmp_eq_u32_e64 s[24:25], 0, v67
	v_cndmask_b32_e64 v59, v59, v61, s[24:25]
	v_cndmask_b32_e64 v58, v58, v60, s[24:25]
	v_mov_b32_e32 v67, v64
; %bb.171:
	s_or_b64 exec, exec, s[26:27]
	v_or_b32_e32 v60, 63, v0
	v_lshrrev_b32_e32 v68, 6, v0
	v_cmp_eq_u32_e64 s[24:25], v60, v0
	s_and_saveexec_b64 s[26:27], s[24:25]
	s_cbranch_execz .LBB34_173
; %bb.172:
	v_lshlrev_b32_e32 v60, 4, v68
	ds_write_b32 v60, v67 offset:4128
	ds_write_b64 v60, v[58:59] offset:4136
.LBB34_173:
	s_or_b64 exec, exec, s[26:27]
	v_cmp_gt_u32_e64 s[24:25], 4, v0
	s_waitcnt lgkmcnt(0)
	s_barrier
	s_and_saveexec_b64 s[26:27], s[24:25]
	s_cbranch_execz .LBB34_179
; %bb.174:
	v_lshlrev_b32_e32 v69, 4, v0
	ds_read_b32 v70, v69 offset:4128
	ds_read_b64 v[60:61], v69 offset:4136
	v_and_b32_e32 v71, 3, v66
	v_cmp_ne_u32_e64 s[24:25], 0, v71
	s_waitcnt lgkmcnt(1)
	v_mov_b32_dpp v72, v70 row_shr:1 row_mask:0xf bank_mask:0xf
	s_waitcnt lgkmcnt(0)
	v_mov_b32_dpp v64, v60 row_shr:1 row_mask:0xf bank_mask:0xf
	v_mov_b32_dpp v65, v61 row_shr:1 row_mask:0xf bank_mask:0xf
	s_and_saveexec_b64 s[28:29], s[24:25]
; %bb.175:
	v_add_u32_e32 v72, v72, v70
	v_add_f64 v[64:65], v[60:61], v[64:65]
	v_cmp_eq_u32_e64 s[24:25], 0, v70
	v_cndmask_b32_e64 v61, v61, v65, s[24:25]
	v_cndmask_b32_e64 v60, v60, v64, s[24:25]
	v_mov_b32_e32 v70, v72
; %bb.176:
	s_or_b64 exec, exec, s[28:29]
	s_nop 0
	v_mov_b32_dpp v72, v70 row_shr:2 row_mask:0xf bank_mask:0xf
	v_mov_b32_dpp v64, v60 row_shr:2 row_mask:0xf bank_mask:0xf
	;; [unrolled: 1-line block ×3, first 2 shown]
	v_cmp_lt_u32_e64 s[24:25], 1, v71
	s_and_saveexec_b64 s[28:29], s[24:25]
; %bb.177:
	v_add_u32_e32 v71, v72, v70
	v_add_f64 v[64:65], v[60:61], v[64:65]
	v_cmp_eq_u32_e64 s[24:25], 0, v70
	v_cndmask_b32_e64 v61, v61, v65, s[24:25]
	v_cndmask_b32_e64 v60, v60, v64, s[24:25]
	v_mov_b32_e32 v70, v71
; %bb.178:
	s_or_b64 exec, exec, s[28:29]
	ds_write_b32 v69, v70 offset:4128
	ds_write_b64 v69, v[60:61] offset:4136
.LBB34_179:
	s_or_b64 exec, exec, s[26:27]
	v_cmp_lt_u32_e64 s[24:25], 63, v0
	v_mov_b32_e32 v64, 0
	v_mov_b32_e32 v65, 0
	s_waitcnt vmcnt(0)
	v_pk_mov_b32 v[60:61], v[62:63], v[62:63] op_sel:[0,1]
	s_waitcnt lgkmcnt(0)
	s_barrier
	s_and_saveexec_b64 s[26:27], s[24:25]
	s_cbranch_execz .LBB34_181
; %bb.180:
	v_lshlrev_b32_e32 v65, 4, v68
	ds_read_b64 v[60:61], v65 offset:4120
	ds_read_b32 v65, v65 offset:4112
	s_waitcnt lgkmcnt(1)
	v_add_f64 v[68:69], v[62:63], v[60:61]
	s_waitcnt lgkmcnt(0)
	v_cmp_eq_u32_e64 s[24:25], 0, v65
	v_cndmask_b32_e64 v61, v61, v69, s[24:25]
	v_cndmask_b32_e64 v60, v60, v68, s[24:25]
.LBB34_181:
	s_or_b64 exec, exec, s[26:27]
	v_add_f64 v[68:69], v[58:59], v[60:61]
	v_cmp_eq_u32_e64 s[24:25], 0, v67
	v_add_u32_e32 v70, v65, v67
	v_cndmask_b32_e64 v58, v58, v68, s[24:25]
	v_add_u32_e32 v67, -1, v66
	v_and_b32_e32 v68, 64, v66
	v_cndmask_b32_e64 v59, v59, v69, s[24:25]
	v_cmp_lt_i32_e64 s[24:25], v67, v68
	v_cndmask_b32_e64 v67, v67, v66, s[24:25]
	v_lshlrev_b32_e32 v67, 2, v67
	ds_bpermute_b32 v68, v67, v70
	ds_bpermute_b32 v69, v67, v59
	;; [unrolled: 1-line block ×3, first 2 shown]
	v_cmp_eq_u32_e64 s[24:25], 0, v66
	v_cmp_eq_u32_e64 s[26:27], 0, v113
	s_waitcnt lgkmcnt(2)
	v_cndmask_b32_e64 v59, v68, v65, s[24:25]
	s_waitcnt lgkmcnt(1)
	v_cndmask_b32_e64 v97, v69, v61, s[24:25]
	;; [unrolled: 2-line block ×3, first 2 shown]
	v_cmp_eq_u32_e64 s[24:25], 0, v0
	v_cndmask_b32_e64 v61, v97, v63, s[24:25]
	v_cndmask_b32_e64 v60, v96, v62, s[24:25]
	v_add_f64 v[60:61], v[54:55], v[60:61]
	v_cndmask_b32_e64 v95, v55, v61, s[26:27]
	v_cndmask_b32_e64 v94, v54, v60, s[26:27]
	v_add_f64 v[54:55], v[56:57], v[94:95]
	v_cndmask_b32_e32 v93, v57, v55, vcc
	v_cndmask_b32_e32 v92, v56, v54, vcc
	v_add_f64 v[54:55], v[50:51], v[92:93]
	v_cndmask_b32_e64 v91, v51, v55, s[0:1]
	v_cndmask_b32_e64 v90, v50, v54, s[0:1]
	v_add_f64 v[50:51], v[52:53], v[90:91]
	v_cndmask_b32_e64 v89, v53, v51, s[2:3]
	v_cndmask_b32_e64 v88, v52, v50, s[2:3]
	;; [unrolled: 3-line block ×10, first 2 shown]
	ds_read_b32 v58, v64 offset:4176
	ds_read_b64 v[36:37], v64 offset:4184
	v_add_f64 v[34:35], v[30:31], v[68:69]
	v_cndmask_b32_e64 v67, v31, v35, s[16:17]
	v_cndmask_b32_e64 v66, v30, v34, s[16:17]
	v_add_f64 v[30:31], v[32:33], v[66:67]
	v_cndmask_b32_e64 v65, v33, v31, s[20:21]
	v_cndmask_b32_e64 v64, v32, v30, s[20:21]
	s_waitcnt lgkmcnt(0)
	v_add_f64 v[30:31], v[62:63], v[36:37]
	v_cmp_eq_u32_e32 vcc, 0, v58
	v_cndmask_b32_e32 v61, v37, v31, vcc
	v_cndmask_b32_e32 v60, v36, v30, vcc
	s_and_saveexec_b64 s[0:1], s[24:25]
	s_cbranch_execz .LBB34_183
; %bb.182:
	v_mov_b32_e32 v59, 0
	v_mov_b32_e32 v30, 2
	v_pk_mov_b32 v[96:97], v[62:63], v[62:63] op_sel:[0,1]
	global_store_dword v59, v58, s[38:39] offset:1024
	global_store_dwordx2 v59, v[60:61], s[38:39] offset:1032
	s_waitcnt vmcnt(0)
	buffer_wbinvl1_vol
	global_store_byte v59, v30, s[40:41] offset:64
.LBB34_183:
	s_or_b64 exec, exec, s[0:1]
	v_mov_b32_e32 v62, 0
.LBB34_184:
	s_and_b64 s[0:1], s[30:31], exec
	s_cselect_b32 s1, 0, s51
	s_cselect_b32 s0, 0, s50
	s_cmp_eq_u64 s[0:1], 0
	v_pk_mov_b32 v[30:31], 0, 0
	s_barrier
	s_cbranch_scc1 .LBB34_186
; %bb.185:
	v_mov_b32_e32 v30, 0
	global_load_dwordx2 v[30:31], v30, s[0:1]
.LBB34_186:
	s_waitcnt vmcnt(0)
	v_lshlrev_b64 v[32:33], 3, v[30:31]
	v_mov_b32_e32 v34, s59
	v_add_co_u32_e32 v50, vcc, s58, v32
	v_mov_b32_e32 v63, 0
	v_addc_co_u32_e32 v51, vcc, v34, v33, vcc
	v_lshlrev_b64 v[34:35], 3, v[62:63]
	v_add_co_u32_e32 v50, vcc, v50, v34
	v_addc_co_u32_e32 v51, vcc, v51, v35, vcc
	v_cmp_eq_u32_e32 vcc, 0, v113
	v_cndmask_b32_e64 v52, 1, 2, vcc
	v_cmp_eq_u32_e32 vcc, 0, v112
	v_cndmask_b32_e64 v53, 1, 2, vcc
	v_cmp_eq_u32_e32 vcc, 0, v111
	v_and_b32_e32 v52, v53, v52
	v_cndmask_b32_e64 v53, 1, 2, vcc
	v_cmp_eq_u32_e32 vcc, 0, v110
	v_add_u32_e32 v49, v59, v113
	v_and_b32_e32 v52, v52, v53
	v_cndmask_b32_e64 v53, 1, 2, vcc
	v_cmp_eq_u32_e32 vcc, 0, v109
	v_add_u32_e32 v48, v49, v112
	v_and_b32_e32 v52, v52, v53
	v_cndmask_b32_e64 v53, 1, 2, vcc
	v_cmp_eq_u32_e32 vcc, 0, v108
	v_add_u32_e32 v47, v48, v111
	v_and_b32_e32 v52, v52, v53
	v_cndmask_b32_e64 v53, 1, 2, vcc
	v_cmp_eq_u32_e32 vcc, 0, v107
	v_add_u32_e32 v46, v47, v110
	v_and_b32_e32 v52, v52, v53
	v_cndmask_b32_e64 v53, 1, 2, vcc
	v_cmp_eq_u32_e32 vcc, 0, v106
	v_add_u32_e32 v45, v46, v109
	v_and_b32_e32 v52, v52, v53
	v_cndmask_b32_e64 v53, 1, 2, vcc
	v_cmp_eq_u32_e32 vcc, 0, v105
	v_add_u32_e32 v44, v45, v108
	v_and_b32_e32 v52, v52, v53
	v_cndmask_b32_e64 v53, 1, 2, vcc
	v_cmp_eq_u32_e32 vcc, 0, v104
	v_add_u32_e32 v43, v44, v107
	v_and_b32_e32 v52, v52, v53
	v_cndmask_b32_e64 v53, 1, 2, vcc
	v_cmp_eq_u32_e32 vcc, 0, v103
	v_add_u32_e32 v42, v43, v106
	v_and_b32_e32 v52, v52, v53
	v_cndmask_b32_e64 v53, 1, 2, vcc
	v_cmp_eq_u32_e32 vcc, 0, v102
	v_add_u32_e32 v41, v42, v105
	v_and_b32_e32 v52, v52, v53
	v_cndmask_b32_e64 v53, 1, 2, vcc
	v_cmp_eq_u32_e32 vcc, 0, v101
	v_add_u32_e32 v40, v41, v104
	v_and_b32_e32 v52, v52, v53
	v_cndmask_b32_e64 v53, 1, 2, vcc
	v_cmp_eq_u32_e32 vcc, 0, v100
	v_add_u32_e32 v39, v40, v103
	v_and_b32_e32 v52, v52, v53
	v_cndmask_b32_e64 v53, 1, 2, vcc
	v_cmp_eq_u32_e32 vcc, 0, v1
	v_add_u32_e32 v38, v39, v102
	v_and_b32_e32 v52, v52, v53
	v_cndmask_b32_e64 v53, 1, 2, vcc
	s_movk_i32 s30, 0x100
	v_add_u32_e32 v37, v38, v101
	v_and_b32_e32 v52, v52, v53
	v_cmp_gt_u32_e32 vcc, s30, v58
	v_add_u32_e32 v36, v37, v100
	v_cmp_ne_u32_e64 s[28:29], 0, v113
	v_cmp_ne_u32_e64 s[26:27], 0, v112
	;; [unrolled: 1-line block ×15, first 2 shown]
	s_mov_b64 s[36:37], -1
	v_cmp_gt_i16_e64 s[30:31], 2, v52
	s_cbranch_vccz .LBB34_193
; %bb.187:
	s_and_saveexec_b64 s[36:37], s[30:31]
	s_cbranch_execz .LBB34_192
; %bb.188:
	v_cmp_ne_u16_e32 vcc, 1, v52
	s_mov_b64 s[38:39], 0
	s_and_saveexec_b64 s[30:31], vcc
	s_xor_b64 s[30:31], exec, s[30:31]
	s_cbranch_execnz .LBB34_225
; %bb.189:
	s_andn2_saveexec_b64 s[30:31], s[30:31]
	s_cbranch_execnz .LBB34_241
.LBB34_190:
	s_or_b64 exec, exec, s[30:31]
	s_and_b64 exec, exec, s[38:39]
	s_cbranch_execz .LBB34_192
.LBB34_191:
	v_sub_u32_e32 v54, v36, v62
	v_mov_b32_e32 v55, 0
	v_lshlrev_b64 v[54:55], 3, v[54:55]
	v_add_co_u32_e32 v54, vcc, v50, v54
	v_addc_co_u32_e32 v55, vcc, v51, v55, vcc
	global_store_dwordx2 v[54:55], v[74:75], off
.LBB34_192:
	s_or_b64 exec, exec, s[36:37]
	s_mov_b64 s[36:37], 0
.LBB34_193:
	s_and_b64 vcc, exec, s[36:37]
	s_cbranch_vccz .LBB34_203
; %bb.194:
	v_cmp_gt_i16_e32 vcc, 2, v52
	s_and_saveexec_b64 s[30:31], vcc
	s_cbranch_execz .LBB34_199
; %bb.195:
	v_cmp_ne_u16_e32 vcc, 1, v52
	s_mov_b64 s[38:39], 0
	s_and_saveexec_b64 s[36:37], vcc
	s_xor_b64 s[36:37], exec, s[36:37]
	s_cbranch_execnz .LBB34_242
; %bb.196:
	s_andn2_saveexec_b64 s[0:1], s[36:37]
	s_cbranch_execnz .LBB34_258
.LBB34_197:
	s_or_b64 exec, exec, s[0:1]
	s_and_b64 exec, exec, s[38:39]
	s_cbranch_execz .LBB34_199
.LBB34_198:
	v_sub_u32_e32 v2, v36, v62
	v_lshlrev_b32_e32 v2, 3, v2
	ds_write_b64 v2, v[74:75]
.LBB34_199:
	s_or_b64 exec, exec, s[30:31]
	v_cmp_lt_u32_e32 vcc, v0, v58
	s_waitcnt lgkmcnt(0)
	s_barrier
	s_and_saveexec_b64 s[0:1], vcc
	s_cbranch_execz .LBB34_202
; %bb.200:
	v_lshlrev_b32_e32 v4, 3, v0
	s_mov_b64 s[2:3], 0
	v_mov_b32_e32 v3, 0
	v_mov_b32_e32 v2, v0
.LBB34_201:                             ; =>This Inner Loop Header: Depth=1
	v_lshlrev_b64 v[6:7], 3, v[2:3]
	ds_read_b64 v[8:9], v4
	v_add_co_u32_e32 v6, vcc, v50, v6
	v_add_u32_e32 v2, 0x100, v2
	v_addc_co_u32_e32 v7, vcc, v51, v7, vcc
	v_cmp_ge_u32_e32 vcc, v2, v58
	v_add_u32_e32 v4, 0x800, v4
	s_or_b64 s[2:3], vcc, s[2:3]
	s_waitcnt lgkmcnt(0)
	global_store_dwordx2 v[6:7], v[8:9], off
	s_andn2_b64 exec, exec, s[2:3]
	s_cbranch_execnz .LBB34_201
.LBB34_202:
	s_or_b64 exec, exec, s[0:1]
.LBB34_203:
	s_cmpk_lg_i32 s33, 0xf00
	s_cselect_b64 s[0:1], -1, 0
	v_cndmask_b32_e64 v2, 0, 1, s[44:45]
	s_and_b64 s[0:1], s[34:35], s[0:1]
	v_cmp_eq_u32_e32 vcc, 0, v0
	v_sub_u32_e32 v3, v58, v2
	v_cndmask_b32_e64 v4, 0, 1, s[0:1]
	s_and_b64 s[0:1], vcc, s[44:45]
	v_add_u32_e32 v4, v3, v4
	v_cndmask_b32_e64 v3, v113, 0, s[0:1]
	s_mul_hi_u32 s0, s33, 0x88888889
	s_lshr_b32 s0, s0, 3
	v_mad_i32_i24 v5, v0, -15, s33
	v_cmp_eq_u32_e32 vcc, s0, v0
	v_cmp_ne_u32_e64 s[0:1], 0, v5
	v_cndmask_b32_e64 v6, 1, v3, s[0:1]
	v_cmp_ne_u32_e64 s[0:1], 1, v5
	v_cndmask_b32_e64 v7, 1, v112, s[0:1]
	;; [unrolled: 2-line block ×15, first 2 shown]
	s_and_b64 vcc, s[34:35], vcc
	v_cndmask_b32_e32 v20, v1, v5, vcc
	v_cndmask_b32_e32 v19, v100, v19, vcc
	;; [unrolled: 1-line block ×15, first 2 shown]
	v_mov_b32_e32 v1, s61
	v_add_co_u32_e32 v5, vcc, s60, v32
	v_addc_co_u32_e32 v6, vcc, v1, v33, vcc
	v_add_co_u32_e32 v1, vcc, v5, v34
	v_addc_co_u32_e32 v5, vcc, v6, v35, vcc
	v_lshlrev_b32_e32 v6, 3, v2
	v_add_co_u32_e32 v6, vcc, v6, v1
	v_addc_co_u32_e32 v7, vcc, 0, v5, vcc
	v_add_co_u32_e32 v6, vcc, -8, v6
	v_addc_co_u32_e32 v7, vcc, -1, v7, vcc
	v_cmp_eq_u32_e32 vcc, 0, v3
	v_cmp_ne_u32_e64 s[28:29], 0, v3
	v_cndmask_b32_e64 v3, 1, 2, vcc
	v_cmp_eq_u32_e32 vcc, 0, v21
	v_cmp_ne_u32_e64 s[26:27], 0, v21
	v_cndmask_b32_e64 v21, 1, 2, vcc
	v_cmp_eq_u32_e32 vcc, 0, v8
	v_and_b32_e32 v3, v21, v3
	v_cmp_ne_u32_e64 s[24:25], 0, v8
	v_cndmask_b32_e64 v8, 1, 2, vcc
	v_cmp_eq_u32_e32 vcc, 0, v9
	v_and_b32_e32 v3, v3, v8
	v_cndmask_b32_e64 v8, 1, 2, vcc
	v_cmp_eq_u32_e32 vcc, 0, v10
	v_and_b32_e32 v3, v3, v8
	;; [unrolled: 3-line block ×12, first 2 shown]
	v_cndmask_b32_e64 v8, 1, 2, vcc
	s_movk_i32 s30, 0x100
	v_and_b32_e32 v3, v3, v8
	v_cmp_gt_u32_e32 vcc, s30, v4
	v_add_u32_e32 v2, v62, v2
	v_cmp_ne_u32_e64 s[22:23], 0, v9
	v_cmp_ne_u32_e64 s[20:21], 0, v10
	;; [unrolled: 1-line block ×12, first 2 shown]
	s_mov_b64 s[36:37], -1
	v_cmp_gt_i16_e64 s[30:31], 2, v3
	s_barrier
	s_cbranch_vccz .LBB34_210
; %bb.204:
	s_and_saveexec_b64 s[36:37], s[30:31]
	s_cbranch_execz .LBB34_209
; %bb.205:
	v_cmp_ne_u16_e32 vcc, 1, v3
	s_mov_b64 s[38:39], 0
	s_and_saveexec_b64 s[30:31], vcc
	s_xor_b64 s[30:31], exec, s[30:31]
	s_cbranch_execnz .LBB34_259
; %bb.206:
	s_andn2_saveexec_b64 s[30:31], s[30:31]
	s_cbranch_execnz .LBB34_275
.LBB34_207:
	s_or_b64 exec, exec, s[30:31]
	s_and_b64 exec, exec, s[38:39]
	s_cbranch_execz .LBB34_209
.LBB34_208:
	v_sub_u32_e32 v8, v36, v2
	v_mov_b32_e32 v9, 0
	v_lshlrev_b64 v[8:9], 3, v[8:9]
	v_add_co_u32_e32 v8, vcc, v6, v8
	v_addc_co_u32_e32 v9, vcc, v7, v9, vcc
	global_store_dwordx2 v[8:9], v[64:65], off
.LBB34_209:
	s_or_b64 exec, exec, s[36:37]
	s_mov_b64 s[36:37], 0
.LBB34_210:
	s_and_b64 vcc, exec, s[36:37]
	s_cbranch_vccz .LBB34_220
; %bb.211:
	v_cmp_gt_i16_e32 vcc, 2, v3
	s_and_saveexec_b64 s[30:31], vcc
	s_cbranch_execz .LBB34_216
; %bb.212:
	v_cmp_ne_u16_e32 vcc, 1, v3
	s_mov_b64 s[38:39], 0
	s_and_saveexec_b64 s[36:37], vcc
	s_xor_b64 s[36:37], exec, s[36:37]
	s_cbranch_execnz .LBB34_276
; %bb.213:
	s_andn2_saveexec_b64 s[0:1], s[36:37]
	s_cbranch_execnz .LBB34_292
.LBB34_214:
	s_or_b64 exec, exec, s[0:1]
	s_and_b64 exec, exec, s[38:39]
	s_cbranch_execz .LBB34_216
.LBB34_215:
	v_sub_u32_e32 v2, v36, v2
	v_lshlrev_b32_e32 v2, 3, v2
	ds_write_b64 v2, v[64:65]
.LBB34_216:
	s_or_b64 exec, exec, s[30:31]
	v_cmp_lt_u32_e32 vcc, v0, v4
	s_waitcnt lgkmcnt(0)
	s_barrier
	s_and_saveexec_b64 s[0:1], vcc
	s_cbranch_execz .LBB34_219
; %bb.217:
	v_lshlrev_b32_e32 v8, 3, v0
	s_mov_b64 s[2:3], 0
	v_mov_b32_e32 v3, 0
	v_mov_b32_e32 v2, v0
.LBB34_218:                             ; =>This Inner Loop Header: Depth=1
	v_lshlrev_b64 v[10:11], 3, v[2:3]
	ds_read_b64 v[12:13], v8
	v_add_co_u32_e32 v10, vcc, v6, v10
	v_add_u32_e32 v2, 0x100, v2
	v_addc_co_u32_e32 v11, vcc, v7, v11, vcc
	v_cmp_ge_u32_e32 vcc, v2, v4
	v_add_u32_e32 v8, 0x800, v8
	s_or_b64 s[2:3], vcc, s[2:3]
	s_waitcnt lgkmcnt(0)
	global_store_dwordx2 v[10:11], v[12:13], off
	s_andn2_b64 exec, exec, s[2:3]
	s_cbranch_execnz .LBB34_218
.LBB34_219:
	s_or_b64 exec, exec, s[0:1]
.LBB34_220:
	s_movk_i32 s0, 0xff
	v_cmp_eq_u32_e32 vcc, s0, v0
	s_and_b64 s[0:1], vcc, s[34:35]
	s_and_saveexec_b64 s[2:3], s[0:1]
	s_cbranch_execz .LBB34_223
; %bb.221:
	v_add_co_u32_e32 v0, vcc, v58, v62
	v_addc_co_u32_e64 v3, s[0:1], 0, 0, vcc
	v_add_co_u32_e32 v2, vcc, v0, v30
	v_mov_b32_e32 v59, 0
	v_addc_co_u32_e32 v3, vcc, v3, v31, vcc
	s_cmpk_lg_i32 s33, 0xf00
	global_store_dwordx2 v59, v[2:3], s[62:63]
	s_cbranch_scc1 .LBB34_223
; %bb.222:
	v_lshlrev_b64 v[2:3], 3, v[58:59]
	v_add_co_u32_e32 v0, vcc, v1, v2
	v_addc_co_u32_e32 v1, vcc, v5, v3, vcc
	global_store_dwordx2 v[0:1], v[60:61], off offset:-8
.LBB34_223:
	s_endpgm
.LBB34_224:
	s_or_b64 exec, exec, s[8:9]
	v_mov_b32_e32 v113, s10
	s_and_saveexec_b64 s[4:5], s[2:3]
	s_cbranch_execnz .LBB34_84
	s_branch .LBB34_85
.LBB34_225:
	s_and_saveexec_b64 s[38:39], s[28:29]
	s_cbranch_execnz .LBB34_293
; %bb.226:
	s_or_b64 exec, exec, s[38:39]
	s_and_saveexec_b64 s[38:39], s[26:27]
	s_cbranch_execnz .LBB34_294
.LBB34_227:
	s_or_b64 exec, exec, s[38:39]
	s_and_saveexec_b64 s[38:39], s[24:25]
	s_cbranch_execnz .LBB34_295
.LBB34_228:
	s_or_b64 exec, exec, s[38:39]
	s_and_saveexec_b64 s[38:39], s[22:23]
	s_cbranch_execnz .LBB34_296
.LBB34_229:
	s_or_b64 exec, exec, s[38:39]
	s_and_saveexec_b64 s[38:39], s[20:21]
	s_cbranch_execnz .LBB34_297
.LBB34_230:
	s_or_b64 exec, exec, s[38:39]
	s_and_saveexec_b64 s[38:39], s[18:19]
	s_cbranch_execnz .LBB34_298
.LBB34_231:
	s_or_b64 exec, exec, s[38:39]
	s_and_saveexec_b64 s[38:39], s[16:17]
	s_cbranch_execnz .LBB34_299
.LBB34_232:
	s_or_b64 exec, exec, s[38:39]
	s_and_saveexec_b64 s[38:39], s[14:15]
	s_cbranch_execnz .LBB34_300
.LBB34_233:
	s_or_b64 exec, exec, s[38:39]
	s_and_saveexec_b64 s[38:39], s[12:13]
	s_cbranch_execnz .LBB34_301
.LBB34_234:
	s_or_b64 exec, exec, s[38:39]
	s_and_saveexec_b64 s[38:39], s[10:11]
	s_cbranch_execnz .LBB34_302
.LBB34_235:
	s_or_b64 exec, exec, s[38:39]
	s_and_saveexec_b64 s[38:39], s[8:9]
	s_cbranch_execnz .LBB34_303
.LBB34_236:
	s_or_b64 exec, exec, s[38:39]
	s_and_saveexec_b64 s[38:39], s[6:7]
	s_cbranch_execnz .LBB34_304
.LBB34_237:
	s_or_b64 exec, exec, s[38:39]
	s_and_saveexec_b64 s[38:39], s[4:5]
	s_cbranch_execnz .LBB34_305
.LBB34_238:
	s_or_b64 exec, exec, s[38:39]
	s_and_saveexec_b64 s[38:39], s[2:3]
	s_cbranch_execz .LBB34_240
.LBB34_239:
	v_sub_u32_e32 v54, v37, v62
	v_mov_b32_e32 v55, 0
	v_lshlrev_b64 v[54:55], 3, v[54:55]
	v_add_co_u32_e32 v54, vcc, v50, v54
	v_addc_co_u32_e32 v55, vcc, v51, v55, vcc
	global_store_dwordx2 v[54:55], v[4:5], off
.LBB34_240:
	s_or_b64 exec, exec, s[38:39]
	s_and_b64 s[38:39], s[0:1], exec
	s_andn2_saveexec_b64 s[30:31], s[30:31]
	s_cbranch_execz .LBB34_190
.LBB34_241:
	v_sub_u32_e32 v54, v59, v62
	v_mov_b32_e32 v55, 0
	v_lshlrev_b64 v[56:57], 3, v[54:55]
	v_add_co_u32_e32 v56, vcc, v50, v56
	v_addc_co_u32_e32 v57, vcc, v51, v57, vcc
	v_sub_u32_e32 v54, v49, v62
	global_store_dwordx2 v[56:57], v[26:27], off
	v_lshlrev_b64 v[56:57], 3, v[54:55]
	v_add_co_u32_e32 v56, vcc, v50, v56
	v_addc_co_u32_e32 v57, vcc, v51, v57, vcc
	v_sub_u32_e32 v54, v48, v62
	global_store_dwordx2 v[56:57], v[28:29], off
	;; [unrolled: 5-line block ×12, first 2 shown]
	v_lshlrev_b64 v[56:57], 3, v[54:55]
	v_add_co_u32_e32 v56, vcc, v50, v56
	v_sub_u32_e32 v54, v37, v62
	v_addc_co_u32_e32 v57, vcc, v51, v57, vcc
	v_lshlrev_b64 v[54:55], 3, v[54:55]
	v_add_co_u32_e32 v54, vcc, v50, v54
	v_addc_co_u32_e32 v55, vcc, v51, v55, vcc
	s_or_b64 s[38:39], s[38:39], exec
	global_store_dwordx2 v[56:57], v[2:3], off
	global_store_dwordx2 v[54:55], v[4:5], off
	s_or_b64 exec, exec, s[30:31]
	s_and_b64 exec, exec, s[38:39]
	s_cbranch_execnz .LBB34_191
	s_branch .LBB34_192
.LBB34_242:
	s_and_saveexec_b64 s[38:39], s[28:29]
	s_cbranch_execnz .LBB34_306
; %bb.243:
	s_or_b64 exec, exec, s[38:39]
	s_and_saveexec_b64 s[28:29], s[26:27]
	s_cbranch_execnz .LBB34_307
.LBB34_244:
	s_or_b64 exec, exec, s[28:29]
	s_and_saveexec_b64 s[26:27], s[24:25]
	s_cbranch_execnz .LBB34_308
.LBB34_245:
	s_or_b64 exec, exec, s[26:27]
	s_and_saveexec_b64 s[24:25], s[22:23]
	s_cbranch_execnz .LBB34_309
.LBB34_246:
	s_or_b64 exec, exec, s[24:25]
	s_and_saveexec_b64 s[22:23], s[20:21]
	s_cbranch_execnz .LBB34_310
.LBB34_247:
	s_or_b64 exec, exec, s[22:23]
	s_and_saveexec_b64 s[20:21], s[18:19]
	s_cbranch_execnz .LBB34_311
.LBB34_248:
	s_or_b64 exec, exec, s[20:21]
	s_and_saveexec_b64 s[18:19], s[16:17]
	s_cbranch_execnz .LBB34_312
.LBB34_249:
	s_or_b64 exec, exec, s[18:19]
	s_and_saveexec_b64 s[16:17], s[14:15]
	s_cbranch_execnz .LBB34_313
.LBB34_250:
	s_or_b64 exec, exec, s[16:17]
	s_and_saveexec_b64 s[14:15], s[12:13]
	s_cbranch_execnz .LBB34_314
.LBB34_251:
	s_or_b64 exec, exec, s[14:15]
	s_and_saveexec_b64 s[12:13], s[10:11]
	s_cbranch_execnz .LBB34_315
.LBB34_252:
	s_or_b64 exec, exec, s[12:13]
	s_and_saveexec_b64 s[10:11], s[8:9]
	s_cbranch_execnz .LBB34_316
.LBB34_253:
	s_or_b64 exec, exec, s[10:11]
	s_and_saveexec_b64 s[8:9], s[6:7]
	s_cbranch_execnz .LBB34_317
.LBB34_254:
	s_or_b64 exec, exec, s[8:9]
	s_and_saveexec_b64 s[6:7], s[4:5]
	s_cbranch_execnz .LBB34_318
.LBB34_255:
	s_or_b64 exec, exec, s[6:7]
	s_and_saveexec_b64 s[4:5], s[2:3]
	s_cbranch_execz .LBB34_257
.LBB34_256:
	v_sub_u32_e32 v2, v37, v62
	v_lshlrev_b32_e32 v2, 3, v2
	ds_write_b64 v2, v[4:5]
.LBB34_257:
	s_or_b64 exec, exec, s[4:5]
	s_and_b64 s[38:39], s[0:1], exec
                                        ; implicit-def: $vgpr2_vgpr3
                                        ; implicit-def: $vgpr6_vgpr7
                                        ; implicit-def: $vgpr10_vgpr11
                                        ; implicit-def: $vgpr14_vgpr15
                                        ; implicit-def: $vgpr18_vgpr19
                                        ; implicit-def: $vgpr22_vgpr23
                                        ; implicit-def: $vgpr26_vgpr27
	s_andn2_saveexec_b64 s[0:1], s[36:37]
	s_cbranch_execz .LBB34_197
.LBB34_258:
	v_sub_u32_e32 v52, v59, v62
	v_lshlrev_b32_e32 v52, 3, v52
	ds_write_b64 v52, v[26:27]
	v_sub_u32_e32 v26, v49, v62
	v_lshlrev_b32_e32 v26, 3, v26
	ds_write_b64 v26, v[28:29]
	;; [unrolled: 3-line block ×13, first 2 shown]
	v_sub_u32_e32 v2, v37, v62
	v_lshlrev_b32_e32 v2, 3, v2
	s_or_b64 s[38:39], s[38:39], exec
	ds_write_b64 v2, v[4:5]
	s_or_b64 exec, exec, s[0:1]
	s_and_b64 exec, exec, s[38:39]
	s_cbranch_execnz .LBB34_198
	s_branch .LBB34_199
.LBB34_259:
	s_and_saveexec_b64 s[38:39], s[28:29]
	s_cbranch_execnz .LBB34_319
; %bb.260:
	s_or_b64 exec, exec, s[38:39]
	s_and_saveexec_b64 s[38:39], s[26:27]
	s_cbranch_execnz .LBB34_320
.LBB34_261:
	s_or_b64 exec, exec, s[38:39]
	s_and_saveexec_b64 s[38:39], s[24:25]
	s_cbranch_execnz .LBB34_321
.LBB34_262:
	s_or_b64 exec, exec, s[38:39]
	s_and_saveexec_b64 s[38:39], s[22:23]
	s_cbranch_execnz .LBB34_322
.LBB34_263:
	s_or_b64 exec, exec, s[38:39]
	s_and_saveexec_b64 s[38:39], s[20:21]
	s_cbranch_execnz .LBB34_323
.LBB34_264:
	s_or_b64 exec, exec, s[38:39]
	s_and_saveexec_b64 s[38:39], s[18:19]
	s_cbranch_execnz .LBB34_324
.LBB34_265:
	s_or_b64 exec, exec, s[38:39]
	s_and_saveexec_b64 s[38:39], s[16:17]
	s_cbranch_execnz .LBB34_325
.LBB34_266:
	s_or_b64 exec, exec, s[38:39]
	s_and_saveexec_b64 s[38:39], s[14:15]
	s_cbranch_execnz .LBB34_326
.LBB34_267:
	s_or_b64 exec, exec, s[38:39]
	s_and_saveexec_b64 s[38:39], s[12:13]
	s_cbranch_execnz .LBB34_327
.LBB34_268:
	s_or_b64 exec, exec, s[38:39]
	s_and_saveexec_b64 s[38:39], s[10:11]
	s_cbranch_execnz .LBB34_328
.LBB34_269:
	s_or_b64 exec, exec, s[38:39]
	s_and_saveexec_b64 s[38:39], s[8:9]
	s_cbranch_execnz .LBB34_329
.LBB34_270:
	s_or_b64 exec, exec, s[38:39]
	s_and_saveexec_b64 s[38:39], s[6:7]
	s_cbranch_execnz .LBB34_330
.LBB34_271:
	s_or_b64 exec, exec, s[38:39]
	s_and_saveexec_b64 s[38:39], s[4:5]
	s_cbranch_execnz .LBB34_331
.LBB34_272:
	s_or_b64 exec, exec, s[38:39]
	s_and_saveexec_b64 s[38:39], s[2:3]
	s_cbranch_execz .LBB34_274
.LBB34_273:
	v_sub_u32_e32 v8, v37, v2
	v_mov_b32_e32 v9, 0
	v_lshlrev_b64 v[8:9], 3, v[8:9]
	v_add_co_u32_e32 v8, vcc, v6, v8
	v_addc_co_u32_e32 v9, vcc, v7, v9, vcc
	global_store_dwordx2 v[8:9], v[66:67], off
.LBB34_274:
	s_or_b64 exec, exec, s[38:39]
	s_and_b64 s[38:39], s[0:1], exec
	s_andn2_saveexec_b64 s[30:31], s[30:31]
	s_cbranch_execz .LBB34_207
.LBB34_275:
	v_sub_u32_e32 v8, v59, v2
	v_mov_b32_e32 v9, 0
	v_lshlrev_b64 v[10:11], 3, v[8:9]
	v_add_co_u32_e32 v10, vcc, v6, v10
	v_addc_co_u32_e32 v11, vcc, v7, v11, vcc
	v_sub_u32_e32 v8, v49, v2
	global_store_dwordx2 v[10:11], v[96:97], off
	v_lshlrev_b64 v[10:11], 3, v[8:9]
	v_add_co_u32_e32 v10, vcc, v6, v10
	v_addc_co_u32_e32 v11, vcc, v7, v11, vcc
	v_sub_u32_e32 v8, v48, v2
	global_store_dwordx2 v[10:11], v[94:95], off
	;; [unrolled: 5-line block ×12, first 2 shown]
	v_lshlrev_b64 v[10:11], 3, v[8:9]
	v_add_co_u32_e32 v10, vcc, v6, v10
	v_sub_u32_e32 v8, v37, v2
	v_addc_co_u32_e32 v11, vcc, v7, v11, vcc
	v_lshlrev_b64 v[8:9], 3, v[8:9]
	v_add_co_u32_e32 v8, vcc, v6, v8
	v_addc_co_u32_e32 v9, vcc, v7, v9, vcc
	s_or_b64 s[38:39], s[38:39], exec
	global_store_dwordx2 v[10:11], v[68:69], off
	global_store_dwordx2 v[8:9], v[66:67], off
	s_or_b64 exec, exec, s[30:31]
	s_and_b64 exec, exec, s[38:39]
	s_cbranch_execnz .LBB34_208
	s_branch .LBB34_209
.LBB34_276:
	s_and_saveexec_b64 s[38:39], s[28:29]
	s_cbranch_execnz .LBB34_332
; %bb.277:
	s_or_b64 exec, exec, s[38:39]
	s_and_saveexec_b64 s[28:29], s[26:27]
	s_cbranch_execnz .LBB34_333
.LBB34_278:
	s_or_b64 exec, exec, s[28:29]
	s_and_saveexec_b64 s[26:27], s[24:25]
	s_cbranch_execnz .LBB34_334
.LBB34_279:
	s_or_b64 exec, exec, s[26:27]
	s_and_saveexec_b64 s[24:25], s[22:23]
	s_cbranch_execnz .LBB34_335
.LBB34_280:
	s_or_b64 exec, exec, s[24:25]
	s_and_saveexec_b64 s[22:23], s[20:21]
	s_cbranch_execnz .LBB34_336
.LBB34_281:
	s_or_b64 exec, exec, s[22:23]
	s_and_saveexec_b64 s[20:21], s[18:19]
	s_cbranch_execnz .LBB34_337
.LBB34_282:
	s_or_b64 exec, exec, s[20:21]
	s_and_saveexec_b64 s[18:19], s[16:17]
	s_cbranch_execnz .LBB34_338
.LBB34_283:
	s_or_b64 exec, exec, s[18:19]
	s_and_saveexec_b64 s[16:17], s[14:15]
	s_cbranch_execnz .LBB34_339
.LBB34_284:
	s_or_b64 exec, exec, s[16:17]
	s_and_saveexec_b64 s[14:15], s[12:13]
	s_cbranch_execnz .LBB34_340
.LBB34_285:
	s_or_b64 exec, exec, s[14:15]
	s_and_saveexec_b64 s[12:13], s[10:11]
	s_cbranch_execnz .LBB34_341
.LBB34_286:
	s_or_b64 exec, exec, s[12:13]
	s_and_saveexec_b64 s[10:11], s[8:9]
	s_cbranch_execnz .LBB34_342
.LBB34_287:
	s_or_b64 exec, exec, s[10:11]
	s_and_saveexec_b64 s[8:9], s[6:7]
	s_cbranch_execnz .LBB34_343
.LBB34_288:
	s_or_b64 exec, exec, s[8:9]
	s_and_saveexec_b64 s[6:7], s[4:5]
	s_cbranch_execnz .LBB34_344
.LBB34_289:
	s_or_b64 exec, exec, s[6:7]
	s_and_saveexec_b64 s[4:5], s[2:3]
	s_cbranch_execz .LBB34_291
.LBB34_290:
	v_sub_u32_e32 v3, v37, v2
	v_lshlrev_b32_e32 v3, 3, v3
	ds_write_b64 v3, v[66:67]
.LBB34_291:
	s_or_b64 exec, exec, s[4:5]
	s_and_b64 s[38:39], s[0:1], exec
                                        ; implicit-def: $vgpr96_vgpr97
                                        ; implicit-def: $vgpr94_vgpr95
                                        ; implicit-def: $vgpr92_vgpr93
                                        ; implicit-def: $vgpr90_vgpr91
                                        ; implicit-def: $vgpr88_vgpr89
                                        ; implicit-def: $vgpr86_vgpr87
                                        ; implicit-def: $vgpr84_vgpr85
                                        ; implicit-def: $vgpr82_vgpr83
                                        ; implicit-def: $vgpr80_vgpr81
                                        ; implicit-def: $vgpr78_vgpr79
                                        ; implicit-def: $vgpr76_vgpr77
                                        ; implicit-def: $vgpr70_vgpr71
                                        ; implicit-def: $vgpr68_vgpr69
                                        ; implicit-def: $vgpr66_vgpr67
                                        ; implicit-def: $vgpr59
                                        ; implicit-def: $vgpr49
                                        ; implicit-def: $vgpr48
                                        ; implicit-def: $vgpr47
                                        ; implicit-def: $vgpr46
                                        ; implicit-def: $vgpr45
                                        ; implicit-def: $vgpr44
                                        ; implicit-def: $vgpr43
                                        ; implicit-def: $vgpr42
                                        ; implicit-def: $vgpr41
                                        ; implicit-def: $vgpr40
                                        ; implicit-def: $vgpr39
                                        ; implicit-def: $vgpr38
                                        ; implicit-def: $vgpr37
	s_andn2_saveexec_b64 s[0:1], s[36:37]
	s_cbranch_execz .LBB34_214
.LBB34_292:
	v_sub_u32_e32 v3, v59, v2
	v_lshlrev_b32_e32 v3, 3, v3
	ds_write_b64 v3, v[96:97]
	v_sub_u32_e32 v3, v49, v2
	v_lshlrev_b32_e32 v3, 3, v3
	ds_write_b64 v3, v[94:95]
	;; [unrolled: 3-line block ×13, first 2 shown]
	v_sub_u32_e32 v3, v37, v2
	v_lshlrev_b32_e32 v3, 3, v3
	s_or_b64 s[38:39], s[38:39], exec
	ds_write_b64 v3, v[66:67]
	s_or_b64 exec, exec, s[0:1]
	s_and_b64 exec, exec, s[38:39]
	s_cbranch_execnz .LBB34_215
	s_branch .LBB34_216
.LBB34_293:
	v_sub_u32_e32 v54, v59, v62
	v_mov_b32_e32 v55, 0
	v_lshlrev_b64 v[54:55], 3, v[54:55]
	v_add_co_u32_e32 v54, vcc, v50, v54
	v_addc_co_u32_e32 v55, vcc, v51, v55, vcc
	global_store_dwordx2 v[54:55], v[26:27], off
	s_or_b64 exec, exec, s[38:39]
	s_and_saveexec_b64 s[38:39], s[26:27]
	s_cbranch_execz .LBB34_227
.LBB34_294:
	v_sub_u32_e32 v54, v49, v62
	v_mov_b32_e32 v55, 0
	v_lshlrev_b64 v[54:55], 3, v[54:55]
	v_add_co_u32_e32 v54, vcc, v50, v54
	v_addc_co_u32_e32 v55, vcc, v51, v55, vcc
	global_store_dwordx2 v[54:55], v[28:29], off
	s_or_b64 exec, exec, s[38:39]
	s_and_saveexec_b64 s[38:39], s[24:25]
	s_cbranch_execz .LBB34_228
.LBB34_295:
	v_sub_u32_e32 v54, v48, v62
	v_mov_b32_e32 v55, 0
	v_lshlrev_b64 v[54:55], 3, v[54:55]
	v_add_co_u32_e32 v54, vcc, v50, v54
	v_addc_co_u32_e32 v55, vcc, v51, v55, vcc
	global_store_dwordx2 v[54:55], v[22:23], off
	s_or_b64 exec, exec, s[38:39]
	s_and_saveexec_b64 s[38:39], s[22:23]
	s_cbranch_execz .LBB34_229
.LBB34_296:
	v_sub_u32_e32 v54, v47, v62
	v_mov_b32_e32 v55, 0
	v_lshlrev_b64 v[54:55], 3, v[54:55]
	v_add_co_u32_e32 v54, vcc, v50, v54
	v_addc_co_u32_e32 v55, vcc, v51, v55, vcc
	global_store_dwordx2 v[54:55], v[24:25], off
	s_or_b64 exec, exec, s[38:39]
	s_and_saveexec_b64 s[38:39], s[20:21]
	s_cbranch_execz .LBB34_230
.LBB34_297:
	v_sub_u32_e32 v54, v46, v62
	v_mov_b32_e32 v55, 0
	v_lshlrev_b64 v[54:55], 3, v[54:55]
	v_add_co_u32_e32 v54, vcc, v50, v54
	v_addc_co_u32_e32 v55, vcc, v51, v55, vcc
	global_store_dwordx2 v[54:55], v[18:19], off
	s_or_b64 exec, exec, s[38:39]
	s_and_saveexec_b64 s[38:39], s[18:19]
	s_cbranch_execz .LBB34_231
.LBB34_298:
	v_sub_u32_e32 v54, v45, v62
	v_mov_b32_e32 v55, 0
	v_lshlrev_b64 v[54:55], 3, v[54:55]
	v_add_co_u32_e32 v54, vcc, v50, v54
	v_addc_co_u32_e32 v55, vcc, v51, v55, vcc
	global_store_dwordx2 v[54:55], v[20:21], off
	s_or_b64 exec, exec, s[38:39]
	s_and_saveexec_b64 s[38:39], s[16:17]
	s_cbranch_execz .LBB34_232
.LBB34_299:
	v_sub_u32_e32 v54, v44, v62
	v_mov_b32_e32 v55, 0
	v_lshlrev_b64 v[54:55], 3, v[54:55]
	v_add_co_u32_e32 v54, vcc, v50, v54
	v_addc_co_u32_e32 v55, vcc, v51, v55, vcc
	global_store_dwordx2 v[54:55], v[14:15], off
	s_or_b64 exec, exec, s[38:39]
	s_and_saveexec_b64 s[38:39], s[14:15]
	s_cbranch_execz .LBB34_233
.LBB34_300:
	v_sub_u32_e32 v54, v43, v62
	v_mov_b32_e32 v55, 0
	v_lshlrev_b64 v[54:55], 3, v[54:55]
	v_add_co_u32_e32 v54, vcc, v50, v54
	v_addc_co_u32_e32 v55, vcc, v51, v55, vcc
	global_store_dwordx2 v[54:55], v[16:17], off
	s_or_b64 exec, exec, s[38:39]
	s_and_saveexec_b64 s[38:39], s[12:13]
	s_cbranch_execz .LBB34_234
.LBB34_301:
	v_sub_u32_e32 v54, v42, v62
	v_mov_b32_e32 v55, 0
	v_lshlrev_b64 v[54:55], 3, v[54:55]
	v_add_co_u32_e32 v54, vcc, v50, v54
	v_addc_co_u32_e32 v55, vcc, v51, v55, vcc
	global_store_dwordx2 v[54:55], v[10:11], off
	s_or_b64 exec, exec, s[38:39]
	s_and_saveexec_b64 s[38:39], s[10:11]
	s_cbranch_execz .LBB34_235
.LBB34_302:
	v_sub_u32_e32 v54, v41, v62
	v_mov_b32_e32 v55, 0
	v_lshlrev_b64 v[54:55], 3, v[54:55]
	v_add_co_u32_e32 v54, vcc, v50, v54
	v_addc_co_u32_e32 v55, vcc, v51, v55, vcc
	global_store_dwordx2 v[54:55], v[12:13], off
	s_or_b64 exec, exec, s[38:39]
	s_and_saveexec_b64 s[38:39], s[8:9]
	s_cbranch_execz .LBB34_236
.LBB34_303:
	v_sub_u32_e32 v54, v40, v62
	v_mov_b32_e32 v55, 0
	v_lshlrev_b64 v[54:55], 3, v[54:55]
	v_add_co_u32_e32 v54, vcc, v50, v54
	v_addc_co_u32_e32 v55, vcc, v51, v55, vcc
	global_store_dwordx2 v[54:55], v[6:7], off
	s_or_b64 exec, exec, s[38:39]
	s_and_saveexec_b64 s[38:39], s[6:7]
	s_cbranch_execz .LBB34_237
.LBB34_304:
	v_sub_u32_e32 v54, v39, v62
	v_mov_b32_e32 v55, 0
	v_lshlrev_b64 v[54:55], 3, v[54:55]
	v_add_co_u32_e32 v54, vcc, v50, v54
	v_addc_co_u32_e32 v55, vcc, v51, v55, vcc
	global_store_dwordx2 v[54:55], v[8:9], off
	s_or_b64 exec, exec, s[38:39]
	s_and_saveexec_b64 s[38:39], s[4:5]
	s_cbranch_execz .LBB34_238
.LBB34_305:
	v_sub_u32_e32 v54, v38, v62
	v_mov_b32_e32 v55, 0
	v_lshlrev_b64 v[54:55], 3, v[54:55]
	v_add_co_u32_e32 v54, vcc, v50, v54
	v_addc_co_u32_e32 v55, vcc, v51, v55, vcc
	global_store_dwordx2 v[54:55], v[2:3], off
	s_or_b64 exec, exec, s[38:39]
	s_and_saveexec_b64 s[38:39], s[2:3]
	s_cbranch_execnz .LBB34_239
	s_branch .LBB34_240
.LBB34_306:
	v_sub_u32_e32 v52, v59, v62
	v_lshlrev_b32_e32 v52, 3, v52
	ds_write_b64 v52, v[26:27]
	s_or_b64 exec, exec, s[38:39]
	s_and_saveexec_b64 s[28:29], s[26:27]
	s_cbranch_execz .LBB34_244
.LBB34_307:
	v_sub_u32_e32 v26, v49, v62
	v_lshlrev_b32_e32 v26, 3, v26
	ds_write_b64 v26, v[28:29]
	s_or_b64 exec, exec, s[28:29]
	s_and_saveexec_b64 s[26:27], s[24:25]
	s_cbranch_execz .LBB34_245
.LBB34_308:
	v_sub_u32_e32 v26, v48, v62
	v_lshlrev_b32_e32 v26, 3, v26
	ds_write_b64 v26, v[22:23]
	s_or_b64 exec, exec, s[26:27]
	s_and_saveexec_b64 s[24:25], s[22:23]
	s_cbranch_execz .LBB34_246
.LBB34_309:
	v_sub_u32_e32 v22, v47, v62
	v_lshlrev_b32_e32 v22, 3, v22
	ds_write_b64 v22, v[24:25]
	s_or_b64 exec, exec, s[24:25]
	s_and_saveexec_b64 s[22:23], s[20:21]
	s_cbranch_execz .LBB34_247
.LBB34_310:
	v_sub_u32_e32 v22, v46, v62
	v_lshlrev_b32_e32 v22, 3, v22
	ds_write_b64 v22, v[18:19]
	s_or_b64 exec, exec, s[22:23]
	s_and_saveexec_b64 s[20:21], s[18:19]
	s_cbranch_execz .LBB34_248
.LBB34_311:
	v_sub_u32_e32 v18, v45, v62
	v_lshlrev_b32_e32 v18, 3, v18
	ds_write_b64 v18, v[20:21]
	s_or_b64 exec, exec, s[20:21]
	s_and_saveexec_b64 s[18:19], s[16:17]
	s_cbranch_execz .LBB34_249
.LBB34_312:
	v_sub_u32_e32 v18, v44, v62
	v_lshlrev_b32_e32 v18, 3, v18
	ds_write_b64 v18, v[14:15]
	s_or_b64 exec, exec, s[18:19]
	s_and_saveexec_b64 s[16:17], s[14:15]
	s_cbranch_execz .LBB34_250
.LBB34_313:
	v_sub_u32_e32 v14, v43, v62
	v_lshlrev_b32_e32 v14, 3, v14
	ds_write_b64 v14, v[16:17]
	s_or_b64 exec, exec, s[16:17]
	s_and_saveexec_b64 s[14:15], s[12:13]
	s_cbranch_execz .LBB34_251
.LBB34_314:
	v_sub_u32_e32 v14, v42, v62
	v_lshlrev_b32_e32 v14, 3, v14
	ds_write_b64 v14, v[10:11]
	s_or_b64 exec, exec, s[14:15]
	s_and_saveexec_b64 s[12:13], s[10:11]
	s_cbranch_execz .LBB34_252
.LBB34_315:
	v_sub_u32_e32 v10, v41, v62
	v_lshlrev_b32_e32 v10, 3, v10
	ds_write_b64 v10, v[12:13]
	s_or_b64 exec, exec, s[12:13]
	s_and_saveexec_b64 s[10:11], s[8:9]
	s_cbranch_execz .LBB34_253
.LBB34_316:
	v_sub_u32_e32 v10, v40, v62
	v_lshlrev_b32_e32 v10, 3, v10
	ds_write_b64 v10, v[6:7]
	s_or_b64 exec, exec, s[10:11]
	s_and_saveexec_b64 s[8:9], s[6:7]
	s_cbranch_execz .LBB34_254
.LBB34_317:
	v_sub_u32_e32 v6, v39, v62
	v_lshlrev_b32_e32 v6, 3, v6
	ds_write_b64 v6, v[8:9]
	s_or_b64 exec, exec, s[8:9]
	s_and_saveexec_b64 s[6:7], s[4:5]
	s_cbranch_execz .LBB34_255
.LBB34_318:
	v_sub_u32_e32 v6, v38, v62
	v_lshlrev_b32_e32 v6, 3, v6
	ds_write_b64 v6, v[2:3]
	s_or_b64 exec, exec, s[6:7]
	s_and_saveexec_b64 s[4:5], s[2:3]
	s_cbranch_execnz .LBB34_256
	s_branch .LBB34_257
.LBB34_319:
	v_sub_u32_e32 v8, v59, v2
	v_mov_b32_e32 v9, 0
	v_lshlrev_b64 v[8:9], 3, v[8:9]
	v_add_co_u32_e32 v8, vcc, v6, v8
	v_addc_co_u32_e32 v9, vcc, v7, v9, vcc
	global_store_dwordx2 v[8:9], v[96:97], off
	s_or_b64 exec, exec, s[38:39]
	s_and_saveexec_b64 s[38:39], s[26:27]
	s_cbranch_execz .LBB34_261
.LBB34_320:
	v_sub_u32_e32 v8, v49, v2
	v_mov_b32_e32 v9, 0
	v_lshlrev_b64 v[8:9], 3, v[8:9]
	v_add_co_u32_e32 v8, vcc, v6, v8
	v_addc_co_u32_e32 v9, vcc, v7, v9, vcc
	global_store_dwordx2 v[8:9], v[94:95], off
	s_or_b64 exec, exec, s[38:39]
	s_and_saveexec_b64 s[38:39], s[24:25]
	s_cbranch_execz .LBB34_262
.LBB34_321:
	v_sub_u32_e32 v8, v48, v2
	v_mov_b32_e32 v9, 0
	v_lshlrev_b64 v[8:9], 3, v[8:9]
	v_add_co_u32_e32 v8, vcc, v6, v8
	v_addc_co_u32_e32 v9, vcc, v7, v9, vcc
	global_store_dwordx2 v[8:9], v[92:93], off
	s_or_b64 exec, exec, s[38:39]
	s_and_saveexec_b64 s[38:39], s[22:23]
	s_cbranch_execz .LBB34_263
.LBB34_322:
	v_sub_u32_e32 v8, v47, v2
	v_mov_b32_e32 v9, 0
	v_lshlrev_b64 v[8:9], 3, v[8:9]
	v_add_co_u32_e32 v8, vcc, v6, v8
	v_addc_co_u32_e32 v9, vcc, v7, v9, vcc
	global_store_dwordx2 v[8:9], v[90:91], off
	s_or_b64 exec, exec, s[38:39]
	s_and_saveexec_b64 s[38:39], s[20:21]
	s_cbranch_execz .LBB34_264
.LBB34_323:
	v_sub_u32_e32 v8, v46, v2
	v_mov_b32_e32 v9, 0
	v_lshlrev_b64 v[8:9], 3, v[8:9]
	v_add_co_u32_e32 v8, vcc, v6, v8
	v_addc_co_u32_e32 v9, vcc, v7, v9, vcc
	global_store_dwordx2 v[8:9], v[88:89], off
	s_or_b64 exec, exec, s[38:39]
	s_and_saveexec_b64 s[38:39], s[18:19]
	s_cbranch_execz .LBB34_265
.LBB34_324:
	v_sub_u32_e32 v8, v45, v2
	v_mov_b32_e32 v9, 0
	v_lshlrev_b64 v[8:9], 3, v[8:9]
	v_add_co_u32_e32 v8, vcc, v6, v8
	v_addc_co_u32_e32 v9, vcc, v7, v9, vcc
	global_store_dwordx2 v[8:9], v[86:87], off
	s_or_b64 exec, exec, s[38:39]
	s_and_saveexec_b64 s[38:39], s[16:17]
	s_cbranch_execz .LBB34_266
.LBB34_325:
	v_sub_u32_e32 v8, v44, v2
	v_mov_b32_e32 v9, 0
	v_lshlrev_b64 v[8:9], 3, v[8:9]
	v_add_co_u32_e32 v8, vcc, v6, v8
	v_addc_co_u32_e32 v9, vcc, v7, v9, vcc
	global_store_dwordx2 v[8:9], v[84:85], off
	s_or_b64 exec, exec, s[38:39]
	s_and_saveexec_b64 s[38:39], s[14:15]
	s_cbranch_execz .LBB34_267
.LBB34_326:
	v_sub_u32_e32 v8, v43, v2
	v_mov_b32_e32 v9, 0
	v_lshlrev_b64 v[8:9], 3, v[8:9]
	v_add_co_u32_e32 v8, vcc, v6, v8
	v_addc_co_u32_e32 v9, vcc, v7, v9, vcc
	global_store_dwordx2 v[8:9], v[82:83], off
	s_or_b64 exec, exec, s[38:39]
	s_and_saveexec_b64 s[38:39], s[12:13]
	s_cbranch_execz .LBB34_268
.LBB34_327:
	v_sub_u32_e32 v8, v42, v2
	v_mov_b32_e32 v9, 0
	v_lshlrev_b64 v[8:9], 3, v[8:9]
	v_add_co_u32_e32 v8, vcc, v6, v8
	v_addc_co_u32_e32 v9, vcc, v7, v9, vcc
	global_store_dwordx2 v[8:9], v[80:81], off
	s_or_b64 exec, exec, s[38:39]
	s_and_saveexec_b64 s[38:39], s[10:11]
	s_cbranch_execz .LBB34_269
.LBB34_328:
	v_sub_u32_e32 v8, v41, v2
	v_mov_b32_e32 v9, 0
	v_lshlrev_b64 v[8:9], 3, v[8:9]
	v_add_co_u32_e32 v8, vcc, v6, v8
	v_addc_co_u32_e32 v9, vcc, v7, v9, vcc
	global_store_dwordx2 v[8:9], v[78:79], off
	s_or_b64 exec, exec, s[38:39]
	s_and_saveexec_b64 s[38:39], s[8:9]
	s_cbranch_execz .LBB34_270
.LBB34_329:
	v_sub_u32_e32 v8, v40, v2
	v_mov_b32_e32 v9, 0
	v_lshlrev_b64 v[8:9], 3, v[8:9]
	v_add_co_u32_e32 v8, vcc, v6, v8
	v_addc_co_u32_e32 v9, vcc, v7, v9, vcc
	global_store_dwordx2 v[8:9], v[76:77], off
	s_or_b64 exec, exec, s[38:39]
	s_and_saveexec_b64 s[38:39], s[6:7]
	s_cbranch_execz .LBB34_271
.LBB34_330:
	v_sub_u32_e32 v8, v39, v2
	v_mov_b32_e32 v9, 0
	v_lshlrev_b64 v[8:9], 3, v[8:9]
	v_add_co_u32_e32 v8, vcc, v6, v8
	v_addc_co_u32_e32 v9, vcc, v7, v9, vcc
	global_store_dwordx2 v[8:9], v[70:71], off
	s_or_b64 exec, exec, s[38:39]
	s_and_saveexec_b64 s[38:39], s[4:5]
	s_cbranch_execz .LBB34_272
.LBB34_331:
	v_sub_u32_e32 v8, v38, v2
	v_mov_b32_e32 v9, 0
	v_lshlrev_b64 v[8:9], 3, v[8:9]
	v_add_co_u32_e32 v8, vcc, v6, v8
	v_addc_co_u32_e32 v9, vcc, v7, v9, vcc
	global_store_dwordx2 v[8:9], v[68:69], off
	s_or_b64 exec, exec, s[38:39]
	s_and_saveexec_b64 s[38:39], s[2:3]
	s_cbranch_execnz .LBB34_273
	s_branch .LBB34_274
.LBB34_332:
	v_sub_u32_e32 v3, v59, v2
	v_lshlrev_b32_e32 v3, 3, v3
	ds_write_b64 v3, v[96:97]
	s_or_b64 exec, exec, s[38:39]
	s_and_saveexec_b64 s[28:29], s[26:27]
	s_cbranch_execz .LBB34_278
.LBB34_333:
	v_sub_u32_e32 v3, v49, v2
	v_lshlrev_b32_e32 v3, 3, v3
	ds_write_b64 v3, v[94:95]
	s_or_b64 exec, exec, s[28:29]
	s_and_saveexec_b64 s[26:27], s[24:25]
	s_cbranch_execz .LBB34_279
.LBB34_334:
	v_sub_u32_e32 v3, v48, v2
	v_lshlrev_b32_e32 v3, 3, v3
	ds_write_b64 v3, v[92:93]
	s_or_b64 exec, exec, s[26:27]
	s_and_saveexec_b64 s[24:25], s[22:23]
	s_cbranch_execz .LBB34_280
.LBB34_335:
	v_sub_u32_e32 v3, v47, v2
	v_lshlrev_b32_e32 v3, 3, v3
	ds_write_b64 v3, v[90:91]
	s_or_b64 exec, exec, s[24:25]
	s_and_saveexec_b64 s[22:23], s[20:21]
	s_cbranch_execz .LBB34_281
.LBB34_336:
	v_sub_u32_e32 v3, v46, v2
	v_lshlrev_b32_e32 v3, 3, v3
	ds_write_b64 v3, v[88:89]
	s_or_b64 exec, exec, s[22:23]
	s_and_saveexec_b64 s[20:21], s[18:19]
	s_cbranch_execz .LBB34_282
.LBB34_337:
	v_sub_u32_e32 v3, v45, v2
	v_lshlrev_b32_e32 v3, 3, v3
	ds_write_b64 v3, v[86:87]
	s_or_b64 exec, exec, s[20:21]
	s_and_saveexec_b64 s[18:19], s[16:17]
	s_cbranch_execz .LBB34_283
.LBB34_338:
	v_sub_u32_e32 v3, v44, v2
	v_lshlrev_b32_e32 v3, 3, v3
	ds_write_b64 v3, v[84:85]
	s_or_b64 exec, exec, s[18:19]
	s_and_saveexec_b64 s[16:17], s[14:15]
	s_cbranch_execz .LBB34_284
.LBB34_339:
	v_sub_u32_e32 v3, v43, v2
	v_lshlrev_b32_e32 v3, 3, v3
	ds_write_b64 v3, v[82:83]
	s_or_b64 exec, exec, s[16:17]
	s_and_saveexec_b64 s[14:15], s[12:13]
	s_cbranch_execz .LBB34_285
.LBB34_340:
	v_sub_u32_e32 v3, v42, v2
	v_lshlrev_b32_e32 v3, 3, v3
	ds_write_b64 v3, v[80:81]
	s_or_b64 exec, exec, s[14:15]
	s_and_saveexec_b64 s[12:13], s[10:11]
	s_cbranch_execz .LBB34_286
.LBB34_341:
	v_sub_u32_e32 v3, v41, v2
	v_lshlrev_b32_e32 v3, 3, v3
	ds_write_b64 v3, v[78:79]
	s_or_b64 exec, exec, s[12:13]
	s_and_saveexec_b64 s[10:11], s[8:9]
	s_cbranch_execz .LBB34_287
.LBB34_342:
	v_sub_u32_e32 v3, v40, v2
	v_lshlrev_b32_e32 v3, 3, v3
	ds_write_b64 v3, v[76:77]
	s_or_b64 exec, exec, s[10:11]
	s_and_saveexec_b64 s[8:9], s[6:7]
	s_cbranch_execz .LBB34_288
.LBB34_343:
	v_sub_u32_e32 v3, v39, v2
	v_lshlrev_b32_e32 v3, 3, v3
	ds_write_b64 v3, v[70:71]
	s_or_b64 exec, exec, s[8:9]
	s_and_saveexec_b64 s[6:7], s[4:5]
	s_cbranch_execz .LBB34_289
.LBB34_344:
	v_sub_u32_e32 v3, v38, v2
	v_lshlrev_b32_e32 v3, 3, v3
	ds_write_b64 v3, v[68:69]
	s_or_b64 exec, exec, s[6:7]
	s_and_saveexec_b64 s[4:5], s[2:3]
	s_cbranch_execnz .LBB34_290
	s_branch .LBB34_291
	.section	.rodata,"a",@progbits
	.p2align	6, 0x0
	.amdhsa_kernel _ZN7rocprim17ROCPRIM_400000_NS6detail17trampoline_kernelINS0_14default_configENS1_29reduce_by_key_config_selectorIddN6thrust23THRUST_200600_302600_NS4plusIdEEEEZZNS1_33reduce_by_key_impl_wrapped_configILNS1_25lookback_scan_determinismE0ES3_S9_NS6_6detail15normal_iteratorINS6_10device_ptrIdEEEESG_SG_SG_PmS8_NS6_8equal_toIdEEEE10hipError_tPvRmT2_T3_mT4_T5_T6_T7_T8_P12ihipStream_tbENKUlT_T0_E_clISt17integral_constantIbLb1EES10_IbLb0EEEEDaSW_SX_EUlSW_E_NS1_11comp_targetILNS1_3genE4ELNS1_11target_archE910ELNS1_3gpuE8ELNS1_3repE0EEENS1_30default_config_static_selectorELNS0_4arch9wavefront6targetE1EEEvT1_
		.amdhsa_group_segment_fixed_size 30720
		.amdhsa_private_segment_fixed_size 0
		.amdhsa_kernarg_size 136
		.amdhsa_user_sgpr_count 6
		.amdhsa_user_sgpr_private_segment_buffer 1
		.amdhsa_user_sgpr_dispatch_ptr 0
		.amdhsa_user_sgpr_queue_ptr 0
		.amdhsa_user_sgpr_kernarg_segment_ptr 1
		.amdhsa_user_sgpr_dispatch_id 0
		.amdhsa_user_sgpr_flat_scratch_init 0
		.amdhsa_user_sgpr_kernarg_preload_length 0
		.amdhsa_user_sgpr_kernarg_preload_offset 0
		.amdhsa_user_sgpr_private_segment_size 0
		.amdhsa_uses_dynamic_stack 0
		.amdhsa_system_sgpr_private_segment_wavefront_offset 0
		.amdhsa_system_sgpr_workgroup_id_x 1
		.amdhsa_system_sgpr_workgroup_id_y 0
		.amdhsa_system_sgpr_workgroup_id_z 0
		.amdhsa_system_sgpr_workgroup_info 0
		.amdhsa_system_vgpr_workitem_id 0
		.amdhsa_next_free_vgpr 120
		.amdhsa_next_free_sgpr 65
		.amdhsa_accum_offset 120
		.amdhsa_reserve_vcc 1
		.amdhsa_reserve_flat_scratch 0
		.amdhsa_float_round_mode_32 0
		.amdhsa_float_round_mode_16_64 0
		.amdhsa_float_denorm_mode_32 3
		.amdhsa_float_denorm_mode_16_64 3
		.amdhsa_dx10_clamp 1
		.amdhsa_ieee_mode 1
		.amdhsa_fp16_overflow 0
		.amdhsa_tg_split 0
		.amdhsa_exception_fp_ieee_invalid_op 0
		.amdhsa_exception_fp_denorm_src 0
		.amdhsa_exception_fp_ieee_div_zero 0
		.amdhsa_exception_fp_ieee_overflow 0
		.amdhsa_exception_fp_ieee_underflow 0
		.amdhsa_exception_fp_ieee_inexact 0
		.amdhsa_exception_int_div_zero 0
	.end_amdhsa_kernel
	.section	.text._ZN7rocprim17ROCPRIM_400000_NS6detail17trampoline_kernelINS0_14default_configENS1_29reduce_by_key_config_selectorIddN6thrust23THRUST_200600_302600_NS4plusIdEEEEZZNS1_33reduce_by_key_impl_wrapped_configILNS1_25lookback_scan_determinismE0ES3_S9_NS6_6detail15normal_iteratorINS6_10device_ptrIdEEEESG_SG_SG_PmS8_NS6_8equal_toIdEEEE10hipError_tPvRmT2_T3_mT4_T5_T6_T7_T8_P12ihipStream_tbENKUlT_T0_E_clISt17integral_constantIbLb1EES10_IbLb0EEEEDaSW_SX_EUlSW_E_NS1_11comp_targetILNS1_3genE4ELNS1_11target_archE910ELNS1_3gpuE8ELNS1_3repE0EEENS1_30default_config_static_selectorELNS0_4arch9wavefront6targetE1EEEvT1_,"axG",@progbits,_ZN7rocprim17ROCPRIM_400000_NS6detail17trampoline_kernelINS0_14default_configENS1_29reduce_by_key_config_selectorIddN6thrust23THRUST_200600_302600_NS4plusIdEEEEZZNS1_33reduce_by_key_impl_wrapped_configILNS1_25lookback_scan_determinismE0ES3_S9_NS6_6detail15normal_iteratorINS6_10device_ptrIdEEEESG_SG_SG_PmS8_NS6_8equal_toIdEEEE10hipError_tPvRmT2_T3_mT4_T5_T6_T7_T8_P12ihipStream_tbENKUlT_T0_E_clISt17integral_constantIbLb1EES10_IbLb0EEEEDaSW_SX_EUlSW_E_NS1_11comp_targetILNS1_3genE4ELNS1_11target_archE910ELNS1_3gpuE8ELNS1_3repE0EEENS1_30default_config_static_selectorELNS0_4arch9wavefront6targetE1EEEvT1_,comdat
.Lfunc_end34:
	.size	_ZN7rocprim17ROCPRIM_400000_NS6detail17trampoline_kernelINS0_14default_configENS1_29reduce_by_key_config_selectorIddN6thrust23THRUST_200600_302600_NS4plusIdEEEEZZNS1_33reduce_by_key_impl_wrapped_configILNS1_25lookback_scan_determinismE0ES3_S9_NS6_6detail15normal_iteratorINS6_10device_ptrIdEEEESG_SG_SG_PmS8_NS6_8equal_toIdEEEE10hipError_tPvRmT2_T3_mT4_T5_T6_T7_T8_P12ihipStream_tbENKUlT_T0_E_clISt17integral_constantIbLb1EES10_IbLb0EEEEDaSW_SX_EUlSW_E_NS1_11comp_targetILNS1_3genE4ELNS1_11target_archE910ELNS1_3gpuE8ELNS1_3repE0EEENS1_30default_config_static_selectorELNS0_4arch9wavefront6targetE1EEEvT1_, .Lfunc_end34-_ZN7rocprim17ROCPRIM_400000_NS6detail17trampoline_kernelINS0_14default_configENS1_29reduce_by_key_config_selectorIddN6thrust23THRUST_200600_302600_NS4plusIdEEEEZZNS1_33reduce_by_key_impl_wrapped_configILNS1_25lookback_scan_determinismE0ES3_S9_NS6_6detail15normal_iteratorINS6_10device_ptrIdEEEESG_SG_SG_PmS8_NS6_8equal_toIdEEEE10hipError_tPvRmT2_T3_mT4_T5_T6_T7_T8_P12ihipStream_tbENKUlT_T0_E_clISt17integral_constantIbLb1EES10_IbLb0EEEEDaSW_SX_EUlSW_E_NS1_11comp_targetILNS1_3genE4ELNS1_11target_archE910ELNS1_3gpuE8ELNS1_3repE0EEENS1_30default_config_static_selectorELNS0_4arch9wavefront6targetE1EEEvT1_
                                        ; -- End function
	.section	.AMDGPU.csdata,"",@progbits
; Kernel info:
; codeLenInByte = 16612
; NumSgprs: 69
; NumVgprs: 120
; NumAgprs: 0
; TotalNumVgprs: 120
; ScratchSize: 0
; MemoryBound: 0
; FloatMode: 240
; IeeeMode: 1
; LDSByteSize: 30720 bytes/workgroup (compile time only)
; SGPRBlocks: 8
; VGPRBlocks: 14
; NumSGPRsForWavesPerEU: 69
; NumVGPRsForWavesPerEU: 120
; AccumOffset: 120
; Occupancy: 2
; WaveLimiterHint : 1
; COMPUTE_PGM_RSRC2:SCRATCH_EN: 0
; COMPUTE_PGM_RSRC2:USER_SGPR: 6
; COMPUTE_PGM_RSRC2:TRAP_HANDLER: 0
; COMPUTE_PGM_RSRC2:TGID_X_EN: 1
; COMPUTE_PGM_RSRC2:TGID_Y_EN: 0
; COMPUTE_PGM_RSRC2:TGID_Z_EN: 0
; COMPUTE_PGM_RSRC2:TIDIG_COMP_CNT: 0
; COMPUTE_PGM_RSRC3_GFX90A:ACCUM_OFFSET: 29
; COMPUTE_PGM_RSRC3_GFX90A:TG_SPLIT: 0
	.section	.text._ZN7rocprim17ROCPRIM_400000_NS6detail17trampoline_kernelINS0_14default_configENS1_29reduce_by_key_config_selectorIddN6thrust23THRUST_200600_302600_NS4plusIdEEEEZZNS1_33reduce_by_key_impl_wrapped_configILNS1_25lookback_scan_determinismE0ES3_S9_NS6_6detail15normal_iteratorINS6_10device_ptrIdEEEESG_SG_SG_PmS8_NS6_8equal_toIdEEEE10hipError_tPvRmT2_T3_mT4_T5_T6_T7_T8_P12ihipStream_tbENKUlT_T0_E_clISt17integral_constantIbLb1EES10_IbLb0EEEEDaSW_SX_EUlSW_E_NS1_11comp_targetILNS1_3genE3ELNS1_11target_archE908ELNS1_3gpuE7ELNS1_3repE0EEENS1_30default_config_static_selectorELNS0_4arch9wavefront6targetE1EEEvT1_,"axG",@progbits,_ZN7rocprim17ROCPRIM_400000_NS6detail17trampoline_kernelINS0_14default_configENS1_29reduce_by_key_config_selectorIddN6thrust23THRUST_200600_302600_NS4plusIdEEEEZZNS1_33reduce_by_key_impl_wrapped_configILNS1_25lookback_scan_determinismE0ES3_S9_NS6_6detail15normal_iteratorINS6_10device_ptrIdEEEESG_SG_SG_PmS8_NS6_8equal_toIdEEEE10hipError_tPvRmT2_T3_mT4_T5_T6_T7_T8_P12ihipStream_tbENKUlT_T0_E_clISt17integral_constantIbLb1EES10_IbLb0EEEEDaSW_SX_EUlSW_E_NS1_11comp_targetILNS1_3genE3ELNS1_11target_archE908ELNS1_3gpuE7ELNS1_3repE0EEENS1_30default_config_static_selectorELNS0_4arch9wavefront6targetE1EEEvT1_,comdat
	.protected	_ZN7rocprim17ROCPRIM_400000_NS6detail17trampoline_kernelINS0_14default_configENS1_29reduce_by_key_config_selectorIddN6thrust23THRUST_200600_302600_NS4plusIdEEEEZZNS1_33reduce_by_key_impl_wrapped_configILNS1_25lookback_scan_determinismE0ES3_S9_NS6_6detail15normal_iteratorINS6_10device_ptrIdEEEESG_SG_SG_PmS8_NS6_8equal_toIdEEEE10hipError_tPvRmT2_T3_mT4_T5_T6_T7_T8_P12ihipStream_tbENKUlT_T0_E_clISt17integral_constantIbLb1EES10_IbLb0EEEEDaSW_SX_EUlSW_E_NS1_11comp_targetILNS1_3genE3ELNS1_11target_archE908ELNS1_3gpuE7ELNS1_3repE0EEENS1_30default_config_static_selectorELNS0_4arch9wavefront6targetE1EEEvT1_ ; -- Begin function _ZN7rocprim17ROCPRIM_400000_NS6detail17trampoline_kernelINS0_14default_configENS1_29reduce_by_key_config_selectorIddN6thrust23THRUST_200600_302600_NS4plusIdEEEEZZNS1_33reduce_by_key_impl_wrapped_configILNS1_25lookback_scan_determinismE0ES3_S9_NS6_6detail15normal_iteratorINS6_10device_ptrIdEEEESG_SG_SG_PmS8_NS6_8equal_toIdEEEE10hipError_tPvRmT2_T3_mT4_T5_T6_T7_T8_P12ihipStream_tbENKUlT_T0_E_clISt17integral_constantIbLb1EES10_IbLb0EEEEDaSW_SX_EUlSW_E_NS1_11comp_targetILNS1_3genE3ELNS1_11target_archE908ELNS1_3gpuE7ELNS1_3repE0EEENS1_30default_config_static_selectorELNS0_4arch9wavefront6targetE1EEEvT1_
	.globl	_ZN7rocprim17ROCPRIM_400000_NS6detail17trampoline_kernelINS0_14default_configENS1_29reduce_by_key_config_selectorIddN6thrust23THRUST_200600_302600_NS4plusIdEEEEZZNS1_33reduce_by_key_impl_wrapped_configILNS1_25lookback_scan_determinismE0ES3_S9_NS6_6detail15normal_iteratorINS6_10device_ptrIdEEEESG_SG_SG_PmS8_NS6_8equal_toIdEEEE10hipError_tPvRmT2_T3_mT4_T5_T6_T7_T8_P12ihipStream_tbENKUlT_T0_E_clISt17integral_constantIbLb1EES10_IbLb0EEEEDaSW_SX_EUlSW_E_NS1_11comp_targetILNS1_3genE3ELNS1_11target_archE908ELNS1_3gpuE7ELNS1_3repE0EEENS1_30default_config_static_selectorELNS0_4arch9wavefront6targetE1EEEvT1_
	.p2align	8
	.type	_ZN7rocprim17ROCPRIM_400000_NS6detail17trampoline_kernelINS0_14default_configENS1_29reduce_by_key_config_selectorIddN6thrust23THRUST_200600_302600_NS4plusIdEEEEZZNS1_33reduce_by_key_impl_wrapped_configILNS1_25lookback_scan_determinismE0ES3_S9_NS6_6detail15normal_iteratorINS6_10device_ptrIdEEEESG_SG_SG_PmS8_NS6_8equal_toIdEEEE10hipError_tPvRmT2_T3_mT4_T5_T6_T7_T8_P12ihipStream_tbENKUlT_T0_E_clISt17integral_constantIbLb1EES10_IbLb0EEEEDaSW_SX_EUlSW_E_NS1_11comp_targetILNS1_3genE3ELNS1_11target_archE908ELNS1_3gpuE7ELNS1_3repE0EEENS1_30default_config_static_selectorELNS0_4arch9wavefront6targetE1EEEvT1_,@function
_ZN7rocprim17ROCPRIM_400000_NS6detail17trampoline_kernelINS0_14default_configENS1_29reduce_by_key_config_selectorIddN6thrust23THRUST_200600_302600_NS4plusIdEEEEZZNS1_33reduce_by_key_impl_wrapped_configILNS1_25lookback_scan_determinismE0ES3_S9_NS6_6detail15normal_iteratorINS6_10device_ptrIdEEEESG_SG_SG_PmS8_NS6_8equal_toIdEEEE10hipError_tPvRmT2_T3_mT4_T5_T6_T7_T8_P12ihipStream_tbENKUlT_T0_E_clISt17integral_constantIbLb1EES10_IbLb0EEEEDaSW_SX_EUlSW_E_NS1_11comp_targetILNS1_3genE3ELNS1_11target_archE908ELNS1_3gpuE7ELNS1_3repE0EEENS1_30default_config_static_selectorELNS0_4arch9wavefront6targetE1EEEvT1_: ; @_ZN7rocprim17ROCPRIM_400000_NS6detail17trampoline_kernelINS0_14default_configENS1_29reduce_by_key_config_selectorIddN6thrust23THRUST_200600_302600_NS4plusIdEEEEZZNS1_33reduce_by_key_impl_wrapped_configILNS1_25lookback_scan_determinismE0ES3_S9_NS6_6detail15normal_iteratorINS6_10device_ptrIdEEEESG_SG_SG_PmS8_NS6_8equal_toIdEEEE10hipError_tPvRmT2_T3_mT4_T5_T6_T7_T8_P12ihipStream_tbENKUlT_T0_E_clISt17integral_constantIbLb1EES10_IbLb0EEEEDaSW_SX_EUlSW_E_NS1_11comp_targetILNS1_3genE3ELNS1_11target_archE908ELNS1_3gpuE7ELNS1_3repE0EEENS1_30default_config_static_selectorELNS0_4arch9wavefront6targetE1EEEvT1_
; %bb.0:
	.section	.rodata,"a",@progbits
	.p2align	6, 0x0
	.amdhsa_kernel _ZN7rocprim17ROCPRIM_400000_NS6detail17trampoline_kernelINS0_14default_configENS1_29reduce_by_key_config_selectorIddN6thrust23THRUST_200600_302600_NS4plusIdEEEEZZNS1_33reduce_by_key_impl_wrapped_configILNS1_25lookback_scan_determinismE0ES3_S9_NS6_6detail15normal_iteratorINS6_10device_ptrIdEEEESG_SG_SG_PmS8_NS6_8equal_toIdEEEE10hipError_tPvRmT2_T3_mT4_T5_T6_T7_T8_P12ihipStream_tbENKUlT_T0_E_clISt17integral_constantIbLb1EES10_IbLb0EEEEDaSW_SX_EUlSW_E_NS1_11comp_targetILNS1_3genE3ELNS1_11target_archE908ELNS1_3gpuE7ELNS1_3repE0EEENS1_30default_config_static_selectorELNS0_4arch9wavefront6targetE1EEEvT1_
		.amdhsa_group_segment_fixed_size 0
		.amdhsa_private_segment_fixed_size 0
		.amdhsa_kernarg_size 136
		.amdhsa_user_sgpr_count 6
		.amdhsa_user_sgpr_private_segment_buffer 1
		.amdhsa_user_sgpr_dispatch_ptr 0
		.amdhsa_user_sgpr_queue_ptr 0
		.amdhsa_user_sgpr_kernarg_segment_ptr 1
		.amdhsa_user_sgpr_dispatch_id 0
		.amdhsa_user_sgpr_flat_scratch_init 0
		.amdhsa_user_sgpr_kernarg_preload_length 0
		.amdhsa_user_sgpr_kernarg_preload_offset 0
		.amdhsa_user_sgpr_private_segment_size 0
		.amdhsa_uses_dynamic_stack 0
		.amdhsa_system_sgpr_private_segment_wavefront_offset 0
		.amdhsa_system_sgpr_workgroup_id_x 1
		.amdhsa_system_sgpr_workgroup_id_y 0
		.amdhsa_system_sgpr_workgroup_id_z 0
		.amdhsa_system_sgpr_workgroup_info 0
		.amdhsa_system_vgpr_workitem_id 0
		.amdhsa_next_free_vgpr 1
		.amdhsa_next_free_sgpr 0
		.amdhsa_accum_offset 4
		.amdhsa_reserve_vcc 0
		.amdhsa_reserve_flat_scratch 0
		.amdhsa_float_round_mode_32 0
		.amdhsa_float_round_mode_16_64 0
		.amdhsa_float_denorm_mode_32 3
		.amdhsa_float_denorm_mode_16_64 3
		.amdhsa_dx10_clamp 1
		.amdhsa_ieee_mode 1
		.amdhsa_fp16_overflow 0
		.amdhsa_tg_split 0
		.amdhsa_exception_fp_ieee_invalid_op 0
		.amdhsa_exception_fp_denorm_src 0
		.amdhsa_exception_fp_ieee_div_zero 0
		.amdhsa_exception_fp_ieee_overflow 0
		.amdhsa_exception_fp_ieee_underflow 0
		.amdhsa_exception_fp_ieee_inexact 0
		.amdhsa_exception_int_div_zero 0
	.end_amdhsa_kernel
	.section	.text._ZN7rocprim17ROCPRIM_400000_NS6detail17trampoline_kernelINS0_14default_configENS1_29reduce_by_key_config_selectorIddN6thrust23THRUST_200600_302600_NS4plusIdEEEEZZNS1_33reduce_by_key_impl_wrapped_configILNS1_25lookback_scan_determinismE0ES3_S9_NS6_6detail15normal_iteratorINS6_10device_ptrIdEEEESG_SG_SG_PmS8_NS6_8equal_toIdEEEE10hipError_tPvRmT2_T3_mT4_T5_T6_T7_T8_P12ihipStream_tbENKUlT_T0_E_clISt17integral_constantIbLb1EES10_IbLb0EEEEDaSW_SX_EUlSW_E_NS1_11comp_targetILNS1_3genE3ELNS1_11target_archE908ELNS1_3gpuE7ELNS1_3repE0EEENS1_30default_config_static_selectorELNS0_4arch9wavefront6targetE1EEEvT1_,"axG",@progbits,_ZN7rocprim17ROCPRIM_400000_NS6detail17trampoline_kernelINS0_14default_configENS1_29reduce_by_key_config_selectorIddN6thrust23THRUST_200600_302600_NS4plusIdEEEEZZNS1_33reduce_by_key_impl_wrapped_configILNS1_25lookback_scan_determinismE0ES3_S9_NS6_6detail15normal_iteratorINS6_10device_ptrIdEEEESG_SG_SG_PmS8_NS6_8equal_toIdEEEE10hipError_tPvRmT2_T3_mT4_T5_T6_T7_T8_P12ihipStream_tbENKUlT_T0_E_clISt17integral_constantIbLb1EES10_IbLb0EEEEDaSW_SX_EUlSW_E_NS1_11comp_targetILNS1_3genE3ELNS1_11target_archE908ELNS1_3gpuE7ELNS1_3repE0EEENS1_30default_config_static_selectorELNS0_4arch9wavefront6targetE1EEEvT1_,comdat
.Lfunc_end35:
	.size	_ZN7rocprim17ROCPRIM_400000_NS6detail17trampoline_kernelINS0_14default_configENS1_29reduce_by_key_config_selectorIddN6thrust23THRUST_200600_302600_NS4plusIdEEEEZZNS1_33reduce_by_key_impl_wrapped_configILNS1_25lookback_scan_determinismE0ES3_S9_NS6_6detail15normal_iteratorINS6_10device_ptrIdEEEESG_SG_SG_PmS8_NS6_8equal_toIdEEEE10hipError_tPvRmT2_T3_mT4_T5_T6_T7_T8_P12ihipStream_tbENKUlT_T0_E_clISt17integral_constantIbLb1EES10_IbLb0EEEEDaSW_SX_EUlSW_E_NS1_11comp_targetILNS1_3genE3ELNS1_11target_archE908ELNS1_3gpuE7ELNS1_3repE0EEENS1_30default_config_static_selectorELNS0_4arch9wavefront6targetE1EEEvT1_, .Lfunc_end35-_ZN7rocprim17ROCPRIM_400000_NS6detail17trampoline_kernelINS0_14default_configENS1_29reduce_by_key_config_selectorIddN6thrust23THRUST_200600_302600_NS4plusIdEEEEZZNS1_33reduce_by_key_impl_wrapped_configILNS1_25lookback_scan_determinismE0ES3_S9_NS6_6detail15normal_iteratorINS6_10device_ptrIdEEEESG_SG_SG_PmS8_NS6_8equal_toIdEEEE10hipError_tPvRmT2_T3_mT4_T5_T6_T7_T8_P12ihipStream_tbENKUlT_T0_E_clISt17integral_constantIbLb1EES10_IbLb0EEEEDaSW_SX_EUlSW_E_NS1_11comp_targetILNS1_3genE3ELNS1_11target_archE908ELNS1_3gpuE7ELNS1_3repE0EEENS1_30default_config_static_selectorELNS0_4arch9wavefront6targetE1EEEvT1_
                                        ; -- End function
	.section	.AMDGPU.csdata,"",@progbits
; Kernel info:
; codeLenInByte = 0
; NumSgprs: 4
; NumVgprs: 0
; NumAgprs: 0
; TotalNumVgprs: 0
; ScratchSize: 0
; MemoryBound: 0
; FloatMode: 240
; IeeeMode: 1
; LDSByteSize: 0 bytes/workgroup (compile time only)
; SGPRBlocks: 0
; VGPRBlocks: 0
; NumSGPRsForWavesPerEU: 4
; NumVGPRsForWavesPerEU: 1
; AccumOffset: 4
; Occupancy: 8
; WaveLimiterHint : 0
; COMPUTE_PGM_RSRC2:SCRATCH_EN: 0
; COMPUTE_PGM_RSRC2:USER_SGPR: 6
; COMPUTE_PGM_RSRC2:TRAP_HANDLER: 0
; COMPUTE_PGM_RSRC2:TGID_X_EN: 1
; COMPUTE_PGM_RSRC2:TGID_Y_EN: 0
; COMPUTE_PGM_RSRC2:TGID_Z_EN: 0
; COMPUTE_PGM_RSRC2:TIDIG_COMP_CNT: 0
; COMPUTE_PGM_RSRC3_GFX90A:ACCUM_OFFSET: 0
; COMPUTE_PGM_RSRC3_GFX90A:TG_SPLIT: 0
	.section	.text._ZN7rocprim17ROCPRIM_400000_NS6detail17trampoline_kernelINS0_14default_configENS1_29reduce_by_key_config_selectorIddN6thrust23THRUST_200600_302600_NS4plusIdEEEEZZNS1_33reduce_by_key_impl_wrapped_configILNS1_25lookback_scan_determinismE0ES3_S9_NS6_6detail15normal_iteratorINS6_10device_ptrIdEEEESG_SG_SG_PmS8_NS6_8equal_toIdEEEE10hipError_tPvRmT2_T3_mT4_T5_T6_T7_T8_P12ihipStream_tbENKUlT_T0_E_clISt17integral_constantIbLb1EES10_IbLb0EEEEDaSW_SX_EUlSW_E_NS1_11comp_targetILNS1_3genE2ELNS1_11target_archE906ELNS1_3gpuE6ELNS1_3repE0EEENS1_30default_config_static_selectorELNS0_4arch9wavefront6targetE1EEEvT1_,"axG",@progbits,_ZN7rocprim17ROCPRIM_400000_NS6detail17trampoline_kernelINS0_14default_configENS1_29reduce_by_key_config_selectorIddN6thrust23THRUST_200600_302600_NS4plusIdEEEEZZNS1_33reduce_by_key_impl_wrapped_configILNS1_25lookback_scan_determinismE0ES3_S9_NS6_6detail15normal_iteratorINS6_10device_ptrIdEEEESG_SG_SG_PmS8_NS6_8equal_toIdEEEE10hipError_tPvRmT2_T3_mT4_T5_T6_T7_T8_P12ihipStream_tbENKUlT_T0_E_clISt17integral_constantIbLb1EES10_IbLb0EEEEDaSW_SX_EUlSW_E_NS1_11comp_targetILNS1_3genE2ELNS1_11target_archE906ELNS1_3gpuE6ELNS1_3repE0EEENS1_30default_config_static_selectorELNS0_4arch9wavefront6targetE1EEEvT1_,comdat
	.protected	_ZN7rocprim17ROCPRIM_400000_NS6detail17trampoline_kernelINS0_14default_configENS1_29reduce_by_key_config_selectorIddN6thrust23THRUST_200600_302600_NS4plusIdEEEEZZNS1_33reduce_by_key_impl_wrapped_configILNS1_25lookback_scan_determinismE0ES3_S9_NS6_6detail15normal_iteratorINS6_10device_ptrIdEEEESG_SG_SG_PmS8_NS6_8equal_toIdEEEE10hipError_tPvRmT2_T3_mT4_T5_T6_T7_T8_P12ihipStream_tbENKUlT_T0_E_clISt17integral_constantIbLb1EES10_IbLb0EEEEDaSW_SX_EUlSW_E_NS1_11comp_targetILNS1_3genE2ELNS1_11target_archE906ELNS1_3gpuE6ELNS1_3repE0EEENS1_30default_config_static_selectorELNS0_4arch9wavefront6targetE1EEEvT1_ ; -- Begin function _ZN7rocprim17ROCPRIM_400000_NS6detail17trampoline_kernelINS0_14default_configENS1_29reduce_by_key_config_selectorIddN6thrust23THRUST_200600_302600_NS4plusIdEEEEZZNS1_33reduce_by_key_impl_wrapped_configILNS1_25lookback_scan_determinismE0ES3_S9_NS6_6detail15normal_iteratorINS6_10device_ptrIdEEEESG_SG_SG_PmS8_NS6_8equal_toIdEEEE10hipError_tPvRmT2_T3_mT4_T5_T6_T7_T8_P12ihipStream_tbENKUlT_T0_E_clISt17integral_constantIbLb1EES10_IbLb0EEEEDaSW_SX_EUlSW_E_NS1_11comp_targetILNS1_3genE2ELNS1_11target_archE906ELNS1_3gpuE6ELNS1_3repE0EEENS1_30default_config_static_selectorELNS0_4arch9wavefront6targetE1EEEvT1_
	.globl	_ZN7rocprim17ROCPRIM_400000_NS6detail17trampoline_kernelINS0_14default_configENS1_29reduce_by_key_config_selectorIddN6thrust23THRUST_200600_302600_NS4plusIdEEEEZZNS1_33reduce_by_key_impl_wrapped_configILNS1_25lookback_scan_determinismE0ES3_S9_NS6_6detail15normal_iteratorINS6_10device_ptrIdEEEESG_SG_SG_PmS8_NS6_8equal_toIdEEEE10hipError_tPvRmT2_T3_mT4_T5_T6_T7_T8_P12ihipStream_tbENKUlT_T0_E_clISt17integral_constantIbLb1EES10_IbLb0EEEEDaSW_SX_EUlSW_E_NS1_11comp_targetILNS1_3genE2ELNS1_11target_archE906ELNS1_3gpuE6ELNS1_3repE0EEENS1_30default_config_static_selectorELNS0_4arch9wavefront6targetE1EEEvT1_
	.p2align	8
	.type	_ZN7rocprim17ROCPRIM_400000_NS6detail17trampoline_kernelINS0_14default_configENS1_29reduce_by_key_config_selectorIddN6thrust23THRUST_200600_302600_NS4plusIdEEEEZZNS1_33reduce_by_key_impl_wrapped_configILNS1_25lookback_scan_determinismE0ES3_S9_NS6_6detail15normal_iteratorINS6_10device_ptrIdEEEESG_SG_SG_PmS8_NS6_8equal_toIdEEEE10hipError_tPvRmT2_T3_mT4_T5_T6_T7_T8_P12ihipStream_tbENKUlT_T0_E_clISt17integral_constantIbLb1EES10_IbLb0EEEEDaSW_SX_EUlSW_E_NS1_11comp_targetILNS1_3genE2ELNS1_11target_archE906ELNS1_3gpuE6ELNS1_3repE0EEENS1_30default_config_static_selectorELNS0_4arch9wavefront6targetE1EEEvT1_,@function
_ZN7rocprim17ROCPRIM_400000_NS6detail17trampoline_kernelINS0_14default_configENS1_29reduce_by_key_config_selectorIddN6thrust23THRUST_200600_302600_NS4plusIdEEEEZZNS1_33reduce_by_key_impl_wrapped_configILNS1_25lookback_scan_determinismE0ES3_S9_NS6_6detail15normal_iteratorINS6_10device_ptrIdEEEESG_SG_SG_PmS8_NS6_8equal_toIdEEEE10hipError_tPvRmT2_T3_mT4_T5_T6_T7_T8_P12ihipStream_tbENKUlT_T0_E_clISt17integral_constantIbLb1EES10_IbLb0EEEEDaSW_SX_EUlSW_E_NS1_11comp_targetILNS1_3genE2ELNS1_11target_archE906ELNS1_3gpuE6ELNS1_3repE0EEENS1_30default_config_static_selectorELNS0_4arch9wavefront6targetE1EEEvT1_: ; @_ZN7rocprim17ROCPRIM_400000_NS6detail17trampoline_kernelINS0_14default_configENS1_29reduce_by_key_config_selectorIddN6thrust23THRUST_200600_302600_NS4plusIdEEEEZZNS1_33reduce_by_key_impl_wrapped_configILNS1_25lookback_scan_determinismE0ES3_S9_NS6_6detail15normal_iteratorINS6_10device_ptrIdEEEESG_SG_SG_PmS8_NS6_8equal_toIdEEEE10hipError_tPvRmT2_T3_mT4_T5_T6_T7_T8_P12ihipStream_tbENKUlT_T0_E_clISt17integral_constantIbLb1EES10_IbLb0EEEEDaSW_SX_EUlSW_E_NS1_11comp_targetILNS1_3genE2ELNS1_11target_archE906ELNS1_3gpuE6ELNS1_3repE0EEENS1_30default_config_static_selectorELNS0_4arch9wavefront6targetE1EEEvT1_
; %bb.0:
	.section	.rodata,"a",@progbits
	.p2align	6, 0x0
	.amdhsa_kernel _ZN7rocprim17ROCPRIM_400000_NS6detail17trampoline_kernelINS0_14default_configENS1_29reduce_by_key_config_selectorIddN6thrust23THRUST_200600_302600_NS4plusIdEEEEZZNS1_33reduce_by_key_impl_wrapped_configILNS1_25lookback_scan_determinismE0ES3_S9_NS6_6detail15normal_iteratorINS6_10device_ptrIdEEEESG_SG_SG_PmS8_NS6_8equal_toIdEEEE10hipError_tPvRmT2_T3_mT4_T5_T6_T7_T8_P12ihipStream_tbENKUlT_T0_E_clISt17integral_constantIbLb1EES10_IbLb0EEEEDaSW_SX_EUlSW_E_NS1_11comp_targetILNS1_3genE2ELNS1_11target_archE906ELNS1_3gpuE6ELNS1_3repE0EEENS1_30default_config_static_selectorELNS0_4arch9wavefront6targetE1EEEvT1_
		.amdhsa_group_segment_fixed_size 0
		.amdhsa_private_segment_fixed_size 0
		.amdhsa_kernarg_size 136
		.amdhsa_user_sgpr_count 6
		.amdhsa_user_sgpr_private_segment_buffer 1
		.amdhsa_user_sgpr_dispatch_ptr 0
		.amdhsa_user_sgpr_queue_ptr 0
		.amdhsa_user_sgpr_kernarg_segment_ptr 1
		.amdhsa_user_sgpr_dispatch_id 0
		.amdhsa_user_sgpr_flat_scratch_init 0
		.amdhsa_user_sgpr_kernarg_preload_length 0
		.amdhsa_user_sgpr_kernarg_preload_offset 0
		.amdhsa_user_sgpr_private_segment_size 0
		.amdhsa_uses_dynamic_stack 0
		.amdhsa_system_sgpr_private_segment_wavefront_offset 0
		.amdhsa_system_sgpr_workgroup_id_x 1
		.amdhsa_system_sgpr_workgroup_id_y 0
		.amdhsa_system_sgpr_workgroup_id_z 0
		.amdhsa_system_sgpr_workgroup_info 0
		.amdhsa_system_vgpr_workitem_id 0
		.amdhsa_next_free_vgpr 1
		.amdhsa_next_free_sgpr 0
		.amdhsa_accum_offset 4
		.amdhsa_reserve_vcc 0
		.amdhsa_reserve_flat_scratch 0
		.amdhsa_float_round_mode_32 0
		.amdhsa_float_round_mode_16_64 0
		.amdhsa_float_denorm_mode_32 3
		.amdhsa_float_denorm_mode_16_64 3
		.amdhsa_dx10_clamp 1
		.amdhsa_ieee_mode 1
		.amdhsa_fp16_overflow 0
		.amdhsa_tg_split 0
		.amdhsa_exception_fp_ieee_invalid_op 0
		.amdhsa_exception_fp_denorm_src 0
		.amdhsa_exception_fp_ieee_div_zero 0
		.amdhsa_exception_fp_ieee_overflow 0
		.amdhsa_exception_fp_ieee_underflow 0
		.amdhsa_exception_fp_ieee_inexact 0
		.amdhsa_exception_int_div_zero 0
	.end_amdhsa_kernel
	.section	.text._ZN7rocprim17ROCPRIM_400000_NS6detail17trampoline_kernelINS0_14default_configENS1_29reduce_by_key_config_selectorIddN6thrust23THRUST_200600_302600_NS4plusIdEEEEZZNS1_33reduce_by_key_impl_wrapped_configILNS1_25lookback_scan_determinismE0ES3_S9_NS6_6detail15normal_iteratorINS6_10device_ptrIdEEEESG_SG_SG_PmS8_NS6_8equal_toIdEEEE10hipError_tPvRmT2_T3_mT4_T5_T6_T7_T8_P12ihipStream_tbENKUlT_T0_E_clISt17integral_constantIbLb1EES10_IbLb0EEEEDaSW_SX_EUlSW_E_NS1_11comp_targetILNS1_3genE2ELNS1_11target_archE906ELNS1_3gpuE6ELNS1_3repE0EEENS1_30default_config_static_selectorELNS0_4arch9wavefront6targetE1EEEvT1_,"axG",@progbits,_ZN7rocprim17ROCPRIM_400000_NS6detail17trampoline_kernelINS0_14default_configENS1_29reduce_by_key_config_selectorIddN6thrust23THRUST_200600_302600_NS4plusIdEEEEZZNS1_33reduce_by_key_impl_wrapped_configILNS1_25lookback_scan_determinismE0ES3_S9_NS6_6detail15normal_iteratorINS6_10device_ptrIdEEEESG_SG_SG_PmS8_NS6_8equal_toIdEEEE10hipError_tPvRmT2_T3_mT4_T5_T6_T7_T8_P12ihipStream_tbENKUlT_T0_E_clISt17integral_constantIbLb1EES10_IbLb0EEEEDaSW_SX_EUlSW_E_NS1_11comp_targetILNS1_3genE2ELNS1_11target_archE906ELNS1_3gpuE6ELNS1_3repE0EEENS1_30default_config_static_selectorELNS0_4arch9wavefront6targetE1EEEvT1_,comdat
.Lfunc_end36:
	.size	_ZN7rocprim17ROCPRIM_400000_NS6detail17trampoline_kernelINS0_14default_configENS1_29reduce_by_key_config_selectorIddN6thrust23THRUST_200600_302600_NS4plusIdEEEEZZNS1_33reduce_by_key_impl_wrapped_configILNS1_25lookback_scan_determinismE0ES3_S9_NS6_6detail15normal_iteratorINS6_10device_ptrIdEEEESG_SG_SG_PmS8_NS6_8equal_toIdEEEE10hipError_tPvRmT2_T3_mT4_T5_T6_T7_T8_P12ihipStream_tbENKUlT_T0_E_clISt17integral_constantIbLb1EES10_IbLb0EEEEDaSW_SX_EUlSW_E_NS1_11comp_targetILNS1_3genE2ELNS1_11target_archE906ELNS1_3gpuE6ELNS1_3repE0EEENS1_30default_config_static_selectorELNS0_4arch9wavefront6targetE1EEEvT1_, .Lfunc_end36-_ZN7rocprim17ROCPRIM_400000_NS6detail17trampoline_kernelINS0_14default_configENS1_29reduce_by_key_config_selectorIddN6thrust23THRUST_200600_302600_NS4plusIdEEEEZZNS1_33reduce_by_key_impl_wrapped_configILNS1_25lookback_scan_determinismE0ES3_S9_NS6_6detail15normal_iteratorINS6_10device_ptrIdEEEESG_SG_SG_PmS8_NS6_8equal_toIdEEEE10hipError_tPvRmT2_T3_mT4_T5_T6_T7_T8_P12ihipStream_tbENKUlT_T0_E_clISt17integral_constantIbLb1EES10_IbLb0EEEEDaSW_SX_EUlSW_E_NS1_11comp_targetILNS1_3genE2ELNS1_11target_archE906ELNS1_3gpuE6ELNS1_3repE0EEENS1_30default_config_static_selectorELNS0_4arch9wavefront6targetE1EEEvT1_
                                        ; -- End function
	.section	.AMDGPU.csdata,"",@progbits
; Kernel info:
; codeLenInByte = 0
; NumSgprs: 4
; NumVgprs: 0
; NumAgprs: 0
; TotalNumVgprs: 0
; ScratchSize: 0
; MemoryBound: 0
; FloatMode: 240
; IeeeMode: 1
; LDSByteSize: 0 bytes/workgroup (compile time only)
; SGPRBlocks: 0
; VGPRBlocks: 0
; NumSGPRsForWavesPerEU: 4
; NumVGPRsForWavesPerEU: 1
; AccumOffset: 4
; Occupancy: 8
; WaveLimiterHint : 0
; COMPUTE_PGM_RSRC2:SCRATCH_EN: 0
; COMPUTE_PGM_RSRC2:USER_SGPR: 6
; COMPUTE_PGM_RSRC2:TRAP_HANDLER: 0
; COMPUTE_PGM_RSRC2:TGID_X_EN: 1
; COMPUTE_PGM_RSRC2:TGID_Y_EN: 0
; COMPUTE_PGM_RSRC2:TGID_Z_EN: 0
; COMPUTE_PGM_RSRC2:TIDIG_COMP_CNT: 0
; COMPUTE_PGM_RSRC3_GFX90A:ACCUM_OFFSET: 0
; COMPUTE_PGM_RSRC3_GFX90A:TG_SPLIT: 0
	.section	.text._ZN7rocprim17ROCPRIM_400000_NS6detail17trampoline_kernelINS0_14default_configENS1_29reduce_by_key_config_selectorIddN6thrust23THRUST_200600_302600_NS4plusIdEEEEZZNS1_33reduce_by_key_impl_wrapped_configILNS1_25lookback_scan_determinismE0ES3_S9_NS6_6detail15normal_iteratorINS6_10device_ptrIdEEEESG_SG_SG_PmS8_NS6_8equal_toIdEEEE10hipError_tPvRmT2_T3_mT4_T5_T6_T7_T8_P12ihipStream_tbENKUlT_T0_E_clISt17integral_constantIbLb1EES10_IbLb0EEEEDaSW_SX_EUlSW_E_NS1_11comp_targetILNS1_3genE10ELNS1_11target_archE1201ELNS1_3gpuE5ELNS1_3repE0EEENS1_30default_config_static_selectorELNS0_4arch9wavefront6targetE1EEEvT1_,"axG",@progbits,_ZN7rocprim17ROCPRIM_400000_NS6detail17trampoline_kernelINS0_14default_configENS1_29reduce_by_key_config_selectorIddN6thrust23THRUST_200600_302600_NS4plusIdEEEEZZNS1_33reduce_by_key_impl_wrapped_configILNS1_25lookback_scan_determinismE0ES3_S9_NS6_6detail15normal_iteratorINS6_10device_ptrIdEEEESG_SG_SG_PmS8_NS6_8equal_toIdEEEE10hipError_tPvRmT2_T3_mT4_T5_T6_T7_T8_P12ihipStream_tbENKUlT_T0_E_clISt17integral_constantIbLb1EES10_IbLb0EEEEDaSW_SX_EUlSW_E_NS1_11comp_targetILNS1_3genE10ELNS1_11target_archE1201ELNS1_3gpuE5ELNS1_3repE0EEENS1_30default_config_static_selectorELNS0_4arch9wavefront6targetE1EEEvT1_,comdat
	.protected	_ZN7rocprim17ROCPRIM_400000_NS6detail17trampoline_kernelINS0_14default_configENS1_29reduce_by_key_config_selectorIddN6thrust23THRUST_200600_302600_NS4plusIdEEEEZZNS1_33reduce_by_key_impl_wrapped_configILNS1_25lookback_scan_determinismE0ES3_S9_NS6_6detail15normal_iteratorINS6_10device_ptrIdEEEESG_SG_SG_PmS8_NS6_8equal_toIdEEEE10hipError_tPvRmT2_T3_mT4_T5_T6_T7_T8_P12ihipStream_tbENKUlT_T0_E_clISt17integral_constantIbLb1EES10_IbLb0EEEEDaSW_SX_EUlSW_E_NS1_11comp_targetILNS1_3genE10ELNS1_11target_archE1201ELNS1_3gpuE5ELNS1_3repE0EEENS1_30default_config_static_selectorELNS0_4arch9wavefront6targetE1EEEvT1_ ; -- Begin function _ZN7rocprim17ROCPRIM_400000_NS6detail17trampoline_kernelINS0_14default_configENS1_29reduce_by_key_config_selectorIddN6thrust23THRUST_200600_302600_NS4plusIdEEEEZZNS1_33reduce_by_key_impl_wrapped_configILNS1_25lookback_scan_determinismE0ES3_S9_NS6_6detail15normal_iteratorINS6_10device_ptrIdEEEESG_SG_SG_PmS8_NS6_8equal_toIdEEEE10hipError_tPvRmT2_T3_mT4_T5_T6_T7_T8_P12ihipStream_tbENKUlT_T0_E_clISt17integral_constantIbLb1EES10_IbLb0EEEEDaSW_SX_EUlSW_E_NS1_11comp_targetILNS1_3genE10ELNS1_11target_archE1201ELNS1_3gpuE5ELNS1_3repE0EEENS1_30default_config_static_selectorELNS0_4arch9wavefront6targetE1EEEvT1_
	.globl	_ZN7rocprim17ROCPRIM_400000_NS6detail17trampoline_kernelINS0_14default_configENS1_29reduce_by_key_config_selectorIddN6thrust23THRUST_200600_302600_NS4plusIdEEEEZZNS1_33reduce_by_key_impl_wrapped_configILNS1_25lookback_scan_determinismE0ES3_S9_NS6_6detail15normal_iteratorINS6_10device_ptrIdEEEESG_SG_SG_PmS8_NS6_8equal_toIdEEEE10hipError_tPvRmT2_T3_mT4_T5_T6_T7_T8_P12ihipStream_tbENKUlT_T0_E_clISt17integral_constantIbLb1EES10_IbLb0EEEEDaSW_SX_EUlSW_E_NS1_11comp_targetILNS1_3genE10ELNS1_11target_archE1201ELNS1_3gpuE5ELNS1_3repE0EEENS1_30default_config_static_selectorELNS0_4arch9wavefront6targetE1EEEvT1_
	.p2align	8
	.type	_ZN7rocprim17ROCPRIM_400000_NS6detail17trampoline_kernelINS0_14default_configENS1_29reduce_by_key_config_selectorIddN6thrust23THRUST_200600_302600_NS4plusIdEEEEZZNS1_33reduce_by_key_impl_wrapped_configILNS1_25lookback_scan_determinismE0ES3_S9_NS6_6detail15normal_iteratorINS6_10device_ptrIdEEEESG_SG_SG_PmS8_NS6_8equal_toIdEEEE10hipError_tPvRmT2_T3_mT4_T5_T6_T7_T8_P12ihipStream_tbENKUlT_T0_E_clISt17integral_constantIbLb1EES10_IbLb0EEEEDaSW_SX_EUlSW_E_NS1_11comp_targetILNS1_3genE10ELNS1_11target_archE1201ELNS1_3gpuE5ELNS1_3repE0EEENS1_30default_config_static_selectorELNS0_4arch9wavefront6targetE1EEEvT1_,@function
_ZN7rocprim17ROCPRIM_400000_NS6detail17trampoline_kernelINS0_14default_configENS1_29reduce_by_key_config_selectorIddN6thrust23THRUST_200600_302600_NS4plusIdEEEEZZNS1_33reduce_by_key_impl_wrapped_configILNS1_25lookback_scan_determinismE0ES3_S9_NS6_6detail15normal_iteratorINS6_10device_ptrIdEEEESG_SG_SG_PmS8_NS6_8equal_toIdEEEE10hipError_tPvRmT2_T3_mT4_T5_T6_T7_T8_P12ihipStream_tbENKUlT_T0_E_clISt17integral_constantIbLb1EES10_IbLb0EEEEDaSW_SX_EUlSW_E_NS1_11comp_targetILNS1_3genE10ELNS1_11target_archE1201ELNS1_3gpuE5ELNS1_3repE0EEENS1_30default_config_static_selectorELNS0_4arch9wavefront6targetE1EEEvT1_: ; @_ZN7rocprim17ROCPRIM_400000_NS6detail17trampoline_kernelINS0_14default_configENS1_29reduce_by_key_config_selectorIddN6thrust23THRUST_200600_302600_NS4plusIdEEEEZZNS1_33reduce_by_key_impl_wrapped_configILNS1_25lookback_scan_determinismE0ES3_S9_NS6_6detail15normal_iteratorINS6_10device_ptrIdEEEESG_SG_SG_PmS8_NS6_8equal_toIdEEEE10hipError_tPvRmT2_T3_mT4_T5_T6_T7_T8_P12ihipStream_tbENKUlT_T0_E_clISt17integral_constantIbLb1EES10_IbLb0EEEEDaSW_SX_EUlSW_E_NS1_11comp_targetILNS1_3genE10ELNS1_11target_archE1201ELNS1_3gpuE5ELNS1_3repE0EEENS1_30default_config_static_selectorELNS0_4arch9wavefront6targetE1EEEvT1_
; %bb.0:
	.section	.rodata,"a",@progbits
	.p2align	6, 0x0
	.amdhsa_kernel _ZN7rocprim17ROCPRIM_400000_NS6detail17trampoline_kernelINS0_14default_configENS1_29reduce_by_key_config_selectorIddN6thrust23THRUST_200600_302600_NS4plusIdEEEEZZNS1_33reduce_by_key_impl_wrapped_configILNS1_25lookback_scan_determinismE0ES3_S9_NS6_6detail15normal_iteratorINS6_10device_ptrIdEEEESG_SG_SG_PmS8_NS6_8equal_toIdEEEE10hipError_tPvRmT2_T3_mT4_T5_T6_T7_T8_P12ihipStream_tbENKUlT_T0_E_clISt17integral_constantIbLb1EES10_IbLb0EEEEDaSW_SX_EUlSW_E_NS1_11comp_targetILNS1_3genE10ELNS1_11target_archE1201ELNS1_3gpuE5ELNS1_3repE0EEENS1_30default_config_static_selectorELNS0_4arch9wavefront6targetE1EEEvT1_
		.amdhsa_group_segment_fixed_size 0
		.amdhsa_private_segment_fixed_size 0
		.amdhsa_kernarg_size 136
		.amdhsa_user_sgpr_count 6
		.amdhsa_user_sgpr_private_segment_buffer 1
		.amdhsa_user_sgpr_dispatch_ptr 0
		.amdhsa_user_sgpr_queue_ptr 0
		.amdhsa_user_sgpr_kernarg_segment_ptr 1
		.amdhsa_user_sgpr_dispatch_id 0
		.amdhsa_user_sgpr_flat_scratch_init 0
		.amdhsa_user_sgpr_kernarg_preload_length 0
		.amdhsa_user_sgpr_kernarg_preload_offset 0
		.amdhsa_user_sgpr_private_segment_size 0
		.amdhsa_uses_dynamic_stack 0
		.amdhsa_system_sgpr_private_segment_wavefront_offset 0
		.amdhsa_system_sgpr_workgroup_id_x 1
		.amdhsa_system_sgpr_workgroup_id_y 0
		.amdhsa_system_sgpr_workgroup_id_z 0
		.amdhsa_system_sgpr_workgroup_info 0
		.amdhsa_system_vgpr_workitem_id 0
		.amdhsa_next_free_vgpr 1
		.amdhsa_next_free_sgpr 0
		.amdhsa_accum_offset 4
		.amdhsa_reserve_vcc 0
		.amdhsa_reserve_flat_scratch 0
		.amdhsa_float_round_mode_32 0
		.amdhsa_float_round_mode_16_64 0
		.amdhsa_float_denorm_mode_32 3
		.amdhsa_float_denorm_mode_16_64 3
		.amdhsa_dx10_clamp 1
		.amdhsa_ieee_mode 1
		.amdhsa_fp16_overflow 0
		.amdhsa_tg_split 0
		.amdhsa_exception_fp_ieee_invalid_op 0
		.amdhsa_exception_fp_denorm_src 0
		.amdhsa_exception_fp_ieee_div_zero 0
		.amdhsa_exception_fp_ieee_overflow 0
		.amdhsa_exception_fp_ieee_underflow 0
		.amdhsa_exception_fp_ieee_inexact 0
		.amdhsa_exception_int_div_zero 0
	.end_amdhsa_kernel
	.section	.text._ZN7rocprim17ROCPRIM_400000_NS6detail17trampoline_kernelINS0_14default_configENS1_29reduce_by_key_config_selectorIddN6thrust23THRUST_200600_302600_NS4plusIdEEEEZZNS1_33reduce_by_key_impl_wrapped_configILNS1_25lookback_scan_determinismE0ES3_S9_NS6_6detail15normal_iteratorINS6_10device_ptrIdEEEESG_SG_SG_PmS8_NS6_8equal_toIdEEEE10hipError_tPvRmT2_T3_mT4_T5_T6_T7_T8_P12ihipStream_tbENKUlT_T0_E_clISt17integral_constantIbLb1EES10_IbLb0EEEEDaSW_SX_EUlSW_E_NS1_11comp_targetILNS1_3genE10ELNS1_11target_archE1201ELNS1_3gpuE5ELNS1_3repE0EEENS1_30default_config_static_selectorELNS0_4arch9wavefront6targetE1EEEvT1_,"axG",@progbits,_ZN7rocprim17ROCPRIM_400000_NS6detail17trampoline_kernelINS0_14default_configENS1_29reduce_by_key_config_selectorIddN6thrust23THRUST_200600_302600_NS4plusIdEEEEZZNS1_33reduce_by_key_impl_wrapped_configILNS1_25lookback_scan_determinismE0ES3_S9_NS6_6detail15normal_iteratorINS6_10device_ptrIdEEEESG_SG_SG_PmS8_NS6_8equal_toIdEEEE10hipError_tPvRmT2_T3_mT4_T5_T6_T7_T8_P12ihipStream_tbENKUlT_T0_E_clISt17integral_constantIbLb1EES10_IbLb0EEEEDaSW_SX_EUlSW_E_NS1_11comp_targetILNS1_3genE10ELNS1_11target_archE1201ELNS1_3gpuE5ELNS1_3repE0EEENS1_30default_config_static_selectorELNS0_4arch9wavefront6targetE1EEEvT1_,comdat
.Lfunc_end37:
	.size	_ZN7rocprim17ROCPRIM_400000_NS6detail17trampoline_kernelINS0_14default_configENS1_29reduce_by_key_config_selectorIddN6thrust23THRUST_200600_302600_NS4plusIdEEEEZZNS1_33reduce_by_key_impl_wrapped_configILNS1_25lookback_scan_determinismE0ES3_S9_NS6_6detail15normal_iteratorINS6_10device_ptrIdEEEESG_SG_SG_PmS8_NS6_8equal_toIdEEEE10hipError_tPvRmT2_T3_mT4_T5_T6_T7_T8_P12ihipStream_tbENKUlT_T0_E_clISt17integral_constantIbLb1EES10_IbLb0EEEEDaSW_SX_EUlSW_E_NS1_11comp_targetILNS1_3genE10ELNS1_11target_archE1201ELNS1_3gpuE5ELNS1_3repE0EEENS1_30default_config_static_selectorELNS0_4arch9wavefront6targetE1EEEvT1_, .Lfunc_end37-_ZN7rocprim17ROCPRIM_400000_NS6detail17trampoline_kernelINS0_14default_configENS1_29reduce_by_key_config_selectorIddN6thrust23THRUST_200600_302600_NS4plusIdEEEEZZNS1_33reduce_by_key_impl_wrapped_configILNS1_25lookback_scan_determinismE0ES3_S9_NS6_6detail15normal_iteratorINS6_10device_ptrIdEEEESG_SG_SG_PmS8_NS6_8equal_toIdEEEE10hipError_tPvRmT2_T3_mT4_T5_T6_T7_T8_P12ihipStream_tbENKUlT_T0_E_clISt17integral_constantIbLb1EES10_IbLb0EEEEDaSW_SX_EUlSW_E_NS1_11comp_targetILNS1_3genE10ELNS1_11target_archE1201ELNS1_3gpuE5ELNS1_3repE0EEENS1_30default_config_static_selectorELNS0_4arch9wavefront6targetE1EEEvT1_
                                        ; -- End function
	.section	.AMDGPU.csdata,"",@progbits
; Kernel info:
; codeLenInByte = 0
; NumSgprs: 4
; NumVgprs: 0
; NumAgprs: 0
; TotalNumVgprs: 0
; ScratchSize: 0
; MemoryBound: 0
; FloatMode: 240
; IeeeMode: 1
; LDSByteSize: 0 bytes/workgroup (compile time only)
; SGPRBlocks: 0
; VGPRBlocks: 0
; NumSGPRsForWavesPerEU: 4
; NumVGPRsForWavesPerEU: 1
; AccumOffset: 4
; Occupancy: 8
; WaveLimiterHint : 0
; COMPUTE_PGM_RSRC2:SCRATCH_EN: 0
; COMPUTE_PGM_RSRC2:USER_SGPR: 6
; COMPUTE_PGM_RSRC2:TRAP_HANDLER: 0
; COMPUTE_PGM_RSRC2:TGID_X_EN: 1
; COMPUTE_PGM_RSRC2:TGID_Y_EN: 0
; COMPUTE_PGM_RSRC2:TGID_Z_EN: 0
; COMPUTE_PGM_RSRC2:TIDIG_COMP_CNT: 0
; COMPUTE_PGM_RSRC3_GFX90A:ACCUM_OFFSET: 0
; COMPUTE_PGM_RSRC3_GFX90A:TG_SPLIT: 0
	.section	.text._ZN7rocprim17ROCPRIM_400000_NS6detail17trampoline_kernelINS0_14default_configENS1_29reduce_by_key_config_selectorIddN6thrust23THRUST_200600_302600_NS4plusIdEEEEZZNS1_33reduce_by_key_impl_wrapped_configILNS1_25lookback_scan_determinismE0ES3_S9_NS6_6detail15normal_iteratorINS6_10device_ptrIdEEEESG_SG_SG_PmS8_NS6_8equal_toIdEEEE10hipError_tPvRmT2_T3_mT4_T5_T6_T7_T8_P12ihipStream_tbENKUlT_T0_E_clISt17integral_constantIbLb1EES10_IbLb0EEEEDaSW_SX_EUlSW_E_NS1_11comp_targetILNS1_3genE10ELNS1_11target_archE1200ELNS1_3gpuE4ELNS1_3repE0EEENS1_30default_config_static_selectorELNS0_4arch9wavefront6targetE1EEEvT1_,"axG",@progbits,_ZN7rocprim17ROCPRIM_400000_NS6detail17trampoline_kernelINS0_14default_configENS1_29reduce_by_key_config_selectorIddN6thrust23THRUST_200600_302600_NS4plusIdEEEEZZNS1_33reduce_by_key_impl_wrapped_configILNS1_25lookback_scan_determinismE0ES3_S9_NS6_6detail15normal_iteratorINS6_10device_ptrIdEEEESG_SG_SG_PmS8_NS6_8equal_toIdEEEE10hipError_tPvRmT2_T3_mT4_T5_T6_T7_T8_P12ihipStream_tbENKUlT_T0_E_clISt17integral_constantIbLb1EES10_IbLb0EEEEDaSW_SX_EUlSW_E_NS1_11comp_targetILNS1_3genE10ELNS1_11target_archE1200ELNS1_3gpuE4ELNS1_3repE0EEENS1_30default_config_static_selectorELNS0_4arch9wavefront6targetE1EEEvT1_,comdat
	.protected	_ZN7rocprim17ROCPRIM_400000_NS6detail17trampoline_kernelINS0_14default_configENS1_29reduce_by_key_config_selectorIddN6thrust23THRUST_200600_302600_NS4plusIdEEEEZZNS1_33reduce_by_key_impl_wrapped_configILNS1_25lookback_scan_determinismE0ES3_S9_NS6_6detail15normal_iteratorINS6_10device_ptrIdEEEESG_SG_SG_PmS8_NS6_8equal_toIdEEEE10hipError_tPvRmT2_T3_mT4_T5_T6_T7_T8_P12ihipStream_tbENKUlT_T0_E_clISt17integral_constantIbLb1EES10_IbLb0EEEEDaSW_SX_EUlSW_E_NS1_11comp_targetILNS1_3genE10ELNS1_11target_archE1200ELNS1_3gpuE4ELNS1_3repE0EEENS1_30default_config_static_selectorELNS0_4arch9wavefront6targetE1EEEvT1_ ; -- Begin function _ZN7rocprim17ROCPRIM_400000_NS6detail17trampoline_kernelINS0_14default_configENS1_29reduce_by_key_config_selectorIddN6thrust23THRUST_200600_302600_NS4plusIdEEEEZZNS1_33reduce_by_key_impl_wrapped_configILNS1_25lookback_scan_determinismE0ES3_S9_NS6_6detail15normal_iteratorINS6_10device_ptrIdEEEESG_SG_SG_PmS8_NS6_8equal_toIdEEEE10hipError_tPvRmT2_T3_mT4_T5_T6_T7_T8_P12ihipStream_tbENKUlT_T0_E_clISt17integral_constantIbLb1EES10_IbLb0EEEEDaSW_SX_EUlSW_E_NS1_11comp_targetILNS1_3genE10ELNS1_11target_archE1200ELNS1_3gpuE4ELNS1_3repE0EEENS1_30default_config_static_selectorELNS0_4arch9wavefront6targetE1EEEvT1_
	.globl	_ZN7rocprim17ROCPRIM_400000_NS6detail17trampoline_kernelINS0_14default_configENS1_29reduce_by_key_config_selectorIddN6thrust23THRUST_200600_302600_NS4plusIdEEEEZZNS1_33reduce_by_key_impl_wrapped_configILNS1_25lookback_scan_determinismE0ES3_S9_NS6_6detail15normal_iteratorINS6_10device_ptrIdEEEESG_SG_SG_PmS8_NS6_8equal_toIdEEEE10hipError_tPvRmT2_T3_mT4_T5_T6_T7_T8_P12ihipStream_tbENKUlT_T0_E_clISt17integral_constantIbLb1EES10_IbLb0EEEEDaSW_SX_EUlSW_E_NS1_11comp_targetILNS1_3genE10ELNS1_11target_archE1200ELNS1_3gpuE4ELNS1_3repE0EEENS1_30default_config_static_selectorELNS0_4arch9wavefront6targetE1EEEvT1_
	.p2align	8
	.type	_ZN7rocprim17ROCPRIM_400000_NS6detail17trampoline_kernelINS0_14default_configENS1_29reduce_by_key_config_selectorIddN6thrust23THRUST_200600_302600_NS4plusIdEEEEZZNS1_33reduce_by_key_impl_wrapped_configILNS1_25lookback_scan_determinismE0ES3_S9_NS6_6detail15normal_iteratorINS6_10device_ptrIdEEEESG_SG_SG_PmS8_NS6_8equal_toIdEEEE10hipError_tPvRmT2_T3_mT4_T5_T6_T7_T8_P12ihipStream_tbENKUlT_T0_E_clISt17integral_constantIbLb1EES10_IbLb0EEEEDaSW_SX_EUlSW_E_NS1_11comp_targetILNS1_3genE10ELNS1_11target_archE1200ELNS1_3gpuE4ELNS1_3repE0EEENS1_30default_config_static_selectorELNS0_4arch9wavefront6targetE1EEEvT1_,@function
_ZN7rocprim17ROCPRIM_400000_NS6detail17trampoline_kernelINS0_14default_configENS1_29reduce_by_key_config_selectorIddN6thrust23THRUST_200600_302600_NS4plusIdEEEEZZNS1_33reduce_by_key_impl_wrapped_configILNS1_25lookback_scan_determinismE0ES3_S9_NS6_6detail15normal_iteratorINS6_10device_ptrIdEEEESG_SG_SG_PmS8_NS6_8equal_toIdEEEE10hipError_tPvRmT2_T3_mT4_T5_T6_T7_T8_P12ihipStream_tbENKUlT_T0_E_clISt17integral_constantIbLb1EES10_IbLb0EEEEDaSW_SX_EUlSW_E_NS1_11comp_targetILNS1_3genE10ELNS1_11target_archE1200ELNS1_3gpuE4ELNS1_3repE0EEENS1_30default_config_static_selectorELNS0_4arch9wavefront6targetE1EEEvT1_: ; @_ZN7rocprim17ROCPRIM_400000_NS6detail17trampoline_kernelINS0_14default_configENS1_29reduce_by_key_config_selectorIddN6thrust23THRUST_200600_302600_NS4plusIdEEEEZZNS1_33reduce_by_key_impl_wrapped_configILNS1_25lookback_scan_determinismE0ES3_S9_NS6_6detail15normal_iteratorINS6_10device_ptrIdEEEESG_SG_SG_PmS8_NS6_8equal_toIdEEEE10hipError_tPvRmT2_T3_mT4_T5_T6_T7_T8_P12ihipStream_tbENKUlT_T0_E_clISt17integral_constantIbLb1EES10_IbLb0EEEEDaSW_SX_EUlSW_E_NS1_11comp_targetILNS1_3genE10ELNS1_11target_archE1200ELNS1_3gpuE4ELNS1_3repE0EEENS1_30default_config_static_selectorELNS0_4arch9wavefront6targetE1EEEvT1_
; %bb.0:
	.section	.rodata,"a",@progbits
	.p2align	6, 0x0
	.amdhsa_kernel _ZN7rocprim17ROCPRIM_400000_NS6detail17trampoline_kernelINS0_14default_configENS1_29reduce_by_key_config_selectorIddN6thrust23THRUST_200600_302600_NS4plusIdEEEEZZNS1_33reduce_by_key_impl_wrapped_configILNS1_25lookback_scan_determinismE0ES3_S9_NS6_6detail15normal_iteratorINS6_10device_ptrIdEEEESG_SG_SG_PmS8_NS6_8equal_toIdEEEE10hipError_tPvRmT2_T3_mT4_T5_T6_T7_T8_P12ihipStream_tbENKUlT_T0_E_clISt17integral_constantIbLb1EES10_IbLb0EEEEDaSW_SX_EUlSW_E_NS1_11comp_targetILNS1_3genE10ELNS1_11target_archE1200ELNS1_3gpuE4ELNS1_3repE0EEENS1_30default_config_static_selectorELNS0_4arch9wavefront6targetE1EEEvT1_
		.amdhsa_group_segment_fixed_size 0
		.amdhsa_private_segment_fixed_size 0
		.amdhsa_kernarg_size 136
		.amdhsa_user_sgpr_count 6
		.amdhsa_user_sgpr_private_segment_buffer 1
		.amdhsa_user_sgpr_dispatch_ptr 0
		.amdhsa_user_sgpr_queue_ptr 0
		.amdhsa_user_sgpr_kernarg_segment_ptr 1
		.amdhsa_user_sgpr_dispatch_id 0
		.amdhsa_user_sgpr_flat_scratch_init 0
		.amdhsa_user_sgpr_kernarg_preload_length 0
		.amdhsa_user_sgpr_kernarg_preload_offset 0
		.amdhsa_user_sgpr_private_segment_size 0
		.amdhsa_uses_dynamic_stack 0
		.amdhsa_system_sgpr_private_segment_wavefront_offset 0
		.amdhsa_system_sgpr_workgroup_id_x 1
		.amdhsa_system_sgpr_workgroup_id_y 0
		.amdhsa_system_sgpr_workgroup_id_z 0
		.amdhsa_system_sgpr_workgroup_info 0
		.amdhsa_system_vgpr_workitem_id 0
		.amdhsa_next_free_vgpr 1
		.amdhsa_next_free_sgpr 0
		.amdhsa_accum_offset 4
		.amdhsa_reserve_vcc 0
		.amdhsa_reserve_flat_scratch 0
		.amdhsa_float_round_mode_32 0
		.amdhsa_float_round_mode_16_64 0
		.amdhsa_float_denorm_mode_32 3
		.amdhsa_float_denorm_mode_16_64 3
		.amdhsa_dx10_clamp 1
		.amdhsa_ieee_mode 1
		.amdhsa_fp16_overflow 0
		.amdhsa_tg_split 0
		.amdhsa_exception_fp_ieee_invalid_op 0
		.amdhsa_exception_fp_denorm_src 0
		.amdhsa_exception_fp_ieee_div_zero 0
		.amdhsa_exception_fp_ieee_overflow 0
		.amdhsa_exception_fp_ieee_underflow 0
		.amdhsa_exception_fp_ieee_inexact 0
		.amdhsa_exception_int_div_zero 0
	.end_amdhsa_kernel
	.section	.text._ZN7rocprim17ROCPRIM_400000_NS6detail17trampoline_kernelINS0_14default_configENS1_29reduce_by_key_config_selectorIddN6thrust23THRUST_200600_302600_NS4plusIdEEEEZZNS1_33reduce_by_key_impl_wrapped_configILNS1_25lookback_scan_determinismE0ES3_S9_NS6_6detail15normal_iteratorINS6_10device_ptrIdEEEESG_SG_SG_PmS8_NS6_8equal_toIdEEEE10hipError_tPvRmT2_T3_mT4_T5_T6_T7_T8_P12ihipStream_tbENKUlT_T0_E_clISt17integral_constantIbLb1EES10_IbLb0EEEEDaSW_SX_EUlSW_E_NS1_11comp_targetILNS1_3genE10ELNS1_11target_archE1200ELNS1_3gpuE4ELNS1_3repE0EEENS1_30default_config_static_selectorELNS0_4arch9wavefront6targetE1EEEvT1_,"axG",@progbits,_ZN7rocprim17ROCPRIM_400000_NS6detail17trampoline_kernelINS0_14default_configENS1_29reduce_by_key_config_selectorIddN6thrust23THRUST_200600_302600_NS4plusIdEEEEZZNS1_33reduce_by_key_impl_wrapped_configILNS1_25lookback_scan_determinismE0ES3_S9_NS6_6detail15normal_iteratorINS6_10device_ptrIdEEEESG_SG_SG_PmS8_NS6_8equal_toIdEEEE10hipError_tPvRmT2_T3_mT4_T5_T6_T7_T8_P12ihipStream_tbENKUlT_T0_E_clISt17integral_constantIbLb1EES10_IbLb0EEEEDaSW_SX_EUlSW_E_NS1_11comp_targetILNS1_3genE10ELNS1_11target_archE1200ELNS1_3gpuE4ELNS1_3repE0EEENS1_30default_config_static_selectorELNS0_4arch9wavefront6targetE1EEEvT1_,comdat
.Lfunc_end38:
	.size	_ZN7rocprim17ROCPRIM_400000_NS6detail17trampoline_kernelINS0_14default_configENS1_29reduce_by_key_config_selectorIddN6thrust23THRUST_200600_302600_NS4plusIdEEEEZZNS1_33reduce_by_key_impl_wrapped_configILNS1_25lookback_scan_determinismE0ES3_S9_NS6_6detail15normal_iteratorINS6_10device_ptrIdEEEESG_SG_SG_PmS8_NS6_8equal_toIdEEEE10hipError_tPvRmT2_T3_mT4_T5_T6_T7_T8_P12ihipStream_tbENKUlT_T0_E_clISt17integral_constantIbLb1EES10_IbLb0EEEEDaSW_SX_EUlSW_E_NS1_11comp_targetILNS1_3genE10ELNS1_11target_archE1200ELNS1_3gpuE4ELNS1_3repE0EEENS1_30default_config_static_selectorELNS0_4arch9wavefront6targetE1EEEvT1_, .Lfunc_end38-_ZN7rocprim17ROCPRIM_400000_NS6detail17trampoline_kernelINS0_14default_configENS1_29reduce_by_key_config_selectorIddN6thrust23THRUST_200600_302600_NS4plusIdEEEEZZNS1_33reduce_by_key_impl_wrapped_configILNS1_25lookback_scan_determinismE0ES3_S9_NS6_6detail15normal_iteratorINS6_10device_ptrIdEEEESG_SG_SG_PmS8_NS6_8equal_toIdEEEE10hipError_tPvRmT2_T3_mT4_T5_T6_T7_T8_P12ihipStream_tbENKUlT_T0_E_clISt17integral_constantIbLb1EES10_IbLb0EEEEDaSW_SX_EUlSW_E_NS1_11comp_targetILNS1_3genE10ELNS1_11target_archE1200ELNS1_3gpuE4ELNS1_3repE0EEENS1_30default_config_static_selectorELNS0_4arch9wavefront6targetE1EEEvT1_
                                        ; -- End function
	.section	.AMDGPU.csdata,"",@progbits
; Kernel info:
; codeLenInByte = 0
; NumSgprs: 4
; NumVgprs: 0
; NumAgprs: 0
; TotalNumVgprs: 0
; ScratchSize: 0
; MemoryBound: 0
; FloatMode: 240
; IeeeMode: 1
; LDSByteSize: 0 bytes/workgroup (compile time only)
; SGPRBlocks: 0
; VGPRBlocks: 0
; NumSGPRsForWavesPerEU: 4
; NumVGPRsForWavesPerEU: 1
; AccumOffset: 4
; Occupancy: 8
; WaveLimiterHint : 0
; COMPUTE_PGM_RSRC2:SCRATCH_EN: 0
; COMPUTE_PGM_RSRC2:USER_SGPR: 6
; COMPUTE_PGM_RSRC2:TRAP_HANDLER: 0
; COMPUTE_PGM_RSRC2:TGID_X_EN: 1
; COMPUTE_PGM_RSRC2:TGID_Y_EN: 0
; COMPUTE_PGM_RSRC2:TGID_Z_EN: 0
; COMPUTE_PGM_RSRC2:TIDIG_COMP_CNT: 0
; COMPUTE_PGM_RSRC3_GFX90A:ACCUM_OFFSET: 0
; COMPUTE_PGM_RSRC3_GFX90A:TG_SPLIT: 0
	.section	.text._ZN7rocprim17ROCPRIM_400000_NS6detail17trampoline_kernelINS0_14default_configENS1_29reduce_by_key_config_selectorIddN6thrust23THRUST_200600_302600_NS4plusIdEEEEZZNS1_33reduce_by_key_impl_wrapped_configILNS1_25lookback_scan_determinismE0ES3_S9_NS6_6detail15normal_iteratorINS6_10device_ptrIdEEEESG_SG_SG_PmS8_NS6_8equal_toIdEEEE10hipError_tPvRmT2_T3_mT4_T5_T6_T7_T8_P12ihipStream_tbENKUlT_T0_E_clISt17integral_constantIbLb1EES10_IbLb0EEEEDaSW_SX_EUlSW_E_NS1_11comp_targetILNS1_3genE9ELNS1_11target_archE1100ELNS1_3gpuE3ELNS1_3repE0EEENS1_30default_config_static_selectorELNS0_4arch9wavefront6targetE1EEEvT1_,"axG",@progbits,_ZN7rocprim17ROCPRIM_400000_NS6detail17trampoline_kernelINS0_14default_configENS1_29reduce_by_key_config_selectorIddN6thrust23THRUST_200600_302600_NS4plusIdEEEEZZNS1_33reduce_by_key_impl_wrapped_configILNS1_25lookback_scan_determinismE0ES3_S9_NS6_6detail15normal_iteratorINS6_10device_ptrIdEEEESG_SG_SG_PmS8_NS6_8equal_toIdEEEE10hipError_tPvRmT2_T3_mT4_T5_T6_T7_T8_P12ihipStream_tbENKUlT_T0_E_clISt17integral_constantIbLb1EES10_IbLb0EEEEDaSW_SX_EUlSW_E_NS1_11comp_targetILNS1_3genE9ELNS1_11target_archE1100ELNS1_3gpuE3ELNS1_3repE0EEENS1_30default_config_static_selectorELNS0_4arch9wavefront6targetE1EEEvT1_,comdat
	.protected	_ZN7rocprim17ROCPRIM_400000_NS6detail17trampoline_kernelINS0_14default_configENS1_29reduce_by_key_config_selectorIddN6thrust23THRUST_200600_302600_NS4plusIdEEEEZZNS1_33reduce_by_key_impl_wrapped_configILNS1_25lookback_scan_determinismE0ES3_S9_NS6_6detail15normal_iteratorINS6_10device_ptrIdEEEESG_SG_SG_PmS8_NS6_8equal_toIdEEEE10hipError_tPvRmT2_T3_mT4_T5_T6_T7_T8_P12ihipStream_tbENKUlT_T0_E_clISt17integral_constantIbLb1EES10_IbLb0EEEEDaSW_SX_EUlSW_E_NS1_11comp_targetILNS1_3genE9ELNS1_11target_archE1100ELNS1_3gpuE3ELNS1_3repE0EEENS1_30default_config_static_selectorELNS0_4arch9wavefront6targetE1EEEvT1_ ; -- Begin function _ZN7rocprim17ROCPRIM_400000_NS6detail17trampoline_kernelINS0_14default_configENS1_29reduce_by_key_config_selectorIddN6thrust23THRUST_200600_302600_NS4plusIdEEEEZZNS1_33reduce_by_key_impl_wrapped_configILNS1_25lookback_scan_determinismE0ES3_S9_NS6_6detail15normal_iteratorINS6_10device_ptrIdEEEESG_SG_SG_PmS8_NS6_8equal_toIdEEEE10hipError_tPvRmT2_T3_mT4_T5_T6_T7_T8_P12ihipStream_tbENKUlT_T0_E_clISt17integral_constantIbLb1EES10_IbLb0EEEEDaSW_SX_EUlSW_E_NS1_11comp_targetILNS1_3genE9ELNS1_11target_archE1100ELNS1_3gpuE3ELNS1_3repE0EEENS1_30default_config_static_selectorELNS0_4arch9wavefront6targetE1EEEvT1_
	.globl	_ZN7rocprim17ROCPRIM_400000_NS6detail17trampoline_kernelINS0_14default_configENS1_29reduce_by_key_config_selectorIddN6thrust23THRUST_200600_302600_NS4plusIdEEEEZZNS1_33reduce_by_key_impl_wrapped_configILNS1_25lookback_scan_determinismE0ES3_S9_NS6_6detail15normal_iteratorINS6_10device_ptrIdEEEESG_SG_SG_PmS8_NS6_8equal_toIdEEEE10hipError_tPvRmT2_T3_mT4_T5_T6_T7_T8_P12ihipStream_tbENKUlT_T0_E_clISt17integral_constantIbLb1EES10_IbLb0EEEEDaSW_SX_EUlSW_E_NS1_11comp_targetILNS1_3genE9ELNS1_11target_archE1100ELNS1_3gpuE3ELNS1_3repE0EEENS1_30default_config_static_selectorELNS0_4arch9wavefront6targetE1EEEvT1_
	.p2align	8
	.type	_ZN7rocprim17ROCPRIM_400000_NS6detail17trampoline_kernelINS0_14default_configENS1_29reduce_by_key_config_selectorIddN6thrust23THRUST_200600_302600_NS4plusIdEEEEZZNS1_33reduce_by_key_impl_wrapped_configILNS1_25lookback_scan_determinismE0ES3_S9_NS6_6detail15normal_iteratorINS6_10device_ptrIdEEEESG_SG_SG_PmS8_NS6_8equal_toIdEEEE10hipError_tPvRmT2_T3_mT4_T5_T6_T7_T8_P12ihipStream_tbENKUlT_T0_E_clISt17integral_constantIbLb1EES10_IbLb0EEEEDaSW_SX_EUlSW_E_NS1_11comp_targetILNS1_3genE9ELNS1_11target_archE1100ELNS1_3gpuE3ELNS1_3repE0EEENS1_30default_config_static_selectorELNS0_4arch9wavefront6targetE1EEEvT1_,@function
_ZN7rocprim17ROCPRIM_400000_NS6detail17trampoline_kernelINS0_14default_configENS1_29reduce_by_key_config_selectorIddN6thrust23THRUST_200600_302600_NS4plusIdEEEEZZNS1_33reduce_by_key_impl_wrapped_configILNS1_25lookback_scan_determinismE0ES3_S9_NS6_6detail15normal_iteratorINS6_10device_ptrIdEEEESG_SG_SG_PmS8_NS6_8equal_toIdEEEE10hipError_tPvRmT2_T3_mT4_T5_T6_T7_T8_P12ihipStream_tbENKUlT_T0_E_clISt17integral_constantIbLb1EES10_IbLb0EEEEDaSW_SX_EUlSW_E_NS1_11comp_targetILNS1_3genE9ELNS1_11target_archE1100ELNS1_3gpuE3ELNS1_3repE0EEENS1_30default_config_static_selectorELNS0_4arch9wavefront6targetE1EEEvT1_: ; @_ZN7rocprim17ROCPRIM_400000_NS6detail17trampoline_kernelINS0_14default_configENS1_29reduce_by_key_config_selectorIddN6thrust23THRUST_200600_302600_NS4plusIdEEEEZZNS1_33reduce_by_key_impl_wrapped_configILNS1_25lookback_scan_determinismE0ES3_S9_NS6_6detail15normal_iteratorINS6_10device_ptrIdEEEESG_SG_SG_PmS8_NS6_8equal_toIdEEEE10hipError_tPvRmT2_T3_mT4_T5_T6_T7_T8_P12ihipStream_tbENKUlT_T0_E_clISt17integral_constantIbLb1EES10_IbLb0EEEEDaSW_SX_EUlSW_E_NS1_11comp_targetILNS1_3genE9ELNS1_11target_archE1100ELNS1_3gpuE3ELNS1_3repE0EEENS1_30default_config_static_selectorELNS0_4arch9wavefront6targetE1EEEvT1_
; %bb.0:
	.section	.rodata,"a",@progbits
	.p2align	6, 0x0
	.amdhsa_kernel _ZN7rocprim17ROCPRIM_400000_NS6detail17trampoline_kernelINS0_14default_configENS1_29reduce_by_key_config_selectorIddN6thrust23THRUST_200600_302600_NS4plusIdEEEEZZNS1_33reduce_by_key_impl_wrapped_configILNS1_25lookback_scan_determinismE0ES3_S9_NS6_6detail15normal_iteratorINS6_10device_ptrIdEEEESG_SG_SG_PmS8_NS6_8equal_toIdEEEE10hipError_tPvRmT2_T3_mT4_T5_T6_T7_T8_P12ihipStream_tbENKUlT_T0_E_clISt17integral_constantIbLb1EES10_IbLb0EEEEDaSW_SX_EUlSW_E_NS1_11comp_targetILNS1_3genE9ELNS1_11target_archE1100ELNS1_3gpuE3ELNS1_3repE0EEENS1_30default_config_static_selectorELNS0_4arch9wavefront6targetE1EEEvT1_
		.amdhsa_group_segment_fixed_size 0
		.amdhsa_private_segment_fixed_size 0
		.amdhsa_kernarg_size 136
		.amdhsa_user_sgpr_count 6
		.amdhsa_user_sgpr_private_segment_buffer 1
		.amdhsa_user_sgpr_dispatch_ptr 0
		.amdhsa_user_sgpr_queue_ptr 0
		.amdhsa_user_sgpr_kernarg_segment_ptr 1
		.amdhsa_user_sgpr_dispatch_id 0
		.amdhsa_user_sgpr_flat_scratch_init 0
		.amdhsa_user_sgpr_kernarg_preload_length 0
		.amdhsa_user_sgpr_kernarg_preload_offset 0
		.amdhsa_user_sgpr_private_segment_size 0
		.amdhsa_uses_dynamic_stack 0
		.amdhsa_system_sgpr_private_segment_wavefront_offset 0
		.amdhsa_system_sgpr_workgroup_id_x 1
		.amdhsa_system_sgpr_workgroup_id_y 0
		.amdhsa_system_sgpr_workgroup_id_z 0
		.amdhsa_system_sgpr_workgroup_info 0
		.amdhsa_system_vgpr_workitem_id 0
		.amdhsa_next_free_vgpr 1
		.amdhsa_next_free_sgpr 0
		.amdhsa_accum_offset 4
		.amdhsa_reserve_vcc 0
		.amdhsa_reserve_flat_scratch 0
		.amdhsa_float_round_mode_32 0
		.amdhsa_float_round_mode_16_64 0
		.amdhsa_float_denorm_mode_32 3
		.amdhsa_float_denorm_mode_16_64 3
		.amdhsa_dx10_clamp 1
		.amdhsa_ieee_mode 1
		.amdhsa_fp16_overflow 0
		.amdhsa_tg_split 0
		.amdhsa_exception_fp_ieee_invalid_op 0
		.amdhsa_exception_fp_denorm_src 0
		.amdhsa_exception_fp_ieee_div_zero 0
		.amdhsa_exception_fp_ieee_overflow 0
		.amdhsa_exception_fp_ieee_underflow 0
		.amdhsa_exception_fp_ieee_inexact 0
		.amdhsa_exception_int_div_zero 0
	.end_amdhsa_kernel
	.section	.text._ZN7rocprim17ROCPRIM_400000_NS6detail17trampoline_kernelINS0_14default_configENS1_29reduce_by_key_config_selectorIddN6thrust23THRUST_200600_302600_NS4plusIdEEEEZZNS1_33reduce_by_key_impl_wrapped_configILNS1_25lookback_scan_determinismE0ES3_S9_NS6_6detail15normal_iteratorINS6_10device_ptrIdEEEESG_SG_SG_PmS8_NS6_8equal_toIdEEEE10hipError_tPvRmT2_T3_mT4_T5_T6_T7_T8_P12ihipStream_tbENKUlT_T0_E_clISt17integral_constantIbLb1EES10_IbLb0EEEEDaSW_SX_EUlSW_E_NS1_11comp_targetILNS1_3genE9ELNS1_11target_archE1100ELNS1_3gpuE3ELNS1_3repE0EEENS1_30default_config_static_selectorELNS0_4arch9wavefront6targetE1EEEvT1_,"axG",@progbits,_ZN7rocprim17ROCPRIM_400000_NS6detail17trampoline_kernelINS0_14default_configENS1_29reduce_by_key_config_selectorIddN6thrust23THRUST_200600_302600_NS4plusIdEEEEZZNS1_33reduce_by_key_impl_wrapped_configILNS1_25lookback_scan_determinismE0ES3_S9_NS6_6detail15normal_iteratorINS6_10device_ptrIdEEEESG_SG_SG_PmS8_NS6_8equal_toIdEEEE10hipError_tPvRmT2_T3_mT4_T5_T6_T7_T8_P12ihipStream_tbENKUlT_T0_E_clISt17integral_constantIbLb1EES10_IbLb0EEEEDaSW_SX_EUlSW_E_NS1_11comp_targetILNS1_3genE9ELNS1_11target_archE1100ELNS1_3gpuE3ELNS1_3repE0EEENS1_30default_config_static_selectorELNS0_4arch9wavefront6targetE1EEEvT1_,comdat
.Lfunc_end39:
	.size	_ZN7rocprim17ROCPRIM_400000_NS6detail17trampoline_kernelINS0_14default_configENS1_29reduce_by_key_config_selectorIddN6thrust23THRUST_200600_302600_NS4plusIdEEEEZZNS1_33reduce_by_key_impl_wrapped_configILNS1_25lookback_scan_determinismE0ES3_S9_NS6_6detail15normal_iteratorINS6_10device_ptrIdEEEESG_SG_SG_PmS8_NS6_8equal_toIdEEEE10hipError_tPvRmT2_T3_mT4_T5_T6_T7_T8_P12ihipStream_tbENKUlT_T0_E_clISt17integral_constantIbLb1EES10_IbLb0EEEEDaSW_SX_EUlSW_E_NS1_11comp_targetILNS1_3genE9ELNS1_11target_archE1100ELNS1_3gpuE3ELNS1_3repE0EEENS1_30default_config_static_selectorELNS0_4arch9wavefront6targetE1EEEvT1_, .Lfunc_end39-_ZN7rocprim17ROCPRIM_400000_NS6detail17trampoline_kernelINS0_14default_configENS1_29reduce_by_key_config_selectorIddN6thrust23THRUST_200600_302600_NS4plusIdEEEEZZNS1_33reduce_by_key_impl_wrapped_configILNS1_25lookback_scan_determinismE0ES3_S9_NS6_6detail15normal_iteratorINS6_10device_ptrIdEEEESG_SG_SG_PmS8_NS6_8equal_toIdEEEE10hipError_tPvRmT2_T3_mT4_T5_T6_T7_T8_P12ihipStream_tbENKUlT_T0_E_clISt17integral_constantIbLb1EES10_IbLb0EEEEDaSW_SX_EUlSW_E_NS1_11comp_targetILNS1_3genE9ELNS1_11target_archE1100ELNS1_3gpuE3ELNS1_3repE0EEENS1_30default_config_static_selectorELNS0_4arch9wavefront6targetE1EEEvT1_
                                        ; -- End function
	.section	.AMDGPU.csdata,"",@progbits
; Kernel info:
; codeLenInByte = 0
; NumSgprs: 4
; NumVgprs: 0
; NumAgprs: 0
; TotalNumVgprs: 0
; ScratchSize: 0
; MemoryBound: 0
; FloatMode: 240
; IeeeMode: 1
; LDSByteSize: 0 bytes/workgroup (compile time only)
; SGPRBlocks: 0
; VGPRBlocks: 0
; NumSGPRsForWavesPerEU: 4
; NumVGPRsForWavesPerEU: 1
; AccumOffset: 4
; Occupancy: 8
; WaveLimiterHint : 0
; COMPUTE_PGM_RSRC2:SCRATCH_EN: 0
; COMPUTE_PGM_RSRC2:USER_SGPR: 6
; COMPUTE_PGM_RSRC2:TRAP_HANDLER: 0
; COMPUTE_PGM_RSRC2:TGID_X_EN: 1
; COMPUTE_PGM_RSRC2:TGID_Y_EN: 0
; COMPUTE_PGM_RSRC2:TGID_Z_EN: 0
; COMPUTE_PGM_RSRC2:TIDIG_COMP_CNT: 0
; COMPUTE_PGM_RSRC3_GFX90A:ACCUM_OFFSET: 0
; COMPUTE_PGM_RSRC3_GFX90A:TG_SPLIT: 0
	.section	.text._ZN7rocprim17ROCPRIM_400000_NS6detail17trampoline_kernelINS0_14default_configENS1_29reduce_by_key_config_selectorIddN6thrust23THRUST_200600_302600_NS4plusIdEEEEZZNS1_33reduce_by_key_impl_wrapped_configILNS1_25lookback_scan_determinismE0ES3_S9_NS6_6detail15normal_iteratorINS6_10device_ptrIdEEEESG_SG_SG_PmS8_NS6_8equal_toIdEEEE10hipError_tPvRmT2_T3_mT4_T5_T6_T7_T8_P12ihipStream_tbENKUlT_T0_E_clISt17integral_constantIbLb1EES10_IbLb0EEEEDaSW_SX_EUlSW_E_NS1_11comp_targetILNS1_3genE8ELNS1_11target_archE1030ELNS1_3gpuE2ELNS1_3repE0EEENS1_30default_config_static_selectorELNS0_4arch9wavefront6targetE1EEEvT1_,"axG",@progbits,_ZN7rocprim17ROCPRIM_400000_NS6detail17trampoline_kernelINS0_14default_configENS1_29reduce_by_key_config_selectorIddN6thrust23THRUST_200600_302600_NS4plusIdEEEEZZNS1_33reduce_by_key_impl_wrapped_configILNS1_25lookback_scan_determinismE0ES3_S9_NS6_6detail15normal_iteratorINS6_10device_ptrIdEEEESG_SG_SG_PmS8_NS6_8equal_toIdEEEE10hipError_tPvRmT2_T3_mT4_T5_T6_T7_T8_P12ihipStream_tbENKUlT_T0_E_clISt17integral_constantIbLb1EES10_IbLb0EEEEDaSW_SX_EUlSW_E_NS1_11comp_targetILNS1_3genE8ELNS1_11target_archE1030ELNS1_3gpuE2ELNS1_3repE0EEENS1_30default_config_static_selectorELNS0_4arch9wavefront6targetE1EEEvT1_,comdat
	.protected	_ZN7rocprim17ROCPRIM_400000_NS6detail17trampoline_kernelINS0_14default_configENS1_29reduce_by_key_config_selectorIddN6thrust23THRUST_200600_302600_NS4plusIdEEEEZZNS1_33reduce_by_key_impl_wrapped_configILNS1_25lookback_scan_determinismE0ES3_S9_NS6_6detail15normal_iteratorINS6_10device_ptrIdEEEESG_SG_SG_PmS8_NS6_8equal_toIdEEEE10hipError_tPvRmT2_T3_mT4_T5_T6_T7_T8_P12ihipStream_tbENKUlT_T0_E_clISt17integral_constantIbLb1EES10_IbLb0EEEEDaSW_SX_EUlSW_E_NS1_11comp_targetILNS1_3genE8ELNS1_11target_archE1030ELNS1_3gpuE2ELNS1_3repE0EEENS1_30default_config_static_selectorELNS0_4arch9wavefront6targetE1EEEvT1_ ; -- Begin function _ZN7rocprim17ROCPRIM_400000_NS6detail17trampoline_kernelINS0_14default_configENS1_29reduce_by_key_config_selectorIddN6thrust23THRUST_200600_302600_NS4plusIdEEEEZZNS1_33reduce_by_key_impl_wrapped_configILNS1_25lookback_scan_determinismE0ES3_S9_NS6_6detail15normal_iteratorINS6_10device_ptrIdEEEESG_SG_SG_PmS8_NS6_8equal_toIdEEEE10hipError_tPvRmT2_T3_mT4_T5_T6_T7_T8_P12ihipStream_tbENKUlT_T0_E_clISt17integral_constantIbLb1EES10_IbLb0EEEEDaSW_SX_EUlSW_E_NS1_11comp_targetILNS1_3genE8ELNS1_11target_archE1030ELNS1_3gpuE2ELNS1_3repE0EEENS1_30default_config_static_selectorELNS0_4arch9wavefront6targetE1EEEvT1_
	.globl	_ZN7rocprim17ROCPRIM_400000_NS6detail17trampoline_kernelINS0_14default_configENS1_29reduce_by_key_config_selectorIddN6thrust23THRUST_200600_302600_NS4plusIdEEEEZZNS1_33reduce_by_key_impl_wrapped_configILNS1_25lookback_scan_determinismE0ES3_S9_NS6_6detail15normal_iteratorINS6_10device_ptrIdEEEESG_SG_SG_PmS8_NS6_8equal_toIdEEEE10hipError_tPvRmT2_T3_mT4_T5_T6_T7_T8_P12ihipStream_tbENKUlT_T0_E_clISt17integral_constantIbLb1EES10_IbLb0EEEEDaSW_SX_EUlSW_E_NS1_11comp_targetILNS1_3genE8ELNS1_11target_archE1030ELNS1_3gpuE2ELNS1_3repE0EEENS1_30default_config_static_selectorELNS0_4arch9wavefront6targetE1EEEvT1_
	.p2align	8
	.type	_ZN7rocprim17ROCPRIM_400000_NS6detail17trampoline_kernelINS0_14default_configENS1_29reduce_by_key_config_selectorIddN6thrust23THRUST_200600_302600_NS4plusIdEEEEZZNS1_33reduce_by_key_impl_wrapped_configILNS1_25lookback_scan_determinismE0ES3_S9_NS6_6detail15normal_iteratorINS6_10device_ptrIdEEEESG_SG_SG_PmS8_NS6_8equal_toIdEEEE10hipError_tPvRmT2_T3_mT4_T5_T6_T7_T8_P12ihipStream_tbENKUlT_T0_E_clISt17integral_constantIbLb1EES10_IbLb0EEEEDaSW_SX_EUlSW_E_NS1_11comp_targetILNS1_3genE8ELNS1_11target_archE1030ELNS1_3gpuE2ELNS1_3repE0EEENS1_30default_config_static_selectorELNS0_4arch9wavefront6targetE1EEEvT1_,@function
_ZN7rocprim17ROCPRIM_400000_NS6detail17trampoline_kernelINS0_14default_configENS1_29reduce_by_key_config_selectorIddN6thrust23THRUST_200600_302600_NS4plusIdEEEEZZNS1_33reduce_by_key_impl_wrapped_configILNS1_25lookback_scan_determinismE0ES3_S9_NS6_6detail15normal_iteratorINS6_10device_ptrIdEEEESG_SG_SG_PmS8_NS6_8equal_toIdEEEE10hipError_tPvRmT2_T3_mT4_T5_T6_T7_T8_P12ihipStream_tbENKUlT_T0_E_clISt17integral_constantIbLb1EES10_IbLb0EEEEDaSW_SX_EUlSW_E_NS1_11comp_targetILNS1_3genE8ELNS1_11target_archE1030ELNS1_3gpuE2ELNS1_3repE0EEENS1_30default_config_static_selectorELNS0_4arch9wavefront6targetE1EEEvT1_: ; @_ZN7rocprim17ROCPRIM_400000_NS6detail17trampoline_kernelINS0_14default_configENS1_29reduce_by_key_config_selectorIddN6thrust23THRUST_200600_302600_NS4plusIdEEEEZZNS1_33reduce_by_key_impl_wrapped_configILNS1_25lookback_scan_determinismE0ES3_S9_NS6_6detail15normal_iteratorINS6_10device_ptrIdEEEESG_SG_SG_PmS8_NS6_8equal_toIdEEEE10hipError_tPvRmT2_T3_mT4_T5_T6_T7_T8_P12ihipStream_tbENKUlT_T0_E_clISt17integral_constantIbLb1EES10_IbLb0EEEEDaSW_SX_EUlSW_E_NS1_11comp_targetILNS1_3genE8ELNS1_11target_archE1030ELNS1_3gpuE2ELNS1_3repE0EEENS1_30default_config_static_selectorELNS0_4arch9wavefront6targetE1EEEvT1_
; %bb.0:
	.section	.rodata,"a",@progbits
	.p2align	6, 0x0
	.amdhsa_kernel _ZN7rocprim17ROCPRIM_400000_NS6detail17trampoline_kernelINS0_14default_configENS1_29reduce_by_key_config_selectorIddN6thrust23THRUST_200600_302600_NS4plusIdEEEEZZNS1_33reduce_by_key_impl_wrapped_configILNS1_25lookback_scan_determinismE0ES3_S9_NS6_6detail15normal_iteratorINS6_10device_ptrIdEEEESG_SG_SG_PmS8_NS6_8equal_toIdEEEE10hipError_tPvRmT2_T3_mT4_T5_T6_T7_T8_P12ihipStream_tbENKUlT_T0_E_clISt17integral_constantIbLb1EES10_IbLb0EEEEDaSW_SX_EUlSW_E_NS1_11comp_targetILNS1_3genE8ELNS1_11target_archE1030ELNS1_3gpuE2ELNS1_3repE0EEENS1_30default_config_static_selectorELNS0_4arch9wavefront6targetE1EEEvT1_
		.amdhsa_group_segment_fixed_size 0
		.amdhsa_private_segment_fixed_size 0
		.amdhsa_kernarg_size 136
		.amdhsa_user_sgpr_count 6
		.amdhsa_user_sgpr_private_segment_buffer 1
		.amdhsa_user_sgpr_dispatch_ptr 0
		.amdhsa_user_sgpr_queue_ptr 0
		.amdhsa_user_sgpr_kernarg_segment_ptr 1
		.amdhsa_user_sgpr_dispatch_id 0
		.amdhsa_user_sgpr_flat_scratch_init 0
		.amdhsa_user_sgpr_kernarg_preload_length 0
		.amdhsa_user_sgpr_kernarg_preload_offset 0
		.amdhsa_user_sgpr_private_segment_size 0
		.amdhsa_uses_dynamic_stack 0
		.amdhsa_system_sgpr_private_segment_wavefront_offset 0
		.amdhsa_system_sgpr_workgroup_id_x 1
		.amdhsa_system_sgpr_workgroup_id_y 0
		.amdhsa_system_sgpr_workgroup_id_z 0
		.amdhsa_system_sgpr_workgroup_info 0
		.amdhsa_system_vgpr_workitem_id 0
		.amdhsa_next_free_vgpr 1
		.amdhsa_next_free_sgpr 0
		.amdhsa_accum_offset 4
		.amdhsa_reserve_vcc 0
		.amdhsa_reserve_flat_scratch 0
		.amdhsa_float_round_mode_32 0
		.amdhsa_float_round_mode_16_64 0
		.amdhsa_float_denorm_mode_32 3
		.amdhsa_float_denorm_mode_16_64 3
		.amdhsa_dx10_clamp 1
		.amdhsa_ieee_mode 1
		.amdhsa_fp16_overflow 0
		.amdhsa_tg_split 0
		.amdhsa_exception_fp_ieee_invalid_op 0
		.amdhsa_exception_fp_denorm_src 0
		.amdhsa_exception_fp_ieee_div_zero 0
		.amdhsa_exception_fp_ieee_overflow 0
		.amdhsa_exception_fp_ieee_underflow 0
		.amdhsa_exception_fp_ieee_inexact 0
		.amdhsa_exception_int_div_zero 0
	.end_amdhsa_kernel
	.section	.text._ZN7rocprim17ROCPRIM_400000_NS6detail17trampoline_kernelINS0_14default_configENS1_29reduce_by_key_config_selectorIddN6thrust23THRUST_200600_302600_NS4plusIdEEEEZZNS1_33reduce_by_key_impl_wrapped_configILNS1_25lookback_scan_determinismE0ES3_S9_NS6_6detail15normal_iteratorINS6_10device_ptrIdEEEESG_SG_SG_PmS8_NS6_8equal_toIdEEEE10hipError_tPvRmT2_T3_mT4_T5_T6_T7_T8_P12ihipStream_tbENKUlT_T0_E_clISt17integral_constantIbLb1EES10_IbLb0EEEEDaSW_SX_EUlSW_E_NS1_11comp_targetILNS1_3genE8ELNS1_11target_archE1030ELNS1_3gpuE2ELNS1_3repE0EEENS1_30default_config_static_selectorELNS0_4arch9wavefront6targetE1EEEvT1_,"axG",@progbits,_ZN7rocprim17ROCPRIM_400000_NS6detail17trampoline_kernelINS0_14default_configENS1_29reduce_by_key_config_selectorIddN6thrust23THRUST_200600_302600_NS4plusIdEEEEZZNS1_33reduce_by_key_impl_wrapped_configILNS1_25lookback_scan_determinismE0ES3_S9_NS6_6detail15normal_iteratorINS6_10device_ptrIdEEEESG_SG_SG_PmS8_NS6_8equal_toIdEEEE10hipError_tPvRmT2_T3_mT4_T5_T6_T7_T8_P12ihipStream_tbENKUlT_T0_E_clISt17integral_constantIbLb1EES10_IbLb0EEEEDaSW_SX_EUlSW_E_NS1_11comp_targetILNS1_3genE8ELNS1_11target_archE1030ELNS1_3gpuE2ELNS1_3repE0EEENS1_30default_config_static_selectorELNS0_4arch9wavefront6targetE1EEEvT1_,comdat
.Lfunc_end40:
	.size	_ZN7rocprim17ROCPRIM_400000_NS6detail17trampoline_kernelINS0_14default_configENS1_29reduce_by_key_config_selectorIddN6thrust23THRUST_200600_302600_NS4plusIdEEEEZZNS1_33reduce_by_key_impl_wrapped_configILNS1_25lookback_scan_determinismE0ES3_S9_NS6_6detail15normal_iteratorINS6_10device_ptrIdEEEESG_SG_SG_PmS8_NS6_8equal_toIdEEEE10hipError_tPvRmT2_T3_mT4_T5_T6_T7_T8_P12ihipStream_tbENKUlT_T0_E_clISt17integral_constantIbLb1EES10_IbLb0EEEEDaSW_SX_EUlSW_E_NS1_11comp_targetILNS1_3genE8ELNS1_11target_archE1030ELNS1_3gpuE2ELNS1_3repE0EEENS1_30default_config_static_selectorELNS0_4arch9wavefront6targetE1EEEvT1_, .Lfunc_end40-_ZN7rocprim17ROCPRIM_400000_NS6detail17trampoline_kernelINS0_14default_configENS1_29reduce_by_key_config_selectorIddN6thrust23THRUST_200600_302600_NS4plusIdEEEEZZNS1_33reduce_by_key_impl_wrapped_configILNS1_25lookback_scan_determinismE0ES3_S9_NS6_6detail15normal_iteratorINS6_10device_ptrIdEEEESG_SG_SG_PmS8_NS6_8equal_toIdEEEE10hipError_tPvRmT2_T3_mT4_T5_T6_T7_T8_P12ihipStream_tbENKUlT_T0_E_clISt17integral_constantIbLb1EES10_IbLb0EEEEDaSW_SX_EUlSW_E_NS1_11comp_targetILNS1_3genE8ELNS1_11target_archE1030ELNS1_3gpuE2ELNS1_3repE0EEENS1_30default_config_static_selectorELNS0_4arch9wavefront6targetE1EEEvT1_
                                        ; -- End function
	.section	.AMDGPU.csdata,"",@progbits
; Kernel info:
; codeLenInByte = 0
; NumSgprs: 4
; NumVgprs: 0
; NumAgprs: 0
; TotalNumVgprs: 0
; ScratchSize: 0
; MemoryBound: 0
; FloatMode: 240
; IeeeMode: 1
; LDSByteSize: 0 bytes/workgroup (compile time only)
; SGPRBlocks: 0
; VGPRBlocks: 0
; NumSGPRsForWavesPerEU: 4
; NumVGPRsForWavesPerEU: 1
; AccumOffset: 4
; Occupancy: 8
; WaveLimiterHint : 0
; COMPUTE_PGM_RSRC2:SCRATCH_EN: 0
; COMPUTE_PGM_RSRC2:USER_SGPR: 6
; COMPUTE_PGM_RSRC2:TRAP_HANDLER: 0
; COMPUTE_PGM_RSRC2:TGID_X_EN: 1
; COMPUTE_PGM_RSRC2:TGID_Y_EN: 0
; COMPUTE_PGM_RSRC2:TGID_Z_EN: 0
; COMPUTE_PGM_RSRC2:TIDIG_COMP_CNT: 0
; COMPUTE_PGM_RSRC3_GFX90A:ACCUM_OFFSET: 0
; COMPUTE_PGM_RSRC3_GFX90A:TG_SPLIT: 0
	.section	.text._ZN7rocprim17ROCPRIM_400000_NS6detail25reduce_by_key_init_kernelINS1_19lookback_scan_stateINS0_5tupleIJjdEEELb0ELb0EEEdNS1_16block_id_wrapperIjLb1EEEEEvT_jbjPmPT0_T1_,"axG",@progbits,_ZN7rocprim17ROCPRIM_400000_NS6detail25reduce_by_key_init_kernelINS1_19lookback_scan_stateINS0_5tupleIJjdEEELb0ELb0EEEdNS1_16block_id_wrapperIjLb1EEEEEvT_jbjPmPT0_T1_,comdat
	.protected	_ZN7rocprim17ROCPRIM_400000_NS6detail25reduce_by_key_init_kernelINS1_19lookback_scan_stateINS0_5tupleIJjdEEELb0ELb0EEEdNS1_16block_id_wrapperIjLb1EEEEEvT_jbjPmPT0_T1_ ; -- Begin function _ZN7rocprim17ROCPRIM_400000_NS6detail25reduce_by_key_init_kernelINS1_19lookback_scan_stateINS0_5tupleIJjdEEELb0ELb0EEEdNS1_16block_id_wrapperIjLb1EEEEEvT_jbjPmPT0_T1_
	.globl	_ZN7rocprim17ROCPRIM_400000_NS6detail25reduce_by_key_init_kernelINS1_19lookback_scan_stateINS0_5tupleIJjdEEELb0ELb0EEEdNS1_16block_id_wrapperIjLb1EEEEEvT_jbjPmPT0_T1_
	.p2align	8
	.type	_ZN7rocprim17ROCPRIM_400000_NS6detail25reduce_by_key_init_kernelINS1_19lookback_scan_stateINS0_5tupleIJjdEEELb0ELb0EEEdNS1_16block_id_wrapperIjLb1EEEEEvT_jbjPmPT0_T1_,@function
_ZN7rocprim17ROCPRIM_400000_NS6detail25reduce_by_key_init_kernelINS1_19lookback_scan_stateINS0_5tupleIJjdEEELb0ELb0EEEdNS1_16block_id_wrapperIjLb1EEEEEvT_jbjPmPT0_T1_: ; @_ZN7rocprim17ROCPRIM_400000_NS6detail25reduce_by_key_init_kernelINS1_19lookback_scan_stateINS0_5tupleIJjdEEELb0ELb0EEEdNS1_16block_id_wrapperIjLb1EEEEEvT_jbjPmPT0_T1_
; %bb.0:
	s_load_dwordx8 s[8:15], s[4:5], 0x18
	s_load_dword s0, s[4:5], 0x4c
	s_load_dwordx2 s[18:19], s[4:5], 0x38
	s_load_dwordx2 s[16:17], s[4:5], 0x10
	s_waitcnt lgkmcnt(0)
	s_and_b32 s1, s9, 1
	s_and_b32 s0, s0, 0xffff
	s_mul_i32 s6, s6, s0
	s_cmp_eq_u32 s1, 0
	v_add_u32_e32 v0, s6, v0
	s_mov_b64 s[0:1], -1
	s_cbranch_scc1 .LBB41_6
; %bb.1:
	s_andn2_b64 vcc, exec, s[0:1]
	v_cmp_eq_u32_e64 s[0:1], 0, v0
	s_cbranch_vccz .LBB41_12
.LBB41_2:
	v_cmp_eq_u32_e32 vcc, 0, v0
	s_and_saveexec_b64 s[0:1], vcc
	s_cbranch_execnz .LBB41_15
.LBB41_3:
	s_or_b64 exec, exec, s[0:1]
	v_cmp_gt_u32_e32 vcc, s8, v0
	s_and_saveexec_b64 s[0:1], vcc
	s_cbranch_execnz .LBB41_16
.LBB41_4:
	s_or_b64 exec, exec, s[0:1]
	v_cmp_gt_u32_e32 vcc, 64, v0
	s_and_saveexec_b64 s[0:1], vcc
	s_cbranch_execnz .LBB41_17
.LBB41_5:
	s_endpgm
.LBB41_6:
	s_cmp_lt_u32 s10, s8
	s_cselect_b32 s0, s10, 0
	v_cmp_eq_u32_e32 vcc, s0, v0
	s_and_saveexec_b64 s[6:7], vcc
	s_cbranch_execz .LBB41_11
; %bb.7:
	s_add_i32 s10, s10, 64
	v_mov_b32_e32 v1, s10
	global_load_ubyte v1, v1, s[16:17] glc
	s_load_dwordx4 s[0:3], s[4:5], 0x0
	s_add_u32 s4, s16, s10
	s_mov_b32 s11, 0
	s_addc_u32 s5, s17, 0
	s_waitcnt vmcnt(0)
	v_cmp_ne_u16_e32 vcc, 0, v1
	v_readfirstlane_b32 s9, v1
	s_cbranch_vccnz .LBB41_10
; %bb.8:
	v_mov_b32_e32 v1, 0
.LBB41_9:                               ; =>This Inner Loop Header: Depth=1
	global_load_ubyte v2, v1, s[4:5] glc
	s_waitcnt vmcnt(0)
	v_cmp_eq_u16_e32 vcc, 0, v2
	v_readfirstlane_b32 s9, v2
	s_cbranch_vccnz .LBB41_9
.LBB41_10:
	s_and_b32 s4, 0xffff, s9
	s_cmp_eq_u32 s4, 1
	s_waitcnt lgkmcnt(0)
	s_cselect_b32 s3, s1, s3
	s_cselect_b32 s2, s0, s2
	s_lshl_b64 s[0:1], s[10:11], 4
	v_mov_b32_e32 v1, 0
	s_add_u32 s0, s2, s0
	buffer_wbinvl1_vol
	s_addc_u32 s1, s3, s1
	global_load_dwordx2 v[2:3], v1, s[12:13]
	global_load_dword v6, v1, s[0:1]
	global_load_dwordx2 v[4:5], v1, s[0:1] offset:8
	s_waitcnt vmcnt(1)
	v_add_co_u32_e32 v2, vcc, v2, v6
	v_addc_co_u32_e32 v3, vcc, 0, v3, vcc
	global_store_dwordx2 v1, v[2:3], s[12:13]
	s_waitcnt vmcnt(1)
	global_store_dwordx2 v1, v[4:5], s[14:15]
.LBB41_11:
	s_or_b64 exec, exec, s[6:7]
	v_cmp_eq_u32_e64 s[0:1], 0, v0
	s_cbranch_execnz .LBB41_2
.LBB41_12:
	s_cmp_lg_u64 s[12:13], 0
	s_cselect_b64 s[2:3], -1, 0
	s_and_b64 s[2:3], s[2:3], s[0:1]
	s_and_saveexec_b64 s[0:1], s[2:3]
	s_cbranch_execz .LBB41_14
; %bb.13:
	v_mov_b32_e32 v2, 0
	v_mov_b32_e32 v3, v2
	global_store_dwordx2 v2, v[2:3], s[12:13]
.LBB41_14:
	s_or_b64 exec, exec, s[0:1]
	v_cmp_eq_u32_e32 vcc, 0, v0
	s_and_saveexec_b64 s[0:1], vcc
	s_cbranch_execz .LBB41_3
.LBB41_15:
	v_mov_b32_e32 v1, 0
	global_store_dword v1, v1, s[18:19]
	s_or_b64 exec, exec, s[0:1]
	v_cmp_gt_u32_e32 vcc, s8, v0
	s_and_saveexec_b64 s[0:1], vcc
	s_cbranch_execz .LBB41_4
.LBB41_16:
	v_add_u32_e32 v1, 64, v0
	v_mov_b32_e32 v2, 0
	global_store_byte v1, v2, s[16:17]
	s_or_b64 exec, exec, s[0:1]
	v_cmp_gt_u32_e32 vcc, 64, v0
	s_and_saveexec_b64 s[0:1], vcc
	s_cbranch_execz .LBB41_5
.LBB41_17:
	v_mov_b32_e32 v1, 0xff
	global_store_byte v0, v1, s[16:17]
	s_endpgm
	.section	.rodata,"a",@progbits
	.p2align	6, 0x0
	.amdhsa_kernel _ZN7rocprim17ROCPRIM_400000_NS6detail25reduce_by_key_init_kernelINS1_19lookback_scan_stateINS0_5tupleIJjdEEELb0ELb0EEEdNS1_16block_id_wrapperIjLb1EEEEEvT_jbjPmPT0_T1_
		.amdhsa_group_segment_fixed_size 0
		.amdhsa_private_segment_fixed_size 0
		.amdhsa_kernarg_size 320
		.amdhsa_user_sgpr_count 6
		.amdhsa_user_sgpr_private_segment_buffer 1
		.amdhsa_user_sgpr_dispatch_ptr 0
		.amdhsa_user_sgpr_queue_ptr 0
		.amdhsa_user_sgpr_kernarg_segment_ptr 1
		.amdhsa_user_sgpr_dispatch_id 0
		.amdhsa_user_sgpr_flat_scratch_init 0
		.amdhsa_user_sgpr_kernarg_preload_length 0
		.amdhsa_user_sgpr_kernarg_preload_offset 0
		.amdhsa_user_sgpr_private_segment_size 0
		.amdhsa_uses_dynamic_stack 0
		.amdhsa_system_sgpr_private_segment_wavefront_offset 0
		.amdhsa_system_sgpr_workgroup_id_x 1
		.amdhsa_system_sgpr_workgroup_id_y 0
		.amdhsa_system_sgpr_workgroup_id_z 0
		.amdhsa_system_sgpr_workgroup_info 0
		.amdhsa_system_vgpr_workitem_id 0
		.amdhsa_next_free_vgpr 7
		.amdhsa_next_free_sgpr 20
		.amdhsa_accum_offset 8
		.amdhsa_reserve_vcc 1
		.amdhsa_reserve_flat_scratch 0
		.amdhsa_float_round_mode_32 0
		.amdhsa_float_round_mode_16_64 0
		.amdhsa_float_denorm_mode_32 3
		.amdhsa_float_denorm_mode_16_64 3
		.amdhsa_dx10_clamp 1
		.amdhsa_ieee_mode 1
		.amdhsa_fp16_overflow 0
		.amdhsa_tg_split 0
		.amdhsa_exception_fp_ieee_invalid_op 0
		.amdhsa_exception_fp_denorm_src 0
		.amdhsa_exception_fp_ieee_div_zero 0
		.amdhsa_exception_fp_ieee_overflow 0
		.amdhsa_exception_fp_ieee_underflow 0
		.amdhsa_exception_fp_ieee_inexact 0
		.amdhsa_exception_int_div_zero 0
	.end_amdhsa_kernel
	.section	.text._ZN7rocprim17ROCPRIM_400000_NS6detail25reduce_by_key_init_kernelINS1_19lookback_scan_stateINS0_5tupleIJjdEEELb0ELb0EEEdNS1_16block_id_wrapperIjLb1EEEEEvT_jbjPmPT0_T1_,"axG",@progbits,_ZN7rocprim17ROCPRIM_400000_NS6detail25reduce_by_key_init_kernelINS1_19lookback_scan_stateINS0_5tupleIJjdEEELb0ELb0EEEdNS1_16block_id_wrapperIjLb1EEEEEvT_jbjPmPT0_T1_,comdat
.Lfunc_end41:
	.size	_ZN7rocprim17ROCPRIM_400000_NS6detail25reduce_by_key_init_kernelINS1_19lookback_scan_stateINS0_5tupleIJjdEEELb0ELb0EEEdNS1_16block_id_wrapperIjLb1EEEEEvT_jbjPmPT0_T1_, .Lfunc_end41-_ZN7rocprim17ROCPRIM_400000_NS6detail25reduce_by_key_init_kernelINS1_19lookback_scan_stateINS0_5tupleIJjdEEELb0ELb0EEEdNS1_16block_id_wrapperIjLb1EEEEEvT_jbjPmPT0_T1_
                                        ; -- End function
	.section	.AMDGPU.csdata,"",@progbits
; Kernel info:
; codeLenInByte = 484
; NumSgprs: 24
; NumVgprs: 7
; NumAgprs: 0
; TotalNumVgprs: 7
; ScratchSize: 0
; MemoryBound: 0
; FloatMode: 240
; IeeeMode: 1
; LDSByteSize: 0 bytes/workgroup (compile time only)
; SGPRBlocks: 2
; VGPRBlocks: 0
; NumSGPRsForWavesPerEU: 24
; NumVGPRsForWavesPerEU: 7
; AccumOffset: 8
; Occupancy: 8
; WaveLimiterHint : 0
; COMPUTE_PGM_RSRC2:SCRATCH_EN: 0
; COMPUTE_PGM_RSRC2:USER_SGPR: 6
; COMPUTE_PGM_RSRC2:TRAP_HANDLER: 0
; COMPUTE_PGM_RSRC2:TGID_X_EN: 1
; COMPUTE_PGM_RSRC2:TGID_Y_EN: 0
; COMPUTE_PGM_RSRC2:TGID_Z_EN: 0
; COMPUTE_PGM_RSRC2:TIDIG_COMP_CNT: 0
; COMPUTE_PGM_RSRC3_GFX90A:ACCUM_OFFSET: 1
; COMPUTE_PGM_RSRC3_GFX90A:TG_SPLIT: 0
	.section	.text._ZN7rocprim17ROCPRIM_400000_NS6detail17trampoline_kernelINS0_14default_configENS1_29reduce_by_key_config_selectorIddN6thrust23THRUST_200600_302600_NS4plusIdEEEEZZNS1_33reduce_by_key_impl_wrapped_configILNS1_25lookback_scan_determinismE0ES3_S9_NS6_6detail15normal_iteratorINS6_10device_ptrIdEEEESG_SG_SG_PmS8_NS6_8equal_toIdEEEE10hipError_tPvRmT2_T3_mT4_T5_T6_T7_T8_P12ihipStream_tbENKUlT_T0_E_clISt17integral_constantIbLb0EES10_IbLb1EEEEDaSW_SX_EUlSW_E_NS1_11comp_targetILNS1_3genE0ELNS1_11target_archE4294967295ELNS1_3gpuE0ELNS1_3repE0EEENS1_30default_config_static_selectorELNS0_4arch9wavefront6targetE1EEEvT1_,"axG",@progbits,_ZN7rocprim17ROCPRIM_400000_NS6detail17trampoline_kernelINS0_14default_configENS1_29reduce_by_key_config_selectorIddN6thrust23THRUST_200600_302600_NS4plusIdEEEEZZNS1_33reduce_by_key_impl_wrapped_configILNS1_25lookback_scan_determinismE0ES3_S9_NS6_6detail15normal_iteratorINS6_10device_ptrIdEEEESG_SG_SG_PmS8_NS6_8equal_toIdEEEE10hipError_tPvRmT2_T3_mT4_T5_T6_T7_T8_P12ihipStream_tbENKUlT_T0_E_clISt17integral_constantIbLb0EES10_IbLb1EEEEDaSW_SX_EUlSW_E_NS1_11comp_targetILNS1_3genE0ELNS1_11target_archE4294967295ELNS1_3gpuE0ELNS1_3repE0EEENS1_30default_config_static_selectorELNS0_4arch9wavefront6targetE1EEEvT1_,comdat
	.protected	_ZN7rocprim17ROCPRIM_400000_NS6detail17trampoline_kernelINS0_14default_configENS1_29reduce_by_key_config_selectorIddN6thrust23THRUST_200600_302600_NS4plusIdEEEEZZNS1_33reduce_by_key_impl_wrapped_configILNS1_25lookback_scan_determinismE0ES3_S9_NS6_6detail15normal_iteratorINS6_10device_ptrIdEEEESG_SG_SG_PmS8_NS6_8equal_toIdEEEE10hipError_tPvRmT2_T3_mT4_T5_T6_T7_T8_P12ihipStream_tbENKUlT_T0_E_clISt17integral_constantIbLb0EES10_IbLb1EEEEDaSW_SX_EUlSW_E_NS1_11comp_targetILNS1_3genE0ELNS1_11target_archE4294967295ELNS1_3gpuE0ELNS1_3repE0EEENS1_30default_config_static_selectorELNS0_4arch9wavefront6targetE1EEEvT1_ ; -- Begin function _ZN7rocprim17ROCPRIM_400000_NS6detail17trampoline_kernelINS0_14default_configENS1_29reduce_by_key_config_selectorIddN6thrust23THRUST_200600_302600_NS4plusIdEEEEZZNS1_33reduce_by_key_impl_wrapped_configILNS1_25lookback_scan_determinismE0ES3_S9_NS6_6detail15normal_iteratorINS6_10device_ptrIdEEEESG_SG_SG_PmS8_NS6_8equal_toIdEEEE10hipError_tPvRmT2_T3_mT4_T5_T6_T7_T8_P12ihipStream_tbENKUlT_T0_E_clISt17integral_constantIbLb0EES10_IbLb1EEEEDaSW_SX_EUlSW_E_NS1_11comp_targetILNS1_3genE0ELNS1_11target_archE4294967295ELNS1_3gpuE0ELNS1_3repE0EEENS1_30default_config_static_selectorELNS0_4arch9wavefront6targetE1EEEvT1_
	.globl	_ZN7rocprim17ROCPRIM_400000_NS6detail17trampoline_kernelINS0_14default_configENS1_29reduce_by_key_config_selectorIddN6thrust23THRUST_200600_302600_NS4plusIdEEEEZZNS1_33reduce_by_key_impl_wrapped_configILNS1_25lookback_scan_determinismE0ES3_S9_NS6_6detail15normal_iteratorINS6_10device_ptrIdEEEESG_SG_SG_PmS8_NS6_8equal_toIdEEEE10hipError_tPvRmT2_T3_mT4_T5_T6_T7_T8_P12ihipStream_tbENKUlT_T0_E_clISt17integral_constantIbLb0EES10_IbLb1EEEEDaSW_SX_EUlSW_E_NS1_11comp_targetILNS1_3genE0ELNS1_11target_archE4294967295ELNS1_3gpuE0ELNS1_3repE0EEENS1_30default_config_static_selectorELNS0_4arch9wavefront6targetE1EEEvT1_
	.p2align	8
	.type	_ZN7rocprim17ROCPRIM_400000_NS6detail17trampoline_kernelINS0_14default_configENS1_29reduce_by_key_config_selectorIddN6thrust23THRUST_200600_302600_NS4plusIdEEEEZZNS1_33reduce_by_key_impl_wrapped_configILNS1_25lookback_scan_determinismE0ES3_S9_NS6_6detail15normal_iteratorINS6_10device_ptrIdEEEESG_SG_SG_PmS8_NS6_8equal_toIdEEEE10hipError_tPvRmT2_T3_mT4_T5_T6_T7_T8_P12ihipStream_tbENKUlT_T0_E_clISt17integral_constantIbLb0EES10_IbLb1EEEEDaSW_SX_EUlSW_E_NS1_11comp_targetILNS1_3genE0ELNS1_11target_archE4294967295ELNS1_3gpuE0ELNS1_3repE0EEENS1_30default_config_static_selectorELNS0_4arch9wavefront6targetE1EEEvT1_,@function
_ZN7rocprim17ROCPRIM_400000_NS6detail17trampoline_kernelINS0_14default_configENS1_29reduce_by_key_config_selectorIddN6thrust23THRUST_200600_302600_NS4plusIdEEEEZZNS1_33reduce_by_key_impl_wrapped_configILNS1_25lookback_scan_determinismE0ES3_S9_NS6_6detail15normal_iteratorINS6_10device_ptrIdEEEESG_SG_SG_PmS8_NS6_8equal_toIdEEEE10hipError_tPvRmT2_T3_mT4_T5_T6_T7_T8_P12ihipStream_tbENKUlT_T0_E_clISt17integral_constantIbLb0EES10_IbLb1EEEEDaSW_SX_EUlSW_E_NS1_11comp_targetILNS1_3genE0ELNS1_11target_archE4294967295ELNS1_3gpuE0ELNS1_3repE0EEENS1_30default_config_static_selectorELNS0_4arch9wavefront6targetE1EEEvT1_: ; @_ZN7rocprim17ROCPRIM_400000_NS6detail17trampoline_kernelINS0_14default_configENS1_29reduce_by_key_config_selectorIddN6thrust23THRUST_200600_302600_NS4plusIdEEEEZZNS1_33reduce_by_key_impl_wrapped_configILNS1_25lookback_scan_determinismE0ES3_S9_NS6_6detail15normal_iteratorINS6_10device_ptrIdEEEESG_SG_SG_PmS8_NS6_8equal_toIdEEEE10hipError_tPvRmT2_T3_mT4_T5_T6_T7_T8_P12ihipStream_tbENKUlT_T0_E_clISt17integral_constantIbLb0EES10_IbLb1EEEEDaSW_SX_EUlSW_E_NS1_11comp_targetILNS1_3genE0ELNS1_11target_archE4294967295ELNS1_3gpuE0ELNS1_3repE0EEENS1_30default_config_static_selectorELNS0_4arch9wavefront6targetE1EEEvT1_
; %bb.0:
	.section	.rodata,"a",@progbits
	.p2align	6, 0x0
	.amdhsa_kernel _ZN7rocprim17ROCPRIM_400000_NS6detail17trampoline_kernelINS0_14default_configENS1_29reduce_by_key_config_selectorIddN6thrust23THRUST_200600_302600_NS4plusIdEEEEZZNS1_33reduce_by_key_impl_wrapped_configILNS1_25lookback_scan_determinismE0ES3_S9_NS6_6detail15normal_iteratorINS6_10device_ptrIdEEEESG_SG_SG_PmS8_NS6_8equal_toIdEEEE10hipError_tPvRmT2_T3_mT4_T5_T6_T7_T8_P12ihipStream_tbENKUlT_T0_E_clISt17integral_constantIbLb0EES10_IbLb1EEEEDaSW_SX_EUlSW_E_NS1_11comp_targetILNS1_3genE0ELNS1_11target_archE4294967295ELNS1_3gpuE0ELNS1_3repE0EEENS1_30default_config_static_selectorELNS0_4arch9wavefront6targetE1EEEvT1_
		.amdhsa_group_segment_fixed_size 0
		.amdhsa_private_segment_fixed_size 0
		.amdhsa_kernarg_size 136
		.amdhsa_user_sgpr_count 6
		.amdhsa_user_sgpr_private_segment_buffer 1
		.amdhsa_user_sgpr_dispatch_ptr 0
		.amdhsa_user_sgpr_queue_ptr 0
		.amdhsa_user_sgpr_kernarg_segment_ptr 1
		.amdhsa_user_sgpr_dispatch_id 0
		.amdhsa_user_sgpr_flat_scratch_init 0
		.amdhsa_user_sgpr_kernarg_preload_length 0
		.amdhsa_user_sgpr_kernarg_preload_offset 0
		.amdhsa_user_sgpr_private_segment_size 0
		.amdhsa_uses_dynamic_stack 0
		.amdhsa_system_sgpr_private_segment_wavefront_offset 0
		.amdhsa_system_sgpr_workgroup_id_x 1
		.amdhsa_system_sgpr_workgroup_id_y 0
		.amdhsa_system_sgpr_workgroup_id_z 0
		.amdhsa_system_sgpr_workgroup_info 0
		.amdhsa_system_vgpr_workitem_id 0
		.amdhsa_next_free_vgpr 1
		.amdhsa_next_free_sgpr 0
		.amdhsa_accum_offset 4
		.amdhsa_reserve_vcc 0
		.amdhsa_reserve_flat_scratch 0
		.amdhsa_float_round_mode_32 0
		.amdhsa_float_round_mode_16_64 0
		.amdhsa_float_denorm_mode_32 3
		.amdhsa_float_denorm_mode_16_64 3
		.amdhsa_dx10_clamp 1
		.amdhsa_ieee_mode 1
		.amdhsa_fp16_overflow 0
		.amdhsa_tg_split 0
		.amdhsa_exception_fp_ieee_invalid_op 0
		.amdhsa_exception_fp_denorm_src 0
		.amdhsa_exception_fp_ieee_div_zero 0
		.amdhsa_exception_fp_ieee_overflow 0
		.amdhsa_exception_fp_ieee_underflow 0
		.amdhsa_exception_fp_ieee_inexact 0
		.amdhsa_exception_int_div_zero 0
	.end_amdhsa_kernel
	.section	.text._ZN7rocprim17ROCPRIM_400000_NS6detail17trampoline_kernelINS0_14default_configENS1_29reduce_by_key_config_selectorIddN6thrust23THRUST_200600_302600_NS4plusIdEEEEZZNS1_33reduce_by_key_impl_wrapped_configILNS1_25lookback_scan_determinismE0ES3_S9_NS6_6detail15normal_iteratorINS6_10device_ptrIdEEEESG_SG_SG_PmS8_NS6_8equal_toIdEEEE10hipError_tPvRmT2_T3_mT4_T5_T6_T7_T8_P12ihipStream_tbENKUlT_T0_E_clISt17integral_constantIbLb0EES10_IbLb1EEEEDaSW_SX_EUlSW_E_NS1_11comp_targetILNS1_3genE0ELNS1_11target_archE4294967295ELNS1_3gpuE0ELNS1_3repE0EEENS1_30default_config_static_selectorELNS0_4arch9wavefront6targetE1EEEvT1_,"axG",@progbits,_ZN7rocprim17ROCPRIM_400000_NS6detail17trampoline_kernelINS0_14default_configENS1_29reduce_by_key_config_selectorIddN6thrust23THRUST_200600_302600_NS4plusIdEEEEZZNS1_33reduce_by_key_impl_wrapped_configILNS1_25lookback_scan_determinismE0ES3_S9_NS6_6detail15normal_iteratorINS6_10device_ptrIdEEEESG_SG_SG_PmS8_NS6_8equal_toIdEEEE10hipError_tPvRmT2_T3_mT4_T5_T6_T7_T8_P12ihipStream_tbENKUlT_T0_E_clISt17integral_constantIbLb0EES10_IbLb1EEEEDaSW_SX_EUlSW_E_NS1_11comp_targetILNS1_3genE0ELNS1_11target_archE4294967295ELNS1_3gpuE0ELNS1_3repE0EEENS1_30default_config_static_selectorELNS0_4arch9wavefront6targetE1EEEvT1_,comdat
.Lfunc_end42:
	.size	_ZN7rocprim17ROCPRIM_400000_NS6detail17trampoline_kernelINS0_14default_configENS1_29reduce_by_key_config_selectorIddN6thrust23THRUST_200600_302600_NS4plusIdEEEEZZNS1_33reduce_by_key_impl_wrapped_configILNS1_25lookback_scan_determinismE0ES3_S9_NS6_6detail15normal_iteratorINS6_10device_ptrIdEEEESG_SG_SG_PmS8_NS6_8equal_toIdEEEE10hipError_tPvRmT2_T3_mT4_T5_T6_T7_T8_P12ihipStream_tbENKUlT_T0_E_clISt17integral_constantIbLb0EES10_IbLb1EEEEDaSW_SX_EUlSW_E_NS1_11comp_targetILNS1_3genE0ELNS1_11target_archE4294967295ELNS1_3gpuE0ELNS1_3repE0EEENS1_30default_config_static_selectorELNS0_4arch9wavefront6targetE1EEEvT1_, .Lfunc_end42-_ZN7rocprim17ROCPRIM_400000_NS6detail17trampoline_kernelINS0_14default_configENS1_29reduce_by_key_config_selectorIddN6thrust23THRUST_200600_302600_NS4plusIdEEEEZZNS1_33reduce_by_key_impl_wrapped_configILNS1_25lookback_scan_determinismE0ES3_S9_NS6_6detail15normal_iteratorINS6_10device_ptrIdEEEESG_SG_SG_PmS8_NS6_8equal_toIdEEEE10hipError_tPvRmT2_T3_mT4_T5_T6_T7_T8_P12ihipStream_tbENKUlT_T0_E_clISt17integral_constantIbLb0EES10_IbLb1EEEEDaSW_SX_EUlSW_E_NS1_11comp_targetILNS1_3genE0ELNS1_11target_archE4294967295ELNS1_3gpuE0ELNS1_3repE0EEENS1_30default_config_static_selectorELNS0_4arch9wavefront6targetE1EEEvT1_
                                        ; -- End function
	.section	.AMDGPU.csdata,"",@progbits
; Kernel info:
; codeLenInByte = 0
; NumSgprs: 4
; NumVgprs: 0
; NumAgprs: 0
; TotalNumVgprs: 0
; ScratchSize: 0
; MemoryBound: 0
; FloatMode: 240
; IeeeMode: 1
; LDSByteSize: 0 bytes/workgroup (compile time only)
; SGPRBlocks: 0
; VGPRBlocks: 0
; NumSGPRsForWavesPerEU: 4
; NumVGPRsForWavesPerEU: 1
; AccumOffset: 4
; Occupancy: 8
; WaveLimiterHint : 0
; COMPUTE_PGM_RSRC2:SCRATCH_EN: 0
; COMPUTE_PGM_RSRC2:USER_SGPR: 6
; COMPUTE_PGM_RSRC2:TRAP_HANDLER: 0
; COMPUTE_PGM_RSRC2:TGID_X_EN: 1
; COMPUTE_PGM_RSRC2:TGID_Y_EN: 0
; COMPUTE_PGM_RSRC2:TGID_Z_EN: 0
; COMPUTE_PGM_RSRC2:TIDIG_COMP_CNT: 0
; COMPUTE_PGM_RSRC3_GFX90A:ACCUM_OFFSET: 0
; COMPUTE_PGM_RSRC3_GFX90A:TG_SPLIT: 0
	.section	.text._ZN7rocprim17ROCPRIM_400000_NS6detail17trampoline_kernelINS0_14default_configENS1_29reduce_by_key_config_selectorIddN6thrust23THRUST_200600_302600_NS4plusIdEEEEZZNS1_33reduce_by_key_impl_wrapped_configILNS1_25lookback_scan_determinismE0ES3_S9_NS6_6detail15normal_iteratorINS6_10device_ptrIdEEEESG_SG_SG_PmS8_NS6_8equal_toIdEEEE10hipError_tPvRmT2_T3_mT4_T5_T6_T7_T8_P12ihipStream_tbENKUlT_T0_E_clISt17integral_constantIbLb0EES10_IbLb1EEEEDaSW_SX_EUlSW_E_NS1_11comp_targetILNS1_3genE5ELNS1_11target_archE942ELNS1_3gpuE9ELNS1_3repE0EEENS1_30default_config_static_selectorELNS0_4arch9wavefront6targetE1EEEvT1_,"axG",@progbits,_ZN7rocprim17ROCPRIM_400000_NS6detail17trampoline_kernelINS0_14default_configENS1_29reduce_by_key_config_selectorIddN6thrust23THRUST_200600_302600_NS4plusIdEEEEZZNS1_33reduce_by_key_impl_wrapped_configILNS1_25lookback_scan_determinismE0ES3_S9_NS6_6detail15normal_iteratorINS6_10device_ptrIdEEEESG_SG_SG_PmS8_NS6_8equal_toIdEEEE10hipError_tPvRmT2_T3_mT4_T5_T6_T7_T8_P12ihipStream_tbENKUlT_T0_E_clISt17integral_constantIbLb0EES10_IbLb1EEEEDaSW_SX_EUlSW_E_NS1_11comp_targetILNS1_3genE5ELNS1_11target_archE942ELNS1_3gpuE9ELNS1_3repE0EEENS1_30default_config_static_selectorELNS0_4arch9wavefront6targetE1EEEvT1_,comdat
	.protected	_ZN7rocprim17ROCPRIM_400000_NS6detail17trampoline_kernelINS0_14default_configENS1_29reduce_by_key_config_selectorIddN6thrust23THRUST_200600_302600_NS4plusIdEEEEZZNS1_33reduce_by_key_impl_wrapped_configILNS1_25lookback_scan_determinismE0ES3_S9_NS6_6detail15normal_iteratorINS6_10device_ptrIdEEEESG_SG_SG_PmS8_NS6_8equal_toIdEEEE10hipError_tPvRmT2_T3_mT4_T5_T6_T7_T8_P12ihipStream_tbENKUlT_T0_E_clISt17integral_constantIbLb0EES10_IbLb1EEEEDaSW_SX_EUlSW_E_NS1_11comp_targetILNS1_3genE5ELNS1_11target_archE942ELNS1_3gpuE9ELNS1_3repE0EEENS1_30default_config_static_selectorELNS0_4arch9wavefront6targetE1EEEvT1_ ; -- Begin function _ZN7rocprim17ROCPRIM_400000_NS6detail17trampoline_kernelINS0_14default_configENS1_29reduce_by_key_config_selectorIddN6thrust23THRUST_200600_302600_NS4plusIdEEEEZZNS1_33reduce_by_key_impl_wrapped_configILNS1_25lookback_scan_determinismE0ES3_S9_NS6_6detail15normal_iteratorINS6_10device_ptrIdEEEESG_SG_SG_PmS8_NS6_8equal_toIdEEEE10hipError_tPvRmT2_T3_mT4_T5_T6_T7_T8_P12ihipStream_tbENKUlT_T0_E_clISt17integral_constantIbLb0EES10_IbLb1EEEEDaSW_SX_EUlSW_E_NS1_11comp_targetILNS1_3genE5ELNS1_11target_archE942ELNS1_3gpuE9ELNS1_3repE0EEENS1_30default_config_static_selectorELNS0_4arch9wavefront6targetE1EEEvT1_
	.globl	_ZN7rocprim17ROCPRIM_400000_NS6detail17trampoline_kernelINS0_14default_configENS1_29reduce_by_key_config_selectorIddN6thrust23THRUST_200600_302600_NS4plusIdEEEEZZNS1_33reduce_by_key_impl_wrapped_configILNS1_25lookback_scan_determinismE0ES3_S9_NS6_6detail15normal_iteratorINS6_10device_ptrIdEEEESG_SG_SG_PmS8_NS6_8equal_toIdEEEE10hipError_tPvRmT2_T3_mT4_T5_T6_T7_T8_P12ihipStream_tbENKUlT_T0_E_clISt17integral_constantIbLb0EES10_IbLb1EEEEDaSW_SX_EUlSW_E_NS1_11comp_targetILNS1_3genE5ELNS1_11target_archE942ELNS1_3gpuE9ELNS1_3repE0EEENS1_30default_config_static_selectorELNS0_4arch9wavefront6targetE1EEEvT1_
	.p2align	8
	.type	_ZN7rocprim17ROCPRIM_400000_NS6detail17trampoline_kernelINS0_14default_configENS1_29reduce_by_key_config_selectorIddN6thrust23THRUST_200600_302600_NS4plusIdEEEEZZNS1_33reduce_by_key_impl_wrapped_configILNS1_25lookback_scan_determinismE0ES3_S9_NS6_6detail15normal_iteratorINS6_10device_ptrIdEEEESG_SG_SG_PmS8_NS6_8equal_toIdEEEE10hipError_tPvRmT2_T3_mT4_T5_T6_T7_T8_P12ihipStream_tbENKUlT_T0_E_clISt17integral_constantIbLb0EES10_IbLb1EEEEDaSW_SX_EUlSW_E_NS1_11comp_targetILNS1_3genE5ELNS1_11target_archE942ELNS1_3gpuE9ELNS1_3repE0EEENS1_30default_config_static_selectorELNS0_4arch9wavefront6targetE1EEEvT1_,@function
_ZN7rocprim17ROCPRIM_400000_NS6detail17trampoline_kernelINS0_14default_configENS1_29reduce_by_key_config_selectorIddN6thrust23THRUST_200600_302600_NS4plusIdEEEEZZNS1_33reduce_by_key_impl_wrapped_configILNS1_25lookback_scan_determinismE0ES3_S9_NS6_6detail15normal_iteratorINS6_10device_ptrIdEEEESG_SG_SG_PmS8_NS6_8equal_toIdEEEE10hipError_tPvRmT2_T3_mT4_T5_T6_T7_T8_P12ihipStream_tbENKUlT_T0_E_clISt17integral_constantIbLb0EES10_IbLb1EEEEDaSW_SX_EUlSW_E_NS1_11comp_targetILNS1_3genE5ELNS1_11target_archE942ELNS1_3gpuE9ELNS1_3repE0EEENS1_30default_config_static_selectorELNS0_4arch9wavefront6targetE1EEEvT1_: ; @_ZN7rocprim17ROCPRIM_400000_NS6detail17trampoline_kernelINS0_14default_configENS1_29reduce_by_key_config_selectorIddN6thrust23THRUST_200600_302600_NS4plusIdEEEEZZNS1_33reduce_by_key_impl_wrapped_configILNS1_25lookback_scan_determinismE0ES3_S9_NS6_6detail15normal_iteratorINS6_10device_ptrIdEEEESG_SG_SG_PmS8_NS6_8equal_toIdEEEE10hipError_tPvRmT2_T3_mT4_T5_T6_T7_T8_P12ihipStream_tbENKUlT_T0_E_clISt17integral_constantIbLb0EES10_IbLb1EEEEDaSW_SX_EUlSW_E_NS1_11comp_targetILNS1_3genE5ELNS1_11target_archE942ELNS1_3gpuE9ELNS1_3repE0EEENS1_30default_config_static_selectorELNS0_4arch9wavefront6targetE1EEEvT1_
; %bb.0:
	.section	.rodata,"a",@progbits
	.p2align	6, 0x0
	.amdhsa_kernel _ZN7rocprim17ROCPRIM_400000_NS6detail17trampoline_kernelINS0_14default_configENS1_29reduce_by_key_config_selectorIddN6thrust23THRUST_200600_302600_NS4plusIdEEEEZZNS1_33reduce_by_key_impl_wrapped_configILNS1_25lookback_scan_determinismE0ES3_S9_NS6_6detail15normal_iteratorINS6_10device_ptrIdEEEESG_SG_SG_PmS8_NS6_8equal_toIdEEEE10hipError_tPvRmT2_T3_mT4_T5_T6_T7_T8_P12ihipStream_tbENKUlT_T0_E_clISt17integral_constantIbLb0EES10_IbLb1EEEEDaSW_SX_EUlSW_E_NS1_11comp_targetILNS1_3genE5ELNS1_11target_archE942ELNS1_3gpuE9ELNS1_3repE0EEENS1_30default_config_static_selectorELNS0_4arch9wavefront6targetE1EEEvT1_
		.amdhsa_group_segment_fixed_size 0
		.amdhsa_private_segment_fixed_size 0
		.amdhsa_kernarg_size 136
		.amdhsa_user_sgpr_count 6
		.amdhsa_user_sgpr_private_segment_buffer 1
		.amdhsa_user_sgpr_dispatch_ptr 0
		.amdhsa_user_sgpr_queue_ptr 0
		.amdhsa_user_sgpr_kernarg_segment_ptr 1
		.amdhsa_user_sgpr_dispatch_id 0
		.amdhsa_user_sgpr_flat_scratch_init 0
		.amdhsa_user_sgpr_kernarg_preload_length 0
		.amdhsa_user_sgpr_kernarg_preload_offset 0
		.amdhsa_user_sgpr_private_segment_size 0
		.amdhsa_uses_dynamic_stack 0
		.amdhsa_system_sgpr_private_segment_wavefront_offset 0
		.amdhsa_system_sgpr_workgroup_id_x 1
		.amdhsa_system_sgpr_workgroup_id_y 0
		.amdhsa_system_sgpr_workgroup_id_z 0
		.amdhsa_system_sgpr_workgroup_info 0
		.amdhsa_system_vgpr_workitem_id 0
		.amdhsa_next_free_vgpr 1
		.amdhsa_next_free_sgpr 0
		.amdhsa_accum_offset 4
		.amdhsa_reserve_vcc 0
		.amdhsa_reserve_flat_scratch 0
		.amdhsa_float_round_mode_32 0
		.amdhsa_float_round_mode_16_64 0
		.amdhsa_float_denorm_mode_32 3
		.amdhsa_float_denorm_mode_16_64 3
		.amdhsa_dx10_clamp 1
		.amdhsa_ieee_mode 1
		.amdhsa_fp16_overflow 0
		.amdhsa_tg_split 0
		.amdhsa_exception_fp_ieee_invalid_op 0
		.amdhsa_exception_fp_denorm_src 0
		.amdhsa_exception_fp_ieee_div_zero 0
		.amdhsa_exception_fp_ieee_overflow 0
		.amdhsa_exception_fp_ieee_underflow 0
		.amdhsa_exception_fp_ieee_inexact 0
		.amdhsa_exception_int_div_zero 0
	.end_amdhsa_kernel
	.section	.text._ZN7rocprim17ROCPRIM_400000_NS6detail17trampoline_kernelINS0_14default_configENS1_29reduce_by_key_config_selectorIddN6thrust23THRUST_200600_302600_NS4plusIdEEEEZZNS1_33reduce_by_key_impl_wrapped_configILNS1_25lookback_scan_determinismE0ES3_S9_NS6_6detail15normal_iteratorINS6_10device_ptrIdEEEESG_SG_SG_PmS8_NS6_8equal_toIdEEEE10hipError_tPvRmT2_T3_mT4_T5_T6_T7_T8_P12ihipStream_tbENKUlT_T0_E_clISt17integral_constantIbLb0EES10_IbLb1EEEEDaSW_SX_EUlSW_E_NS1_11comp_targetILNS1_3genE5ELNS1_11target_archE942ELNS1_3gpuE9ELNS1_3repE0EEENS1_30default_config_static_selectorELNS0_4arch9wavefront6targetE1EEEvT1_,"axG",@progbits,_ZN7rocprim17ROCPRIM_400000_NS6detail17trampoline_kernelINS0_14default_configENS1_29reduce_by_key_config_selectorIddN6thrust23THRUST_200600_302600_NS4plusIdEEEEZZNS1_33reduce_by_key_impl_wrapped_configILNS1_25lookback_scan_determinismE0ES3_S9_NS6_6detail15normal_iteratorINS6_10device_ptrIdEEEESG_SG_SG_PmS8_NS6_8equal_toIdEEEE10hipError_tPvRmT2_T3_mT4_T5_T6_T7_T8_P12ihipStream_tbENKUlT_T0_E_clISt17integral_constantIbLb0EES10_IbLb1EEEEDaSW_SX_EUlSW_E_NS1_11comp_targetILNS1_3genE5ELNS1_11target_archE942ELNS1_3gpuE9ELNS1_3repE0EEENS1_30default_config_static_selectorELNS0_4arch9wavefront6targetE1EEEvT1_,comdat
.Lfunc_end43:
	.size	_ZN7rocprim17ROCPRIM_400000_NS6detail17trampoline_kernelINS0_14default_configENS1_29reduce_by_key_config_selectorIddN6thrust23THRUST_200600_302600_NS4plusIdEEEEZZNS1_33reduce_by_key_impl_wrapped_configILNS1_25lookback_scan_determinismE0ES3_S9_NS6_6detail15normal_iteratorINS6_10device_ptrIdEEEESG_SG_SG_PmS8_NS6_8equal_toIdEEEE10hipError_tPvRmT2_T3_mT4_T5_T6_T7_T8_P12ihipStream_tbENKUlT_T0_E_clISt17integral_constantIbLb0EES10_IbLb1EEEEDaSW_SX_EUlSW_E_NS1_11comp_targetILNS1_3genE5ELNS1_11target_archE942ELNS1_3gpuE9ELNS1_3repE0EEENS1_30default_config_static_selectorELNS0_4arch9wavefront6targetE1EEEvT1_, .Lfunc_end43-_ZN7rocprim17ROCPRIM_400000_NS6detail17trampoline_kernelINS0_14default_configENS1_29reduce_by_key_config_selectorIddN6thrust23THRUST_200600_302600_NS4plusIdEEEEZZNS1_33reduce_by_key_impl_wrapped_configILNS1_25lookback_scan_determinismE0ES3_S9_NS6_6detail15normal_iteratorINS6_10device_ptrIdEEEESG_SG_SG_PmS8_NS6_8equal_toIdEEEE10hipError_tPvRmT2_T3_mT4_T5_T6_T7_T8_P12ihipStream_tbENKUlT_T0_E_clISt17integral_constantIbLb0EES10_IbLb1EEEEDaSW_SX_EUlSW_E_NS1_11comp_targetILNS1_3genE5ELNS1_11target_archE942ELNS1_3gpuE9ELNS1_3repE0EEENS1_30default_config_static_selectorELNS0_4arch9wavefront6targetE1EEEvT1_
                                        ; -- End function
	.section	.AMDGPU.csdata,"",@progbits
; Kernel info:
; codeLenInByte = 0
; NumSgprs: 4
; NumVgprs: 0
; NumAgprs: 0
; TotalNumVgprs: 0
; ScratchSize: 0
; MemoryBound: 0
; FloatMode: 240
; IeeeMode: 1
; LDSByteSize: 0 bytes/workgroup (compile time only)
; SGPRBlocks: 0
; VGPRBlocks: 0
; NumSGPRsForWavesPerEU: 4
; NumVGPRsForWavesPerEU: 1
; AccumOffset: 4
; Occupancy: 8
; WaveLimiterHint : 0
; COMPUTE_PGM_RSRC2:SCRATCH_EN: 0
; COMPUTE_PGM_RSRC2:USER_SGPR: 6
; COMPUTE_PGM_RSRC2:TRAP_HANDLER: 0
; COMPUTE_PGM_RSRC2:TGID_X_EN: 1
; COMPUTE_PGM_RSRC2:TGID_Y_EN: 0
; COMPUTE_PGM_RSRC2:TGID_Z_EN: 0
; COMPUTE_PGM_RSRC2:TIDIG_COMP_CNT: 0
; COMPUTE_PGM_RSRC3_GFX90A:ACCUM_OFFSET: 0
; COMPUTE_PGM_RSRC3_GFX90A:TG_SPLIT: 0
	.section	.text._ZN7rocprim17ROCPRIM_400000_NS6detail17trampoline_kernelINS0_14default_configENS1_29reduce_by_key_config_selectorIddN6thrust23THRUST_200600_302600_NS4plusIdEEEEZZNS1_33reduce_by_key_impl_wrapped_configILNS1_25lookback_scan_determinismE0ES3_S9_NS6_6detail15normal_iteratorINS6_10device_ptrIdEEEESG_SG_SG_PmS8_NS6_8equal_toIdEEEE10hipError_tPvRmT2_T3_mT4_T5_T6_T7_T8_P12ihipStream_tbENKUlT_T0_E_clISt17integral_constantIbLb0EES10_IbLb1EEEEDaSW_SX_EUlSW_E_NS1_11comp_targetILNS1_3genE4ELNS1_11target_archE910ELNS1_3gpuE8ELNS1_3repE0EEENS1_30default_config_static_selectorELNS0_4arch9wavefront6targetE1EEEvT1_,"axG",@progbits,_ZN7rocprim17ROCPRIM_400000_NS6detail17trampoline_kernelINS0_14default_configENS1_29reduce_by_key_config_selectorIddN6thrust23THRUST_200600_302600_NS4plusIdEEEEZZNS1_33reduce_by_key_impl_wrapped_configILNS1_25lookback_scan_determinismE0ES3_S9_NS6_6detail15normal_iteratorINS6_10device_ptrIdEEEESG_SG_SG_PmS8_NS6_8equal_toIdEEEE10hipError_tPvRmT2_T3_mT4_T5_T6_T7_T8_P12ihipStream_tbENKUlT_T0_E_clISt17integral_constantIbLb0EES10_IbLb1EEEEDaSW_SX_EUlSW_E_NS1_11comp_targetILNS1_3genE4ELNS1_11target_archE910ELNS1_3gpuE8ELNS1_3repE0EEENS1_30default_config_static_selectorELNS0_4arch9wavefront6targetE1EEEvT1_,comdat
	.protected	_ZN7rocprim17ROCPRIM_400000_NS6detail17trampoline_kernelINS0_14default_configENS1_29reduce_by_key_config_selectorIddN6thrust23THRUST_200600_302600_NS4plusIdEEEEZZNS1_33reduce_by_key_impl_wrapped_configILNS1_25lookback_scan_determinismE0ES3_S9_NS6_6detail15normal_iteratorINS6_10device_ptrIdEEEESG_SG_SG_PmS8_NS6_8equal_toIdEEEE10hipError_tPvRmT2_T3_mT4_T5_T6_T7_T8_P12ihipStream_tbENKUlT_T0_E_clISt17integral_constantIbLb0EES10_IbLb1EEEEDaSW_SX_EUlSW_E_NS1_11comp_targetILNS1_3genE4ELNS1_11target_archE910ELNS1_3gpuE8ELNS1_3repE0EEENS1_30default_config_static_selectorELNS0_4arch9wavefront6targetE1EEEvT1_ ; -- Begin function _ZN7rocprim17ROCPRIM_400000_NS6detail17trampoline_kernelINS0_14default_configENS1_29reduce_by_key_config_selectorIddN6thrust23THRUST_200600_302600_NS4plusIdEEEEZZNS1_33reduce_by_key_impl_wrapped_configILNS1_25lookback_scan_determinismE0ES3_S9_NS6_6detail15normal_iteratorINS6_10device_ptrIdEEEESG_SG_SG_PmS8_NS6_8equal_toIdEEEE10hipError_tPvRmT2_T3_mT4_T5_T6_T7_T8_P12ihipStream_tbENKUlT_T0_E_clISt17integral_constantIbLb0EES10_IbLb1EEEEDaSW_SX_EUlSW_E_NS1_11comp_targetILNS1_3genE4ELNS1_11target_archE910ELNS1_3gpuE8ELNS1_3repE0EEENS1_30default_config_static_selectorELNS0_4arch9wavefront6targetE1EEEvT1_
	.globl	_ZN7rocprim17ROCPRIM_400000_NS6detail17trampoline_kernelINS0_14default_configENS1_29reduce_by_key_config_selectorIddN6thrust23THRUST_200600_302600_NS4plusIdEEEEZZNS1_33reduce_by_key_impl_wrapped_configILNS1_25lookback_scan_determinismE0ES3_S9_NS6_6detail15normal_iteratorINS6_10device_ptrIdEEEESG_SG_SG_PmS8_NS6_8equal_toIdEEEE10hipError_tPvRmT2_T3_mT4_T5_T6_T7_T8_P12ihipStream_tbENKUlT_T0_E_clISt17integral_constantIbLb0EES10_IbLb1EEEEDaSW_SX_EUlSW_E_NS1_11comp_targetILNS1_3genE4ELNS1_11target_archE910ELNS1_3gpuE8ELNS1_3repE0EEENS1_30default_config_static_selectorELNS0_4arch9wavefront6targetE1EEEvT1_
	.p2align	8
	.type	_ZN7rocprim17ROCPRIM_400000_NS6detail17trampoline_kernelINS0_14default_configENS1_29reduce_by_key_config_selectorIddN6thrust23THRUST_200600_302600_NS4plusIdEEEEZZNS1_33reduce_by_key_impl_wrapped_configILNS1_25lookback_scan_determinismE0ES3_S9_NS6_6detail15normal_iteratorINS6_10device_ptrIdEEEESG_SG_SG_PmS8_NS6_8equal_toIdEEEE10hipError_tPvRmT2_T3_mT4_T5_T6_T7_T8_P12ihipStream_tbENKUlT_T0_E_clISt17integral_constantIbLb0EES10_IbLb1EEEEDaSW_SX_EUlSW_E_NS1_11comp_targetILNS1_3genE4ELNS1_11target_archE910ELNS1_3gpuE8ELNS1_3repE0EEENS1_30default_config_static_selectorELNS0_4arch9wavefront6targetE1EEEvT1_,@function
_ZN7rocprim17ROCPRIM_400000_NS6detail17trampoline_kernelINS0_14default_configENS1_29reduce_by_key_config_selectorIddN6thrust23THRUST_200600_302600_NS4plusIdEEEEZZNS1_33reduce_by_key_impl_wrapped_configILNS1_25lookback_scan_determinismE0ES3_S9_NS6_6detail15normal_iteratorINS6_10device_ptrIdEEEESG_SG_SG_PmS8_NS6_8equal_toIdEEEE10hipError_tPvRmT2_T3_mT4_T5_T6_T7_T8_P12ihipStream_tbENKUlT_T0_E_clISt17integral_constantIbLb0EES10_IbLb1EEEEDaSW_SX_EUlSW_E_NS1_11comp_targetILNS1_3genE4ELNS1_11target_archE910ELNS1_3gpuE8ELNS1_3repE0EEENS1_30default_config_static_selectorELNS0_4arch9wavefront6targetE1EEEvT1_: ; @_ZN7rocprim17ROCPRIM_400000_NS6detail17trampoline_kernelINS0_14default_configENS1_29reduce_by_key_config_selectorIddN6thrust23THRUST_200600_302600_NS4plusIdEEEEZZNS1_33reduce_by_key_impl_wrapped_configILNS1_25lookback_scan_determinismE0ES3_S9_NS6_6detail15normal_iteratorINS6_10device_ptrIdEEEESG_SG_SG_PmS8_NS6_8equal_toIdEEEE10hipError_tPvRmT2_T3_mT4_T5_T6_T7_T8_P12ihipStream_tbENKUlT_T0_E_clISt17integral_constantIbLb0EES10_IbLb1EEEEDaSW_SX_EUlSW_E_NS1_11comp_targetILNS1_3genE4ELNS1_11target_archE910ELNS1_3gpuE8ELNS1_3repE0EEENS1_30default_config_static_selectorELNS0_4arch9wavefront6targetE1EEEvT1_
; %bb.0:
	s_load_dwordx8 s[52:59], s[4:5], 0x0
	s_load_dwordx4 s[60:63], s[4:5], 0x20
	s_load_dwordx2 s[64:65], s[4:5], 0x78
	v_cmp_ne_u32_e64 s[2:3], 0, v0
	v_cmp_eq_u32_e64 s[0:1], 0, v0
	s_and_saveexec_b64 s[6:7], s[0:1]
	s_cbranch_execz .LBB44_4
; %bb.1:
	s_mov_b64 s[10:11], exec
	v_mbcnt_lo_u32_b32 v1, s10, 0
	v_mbcnt_hi_u32_b32 v1, s11, v1
	v_cmp_eq_u32_e32 vcc, 0, v1
                                        ; implicit-def: $vgpr2
	s_and_saveexec_b64 s[8:9], vcc
	s_cbranch_execz .LBB44_3
; %bb.2:
	s_load_dwordx2 s[12:13], s[4:5], 0x80
	s_bcnt1_i32_b64 s10, s[10:11]
	v_mov_b32_e32 v2, 0
	v_mov_b32_e32 v3, s10
	s_waitcnt lgkmcnt(0)
	global_atomic_add v2, v2, v3, s[12:13] glc
.LBB44_3:
	s_or_b64 exec, exec, s[8:9]
	s_waitcnt vmcnt(0)
	v_readfirstlane_b32 s8, v2
	v_add_u32_e32 v1, s8, v1
	v_mov_b32_e32 v2, 0
	ds_write_b32 v2, v1
.LBB44_4:
	s_or_b64 exec, exec, s[6:7]
	s_load_dwordx16 s[36:51], s[4:5], 0x38
	v_mov_b32_e32 v3, 0
	s_waitcnt lgkmcnt(0)
	s_lshl_b64 s[4:5], s[54:55], 3
	s_barrier
	ds_read_b32 v1, v3
	s_add_u32 s6, s52, s4
	s_addc_u32 s7, s53, s5
	s_add_u32 s4, s56, s4
	s_mul_i32 s8, s44, s43
	s_mul_hi_u32 s9, s44, s42
	s_addc_u32 s5, s57, s5
	s_add_i32 s8, s9, s8
	s_mul_i32 s9, s45, s42
	s_add_i32 s8, s8, s9
	s_mul_i32 s9, s44, s42
	s_waitcnt lgkmcnt(0)
	v_readfirstlane_b32 s56, v1
	s_movk_i32 s10, 0xf00
	v_mul_lo_u32 v2, v1, s10
	s_add_u32 s52, s9, s56
	v_lshlrev_b64 v[2:3], 3, v[2:3]
	s_addc_u32 s53, s8, 0
	v_mov_b32_e32 v1, s7
	v_add_co_u32_e32 v79, vcc, s6, v2
	s_add_u32 s6, s46, -1
	v_addc_co_u32_e32 v81, vcc, v1, v3, vcc
	s_addc_u32 s7, s47, -1
	v_mov_b32_e32 v4, s5
	v_add_co_u32_e32 v1, vcc, s4, v2
	s_cmp_eq_u64 s[52:53], s[6:7]
	v_addc_co_u32_e32 v76, vcc, v4, v3, vcc
	s_cselect_b64 s[44:45], -1, 0
	s_cmp_lg_u64 s[52:53], s[6:7]
	s_mov_b64 s[4:5], -1
	s_cselect_b64 s[54:55], -1, 0
	s_mul_i32 s33, s6, 0xfffff100
	s_and_b64 vcc, exec, s[44:45]
	s_barrier
	s_cbranch_vccnz .LBB44_6
; %bb.5:
	v_lshlrev_b32_e32 v78, 3, v0
	v_add_co_u32_e32 v2, vcc, v79, v78
	v_addc_co_u32_e32 v3, vcc, 0, v81, vcc
	v_add_co_u32_e32 v4, vcc, 0x1000, v2
	v_addc_co_u32_e32 v5, vcc, 0, v3, vcc
	flat_load_dwordx2 v[6:7], v[2:3]
	flat_load_dwordx2 v[8:9], v[2:3] offset:2048
	flat_load_dwordx2 v[10:11], v[4:5]
	flat_load_dwordx2 v[12:13], v[4:5] offset:2048
	v_add_co_u32_e32 v4, vcc, 0x2000, v2
	v_addc_co_u32_e32 v5, vcc, 0, v3, vcc
	v_add_co_u32_e32 v14, vcc, 0x3000, v2
	v_addc_co_u32_e32 v15, vcc, 0, v3, vcc
	flat_load_dwordx2 v[16:17], v[4:5]
	flat_load_dwordx2 v[18:19], v[4:5] offset:2048
	flat_load_dwordx2 v[20:21], v[14:15]
	flat_load_dwordx2 v[22:23], v[14:15] offset:2048
	;; [unrolled: 8-line block ×3, first 2 shown]
	v_add_co_u32_e32 v4, vcc, 0x6000, v2
	v_addc_co_u32_e32 v5, vcc, 0, v3, vcc
	v_add_co_u32_e32 v2, vcc, 0x7000, v2
	v_addc_co_u32_e32 v3, vcc, 0, v3, vcc
	flat_load_dwordx2 v[14:15], v[4:5]
	flat_load_dwordx2 v[32:33], v[4:5] offset:2048
	flat_load_dwordx2 v[34:35], v[2:3]
	v_add_co_u32_e32 v36, vcc, v1, v78
	s_movk_i32 s4, 0x1000
	v_addc_co_u32_e32 v37, vcc, 0, v76, vcc
	s_movk_i32 s11, 0x70
	s_movk_i32 s5, 0x2000
	v_mad_u32_u24 v77, v0, s11, v78
	s_movk_i32 s6, 0x3000
	s_movk_i32 s7, 0x4000
	;; [unrolled: 1-line block ×5, first 2 shown]
	s_waitcnt vmcnt(0) lgkmcnt(0)
	ds_write2st64_b64 v78, v[6:7], v[8:9] offset1:4
	ds_write2st64_b64 v78, v[10:11], v[12:13] offset0:8 offset1:12
	ds_write2st64_b64 v78, v[16:17], v[18:19] offset0:16 offset1:20
	;; [unrolled: 1-line block ×6, first 2 shown]
	ds_write_b64 v78, v[34:35] offset:28672
	v_add_co_u32_e32 v30, vcc, s4, v36
	v_addc_co_u32_e32 v31, vcc, 0, v37, vcc
	s_waitcnt lgkmcnt(0)
	s_barrier
	ds_read2_b64 v[26:29], v77 offset1:1
	ds_read2_b64 v[22:25], v77 offset0:2 offset1:3
	ds_read2_b64 v[18:21], v77 offset0:4 offset1:5
	;; [unrolled: 1-line block ×6, first 2 shown]
	ds_read_b64 v[74:75], v77 offset:112
	s_waitcnt lgkmcnt(0)
	s_barrier
	flat_load_dwordx2 v[32:33], v[36:37]
	flat_load_dwordx2 v[34:35], v[36:37] offset:2048
	flat_load_dwordx2 v[38:39], v[30:31]
	flat_load_dwordx2 v[40:41], v[30:31] offset:2048
	v_add_co_u32_e32 v30, vcc, s5, v36
	v_addc_co_u32_e32 v31, vcc, 0, v37, vcc
	v_add_co_u32_e32 v42, vcc, s6, v36
	v_addc_co_u32_e32 v43, vcc, 0, v37, vcc
	flat_load_dwordx2 v[44:45], v[30:31]
	flat_load_dwordx2 v[46:47], v[30:31] offset:2048
	flat_load_dwordx2 v[48:49], v[42:43]
	flat_load_dwordx2 v[50:51], v[42:43] offset:2048
	v_add_co_u32_e32 v30, vcc, s7, v36
	v_addc_co_u32_e32 v31, vcc, 0, v37, vcc
	v_add_co_u32_e32 v42, vcc, s8, v36
	v_addc_co_u32_e32 v43, vcc, 0, v37, vcc
	;; [unrolled: 8-line block ×3, first 2 shown]
	flat_load_dwordx2 v[42:43], v[30:31]
	flat_load_dwordx2 v[82:83], v[30:31] offset:2048
	flat_load_dwordx2 v[84:85], v[36:37]
	v_mov_b32_e32 v58, v26
	v_mov_b32_e32 v59, v27
	;; [unrolled: 1-line block ×14, first 2 shown]
	s_waitcnt vmcnt(0) lgkmcnt(0)
	ds_write2st64_b64 v78, v[32:33], v[34:35] offset1:4
	ds_write2st64_b64 v78, v[38:39], v[40:41] offset0:8 offset1:12
	ds_write2st64_b64 v78, v[44:45], v[46:47] offset0:16 offset1:20
	;; [unrolled: 1-line block ×6, first 2 shown]
	ds_write_b64 v78, v[84:85] offset:28672
	s_waitcnt lgkmcnt(0)
	s_barrier
	s_add_i32 s33, s33, s48
	s_cbranch_execz .LBB44_7
	s_branch .LBB44_54
.LBB44_6:
                                        ; implicit-def: $vgpr74_vgpr75
                                        ; implicit-def: $vgpr2_vgpr3
                                        ; implicit-def: $vgpr6_vgpr7
                                        ; implicit-def: $vgpr10_vgpr11
                                        ; implicit-def: $vgpr14_vgpr15
                                        ; implicit-def: $vgpr18_vgpr19
                                        ; implicit-def: $vgpr22_vgpr23
                                        ; implicit-def: $vgpr26_vgpr27
                                        ; implicit-def: $vgpr77
                                        ; implicit-def: $vgpr66_vgpr67_vgpr68_vgpr69
                                        ; implicit-def: $vgpr62_vgpr63_vgpr64_vgpr65
                                        ; implicit-def: $vgpr58_vgpr59_vgpr60_vgpr61
                                        ; implicit-def: $vgpr70_vgpr71_vgpr72_vgpr73
	s_andn2_b64 vcc, exec, s[4:5]
	s_add_i32 s33, s33, s48
	s_cbranch_vccnz .LBB44_54
.LBB44_7:
	v_cmp_gt_u32_e32 vcc, s33, v0
                                        ; implicit-def: $vgpr2_vgpr3
	s_and_saveexec_b64 s[6:7], vcc
	s_cbranch_execz .LBB44_9
; %bb.8:
	v_lshlrev_b32_e32 v2, 3, v0
	v_add_co_u32_e64 v2, s[4:5], v79, v2
	v_addc_co_u32_e64 v3, s[4:5], 0, v81, s[4:5]
	flat_load_dwordx2 v[2:3], v[2:3]
.LBB44_9:
	s_or_b64 exec, exec, s[6:7]
	v_or_b32_e32 v4, 0x100, v0
	v_cmp_gt_u32_e64 s[4:5], s33, v4
                                        ; implicit-def: $vgpr4_vgpr5
	s_and_saveexec_b64 s[8:9], s[4:5]
	s_cbranch_execz .LBB44_11
; %bb.10:
	v_lshlrev_b32_e32 v4, 3, v0
	v_add_co_u32_e64 v4, s[6:7], v79, v4
	v_addc_co_u32_e64 v5, s[6:7], 0, v81, s[6:7]
	flat_load_dwordx2 v[4:5], v[4:5] offset:2048
.LBB44_11:
	s_or_b64 exec, exec, s[8:9]
	v_or_b32_e32 v6, 0x200, v0
	v_cmp_gt_u32_e64 s[6:7], s33, v6
	v_lshlrev_b32_e32 v36, 3, v6
                                        ; implicit-def: $vgpr6_vgpr7
	s_and_saveexec_b64 s[10:11], s[6:7]
	s_cbranch_execz .LBB44_13
; %bb.12:
	v_add_co_u32_e64 v6, s[8:9], v79, v36
	v_addc_co_u32_e64 v7, s[8:9], 0, v81, s[8:9]
	flat_load_dwordx2 v[6:7], v[6:7]
.LBB44_13:
	s_or_b64 exec, exec, s[10:11]
	v_or_b32_e32 v8, 0x300, v0
	v_cmp_gt_u32_e64 s[8:9], s33, v8
	v_lshlrev_b32_e32 v38, 3, v8
                                        ; implicit-def: $vgpr8_vgpr9
	s_and_saveexec_b64 s[12:13], s[8:9]
	s_cbranch_execz .LBB44_15
; %bb.14:
	v_add_co_u32_e64 v8, s[10:11], v79, v38
	v_addc_co_u32_e64 v9, s[10:11], 0, v81, s[10:11]
	flat_load_dwordx2 v[8:9], v[8:9]
.LBB44_15:
	s_or_b64 exec, exec, s[12:13]
	v_or_b32_e32 v10, 0x400, v0
	v_cmp_gt_u32_e64 s[10:11], s33, v10
	v_lshlrev_b32_e32 v40, 3, v10
                                        ; implicit-def: $vgpr10_vgpr11
	s_and_saveexec_b64 s[14:15], s[10:11]
	s_cbranch_execz .LBB44_17
; %bb.16:
	v_add_co_u32_e64 v10, s[12:13], v79, v40
	v_addc_co_u32_e64 v11, s[12:13], 0, v81, s[12:13]
	flat_load_dwordx2 v[10:11], v[10:11]
.LBB44_17:
	s_or_b64 exec, exec, s[14:15]
	v_or_b32_e32 v12, 0x500, v0
	v_cmp_gt_u32_e64 s[12:13], s33, v12
	v_lshlrev_b32_e32 v42, 3, v12
                                        ; implicit-def: $vgpr12_vgpr13
	s_and_saveexec_b64 s[16:17], s[12:13]
	s_cbranch_execz .LBB44_19
; %bb.18:
	v_add_co_u32_e64 v12, s[14:15], v79, v42
	v_addc_co_u32_e64 v13, s[14:15], 0, v81, s[14:15]
	flat_load_dwordx2 v[12:13], v[12:13]
.LBB44_19:
	s_or_b64 exec, exec, s[16:17]
	v_or_b32_e32 v14, 0x600, v0
	v_cmp_gt_u32_e64 s[14:15], s33, v14
	v_lshlrev_b32_e32 v44, 3, v14
                                        ; implicit-def: $vgpr14_vgpr15
	s_and_saveexec_b64 s[18:19], s[14:15]
	s_cbranch_execz .LBB44_21
; %bb.20:
	v_add_co_u32_e64 v14, s[16:17], v79, v44
	v_addc_co_u32_e64 v15, s[16:17], 0, v81, s[16:17]
	flat_load_dwordx2 v[14:15], v[14:15]
.LBB44_21:
	s_or_b64 exec, exec, s[18:19]
	v_or_b32_e32 v16, 0x700, v0
	v_cmp_gt_u32_e64 s[16:17], s33, v16
	v_lshlrev_b32_e32 v46, 3, v16
                                        ; implicit-def: $vgpr16_vgpr17
	s_and_saveexec_b64 s[20:21], s[16:17]
	s_cbranch_execz .LBB44_23
; %bb.22:
	v_add_co_u32_e64 v16, s[18:19], v79, v46
	v_addc_co_u32_e64 v17, s[18:19], 0, v81, s[18:19]
	flat_load_dwordx2 v[16:17], v[16:17]
.LBB44_23:
	s_or_b64 exec, exec, s[20:21]
	v_or_b32_e32 v18, 0x800, v0
	v_cmp_gt_u32_e64 s[18:19], s33, v18
	v_lshlrev_b32_e32 v48, 3, v18
                                        ; implicit-def: $vgpr18_vgpr19
	s_and_saveexec_b64 s[22:23], s[18:19]
	s_cbranch_execz .LBB44_25
; %bb.24:
	v_add_co_u32_e64 v18, s[20:21], v79, v48
	v_addc_co_u32_e64 v19, s[20:21], 0, v81, s[20:21]
	flat_load_dwordx2 v[18:19], v[18:19]
.LBB44_25:
	s_or_b64 exec, exec, s[22:23]
	v_or_b32_e32 v20, 0x900, v0
	v_cmp_gt_u32_e64 s[20:21], s33, v20
	v_lshlrev_b32_e32 v50, 3, v20
                                        ; implicit-def: $vgpr20_vgpr21
	s_and_saveexec_b64 s[24:25], s[20:21]
	s_cbranch_execz .LBB44_27
; %bb.26:
	v_add_co_u32_e64 v20, s[22:23], v79, v50
	v_addc_co_u32_e64 v21, s[22:23], 0, v81, s[22:23]
	flat_load_dwordx2 v[20:21], v[20:21]
.LBB44_27:
	s_or_b64 exec, exec, s[24:25]
	v_or_b32_e32 v22, 0xa00, v0
	v_cmp_gt_u32_e64 s[22:23], s33, v22
	v_lshlrev_b32_e32 v52, 3, v22
                                        ; implicit-def: $vgpr22_vgpr23
	s_and_saveexec_b64 s[26:27], s[22:23]
	s_cbranch_execz .LBB44_29
; %bb.28:
	v_add_co_u32_e64 v22, s[24:25], v79, v52
	v_addc_co_u32_e64 v23, s[24:25], 0, v81, s[24:25]
	flat_load_dwordx2 v[22:23], v[22:23]
.LBB44_29:
	s_or_b64 exec, exec, s[26:27]
	v_or_b32_e32 v24, 0xb00, v0
	v_cmp_gt_u32_e64 s[24:25], s33, v24
	v_lshlrev_b32_e32 v54, 3, v24
                                        ; implicit-def: $vgpr24_vgpr25
	s_and_saveexec_b64 s[28:29], s[24:25]
	s_cbranch_execz .LBB44_31
; %bb.30:
	v_add_co_u32_e64 v24, s[26:27], v79, v54
	v_addc_co_u32_e64 v25, s[26:27], 0, v81, s[26:27]
	flat_load_dwordx2 v[24:25], v[24:25]
.LBB44_31:
	s_or_b64 exec, exec, s[28:29]
	v_or_b32_e32 v26, 0xc00, v0
	v_cmp_gt_u32_e64 s[26:27], s33, v26
	v_lshlrev_b32_e32 v56, 3, v26
                                        ; implicit-def: $vgpr26_vgpr27
	s_and_saveexec_b64 s[30:31], s[26:27]
	s_cbranch_execz .LBB44_33
; %bb.32:
	v_add_co_u32_e64 v26, s[28:29], v79, v56
	v_addc_co_u32_e64 v27, s[28:29], 0, v81, s[28:29]
	flat_load_dwordx2 v[26:27], v[26:27]
.LBB44_33:
	s_or_b64 exec, exec, s[30:31]
	v_or_b32_e32 v28, 0xd00, v0
	v_cmp_gt_u32_e64 s[28:29], s33, v28
	v_lshlrev_b32_e32 v58, 3, v28
                                        ; implicit-def: $vgpr28_vgpr29
	s_and_saveexec_b64 s[34:35], s[28:29]
	s_cbranch_execz .LBB44_35
; %bb.34:
	v_add_co_u32_e64 v28, s[30:31], v79, v58
	v_addc_co_u32_e64 v29, s[30:31], 0, v81, s[30:31]
	flat_load_dwordx2 v[28:29], v[28:29]
.LBB44_35:
	s_or_b64 exec, exec, s[34:35]
	v_or_b32_e32 v30, 0xe00, v0
	v_cmp_gt_u32_e64 s[30:31], s33, v30
	v_lshlrev_b32_e32 v61, 3, v30
                                        ; implicit-def: $vgpr30_vgpr31
	s_and_saveexec_b64 s[46:47], s[30:31]
	s_cbranch_execz .LBB44_37
; %bb.36:
	v_add_co_u32_e64 v30, s[34:35], v79, v61
	v_addc_co_u32_e64 v31, s[34:35], 0, v81, s[34:35]
	flat_load_dwordx2 v[30:31], v[30:31]
.LBB44_37:
	s_or_b64 exec, exec, s[46:47]
	v_lshlrev_b32_e32 v60, 3, v0
	s_movk_i32 s34, 0x70
	v_mad_u32_u24 v77, v0, s34, v60
	s_waitcnt vmcnt(0) lgkmcnt(0)
	ds_write2st64_b64 v60, v[2:3], v[4:5] offset1:4
	ds_write2st64_b64 v60, v[6:7], v[8:9] offset0:8 offset1:12
	ds_write2st64_b64 v60, v[10:11], v[12:13] offset0:16 offset1:20
	;; [unrolled: 1-line block ×6, first 2 shown]
	ds_write_b64 v60, v[30:31] offset:28672
	s_waitcnt lgkmcnt(0)
	s_barrier
	ds_read2_b64 v[26:29], v77 offset1:1
	ds_read2_b64 v[22:25], v77 offset0:2 offset1:3
	ds_read2_b64 v[18:21], v77 offset0:4 offset1:5
	;; [unrolled: 1-line block ×6, first 2 shown]
	ds_read_b64 v[74:75], v77 offset:112
	s_waitcnt lgkmcnt(0)
	s_barrier
	s_waitcnt lgkmcnt(0)
                                        ; implicit-def: $vgpr30_vgpr31
	s_and_saveexec_b64 s[34:35], vcc
	s_cbranch_execnz .LBB44_61
; %bb.38:
	s_or_b64 exec, exec, s[34:35]
                                        ; implicit-def: $vgpr32_vgpr33
	s_and_saveexec_b64 s[34:35], s[4:5]
	s_cbranch_execnz .LBB44_62
.LBB44_39:
	s_or_b64 exec, exec, s[34:35]
                                        ; implicit-def: $vgpr34_vgpr35
	s_and_saveexec_b64 s[4:5], s[6:7]
	s_cbranch_execnz .LBB44_63
.LBB44_40:
	s_or_b64 exec, exec, s[4:5]
                                        ; implicit-def: $vgpr36_vgpr37
	s_and_saveexec_b64 s[4:5], s[8:9]
	s_cbranch_execnz .LBB44_64
.LBB44_41:
	s_or_b64 exec, exec, s[4:5]
                                        ; implicit-def: $vgpr38_vgpr39
	s_and_saveexec_b64 s[4:5], s[10:11]
	s_cbranch_execnz .LBB44_65
.LBB44_42:
	s_or_b64 exec, exec, s[4:5]
                                        ; implicit-def: $vgpr40_vgpr41
	s_and_saveexec_b64 s[4:5], s[12:13]
	s_cbranch_execnz .LBB44_66
.LBB44_43:
	s_or_b64 exec, exec, s[4:5]
                                        ; implicit-def: $vgpr42_vgpr43
	s_and_saveexec_b64 s[4:5], s[14:15]
	s_cbranch_execnz .LBB44_67
.LBB44_44:
	s_or_b64 exec, exec, s[4:5]
                                        ; implicit-def: $vgpr44_vgpr45
	s_and_saveexec_b64 s[4:5], s[16:17]
	s_cbranch_execnz .LBB44_68
.LBB44_45:
	s_or_b64 exec, exec, s[4:5]
                                        ; implicit-def: $vgpr46_vgpr47
	s_and_saveexec_b64 s[4:5], s[18:19]
	s_cbranch_execnz .LBB44_69
.LBB44_46:
	s_or_b64 exec, exec, s[4:5]
                                        ; implicit-def: $vgpr48_vgpr49
	s_and_saveexec_b64 s[4:5], s[20:21]
	s_cbranch_execnz .LBB44_70
.LBB44_47:
	s_or_b64 exec, exec, s[4:5]
                                        ; implicit-def: $vgpr50_vgpr51
	s_and_saveexec_b64 s[4:5], s[22:23]
	s_cbranch_execnz .LBB44_71
.LBB44_48:
	s_or_b64 exec, exec, s[4:5]
                                        ; implicit-def: $vgpr52_vgpr53
	s_and_saveexec_b64 s[4:5], s[24:25]
	s_cbranch_execnz .LBB44_72
.LBB44_49:
	s_or_b64 exec, exec, s[4:5]
                                        ; implicit-def: $vgpr54_vgpr55
	s_and_saveexec_b64 s[4:5], s[26:27]
	s_cbranch_execnz .LBB44_73
.LBB44_50:
	s_or_b64 exec, exec, s[4:5]
                                        ; implicit-def: $vgpr56_vgpr57
	s_and_saveexec_b64 s[4:5], s[28:29]
	s_cbranch_execnz .LBB44_74
.LBB44_51:
	s_or_b64 exec, exec, s[4:5]
                                        ; implicit-def: $vgpr58_vgpr59
	s_and_saveexec_b64 s[4:5], s[30:31]
	s_cbranch_execz .LBB44_53
.LBB44_52:
	v_add_co_u32_e32 v58, vcc, v1, v61
	v_addc_co_u32_e32 v59, vcc, 0, v76, vcc
	flat_load_dwordx2 v[58:59], v[58:59]
.LBB44_53:
	s_or_b64 exec, exec, s[4:5]
	s_waitcnt vmcnt(0) lgkmcnt(0)
	ds_write2st64_b64 v60, v[30:31], v[32:33] offset1:4
	ds_write2st64_b64 v60, v[34:35], v[36:37] offset0:8 offset1:12
	ds_write2st64_b64 v60, v[38:39], v[40:41] offset0:16 offset1:20
	ds_write2st64_b64 v60, v[42:43], v[44:45] offset0:24 offset1:28
	ds_write2st64_b64 v60, v[46:47], v[48:49] offset0:32 offset1:36
	ds_write2st64_b64 v60, v[50:51], v[52:53] offset0:40 offset1:44
	ds_write2st64_b64 v60, v[54:55], v[56:57] offset0:48 offset1:52
	ds_write_b64 v60, v[58:59] offset:28672
	v_mov_b32_e32 v58, v26
	v_mov_b32_e32 v59, v27
	;; [unrolled: 1-line block ×14, first 2 shown]
	s_waitcnt lgkmcnt(0)
	s_barrier
.LBB44_54:
	ds_read2_b64 v[54:57], v77 offset1:1
	ds_read2_b64 v[50:53], v77 offset0:2 offset1:3
	ds_read2_b64 v[46:49], v77 offset0:4 offset1:5
	;; [unrolled: 1-line block ×6, first 2 shown]
	ds_read_b64 v[72:73], v77 offset:112
	s_cmp_eq_u64 s[52:53], 0
	s_cselect_b64 s[46:47], -1, 0
	s_cmp_lg_u64 s[52:53], 0
	s_mov_b64 s[34:35], 0
	s_cselect_b64 s[30:31], -1, 0
	s_and_b64 vcc, exec, s[54:55]
	s_waitcnt lgkmcnt(0)
	s_barrier
	s_cbranch_vccz .LBB44_60
; %bb.55:
	s_and_b64 vcc, exec, s[30:31]
	s_cbranch_vccz .LBB44_75
; %bb.56:
	v_add_co_u32_e32 v76, vcc, -8, v79
	v_addc_co_u32_e32 v77, vcc, -1, v81, vcc
	flat_load_dwordx2 v[76:77], v[76:77]
	v_lshlrev_b32_e32 v1, 3, v0
	v_cmp_neq_f64_e32 vcc, v[4:5], v[74:75]
	v_cmp_neq_f64_e64 s[4:5], v[2:3], v[4:5]
	v_cmp_neq_f64_e64 s[6:7], v[8:9], v[2:3]
	;; [unrolled: 1-line block ×13, first 2 shown]
	ds_write_b64 v1, v[74:75]
	s_waitcnt lgkmcnt(0)
	s_barrier
	s_and_saveexec_b64 s[34:35], s[2:3]
	s_cbranch_execz .LBB44_58
; %bb.57:
	v_add_u32_e32 v1, -8, v1
	s_waitcnt vmcnt(0)
	ds_read_b64 v[76:77], v1
.LBB44_58:
	s_or_b64 exec, exec, s[34:35]
	v_cndmask_b32_e64 v1, 0, 1, vcc
	v_cndmask_b32_e64 v100, 0, 1, s[4:5]
	v_cndmask_b32_e64 v101, 0, 1, s[6:7]
	;; [unrolled: 1-line block ×13, first 2 shown]
	s_waitcnt vmcnt(0) lgkmcnt(0)
	v_cmp_neq_f64_e64 s[4:5], v[76:77], v[26:27]
	s_mov_b64 s[34:35], -1
.LBB44_59:
                                        ; implicit-def: $sgpr8
	s_branch .LBB44_87
.LBB44_60:
                                        ; implicit-def: $sgpr4_sgpr5
                                        ; implicit-def: $vgpr1
                                        ; implicit-def: $vgpr100
                                        ; implicit-def: $vgpr101
                                        ; implicit-def: $vgpr102
                                        ; implicit-def: $vgpr103
                                        ; implicit-def: $vgpr104
                                        ; implicit-def: $vgpr105
                                        ; implicit-def: $vgpr106
                                        ; implicit-def: $vgpr107
                                        ; implicit-def: $vgpr108
                                        ; implicit-def: $vgpr109
                                        ; implicit-def: $vgpr110
                                        ; implicit-def: $vgpr111
                                        ; implicit-def: $vgpr112
                                        ; implicit-def: $sgpr8
	s_cbranch_execnz .LBB44_79
	s_branch .LBB44_87
.LBB44_61:
	v_add_co_u32_e32 v30, vcc, v1, v60
	v_addc_co_u32_e32 v31, vcc, 0, v76, vcc
	flat_load_dwordx2 v[30:31], v[30:31]
	s_or_b64 exec, exec, s[34:35]
                                        ; implicit-def: $vgpr32_vgpr33
	s_and_saveexec_b64 s[34:35], s[4:5]
	s_cbranch_execz .LBB44_39
.LBB44_62:
	v_add_co_u32_e32 v32, vcc, v1, v60
	v_addc_co_u32_e32 v33, vcc, 0, v76, vcc
	flat_load_dwordx2 v[32:33], v[32:33] offset:2048
	s_or_b64 exec, exec, s[34:35]
                                        ; implicit-def: $vgpr34_vgpr35
	s_and_saveexec_b64 s[4:5], s[6:7]
	s_cbranch_execz .LBB44_40
.LBB44_63:
	v_add_co_u32_e32 v34, vcc, v1, v36
	v_addc_co_u32_e32 v35, vcc, 0, v76, vcc
	flat_load_dwordx2 v[34:35], v[34:35]
	s_or_b64 exec, exec, s[4:5]
                                        ; implicit-def: $vgpr36_vgpr37
	s_and_saveexec_b64 s[4:5], s[8:9]
	s_cbranch_execz .LBB44_41
.LBB44_64:
	v_add_co_u32_e32 v36, vcc, v1, v38
	v_addc_co_u32_e32 v37, vcc, 0, v76, vcc
	flat_load_dwordx2 v[36:37], v[36:37]
	s_or_b64 exec, exec, s[4:5]
                                        ; implicit-def: $vgpr38_vgpr39
	s_and_saveexec_b64 s[4:5], s[10:11]
	s_cbranch_execz .LBB44_42
.LBB44_65:
	v_add_co_u32_e32 v38, vcc, v1, v40
	v_addc_co_u32_e32 v39, vcc, 0, v76, vcc
	flat_load_dwordx2 v[38:39], v[38:39]
	s_or_b64 exec, exec, s[4:5]
                                        ; implicit-def: $vgpr40_vgpr41
	s_and_saveexec_b64 s[4:5], s[12:13]
	s_cbranch_execz .LBB44_43
.LBB44_66:
	v_add_co_u32_e32 v40, vcc, v1, v42
	v_addc_co_u32_e32 v41, vcc, 0, v76, vcc
	flat_load_dwordx2 v[40:41], v[40:41]
	s_or_b64 exec, exec, s[4:5]
                                        ; implicit-def: $vgpr42_vgpr43
	s_and_saveexec_b64 s[4:5], s[14:15]
	s_cbranch_execz .LBB44_44
.LBB44_67:
	v_add_co_u32_e32 v42, vcc, v1, v44
	v_addc_co_u32_e32 v43, vcc, 0, v76, vcc
	flat_load_dwordx2 v[42:43], v[42:43]
	s_or_b64 exec, exec, s[4:5]
                                        ; implicit-def: $vgpr44_vgpr45
	s_and_saveexec_b64 s[4:5], s[16:17]
	s_cbranch_execz .LBB44_45
.LBB44_68:
	v_add_co_u32_e32 v44, vcc, v1, v46
	v_addc_co_u32_e32 v45, vcc, 0, v76, vcc
	flat_load_dwordx2 v[44:45], v[44:45]
	s_or_b64 exec, exec, s[4:5]
                                        ; implicit-def: $vgpr46_vgpr47
	s_and_saveexec_b64 s[4:5], s[18:19]
	s_cbranch_execz .LBB44_46
.LBB44_69:
	v_add_co_u32_e32 v46, vcc, v1, v48
	v_addc_co_u32_e32 v47, vcc, 0, v76, vcc
	flat_load_dwordx2 v[46:47], v[46:47]
	s_or_b64 exec, exec, s[4:5]
                                        ; implicit-def: $vgpr48_vgpr49
	s_and_saveexec_b64 s[4:5], s[20:21]
	s_cbranch_execz .LBB44_47
.LBB44_70:
	v_add_co_u32_e32 v48, vcc, v1, v50
	v_addc_co_u32_e32 v49, vcc, 0, v76, vcc
	flat_load_dwordx2 v[48:49], v[48:49]
	s_or_b64 exec, exec, s[4:5]
                                        ; implicit-def: $vgpr50_vgpr51
	s_and_saveexec_b64 s[4:5], s[22:23]
	s_cbranch_execz .LBB44_48
.LBB44_71:
	v_add_co_u32_e32 v50, vcc, v1, v52
	v_addc_co_u32_e32 v51, vcc, 0, v76, vcc
	flat_load_dwordx2 v[50:51], v[50:51]
	s_or_b64 exec, exec, s[4:5]
                                        ; implicit-def: $vgpr52_vgpr53
	s_and_saveexec_b64 s[4:5], s[24:25]
	s_cbranch_execz .LBB44_49
.LBB44_72:
	v_add_co_u32_e32 v52, vcc, v1, v54
	v_addc_co_u32_e32 v53, vcc, 0, v76, vcc
	flat_load_dwordx2 v[52:53], v[52:53]
	s_or_b64 exec, exec, s[4:5]
                                        ; implicit-def: $vgpr54_vgpr55
	s_and_saveexec_b64 s[4:5], s[26:27]
	s_cbranch_execz .LBB44_50
.LBB44_73:
	v_add_co_u32_e32 v54, vcc, v1, v56
	v_addc_co_u32_e32 v55, vcc, 0, v76, vcc
	flat_load_dwordx2 v[54:55], v[54:55]
	s_or_b64 exec, exec, s[4:5]
                                        ; implicit-def: $vgpr56_vgpr57
	s_and_saveexec_b64 s[4:5], s[28:29]
	s_cbranch_execz .LBB44_51
.LBB44_74:
	v_add_co_u32_e32 v56, vcc, v1, v58
	v_addc_co_u32_e32 v57, vcc, 0, v76, vcc
	flat_load_dwordx2 v[56:57], v[56:57]
	s_or_b64 exec, exec, s[4:5]
                                        ; implicit-def: $vgpr58_vgpr59
	s_and_saveexec_b64 s[4:5], s[30:31]
	s_cbranch_execnz .LBB44_52
	s_branch .LBB44_53
.LBB44_75:
                                        ; implicit-def: $sgpr4_sgpr5
                                        ; implicit-def: $vgpr1
                                        ; implicit-def: $vgpr100
                                        ; implicit-def: $vgpr101
                                        ; implicit-def: $vgpr102
                                        ; implicit-def: $vgpr103
                                        ; implicit-def: $vgpr104
                                        ; implicit-def: $vgpr105
                                        ; implicit-def: $vgpr106
                                        ; implicit-def: $vgpr107
                                        ; implicit-def: $vgpr108
                                        ; implicit-def: $vgpr109
                                        ; implicit-def: $vgpr110
                                        ; implicit-def: $vgpr111
                                        ; implicit-def: $vgpr112
	s_cbranch_execz .LBB44_59
; %bb.76:
	v_cmp_neq_f64_e32 vcc, v[28:29], v[58:59]
	v_cndmask_b32_e64 v112, 0, 1, vcc
	v_cmp_neq_f64_e32 vcc, v[28:29], v[60:61]
	v_cndmask_b32_e64 v111, 0, 1, vcc
	;; [unrolled: 2-line block ×13, first 2 shown]
	v_cmp_neq_f64_e32 vcc, v[4:5], v[74:75]
	v_lshlrev_b32_e32 v76, 3, v0
	v_cndmask_b32_e64 v1, 0, 1, vcc
	ds_write_b64 v76, v[74:75]
	s_waitcnt lgkmcnt(0)
	s_barrier
	s_waitcnt lgkmcnt(0)
                                        ; implicit-def: $sgpr4_sgpr5
	s_and_saveexec_b64 s[6:7], s[2:3]
	s_xor_b64 s[6:7], exec, s[6:7]
	s_cbranch_execz .LBB44_78
; %bb.77:
	v_add_u32_e32 v58, -8, v76
	ds_read_b64 v[58:59], v58
	s_or_b64 s[34:35], s[34:35], exec
	s_waitcnt lgkmcnt(0)
	v_cmp_neq_f64_e32 vcc, v[58:59], v[26:27]
	s_and_b64 s[4:5], vcc, exec
.LBB44_78:
	s_or_b64 exec, exec, s[6:7]
	s_mov_b32 s8, 1
	s_branch .LBB44_87
.LBB44_79:
	s_mul_hi_u32 s5, s52, 0xfffff100
	s_mul_i32 s4, s53, 0xfffff100
	s_sub_i32 s5, s5, s52
	s_add_i32 s5, s5, s4
	s_mul_i32 s4, s52, 0xfffff100
	s_add_u32 s48, s4, s48
	s_addc_u32 s49, s5, s49
	s_and_b64 vcc, exec, s[30:31]
	v_cmp_neq_f64_e64 s[30:31], v[4:5], v[74:75]
	v_cmp_neq_f64_e64 s[28:29], v[2:3], v[4:5]
	;; [unrolled: 1-line block ×14, first 2 shown]
	v_mad_u32_u24 v58, v0, 15, 14
	v_mad_u32_u24 v88, v0, 15, 13
	;; [unrolled: 1-line block ×14, first 2 shown]
	s_cbranch_vccz .LBB44_84
; %bb.80:
	v_add_co_u32_e32 v90, vcc, -8, v79
	v_addc_co_u32_e32 v91, vcc, -1, v81, vcc
	flat_load_dwordx2 v[90:91], v[90:91]
	v_mov_b32_e32 v59, 0
	v_cmp_gt_u64_e32 vcc, s[48:49], v[58:59]
	v_mov_b32_e32 v89, v59
	s_and_b64 s[30:31], vcc, s[30:31]
	v_cmp_gt_u64_e32 vcc, s[48:49], v[88:89]
	v_mov_b32_e32 v87, v59
	s_and_b64 s[28:29], vcc, s[28:29]
	;; [unrolled: 3-line block ×13, first 2 shown]
	v_cmp_gt_u64_e32 vcc, s[48:49], v[60:61]
	v_lshlrev_b32_e32 v1, 3, v0
	v_mul_u32_u24_e32 v92, 15, v0
	s_and_b64 s[4:5], vcc, s[4:5]
	ds_write_b64 v1, v[74:75]
	s_waitcnt lgkmcnt(0)
	s_barrier
	s_and_saveexec_b64 s[34:35], s[2:3]
	s_cbranch_execz .LBB44_82
; %bb.81:
	v_add_u32_e32 v1, -8, v1
	s_waitcnt vmcnt(0)
	ds_read_b64 v[90:91], v1
.LBB44_82:
	s_or_b64 exec, exec, s[34:35]
	v_mov_b32_e32 v93, v59
	v_cndmask_b32_e64 v112, 0, 1, s[4:5]
	v_cmp_gt_u64_e32 vcc, s[48:49], v[92:93]
	s_waitcnt vmcnt(0) lgkmcnt(0)
	v_cmp_neq_f64_e64 s[4:5], v[90:91], v[26:27]
	v_cndmask_b32_e64 v1, 0, 1, s[30:31]
	v_cndmask_b32_e64 v100, 0, 1, s[28:29]
	;; [unrolled: 1-line block ×13, first 2 shown]
	s_and_b64 s[4:5], vcc, s[4:5]
	s_mov_b64 s[34:35], -1
.LBB44_83:
                                        ; implicit-def: $sgpr8
	v_mov_b32_e32 v113, s8
	s_and_saveexec_b64 s[2:3], s[34:35]
	s_cbranch_execnz .LBB44_88
	s_branch .LBB44_89
.LBB44_84:
                                        ; implicit-def: $sgpr4_sgpr5
                                        ; implicit-def: $vgpr1
                                        ; implicit-def: $vgpr100
                                        ; implicit-def: $vgpr101
                                        ; implicit-def: $vgpr102
                                        ; implicit-def: $vgpr103
                                        ; implicit-def: $vgpr104
                                        ; implicit-def: $vgpr105
                                        ; implicit-def: $vgpr106
                                        ; implicit-def: $vgpr107
                                        ; implicit-def: $vgpr108
                                        ; implicit-def: $vgpr109
                                        ; implicit-def: $vgpr110
                                        ; implicit-def: $vgpr111
                                        ; implicit-def: $vgpr112
	s_cbranch_execz .LBB44_83
; %bb.85:
	v_mov_b32_e32 v59, 0
	v_cmp_gt_u64_e32 vcc, s[48:49], v[58:59]
	v_cmp_neq_f64_e64 s[4:5], v[4:5], v[74:75]
	s_and_b64 s[4:5], vcc, s[4:5]
	v_mov_b32_e32 v89, v59
	v_cndmask_b32_e64 v1, 0, 1, s[4:5]
	v_cmp_gt_u64_e32 vcc, s[48:49], v[88:89]
	v_cmp_neq_f64_e64 s[4:5], v[2:3], v[4:5]
	s_and_b64 s[4:5], vcc, s[4:5]
	v_mov_b32_e32 v87, v59
	v_cndmask_b32_e64 v100, 0, 1, s[4:5]
	;; [unrolled: 5-line block ×13, first 2 shown]
	v_cmp_gt_u64_e32 vcc, s[48:49], v[60:61]
	v_cmp_neq_f64_e64 s[4:5], v[26:27], v[28:29]
	s_and_b64 s[4:5], vcc, s[4:5]
	v_lshlrev_b32_e32 v90, 3, v0
	s_mov_b32 s8, 1
	v_cndmask_b32_e64 v112, 0, 1, s[4:5]
	ds_write_b64 v90, v[74:75]
	s_waitcnt lgkmcnt(0)
	s_barrier
	s_waitcnt lgkmcnt(0)
                                        ; implicit-def: $sgpr4_sgpr5
	s_and_saveexec_b64 s[6:7], s[2:3]
	s_cbranch_execz .LBB44_224
; %bb.86:
	v_add_u32_e32 v58, -8, v90
	ds_read_b64 v[60:61], v58
	v_mul_u32_u24_e32 v58, 15, v0
	v_cmp_gt_u64_e32 vcc, s[48:49], v[58:59]
	s_or_b64 s[34:35], s[34:35], exec
	s_waitcnt lgkmcnt(0)
	v_cmp_neq_f64_e64 s[2:3], v[60:61], v[26:27]
	s_and_b64 s[2:3], vcc, s[2:3]
	s_and_b64 s[4:5], s[2:3], exec
	s_or_b64 exec, exec, s[6:7]
.LBB44_87:
	v_mov_b32_e32 v113, s8
	s_and_saveexec_b64 s[2:3], s[34:35]
.LBB44_88:
	v_cndmask_b32_e64 v113, 0, 1, s[4:5]
.LBB44_89:
	s_or_b64 exec, exec, s[2:3]
	s_cmp_eq_u64 s[42:43], 0
	v_add3_u32 v58, v112, v113, v111
	s_cselect_b64 s[30:31], -1, 0
	s_cmp_lg_u32 s56, 0
	v_add_f64 v[98:99], v[54:55], v[56:57]
	v_cmp_eq_u32_e64 s[26:27], 0, v112
	v_cmp_eq_u32_e64 s[24:25], 0, v111
	;; [unrolled: 1-line block ×3, first 2 shown]
	v_add3_u32 v115, v58, v110, v109
	v_cmp_eq_u32_e64 s[20:21], 0, v109
	v_cmp_eq_u32_e64 s[18:19], 0, v108
	;; [unrolled: 1-line block ×10, first 2 shown]
	v_cmp_eq_u32_e32 vcc, 0, v1
	v_mbcnt_lo_u32_b32 v114, -1, 0
	s_cbranch_scc0 .LBB44_156
; %bb.90:
	v_cndmask_b32_e64 v59, v57, v99, s[26:27]
	v_cndmask_b32_e64 v58, v56, v98, s[26:27]
	v_add_f64 v[58:59], v[50:51], v[58:59]
	v_cndmask_b32_e64 v59, v51, v59, s[24:25]
	v_cndmask_b32_e64 v58, v50, v58, s[24:25]
	v_add_f64 v[58:59], v[52:53], v[58:59]
	;; [unrolled: 3-line block ×11, first 2 shown]
	v_add3_u32 v60, v115, v108, v107
	v_cndmask_b32_e64 v59, v31, v59, s[4:5]
	v_cndmask_b32_e64 v58, v30, v58, s[4:5]
	v_add3_u32 v60, v60, v106, v105
	v_add_f64 v[58:59], v[32:33], v[58:59]
	v_add3_u32 v60, v60, v104, v103
	v_cndmask_b32_e64 v59, v33, v59, s[2:3]
	v_cndmask_b32_e64 v58, v32, v58, s[2:3]
	v_add3_u32 v60, v60, v102, v101
	v_add_f64 v[58:59], v[72:73], v[58:59]
	v_mbcnt_hi_u32_b32 v70, -1, v114
	v_add3_u32 v64, v60, v100, v1
	v_cndmask_b32_e32 v61, v73, v59, vcc
	v_cndmask_b32_e32 v60, v72, v58, vcc
	v_and_b32_e32 v62, 15, v70
	v_mov_b32_dpp v63, v64 row_shr:1 row_mask:0xf bank_mask:0xf
	v_mov_b32_dpp v58, v60 row_shr:1 row_mask:0xf bank_mask:0xf
	;; [unrolled: 1-line block ×3, first 2 shown]
	v_cmp_ne_u32_e32 vcc, 0, v62
	s_and_saveexec_b64 s[28:29], vcc
; %bb.91:
	v_add_u32_e32 v63, v63, v64
	v_add_f64 v[58:59], v[60:61], v[58:59]
	v_cmp_eq_u32_e32 vcc, 0, v64
	v_cndmask_b32_e32 v61, v61, v59, vcc
	v_cndmask_b32_e32 v60, v60, v58, vcc
	v_mov_b32_e32 v64, v63
; %bb.92:
	s_or_b64 exec, exec, s[28:29]
	s_nop 0
	v_mov_b32_dpp v63, v64 row_shr:2 row_mask:0xf bank_mask:0xf
	v_mov_b32_dpp v58, v60 row_shr:2 row_mask:0xf bank_mask:0xf
	v_mov_b32_dpp v59, v61 row_shr:2 row_mask:0xf bank_mask:0xf
	v_cmp_lt_u32_e32 vcc, 1, v62
	s_and_saveexec_b64 s[28:29], vcc
; %bb.93:
	v_add_u32_e32 v63, v63, v64
	v_add_f64 v[58:59], v[60:61], v[58:59]
	v_cmp_eq_u32_e32 vcc, 0, v64
	v_cndmask_b32_e32 v61, v61, v59, vcc
	v_cndmask_b32_e32 v60, v60, v58, vcc
	v_mov_b32_e32 v64, v63
; %bb.94:
	s_or_b64 exec, exec, s[28:29]
	s_nop 0
	v_mov_b32_dpp v63, v64 row_shr:4 row_mask:0xf bank_mask:0xf
	v_mov_b32_dpp v58, v60 row_shr:4 row_mask:0xf bank_mask:0xf
	v_mov_b32_dpp v59, v61 row_shr:4 row_mask:0xf bank_mask:0xf
	v_cmp_lt_u32_e32 vcc, 3, v62
	;; [unrolled: 15-line block ×3, first 2 shown]
	s_and_saveexec_b64 s[28:29], vcc
; %bb.97:
	v_add_u32_e32 v62, v63, v64
	v_add_f64 v[58:59], v[60:61], v[58:59]
	v_cmp_eq_u32_e32 vcc, 0, v64
	v_cndmask_b32_e32 v61, v61, v59, vcc
	v_cndmask_b32_e32 v60, v60, v58, vcc
	v_mov_b32_e32 v64, v62
; %bb.98:
	s_or_b64 exec, exec, s[28:29]
	v_and_b32_e32 v63, 16, v70
	v_mov_b32_dpp v62, v64 row_bcast:15 row_mask:0xf bank_mask:0xf
	v_mov_b32_dpp v58, v60 row_bcast:15 row_mask:0xf bank_mask:0xf
	;; [unrolled: 1-line block ×3, first 2 shown]
	v_cmp_ne_u32_e32 vcc, 0, v63
	s_and_saveexec_b64 s[28:29], vcc
; %bb.99:
	v_add_u32_e32 v62, v62, v64
	v_add_f64 v[58:59], v[60:61], v[58:59]
	v_cmp_eq_u32_e32 vcc, 0, v64
	v_cndmask_b32_e32 v61, v61, v59, vcc
	v_cndmask_b32_e32 v60, v60, v58, vcc
	v_mov_b32_e32 v64, v62
; %bb.100:
	s_or_b64 exec, exec, s[28:29]
	s_nop 0
	v_mov_b32_dpp v62, v64 row_bcast:31 row_mask:0xf bank_mask:0xf
	v_mov_b32_dpp v58, v60 row_bcast:31 row_mask:0xf bank_mask:0xf
	;; [unrolled: 1-line block ×3, first 2 shown]
	v_cmp_lt_u32_e32 vcc, 31, v70
	s_and_saveexec_b64 s[28:29], vcc
; %bb.101:
	v_add_u32_e32 v62, v62, v64
	v_add_f64 v[58:59], v[60:61], v[58:59]
	v_cmp_eq_u32_e32 vcc, 0, v64
	v_cndmask_b32_e32 v61, v61, v59, vcc
	v_cndmask_b32_e32 v60, v60, v58, vcc
	v_mov_b32_e32 v64, v62
; %bb.102:
	s_or_b64 exec, exec, s[28:29]
	v_lshrrev_b32_e32 v58, 6, v0
	v_or_b32_e32 v59, 63, v0
	v_cmp_eq_u32_e32 vcc, v59, v0
	v_lshlrev_b32_e32 v65, 4, v58
	s_and_saveexec_b64 s[28:29], vcc
	s_cbranch_execz .LBB44_104
; %bb.103:
	ds_write_b32 v65, v64 offset:4128
	ds_write_b64 v65, v[60:61] offset:4136
.LBB44_104:
	s_or_b64 exec, exec, s[28:29]
	v_cmp_gt_u32_e32 vcc, 4, v0
	s_waitcnt lgkmcnt(0)
	s_barrier
	s_and_saveexec_b64 s[28:29], vcc
	s_cbranch_execz .LBB44_110
; %bb.105:
	v_lshlrev_b32_e32 v66, 4, v0
	ds_read_b32 v67, v66 offset:4128
	ds_read_b64 v[58:59], v66 offset:4136
	v_and_b32_e32 v68, 3, v70
	v_cmp_ne_u32_e32 vcc, 0, v68
	s_waitcnt lgkmcnt(1)
	v_mov_b32_dpp v69, v67 row_shr:1 row_mask:0xf bank_mask:0xf
	s_waitcnt lgkmcnt(0)
	v_mov_b32_dpp v62, v58 row_shr:1 row_mask:0xf bank_mask:0xf
	v_mov_b32_dpp v63, v59 row_shr:1 row_mask:0xf bank_mask:0xf
	s_and_saveexec_b64 s[34:35], vcc
; %bb.106:
	v_add_u32_e32 v69, v69, v67
	v_add_f64 v[62:63], v[58:59], v[62:63]
	v_cmp_eq_u32_e32 vcc, 0, v67
	v_cndmask_b32_e32 v59, v59, v63, vcc
	v_cndmask_b32_e32 v58, v58, v62, vcc
	v_mov_b32_e32 v67, v69
; %bb.107:
	s_or_b64 exec, exec, s[34:35]
	s_nop 0
	v_mov_b32_dpp v69, v67 row_shr:2 row_mask:0xf bank_mask:0xf
	v_mov_b32_dpp v62, v58 row_shr:2 row_mask:0xf bank_mask:0xf
	v_mov_b32_dpp v63, v59 row_shr:2 row_mask:0xf bank_mask:0xf
	v_cmp_lt_u32_e32 vcc, 1, v68
	s_and_saveexec_b64 s[34:35], vcc
; %bb.108:
	v_add_u32_e32 v68, v69, v67
	v_add_f64 v[62:63], v[58:59], v[62:63]
	v_cmp_eq_u32_e32 vcc, 0, v67
	v_cndmask_b32_e32 v59, v59, v63, vcc
	v_cndmask_b32_e32 v58, v58, v62, vcc
	v_mov_b32_e32 v67, v68
; %bb.109:
	s_or_b64 exec, exec, s[34:35]
	ds_write_b32 v66, v67 offset:4128
	ds_write_b64 v66, v[58:59] offset:4136
.LBB44_110:
	s_or_b64 exec, exec, s[28:29]
	v_cmp_gt_u32_e32 vcc, 64, v0
	v_cmp_lt_u32_e64 s[28:29], 63, v0
	v_pk_mov_b32 v[58:59], 0, 0
	v_mov_b32_e32 v76, 0
	s_waitcnt lgkmcnt(0)
	s_barrier
	s_and_saveexec_b64 s[34:35], s[28:29]
	s_cbranch_execz .LBB44_112
; %bb.111:
	ds_read_b32 v76, v65 offset:4112
	ds_read_b64 v[58:59], v65 offset:4120
	v_cmp_eq_u32_e64 s[28:29], 0, v64
	s_waitcnt lgkmcnt(1)
	v_add_u32_e32 v65, v76, v64
	s_waitcnt lgkmcnt(0)
	v_add_f64 v[62:63], v[60:61], v[58:59]
	v_cndmask_b32_e64 v61, v61, v63, s[28:29]
	v_cndmask_b32_e64 v60, v60, v62, s[28:29]
	v_mov_b32_e32 v64, v65
.LBB44_112:
	s_or_b64 exec, exec, s[34:35]
	v_add_u32_e32 v62, -1, v70
	v_and_b32_e32 v63, 64, v70
	v_cmp_lt_i32_e64 s[28:29], v62, v63
	v_cndmask_b32_e64 v62, v62, v70, s[28:29]
	v_lshlrev_b32_e32 v62, 2, v62
	ds_bpermute_b32 v77, v62, v64
	ds_bpermute_b32 v78, v62, v60
	;; [unrolled: 1-line block ×3, first 2 shown]
	v_cmp_eq_u32_e64 s[28:29], 0, v70
	s_and_saveexec_b64 s[34:35], vcc
	s_cbranch_execz .LBB44_155
; %bb.113:
	v_mov_b32_e32 v65, 0
	ds_read_b32 v80, v65 offset:4176
	ds_read_b64 v[60:61], v65 offset:4184
	s_and_saveexec_b64 s[42:43], s[28:29]
	s_cbranch_execz .LBB44_115
; %bb.114:
	s_add_i32 s48, s56, 64
	s_mov_b32 s49, 0
	s_lshl_b64 s[52:53], s[48:49], 4
	s_add_u32 s52, s36, s52
	s_addc_u32 s53, s37, s53
	v_mov_b32_e32 v62, s48
	v_mov_b32_e32 v63, 1
	s_waitcnt lgkmcnt(1)
	global_store_dword v65, v80, s[52:53]
	s_waitcnt lgkmcnt(0)
	global_store_dwordx2 v65, v[60:61], s[52:53] offset:8
	s_waitcnt vmcnt(0)
	buffer_wbinvl1_vol
	global_store_byte v62, v63, s[40:41]
.LBB44_115:
	s_or_b64 exec, exec, s[42:43]
	v_xad_u32 v62, v70, -1, s56
	v_add_u32_e32 v64, 64, v62
	global_load_ubyte v81, v64, s[40:41] glc
	s_waitcnt vmcnt(0)
	v_cmp_eq_u16_e32 vcc, 0, v81
	s_and_saveexec_b64 s[42:43], vcc
	s_cbranch_execz .LBB44_119
; %bb.116:
	v_mov_b32_e32 v63, s41
	v_add_co_u32_e32 v66, vcc, s40, v64
	v_addc_co_u32_e32 v67, vcc, 0, v63, vcc
	s_mov_b64 s[48:49], 0
.LBB44_117:                             ; =>This Inner Loop Header: Depth=1
	global_load_ubyte v81, v[66:67], off glc
	s_waitcnt vmcnt(0)
	v_cmp_ne_u16_e32 vcc, 0, v81
	s_or_b64 s[48:49], vcc, s[48:49]
	s_andn2_b64 exec, exec, s[48:49]
	s_cbranch_execnz .LBB44_117
; %bb.118:
	s_or_b64 exec, exec, s[48:49]
.LBB44_119:
	s_or_b64 exec, exec, s[42:43]
	v_mov_b32_e32 v63, s39
	v_mov_b32_e32 v66, s37
	v_cmp_eq_u16_e32 vcc, 1, v81
	v_cndmask_b32_e32 v63, v63, v66, vcc
	v_mov_b32_e32 v66, s38
	v_mov_b32_e32 v67, s36
	v_cndmask_b32_e32 v66, v66, v67, vcc
	v_lshlrev_b64 v[64:65], 4, v[64:65]
	v_add_co_u32_e32 v64, vcc, v66, v64
	v_addc_co_u32_e32 v65, vcc, v63, v65, vcc
	s_waitcnt lgkmcnt(0)
	buffer_wbinvl1_vol
	global_load_dword v71, v[64:65], off
	global_load_dwordx2 v[68:69], v[64:65], off offset:8
	v_cmp_eq_u16_e32 vcc, 2, v81
	v_lshlrev_b64 v[64:65], v70, -1
	v_and_b32_e32 v82, 63, v70
	v_and_b32_e32 v63, vcc_hi, v65
	v_and_b32_e32 v85, vcc_lo, v64
	v_cmp_ne_u32_e32 vcc, 63, v82
	v_addc_co_u32_e32 v66, vcc, 0, v70, vcc
	v_lshlrev_b32_e32 v83, 2, v66
	v_or_b32_e32 v63, 0x80000000, v63
	v_ffbl_b32_e32 v63, v63
	v_add_u32_e32 v63, 32, v63
	v_ffbl_b32_e32 v85, v85
	v_min_u32_e32 v63, v85, v63
	v_cmp_lt_u32_e32 vcc, v82, v63
	s_waitcnt vmcnt(1)
	ds_bpermute_b32 v84, v83, v71
	s_waitcnt vmcnt(0)
	ds_bpermute_b32 v66, v83, v68
	ds_bpermute_b32 v67, v83, v69
	s_and_saveexec_b64 s[42:43], vcc
	s_cbranch_execz .LBB44_121
; %bb.120:
	s_waitcnt lgkmcnt(2)
	v_add_u32_e32 v84, v84, v71
	s_waitcnt lgkmcnt(0)
	v_add_f64 v[66:67], v[68:69], v[66:67]
	v_cmp_eq_u32_e32 vcc, 0, v71
	v_cndmask_b32_e32 v69, v69, v67, vcc
	v_cndmask_b32_e32 v68, v68, v66, vcc
	v_mov_b32_e32 v71, v84
.LBB44_121:
	s_or_b64 exec, exec, s[42:43]
	v_cmp_gt_u32_e32 vcc, 62, v82
	s_waitcnt lgkmcnt(1)
	v_cndmask_b32_e64 v66, 0, 1, vcc
	v_lshlrev_b32_e32 v66, 1, v66
	v_add_lshl_u32 v84, v66, v70, 2
	ds_bpermute_b32 v86, v84, v71
	ds_bpermute_b32 v66, v84, v68
	s_waitcnt lgkmcnt(2)
	ds_bpermute_b32 v67, v84, v69
	v_add_u32_e32 v85, 2, v82
	v_cmp_le_u32_e32 vcc, v85, v63
	s_and_saveexec_b64 s[42:43], vcc
	s_cbranch_execz .LBB44_123
; %bb.122:
	s_waitcnt lgkmcnt(2)
	v_add_u32_e32 v86, v86, v71
	s_waitcnt lgkmcnt(0)
	v_add_f64 v[66:67], v[68:69], v[66:67]
	v_cmp_eq_u32_e32 vcc, 0, v71
	v_cndmask_b32_e32 v69, v69, v67, vcc
	v_cndmask_b32_e32 v68, v68, v66, vcc
	v_mov_b32_e32 v71, v86
.LBB44_123:
	s_or_b64 exec, exec, s[42:43]
	v_cmp_gt_u32_e32 vcc, 60, v82
	s_waitcnt lgkmcnt(1)
	v_cndmask_b32_e64 v66, 0, 1, vcc
	v_lshlrev_b32_e32 v66, 2, v66
	v_add_lshl_u32 v86, v66, v70, 2
	ds_bpermute_b32 v88, v86, v71
	ds_bpermute_b32 v66, v86, v68
	s_waitcnt lgkmcnt(2)
	ds_bpermute_b32 v67, v86, v69
	v_add_u32_e32 v87, 4, v82
	v_cmp_le_u32_e32 vcc, v87, v63
	;; [unrolled: 24-line block ×5, first 2 shown]
	s_and_saveexec_b64 s[42:43], vcc
	s_cbranch_execz .LBB44_131
; %bb.130:
	s_waitcnt lgkmcnt(2)
	v_add_u32_e32 v63, v70, v71
	s_waitcnt lgkmcnt(0)
	v_add_f64 v[66:67], v[68:69], v[66:67]
	v_cmp_eq_u32_e32 vcc, 0, v71
	v_cndmask_b32_e32 v69, v69, v67, vcc
	v_cndmask_b32_e32 v68, v68, v66, vcc
	v_mov_b32_e32 v71, v63
.LBB44_131:
	s_or_b64 exec, exec, s[42:43]
	v_mov_b32_e32 v63, 0
	v_mov_b32_e32 v95, 2
	s_branch .LBB44_133
.LBB44_132:                             ;   in Loop: Header=BB44_133 Depth=1
	s_or_b64 exec, exec, s[42:43]
	v_add_f64 v[68:69], v[66:67], v[68:69]
	v_cmp_eq_u32_e32 vcc, 0, v94
	v_subrev_u32_e32 v62, 64, v62
	s_waitcnt lgkmcnt(0)
	v_add_u32_e32 v71, v96, v94
	v_cndmask_b32_e32 v69, v67, v69, vcc
	v_cndmask_b32_e32 v68, v66, v68, vcc
.LBB44_133:                             ; =>This Loop Header: Depth=1
                                        ;     Child Loop BB44_136 Depth 2
	v_cmp_ne_u16_sdwa s[42:43], v81, v95 src0_sel:BYTE_0 src1_sel:DWORD
	s_waitcnt lgkmcnt(0)
	v_pk_mov_b32 v[66:67], v[68:69], v[68:69] op_sel:[0,1]
	v_cndmask_b32_e64 v68, 0, 1, s[42:43]
	;;#ASMSTART
	;;#ASMEND
	v_cmp_ne_u32_e32 vcc, 0, v68
	s_cmp_lg_u64 vcc, exec
	v_mov_b32_e32 v94, v71
	s_cbranch_scc1 .LBB44_150
; %bb.134:                              ;   in Loop: Header=BB44_133 Depth=1
	global_load_ubyte v81, v62, s[40:41] glc
	s_waitcnt vmcnt(0)
	v_cmp_eq_u16_e32 vcc, 0, v81
	s_and_saveexec_b64 s[42:43], vcc
	s_cbranch_execz .LBB44_138
; %bb.135:                              ;   in Loop: Header=BB44_133 Depth=1
	v_mov_b32_e32 v69, s41
	v_add_co_u32_e32 v68, vcc, s40, v62
	v_addc_co_u32_e32 v69, vcc, 0, v69, vcc
	s_mov_b64 s[48:49], 0
.LBB44_136:                             ;   Parent Loop BB44_133 Depth=1
                                        ; =>  This Inner Loop Header: Depth=2
	global_load_ubyte v81, v[68:69], off glc
	s_waitcnt vmcnt(0)
	v_cmp_ne_u16_e32 vcc, 0, v81
	s_or_b64 s[48:49], vcc, s[48:49]
	s_andn2_b64 exec, exec, s[48:49]
	s_cbranch_execnz .LBB44_136
; %bb.137:                              ;   in Loop: Header=BB44_133 Depth=1
	s_or_b64 exec, exec, s[48:49]
.LBB44_138:                             ;   in Loop: Header=BB44_133 Depth=1
	s_or_b64 exec, exec, s[42:43]
	v_mov_b32_e32 v68, s39
	v_mov_b32_e32 v69, s37
	v_cmp_eq_u16_e32 vcc, 1, v81
	v_cndmask_b32_e32 v70, v68, v69, vcc
	v_mov_b32_e32 v68, s38
	v_mov_b32_e32 v69, s36
	v_cndmask_b32_e32 v71, v68, v69, vcc
	v_lshlrev_b64 v[68:69], 4, v[62:63]
	v_add_co_u32_e32 v68, vcc, v71, v68
	v_addc_co_u32_e32 v69, vcc, v70, v69, vcc
	buffer_wbinvl1_vol
	global_load_dword v96, v[68:69], off
	s_nop 0
	global_load_dwordx2 v[68:69], v[68:69], off offset:8
	v_cmp_eq_u16_e32 vcc, 2, v81
	v_and_b32_e32 v70, vcc_hi, v65
	v_or_b32_e32 v70, 0x80000000, v70
	v_ffbl_b32_e32 v117, v70
	v_and_b32_e32 v97, vcc_lo, v64
	v_add_u32_e32 v117, 32, v117
	v_ffbl_b32_e32 v97, v97
	v_min_u32_e32 v97, v97, v117
	v_cmp_lt_u32_e32 vcc, v82, v97
	s_waitcnt vmcnt(1)
	ds_bpermute_b32 v116, v83, v96
	s_waitcnt vmcnt(0)
	ds_bpermute_b32 v70, v83, v68
	ds_bpermute_b32 v71, v83, v69
	s_and_saveexec_b64 s[42:43], vcc
	s_cbranch_execz .LBB44_140
; %bb.139:                              ;   in Loop: Header=BB44_133 Depth=1
	s_waitcnt lgkmcnt(2)
	v_add_u32_e32 v116, v116, v96
	s_waitcnt lgkmcnt(0)
	v_add_f64 v[70:71], v[68:69], v[70:71]
	v_cmp_eq_u32_e32 vcc, 0, v96
	v_cndmask_b32_e32 v69, v69, v71, vcc
	v_cndmask_b32_e32 v68, v68, v70, vcc
	v_mov_b32_e32 v96, v116
.LBB44_140:                             ;   in Loop: Header=BB44_133 Depth=1
	s_or_b64 exec, exec, s[42:43]
	s_waitcnt lgkmcnt(2)
	ds_bpermute_b32 v116, v84, v96
	s_waitcnt lgkmcnt(2)
	ds_bpermute_b32 v70, v84, v68
	s_waitcnt lgkmcnt(2)
	ds_bpermute_b32 v71, v84, v69
	v_cmp_le_u32_e32 vcc, v85, v97
	s_and_saveexec_b64 s[42:43], vcc
	s_cbranch_execz .LBB44_142
; %bb.141:                              ;   in Loop: Header=BB44_133 Depth=1
	s_waitcnt lgkmcnt(2)
	v_add_u32_e32 v116, v116, v96
	s_waitcnt lgkmcnt(0)
	v_add_f64 v[70:71], v[68:69], v[70:71]
	v_cmp_eq_u32_e32 vcc, 0, v96
	v_cndmask_b32_e32 v69, v69, v71, vcc
	v_cndmask_b32_e32 v68, v68, v70, vcc
	v_mov_b32_e32 v96, v116
.LBB44_142:                             ;   in Loop: Header=BB44_133 Depth=1
	s_or_b64 exec, exec, s[42:43]
	s_waitcnt lgkmcnt(2)
	ds_bpermute_b32 v116, v86, v96
	s_waitcnt lgkmcnt(2)
	ds_bpermute_b32 v70, v86, v68
	s_waitcnt lgkmcnt(2)
	ds_bpermute_b32 v71, v86, v69
	v_cmp_le_u32_e32 vcc, v87, v97
	;; [unrolled: 20-line block ×5, first 2 shown]
	s_and_saveexec_b64 s[42:43], vcc
	s_cbranch_execz .LBB44_132
; %bb.149:                              ;   in Loop: Header=BB44_133 Depth=1
	s_waitcnt lgkmcnt(2)
	v_add_u32_e32 v97, v116, v96
	s_waitcnt lgkmcnt(0)
	v_add_f64 v[70:71], v[68:69], v[70:71]
	v_cmp_eq_u32_e32 vcc, 0, v96
	v_cndmask_b32_e32 v69, v69, v71, vcc
	v_cndmask_b32_e32 v68, v68, v70, vcc
	v_mov_b32_e32 v96, v97
	s_branch .LBB44_132
.LBB44_150:                             ;   in Loop: Header=BB44_133 Depth=1
                                        ; implicit-def: $vgpr68_vgpr69
                                        ; implicit-def: $vgpr71
                                        ; implicit-def: $vgpr81
	s_cbranch_execz .LBB44_133
; %bb.151:
	s_and_saveexec_b64 s[36:37], s[28:29]
	s_cbranch_execz .LBB44_153
; %bb.152:
	s_mov_b32 s43, 0
	s_add_i32 s42, s56, 64
	s_lshl_b64 s[48:49], s[42:43], 4
	v_add_f64 v[62:63], v[60:61], v[66:67]
	v_cmp_eq_u32_e32 vcc, 0, v80
	s_add_u32 s48, s38, s48
	v_add_u32_e32 v64, v94, v80
	v_cndmask_b32_e32 v63, v61, v63, vcc
	v_cndmask_b32_e32 v62, v60, v62, vcc
	s_addc_u32 s49, s39, s49
	v_mov_b32_e32 v65, 0
	global_store_dword v65, v64, s[48:49]
	global_store_dwordx2 v65, v[62:63], s[48:49] offset:8
	v_mov_b32_e32 v62, s42
	v_mov_b32_e32 v63, 2
	s_waitcnt vmcnt(0)
	buffer_wbinvl1_vol
	global_store_byte v62, v63, s[40:41]
	ds_write_b32 v65, v80 offset:4096
	ds_write_b64 v65, v[60:61] offset:4104
	ds_write_b32 v65, v94 offset:4112
	ds_write_b64 v65, v[66:67] offset:4120
.LBB44_153:
	s_or_b64 exec, exec, s[36:37]
	s_and_b64 exec, exec, s[0:1]
	s_cbranch_execz .LBB44_155
; %bb.154:
	v_mov_b32_e32 v60, 0
	ds_write_b32 v60, v94 offset:4176
	ds_write_b64 v60, v[66:67] offset:4184
.LBB44_155:
	s_or_b64 exec, exec, s[34:35]
	v_mov_b32_e32 v64, 0
	s_waitcnt lgkmcnt(0)
	s_barrier
	ds_read_b64 v[60:61], v64 offset:4184
	ds_read_b32 v65, v64 offset:4176
	v_cndmask_b32_e64 v59, v79, v59, s[28:29]
	v_cndmask_b32_e64 v58, v78, v58, s[28:29]
	;; [unrolled: 1-line block ×3, first 2 shown]
	s_waitcnt lgkmcnt(1)
	v_add_f64 v[62:63], v[58:59], v[60:61]
	v_cmp_eq_u32_e32 vcc, 0, v66
	v_cndmask_b32_e32 v58, v58, v62, vcc
	v_cndmask_b32_e32 v62, v59, v63, vcc
	v_cndmask_b32_e64 v97, v62, v61, s[0:1]
	v_cndmask_b32_e64 v96, v58, v60, s[0:1]
	v_add_f64 v[60:61], v[54:55], v[96:97]
	v_cmp_eq_u32_e32 vcc, 0, v113
	v_cndmask_b32_e32 v95, v55, v61, vcc
	v_cndmask_b32_e32 v94, v54, v60, vcc
	v_add_f64 v[60:61], v[56:57], v[94:95]
	v_cndmask_b32_e64 v93, v57, v61, s[26:27]
	v_cndmask_b32_e64 v92, v56, v60, s[26:27]
	v_add_f64 v[60:61], v[50:51], v[92:93]
	v_cndmask_b32_e64 v91, v51, v61, s[24:25]
	v_cndmask_b32_e64 v90, v50, v60, s[24:25]
	;; [unrolled: 3-line block ×10, first 2 shown]
	v_add_f64 v[60:61], v[36:37], v[70:71]
	s_waitcnt lgkmcnt(0)
	s_barrier
	ds_read_b32 v58, v64 offset:4096
	ds_read_b64 v[116:117], v64 offset:4104
	ds_read_b32 v62, v64 offset:4112
	ds_read_b64 v[118:119], v64 offset:4120
	v_cndmask_b32_e64 v69, v37, v61, s[6:7]
	v_cndmask_b32_e64 v68, v36, v60, s[6:7]
	v_add_f64 v[60:61], v[30:31], v[68:69]
	v_cndmask_b32_e64 v59, v66, 0, s[0:1]
	v_cndmask_b32_e64 v67, v31, v61, s[4:5]
	;; [unrolled: 1-line block ×3, first 2 shown]
	v_add_f64 v[60:61], v[32:33], v[66:67]
	v_add_u32_e32 v59, v65, v59
	v_cndmask_b32_e64 v65, v33, v61, s[2:3]
	v_cndmask_b32_e64 v64, v32, v60, s[2:3]
	s_waitcnt lgkmcnt(0)
	v_add_f64 v[60:61], v[118:119], v[116:117]
	v_cmp_eq_u32_e32 vcc, 0, v58
	v_cndmask_b32_e32 v61, v117, v61, vcc
	v_cndmask_b32_e32 v60, v116, v60, vcc
	s_branch .LBB44_184
.LBB44_156:
                                        ; implicit-def: $vgpr58
                                        ; implicit-def: $vgpr60_vgpr61
                                        ; implicit-def: $vgpr62
                                        ; implicit-def: $vgpr96_vgpr97
                                        ; implicit-def: $vgpr94_vgpr95
                                        ; implicit-def: $vgpr92_vgpr93
                                        ; implicit-def: $vgpr90_vgpr91
                                        ; implicit-def: $vgpr88_vgpr89
                                        ; implicit-def: $vgpr86_vgpr87
                                        ; implicit-def: $vgpr84_vgpr85
                                        ; implicit-def: $vgpr82_vgpr83
                                        ; implicit-def: $vgpr80_vgpr81
                                        ; implicit-def: $vgpr78_vgpr79
                                        ; implicit-def: $vgpr76_vgpr77
                                        ; implicit-def: $vgpr70_vgpr71
                                        ; implicit-def: $vgpr68_vgpr69
                                        ; implicit-def: $vgpr66_vgpr67
                                        ; implicit-def: $vgpr64_vgpr65
                                        ; implicit-def: $vgpr59
	s_cbranch_execz .LBB44_184
; %bb.157:
	s_and_b64 s[2:3], s[30:31], exec
	s_cselect_b32 s3, 0, s65
	s_cselect_b32 s2, 0, s64
	s_cmp_eq_u64 s[2:3], 0
	v_pk_mov_b32 v[62:63], v[54:55], v[54:55] op_sel:[0,1]
	s_cbranch_scc1 .LBB44_159
; %bb.158:
	v_mov_b32_e32 v58, 0
	global_load_dwordx2 v[62:63], v58, s[2:3]
.LBB44_159:
	v_cmp_eq_u32_e32 vcc, 0, v112
	v_cndmask_b32_e32 v59, v57, v99, vcc
	v_cndmask_b32_e32 v58, v56, v98, vcc
	v_add_f64 v[58:59], v[50:51], v[58:59]
	v_cmp_eq_u32_e64 s[2:3], 0, v111
	v_cndmask_b32_e64 v59, v51, v59, s[2:3]
	v_cndmask_b32_e64 v58, v50, v58, s[2:3]
	v_add_f64 v[58:59], v[52:53], v[58:59]
	v_cmp_eq_u32_e64 s[4:5], 0, v110
	v_cndmask_b32_e64 v59, v53, v59, s[4:5]
	v_cndmask_b32_e64 v58, v52, v58, s[4:5]
	;; [unrolled: 4-line block ×10, first 2 shown]
	v_add_f64 v[58:59], v[30:31], v[58:59]
	v_cmp_eq_u32_e64 s[18:19], 0, v101
	v_add3_u32 v60, v115, v108, v107
	v_cndmask_b32_e64 v59, v31, v59, s[18:19]
	v_cndmask_b32_e64 v58, v30, v58, s[18:19]
	v_add3_u32 v60, v60, v106, v105
	v_add_f64 v[58:59], v[32:33], v[58:59]
	v_cmp_eq_u32_e64 s[22:23], 0, v100
	v_add3_u32 v60, v60, v104, v103
	v_cndmask_b32_e64 v59, v33, v59, s[22:23]
	v_cndmask_b32_e64 v58, v32, v58, s[22:23]
	v_add3_u32 v60, v60, v102, v101
	v_add_f64 v[58:59], v[72:73], v[58:59]
	v_cmp_eq_u32_e64 s[26:27], 0, v1
	v_mbcnt_hi_u32_b32 v66, -1, v114
	v_add3_u32 v67, v60, v100, v1
	v_cndmask_b32_e64 v59, v73, v59, s[26:27]
	v_cndmask_b32_e64 v58, v72, v58, s[26:27]
	v_and_b32_e32 v64, 15, v66
	v_mov_b32_dpp v65, v67 row_shr:1 row_mask:0xf bank_mask:0xf
	v_mov_b32_dpp v60, v58 row_shr:1 row_mask:0xf bank_mask:0xf
	;; [unrolled: 1-line block ×3, first 2 shown]
	v_cmp_ne_u32_e64 s[26:27], 0, v64
	s_and_saveexec_b64 s[28:29], s[26:27]
; %bb.160:
	v_add_u32_e32 v65, v65, v67
	v_add_f64 v[60:61], v[58:59], v[60:61]
	v_cmp_eq_u32_e64 s[26:27], 0, v67
	v_cndmask_b32_e64 v59, v59, v61, s[26:27]
	v_cndmask_b32_e64 v58, v58, v60, s[26:27]
	v_mov_b32_e32 v67, v65
; %bb.161:
	s_or_b64 exec, exec, s[28:29]
	s_nop 0
	v_mov_b32_dpp v65, v67 row_shr:2 row_mask:0xf bank_mask:0xf
	v_mov_b32_dpp v60, v58 row_shr:2 row_mask:0xf bank_mask:0xf
	v_mov_b32_dpp v61, v59 row_shr:2 row_mask:0xf bank_mask:0xf
	v_cmp_lt_u32_e64 s[26:27], 1, v64
	s_and_saveexec_b64 s[28:29], s[26:27]
; %bb.162:
	v_add_u32_e32 v65, v65, v67
	v_add_f64 v[60:61], v[58:59], v[60:61]
	v_cmp_eq_u32_e64 s[26:27], 0, v67
	v_cndmask_b32_e64 v59, v59, v61, s[26:27]
	v_cndmask_b32_e64 v58, v58, v60, s[26:27]
	v_mov_b32_e32 v67, v65
; %bb.163:
	s_or_b64 exec, exec, s[28:29]
	s_nop 0
	v_mov_b32_dpp v65, v67 row_shr:4 row_mask:0xf bank_mask:0xf
	v_mov_b32_dpp v60, v58 row_shr:4 row_mask:0xf bank_mask:0xf
	v_mov_b32_dpp v61, v59 row_shr:4 row_mask:0xf bank_mask:0xf
	v_cmp_lt_u32_e64 s[26:27], 3, v64
	;; [unrolled: 15-line block ×3, first 2 shown]
	s_and_saveexec_b64 s[28:29], s[26:27]
; %bb.166:
	v_add_u32_e32 v64, v65, v67
	v_add_f64 v[60:61], v[58:59], v[60:61]
	v_cmp_eq_u32_e64 s[26:27], 0, v67
	v_cndmask_b32_e64 v59, v59, v61, s[26:27]
	v_cndmask_b32_e64 v58, v58, v60, s[26:27]
	v_mov_b32_e32 v67, v64
; %bb.167:
	s_or_b64 exec, exec, s[28:29]
	v_and_b32_e32 v65, 16, v66
	v_mov_b32_dpp v64, v67 row_bcast:15 row_mask:0xf bank_mask:0xf
	v_mov_b32_dpp v60, v58 row_bcast:15 row_mask:0xf bank_mask:0xf
	;; [unrolled: 1-line block ×3, first 2 shown]
	v_cmp_ne_u32_e64 s[26:27], 0, v65
	s_and_saveexec_b64 s[28:29], s[26:27]
; %bb.168:
	v_add_u32_e32 v64, v64, v67
	v_add_f64 v[60:61], v[58:59], v[60:61]
	v_cmp_eq_u32_e64 s[26:27], 0, v67
	v_cndmask_b32_e64 v59, v59, v61, s[26:27]
	v_cndmask_b32_e64 v58, v58, v60, s[26:27]
	v_mov_b32_e32 v67, v64
; %bb.169:
	s_or_b64 exec, exec, s[28:29]
	s_nop 0
	v_mov_b32_dpp v64, v67 row_bcast:31 row_mask:0xf bank_mask:0xf
	v_mov_b32_dpp v60, v58 row_bcast:31 row_mask:0xf bank_mask:0xf
	;; [unrolled: 1-line block ×3, first 2 shown]
	v_cmp_lt_u32_e64 s[26:27], 31, v66
	s_and_saveexec_b64 s[28:29], s[26:27]
; %bb.170:
	v_add_u32_e32 v64, v64, v67
	v_add_f64 v[60:61], v[58:59], v[60:61]
	v_cmp_eq_u32_e64 s[26:27], 0, v67
	v_cndmask_b32_e64 v59, v59, v61, s[26:27]
	v_cndmask_b32_e64 v58, v58, v60, s[26:27]
	v_mov_b32_e32 v67, v64
; %bb.171:
	s_or_b64 exec, exec, s[28:29]
	v_lshrrev_b32_e32 v60, 6, v0
	v_or_b32_e32 v61, 63, v0
	v_cmp_eq_u32_e64 s[26:27], v61, v0
	v_lshlrev_b32_e32 v68, 4, v60
	s_and_saveexec_b64 s[28:29], s[26:27]
	s_cbranch_execz .LBB44_173
; %bb.172:
	ds_write_b32 v68, v67 offset:4128
	ds_write_b64 v68, v[58:59] offset:4136
.LBB44_173:
	s_or_b64 exec, exec, s[28:29]
	v_cmp_gt_u32_e64 s[26:27], 4, v0
	s_waitcnt lgkmcnt(0)
	s_barrier
	s_and_saveexec_b64 s[28:29], s[26:27]
	s_cbranch_execz .LBB44_179
; %bb.174:
	v_lshlrev_b32_e32 v69, 4, v0
	ds_read_b32 v70, v69 offset:4128
	ds_read_b64 v[60:61], v69 offset:4136
	v_and_b32_e32 v71, 3, v66
	v_cmp_ne_u32_e64 s[26:27], 0, v71
	s_waitcnt lgkmcnt(1)
	v_mov_b32_dpp v72, v70 row_shr:1 row_mask:0xf bank_mask:0xf
	s_waitcnt lgkmcnt(0)
	v_mov_b32_dpp v64, v60 row_shr:1 row_mask:0xf bank_mask:0xf
	v_mov_b32_dpp v65, v61 row_shr:1 row_mask:0xf bank_mask:0xf
	s_and_saveexec_b64 s[34:35], s[26:27]
; %bb.175:
	v_add_u32_e32 v72, v72, v70
	v_add_f64 v[64:65], v[60:61], v[64:65]
	v_cmp_eq_u32_e64 s[26:27], 0, v70
	v_cndmask_b32_e64 v61, v61, v65, s[26:27]
	v_cndmask_b32_e64 v60, v60, v64, s[26:27]
	v_mov_b32_e32 v70, v72
; %bb.176:
	s_or_b64 exec, exec, s[34:35]
	s_nop 0
	v_mov_b32_dpp v72, v70 row_shr:2 row_mask:0xf bank_mask:0xf
	v_mov_b32_dpp v64, v60 row_shr:2 row_mask:0xf bank_mask:0xf
	;; [unrolled: 1-line block ×3, first 2 shown]
	v_cmp_lt_u32_e64 s[26:27], 1, v71
	s_and_saveexec_b64 s[34:35], s[26:27]
; %bb.177:
	v_add_u32_e32 v71, v72, v70
	v_add_f64 v[64:65], v[60:61], v[64:65]
	v_cmp_eq_u32_e64 s[26:27], 0, v70
	v_cndmask_b32_e64 v61, v61, v65, s[26:27]
	v_cndmask_b32_e64 v60, v60, v64, s[26:27]
	v_mov_b32_e32 v70, v71
; %bb.178:
	s_or_b64 exec, exec, s[34:35]
	ds_write_b32 v69, v70 offset:4128
	ds_write_b64 v69, v[60:61] offset:4136
.LBB44_179:
	s_or_b64 exec, exec, s[28:29]
	v_cmp_lt_u32_e64 s[26:27], 63, v0
	v_mov_b32_e32 v64, 0
	v_mov_b32_e32 v65, 0
	s_waitcnt vmcnt(0)
	v_pk_mov_b32 v[60:61], v[62:63], v[62:63] op_sel:[0,1]
	s_waitcnt lgkmcnt(0)
	s_barrier
	s_and_saveexec_b64 s[28:29], s[26:27]
	s_cbranch_execz .LBB44_181
; %bb.180:
	ds_read_b64 v[60:61], v68 offset:4120
	ds_read_b32 v65, v68 offset:4112
	s_waitcnt lgkmcnt(1)
	v_add_f64 v[68:69], v[62:63], v[60:61]
	s_waitcnt lgkmcnt(0)
	v_cmp_eq_u32_e64 s[26:27], 0, v65
	v_cndmask_b32_e64 v61, v61, v69, s[26:27]
	v_cndmask_b32_e64 v60, v60, v68, s[26:27]
.LBB44_181:
	s_or_b64 exec, exec, s[28:29]
	v_add_f64 v[68:69], v[58:59], v[60:61]
	v_cmp_eq_u32_e64 s[26:27], 0, v67
	v_add_u32_e32 v70, v65, v67
	v_cndmask_b32_e64 v58, v58, v68, s[26:27]
	v_add_u32_e32 v67, -1, v66
	v_and_b32_e32 v68, 64, v66
	v_cndmask_b32_e64 v59, v59, v69, s[26:27]
	v_cmp_lt_i32_e64 s[26:27], v67, v68
	v_cndmask_b32_e64 v67, v67, v66, s[26:27]
	v_lshlrev_b32_e32 v67, 2, v67
	ds_bpermute_b32 v69, v67, v59
	ds_bpermute_b32 v58, v67, v58
	;; [unrolled: 1-line block ×3, first 2 shown]
	v_cmp_eq_u32_e64 s[26:27], 0, v66
	s_waitcnt lgkmcnt(2)
	v_cndmask_b32_e64 v97, v69, v61, s[26:27]
	s_waitcnt lgkmcnt(1)
	v_cndmask_b32_e64 v96, v58, v60, s[26:27]
	v_cndmask_b32_e64 v61, v97, v63, s[0:1]
	;; [unrolled: 1-line block ×3, first 2 shown]
	s_waitcnt lgkmcnt(0)
	v_cndmask_b32_e64 v59, v68, v65, s[26:27]
	v_add_f64 v[60:61], v[54:55], v[60:61]
	v_cmp_eq_u32_e64 s[26:27], 0, v113
	v_cndmask_b32_e64 v95, v55, v61, s[26:27]
	v_cndmask_b32_e64 v94, v54, v60, s[26:27]
	v_add_f64 v[54:55], v[56:57], v[94:95]
	v_cndmask_b32_e32 v93, v57, v55, vcc
	v_cndmask_b32_e32 v92, v56, v54, vcc
	v_add_f64 v[54:55], v[50:51], v[92:93]
	v_cndmask_b32_e64 v91, v51, v55, s[2:3]
	v_cndmask_b32_e64 v90, v50, v54, s[2:3]
	v_add_f64 v[50:51], v[52:53], v[90:91]
	v_cndmask_b32_e64 v89, v53, v51, s[4:5]
	v_cndmask_b32_e64 v88, v52, v50, s[4:5]
	;; [unrolled: 3-line block ×10, first 2 shown]
	ds_read_b32 v58, v64 offset:4176
	ds_read_b64 v[36:37], v64 offset:4184
	v_add_f64 v[34:35], v[30:31], v[68:69]
	v_cndmask_b32_e64 v67, v31, v35, s[18:19]
	v_cndmask_b32_e64 v66, v30, v34, s[18:19]
	v_add_f64 v[30:31], v[32:33], v[66:67]
	v_cndmask_b32_e64 v65, v33, v31, s[22:23]
	v_cndmask_b32_e64 v64, v32, v30, s[22:23]
	s_waitcnt lgkmcnt(0)
	v_add_f64 v[30:31], v[62:63], v[36:37]
	v_cmp_eq_u32_e32 vcc, 0, v58
	v_cndmask_b32_e32 v61, v37, v31, vcc
	v_cndmask_b32_e32 v60, v36, v30, vcc
	s_and_saveexec_b64 s[2:3], s[0:1]
	s_cbranch_execz .LBB44_183
; %bb.182:
	v_mov_b32_e32 v59, 0
	v_mov_b32_e32 v30, 2
	v_pk_mov_b32 v[96:97], v[62:63], v[62:63] op_sel:[0,1]
	global_store_dword v59, v58, s[38:39] offset:1024
	global_store_dwordx2 v59, v[60:61], s[38:39] offset:1032
	s_waitcnt vmcnt(0)
	buffer_wbinvl1_vol
	global_store_byte v59, v30, s[40:41] offset:64
.LBB44_183:
	s_or_b64 exec, exec, s[2:3]
	v_mov_b32_e32 v62, 0
.LBB44_184:
	s_and_b64 s[2:3], s[30:31], exec
	s_cselect_b32 s3, 0, s51
	s_cselect_b32 s2, 0, s50
	s_cmp_eq_u64 s[2:3], 0
	v_pk_mov_b32 v[30:31], 0, 0
	s_barrier
	s_cbranch_scc1 .LBB44_186
; %bb.185:
	v_mov_b32_e32 v30, 0
	global_load_dwordx2 v[30:31], v30, s[2:3]
.LBB44_186:
	s_waitcnt vmcnt(0)
	v_lshlrev_b64 v[32:33], 3, v[30:31]
	v_mov_b32_e32 v34, s59
	v_add_co_u32_e32 v50, vcc, s58, v32
	v_mov_b32_e32 v63, 0
	v_addc_co_u32_e32 v51, vcc, v34, v33, vcc
	v_lshlrev_b64 v[34:35], 3, v[62:63]
	v_add_co_u32_e32 v50, vcc, v50, v34
	v_addc_co_u32_e32 v51, vcc, v51, v35, vcc
	v_cmp_eq_u32_e32 vcc, 0, v113
	v_cndmask_b32_e64 v52, 1, 2, vcc
	v_cmp_eq_u32_e32 vcc, 0, v112
	v_cndmask_b32_e64 v53, 1, 2, vcc
	v_cmp_eq_u32_e32 vcc, 0, v111
	v_and_b32_e32 v52, v53, v52
	v_cndmask_b32_e64 v53, 1, 2, vcc
	v_cmp_eq_u32_e32 vcc, 0, v110
	v_add_u32_e32 v49, v59, v113
	v_and_b32_e32 v52, v52, v53
	v_cndmask_b32_e64 v53, 1, 2, vcc
	v_cmp_eq_u32_e32 vcc, 0, v109
	v_add_u32_e32 v48, v49, v112
	;; [unrolled: 4-line block ×12, first 2 shown]
	v_and_b32_e32 v52, v52, v53
	v_cndmask_b32_e64 v53, 1, 2, vcc
	s_movk_i32 s34, 0x100
	v_add_u32_e32 v37, v38, v101
	v_and_b32_e32 v52, v52, v53
	v_cmp_gt_u32_e32 vcc, s34, v58
	v_add_u32_e32 v36, v37, v100
	v_cmp_ne_u32_e64 s[30:31], 0, v113
	v_cmp_ne_u32_e64 s[28:29], 0, v112
	;; [unrolled: 1-line block ×15, first 2 shown]
	s_mov_b64 s[36:37], -1
	v_cmp_gt_i16_e64 s[34:35], 2, v52
	s_cbranch_vccz .LBB44_193
; %bb.187:
	s_and_saveexec_b64 s[36:37], s[34:35]
	s_cbranch_execz .LBB44_192
; %bb.188:
	v_cmp_ne_u16_e32 vcc, 1, v52
	s_mov_b64 s[38:39], 0
	s_and_saveexec_b64 s[34:35], vcc
	s_xor_b64 s[34:35], exec, s[34:35]
	s_cbranch_execnz .LBB44_225
; %bb.189:
	s_andn2_saveexec_b64 s[34:35], s[34:35]
	s_cbranch_execnz .LBB44_241
.LBB44_190:
	s_or_b64 exec, exec, s[34:35]
	s_and_b64 exec, exec, s[38:39]
	s_cbranch_execz .LBB44_192
.LBB44_191:
	v_sub_u32_e32 v54, v36, v62
	v_mov_b32_e32 v55, 0
	v_lshlrev_b64 v[54:55], 3, v[54:55]
	v_add_co_u32_e32 v54, vcc, v50, v54
	v_addc_co_u32_e32 v55, vcc, v51, v55, vcc
	global_store_dwordx2 v[54:55], v[74:75], off
.LBB44_192:
	s_or_b64 exec, exec, s[36:37]
	s_mov_b64 s[36:37], 0
.LBB44_193:
	s_and_b64 vcc, exec, s[36:37]
	s_cbranch_vccz .LBB44_203
; %bb.194:
	v_cmp_gt_i16_e32 vcc, 2, v52
	s_and_saveexec_b64 s[34:35], vcc
	s_cbranch_execz .LBB44_199
; %bb.195:
	v_cmp_ne_u16_e32 vcc, 1, v52
	s_mov_b64 s[38:39], 0
	s_and_saveexec_b64 s[36:37], vcc
	s_xor_b64 s[36:37], exec, s[36:37]
	s_cbranch_execnz .LBB44_242
; %bb.196:
	s_andn2_saveexec_b64 s[2:3], s[36:37]
	s_cbranch_execnz .LBB44_258
.LBB44_197:
	s_or_b64 exec, exec, s[2:3]
	s_and_b64 exec, exec, s[38:39]
	s_cbranch_execz .LBB44_199
.LBB44_198:
	v_sub_u32_e32 v2, v36, v62
	v_lshlrev_b32_e32 v2, 3, v2
	ds_write_b64 v2, v[74:75]
.LBB44_199:
	s_or_b64 exec, exec, s[34:35]
	v_cmp_lt_u32_e32 vcc, v0, v58
	s_waitcnt lgkmcnt(0)
	s_barrier
	s_and_saveexec_b64 s[2:3], vcc
	s_cbranch_execz .LBB44_202
; %bb.200:
	v_lshlrev_b32_e32 v4, 3, v0
	s_mov_b64 s[4:5], 0
	v_mov_b32_e32 v3, 0
	v_mov_b32_e32 v2, v0
.LBB44_201:                             ; =>This Inner Loop Header: Depth=1
	v_lshlrev_b64 v[6:7], 3, v[2:3]
	ds_read_b64 v[8:9], v4
	v_add_co_u32_e32 v6, vcc, v50, v6
	v_add_u32_e32 v2, 0x100, v2
	v_addc_co_u32_e32 v7, vcc, v51, v7, vcc
	v_cmp_ge_u32_e32 vcc, v2, v58
	v_add_u32_e32 v4, 0x800, v4
	s_or_b64 s[4:5], vcc, s[4:5]
	s_waitcnt lgkmcnt(0)
	global_store_dwordx2 v[6:7], v[8:9], off
	s_andn2_b64 exec, exec, s[4:5]
	s_cbranch_execnz .LBB44_201
.LBB44_202:
	s_or_b64 exec, exec, s[2:3]
.LBB44_203:
	s_cmpk_lg_i32 s33, 0xf00
	s_cselect_b64 s[2:3], -1, 0
	v_cndmask_b32_e64 v2, 0, 1, s[46:47]
	s_and_b64 s[2:3], s[2:3], s[44:45]
	v_sub_u32_e32 v3, v58, v2
	v_cndmask_b32_e64 v4, 0, 1, s[2:3]
	s_and_b64 s[0:1], s[0:1], s[46:47]
	v_add_u32_e32 v4, v3, v4
	v_cndmask_b32_e64 v3, v113, 0, s[0:1]
	s_mul_hi_u32 s0, s33, 0x88888889
	s_lshr_b32 s0, s0, 3
	v_mad_i32_i24 v5, v0, -15, s33
	v_cmp_eq_u32_e32 vcc, s0, v0
	v_cmp_ne_u32_e64 s[0:1], 0, v5
	v_cndmask_b32_e64 v6, 1, v3, s[0:1]
	v_cmp_ne_u32_e64 s[0:1], 1, v5
	v_cndmask_b32_e64 v7, 1, v112, s[0:1]
	;; [unrolled: 2-line block ×15, first 2 shown]
	s_and_b64 vcc, vcc, s[44:45]
	v_cndmask_b32_e32 v20, v1, v5, vcc
	v_cndmask_b32_e32 v19, v100, v19, vcc
	;; [unrolled: 1-line block ×15, first 2 shown]
	v_mov_b32_e32 v1, s61
	v_add_co_u32_e32 v5, vcc, s60, v32
	v_addc_co_u32_e32 v6, vcc, v1, v33, vcc
	v_add_co_u32_e32 v1, vcc, v5, v34
	v_addc_co_u32_e32 v5, vcc, v6, v35, vcc
	v_lshlrev_b32_e32 v6, 3, v2
	v_add_co_u32_e32 v6, vcc, v6, v1
	v_addc_co_u32_e32 v7, vcc, 0, v5, vcc
	v_add_co_u32_e32 v6, vcc, -8, v6
	v_addc_co_u32_e32 v7, vcc, -1, v7, vcc
	v_cmp_eq_u32_e32 vcc, 0, v3
	v_cmp_ne_u32_e64 s[28:29], 0, v3
	v_cndmask_b32_e64 v3, 1, 2, vcc
	v_cmp_eq_u32_e32 vcc, 0, v21
	v_cmp_ne_u32_e64 s[26:27], 0, v21
	v_cndmask_b32_e64 v21, 1, 2, vcc
	v_cmp_eq_u32_e32 vcc, 0, v8
	v_and_b32_e32 v3, v21, v3
	v_cmp_ne_u32_e64 s[24:25], 0, v8
	v_cndmask_b32_e64 v8, 1, 2, vcc
	v_cmp_eq_u32_e32 vcc, 0, v9
	v_and_b32_e32 v3, v3, v8
	v_cndmask_b32_e64 v8, 1, 2, vcc
	v_cmp_eq_u32_e32 vcc, 0, v10
	v_and_b32_e32 v3, v3, v8
	;; [unrolled: 3-line block ×12, first 2 shown]
	v_cndmask_b32_e64 v8, 1, 2, vcc
	s_movk_i32 s30, 0x100
	v_and_b32_e32 v3, v3, v8
	v_cmp_gt_u32_e32 vcc, s30, v4
	v_add_u32_e32 v2, v62, v2
	v_cmp_ne_u32_e64 s[22:23], 0, v9
	v_cmp_ne_u32_e64 s[20:21], 0, v10
	;; [unrolled: 1-line block ×12, first 2 shown]
	s_mov_b64 s[34:35], -1
	v_cmp_gt_i16_e64 s[30:31], 2, v3
	s_barrier
	s_cbranch_vccz .LBB44_210
; %bb.204:
	s_and_saveexec_b64 s[34:35], s[30:31]
	s_cbranch_execz .LBB44_209
; %bb.205:
	v_cmp_ne_u16_e32 vcc, 1, v3
	s_mov_b64 s[36:37], 0
	s_and_saveexec_b64 s[30:31], vcc
	s_xor_b64 s[30:31], exec, s[30:31]
	s_cbranch_execnz .LBB44_259
; %bb.206:
	s_andn2_saveexec_b64 s[30:31], s[30:31]
	s_cbranch_execnz .LBB44_275
.LBB44_207:
	s_or_b64 exec, exec, s[30:31]
	s_and_b64 exec, exec, s[36:37]
	s_cbranch_execz .LBB44_209
.LBB44_208:
	v_sub_u32_e32 v8, v36, v2
	v_mov_b32_e32 v9, 0
	v_lshlrev_b64 v[8:9], 3, v[8:9]
	v_add_co_u32_e32 v8, vcc, v6, v8
	v_addc_co_u32_e32 v9, vcc, v7, v9, vcc
	global_store_dwordx2 v[8:9], v[64:65], off
.LBB44_209:
	s_or_b64 exec, exec, s[34:35]
	s_mov_b64 s[34:35], 0
.LBB44_210:
	s_and_b64 vcc, exec, s[34:35]
	s_cbranch_vccz .LBB44_220
; %bb.211:
	v_cmp_gt_i16_e32 vcc, 2, v3
	s_and_saveexec_b64 s[30:31], vcc
	s_cbranch_execz .LBB44_216
; %bb.212:
	v_cmp_ne_u16_e32 vcc, 1, v3
	s_mov_b64 s[36:37], 0
	s_and_saveexec_b64 s[34:35], vcc
	s_xor_b64 s[34:35], exec, s[34:35]
	s_cbranch_execnz .LBB44_276
; %bb.213:
	s_andn2_saveexec_b64 s[0:1], s[34:35]
	s_cbranch_execnz .LBB44_292
.LBB44_214:
	s_or_b64 exec, exec, s[0:1]
	s_and_b64 exec, exec, s[36:37]
	s_cbranch_execz .LBB44_216
.LBB44_215:
	v_sub_u32_e32 v2, v36, v2
	v_lshlrev_b32_e32 v2, 3, v2
	ds_write_b64 v2, v[64:65]
.LBB44_216:
	s_or_b64 exec, exec, s[30:31]
	v_cmp_lt_u32_e32 vcc, v0, v4
	s_waitcnt lgkmcnt(0)
	s_barrier
	s_and_saveexec_b64 s[0:1], vcc
	s_cbranch_execz .LBB44_219
; %bb.217:
	v_lshlrev_b32_e32 v8, 3, v0
	s_mov_b64 s[2:3], 0
	v_mov_b32_e32 v3, 0
	v_mov_b32_e32 v2, v0
.LBB44_218:                             ; =>This Inner Loop Header: Depth=1
	v_lshlrev_b64 v[10:11], 3, v[2:3]
	ds_read_b64 v[12:13], v8
	v_add_co_u32_e32 v10, vcc, v6, v10
	v_add_u32_e32 v2, 0x100, v2
	v_addc_co_u32_e32 v11, vcc, v7, v11, vcc
	v_cmp_ge_u32_e32 vcc, v2, v4
	v_add_u32_e32 v8, 0x800, v8
	s_or_b64 s[2:3], vcc, s[2:3]
	s_waitcnt lgkmcnt(0)
	global_store_dwordx2 v[10:11], v[12:13], off
	s_andn2_b64 exec, exec, s[2:3]
	s_cbranch_execnz .LBB44_218
.LBB44_219:
	s_or_b64 exec, exec, s[0:1]
.LBB44_220:
	s_movk_i32 s0, 0xff
	v_cmp_eq_u32_e32 vcc, s0, v0
	s_and_b64 s[0:1], vcc, s[44:45]
	s_and_saveexec_b64 s[2:3], s[0:1]
	s_cbranch_execz .LBB44_223
; %bb.221:
	v_add_co_u32_e32 v0, vcc, v58, v62
	v_addc_co_u32_e64 v3, s[0:1], 0, 0, vcc
	v_add_co_u32_e32 v2, vcc, v0, v30
	v_mov_b32_e32 v59, 0
	v_addc_co_u32_e32 v3, vcc, v3, v31, vcc
	s_cmpk_lg_i32 s33, 0xf00
	global_store_dwordx2 v59, v[2:3], s[62:63]
	s_cbranch_scc1 .LBB44_223
; %bb.222:
	v_lshlrev_b64 v[2:3], 3, v[58:59]
	v_add_co_u32_e32 v0, vcc, v1, v2
	v_addc_co_u32_e32 v1, vcc, v5, v3, vcc
	global_store_dwordx2 v[0:1], v[60:61], off offset:-8
.LBB44_223:
	s_endpgm
.LBB44_224:
	s_or_b64 exec, exec, s[6:7]
	v_mov_b32_e32 v113, s8
	s_and_saveexec_b64 s[2:3], s[34:35]
	s_cbranch_execnz .LBB44_88
	s_branch .LBB44_89
.LBB44_225:
	s_and_saveexec_b64 s[38:39], s[30:31]
	s_cbranch_execnz .LBB44_293
; %bb.226:
	s_or_b64 exec, exec, s[38:39]
	s_and_saveexec_b64 s[38:39], s[28:29]
	s_cbranch_execnz .LBB44_294
.LBB44_227:
	s_or_b64 exec, exec, s[38:39]
	s_and_saveexec_b64 s[38:39], s[26:27]
	s_cbranch_execnz .LBB44_295
.LBB44_228:
	s_or_b64 exec, exec, s[38:39]
	s_and_saveexec_b64 s[38:39], s[24:25]
	s_cbranch_execnz .LBB44_296
.LBB44_229:
	s_or_b64 exec, exec, s[38:39]
	s_and_saveexec_b64 s[38:39], s[22:23]
	s_cbranch_execnz .LBB44_297
.LBB44_230:
	s_or_b64 exec, exec, s[38:39]
	s_and_saveexec_b64 s[38:39], s[20:21]
	s_cbranch_execnz .LBB44_298
.LBB44_231:
	s_or_b64 exec, exec, s[38:39]
	s_and_saveexec_b64 s[38:39], s[18:19]
	s_cbranch_execnz .LBB44_299
.LBB44_232:
	s_or_b64 exec, exec, s[38:39]
	s_and_saveexec_b64 s[38:39], s[16:17]
	s_cbranch_execnz .LBB44_300
.LBB44_233:
	s_or_b64 exec, exec, s[38:39]
	s_and_saveexec_b64 s[38:39], s[14:15]
	s_cbranch_execnz .LBB44_301
.LBB44_234:
	s_or_b64 exec, exec, s[38:39]
	s_and_saveexec_b64 s[38:39], s[12:13]
	s_cbranch_execnz .LBB44_302
.LBB44_235:
	s_or_b64 exec, exec, s[38:39]
	s_and_saveexec_b64 s[38:39], s[10:11]
	s_cbranch_execnz .LBB44_303
.LBB44_236:
	s_or_b64 exec, exec, s[38:39]
	s_and_saveexec_b64 s[38:39], s[8:9]
	s_cbranch_execnz .LBB44_304
.LBB44_237:
	s_or_b64 exec, exec, s[38:39]
	s_and_saveexec_b64 s[38:39], s[6:7]
	s_cbranch_execnz .LBB44_305
.LBB44_238:
	s_or_b64 exec, exec, s[38:39]
	s_and_saveexec_b64 s[38:39], s[4:5]
	s_cbranch_execz .LBB44_240
.LBB44_239:
	v_sub_u32_e32 v54, v37, v62
	v_mov_b32_e32 v55, 0
	v_lshlrev_b64 v[54:55], 3, v[54:55]
	v_add_co_u32_e32 v54, vcc, v50, v54
	v_addc_co_u32_e32 v55, vcc, v51, v55, vcc
	global_store_dwordx2 v[54:55], v[4:5], off
.LBB44_240:
	s_or_b64 exec, exec, s[38:39]
	s_and_b64 s[38:39], s[2:3], exec
	s_andn2_saveexec_b64 s[34:35], s[34:35]
	s_cbranch_execz .LBB44_190
.LBB44_241:
	v_sub_u32_e32 v54, v59, v62
	v_mov_b32_e32 v55, 0
	v_lshlrev_b64 v[56:57], 3, v[54:55]
	v_add_co_u32_e32 v56, vcc, v50, v56
	v_addc_co_u32_e32 v57, vcc, v51, v57, vcc
	v_sub_u32_e32 v54, v49, v62
	global_store_dwordx2 v[56:57], v[26:27], off
	v_lshlrev_b64 v[56:57], 3, v[54:55]
	v_add_co_u32_e32 v56, vcc, v50, v56
	v_addc_co_u32_e32 v57, vcc, v51, v57, vcc
	v_sub_u32_e32 v54, v48, v62
	global_store_dwordx2 v[56:57], v[28:29], off
	;; [unrolled: 5-line block ×12, first 2 shown]
	v_lshlrev_b64 v[56:57], 3, v[54:55]
	v_add_co_u32_e32 v56, vcc, v50, v56
	v_sub_u32_e32 v54, v37, v62
	v_addc_co_u32_e32 v57, vcc, v51, v57, vcc
	v_lshlrev_b64 v[54:55], 3, v[54:55]
	v_add_co_u32_e32 v54, vcc, v50, v54
	v_addc_co_u32_e32 v55, vcc, v51, v55, vcc
	s_or_b64 s[38:39], s[38:39], exec
	global_store_dwordx2 v[56:57], v[2:3], off
	global_store_dwordx2 v[54:55], v[4:5], off
	s_or_b64 exec, exec, s[34:35]
	s_and_b64 exec, exec, s[38:39]
	s_cbranch_execnz .LBB44_191
	s_branch .LBB44_192
.LBB44_242:
	s_and_saveexec_b64 s[38:39], s[30:31]
	s_cbranch_execnz .LBB44_306
; %bb.243:
	s_or_b64 exec, exec, s[38:39]
	s_and_saveexec_b64 s[30:31], s[28:29]
	s_cbranch_execnz .LBB44_307
.LBB44_244:
	s_or_b64 exec, exec, s[30:31]
	s_and_saveexec_b64 s[28:29], s[26:27]
	s_cbranch_execnz .LBB44_308
.LBB44_245:
	s_or_b64 exec, exec, s[28:29]
	s_and_saveexec_b64 s[26:27], s[24:25]
	s_cbranch_execnz .LBB44_309
.LBB44_246:
	s_or_b64 exec, exec, s[26:27]
	s_and_saveexec_b64 s[24:25], s[22:23]
	s_cbranch_execnz .LBB44_310
.LBB44_247:
	s_or_b64 exec, exec, s[24:25]
	s_and_saveexec_b64 s[22:23], s[20:21]
	s_cbranch_execnz .LBB44_311
.LBB44_248:
	s_or_b64 exec, exec, s[22:23]
	s_and_saveexec_b64 s[20:21], s[18:19]
	s_cbranch_execnz .LBB44_312
.LBB44_249:
	s_or_b64 exec, exec, s[20:21]
	s_and_saveexec_b64 s[18:19], s[16:17]
	s_cbranch_execnz .LBB44_313
.LBB44_250:
	s_or_b64 exec, exec, s[18:19]
	s_and_saveexec_b64 s[16:17], s[14:15]
	s_cbranch_execnz .LBB44_314
.LBB44_251:
	s_or_b64 exec, exec, s[16:17]
	s_and_saveexec_b64 s[14:15], s[12:13]
	s_cbranch_execnz .LBB44_315
.LBB44_252:
	s_or_b64 exec, exec, s[14:15]
	s_and_saveexec_b64 s[12:13], s[10:11]
	s_cbranch_execnz .LBB44_316
.LBB44_253:
	s_or_b64 exec, exec, s[12:13]
	s_and_saveexec_b64 s[10:11], s[8:9]
	s_cbranch_execnz .LBB44_317
.LBB44_254:
	s_or_b64 exec, exec, s[10:11]
	s_and_saveexec_b64 s[8:9], s[6:7]
	s_cbranch_execnz .LBB44_318
.LBB44_255:
	s_or_b64 exec, exec, s[8:9]
	s_and_saveexec_b64 s[6:7], s[4:5]
	s_cbranch_execz .LBB44_257
.LBB44_256:
	v_sub_u32_e32 v2, v37, v62
	v_lshlrev_b32_e32 v2, 3, v2
	ds_write_b64 v2, v[4:5]
.LBB44_257:
	s_or_b64 exec, exec, s[6:7]
	s_and_b64 s[38:39], s[2:3], exec
                                        ; implicit-def: $vgpr2_vgpr3
                                        ; implicit-def: $vgpr6_vgpr7
                                        ; implicit-def: $vgpr10_vgpr11
                                        ; implicit-def: $vgpr14_vgpr15
                                        ; implicit-def: $vgpr18_vgpr19
                                        ; implicit-def: $vgpr22_vgpr23
                                        ; implicit-def: $vgpr26_vgpr27
	s_andn2_saveexec_b64 s[2:3], s[36:37]
	s_cbranch_execz .LBB44_197
.LBB44_258:
	v_sub_u32_e32 v52, v59, v62
	v_lshlrev_b32_e32 v52, 3, v52
	ds_write_b64 v52, v[26:27]
	v_sub_u32_e32 v26, v49, v62
	v_lshlrev_b32_e32 v26, 3, v26
	ds_write_b64 v26, v[28:29]
	;; [unrolled: 3-line block ×13, first 2 shown]
	v_sub_u32_e32 v2, v37, v62
	v_lshlrev_b32_e32 v2, 3, v2
	s_or_b64 s[38:39], s[38:39], exec
	ds_write_b64 v2, v[4:5]
	s_or_b64 exec, exec, s[2:3]
	s_and_b64 exec, exec, s[38:39]
	s_cbranch_execnz .LBB44_198
	s_branch .LBB44_199
.LBB44_259:
	s_and_saveexec_b64 s[36:37], s[28:29]
	s_cbranch_execnz .LBB44_319
; %bb.260:
	s_or_b64 exec, exec, s[36:37]
	s_and_saveexec_b64 s[36:37], s[26:27]
	s_cbranch_execnz .LBB44_320
.LBB44_261:
	s_or_b64 exec, exec, s[36:37]
	s_and_saveexec_b64 s[36:37], s[24:25]
	s_cbranch_execnz .LBB44_321
.LBB44_262:
	s_or_b64 exec, exec, s[36:37]
	s_and_saveexec_b64 s[36:37], s[22:23]
	s_cbranch_execnz .LBB44_322
.LBB44_263:
	s_or_b64 exec, exec, s[36:37]
	s_and_saveexec_b64 s[36:37], s[20:21]
	s_cbranch_execnz .LBB44_323
.LBB44_264:
	s_or_b64 exec, exec, s[36:37]
	s_and_saveexec_b64 s[36:37], s[18:19]
	s_cbranch_execnz .LBB44_324
.LBB44_265:
	s_or_b64 exec, exec, s[36:37]
	s_and_saveexec_b64 s[36:37], s[16:17]
	s_cbranch_execnz .LBB44_325
.LBB44_266:
	s_or_b64 exec, exec, s[36:37]
	s_and_saveexec_b64 s[36:37], s[14:15]
	s_cbranch_execnz .LBB44_326
.LBB44_267:
	s_or_b64 exec, exec, s[36:37]
	s_and_saveexec_b64 s[36:37], s[12:13]
	s_cbranch_execnz .LBB44_327
.LBB44_268:
	s_or_b64 exec, exec, s[36:37]
	s_and_saveexec_b64 s[36:37], s[10:11]
	s_cbranch_execnz .LBB44_328
.LBB44_269:
	s_or_b64 exec, exec, s[36:37]
	s_and_saveexec_b64 s[36:37], s[8:9]
	s_cbranch_execnz .LBB44_329
.LBB44_270:
	s_or_b64 exec, exec, s[36:37]
	s_and_saveexec_b64 s[36:37], s[6:7]
	s_cbranch_execnz .LBB44_330
.LBB44_271:
	s_or_b64 exec, exec, s[36:37]
	s_and_saveexec_b64 s[36:37], s[4:5]
	s_cbranch_execnz .LBB44_331
.LBB44_272:
	s_or_b64 exec, exec, s[36:37]
	s_and_saveexec_b64 s[36:37], s[2:3]
	s_cbranch_execz .LBB44_274
.LBB44_273:
	v_sub_u32_e32 v8, v37, v2
	v_mov_b32_e32 v9, 0
	v_lshlrev_b64 v[8:9], 3, v[8:9]
	v_add_co_u32_e32 v8, vcc, v6, v8
	v_addc_co_u32_e32 v9, vcc, v7, v9, vcc
	global_store_dwordx2 v[8:9], v[66:67], off
.LBB44_274:
	s_or_b64 exec, exec, s[36:37]
	s_and_b64 s[36:37], s[0:1], exec
	s_andn2_saveexec_b64 s[30:31], s[30:31]
	s_cbranch_execz .LBB44_207
.LBB44_275:
	v_sub_u32_e32 v8, v59, v2
	v_mov_b32_e32 v9, 0
	v_lshlrev_b64 v[10:11], 3, v[8:9]
	v_add_co_u32_e32 v10, vcc, v6, v10
	v_addc_co_u32_e32 v11, vcc, v7, v11, vcc
	v_sub_u32_e32 v8, v49, v2
	global_store_dwordx2 v[10:11], v[96:97], off
	v_lshlrev_b64 v[10:11], 3, v[8:9]
	v_add_co_u32_e32 v10, vcc, v6, v10
	v_addc_co_u32_e32 v11, vcc, v7, v11, vcc
	v_sub_u32_e32 v8, v48, v2
	global_store_dwordx2 v[10:11], v[94:95], off
	;; [unrolled: 5-line block ×12, first 2 shown]
	v_lshlrev_b64 v[10:11], 3, v[8:9]
	v_add_co_u32_e32 v10, vcc, v6, v10
	v_sub_u32_e32 v8, v37, v2
	v_addc_co_u32_e32 v11, vcc, v7, v11, vcc
	v_lshlrev_b64 v[8:9], 3, v[8:9]
	v_add_co_u32_e32 v8, vcc, v6, v8
	v_addc_co_u32_e32 v9, vcc, v7, v9, vcc
	s_or_b64 s[36:37], s[36:37], exec
	global_store_dwordx2 v[10:11], v[68:69], off
	global_store_dwordx2 v[8:9], v[66:67], off
	s_or_b64 exec, exec, s[30:31]
	s_and_b64 exec, exec, s[36:37]
	s_cbranch_execnz .LBB44_208
	s_branch .LBB44_209
.LBB44_276:
	s_and_saveexec_b64 s[36:37], s[28:29]
	s_cbranch_execnz .LBB44_332
; %bb.277:
	s_or_b64 exec, exec, s[36:37]
	s_and_saveexec_b64 s[28:29], s[26:27]
	s_cbranch_execnz .LBB44_333
.LBB44_278:
	s_or_b64 exec, exec, s[28:29]
	s_and_saveexec_b64 s[26:27], s[24:25]
	s_cbranch_execnz .LBB44_334
.LBB44_279:
	s_or_b64 exec, exec, s[26:27]
	s_and_saveexec_b64 s[24:25], s[22:23]
	s_cbranch_execnz .LBB44_335
.LBB44_280:
	s_or_b64 exec, exec, s[24:25]
	s_and_saveexec_b64 s[22:23], s[20:21]
	s_cbranch_execnz .LBB44_336
.LBB44_281:
	s_or_b64 exec, exec, s[22:23]
	s_and_saveexec_b64 s[20:21], s[18:19]
	s_cbranch_execnz .LBB44_337
.LBB44_282:
	s_or_b64 exec, exec, s[20:21]
	s_and_saveexec_b64 s[18:19], s[16:17]
	s_cbranch_execnz .LBB44_338
.LBB44_283:
	s_or_b64 exec, exec, s[18:19]
	s_and_saveexec_b64 s[16:17], s[14:15]
	s_cbranch_execnz .LBB44_339
.LBB44_284:
	s_or_b64 exec, exec, s[16:17]
	s_and_saveexec_b64 s[14:15], s[12:13]
	s_cbranch_execnz .LBB44_340
.LBB44_285:
	s_or_b64 exec, exec, s[14:15]
	s_and_saveexec_b64 s[12:13], s[10:11]
	s_cbranch_execnz .LBB44_341
.LBB44_286:
	s_or_b64 exec, exec, s[12:13]
	s_and_saveexec_b64 s[10:11], s[8:9]
	s_cbranch_execnz .LBB44_342
.LBB44_287:
	s_or_b64 exec, exec, s[10:11]
	s_and_saveexec_b64 s[8:9], s[6:7]
	s_cbranch_execnz .LBB44_343
.LBB44_288:
	s_or_b64 exec, exec, s[8:9]
	s_and_saveexec_b64 s[6:7], s[4:5]
	s_cbranch_execnz .LBB44_344
.LBB44_289:
	s_or_b64 exec, exec, s[6:7]
	s_and_saveexec_b64 s[4:5], s[2:3]
	s_cbranch_execz .LBB44_291
.LBB44_290:
	v_sub_u32_e32 v3, v37, v2
	v_lshlrev_b32_e32 v3, 3, v3
	ds_write_b64 v3, v[66:67]
.LBB44_291:
	s_or_b64 exec, exec, s[4:5]
	s_and_b64 s[36:37], s[0:1], exec
                                        ; implicit-def: $vgpr96_vgpr97
                                        ; implicit-def: $vgpr94_vgpr95
                                        ; implicit-def: $vgpr92_vgpr93
                                        ; implicit-def: $vgpr90_vgpr91
                                        ; implicit-def: $vgpr88_vgpr89
                                        ; implicit-def: $vgpr86_vgpr87
                                        ; implicit-def: $vgpr84_vgpr85
                                        ; implicit-def: $vgpr82_vgpr83
                                        ; implicit-def: $vgpr80_vgpr81
                                        ; implicit-def: $vgpr78_vgpr79
                                        ; implicit-def: $vgpr76_vgpr77
                                        ; implicit-def: $vgpr70_vgpr71
                                        ; implicit-def: $vgpr68_vgpr69
                                        ; implicit-def: $vgpr66_vgpr67
                                        ; implicit-def: $vgpr59
                                        ; implicit-def: $vgpr49
                                        ; implicit-def: $vgpr48
                                        ; implicit-def: $vgpr47
                                        ; implicit-def: $vgpr46
                                        ; implicit-def: $vgpr45
                                        ; implicit-def: $vgpr44
                                        ; implicit-def: $vgpr43
                                        ; implicit-def: $vgpr42
                                        ; implicit-def: $vgpr41
                                        ; implicit-def: $vgpr40
                                        ; implicit-def: $vgpr39
                                        ; implicit-def: $vgpr38
                                        ; implicit-def: $vgpr37
	s_andn2_saveexec_b64 s[0:1], s[34:35]
	s_cbranch_execz .LBB44_214
.LBB44_292:
	v_sub_u32_e32 v3, v59, v2
	v_lshlrev_b32_e32 v3, 3, v3
	ds_write_b64 v3, v[96:97]
	v_sub_u32_e32 v3, v49, v2
	v_lshlrev_b32_e32 v3, 3, v3
	ds_write_b64 v3, v[94:95]
	;; [unrolled: 3-line block ×13, first 2 shown]
	v_sub_u32_e32 v3, v37, v2
	v_lshlrev_b32_e32 v3, 3, v3
	s_or_b64 s[36:37], s[36:37], exec
	ds_write_b64 v3, v[66:67]
	s_or_b64 exec, exec, s[0:1]
	s_and_b64 exec, exec, s[36:37]
	s_cbranch_execnz .LBB44_215
	s_branch .LBB44_216
.LBB44_293:
	v_sub_u32_e32 v54, v59, v62
	v_mov_b32_e32 v55, 0
	v_lshlrev_b64 v[54:55], 3, v[54:55]
	v_add_co_u32_e32 v54, vcc, v50, v54
	v_addc_co_u32_e32 v55, vcc, v51, v55, vcc
	global_store_dwordx2 v[54:55], v[26:27], off
	s_or_b64 exec, exec, s[38:39]
	s_and_saveexec_b64 s[38:39], s[28:29]
	s_cbranch_execz .LBB44_227
.LBB44_294:
	v_sub_u32_e32 v54, v49, v62
	v_mov_b32_e32 v55, 0
	v_lshlrev_b64 v[54:55], 3, v[54:55]
	v_add_co_u32_e32 v54, vcc, v50, v54
	v_addc_co_u32_e32 v55, vcc, v51, v55, vcc
	global_store_dwordx2 v[54:55], v[28:29], off
	s_or_b64 exec, exec, s[38:39]
	s_and_saveexec_b64 s[38:39], s[26:27]
	s_cbranch_execz .LBB44_228
.LBB44_295:
	v_sub_u32_e32 v54, v48, v62
	v_mov_b32_e32 v55, 0
	v_lshlrev_b64 v[54:55], 3, v[54:55]
	v_add_co_u32_e32 v54, vcc, v50, v54
	v_addc_co_u32_e32 v55, vcc, v51, v55, vcc
	global_store_dwordx2 v[54:55], v[22:23], off
	s_or_b64 exec, exec, s[38:39]
	s_and_saveexec_b64 s[38:39], s[24:25]
	s_cbranch_execz .LBB44_229
.LBB44_296:
	v_sub_u32_e32 v54, v47, v62
	v_mov_b32_e32 v55, 0
	v_lshlrev_b64 v[54:55], 3, v[54:55]
	v_add_co_u32_e32 v54, vcc, v50, v54
	v_addc_co_u32_e32 v55, vcc, v51, v55, vcc
	global_store_dwordx2 v[54:55], v[24:25], off
	s_or_b64 exec, exec, s[38:39]
	s_and_saveexec_b64 s[38:39], s[22:23]
	s_cbranch_execz .LBB44_230
.LBB44_297:
	v_sub_u32_e32 v54, v46, v62
	v_mov_b32_e32 v55, 0
	v_lshlrev_b64 v[54:55], 3, v[54:55]
	v_add_co_u32_e32 v54, vcc, v50, v54
	v_addc_co_u32_e32 v55, vcc, v51, v55, vcc
	global_store_dwordx2 v[54:55], v[18:19], off
	s_or_b64 exec, exec, s[38:39]
	s_and_saveexec_b64 s[38:39], s[20:21]
	s_cbranch_execz .LBB44_231
.LBB44_298:
	v_sub_u32_e32 v54, v45, v62
	v_mov_b32_e32 v55, 0
	v_lshlrev_b64 v[54:55], 3, v[54:55]
	v_add_co_u32_e32 v54, vcc, v50, v54
	v_addc_co_u32_e32 v55, vcc, v51, v55, vcc
	global_store_dwordx2 v[54:55], v[20:21], off
	s_or_b64 exec, exec, s[38:39]
	s_and_saveexec_b64 s[38:39], s[18:19]
	s_cbranch_execz .LBB44_232
.LBB44_299:
	v_sub_u32_e32 v54, v44, v62
	v_mov_b32_e32 v55, 0
	v_lshlrev_b64 v[54:55], 3, v[54:55]
	v_add_co_u32_e32 v54, vcc, v50, v54
	v_addc_co_u32_e32 v55, vcc, v51, v55, vcc
	global_store_dwordx2 v[54:55], v[14:15], off
	s_or_b64 exec, exec, s[38:39]
	s_and_saveexec_b64 s[38:39], s[16:17]
	s_cbranch_execz .LBB44_233
.LBB44_300:
	v_sub_u32_e32 v54, v43, v62
	v_mov_b32_e32 v55, 0
	v_lshlrev_b64 v[54:55], 3, v[54:55]
	v_add_co_u32_e32 v54, vcc, v50, v54
	v_addc_co_u32_e32 v55, vcc, v51, v55, vcc
	global_store_dwordx2 v[54:55], v[16:17], off
	s_or_b64 exec, exec, s[38:39]
	s_and_saveexec_b64 s[38:39], s[14:15]
	s_cbranch_execz .LBB44_234
.LBB44_301:
	v_sub_u32_e32 v54, v42, v62
	v_mov_b32_e32 v55, 0
	v_lshlrev_b64 v[54:55], 3, v[54:55]
	v_add_co_u32_e32 v54, vcc, v50, v54
	v_addc_co_u32_e32 v55, vcc, v51, v55, vcc
	global_store_dwordx2 v[54:55], v[10:11], off
	s_or_b64 exec, exec, s[38:39]
	s_and_saveexec_b64 s[38:39], s[12:13]
	s_cbranch_execz .LBB44_235
.LBB44_302:
	v_sub_u32_e32 v54, v41, v62
	v_mov_b32_e32 v55, 0
	v_lshlrev_b64 v[54:55], 3, v[54:55]
	v_add_co_u32_e32 v54, vcc, v50, v54
	v_addc_co_u32_e32 v55, vcc, v51, v55, vcc
	global_store_dwordx2 v[54:55], v[12:13], off
	s_or_b64 exec, exec, s[38:39]
	s_and_saveexec_b64 s[38:39], s[10:11]
	s_cbranch_execz .LBB44_236
.LBB44_303:
	v_sub_u32_e32 v54, v40, v62
	v_mov_b32_e32 v55, 0
	v_lshlrev_b64 v[54:55], 3, v[54:55]
	v_add_co_u32_e32 v54, vcc, v50, v54
	v_addc_co_u32_e32 v55, vcc, v51, v55, vcc
	global_store_dwordx2 v[54:55], v[6:7], off
	s_or_b64 exec, exec, s[38:39]
	s_and_saveexec_b64 s[38:39], s[8:9]
	s_cbranch_execz .LBB44_237
.LBB44_304:
	v_sub_u32_e32 v54, v39, v62
	v_mov_b32_e32 v55, 0
	v_lshlrev_b64 v[54:55], 3, v[54:55]
	v_add_co_u32_e32 v54, vcc, v50, v54
	v_addc_co_u32_e32 v55, vcc, v51, v55, vcc
	global_store_dwordx2 v[54:55], v[8:9], off
	s_or_b64 exec, exec, s[38:39]
	s_and_saveexec_b64 s[38:39], s[6:7]
	s_cbranch_execz .LBB44_238
.LBB44_305:
	v_sub_u32_e32 v54, v38, v62
	v_mov_b32_e32 v55, 0
	v_lshlrev_b64 v[54:55], 3, v[54:55]
	v_add_co_u32_e32 v54, vcc, v50, v54
	v_addc_co_u32_e32 v55, vcc, v51, v55, vcc
	global_store_dwordx2 v[54:55], v[2:3], off
	s_or_b64 exec, exec, s[38:39]
	s_and_saveexec_b64 s[38:39], s[4:5]
	s_cbranch_execnz .LBB44_239
	s_branch .LBB44_240
.LBB44_306:
	v_sub_u32_e32 v52, v59, v62
	v_lshlrev_b32_e32 v52, 3, v52
	ds_write_b64 v52, v[26:27]
	s_or_b64 exec, exec, s[38:39]
	s_and_saveexec_b64 s[30:31], s[28:29]
	s_cbranch_execz .LBB44_244
.LBB44_307:
	v_sub_u32_e32 v26, v49, v62
	v_lshlrev_b32_e32 v26, 3, v26
	ds_write_b64 v26, v[28:29]
	s_or_b64 exec, exec, s[30:31]
	s_and_saveexec_b64 s[28:29], s[26:27]
	s_cbranch_execz .LBB44_245
.LBB44_308:
	v_sub_u32_e32 v26, v48, v62
	v_lshlrev_b32_e32 v26, 3, v26
	ds_write_b64 v26, v[22:23]
	s_or_b64 exec, exec, s[28:29]
	s_and_saveexec_b64 s[26:27], s[24:25]
	s_cbranch_execz .LBB44_246
.LBB44_309:
	v_sub_u32_e32 v22, v47, v62
	v_lshlrev_b32_e32 v22, 3, v22
	ds_write_b64 v22, v[24:25]
	s_or_b64 exec, exec, s[26:27]
	s_and_saveexec_b64 s[24:25], s[22:23]
	s_cbranch_execz .LBB44_247
.LBB44_310:
	v_sub_u32_e32 v22, v46, v62
	v_lshlrev_b32_e32 v22, 3, v22
	ds_write_b64 v22, v[18:19]
	s_or_b64 exec, exec, s[24:25]
	s_and_saveexec_b64 s[22:23], s[20:21]
	s_cbranch_execz .LBB44_248
.LBB44_311:
	v_sub_u32_e32 v18, v45, v62
	v_lshlrev_b32_e32 v18, 3, v18
	ds_write_b64 v18, v[20:21]
	s_or_b64 exec, exec, s[22:23]
	s_and_saveexec_b64 s[20:21], s[18:19]
	s_cbranch_execz .LBB44_249
.LBB44_312:
	v_sub_u32_e32 v18, v44, v62
	v_lshlrev_b32_e32 v18, 3, v18
	ds_write_b64 v18, v[14:15]
	s_or_b64 exec, exec, s[20:21]
	s_and_saveexec_b64 s[18:19], s[16:17]
	s_cbranch_execz .LBB44_250
.LBB44_313:
	v_sub_u32_e32 v14, v43, v62
	v_lshlrev_b32_e32 v14, 3, v14
	ds_write_b64 v14, v[16:17]
	s_or_b64 exec, exec, s[18:19]
	s_and_saveexec_b64 s[16:17], s[14:15]
	s_cbranch_execz .LBB44_251
.LBB44_314:
	v_sub_u32_e32 v14, v42, v62
	v_lshlrev_b32_e32 v14, 3, v14
	ds_write_b64 v14, v[10:11]
	s_or_b64 exec, exec, s[16:17]
	s_and_saveexec_b64 s[14:15], s[12:13]
	s_cbranch_execz .LBB44_252
.LBB44_315:
	v_sub_u32_e32 v10, v41, v62
	v_lshlrev_b32_e32 v10, 3, v10
	ds_write_b64 v10, v[12:13]
	s_or_b64 exec, exec, s[14:15]
	s_and_saveexec_b64 s[12:13], s[10:11]
	s_cbranch_execz .LBB44_253
.LBB44_316:
	v_sub_u32_e32 v10, v40, v62
	v_lshlrev_b32_e32 v10, 3, v10
	ds_write_b64 v10, v[6:7]
	s_or_b64 exec, exec, s[12:13]
	s_and_saveexec_b64 s[10:11], s[8:9]
	s_cbranch_execz .LBB44_254
.LBB44_317:
	v_sub_u32_e32 v6, v39, v62
	v_lshlrev_b32_e32 v6, 3, v6
	ds_write_b64 v6, v[8:9]
	s_or_b64 exec, exec, s[10:11]
	s_and_saveexec_b64 s[8:9], s[6:7]
	s_cbranch_execz .LBB44_255
.LBB44_318:
	v_sub_u32_e32 v6, v38, v62
	v_lshlrev_b32_e32 v6, 3, v6
	ds_write_b64 v6, v[2:3]
	s_or_b64 exec, exec, s[8:9]
	s_and_saveexec_b64 s[6:7], s[4:5]
	s_cbranch_execnz .LBB44_256
	s_branch .LBB44_257
.LBB44_319:
	v_sub_u32_e32 v8, v59, v2
	v_mov_b32_e32 v9, 0
	v_lshlrev_b64 v[8:9], 3, v[8:9]
	v_add_co_u32_e32 v8, vcc, v6, v8
	v_addc_co_u32_e32 v9, vcc, v7, v9, vcc
	global_store_dwordx2 v[8:9], v[96:97], off
	s_or_b64 exec, exec, s[36:37]
	s_and_saveexec_b64 s[36:37], s[26:27]
	s_cbranch_execz .LBB44_261
.LBB44_320:
	v_sub_u32_e32 v8, v49, v2
	v_mov_b32_e32 v9, 0
	v_lshlrev_b64 v[8:9], 3, v[8:9]
	v_add_co_u32_e32 v8, vcc, v6, v8
	v_addc_co_u32_e32 v9, vcc, v7, v9, vcc
	global_store_dwordx2 v[8:9], v[94:95], off
	s_or_b64 exec, exec, s[36:37]
	s_and_saveexec_b64 s[36:37], s[24:25]
	s_cbranch_execz .LBB44_262
.LBB44_321:
	v_sub_u32_e32 v8, v48, v2
	v_mov_b32_e32 v9, 0
	v_lshlrev_b64 v[8:9], 3, v[8:9]
	v_add_co_u32_e32 v8, vcc, v6, v8
	v_addc_co_u32_e32 v9, vcc, v7, v9, vcc
	global_store_dwordx2 v[8:9], v[92:93], off
	s_or_b64 exec, exec, s[36:37]
	s_and_saveexec_b64 s[36:37], s[22:23]
	s_cbranch_execz .LBB44_263
.LBB44_322:
	v_sub_u32_e32 v8, v47, v2
	v_mov_b32_e32 v9, 0
	v_lshlrev_b64 v[8:9], 3, v[8:9]
	v_add_co_u32_e32 v8, vcc, v6, v8
	v_addc_co_u32_e32 v9, vcc, v7, v9, vcc
	global_store_dwordx2 v[8:9], v[90:91], off
	s_or_b64 exec, exec, s[36:37]
	s_and_saveexec_b64 s[36:37], s[20:21]
	s_cbranch_execz .LBB44_264
.LBB44_323:
	v_sub_u32_e32 v8, v46, v2
	v_mov_b32_e32 v9, 0
	v_lshlrev_b64 v[8:9], 3, v[8:9]
	v_add_co_u32_e32 v8, vcc, v6, v8
	v_addc_co_u32_e32 v9, vcc, v7, v9, vcc
	global_store_dwordx2 v[8:9], v[88:89], off
	s_or_b64 exec, exec, s[36:37]
	s_and_saveexec_b64 s[36:37], s[18:19]
	s_cbranch_execz .LBB44_265
.LBB44_324:
	v_sub_u32_e32 v8, v45, v2
	v_mov_b32_e32 v9, 0
	v_lshlrev_b64 v[8:9], 3, v[8:9]
	v_add_co_u32_e32 v8, vcc, v6, v8
	v_addc_co_u32_e32 v9, vcc, v7, v9, vcc
	global_store_dwordx2 v[8:9], v[86:87], off
	s_or_b64 exec, exec, s[36:37]
	s_and_saveexec_b64 s[36:37], s[16:17]
	s_cbranch_execz .LBB44_266
.LBB44_325:
	v_sub_u32_e32 v8, v44, v2
	v_mov_b32_e32 v9, 0
	v_lshlrev_b64 v[8:9], 3, v[8:9]
	v_add_co_u32_e32 v8, vcc, v6, v8
	v_addc_co_u32_e32 v9, vcc, v7, v9, vcc
	global_store_dwordx2 v[8:9], v[84:85], off
	s_or_b64 exec, exec, s[36:37]
	s_and_saveexec_b64 s[36:37], s[14:15]
	s_cbranch_execz .LBB44_267
.LBB44_326:
	v_sub_u32_e32 v8, v43, v2
	v_mov_b32_e32 v9, 0
	v_lshlrev_b64 v[8:9], 3, v[8:9]
	v_add_co_u32_e32 v8, vcc, v6, v8
	v_addc_co_u32_e32 v9, vcc, v7, v9, vcc
	global_store_dwordx2 v[8:9], v[82:83], off
	s_or_b64 exec, exec, s[36:37]
	s_and_saveexec_b64 s[36:37], s[12:13]
	s_cbranch_execz .LBB44_268
.LBB44_327:
	v_sub_u32_e32 v8, v42, v2
	v_mov_b32_e32 v9, 0
	v_lshlrev_b64 v[8:9], 3, v[8:9]
	v_add_co_u32_e32 v8, vcc, v6, v8
	v_addc_co_u32_e32 v9, vcc, v7, v9, vcc
	global_store_dwordx2 v[8:9], v[80:81], off
	s_or_b64 exec, exec, s[36:37]
	s_and_saveexec_b64 s[36:37], s[10:11]
	s_cbranch_execz .LBB44_269
.LBB44_328:
	v_sub_u32_e32 v8, v41, v2
	v_mov_b32_e32 v9, 0
	v_lshlrev_b64 v[8:9], 3, v[8:9]
	v_add_co_u32_e32 v8, vcc, v6, v8
	v_addc_co_u32_e32 v9, vcc, v7, v9, vcc
	global_store_dwordx2 v[8:9], v[78:79], off
	s_or_b64 exec, exec, s[36:37]
	s_and_saveexec_b64 s[36:37], s[8:9]
	s_cbranch_execz .LBB44_270
.LBB44_329:
	v_sub_u32_e32 v8, v40, v2
	v_mov_b32_e32 v9, 0
	v_lshlrev_b64 v[8:9], 3, v[8:9]
	v_add_co_u32_e32 v8, vcc, v6, v8
	v_addc_co_u32_e32 v9, vcc, v7, v9, vcc
	global_store_dwordx2 v[8:9], v[76:77], off
	s_or_b64 exec, exec, s[36:37]
	s_and_saveexec_b64 s[36:37], s[6:7]
	s_cbranch_execz .LBB44_271
.LBB44_330:
	v_sub_u32_e32 v8, v39, v2
	v_mov_b32_e32 v9, 0
	v_lshlrev_b64 v[8:9], 3, v[8:9]
	v_add_co_u32_e32 v8, vcc, v6, v8
	v_addc_co_u32_e32 v9, vcc, v7, v9, vcc
	global_store_dwordx2 v[8:9], v[70:71], off
	s_or_b64 exec, exec, s[36:37]
	s_and_saveexec_b64 s[36:37], s[4:5]
	s_cbranch_execz .LBB44_272
.LBB44_331:
	v_sub_u32_e32 v8, v38, v2
	v_mov_b32_e32 v9, 0
	v_lshlrev_b64 v[8:9], 3, v[8:9]
	v_add_co_u32_e32 v8, vcc, v6, v8
	v_addc_co_u32_e32 v9, vcc, v7, v9, vcc
	global_store_dwordx2 v[8:9], v[68:69], off
	s_or_b64 exec, exec, s[36:37]
	s_and_saveexec_b64 s[36:37], s[2:3]
	s_cbranch_execnz .LBB44_273
	s_branch .LBB44_274
.LBB44_332:
	v_sub_u32_e32 v3, v59, v2
	v_lshlrev_b32_e32 v3, 3, v3
	ds_write_b64 v3, v[96:97]
	s_or_b64 exec, exec, s[36:37]
	s_and_saveexec_b64 s[28:29], s[26:27]
	s_cbranch_execz .LBB44_278
.LBB44_333:
	v_sub_u32_e32 v3, v49, v2
	v_lshlrev_b32_e32 v3, 3, v3
	ds_write_b64 v3, v[94:95]
	s_or_b64 exec, exec, s[28:29]
	s_and_saveexec_b64 s[26:27], s[24:25]
	s_cbranch_execz .LBB44_279
.LBB44_334:
	v_sub_u32_e32 v3, v48, v2
	v_lshlrev_b32_e32 v3, 3, v3
	ds_write_b64 v3, v[92:93]
	s_or_b64 exec, exec, s[26:27]
	s_and_saveexec_b64 s[24:25], s[22:23]
	s_cbranch_execz .LBB44_280
.LBB44_335:
	v_sub_u32_e32 v3, v47, v2
	v_lshlrev_b32_e32 v3, 3, v3
	ds_write_b64 v3, v[90:91]
	s_or_b64 exec, exec, s[24:25]
	s_and_saveexec_b64 s[22:23], s[20:21]
	s_cbranch_execz .LBB44_281
.LBB44_336:
	v_sub_u32_e32 v3, v46, v2
	v_lshlrev_b32_e32 v3, 3, v3
	ds_write_b64 v3, v[88:89]
	s_or_b64 exec, exec, s[22:23]
	s_and_saveexec_b64 s[20:21], s[18:19]
	s_cbranch_execz .LBB44_282
.LBB44_337:
	v_sub_u32_e32 v3, v45, v2
	v_lshlrev_b32_e32 v3, 3, v3
	ds_write_b64 v3, v[86:87]
	s_or_b64 exec, exec, s[20:21]
	s_and_saveexec_b64 s[18:19], s[16:17]
	s_cbranch_execz .LBB44_283
.LBB44_338:
	v_sub_u32_e32 v3, v44, v2
	v_lshlrev_b32_e32 v3, 3, v3
	ds_write_b64 v3, v[84:85]
	s_or_b64 exec, exec, s[18:19]
	s_and_saveexec_b64 s[16:17], s[14:15]
	s_cbranch_execz .LBB44_284
.LBB44_339:
	v_sub_u32_e32 v3, v43, v2
	v_lshlrev_b32_e32 v3, 3, v3
	ds_write_b64 v3, v[82:83]
	s_or_b64 exec, exec, s[16:17]
	s_and_saveexec_b64 s[14:15], s[12:13]
	s_cbranch_execz .LBB44_285
.LBB44_340:
	v_sub_u32_e32 v3, v42, v2
	v_lshlrev_b32_e32 v3, 3, v3
	ds_write_b64 v3, v[80:81]
	s_or_b64 exec, exec, s[14:15]
	s_and_saveexec_b64 s[12:13], s[10:11]
	s_cbranch_execz .LBB44_286
.LBB44_341:
	v_sub_u32_e32 v3, v41, v2
	v_lshlrev_b32_e32 v3, 3, v3
	ds_write_b64 v3, v[78:79]
	s_or_b64 exec, exec, s[12:13]
	s_and_saveexec_b64 s[10:11], s[8:9]
	s_cbranch_execz .LBB44_287
.LBB44_342:
	v_sub_u32_e32 v3, v40, v2
	v_lshlrev_b32_e32 v3, 3, v3
	ds_write_b64 v3, v[76:77]
	s_or_b64 exec, exec, s[10:11]
	s_and_saveexec_b64 s[8:9], s[6:7]
	s_cbranch_execz .LBB44_288
.LBB44_343:
	v_sub_u32_e32 v3, v39, v2
	v_lshlrev_b32_e32 v3, 3, v3
	ds_write_b64 v3, v[70:71]
	s_or_b64 exec, exec, s[8:9]
	s_and_saveexec_b64 s[6:7], s[4:5]
	s_cbranch_execz .LBB44_289
.LBB44_344:
	v_sub_u32_e32 v3, v38, v2
	v_lshlrev_b32_e32 v3, 3, v3
	ds_write_b64 v3, v[68:69]
	s_or_b64 exec, exec, s[6:7]
	s_and_saveexec_b64 s[4:5], s[2:3]
	s_cbranch_execnz .LBB44_290
	s_branch .LBB44_291
	.section	.rodata,"a",@progbits
	.p2align	6, 0x0
	.amdhsa_kernel _ZN7rocprim17ROCPRIM_400000_NS6detail17trampoline_kernelINS0_14default_configENS1_29reduce_by_key_config_selectorIddN6thrust23THRUST_200600_302600_NS4plusIdEEEEZZNS1_33reduce_by_key_impl_wrapped_configILNS1_25lookback_scan_determinismE0ES3_S9_NS6_6detail15normal_iteratorINS6_10device_ptrIdEEEESG_SG_SG_PmS8_NS6_8equal_toIdEEEE10hipError_tPvRmT2_T3_mT4_T5_T6_T7_T8_P12ihipStream_tbENKUlT_T0_E_clISt17integral_constantIbLb0EES10_IbLb1EEEEDaSW_SX_EUlSW_E_NS1_11comp_targetILNS1_3genE4ELNS1_11target_archE910ELNS1_3gpuE8ELNS1_3repE0EEENS1_30default_config_static_selectorELNS0_4arch9wavefront6targetE1EEEvT1_
		.amdhsa_group_segment_fixed_size 30720
		.amdhsa_private_segment_fixed_size 0
		.amdhsa_kernarg_size 136
		.amdhsa_user_sgpr_count 6
		.amdhsa_user_sgpr_private_segment_buffer 1
		.amdhsa_user_sgpr_dispatch_ptr 0
		.amdhsa_user_sgpr_queue_ptr 0
		.amdhsa_user_sgpr_kernarg_segment_ptr 1
		.amdhsa_user_sgpr_dispatch_id 0
		.amdhsa_user_sgpr_flat_scratch_init 0
		.amdhsa_user_sgpr_kernarg_preload_length 0
		.amdhsa_user_sgpr_kernarg_preload_offset 0
		.amdhsa_user_sgpr_private_segment_size 0
		.amdhsa_uses_dynamic_stack 0
		.amdhsa_system_sgpr_private_segment_wavefront_offset 0
		.amdhsa_system_sgpr_workgroup_id_x 1
		.amdhsa_system_sgpr_workgroup_id_y 0
		.amdhsa_system_sgpr_workgroup_id_z 0
		.amdhsa_system_sgpr_workgroup_info 0
		.amdhsa_system_vgpr_workitem_id 0
		.amdhsa_next_free_vgpr 120
		.amdhsa_next_free_sgpr 66
		.amdhsa_accum_offset 120
		.amdhsa_reserve_vcc 1
		.amdhsa_reserve_flat_scratch 0
		.amdhsa_float_round_mode_32 0
		.amdhsa_float_round_mode_16_64 0
		.amdhsa_float_denorm_mode_32 3
		.amdhsa_float_denorm_mode_16_64 3
		.amdhsa_dx10_clamp 1
		.amdhsa_ieee_mode 1
		.amdhsa_fp16_overflow 0
		.amdhsa_tg_split 0
		.amdhsa_exception_fp_ieee_invalid_op 0
		.amdhsa_exception_fp_denorm_src 0
		.amdhsa_exception_fp_ieee_div_zero 0
		.amdhsa_exception_fp_ieee_overflow 0
		.amdhsa_exception_fp_ieee_underflow 0
		.amdhsa_exception_fp_ieee_inexact 0
		.amdhsa_exception_int_div_zero 0
	.end_amdhsa_kernel
	.section	.text._ZN7rocprim17ROCPRIM_400000_NS6detail17trampoline_kernelINS0_14default_configENS1_29reduce_by_key_config_selectorIddN6thrust23THRUST_200600_302600_NS4plusIdEEEEZZNS1_33reduce_by_key_impl_wrapped_configILNS1_25lookback_scan_determinismE0ES3_S9_NS6_6detail15normal_iteratorINS6_10device_ptrIdEEEESG_SG_SG_PmS8_NS6_8equal_toIdEEEE10hipError_tPvRmT2_T3_mT4_T5_T6_T7_T8_P12ihipStream_tbENKUlT_T0_E_clISt17integral_constantIbLb0EES10_IbLb1EEEEDaSW_SX_EUlSW_E_NS1_11comp_targetILNS1_3genE4ELNS1_11target_archE910ELNS1_3gpuE8ELNS1_3repE0EEENS1_30default_config_static_selectorELNS0_4arch9wavefront6targetE1EEEvT1_,"axG",@progbits,_ZN7rocprim17ROCPRIM_400000_NS6detail17trampoline_kernelINS0_14default_configENS1_29reduce_by_key_config_selectorIddN6thrust23THRUST_200600_302600_NS4plusIdEEEEZZNS1_33reduce_by_key_impl_wrapped_configILNS1_25lookback_scan_determinismE0ES3_S9_NS6_6detail15normal_iteratorINS6_10device_ptrIdEEEESG_SG_SG_PmS8_NS6_8equal_toIdEEEE10hipError_tPvRmT2_T3_mT4_T5_T6_T7_T8_P12ihipStream_tbENKUlT_T0_E_clISt17integral_constantIbLb0EES10_IbLb1EEEEDaSW_SX_EUlSW_E_NS1_11comp_targetILNS1_3genE4ELNS1_11target_archE910ELNS1_3gpuE8ELNS1_3repE0EEENS1_30default_config_static_selectorELNS0_4arch9wavefront6targetE1EEEvT1_,comdat
.Lfunc_end44:
	.size	_ZN7rocprim17ROCPRIM_400000_NS6detail17trampoline_kernelINS0_14default_configENS1_29reduce_by_key_config_selectorIddN6thrust23THRUST_200600_302600_NS4plusIdEEEEZZNS1_33reduce_by_key_impl_wrapped_configILNS1_25lookback_scan_determinismE0ES3_S9_NS6_6detail15normal_iteratorINS6_10device_ptrIdEEEESG_SG_SG_PmS8_NS6_8equal_toIdEEEE10hipError_tPvRmT2_T3_mT4_T5_T6_T7_T8_P12ihipStream_tbENKUlT_T0_E_clISt17integral_constantIbLb0EES10_IbLb1EEEEDaSW_SX_EUlSW_E_NS1_11comp_targetILNS1_3genE4ELNS1_11target_archE910ELNS1_3gpuE8ELNS1_3repE0EEENS1_30default_config_static_selectorELNS0_4arch9wavefront6targetE1EEEvT1_, .Lfunc_end44-_ZN7rocprim17ROCPRIM_400000_NS6detail17trampoline_kernelINS0_14default_configENS1_29reduce_by_key_config_selectorIddN6thrust23THRUST_200600_302600_NS4plusIdEEEEZZNS1_33reduce_by_key_impl_wrapped_configILNS1_25lookback_scan_determinismE0ES3_S9_NS6_6detail15normal_iteratorINS6_10device_ptrIdEEEESG_SG_SG_PmS8_NS6_8equal_toIdEEEE10hipError_tPvRmT2_T3_mT4_T5_T6_T7_T8_P12ihipStream_tbENKUlT_T0_E_clISt17integral_constantIbLb0EES10_IbLb1EEEEDaSW_SX_EUlSW_E_NS1_11comp_targetILNS1_3genE4ELNS1_11target_archE910ELNS1_3gpuE8ELNS1_3repE0EEENS1_30default_config_static_selectorELNS0_4arch9wavefront6targetE1EEEvT1_
                                        ; -- End function
	.section	.AMDGPU.csdata,"",@progbits
; Kernel info:
; codeLenInByte = 16440
; NumSgprs: 70
; NumVgprs: 120
; NumAgprs: 0
; TotalNumVgprs: 120
; ScratchSize: 0
; MemoryBound: 0
; FloatMode: 240
; IeeeMode: 1
; LDSByteSize: 30720 bytes/workgroup (compile time only)
; SGPRBlocks: 8
; VGPRBlocks: 14
; NumSGPRsForWavesPerEU: 70
; NumVGPRsForWavesPerEU: 120
; AccumOffset: 120
; Occupancy: 2
; WaveLimiterHint : 1
; COMPUTE_PGM_RSRC2:SCRATCH_EN: 0
; COMPUTE_PGM_RSRC2:USER_SGPR: 6
; COMPUTE_PGM_RSRC2:TRAP_HANDLER: 0
; COMPUTE_PGM_RSRC2:TGID_X_EN: 1
; COMPUTE_PGM_RSRC2:TGID_Y_EN: 0
; COMPUTE_PGM_RSRC2:TGID_Z_EN: 0
; COMPUTE_PGM_RSRC2:TIDIG_COMP_CNT: 0
; COMPUTE_PGM_RSRC3_GFX90A:ACCUM_OFFSET: 29
; COMPUTE_PGM_RSRC3_GFX90A:TG_SPLIT: 0
	.section	.text._ZN7rocprim17ROCPRIM_400000_NS6detail17trampoline_kernelINS0_14default_configENS1_29reduce_by_key_config_selectorIddN6thrust23THRUST_200600_302600_NS4plusIdEEEEZZNS1_33reduce_by_key_impl_wrapped_configILNS1_25lookback_scan_determinismE0ES3_S9_NS6_6detail15normal_iteratorINS6_10device_ptrIdEEEESG_SG_SG_PmS8_NS6_8equal_toIdEEEE10hipError_tPvRmT2_T3_mT4_T5_T6_T7_T8_P12ihipStream_tbENKUlT_T0_E_clISt17integral_constantIbLb0EES10_IbLb1EEEEDaSW_SX_EUlSW_E_NS1_11comp_targetILNS1_3genE3ELNS1_11target_archE908ELNS1_3gpuE7ELNS1_3repE0EEENS1_30default_config_static_selectorELNS0_4arch9wavefront6targetE1EEEvT1_,"axG",@progbits,_ZN7rocprim17ROCPRIM_400000_NS6detail17trampoline_kernelINS0_14default_configENS1_29reduce_by_key_config_selectorIddN6thrust23THRUST_200600_302600_NS4plusIdEEEEZZNS1_33reduce_by_key_impl_wrapped_configILNS1_25lookback_scan_determinismE0ES3_S9_NS6_6detail15normal_iteratorINS6_10device_ptrIdEEEESG_SG_SG_PmS8_NS6_8equal_toIdEEEE10hipError_tPvRmT2_T3_mT4_T5_T6_T7_T8_P12ihipStream_tbENKUlT_T0_E_clISt17integral_constantIbLb0EES10_IbLb1EEEEDaSW_SX_EUlSW_E_NS1_11comp_targetILNS1_3genE3ELNS1_11target_archE908ELNS1_3gpuE7ELNS1_3repE0EEENS1_30default_config_static_selectorELNS0_4arch9wavefront6targetE1EEEvT1_,comdat
	.protected	_ZN7rocprim17ROCPRIM_400000_NS6detail17trampoline_kernelINS0_14default_configENS1_29reduce_by_key_config_selectorIddN6thrust23THRUST_200600_302600_NS4plusIdEEEEZZNS1_33reduce_by_key_impl_wrapped_configILNS1_25lookback_scan_determinismE0ES3_S9_NS6_6detail15normal_iteratorINS6_10device_ptrIdEEEESG_SG_SG_PmS8_NS6_8equal_toIdEEEE10hipError_tPvRmT2_T3_mT4_T5_T6_T7_T8_P12ihipStream_tbENKUlT_T0_E_clISt17integral_constantIbLb0EES10_IbLb1EEEEDaSW_SX_EUlSW_E_NS1_11comp_targetILNS1_3genE3ELNS1_11target_archE908ELNS1_3gpuE7ELNS1_3repE0EEENS1_30default_config_static_selectorELNS0_4arch9wavefront6targetE1EEEvT1_ ; -- Begin function _ZN7rocprim17ROCPRIM_400000_NS6detail17trampoline_kernelINS0_14default_configENS1_29reduce_by_key_config_selectorIddN6thrust23THRUST_200600_302600_NS4plusIdEEEEZZNS1_33reduce_by_key_impl_wrapped_configILNS1_25lookback_scan_determinismE0ES3_S9_NS6_6detail15normal_iteratorINS6_10device_ptrIdEEEESG_SG_SG_PmS8_NS6_8equal_toIdEEEE10hipError_tPvRmT2_T3_mT4_T5_T6_T7_T8_P12ihipStream_tbENKUlT_T0_E_clISt17integral_constantIbLb0EES10_IbLb1EEEEDaSW_SX_EUlSW_E_NS1_11comp_targetILNS1_3genE3ELNS1_11target_archE908ELNS1_3gpuE7ELNS1_3repE0EEENS1_30default_config_static_selectorELNS0_4arch9wavefront6targetE1EEEvT1_
	.globl	_ZN7rocprim17ROCPRIM_400000_NS6detail17trampoline_kernelINS0_14default_configENS1_29reduce_by_key_config_selectorIddN6thrust23THRUST_200600_302600_NS4plusIdEEEEZZNS1_33reduce_by_key_impl_wrapped_configILNS1_25lookback_scan_determinismE0ES3_S9_NS6_6detail15normal_iteratorINS6_10device_ptrIdEEEESG_SG_SG_PmS8_NS6_8equal_toIdEEEE10hipError_tPvRmT2_T3_mT4_T5_T6_T7_T8_P12ihipStream_tbENKUlT_T0_E_clISt17integral_constantIbLb0EES10_IbLb1EEEEDaSW_SX_EUlSW_E_NS1_11comp_targetILNS1_3genE3ELNS1_11target_archE908ELNS1_3gpuE7ELNS1_3repE0EEENS1_30default_config_static_selectorELNS0_4arch9wavefront6targetE1EEEvT1_
	.p2align	8
	.type	_ZN7rocprim17ROCPRIM_400000_NS6detail17trampoline_kernelINS0_14default_configENS1_29reduce_by_key_config_selectorIddN6thrust23THRUST_200600_302600_NS4plusIdEEEEZZNS1_33reduce_by_key_impl_wrapped_configILNS1_25lookback_scan_determinismE0ES3_S9_NS6_6detail15normal_iteratorINS6_10device_ptrIdEEEESG_SG_SG_PmS8_NS6_8equal_toIdEEEE10hipError_tPvRmT2_T3_mT4_T5_T6_T7_T8_P12ihipStream_tbENKUlT_T0_E_clISt17integral_constantIbLb0EES10_IbLb1EEEEDaSW_SX_EUlSW_E_NS1_11comp_targetILNS1_3genE3ELNS1_11target_archE908ELNS1_3gpuE7ELNS1_3repE0EEENS1_30default_config_static_selectorELNS0_4arch9wavefront6targetE1EEEvT1_,@function
_ZN7rocprim17ROCPRIM_400000_NS6detail17trampoline_kernelINS0_14default_configENS1_29reduce_by_key_config_selectorIddN6thrust23THRUST_200600_302600_NS4plusIdEEEEZZNS1_33reduce_by_key_impl_wrapped_configILNS1_25lookback_scan_determinismE0ES3_S9_NS6_6detail15normal_iteratorINS6_10device_ptrIdEEEESG_SG_SG_PmS8_NS6_8equal_toIdEEEE10hipError_tPvRmT2_T3_mT4_T5_T6_T7_T8_P12ihipStream_tbENKUlT_T0_E_clISt17integral_constantIbLb0EES10_IbLb1EEEEDaSW_SX_EUlSW_E_NS1_11comp_targetILNS1_3genE3ELNS1_11target_archE908ELNS1_3gpuE7ELNS1_3repE0EEENS1_30default_config_static_selectorELNS0_4arch9wavefront6targetE1EEEvT1_: ; @_ZN7rocprim17ROCPRIM_400000_NS6detail17trampoline_kernelINS0_14default_configENS1_29reduce_by_key_config_selectorIddN6thrust23THRUST_200600_302600_NS4plusIdEEEEZZNS1_33reduce_by_key_impl_wrapped_configILNS1_25lookback_scan_determinismE0ES3_S9_NS6_6detail15normal_iteratorINS6_10device_ptrIdEEEESG_SG_SG_PmS8_NS6_8equal_toIdEEEE10hipError_tPvRmT2_T3_mT4_T5_T6_T7_T8_P12ihipStream_tbENKUlT_T0_E_clISt17integral_constantIbLb0EES10_IbLb1EEEEDaSW_SX_EUlSW_E_NS1_11comp_targetILNS1_3genE3ELNS1_11target_archE908ELNS1_3gpuE7ELNS1_3repE0EEENS1_30default_config_static_selectorELNS0_4arch9wavefront6targetE1EEEvT1_
; %bb.0:
	.section	.rodata,"a",@progbits
	.p2align	6, 0x0
	.amdhsa_kernel _ZN7rocprim17ROCPRIM_400000_NS6detail17trampoline_kernelINS0_14default_configENS1_29reduce_by_key_config_selectorIddN6thrust23THRUST_200600_302600_NS4plusIdEEEEZZNS1_33reduce_by_key_impl_wrapped_configILNS1_25lookback_scan_determinismE0ES3_S9_NS6_6detail15normal_iteratorINS6_10device_ptrIdEEEESG_SG_SG_PmS8_NS6_8equal_toIdEEEE10hipError_tPvRmT2_T3_mT4_T5_T6_T7_T8_P12ihipStream_tbENKUlT_T0_E_clISt17integral_constantIbLb0EES10_IbLb1EEEEDaSW_SX_EUlSW_E_NS1_11comp_targetILNS1_3genE3ELNS1_11target_archE908ELNS1_3gpuE7ELNS1_3repE0EEENS1_30default_config_static_selectorELNS0_4arch9wavefront6targetE1EEEvT1_
		.amdhsa_group_segment_fixed_size 0
		.amdhsa_private_segment_fixed_size 0
		.amdhsa_kernarg_size 136
		.amdhsa_user_sgpr_count 6
		.amdhsa_user_sgpr_private_segment_buffer 1
		.amdhsa_user_sgpr_dispatch_ptr 0
		.amdhsa_user_sgpr_queue_ptr 0
		.amdhsa_user_sgpr_kernarg_segment_ptr 1
		.amdhsa_user_sgpr_dispatch_id 0
		.amdhsa_user_sgpr_flat_scratch_init 0
		.amdhsa_user_sgpr_kernarg_preload_length 0
		.amdhsa_user_sgpr_kernarg_preload_offset 0
		.amdhsa_user_sgpr_private_segment_size 0
		.amdhsa_uses_dynamic_stack 0
		.amdhsa_system_sgpr_private_segment_wavefront_offset 0
		.amdhsa_system_sgpr_workgroup_id_x 1
		.amdhsa_system_sgpr_workgroup_id_y 0
		.amdhsa_system_sgpr_workgroup_id_z 0
		.amdhsa_system_sgpr_workgroup_info 0
		.amdhsa_system_vgpr_workitem_id 0
		.amdhsa_next_free_vgpr 1
		.amdhsa_next_free_sgpr 0
		.amdhsa_accum_offset 4
		.amdhsa_reserve_vcc 0
		.amdhsa_reserve_flat_scratch 0
		.amdhsa_float_round_mode_32 0
		.amdhsa_float_round_mode_16_64 0
		.amdhsa_float_denorm_mode_32 3
		.amdhsa_float_denorm_mode_16_64 3
		.amdhsa_dx10_clamp 1
		.amdhsa_ieee_mode 1
		.amdhsa_fp16_overflow 0
		.amdhsa_tg_split 0
		.amdhsa_exception_fp_ieee_invalid_op 0
		.amdhsa_exception_fp_denorm_src 0
		.amdhsa_exception_fp_ieee_div_zero 0
		.amdhsa_exception_fp_ieee_overflow 0
		.amdhsa_exception_fp_ieee_underflow 0
		.amdhsa_exception_fp_ieee_inexact 0
		.amdhsa_exception_int_div_zero 0
	.end_amdhsa_kernel
	.section	.text._ZN7rocprim17ROCPRIM_400000_NS6detail17trampoline_kernelINS0_14default_configENS1_29reduce_by_key_config_selectorIddN6thrust23THRUST_200600_302600_NS4plusIdEEEEZZNS1_33reduce_by_key_impl_wrapped_configILNS1_25lookback_scan_determinismE0ES3_S9_NS6_6detail15normal_iteratorINS6_10device_ptrIdEEEESG_SG_SG_PmS8_NS6_8equal_toIdEEEE10hipError_tPvRmT2_T3_mT4_T5_T6_T7_T8_P12ihipStream_tbENKUlT_T0_E_clISt17integral_constantIbLb0EES10_IbLb1EEEEDaSW_SX_EUlSW_E_NS1_11comp_targetILNS1_3genE3ELNS1_11target_archE908ELNS1_3gpuE7ELNS1_3repE0EEENS1_30default_config_static_selectorELNS0_4arch9wavefront6targetE1EEEvT1_,"axG",@progbits,_ZN7rocprim17ROCPRIM_400000_NS6detail17trampoline_kernelINS0_14default_configENS1_29reduce_by_key_config_selectorIddN6thrust23THRUST_200600_302600_NS4plusIdEEEEZZNS1_33reduce_by_key_impl_wrapped_configILNS1_25lookback_scan_determinismE0ES3_S9_NS6_6detail15normal_iteratorINS6_10device_ptrIdEEEESG_SG_SG_PmS8_NS6_8equal_toIdEEEE10hipError_tPvRmT2_T3_mT4_T5_T6_T7_T8_P12ihipStream_tbENKUlT_T0_E_clISt17integral_constantIbLb0EES10_IbLb1EEEEDaSW_SX_EUlSW_E_NS1_11comp_targetILNS1_3genE3ELNS1_11target_archE908ELNS1_3gpuE7ELNS1_3repE0EEENS1_30default_config_static_selectorELNS0_4arch9wavefront6targetE1EEEvT1_,comdat
.Lfunc_end45:
	.size	_ZN7rocprim17ROCPRIM_400000_NS6detail17trampoline_kernelINS0_14default_configENS1_29reduce_by_key_config_selectorIddN6thrust23THRUST_200600_302600_NS4plusIdEEEEZZNS1_33reduce_by_key_impl_wrapped_configILNS1_25lookback_scan_determinismE0ES3_S9_NS6_6detail15normal_iteratorINS6_10device_ptrIdEEEESG_SG_SG_PmS8_NS6_8equal_toIdEEEE10hipError_tPvRmT2_T3_mT4_T5_T6_T7_T8_P12ihipStream_tbENKUlT_T0_E_clISt17integral_constantIbLb0EES10_IbLb1EEEEDaSW_SX_EUlSW_E_NS1_11comp_targetILNS1_3genE3ELNS1_11target_archE908ELNS1_3gpuE7ELNS1_3repE0EEENS1_30default_config_static_selectorELNS0_4arch9wavefront6targetE1EEEvT1_, .Lfunc_end45-_ZN7rocprim17ROCPRIM_400000_NS6detail17trampoline_kernelINS0_14default_configENS1_29reduce_by_key_config_selectorIddN6thrust23THRUST_200600_302600_NS4plusIdEEEEZZNS1_33reduce_by_key_impl_wrapped_configILNS1_25lookback_scan_determinismE0ES3_S9_NS6_6detail15normal_iteratorINS6_10device_ptrIdEEEESG_SG_SG_PmS8_NS6_8equal_toIdEEEE10hipError_tPvRmT2_T3_mT4_T5_T6_T7_T8_P12ihipStream_tbENKUlT_T0_E_clISt17integral_constantIbLb0EES10_IbLb1EEEEDaSW_SX_EUlSW_E_NS1_11comp_targetILNS1_3genE3ELNS1_11target_archE908ELNS1_3gpuE7ELNS1_3repE0EEENS1_30default_config_static_selectorELNS0_4arch9wavefront6targetE1EEEvT1_
                                        ; -- End function
	.section	.AMDGPU.csdata,"",@progbits
; Kernel info:
; codeLenInByte = 0
; NumSgprs: 4
; NumVgprs: 0
; NumAgprs: 0
; TotalNumVgprs: 0
; ScratchSize: 0
; MemoryBound: 0
; FloatMode: 240
; IeeeMode: 1
; LDSByteSize: 0 bytes/workgroup (compile time only)
; SGPRBlocks: 0
; VGPRBlocks: 0
; NumSGPRsForWavesPerEU: 4
; NumVGPRsForWavesPerEU: 1
; AccumOffset: 4
; Occupancy: 8
; WaveLimiterHint : 0
; COMPUTE_PGM_RSRC2:SCRATCH_EN: 0
; COMPUTE_PGM_RSRC2:USER_SGPR: 6
; COMPUTE_PGM_RSRC2:TRAP_HANDLER: 0
; COMPUTE_PGM_RSRC2:TGID_X_EN: 1
; COMPUTE_PGM_RSRC2:TGID_Y_EN: 0
; COMPUTE_PGM_RSRC2:TGID_Z_EN: 0
; COMPUTE_PGM_RSRC2:TIDIG_COMP_CNT: 0
; COMPUTE_PGM_RSRC3_GFX90A:ACCUM_OFFSET: 0
; COMPUTE_PGM_RSRC3_GFX90A:TG_SPLIT: 0
	.section	.text._ZN7rocprim17ROCPRIM_400000_NS6detail17trampoline_kernelINS0_14default_configENS1_29reduce_by_key_config_selectorIddN6thrust23THRUST_200600_302600_NS4plusIdEEEEZZNS1_33reduce_by_key_impl_wrapped_configILNS1_25lookback_scan_determinismE0ES3_S9_NS6_6detail15normal_iteratorINS6_10device_ptrIdEEEESG_SG_SG_PmS8_NS6_8equal_toIdEEEE10hipError_tPvRmT2_T3_mT4_T5_T6_T7_T8_P12ihipStream_tbENKUlT_T0_E_clISt17integral_constantIbLb0EES10_IbLb1EEEEDaSW_SX_EUlSW_E_NS1_11comp_targetILNS1_3genE2ELNS1_11target_archE906ELNS1_3gpuE6ELNS1_3repE0EEENS1_30default_config_static_selectorELNS0_4arch9wavefront6targetE1EEEvT1_,"axG",@progbits,_ZN7rocprim17ROCPRIM_400000_NS6detail17trampoline_kernelINS0_14default_configENS1_29reduce_by_key_config_selectorIddN6thrust23THRUST_200600_302600_NS4plusIdEEEEZZNS1_33reduce_by_key_impl_wrapped_configILNS1_25lookback_scan_determinismE0ES3_S9_NS6_6detail15normal_iteratorINS6_10device_ptrIdEEEESG_SG_SG_PmS8_NS6_8equal_toIdEEEE10hipError_tPvRmT2_T3_mT4_T5_T6_T7_T8_P12ihipStream_tbENKUlT_T0_E_clISt17integral_constantIbLb0EES10_IbLb1EEEEDaSW_SX_EUlSW_E_NS1_11comp_targetILNS1_3genE2ELNS1_11target_archE906ELNS1_3gpuE6ELNS1_3repE0EEENS1_30default_config_static_selectorELNS0_4arch9wavefront6targetE1EEEvT1_,comdat
	.protected	_ZN7rocprim17ROCPRIM_400000_NS6detail17trampoline_kernelINS0_14default_configENS1_29reduce_by_key_config_selectorIddN6thrust23THRUST_200600_302600_NS4plusIdEEEEZZNS1_33reduce_by_key_impl_wrapped_configILNS1_25lookback_scan_determinismE0ES3_S9_NS6_6detail15normal_iteratorINS6_10device_ptrIdEEEESG_SG_SG_PmS8_NS6_8equal_toIdEEEE10hipError_tPvRmT2_T3_mT4_T5_T6_T7_T8_P12ihipStream_tbENKUlT_T0_E_clISt17integral_constantIbLb0EES10_IbLb1EEEEDaSW_SX_EUlSW_E_NS1_11comp_targetILNS1_3genE2ELNS1_11target_archE906ELNS1_3gpuE6ELNS1_3repE0EEENS1_30default_config_static_selectorELNS0_4arch9wavefront6targetE1EEEvT1_ ; -- Begin function _ZN7rocprim17ROCPRIM_400000_NS6detail17trampoline_kernelINS0_14default_configENS1_29reduce_by_key_config_selectorIddN6thrust23THRUST_200600_302600_NS4plusIdEEEEZZNS1_33reduce_by_key_impl_wrapped_configILNS1_25lookback_scan_determinismE0ES3_S9_NS6_6detail15normal_iteratorINS6_10device_ptrIdEEEESG_SG_SG_PmS8_NS6_8equal_toIdEEEE10hipError_tPvRmT2_T3_mT4_T5_T6_T7_T8_P12ihipStream_tbENKUlT_T0_E_clISt17integral_constantIbLb0EES10_IbLb1EEEEDaSW_SX_EUlSW_E_NS1_11comp_targetILNS1_3genE2ELNS1_11target_archE906ELNS1_3gpuE6ELNS1_3repE0EEENS1_30default_config_static_selectorELNS0_4arch9wavefront6targetE1EEEvT1_
	.globl	_ZN7rocprim17ROCPRIM_400000_NS6detail17trampoline_kernelINS0_14default_configENS1_29reduce_by_key_config_selectorIddN6thrust23THRUST_200600_302600_NS4plusIdEEEEZZNS1_33reduce_by_key_impl_wrapped_configILNS1_25lookback_scan_determinismE0ES3_S9_NS6_6detail15normal_iteratorINS6_10device_ptrIdEEEESG_SG_SG_PmS8_NS6_8equal_toIdEEEE10hipError_tPvRmT2_T3_mT4_T5_T6_T7_T8_P12ihipStream_tbENKUlT_T0_E_clISt17integral_constantIbLb0EES10_IbLb1EEEEDaSW_SX_EUlSW_E_NS1_11comp_targetILNS1_3genE2ELNS1_11target_archE906ELNS1_3gpuE6ELNS1_3repE0EEENS1_30default_config_static_selectorELNS0_4arch9wavefront6targetE1EEEvT1_
	.p2align	8
	.type	_ZN7rocprim17ROCPRIM_400000_NS6detail17trampoline_kernelINS0_14default_configENS1_29reduce_by_key_config_selectorIddN6thrust23THRUST_200600_302600_NS4plusIdEEEEZZNS1_33reduce_by_key_impl_wrapped_configILNS1_25lookback_scan_determinismE0ES3_S9_NS6_6detail15normal_iteratorINS6_10device_ptrIdEEEESG_SG_SG_PmS8_NS6_8equal_toIdEEEE10hipError_tPvRmT2_T3_mT4_T5_T6_T7_T8_P12ihipStream_tbENKUlT_T0_E_clISt17integral_constantIbLb0EES10_IbLb1EEEEDaSW_SX_EUlSW_E_NS1_11comp_targetILNS1_3genE2ELNS1_11target_archE906ELNS1_3gpuE6ELNS1_3repE0EEENS1_30default_config_static_selectorELNS0_4arch9wavefront6targetE1EEEvT1_,@function
_ZN7rocprim17ROCPRIM_400000_NS6detail17trampoline_kernelINS0_14default_configENS1_29reduce_by_key_config_selectorIddN6thrust23THRUST_200600_302600_NS4plusIdEEEEZZNS1_33reduce_by_key_impl_wrapped_configILNS1_25lookback_scan_determinismE0ES3_S9_NS6_6detail15normal_iteratorINS6_10device_ptrIdEEEESG_SG_SG_PmS8_NS6_8equal_toIdEEEE10hipError_tPvRmT2_T3_mT4_T5_T6_T7_T8_P12ihipStream_tbENKUlT_T0_E_clISt17integral_constantIbLb0EES10_IbLb1EEEEDaSW_SX_EUlSW_E_NS1_11comp_targetILNS1_3genE2ELNS1_11target_archE906ELNS1_3gpuE6ELNS1_3repE0EEENS1_30default_config_static_selectorELNS0_4arch9wavefront6targetE1EEEvT1_: ; @_ZN7rocprim17ROCPRIM_400000_NS6detail17trampoline_kernelINS0_14default_configENS1_29reduce_by_key_config_selectorIddN6thrust23THRUST_200600_302600_NS4plusIdEEEEZZNS1_33reduce_by_key_impl_wrapped_configILNS1_25lookback_scan_determinismE0ES3_S9_NS6_6detail15normal_iteratorINS6_10device_ptrIdEEEESG_SG_SG_PmS8_NS6_8equal_toIdEEEE10hipError_tPvRmT2_T3_mT4_T5_T6_T7_T8_P12ihipStream_tbENKUlT_T0_E_clISt17integral_constantIbLb0EES10_IbLb1EEEEDaSW_SX_EUlSW_E_NS1_11comp_targetILNS1_3genE2ELNS1_11target_archE906ELNS1_3gpuE6ELNS1_3repE0EEENS1_30default_config_static_selectorELNS0_4arch9wavefront6targetE1EEEvT1_
; %bb.0:
	.section	.rodata,"a",@progbits
	.p2align	6, 0x0
	.amdhsa_kernel _ZN7rocprim17ROCPRIM_400000_NS6detail17trampoline_kernelINS0_14default_configENS1_29reduce_by_key_config_selectorIddN6thrust23THRUST_200600_302600_NS4plusIdEEEEZZNS1_33reduce_by_key_impl_wrapped_configILNS1_25lookback_scan_determinismE0ES3_S9_NS6_6detail15normal_iteratorINS6_10device_ptrIdEEEESG_SG_SG_PmS8_NS6_8equal_toIdEEEE10hipError_tPvRmT2_T3_mT4_T5_T6_T7_T8_P12ihipStream_tbENKUlT_T0_E_clISt17integral_constantIbLb0EES10_IbLb1EEEEDaSW_SX_EUlSW_E_NS1_11comp_targetILNS1_3genE2ELNS1_11target_archE906ELNS1_3gpuE6ELNS1_3repE0EEENS1_30default_config_static_selectorELNS0_4arch9wavefront6targetE1EEEvT1_
		.amdhsa_group_segment_fixed_size 0
		.amdhsa_private_segment_fixed_size 0
		.amdhsa_kernarg_size 136
		.amdhsa_user_sgpr_count 6
		.amdhsa_user_sgpr_private_segment_buffer 1
		.amdhsa_user_sgpr_dispatch_ptr 0
		.amdhsa_user_sgpr_queue_ptr 0
		.amdhsa_user_sgpr_kernarg_segment_ptr 1
		.amdhsa_user_sgpr_dispatch_id 0
		.amdhsa_user_sgpr_flat_scratch_init 0
		.amdhsa_user_sgpr_kernarg_preload_length 0
		.amdhsa_user_sgpr_kernarg_preload_offset 0
		.amdhsa_user_sgpr_private_segment_size 0
		.amdhsa_uses_dynamic_stack 0
		.amdhsa_system_sgpr_private_segment_wavefront_offset 0
		.amdhsa_system_sgpr_workgroup_id_x 1
		.amdhsa_system_sgpr_workgroup_id_y 0
		.amdhsa_system_sgpr_workgroup_id_z 0
		.amdhsa_system_sgpr_workgroup_info 0
		.amdhsa_system_vgpr_workitem_id 0
		.amdhsa_next_free_vgpr 1
		.amdhsa_next_free_sgpr 0
		.amdhsa_accum_offset 4
		.amdhsa_reserve_vcc 0
		.amdhsa_reserve_flat_scratch 0
		.amdhsa_float_round_mode_32 0
		.amdhsa_float_round_mode_16_64 0
		.amdhsa_float_denorm_mode_32 3
		.amdhsa_float_denorm_mode_16_64 3
		.amdhsa_dx10_clamp 1
		.amdhsa_ieee_mode 1
		.amdhsa_fp16_overflow 0
		.amdhsa_tg_split 0
		.amdhsa_exception_fp_ieee_invalid_op 0
		.amdhsa_exception_fp_denorm_src 0
		.amdhsa_exception_fp_ieee_div_zero 0
		.amdhsa_exception_fp_ieee_overflow 0
		.amdhsa_exception_fp_ieee_underflow 0
		.amdhsa_exception_fp_ieee_inexact 0
		.amdhsa_exception_int_div_zero 0
	.end_amdhsa_kernel
	.section	.text._ZN7rocprim17ROCPRIM_400000_NS6detail17trampoline_kernelINS0_14default_configENS1_29reduce_by_key_config_selectorIddN6thrust23THRUST_200600_302600_NS4plusIdEEEEZZNS1_33reduce_by_key_impl_wrapped_configILNS1_25lookback_scan_determinismE0ES3_S9_NS6_6detail15normal_iteratorINS6_10device_ptrIdEEEESG_SG_SG_PmS8_NS6_8equal_toIdEEEE10hipError_tPvRmT2_T3_mT4_T5_T6_T7_T8_P12ihipStream_tbENKUlT_T0_E_clISt17integral_constantIbLb0EES10_IbLb1EEEEDaSW_SX_EUlSW_E_NS1_11comp_targetILNS1_3genE2ELNS1_11target_archE906ELNS1_3gpuE6ELNS1_3repE0EEENS1_30default_config_static_selectorELNS0_4arch9wavefront6targetE1EEEvT1_,"axG",@progbits,_ZN7rocprim17ROCPRIM_400000_NS6detail17trampoline_kernelINS0_14default_configENS1_29reduce_by_key_config_selectorIddN6thrust23THRUST_200600_302600_NS4plusIdEEEEZZNS1_33reduce_by_key_impl_wrapped_configILNS1_25lookback_scan_determinismE0ES3_S9_NS6_6detail15normal_iteratorINS6_10device_ptrIdEEEESG_SG_SG_PmS8_NS6_8equal_toIdEEEE10hipError_tPvRmT2_T3_mT4_T5_T6_T7_T8_P12ihipStream_tbENKUlT_T0_E_clISt17integral_constantIbLb0EES10_IbLb1EEEEDaSW_SX_EUlSW_E_NS1_11comp_targetILNS1_3genE2ELNS1_11target_archE906ELNS1_3gpuE6ELNS1_3repE0EEENS1_30default_config_static_selectorELNS0_4arch9wavefront6targetE1EEEvT1_,comdat
.Lfunc_end46:
	.size	_ZN7rocprim17ROCPRIM_400000_NS6detail17trampoline_kernelINS0_14default_configENS1_29reduce_by_key_config_selectorIddN6thrust23THRUST_200600_302600_NS4plusIdEEEEZZNS1_33reduce_by_key_impl_wrapped_configILNS1_25lookback_scan_determinismE0ES3_S9_NS6_6detail15normal_iteratorINS6_10device_ptrIdEEEESG_SG_SG_PmS8_NS6_8equal_toIdEEEE10hipError_tPvRmT2_T3_mT4_T5_T6_T7_T8_P12ihipStream_tbENKUlT_T0_E_clISt17integral_constantIbLb0EES10_IbLb1EEEEDaSW_SX_EUlSW_E_NS1_11comp_targetILNS1_3genE2ELNS1_11target_archE906ELNS1_3gpuE6ELNS1_3repE0EEENS1_30default_config_static_selectorELNS0_4arch9wavefront6targetE1EEEvT1_, .Lfunc_end46-_ZN7rocprim17ROCPRIM_400000_NS6detail17trampoline_kernelINS0_14default_configENS1_29reduce_by_key_config_selectorIddN6thrust23THRUST_200600_302600_NS4plusIdEEEEZZNS1_33reduce_by_key_impl_wrapped_configILNS1_25lookback_scan_determinismE0ES3_S9_NS6_6detail15normal_iteratorINS6_10device_ptrIdEEEESG_SG_SG_PmS8_NS6_8equal_toIdEEEE10hipError_tPvRmT2_T3_mT4_T5_T6_T7_T8_P12ihipStream_tbENKUlT_T0_E_clISt17integral_constantIbLb0EES10_IbLb1EEEEDaSW_SX_EUlSW_E_NS1_11comp_targetILNS1_3genE2ELNS1_11target_archE906ELNS1_3gpuE6ELNS1_3repE0EEENS1_30default_config_static_selectorELNS0_4arch9wavefront6targetE1EEEvT1_
                                        ; -- End function
	.section	.AMDGPU.csdata,"",@progbits
; Kernel info:
; codeLenInByte = 0
; NumSgprs: 4
; NumVgprs: 0
; NumAgprs: 0
; TotalNumVgprs: 0
; ScratchSize: 0
; MemoryBound: 0
; FloatMode: 240
; IeeeMode: 1
; LDSByteSize: 0 bytes/workgroup (compile time only)
; SGPRBlocks: 0
; VGPRBlocks: 0
; NumSGPRsForWavesPerEU: 4
; NumVGPRsForWavesPerEU: 1
; AccumOffset: 4
; Occupancy: 8
; WaveLimiterHint : 0
; COMPUTE_PGM_RSRC2:SCRATCH_EN: 0
; COMPUTE_PGM_RSRC2:USER_SGPR: 6
; COMPUTE_PGM_RSRC2:TRAP_HANDLER: 0
; COMPUTE_PGM_RSRC2:TGID_X_EN: 1
; COMPUTE_PGM_RSRC2:TGID_Y_EN: 0
; COMPUTE_PGM_RSRC2:TGID_Z_EN: 0
; COMPUTE_PGM_RSRC2:TIDIG_COMP_CNT: 0
; COMPUTE_PGM_RSRC3_GFX90A:ACCUM_OFFSET: 0
; COMPUTE_PGM_RSRC3_GFX90A:TG_SPLIT: 0
	.section	.text._ZN7rocprim17ROCPRIM_400000_NS6detail17trampoline_kernelINS0_14default_configENS1_29reduce_by_key_config_selectorIddN6thrust23THRUST_200600_302600_NS4plusIdEEEEZZNS1_33reduce_by_key_impl_wrapped_configILNS1_25lookback_scan_determinismE0ES3_S9_NS6_6detail15normal_iteratorINS6_10device_ptrIdEEEESG_SG_SG_PmS8_NS6_8equal_toIdEEEE10hipError_tPvRmT2_T3_mT4_T5_T6_T7_T8_P12ihipStream_tbENKUlT_T0_E_clISt17integral_constantIbLb0EES10_IbLb1EEEEDaSW_SX_EUlSW_E_NS1_11comp_targetILNS1_3genE10ELNS1_11target_archE1201ELNS1_3gpuE5ELNS1_3repE0EEENS1_30default_config_static_selectorELNS0_4arch9wavefront6targetE1EEEvT1_,"axG",@progbits,_ZN7rocprim17ROCPRIM_400000_NS6detail17trampoline_kernelINS0_14default_configENS1_29reduce_by_key_config_selectorIddN6thrust23THRUST_200600_302600_NS4plusIdEEEEZZNS1_33reduce_by_key_impl_wrapped_configILNS1_25lookback_scan_determinismE0ES3_S9_NS6_6detail15normal_iteratorINS6_10device_ptrIdEEEESG_SG_SG_PmS8_NS6_8equal_toIdEEEE10hipError_tPvRmT2_T3_mT4_T5_T6_T7_T8_P12ihipStream_tbENKUlT_T0_E_clISt17integral_constantIbLb0EES10_IbLb1EEEEDaSW_SX_EUlSW_E_NS1_11comp_targetILNS1_3genE10ELNS1_11target_archE1201ELNS1_3gpuE5ELNS1_3repE0EEENS1_30default_config_static_selectorELNS0_4arch9wavefront6targetE1EEEvT1_,comdat
	.protected	_ZN7rocprim17ROCPRIM_400000_NS6detail17trampoline_kernelINS0_14default_configENS1_29reduce_by_key_config_selectorIddN6thrust23THRUST_200600_302600_NS4plusIdEEEEZZNS1_33reduce_by_key_impl_wrapped_configILNS1_25lookback_scan_determinismE0ES3_S9_NS6_6detail15normal_iteratorINS6_10device_ptrIdEEEESG_SG_SG_PmS8_NS6_8equal_toIdEEEE10hipError_tPvRmT2_T3_mT4_T5_T6_T7_T8_P12ihipStream_tbENKUlT_T0_E_clISt17integral_constantIbLb0EES10_IbLb1EEEEDaSW_SX_EUlSW_E_NS1_11comp_targetILNS1_3genE10ELNS1_11target_archE1201ELNS1_3gpuE5ELNS1_3repE0EEENS1_30default_config_static_selectorELNS0_4arch9wavefront6targetE1EEEvT1_ ; -- Begin function _ZN7rocprim17ROCPRIM_400000_NS6detail17trampoline_kernelINS0_14default_configENS1_29reduce_by_key_config_selectorIddN6thrust23THRUST_200600_302600_NS4plusIdEEEEZZNS1_33reduce_by_key_impl_wrapped_configILNS1_25lookback_scan_determinismE0ES3_S9_NS6_6detail15normal_iteratorINS6_10device_ptrIdEEEESG_SG_SG_PmS8_NS6_8equal_toIdEEEE10hipError_tPvRmT2_T3_mT4_T5_T6_T7_T8_P12ihipStream_tbENKUlT_T0_E_clISt17integral_constantIbLb0EES10_IbLb1EEEEDaSW_SX_EUlSW_E_NS1_11comp_targetILNS1_3genE10ELNS1_11target_archE1201ELNS1_3gpuE5ELNS1_3repE0EEENS1_30default_config_static_selectorELNS0_4arch9wavefront6targetE1EEEvT1_
	.globl	_ZN7rocprim17ROCPRIM_400000_NS6detail17trampoline_kernelINS0_14default_configENS1_29reduce_by_key_config_selectorIddN6thrust23THRUST_200600_302600_NS4plusIdEEEEZZNS1_33reduce_by_key_impl_wrapped_configILNS1_25lookback_scan_determinismE0ES3_S9_NS6_6detail15normal_iteratorINS6_10device_ptrIdEEEESG_SG_SG_PmS8_NS6_8equal_toIdEEEE10hipError_tPvRmT2_T3_mT4_T5_T6_T7_T8_P12ihipStream_tbENKUlT_T0_E_clISt17integral_constantIbLb0EES10_IbLb1EEEEDaSW_SX_EUlSW_E_NS1_11comp_targetILNS1_3genE10ELNS1_11target_archE1201ELNS1_3gpuE5ELNS1_3repE0EEENS1_30default_config_static_selectorELNS0_4arch9wavefront6targetE1EEEvT1_
	.p2align	8
	.type	_ZN7rocprim17ROCPRIM_400000_NS6detail17trampoline_kernelINS0_14default_configENS1_29reduce_by_key_config_selectorIddN6thrust23THRUST_200600_302600_NS4plusIdEEEEZZNS1_33reduce_by_key_impl_wrapped_configILNS1_25lookback_scan_determinismE0ES3_S9_NS6_6detail15normal_iteratorINS6_10device_ptrIdEEEESG_SG_SG_PmS8_NS6_8equal_toIdEEEE10hipError_tPvRmT2_T3_mT4_T5_T6_T7_T8_P12ihipStream_tbENKUlT_T0_E_clISt17integral_constantIbLb0EES10_IbLb1EEEEDaSW_SX_EUlSW_E_NS1_11comp_targetILNS1_3genE10ELNS1_11target_archE1201ELNS1_3gpuE5ELNS1_3repE0EEENS1_30default_config_static_selectorELNS0_4arch9wavefront6targetE1EEEvT1_,@function
_ZN7rocprim17ROCPRIM_400000_NS6detail17trampoline_kernelINS0_14default_configENS1_29reduce_by_key_config_selectorIddN6thrust23THRUST_200600_302600_NS4plusIdEEEEZZNS1_33reduce_by_key_impl_wrapped_configILNS1_25lookback_scan_determinismE0ES3_S9_NS6_6detail15normal_iteratorINS6_10device_ptrIdEEEESG_SG_SG_PmS8_NS6_8equal_toIdEEEE10hipError_tPvRmT2_T3_mT4_T5_T6_T7_T8_P12ihipStream_tbENKUlT_T0_E_clISt17integral_constantIbLb0EES10_IbLb1EEEEDaSW_SX_EUlSW_E_NS1_11comp_targetILNS1_3genE10ELNS1_11target_archE1201ELNS1_3gpuE5ELNS1_3repE0EEENS1_30default_config_static_selectorELNS0_4arch9wavefront6targetE1EEEvT1_: ; @_ZN7rocprim17ROCPRIM_400000_NS6detail17trampoline_kernelINS0_14default_configENS1_29reduce_by_key_config_selectorIddN6thrust23THRUST_200600_302600_NS4plusIdEEEEZZNS1_33reduce_by_key_impl_wrapped_configILNS1_25lookback_scan_determinismE0ES3_S9_NS6_6detail15normal_iteratorINS6_10device_ptrIdEEEESG_SG_SG_PmS8_NS6_8equal_toIdEEEE10hipError_tPvRmT2_T3_mT4_T5_T6_T7_T8_P12ihipStream_tbENKUlT_T0_E_clISt17integral_constantIbLb0EES10_IbLb1EEEEDaSW_SX_EUlSW_E_NS1_11comp_targetILNS1_3genE10ELNS1_11target_archE1201ELNS1_3gpuE5ELNS1_3repE0EEENS1_30default_config_static_selectorELNS0_4arch9wavefront6targetE1EEEvT1_
; %bb.0:
	.section	.rodata,"a",@progbits
	.p2align	6, 0x0
	.amdhsa_kernel _ZN7rocprim17ROCPRIM_400000_NS6detail17trampoline_kernelINS0_14default_configENS1_29reduce_by_key_config_selectorIddN6thrust23THRUST_200600_302600_NS4plusIdEEEEZZNS1_33reduce_by_key_impl_wrapped_configILNS1_25lookback_scan_determinismE0ES3_S9_NS6_6detail15normal_iteratorINS6_10device_ptrIdEEEESG_SG_SG_PmS8_NS6_8equal_toIdEEEE10hipError_tPvRmT2_T3_mT4_T5_T6_T7_T8_P12ihipStream_tbENKUlT_T0_E_clISt17integral_constantIbLb0EES10_IbLb1EEEEDaSW_SX_EUlSW_E_NS1_11comp_targetILNS1_3genE10ELNS1_11target_archE1201ELNS1_3gpuE5ELNS1_3repE0EEENS1_30default_config_static_selectorELNS0_4arch9wavefront6targetE1EEEvT1_
		.amdhsa_group_segment_fixed_size 0
		.amdhsa_private_segment_fixed_size 0
		.amdhsa_kernarg_size 136
		.amdhsa_user_sgpr_count 6
		.amdhsa_user_sgpr_private_segment_buffer 1
		.amdhsa_user_sgpr_dispatch_ptr 0
		.amdhsa_user_sgpr_queue_ptr 0
		.amdhsa_user_sgpr_kernarg_segment_ptr 1
		.amdhsa_user_sgpr_dispatch_id 0
		.amdhsa_user_sgpr_flat_scratch_init 0
		.amdhsa_user_sgpr_kernarg_preload_length 0
		.amdhsa_user_sgpr_kernarg_preload_offset 0
		.amdhsa_user_sgpr_private_segment_size 0
		.amdhsa_uses_dynamic_stack 0
		.amdhsa_system_sgpr_private_segment_wavefront_offset 0
		.amdhsa_system_sgpr_workgroup_id_x 1
		.amdhsa_system_sgpr_workgroup_id_y 0
		.amdhsa_system_sgpr_workgroup_id_z 0
		.amdhsa_system_sgpr_workgroup_info 0
		.amdhsa_system_vgpr_workitem_id 0
		.amdhsa_next_free_vgpr 1
		.amdhsa_next_free_sgpr 0
		.amdhsa_accum_offset 4
		.amdhsa_reserve_vcc 0
		.amdhsa_reserve_flat_scratch 0
		.amdhsa_float_round_mode_32 0
		.amdhsa_float_round_mode_16_64 0
		.amdhsa_float_denorm_mode_32 3
		.amdhsa_float_denorm_mode_16_64 3
		.amdhsa_dx10_clamp 1
		.amdhsa_ieee_mode 1
		.amdhsa_fp16_overflow 0
		.amdhsa_tg_split 0
		.amdhsa_exception_fp_ieee_invalid_op 0
		.amdhsa_exception_fp_denorm_src 0
		.amdhsa_exception_fp_ieee_div_zero 0
		.amdhsa_exception_fp_ieee_overflow 0
		.amdhsa_exception_fp_ieee_underflow 0
		.amdhsa_exception_fp_ieee_inexact 0
		.amdhsa_exception_int_div_zero 0
	.end_amdhsa_kernel
	.section	.text._ZN7rocprim17ROCPRIM_400000_NS6detail17trampoline_kernelINS0_14default_configENS1_29reduce_by_key_config_selectorIddN6thrust23THRUST_200600_302600_NS4plusIdEEEEZZNS1_33reduce_by_key_impl_wrapped_configILNS1_25lookback_scan_determinismE0ES3_S9_NS6_6detail15normal_iteratorINS6_10device_ptrIdEEEESG_SG_SG_PmS8_NS6_8equal_toIdEEEE10hipError_tPvRmT2_T3_mT4_T5_T6_T7_T8_P12ihipStream_tbENKUlT_T0_E_clISt17integral_constantIbLb0EES10_IbLb1EEEEDaSW_SX_EUlSW_E_NS1_11comp_targetILNS1_3genE10ELNS1_11target_archE1201ELNS1_3gpuE5ELNS1_3repE0EEENS1_30default_config_static_selectorELNS0_4arch9wavefront6targetE1EEEvT1_,"axG",@progbits,_ZN7rocprim17ROCPRIM_400000_NS6detail17trampoline_kernelINS0_14default_configENS1_29reduce_by_key_config_selectorIddN6thrust23THRUST_200600_302600_NS4plusIdEEEEZZNS1_33reduce_by_key_impl_wrapped_configILNS1_25lookback_scan_determinismE0ES3_S9_NS6_6detail15normal_iteratorINS6_10device_ptrIdEEEESG_SG_SG_PmS8_NS6_8equal_toIdEEEE10hipError_tPvRmT2_T3_mT4_T5_T6_T7_T8_P12ihipStream_tbENKUlT_T0_E_clISt17integral_constantIbLb0EES10_IbLb1EEEEDaSW_SX_EUlSW_E_NS1_11comp_targetILNS1_3genE10ELNS1_11target_archE1201ELNS1_3gpuE5ELNS1_3repE0EEENS1_30default_config_static_selectorELNS0_4arch9wavefront6targetE1EEEvT1_,comdat
.Lfunc_end47:
	.size	_ZN7rocprim17ROCPRIM_400000_NS6detail17trampoline_kernelINS0_14default_configENS1_29reduce_by_key_config_selectorIddN6thrust23THRUST_200600_302600_NS4plusIdEEEEZZNS1_33reduce_by_key_impl_wrapped_configILNS1_25lookback_scan_determinismE0ES3_S9_NS6_6detail15normal_iteratorINS6_10device_ptrIdEEEESG_SG_SG_PmS8_NS6_8equal_toIdEEEE10hipError_tPvRmT2_T3_mT4_T5_T6_T7_T8_P12ihipStream_tbENKUlT_T0_E_clISt17integral_constantIbLb0EES10_IbLb1EEEEDaSW_SX_EUlSW_E_NS1_11comp_targetILNS1_3genE10ELNS1_11target_archE1201ELNS1_3gpuE5ELNS1_3repE0EEENS1_30default_config_static_selectorELNS0_4arch9wavefront6targetE1EEEvT1_, .Lfunc_end47-_ZN7rocprim17ROCPRIM_400000_NS6detail17trampoline_kernelINS0_14default_configENS1_29reduce_by_key_config_selectorIddN6thrust23THRUST_200600_302600_NS4plusIdEEEEZZNS1_33reduce_by_key_impl_wrapped_configILNS1_25lookback_scan_determinismE0ES3_S9_NS6_6detail15normal_iteratorINS6_10device_ptrIdEEEESG_SG_SG_PmS8_NS6_8equal_toIdEEEE10hipError_tPvRmT2_T3_mT4_T5_T6_T7_T8_P12ihipStream_tbENKUlT_T0_E_clISt17integral_constantIbLb0EES10_IbLb1EEEEDaSW_SX_EUlSW_E_NS1_11comp_targetILNS1_3genE10ELNS1_11target_archE1201ELNS1_3gpuE5ELNS1_3repE0EEENS1_30default_config_static_selectorELNS0_4arch9wavefront6targetE1EEEvT1_
                                        ; -- End function
	.section	.AMDGPU.csdata,"",@progbits
; Kernel info:
; codeLenInByte = 0
; NumSgprs: 4
; NumVgprs: 0
; NumAgprs: 0
; TotalNumVgprs: 0
; ScratchSize: 0
; MemoryBound: 0
; FloatMode: 240
; IeeeMode: 1
; LDSByteSize: 0 bytes/workgroup (compile time only)
; SGPRBlocks: 0
; VGPRBlocks: 0
; NumSGPRsForWavesPerEU: 4
; NumVGPRsForWavesPerEU: 1
; AccumOffset: 4
; Occupancy: 8
; WaveLimiterHint : 0
; COMPUTE_PGM_RSRC2:SCRATCH_EN: 0
; COMPUTE_PGM_RSRC2:USER_SGPR: 6
; COMPUTE_PGM_RSRC2:TRAP_HANDLER: 0
; COMPUTE_PGM_RSRC2:TGID_X_EN: 1
; COMPUTE_PGM_RSRC2:TGID_Y_EN: 0
; COMPUTE_PGM_RSRC2:TGID_Z_EN: 0
; COMPUTE_PGM_RSRC2:TIDIG_COMP_CNT: 0
; COMPUTE_PGM_RSRC3_GFX90A:ACCUM_OFFSET: 0
; COMPUTE_PGM_RSRC3_GFX90A:TG_SPLIT: 0
	.section	.text._ZN7rocprim17ROCPRIM_400000_NS6detail17trampoline_kernelINS0_14default_configENS1_29reduce_by_key_config_selectorIddN6thrust23THRUST_200600_302600_NS4plusIdEEEEZZNS1_33reduce_by_key_impl_wrapped_configILNS1_25lookback_scan_determinismE0ES3_S9_NS6_6detail15normal_iteratorINS6_10device_ptrIdEEEESG_SG_SG_PmS8_NS6_8equal_toIdEEEE10hipError_tPvRmT2_T3_mT4_T5_T6_T7_T8_P12ihipStream_tbENKUlT_T0_E_clISt17integral_constantIbLb0EES10_IbLb1EEEEDaSW_SX_EUlSW_E_NS1_11comp_targetILNS1_3genE10ELNS1_11target_archE1200ELNS1_3gpuE4ELNS1_3repE0EEENS1_30default_config_static_selectorELNS0_4arch9wavefront6targetE1EEEvT1_,"axG",@progbits,_ZN7rocprim17ROCPRIM_400000_NS6detail17trampoline_kernelINS0_14default_configENS1_29reduce_by_key_config_selectorIddN6thrust23THRUST_200600_302600_NS4plusIdEEEEZZNS1_33reduce_by_key_impl_wrapped_configILNS1_25lookback_scan_determinismE0ES3_S9_NS6_6detail15normal_iteratorINS6_10device_ptrIdEEEESG_SG_SG_PmS8_NS6_8equal_toIdEEEE10hipError_tPvRmT2_T3_mT4_T5_T6_T7_T8_P12ihipStream_tbENKUlT_T0_E_clISt17integral_constantIbLb0EES10_IbLb1EEEEDaSW_SX_EUlSW_E_NS1_11comp_targetILNS1_3genE10ELNS1_11target_archE1200ELNS1_3gpuE4ELNS1_3repE0EEENS1_30default_config_static_selectorELNS0_4arch9wavefront6targetE1EEEvT1_,comdat
	.protected	_ZN7rocprim17ROCPRIM_400000_NS6detail17trampoline_kernelINS0_14default_configENS1_29reduce_by_key_config_selectorIddN6thrust23THRUST_200600_302600_NS4plusIdEEEEZZNS1_33reduce_by_key_impl_wrapped_configILNS1_25lookback_scan_determinismE0ES3_S9_NS6_6detail15normal_iteratorINS6_10device_ptrIdEEEESG_SG_SG_PmS8_NS6_8equal_toIdEEEE10hipError_tPvRmT2_T3_mT4_T5_T6_T7_T8_P12ihipStream_tbENKUlT_T0_E_clISt17integral_constantIbLb0EES10_IbLb1EEEEDaSW_SX_EUlSW_E_NS1_11comp_targetILNS1_3genE10ELNS1_11target_archE1200ELNS1_3gpuE4ELNS1_3repE0EEENS1_30default_config_static_selectorELNS0_4arch9wavefront6targetE1EEEvT1_ ; -- Begin function _ZN7rocprim17ROCPRIM_400000_NS6detail17trampoline_kernelINS0_14default_configENS1_29reduce_by_key_config_selectorIddN6thrust23THRUST_200600_302600_NS4plusIdEEEEZZNS1_33reduce_by_key_impl_wrapped_configILNS1_25lookback_scan_determinismE0ES3_S9_NS6_6detail15normal_iteratorINS6_10device_ptrIdEEEESG_SG_SG_PmS8_NS6_8equal_toIdEEEE10hipError_tPvRmT2_T3_mT4_T5_T6_T7_T8_P12ihipStream_tbENKUlT_T0_E_clISt17integral_constantIbLb0EES10_IbLb1EEEEDaSW_SX_EUlSW_E_NS1_11comp_targetILNS1_3genE10ELNS1_11target_archE1200ELNS1_3gpuE4ELNS1_3repE0EEENS1_30default_config_static_selectorELNS0_4arch9wavefront6targetE1EEEvT1_
	.globl	_ZN7rocprim17ROCPRIM_400000_NS6detail17trampoline_kernelINS0_14default_configENS1_29reduce_by_key_config_selectorIddN6thrust23THRUST_200600_302600_NS4plusIdEEEEZZNS1_33reduce_by_key_impl_wrapped_configILNS1_25lookback_scan_determinismE0ES3_S9_NS6_6detail15normal_iteratorINS6_10device_ptrIdEEEESG_SG_SG_PmS8_NS6_8equal_toIdEEEE10hipError_tPvRmT2_T3_mT4_T5_T6_T7_T8_P12ihipStream_tbENKUlT_T0_E_clISt17integral_constantIbLb0EES10_IbLb1EEEEDaSW_SX_EUlSW_E_NS1_11comp_targetILNS1_3genE10ELNS1_11target_archE1200ELNS1_3gpuE4ELNS1_3repE0EEENS1_30default_config_static_selectorELNS0_4arch9wavefront6targetE1EEEvT1_
	.p2align	8
	.type	_ZN7rocprim17ROCPRIM_400000_NS6detail17trampoline_kernelINS0_14default_configENS1_29reduce_by_key_config_selectorIddN6thrust23THRUST_200600_302600_NS4plusIdEEEEZZNS1_33reduce_by_key_impl_wrapped_configILNS1_25lookback_scan_determinismE0ES3_S9_NS6_6detail15normal_iteratorINS6_10device_ptrIdEEEESG_SG_SG_PmS8_NS6_8equal_toIdEEEE10hipError_tPvRmT2_T3_mT4_T5_T6_T7_T8_P12ihipStream_tbENKUlT_T0_E_clISt17integral_constantIbLb0EES10_IbLb1EEEEDaSW_SX_EUlSW_E_NS1_11comp_targetILNS1_3genE10ELNS1_11target_archE1200ELNS1_3gpuE4ELNS1_3repE0EEENS1_30default_config_static_selectorELNS0_4arch9wavefront6targetE1EEEvT1_,@function
_ZN7rocprim17ROCPRIM_400000_NS6detail17trampoline_kernelINS0_14default_configENS1_29reduce_by_key_config_selectorIddN6thrust23THRUST_200600_302600_NS4plusIdEEEEZZNS1_33reduce_by_key_impl_wrapped_configILNS1_25lookback_scan_determinismE0ES3_S9_NS6_6detail15normal_iteratorINS6_10device_ptrIdEEEESG_SG_SG_PmS8_NS6_8equal_toIdEEEE10hipError_tPvRmT2_T3_mT4_T5_T6_T7_T8_P12ihipStream_tbENKUlT_T0_E_clISt17integral_constantIbLb0EES10_IbLb1EEEEDaSW_SX_EUlSW_E_NS1_11comp_targetILNS1_3genE10ELNS1_11target_archE1200ELNS1_3gpuE4ELNS1_3repE0EEENS1_30default_config_static_selectorELNS0_4arch9wavefront6targetE1EEEvT1_: ; @_ZN7rocprim17ROCPRIM_400000_NS6detail17trampoline_kernelINS0_14default_configENS1_29reduce_by_key_config_selectorIddN6thrust23THRUST_200600_302600_NS4plusIdEEEEZZNS1_33reduce_by_key_impl_wrapped_configILNS1_25lookback_scan_determinismE0ES3_S9_NS6_6detail15normal_iteratorINS6_10device_ptrIdEEEESG_SG_SG_PmS8_NS6_8equal_toIdEEEE10hipError_tPvRmT2_T3_mT4_T5_T6_T7_T8_P12ihipStream_tbENKUlT_T0_E_clISt17integral_constantIbLb0EES10_IbLb1EEEEDaSW_SX_EUlSW_E_NS1_11comp_targetILNS1_3genE10ELNS1_11target_archE1200ELNS1_3gpuE4ELNS1_3repE0EEENS1_30default_config_static_selectorELNS0_4arch9wavefront6targetE1EEEvT1_
; %bb.0:
	.section	.rodata,"a",@progbits
	.p2align	6, 0x0
	.amdhsa_kernel _ZN7rocprim17ROCPRIM_400000_NS6detail17trampoline_kernelINS0_14default_configENS1_29reduce_by_key_config_selectorIddN6thrust23THRUST_200600_302600_NS4plusIdEEEEZZNS1_33reduce_by_key_impl_wrapped_configILNS1_25lookback_scan_determinismE0ES3_S9_NS6_6detail15normal_iteratorINS6_10device_ptrIdEEEESG_SG_SG_PmS8_NS6_8equal_toIdEEEE10hipError_tPvRmT2_T3_mT4_T5_T6_T7_T8_P12ihipStream_tbENKUlT_T0_E_clISt17integral_constantIbLb0EES10_IbLb1EEEEDaSW_SX_EUlSW_E_NS1_11comp_targetILNS1_3genE10ELNS1_11target_archE1200ELNS1_3gpuE4ELNS1_3repE0EEENS1_30default_config_static_selectorELNS0_4arch9wavefront6targetE1EEEvT1_
		.amdhsa_group_segment_fixed_size 0
		.amdhsa_private_segment_fixed_size 0
		.amdhsa_kernarg_size 136
		.amdhsa_user_sgpr_count 6
		.amdhsa_user_sgpr_private_segment_buffer 1
		.amdhsa_user_sgpr_dispatch_ptr 0
		.amdhsa_user_sgpr_queue_ptr 0
		.amdhsa_user_sgpr_kernarg_segment_ptr 1
		.amdhsa_user_sgpr_dispatch_id 0
		.amdhsa_user_sgpr_flat_scratch_init 0
		.amdhsa_user_sgpr_kernarg_preload_length 0
		.amdhsa_user_sgpr_kernarg_preload_offset 0
		.amdhsa_user_sgpr_private_segment_size 0
		.amdhsa_uses_dynamic_stack 0
		.amdhsa_system_sgpr_private_segment_wavefront_offset 0
		.amdhsa_system_sgpr_workgroup_id_x 1
		.amdhsa_system_sgpr_workgroup_id_y 0
		.amdhsa_system_sgpr_workgroup_id_z 0
		.amdhsa_system_sgpr_workgroup_info 0
		.amdhsa_system_vgpr_workitem_id 0
		.amdhsa_next_free_vgpr 1
		.amdhsa_next_free_sgpr 0
		.amdhsa_accum_offset 4
		.amdhsa_reserve_vcc 0
		.amdhsa_reserve_flat_scratch 0
		.amdhsa_float_round_mode_32 0
		.amdhsa_float_round_mode_16_64 0
		.amdhsa_float_denorm_mode_32 3
		.amdhsa_float_denorm_mode_16_64 3
		.amdhsa_dx10_clamp 1
		.amdhsa_ieee_mode 1
		.amdhsa_fp16_overflow 0
		.amdhsa_tg_split 0
		.amdhsa_exception_fp_ieee_invalid_op 0
		.amdhsa_exception_fp_denorm_src 0
		.amdhsa_exception_fp_ieee_div_zero 0
		.amdhsa_exception_fp_ieee_overflow 0
		.amdhsa_exception_fp_ieee_underflow 0
		.amdhsa_exception_fp_ieee_inexact 0
		.amdhsa_exception_int_div_zero 0
	.end_amdhsa_kernel
	.section	.text._ZN7rocprim17ROCPRIM_400000_NS6detail17trampoline_kernelINS0_14default_configENS1_29reduce_by_key_config_selectorIddN6thrust23THRUST_200600_302600_NS4plusIdEEEEZZNS1_33reduce_by_key_impl_wrapped_configILNS1_25lookback_scan_determinismE0ES3_S9_NS6_6detail15normal_iteratorINS6_10device_ptrIdEEEESG_SG_SG_PmS8_NS6_8equal_toIdEEEE10hipError_tPvRmT2_T3_mT4_T5_T6_T7_T8_P12ihipStream_tbENKUlT_T0_E_clISt17integral_constantIbLb0EES10_IbLb1EEEEDaSW_SX_EUlSW_E_NS1_11comp_targetILNS1_3genE10ELNS1_11target_archE1200ELNS1_3gpuE4ELNS1_3repE0EEENS1_30default_config_static_selectorELNS0_4arch9wavefront6targetE1EEEvT1_,"axG",@progbits,_ZN7rocprim17ROCPRIM_400000_NS6detail17trampoline_kernelINS0_14default_configENS1_29reduce_by_key_config_selectorIddN6thrust23THRUST_200600_302600_NS4plusIdEEEEZZNS1_33reduce_by_key_impl_wrapped_configILNS1_25lookback_scan_determinismE0ES3_S9_NS6_6detail15normal_iteratorINS6_10device_ptrIdEEEESG_SG_SG_PmS8_NS6_8equal_toIdEEEE10hipError_tPvRmT2_T3_mT4_T5_T6_T7_T8_P12ihipStream_tbENKUlT_T0_E_clISt17integral_constantIbLb0EES10_IbLb1EEEEDaSW_SX_EUlSW_E_NS1_11comp_targetILNS1_3genE10ELNS1_11target_archE1200ELNS1_3gpuE4ELNS1_3repE0EEENS1_30default_config_static_selectorELNS0_4arch9wavefront6targetE1EEEvT1_,comdat
.Lfunc_end48:
	.size	_ZN7rocprim17ROCPRIM_400000_NS6detail17trampoline_kernelINS0_14default_configENS1_29reduce_by_key_config_selectorIddN6thrust23THRUST_200600_302600_NS4plusIdEEEEZZNS1_33reduce_by_key_impl_wrapped_configILNS1_25lookback_scan_determinismE0ES3_S9_NS6_6detail15normal_iteratorINS6_10device_ptrIdEEEESG_SG_SG_PmS8_NS6_8equal_toIdEEEE10hipError_tPvRmT2_T3_mT4_T5_T6_T7_T8_P12ihipStream_tbENKUlT_T0_E_clISt17integral_constantIbLb0EES10_IbLb1EEEEDaSW_SX_EUlSW_E_NS1_11comp_targetILNS1_3genE10ELNS1_11target_archE1200ELNS1_3gpuE4ELNS1_3repE0EEENS1_30default_config_static_selectorELNS0_4arch9wavefront6targetE1EEEvT1_, .Lfunc_end48-_ZN7rocprim17ROCPRIM_400000_NS6detail17trampoline_kernelINS0_14default_configENS1_29reduce_by_key_config_selectorIddN6thrust23THRUST_200600_302600_NS4plusIdEEEEZZNS1_33reduce_by_key_impl_wrapped_configILNS1_25lookback_scan_determinismE0ES3_S9_NS6_6detail15normal_iteratorINS6_10device_ptrIdEEEESG_SG_SG_PmS8_NS6_8equal_toIdEEEE10hipError_tPvRmT2_T3_mT4_T5_T6_T7_T8_P12ihipStream_tbENKUlT_T0_E_clISt17integral_constantIbLb0EES10_IbLb1EEEEDaSW_SX_EUlSW_E_NS1_11comp_targetILNS1_3genE10ELNS1_11target_archE1200ELNS1_3gpuE4ELNS1_3repE0EEENS1_30default_config_static_selectorELNS0_4arch9wavefront6targetE1EEEvT1_
                                        ; -- End function
	.section	.AMDGPU.csdata,"",@progbits
; Kernel info:
; codeLenInByte = 0
; NumSgprs: 4
; NumVgprs: 0
; NumAgprs: 0
; TotalNumVgprs: 0
; ScratchSize: 0
; MemoryBound: 0
; FloatMode: 240
; IeeeMode: 1
; LDSByteSize: 0 bytes/workgroup (compile time only)
; SGPRBlocks: 0
; VGPRBlocks: 0
; NumSGPRsForWavesPerEU: 4
; NumVGPRsForWavesPerEU: 1
; AccumOffset: 4
; Occupancy: 8
; WaveLimiterHint : 0
; COMPUTE_PGM_RSRC2:SCRATCH_EN: 0
; COMPUTE_PGM_RSRC2:USER_SGPR: 6
; COMPUTE_PGM_RSRC2:TRAP_HANDLER: 0
; COMPUTE_PGM_RSRC2:TGID_X_EN: 1
; COMPUTE_PGM_RSRC2:TGID_Y_EN: 0
; COMPUTE_PGM_RSRC2:TGID_Z_EN: 0
; COMPUTE_PGM_RSRC2:TIDIG_COMP_CNT: 0
; COMPUTE_PGM_RSRC3_GFX90A:ACCUM_OFFSET: 0
; COMPUTE_PGM_RSRC3_GFX90A:TG_SPLIT: 0
	.section	.text._ZN7rocprim17ROCPRIM_400000_NS6detail17trampoline_kernelINS0_14default_configENS1_29reduce_by_key_config_selectorIddN6thrust23THRUST_200600_302600_NS4plusIdEEEEZZNS1_33reduce_by_key_impl_wrapped_configILNS1_25lookback_scan_determinismE0ES3_S9_NS6_6detail15normal_iteratorINS6_10device_ptrIdEEEESG_SG_SG_PmS8_NS6_8equal_toIdEEEE10hipError_tPvRmT2_T3_mT4_T5_T6_T7_T8_P12ihipStream_tbENKUlT_T0_E_clISt17integral_constantIbLb0EES10_IbLb1EEEEDaSW_SX_EUlSW_E_NS1_11comp_targetILNS1_3genE9ELNS1_11target_archE1100ELNS1_3gpuE3ELNS1_3repE0EEENS1_30default_config_static_selectorELNS0_4arch9wavefront6targetE1EEEvT1_,"axG",@progbits,_ZN7rocprim17ROCPRIM_400000_NS6detail17trampoline_kernelINS0_14default_configENS1_29reduce_by_key_config_selectorIddN6thrust23THRUST_200600_302600_NS4plusIdEEEEZZNS1_33reduce_by_key_impl_wrapped_configILNS1_25lookback_scan_determinismE0ES3_S9_NS6_6detail15normal_iteratorINS6_10device_ptrIdEEEESG_SG_SG_PmS8_NS6_8equal_toIdEEEE10hipError_tPvRmT2_T3_mT4_T5_T6_T7_T8_P12ihipStream_tbENKUlT_T0_E_clISt17integral_constantIbLb0EES10_IbLb1EEEEDaSW_SX_EUlSW_E_NS1_11comp_targetILNS1_3genE9ELNS1_11target_archE1100ELNS1_3gpuE3ELNS1_3repE0EEENS1_30default_config_static_selectorELNS0_4arch9wavefront6targetE1EEEvT1_,comdat
	.protected	_ZN7rocprim17ROCPRIM_400000_NS6detail17trampoline_kernelINS0_14default_configENS1_29reduce_by_key_config_selectorIddN6thrust23THRUST_200600_302600_NS4plusIdEEEEZZNS1_33reduce_by_key_impl_wrapped_configILNS1_25lookback_scan_determinismE0ES3_S9_NS6_6detail15normal_iteratorINS6_10device_ptrIdEEEESG_SG_SG_PmS8_NS6_8equal_toIdEEEE10hipError_tPvRmT2_T3_mT4_T5_T6_T7_T8_P12ihipStream_tbENKUlT_T0_E_clISt17integral_constantIbLb0EES10_IbLb1EEEEDaSW_SX_EUlSW_E_NS1_11comp_targetILNS1_3genE9ELNS1_11target_archE1100ELNS1_3gpuE3ELNS1_3repE0EEENS1_30default_config_static_selectorELNS0_4arch9wavefront6targetE1EEEvT1_ ; -- Begin function _ZN7rocprim17ROCPRIM_400000_NS6detail17trampoline_kernelINS0_14default_configENS1_29reduce_by_key_config_selectorIddN6thrust23THRUST_200600_302600_NS4plusIdEEEEZZNS1_33reduce_by_key_impl_wrapped_configILNS1_25lookback_scan_determinismE0ES3_S9_NS6_6detail15normal_iteratorINS6_10device_ptrIdEEEESG_SG_SG_PmS8_NS6_8equal_toIdEEEE10hipError_tPvRmT2_T3_mT4_T5_T6_T7_T8_P12ihipStream_tbENKUlT_T0_E_clISt17integral_constantIbLb0EES10_IbLb1EEEEDaSW_SX_EUlSW_E_NS1_11comp_targetILNS1_3genE9ELNS1_11target_archE1100ELNS1_3gpuE3ELNS1_3repE0EEENS1_30default_config_static_selectorELNS0_4arch9wavefront6targetE1EEEvT1_
	.globl	_ZN7rocprim17ROCPRIM_400000_NS6detail17trampoline_kernelINS0_14default_configENS1_29reduce_by_key_config_selectorIddN6thrust23THRUST_200600_302600_NS4plusIdEEEEZZNS1_33reduce_by_key_impl_wrapped_configILNS1_25lookback_scan_determinismE0ES3_S9_NS6_6detail15normal_iteratorINS6_10device_ptrIdEEEESG_SG_SG_PmS8_NS6_8equal_toIdEEEE10hipError_tPvRmT2_T3_mT4_T5_T6_T7_T8_P12ihipStream_tbENKUlT_T0_E_clISt17integral_constantIbLb0EES10_IbLb1EEEEDaSW_SX_EUlSW_E_NS1_11comp_targetILNS1_3genE9ELNS1_11target_archE1100ELNS1_3gpuE3ELNS1_3repE0EEENS1_30default_config_static_selectorELNS0_4arch9wavefront6targetE1EEEvT1_
	.p2align	8
	.type	_ZN7rocprim17ROCPRIM_400000_NS6detail17trampoline_kernelINS0_14default_configENS1_29reduce_by_key_config_selectorIddN6thrust23THRUST_200600_302600_NS4plusIdEEEEZZNS1_33reduce_by_key_impl_wrapped_configILNS1_25lookback_scan_determinismE0ES3_S9_NS6_6detail15normal_iteratorINS6_10device_ptrIdEEEESG_SG_SG_PmS8_NS6_8equal_toIdEEEE10hipError_tPvRmT2_T3_mT4_T5_T6_T7_T8_P12ihipStream_tbENKUlT_T0_E_clISt17integral_constantIbLb0EES10_IbLb1EEEEDaSW_SX_EUlSW_E_NS1_11comp_targetILNS1_3genE9ELNS1_11target_archE1100ELNS1_3gpuE3ELNS1_3repE0EEENS1_30default_config_static_selectorELNS0_4arch9wavefront6targetE1EEEvT1_,@function
_ZN7rocprim17ROCPRIM_400000_NS6detail17trampoline_kernelINS0_14default_configENS1_29reduce_by_key_config_selectorIddN6thrust23THRUST_200600_302600_NS4plusIdEEEEZZNS1_33reduce_by_key_impl_wrapped_configILNS1_25lookback_scan_determinismE0ES3_S9_NS6_6detail15normal_iteratorINS6_10device_ptrIdEEEESG_SG_SG_PmS8_NS6_8equal_toIdEEEE10hipError_tPvRmT2_T3_mT4_T5_T6_T7_T8_P12ihipStream_tbENKUlT_T0_E_clISt17integral_constantIbLb0EES10_IbLb1EEEEDaSW_SX_EUlSW_E_NS1_11comp_targetILNS1_3genE9ELNS1_11target_archE1100ELNS1_3gpuE3ELNS1_3repE0EEENS1_30default_config_static_selectorELNS0_4arch9wavefront6targetE1EEEvT1_: ; @_ZN7rocprim17ROCPRIM_400000_NS6detail17trampoline_kernelINS0_14default_configENS1_29reduce_by_key_config_selectorIddN6thrust23THRUST_200600_302600_NS4plusIdEEEEZZNS1_33reduce_by_key_impl_wrapped_configILNS1_25lookback_scan_determinismE0ES3_S9_NS6_6detail15normal_iteratorINS6_10device_ptrIdEEEESG_SG_SG_PmS8_NS6_8equal_toIdEEEE10hipError_tPvRmT2_T3_mT4_T5_T6_T7_T8_P12ihipStream_tbENKUlT_T0_E_clISt17integral_constantIbLb0EES10_IbLb1EEEEDaSW_SX_EUlSW_E_NS1_11comp_targetILNS1_3genE9ELNS1_11target_archE1100ELNS1_3gpuE3ELNS1_3repE0EEENS1_30default_config_static_selectorELNS0_4arch9wavefront6targetE1EEEvT1_
; %bb.0:
	.section	.rodata,"a",@progbits
	.p2align	6, 0x0
	.amdhsa_kernel _ZN7rocprim17ROCPRIM_400000_NS6detail17trampoline_kernelINS0_14default_configENS1_29reduce_by_key_config_selectorIddN6thrust23THRUST_200600_302600_NS4plusIdEEEEZZNS1_33reduce_by_key_impl_wrapped_configILNS1_25lookback_scan_determinismE0ES3_S9_NS6_6detail15normal_iteratorINS6_10device_ptrIdEEEESG_SG_SG_PmS8_NS6_8equal_toIdEEEE10hipError_tPvRmT2_T3_mT4_T5_T6_T7_T8_P12ihipStream_tbENKUlT_T0_E_clISt17integral_constantIbLb0EES10_IbLb1EEEEDaSW_SX_EUlSW_E_NS1_11comp_targetILNS1_3genE9ELNS1_11target_archE1100ELNS1_3gpuE3ELNS1_3repE0EEENS1_30default_config_static_selectorELNS0_4arch9wavefront6targetE1EEEvT1_
		.amdhsa_group_segment_fixed_size 0
		.amdhsa_private_segment_fixed_size 0
		.amdhsa_kernarg_size 136
		.amdhsa_user_sgpr_count 6
		.amdhsa_user_sgpr_private_segment_buffer 1
		.amdhsa_user_sgpr_dispatch_ptr 0
		.amdhsa_user_sgpr_queue_ptr 0
		.amdhsa_user_sgpr_kernarg_segment_ptr 1
		.amdhsa_user_sgpr_dispatch_id 0
		.amdhsa_user_sgpr_flat_scratch_init 0
		.amdhsa_user_sgpr_kernarg_preload_length 0
		.amdhsa_user_sgpr_kernarg_preload_offset 0
		.amdhsa_user_sgpr_private_segment_size 0
		.amdhsa_uses_dynamic_stack 0
		.amdhsa_system_sgpr_private_segment_wavefront_offset 0
		.amdhsa_system_sgpr_workgroup_id_x 1
		.amdhsa_system_sgpr_workgroup_id_y 0
		.amdhsa_system_sgpr_workgroup_id_z 0
		.amdhsa_system_sgpr_workgroup_info 0
		.amdhsa_system_vgpr_workitem_id 0
		.amdhsa_next_free_vgpr 1
		.amdhsa_next_free_sgpr 0
		.amdhsa_accum_offset 4
		.amdhsa_reserve_vcc 0
		.amdhsa_reserve_flat_scratch 0
		.amdhsa_float_round_mode_32 0
		.amdhsa_float_round_mode_16_64 0
		.amdhsa_float_denorm_mode_32 3
		.amdhsa_float_denorm_mode_16_64 3
		.amdhsa_dx10_clamp 1
		.amdhsa_ieee_mode 1
		.amdhsa_fp16_overflow 0
		.amdhsa_tg_split 0
		.amdhsa_exception_fp_ieee_invalid_op 0
		.amdhsa_exception_fp_denorm_src 0
		.amdhsa_exception_fp_ieee_div_zero 0
		.amdhsa_exception_fp_ieee_overflow 0
		.amdhsa_exception_fp_ieee_underflow 0
		.amdhsa_exception_fp_ieee_inexact 0
		.amdhsa_exception_int_div_zero 0
	.end_amdhsa_kernel
	.section	.text._ZN7rocprim17ROCPRIM_400000_NS6detail17trampoline_kernelINS0_14default_configENS1_29reduce_by_key_config_selectorIddN6thrust23THRUST_200600_302600_NS4plusIdEEEEZZNS1_33reduce_by_key_impl_wrapped_configILNS1_25lookback_scan_determinismE0ES3_S9_NS6_6detail15normal_iteratorINS6_10device_ptrIdEEEESG_SG_SG_PmS8_NS6_8equal_toIdEEEE10hipError_tPvRmT2_T3_mT4_T5_T6_T7_T8_P12ihipStream_tbENKUlT_T0_E_clISt17integral_constantIbLb0EES10_IbLb1EEEEDaSW_SX_EUlSW_E_NS1_11comp_targetILNS1_3genE9ELNS1_11target_archE1100ELNS1_3gpuE3ELNS1_3repE0EEENS1_30default_config_static_selectorELNS0_4arch9wavefront6targetE1EEEvT1_,"axG",@progbits,_ZN7rocprim17ROCPRIM_400000_NS6detail17trampoline_kernelINS0_14default_configENS1_29reduce_by_key_config_selectorIddN6thrust23THRUST_200600_302600_NS4plusIdEEEEZZNS1_33reduce_by_key_impl_wrapped_configILNS1_25lookback_scan_determinismE0ES3_S9_NS6_6detail15normal_iteratorINS6_10device_ptrIdEEEESG_SG_SG_PmS8_NS6_8equal_toIdEEEE10hipError_tPvRmT2_T3_mT4_T5_T6_T7_T8_P12ihipStream_tbENKUlT_T0_E_clISt17integral_constantIbLb0EES10_IbLb1EEEEDaSW_SX_EUlSW_E_NS1_11comp_targetILNS1_3genE9ELNS1_11target_archE1100ELNS1_3gpuE3ELNS1_3repE0EEENS1_30default_config_static_selectorELNS0_4arch9wavefront6targetE1EEEvT1_,comdat
.Lfunc_end49:
	.size	_ZN7rocprim17ROCPRIM_400000_NS6detail17trampoline_kernelINS0_14default_configENS1_29reduce_by_key_config_selectorIddN6thrust23THRUST_200600_302600_NS4plusIdEEEEZZNS1_33reduce_by_key_impl_wrapped_configILNS1_25lookback_scan_determinismE0ES3_S9_NS6_6detail15normal_iteratorINS6_10device_ptrIdEEEESG_SG_SG_PmS8_NS6_8equal_toIdEEEE10hipError_tPvRmT2_T3_mT4_T5_T6_T7_T8_P12ihipStream_tbENKUlT_T0_E_clISt17integral_constantIbLb0EES10_IbLb1EEEEDaSW_SX_EUlSW_E_NS1_11comp_targetILNS1_3genE9ELNS1_11target_archE1100ELNS1_3gpuE3ELNS1_3repE0EEENS1_30default_config_static_selectorELNS0_4arch9wavefront6targetE1EEEvT1_, .Lfunc_end49-_ZN7rocprim17ROCPRIM_400000_NS6detail17trampoline_kernelINS0_14default_configENS1_29reduce_by_key_config_selectorIddN6thrust23THRUST_200600_302600_NS4plusIdEEEEZZNS1_33reduce_by_key_impl_wrapped_configILNS1_25lookback_scan_determinismE0ES3_S9_NS6_6detail15normal_iteratorINS6_10device_ptrIdEEEESG_SG_SG_PmS8_NS6_8equal_toIdEEEE10hipError_tPvRmT2_T3_mT4_T5_T6_T7_T8_P12ihipStream_tbENKUlT_T0_E_clISt17integral_constantIbLb0EES10_IbLb1EEEEDaSW_SX_EUlSW_E_NS1_11comp_targetILNS1_3genE9ELNS1_11target_archE1100ELNS1_3gpuE3ELNS1_3repE0EEENS1_30default_config_static_selectorELNS0_4arch9wavefront6targetE1EEEvT1_
                                        ; -- End function
	.section	.AMDGPU.csdata,"",@progbits
; Kernel info:
; codeLenInByte = 0
; NumSgprs: 4
; NumVgprs: 0
; NumAgprs: 0
; TotalNumVgprs: 0
; ScratchSize: 0
; MemoryBound: 0
; FloatMode: 240
; IeeeMode: 1
; LDSByteSize: 0 bytes/workgroup (compile time only)
; SGPRBlocks: 0
; VGPRBlocks: 0
; NumSGPRsForWavesPerEU: 4
; NumVGPRsForWavesPerEU: 1
; AccumOffset: 4
; Occupancy: 8
; WaveLimiterHint : 0
; COMPUTE_PGM_RSRC2:SCRATCH_EN: 0
; COMPUTE_PGM_RSRC2:USER_SGPR: 6
; COMPUTE_PGM_RSRC2:TRAP_HANDLER: 0
; COMPUTE_PGM_RSRC2:TGID_X_EN: 1
; COMPUTE_PGM_RSRC2:TGID_Y_EN: 0
; COMPUTE_PGM_RSRC2:TGID_Z_EN: 0
; COMPUTE_PGM_RSRC2:TIDIG_COMP_CNT: 0
; COMPUTE_PGM_RSRC3_GFX90A:ACCUM_OFFSET: 0
; COMPUTE_PGM_RSRC3_GFX90A:TG_SPLIT: 0
	.section	.text._ZN7rocprim17ROCPRIM_400000_NS6detail17trampoline_kernelINS0_14default_configENS1_29reduce_by_key_config_selectorIddN6thrust23THRUST_200600_302600_NS4plusIdEEEEZZNS1_33reduce_by_key_impl_wrapped_configILNS1_25lookback_scan_determinismE0ES3_S9_NS6_6detail15normal_iteratorINS6_10device_ptrIdEEEESG_SG_SG_PmS8_NS6_8equal_toIdEEEE10hipError_tPvRmT2_T3_mT4_T5_T6_T7_T8_P12ihipStream_tbENKUlT_T0_E_clISt17integral_constantIbLb0EES10_IbLb1EEEEDaSW_SX_EUlSW_E_NS1_11comp_targetILNS1_3genE8ELNS1_11target_archE1030ELNS1_3gpuE2ELNS1_3repE0EEENS1_30default_config_static_selectorELNS0_4arch9wavefront6targetE1EEEvT1_,"axG",@progbits,_ZN7rocprim17ROCPRIM_400000_NS6detail17trampoline_kernelINS0_14default_configENS1_29reduce_by_key_config_selectorIddN6thrust23THRUST_200600_302600_NS4plusIdEEEEZZNS1_33reduce_by_key_impl_wrapped_configILNS1_25lookback_scan_determinismE0ES3_S9_NS6_6detail15normal_iteratorINS6_10device_ptrIdEEEESG_SG_SG_PmS8_NS6_8equal_toIdEEEE10hipError_tPvRmT2_T3_mT4_T5_T6_T7_T8_P12ihipStream_tbENKUlT_T0_E_clISt17integral_constantIbLb0EES10_IbLb1EEEEDaSW_SX_EUlSW_E_NS1_11comp_targetILNS1_3genE8ELNS1_11target_archE1030ELNS1_3gpuE2ELNS1_3repE0EEENS1_30default_config_static_selectorELNS0_4arch9wavefront6targetE1EEEvT1_,comdat
	.protected	_ZN7rocprim17ROCPRIM_400000_NS6detail17trampoline_kernelINS0_14default_configENS1_29reduce_by_key_config_selectorIddN6thrust23THRUST_200600_302600_NS4plusIdEEEEZZNS1_33reduce_by_key_impl_wrapped_configILNS1_25lookback_scan_determinismE0ES3_S9_NS6_6detail15normal_iteratorINS6_10device_ptrIdEEEESG_SG_SG_PmS8_NS6_8equal_toIdEEEE10hipError_tPvRmT2_T3_mT4_T5_T6_T7_T8_P12ihipStream_tbENKUlT_T0_E_clISt17integral_constantIbLb0EES10_IbLb1EEEEDaSW_SX_EUlSW_E_NS1_11comp_targetILNS1_3genE8ELNS1_11target_archE1030ELNS1_3gpuE2ELNS1_3repE0EEENS1_30default_config_static_selectorELNS0_4arch9wavefront6targetE1EEEvT1_ ; -- Begin function _ZN7rocprim17ROCPRIM_400000_NS6detail17trampoline_kernelINS0_14default_configENS1_29reduce_by_key_config_selectorIddN6thrust23THRUST_200600_302600_NS4plusIdEEEEZZNS1_33reduce_by_key_impl_wrapped_configILNS1_25lookback_scan_determinismE0ES3_S9_NS6_6detail15normal_iteratorINS6_10device_ptrIdEEEESG_SG_SG_PmS8_NS6_8equal_toIdEEEE10hipError_tPvRmT2_T3_mT4_T5_T6_T7_T8_P12ihipStream_tbENKUlT_T0_E_clISt17integral_constantIbLb0EES10_IbLb1EEEEDaSW_SX_EUlSW_E_NS1_11comp_targetILNS1_3genE8ELNS1_11target_archE1030ELNS1_3gpuE2ELNS1_3repE0EEENS1_30default_config_static_selectorELNS0_4arch9wavefront6targetE1EEEvT1_
	.globl	_ZN7rocprim17ROCPRIM_400000_NS6detail17trampoline_kernelINS0_14default_configENS1_29reduce_by_key_config_selectorIddN6thrust23THRUST_200600_302600_NS4plusIdEEEEZZNS1_33reduce_by_key_impl_wrapped_configILNS1_25lookback_scan_determinismE0ES3_S9_NS6_6detail15normal_iteratorINS6_10device_ptrIdEEEESG_SG_SG_PmS8_NS6_8equal_toIdEEEE10hipError_tPvRmT2_T3_mT4_T5_T6_T7_T8_P12ihipStream_tbENKUlT_T0_E_clISt17integral_constantIbLb0EES10_IbLb1EEEEDaSW_SX_EUlSW_E_NS1_11comp_targetILNS1_3genE8ELNS1_11target_archE1030ELNS1_3gpuE2ELNS1_3repE0EEENS1_30default_config_static_selectorELNS0_4arch9wavefront6targetE1EEEvT1_
	.p2align	8
	.type	_ZN7rocprim17ROCPRIM_400000_NS6detail17trampoline_kernelINS0_14default_configENS1_29reduce_by_key_config_selectorIddN6thrust23THRUST_200600_302600_NS4plusIdEEEEZZNS1_33reduce_by_key_impl_wrapped_configILNS1_25lookback_scan_determinismE0ES3_S9_NS6_6detail15normal_iteratorINS6_10device_ptrIdEEEESG_SG_SG_PmS8_NS6_8equal_toIdEEEE10hipError_tPvRmT2_T3_mT4_T5_T6_T7_T8_P12ihipStream_tbENKUlT_T0_E_clISt17integral_constantIbLb0EES10_IbLb1EEEEDaSW_SX_EUlSW_E_NS1_11comp_targetILNS1_3genE8ELNS1_11target_archE1030ELNS1_3gpuE2ELNS1_3repE0EEENS1_30default_config_static_selectorELNS0_4arch9wavefront6targetE1EEEvT1_,@function
_ZN7rocprim17ROCPRIM_400000_NS6detail17trampoline_kernelINS0_14default_configENS1_29reduce_by_key_config_selectorIddN6thrust23THRUST_200600_302600_NS4plusIdEEEEZZNS1_33reduce_by_key_impl_wrapped_configILNS1_25lookback_scan_determinismE0ES3_S9_NS6_6detail15normal_iteratorINS6_10device_ptrIdEEEESG_SG_SG_PmS8_NS6_8equal_toIdEEEE10hipError_tPvRmT2_T3_mT4_T5_T6_T7_T8_P12ihipStream_tbENKUlT_T0_E_clISt17integral_constantIbLb0EES10_IbLb1EEEEDaSW_SX_EUlSW_E_NS1_11comp_targetILNS1_3genE8ELNS1_11target_archE1030ELNS1_3gpuE2ELNS1_3repE0EEENS1_30default_config_static_selectorELNS0_4arch9wavefront6targetE1EEEvT1_: ; @_ZN7rocprim17ROCPRIM_400000_NS6detail17trampoline_kernelINS0_14default_configENS1_29reduce_by_key_config_selectorIddN6thrust23THRUST_200600_302600_NS4plusIdEEEEZZNS1_33reduce_by_key_impl_wrapped_configILNS1_25lookback_scan_determinismE0ES3_S9_NS6_6detail15normal_iteratorINS6_10device_ptrIdEEEESG_SG_SG_PmS8_NS6_8equal_toIdEEEE10hipError_tPvRmT2_T3_mT4_T5_T6_T7_T8_P12ihipStream_tbENKUlT_T0_E_clISt17integral_constantIbLb0EES10_IbLb1EEEEDaSW_SX_EUlSW_E_NS1_11comp_targetILNS1_3genE8ELNS1_11target_archE1030ELNS1_3gpuE2ELNS1_3repE0EEENS1_30default_config_static_selectorELNS0_4arch9wavefront6targetE1EEEvT1_
; %bb.0:
	.section	.rodata,"a",@progbits
	.p2align	6, 0x0
	.amdhsa_kernel _ZN7rocprim17ROCPRIM_400000_NS6detail17trampoline_kernelINS0_14default_configENS1_29reduce_by_key_config_selectorIddN6thrust23THRUST_200600_302600_NS4plusIdEEEEZZNS1_33reduce_by_key_impl_wrapped_configILNS1_25lookback_scan_determinismE0ES3_S9_NS6_6detail15normal_iteratorINS6_10device_ptrIdEEEESG_SG_SG_PmS8_NS6_8equal_toIdEEEE10hipError_tPvRmT2_T3_mT4_T5_T6_T7_T8_P12ihipStream_tbENKUlT_T0_E_clISt17integral_constantIbLb0EES10_IbLb1EEEEDaSW_SX_EUlSW_E_NS1_11comp_targetILNS1_3genE8ELNS1_11target_archE1030ELNS1_3gpuE2ELNS1_3repE0EEENS1_30default_config_static_selectorELNS0_4arch9wavefront6targetE1EEEvT1_
		.amdhsa_group_segment_fixed_size 0
		.amdhsa_private_segment_fixed_size 0
		.amdhsa_kernarg_size 136
		.amdhsa_user_sgpr_count 6
		.amdhsa_user_sgpr_private_segment_buffer 1
		.amdhsa_user_sgpr_dispatch_ptr 0
		.amdhsa_user_sgpr_queue_ptr 0
		.amdhsa_user_sgpr_kernarg_segment_ptr 1
		.amdhsa_user_sgpr_dispatch_id 0
		.amdhsa_user_sgpr_flat_scratch_init 0
		.amdhsa_user_sgpr_kernarg_preload_length 0
		.amdhsa_user_sgpr_kernarg_preload_offset 0
		.amdhsa_user_sgpr_private_segment_size 0
		.amdhsa_uses_dynamic_stack 0
		.amdhsa_system_sgpr_private_segment_wavefront_offset 0
		.amdhsa_system_sgpr_workgroup_id_x 1
		.amdhsa_system_sgpr_workgroup_id_y 0
		.amdhsa_system_sgpr_workgroup_id_z 0
		.amdhsa_system_sgpr_workgroup_info 0
		.amdhsa_system_vgpr_workitem_id 0
		.amdhsa_next_free_vgpr 1
		.amdhsa_next_free_sgpr 0
		.amdhsa_accum_offset 4
		.amdhsa_reserve_vcc 0
		.amdhsa_reserve_flat_scratch 0
		.amdhsa_float_round_mode_32 0
		.amdhsa_float_round_mode_16_64 0
		.amdhsa_float_denorm_mode_32 3
		.amdhsa_float_denorm_mode_16_64 3
		.amdhsa_dx10_clamp 1
		.amdhsa_ieee_mode 1
		.amdhsa_fp16_overflow 0
		.amdhsa_tg_split 0
		.amdhsa_exception_fp_ieee_invalid_op 0
		.amdhsa_exception_fp_denorm_src 0
		.amdhsa_exception_fp_ieee_div_zero 0
		.amdhsa_exception_fp_ieee_overflow 0
		.amdhsa_exception_fp_ieee_underflow 0
		.amdhsa_exception_fp_ieee_inexact 0
		.amdhsa_exception_int_div_zero 0
	.end_amdhsa_kernel
	.section	.text._ZN7rocprim17ROCPRIM_400000_NS6detail17trampoline_kernelINS0_14default_configENS1_29reduce_by_key_config_selectorIddN6thrust23THRUST_200600_302600_NS4plusIdEEEEZZNS1_33reduce_by_key_impl_wrapped_configILNS1_25lookback_scan_determinismE0ES3_S9_NS6_6detail15normal_iteratorINS6_10device_ptrIdEEEESG_SG_SG_PmS8_NS6_8equal_toIdEEEE10hipError_tPvRmT2_T3_mT4_T5_T6_T7_T8_P12ihipStream_tbENKUlT_T0_E_clISt17integral_constantIbLb0EES10_IbLb1EEEEDaSW_SX_EUlSW_E_NS1_11comp_targetILNS1_3genE8ELNS1_11target_archE1030ELNS1_3gpuE2ELNS1_3repE0EEENS1_30default_config_static_selectorELNS0_4arch9wavefront6targetE1EEEvT1_,"axG",@progbits,_ZN7rocprim17ROCPRIM_400000_NS6detail17trampoline_kernelINS0_14default_configENS1_29reduce_by_key_config_selectorIddN6thrust23THRUST_200600_302600_NS4plusIdEEEEZZNS1_33reduce_by_key_impl_wrapped_configILNS1_25lookback_scan_determinismE0ES3_S9_NS6_6detail15normal_iteratorINS6_10device_ptrIdEEEESG_SG_SG_PmS8_NS6_8equal_toIdEEEE10hipError_tPvRmT2_T3_mT4_T5_T6_T7_T8_P12ihipStream_tbENKUlT_T0_E_clISt17integral_constantIbLb0EES10_IbLb1EEEEDaSW_SX_EUlSW_E_NS1_11comp_targetILNS1_3genE8ELNS1_11target_archE1030ELNS1_3gpuE2ELNS1_3repE0EEENS1_30default_config_static_selectorELNS0_4arch9wavefront6targetE1EEEvT1_,comdat
.Lfunc_end50:
	.size	_ZN7rocprim17ROCPRIM_400000_NS6detail17trampoline_kernelINS0_14default_configENS1_29reduce_by_key_config_selectorIddN6thrust23THRUST_200600_302600_NS4plusIdEEEEZZNS1_33reduce_by_key_impl_wrapped_configILNS1_25lookback_scan_determinismE0ES3_S9_NS6_6detail15normal_iteratorINS6_10device_ptrIdEEEESG_SG_SG_PmS8_NS6_8equal_toIdEEEE10hipError_tPvRmT2_T3_mT4_T5_T6_T7_T8_P12ihipStream_tbENKUlT_T0_E_clISt17integral_constantIbLb0EES10_IbLb1EEEEDaSW_SX_EUlSW_E_NS1_11comp_targetILNS1_3genE8ELNS1_11target_archE1030ELNS1_3gpuE2ELNS1_3repE0EEENS1_30default_config_static_selectorELNS0_4arch9wavefront6targetE1EEEvT1_, .Lfunc_end50-_ZN7rocprim17ROCPRIM_400000_NS6detail17trampoline_kernelINS0_14default_configENS1_29reduce_by_key_config_selectorIddN6thrust23THRUST_200600_302600_NS4plusIdEEEEZZNS1_33reduce_by_key_impl_wrapped_configILNS1_25lookback_scan_determinismE0ES3_S9_NS6_6detail15normal_iteratorINS6_10device_ptrIdEEEESG_SG_SG_PmS8_NS6_8equal_toIdEEEE10hipError_tPvRmT2_T3_mT4_T5_T6_T7_T8_P12ihipStream_tbENKUlT_T0_E_clISt17integral_constantIbLb0EES10_IbLb1EEEEDaSW_SX_EUlSW_E_NS1_11comp_targetILNS1_3genE8ELNS1_11target_archE1030ELNS1_3gpuE2ELNS1_3repE0EEENS1_30default_config_static_selectorELNS0_4arch9wavefront6targetE1EEEvT1_
                                        ; -- End function
	.section	.AMDGPU.csdata,"",@progbits
; Kernel info:
; codeLenInByte = 0
; NumSgprs: 4
; NumVgprs: 0
; NumAgprs: 0
; TotalNumVgprs: 0
; ScratchSize: 0
; MemoryBound: 0
; FloatMode: 240
; IeeeMode: 1
; LDSByteSize: 0 bytes/workgroup (compile time only)
; SGPRBlocks: 0
; VGPRBlocks: 0
; NumSGPRsForWavesPerEU: 4
; NumVGPRsForWavesPerEU: 1
; AccumOffset: 4
; Occupancy: 8
; WaveLimiterHint : 0
; COMPUTE_PGM_RSRC2:SCRATCH_EN: 0
; COMPUTE_PGM_RSRC2:USER_SGPR: 6
; COMPUTE_PGM_RSRC2:TRAP_HANDLER: 0
; COMPUTE_PGM_RSRC2:TGID_X_EN: 1
; COMPUTE_PGM_RSRC2:TGID_Y_EN: 0
; COMPUTE_PGM_RSRC2:TGID_Z_EN: 0
; COMPUTE_PGM_RSRC2:TIDIG_COMP_CNT: 0
; COMPUTE_PGM_RSRC3_GFX90A:ACCUM_OFFSET: 0
; COMPUTE_PGM_RSRC3_GFX90A:TG_SPLIT: 0
	.section	.text._ZN7rocprim17ROCPRIM_400000_NS6detail17trampoline_kernelINS0_14default_configENS1_29reduce_by_key_config_selectorIddN6thrust23THRUST_200600_302600_NS4plusIdEEEEZZNS1_33reduce_by_key_impl_wrapped_configILNS1_25lookback_scan_determinismE0ES3_S9_NS6_6detail15normal_iteratorINS6_10device_ptrIdEEEESG_SG_SG_PmS8_22is_equal_div_10_reduceIdEEE10hipError_tPvRmT2_T3_mT4_T5_T6_T7_T8_P12ihipStream_tbENKUlT_T0_E_clISt17integral_constantIbLb0EES11_EEDaSW_SX_EUlSW_E_NS1_11comp_targetILNS1_3genE0ELNS1_11target_archE4294967295ELNS1_3gpuE0ELNS1_3repE0EEENS1_30default_config_static_selectorELNS0_4arch9wavefront6targetE1EEEvT1_,"axG",@progbits,_ZN7rocprim17ROCPRIM_400000_NS6detail17trampoline_kernelINS0_14default_configENS1_29reduce_by_key_config_selectorIddN6thrust23THRUST_200600_302600_NS4plusIdEEEEZZNS1_33reduce_by_key_impl_wrapped_configILNS1_25lookback_scan_determinismE0ES3_S9_NS6_6detail15normal_iteratorINS6_10device_ptrIdEEEESG_SG_SG_PmS8_22is_equal_div_10_reduceIdEEE10hipError_tPvRmT2_T3_mT4_T5_T6_T7_T8_P12ihipStream_tbENKUlT_T0_E_clISt17integral_constantIbLb0EES11_EEDaSW_SX_EUlSW_E_NS1_11comp_targetILNS1_3genE0ELNS1_11target_archE4294967295ELNS1_3gpuE0ELNS1_3repE0EEENS1_30default_config_static_selectorELNS0_4arch9wavefront6targetE1EEEvT1_,comdat
	.protected	_ZN7rocprim17ROCPRIM_400000_NS6detail17trampoline_kernelINS0_14default_configENS1_29reduce_by_key_config_selectorIddN6thrust23THRUST_200600_302600_NS4plusIdEEEEZZNS1_33reduce_by_key_impl_wrapped_configILNS1_25lookback_scan_determinismE0ES3_S9_NS6_6detail15normal_iteratorINS6_10device_ptrIdEEEESG_SG_SG_PmS8_22is_equal_div_10_reduceIdEEE10hipError_tPvRmT2_T3_mT4_T5_T6_T7_T8_P12ihipStream_tbENKUlT_T0_E_clISt17integral_constantIbLb0EES11_EEDaSW_SX_EUlSW_E_NS1_11comp_targetILNS1_3genE0ELNS1_11target_archE4294967295ELNS1_3gpuE0ELNS1_3repE0EEENS1_30default_config_static_selectorELNS0_4arch9wavefront6targetE1EEEvT1_ ; -- Begin function _ZN7rocprim17ROCPRIM_400000_NS6detail17trampoline_kernelINS0_14default_configENS1_29reduce_by_key_config_selectorIddN6thrust23THRUST_200600_302600_NS4plusIdEEEEZZNS1_33reduce_by_key_impl_wrapped_configILNS1_25lookback_scan_determinismE0ES3_S9_NS6_6detail15normal_iteratorINS6_10device_ptrIdEEEESG_SG_SG_PmS8_22is_equal_div_10_reduceIdEEE10hipError_tPvRmT2_T3_mT4_T5_T6_T7_T8_P12ihipStream_tbENKUlT_T0_E_clISt17integral_constantIbLb0EES11_EEDaSW_SX_EUlSW_E_NS1_11comp_targetILNS1_3genE0ELNS1_11target_archE4294967295ELNS1_3gpuE0ELNS1_3repE0EEENS1_30default_config_static_selectorELNS0_4arch9wavefront6targetE1EEEvT1_
	.globl	_ZN7rocprim17ROCPRIM_400000_NS6detail17trampoline_kernelINS0_14default_configENS1_29reduce_by_key_config_selectorIddN6thrust23THRUST_200600_302600_NS4plusIdEEEEZZNS1_33reduce_by_key_impl_wrapped_configILNS1_25lookback_scan_determinismE0ES3_S9_NS6_6detail15normal_iteratorINS6_10device_ptrIdEEEESG_SG_SG_PmS8_22is_equal_div_10_reduceIdEEE10hipError_tPvRmT2_T3_mT4_T5_T6_T7_T8_P12ihipStream_tbENKUlT_T0_E_clISt17integral_constantIbLb0EES11_EEDaSW_SX_EUlSW_E_NS1_11comp_targetILNS1_3genE0ELNS1_11target_archE4294967295ELNS1_3gpuE0ELNS1_3repE0EEENS1_30default_config_static_selectorELNS0_4arch9wavefront6targetE1EEEvT1_
	.p2align	8
	.type	_ZN7rocprim17ROCPRIM_400000_NS6detail17trampoline_kernelINS0_14default_configENS1_29reduce_by_key_config_selectorIddN6thrust23THRUST_200600_302600_NS4plusIdEEEEZZNS1_33reduce_by_key_impl_wrapped_configILNS1_25lookback_scan_determinismE0ES3_S9_NS6_6detail15normal_iteratorINS6_10device_ptrIdEEEESG_SG_SG_PmS8_22is_equal_div_10_reduceIdEEE10hipError_tPvRmT2_T3_mT4_T5_T6_T7_T8_P12ihipStream_tbENKUlT_T0_E_clISt17integral_constantIbLb0EES11_EEDaSW_SX_EUlSW_E_NS1_11comp_targetILNS1_3genE0ELNS1_11target_archE4294967295ELNS1_3gpuE0ELNS1_3repE0EEENS1_30default_config_static_selectorELNS0_4arch9wavefront6targetE1EEEvT1_,@function
_ZN7rocprim17ROCPRIM_400000_NS6detail17trampoline_kernelINS0_14default_configENS1_29reduce_by_key_config_selectorIddN6thrust23THRUST_200600_302600_NS4plusIdEEEEZZNS1_33reduce_by_key_impl_wrapped_configILNS1_25lookback_scan_determinismE0ES3_S9_NS6_6detail15normal_iteratorINS6_10device_ptrIdEEEESG_SG_SG_PmS8_22is_equal_div_10_reduceIdEEE10hipError_tPvRmT2_T3_mT4_T5_T6_T7_T8_P12ihipStream_tbENKUlT_T0_E_clISt17integral_constantIbLb0EES11_EEDaSW_SX_EUlSW_E_NS1_11comp_targetILNS1_3genE0ELNS1_11target_archE4294967295ELNS1_3gpuE0ELNS1_3repE0EEENS1_30default_config_static_selectorELNS0_4arch9wavefront6targetE1EEEvT1_: ; @_ZN7rocprim17ROCPRIM_400000_NS6detail17trampoline_kernelINS0_14default_configENS1_29reduce_by_key_config_selectorIddN6thrust23THRUST_200600_302600_NS4plusIdEEEEZZNS1_33reduce_by_key_impl_wrapped_configILNS1_25lookback_scan_determinismE0ES3_S9_NS6_6detail15normal_iteratorINS6_10device_ptrIdEEEESG_SG_SG_PmS8_22is_equal_div_10_reduceIdEEE10hipError_tPvRmT2_T3_mT4_T5_T6_T7_T8_P12ihipStream_tbENKUlT_T0_E_clISt17integral_constantIbLb0EES11_EEDaSW_SX_EUlSW_E_NS1_11comp_targetILNS1_3genE0ELNS1_11target_archE4294967295ELNS1_3gpuE0ELNS1_3repE0EEENS1_30default_config_static_selectorELNS0_4arch9wavefront6targetE1EEEvT1_
; %bb.0:
	.section	.rodata,"a",@progbits
	.p2align	6, 0x0
	.amdhsa_kernel _ZN7rocprim17ROCPRIM_400000_NS6detail17trampoline_kernelINS0_14default_configENS1_29reduce_by_key_config_selectorIddN6thrust23THRUST_200600_302600_NS4plusIdEEEEZZNS1_33reduce_by_key_impl_wrapped_configILNS1_25lookback_scan_determinismE0ES3_S9_NS6_6detail15normal_iteratorINS6_10device_ptrIdEEEESG_SG_SG_PmS8_22is_equal_div_10_reduceIdEEE10hipError_tPvRmT2_T3_mT4_T5_T6_T7_T8_P12ihipStream_tbENKUlT_T0_E_clISt17integral_constantIbLb0EES11_EEDaSW_SX_EUlSW_E_NS1_11comp_targetILNS1_3genE0ELNS1_11target_archE4294967295ELNS1_3gpuE0ELNS1_3repE0EEENS1_30default_config_static_selectorELNS0_4arch9wavefront6targetE1EEEvT1_
		.amdhsa_group_segment_fixed_size 0
		.amdhsa_private_segment_fixed_size 0
		.amdhsa_kernarg_size 136
		.amdhsa_user_sgpr_count 6
		.amdhsa_user_sgpr_private_segment_buffer 1
		.amdhsa_user_sgpr_dispatch_ptr 0
		.amdhsa_user_sgpr_queue_ptr 0
		.amdhsa_user_sgpr_kernarg_segment_ptr 1
		.amdhsa_user_sgpr_dispatch_id 0
		.amdhsa_user_sgpr_flat_scratch_init 0
		.amdhsa_user_sgpr_kernarg_preload_length 0
		.amdhsa_user_sgpr_kernarg_preload_offset 0
		.amdhsa_user_sgpr_private_segment_size 0
		.amdhsa_uses_dynamic_stack 0
		.amdhsa_system_sgpr_private_segment_wavefront_offset 0
		.amdhsa_system_sgpr_workgroup_id_x 1
		.amdhsa_system_sgpr_workgroup_id_y 0
		.amdhsa_system_sgpr_workgroup_id_z 0
		.amdhsa_system_sgpr_workgroup_info 0
		.amdhsa_system_vgpr_workitem_id 0
		.amdhsa_next_free_vgpr 1
		.amdhsa_next_free_sgpr 0
		.amdhsa_accum_offset 4
		.amdhsa_reserve_vcc 0
		.amdhsa_reserve_flat_scratch 0
		.amdhsa_float_round_mode_32 0
		.amdhsa_float_round_mode_16_64 0
		.amdhsa_float_denorm_mode_32 3
		.amdhsa_float_denorm_mode_16_64 3
		.amdhsa_dx10_clamp 1
		.amdhsa_ieee_mode 1
		.amdhsa_fp16_overflow 0
		.amdhsa_tg_split 0
		.amdhsa_exception_fp_ieee_invalid_op 0
		.amdhsa_exception_fp_denorm_src 0
		.amdhsa_exception_fp_ieee_div_zero 0
		.amdhsa_exception_fp_ieee_overflow 0
		.amdhsa_exception_fp_ieee_underflow 0
		.amdhsa_exception_fp_ieee_inexact 0
		.amdhsa_exception_int_div_zero 0
	.end_amdhsa_kernel
	.section	.text._ZN7rocprim17ROCPRIM_400000_NS6detail17trampoline_kernelINS0_14default_configENS1_29reduce_by_key_config_selectorIddN6thrust23THRUST_200600_302600_NS4plusIdEEEEZZNS1_33reduce_by_key_impl_wrapped_configILNS1_25lookback_scan_determinismE0ES3_S9_NS6_6detail15normal_iteratorINS6_10device_ptrIdEEEESG_SG_SG_PmS8_22is_equal_div_10_reduceIdEEE10hipError_tPvRmT2_T3_mT4_T5_T6_T7_T8_P12ihipStream_tbENKUlT_T0_E_clISt17integral_constantIbLb0EES11_EEDaSW_SX_EUlSW_E_NS1_11comp_targetILNS1_3genE0ELNS1_11target_archE4294967295ELNS1_3gpuE0ELNS1_3repE0EEENS1_30default_config_static_selectorELNS0_4arch9wavefront6targetE1EEEvT1_,"axG",@progbits,_ZN7rocprim17ROCPRIM_400000_NS6detail17trampoline_kernelINS0_14default_configENS1_29reduce_by_key_config_selectorIddN6thrust23THRUST_200600_302600_NS4plusIdEEEEZZNS1_33reduce_by_key_impl_wrapped_configILNS1_25lookback_scan_determinismE0ES3_S9_NS6_6detail15normal_iteratorINS6_10device_ptrIdEEEESG_SG_SG_PmS8_22is_equal_div_10_reduceIdEEE10hipError_tPvRmT2_T3_mT4_T5_T6_T7_T8_P12ihipStream_tbENKUlT_T0_E_clISt17integral_constantIbLb0EES11_EEDaSW_SX_EUlSW_E_NS1_11comp_targetILNS1_3genE0ELNS1_11target_archE4294967295ELNS1_3gpuE0ELNS1_3repE0EEENS1_30default_config_static_selectorELNS0_4arch9wavefront6targetE1EEEvT1_,comdat
.Lfunc_end51:
	.size	_ZN7rocprim17ROCPRIM_400000_NS6detail17trampoline_kernelINS0_14default_configENS1_29reduce_by_key_config_selectorIddN6thrust23THRUST_200600_302600_NS4plusIdEEEEZZNS1_33reduce_by_key_impl_wrapped_configILNS1_25lookback_scan_determinismE0ES3_S9_NS6_6detail15normal_iteratorINS6_10device_ptrIdEEEESG_SG_SG_PmS8_22is_equal_div_10_reduceIdEEE10hipError_tPvRmT2_T3_mT4_T5_T6_T7_T8_P12ihipStream_tbENKUlT_T0_E_clISt17integral_constantIbLb0EES11_EEDaSW_SX_EUlSW_E_NS1_11comp_targetILNS1_3genE0ELNS1_11target_archE4294967295ELNS1_3gpuE0ELNS1_3repE0EEENS1_30default_config_static_selectorELNS0_4arch9wavefront6targetE1EEEvT1_, .Lfunc_end51-_ZN7rocprim17ROCPRIM_400000_NS6detail17trampoline_kernelINS0_14default_configENS1_29reduce_by_key_config_selectorIddN6thrust23THRUST_200600_302600_NS4plusIdEEEEZZNS1_33reduce_by_key_impl_wrapped_configILNS1_25lookback_scan_determinismE0ES3_S9_NS6_6detail15normal_iteratorINS6_10device_ptrIdEEEESG_SG_SG_PmS8_22is_equal_div_10_reduceIdEEE10hipError_tPvRmT2_T3_mT4_T5_T6_T7_T8_P12ihipStream_tbENKUlT_T0_E_clISt17integral_constantIbLb0EES11_EEDaSW_SX_EUlSW_E_NS1_11comp_targetILNS1_3genE0ELNS1_11target_archE4294967295ELNS1_3gpuE0ELNS1_3repE0EEENS1_30default_config_static_selectorELNS0_4arch9wavefront6targetE1EEEvT1_
                                        ; -- End function
	.section	.AMDGPU.csdata,"",@progbits
; Kernel info:
; codeLenInByte = 0
; NumSgprs: 4
; NumVgprs: 0
; NumAgprs: 0
; TotalNumVgprs: 0
; ScratchSize: 0
; MemoryBound: 0
; FloatMode: 240
; IeeeMode: 1
; LDSByteSize: 0 bytes/workgroup (compile time only)
; SGPRBlocks: 0
; VGPRBlocks: 0
; NumSGPRsForWavesPerEU: 4
; NumVGPRsForWavesPerEU: 1
; AccumOffset: 4
; Occupancy: 8
; WaveLimiterHint : 0
; COMPUTE_PGM_RSRC2:SCRATCH_EN: 0
; COMPUTE_PGM_RSRC2:USER_SGPR: 6
; COMPUTE_PGM_RSRC2:TRAP_HANDLER: 0
; COMPUTE_PGM_RSRC2:TGID_X_EN: 1
; COMPUTE_PGM_RSRC2:TGID_Y_EN: 0
; COMPUTE_PGM_RSRC2:TGID_Z_EN: 0
; COMPUTE_PGM_RSRC2:TIDIG_COMP_CNT: 0
; COMPUTE_PGM_RSRC3_GFX90A:ACCUM_OFFSET: 0
; COMPUTE_PGM_RSRC3_GFX90A:TG_SPLIT: 0
	.section	.text._ZN7rocprim17ROCPRIM_400000_NS6detail17trampoline_kernelINS0_14default_configENS1_29reduce_by_key_config_selectorIddN6thrust23THRUST_200600_302600_NS4plusIdEEEEZZNS1_33reduce_by_key_impl_wrapped_configILNS1_25lookback_scan_determinismE0ES3_S9_NS6_6detail15normal_iteratorINS6_10device_ptrIdEEEESG_SG_SG_PmS8_22is_equal_div_10_reduceIdEEE10hipError_tPvRmT2_T3_mT4_T5_T6_T7_T8_P12ihipStream_tbENKUlT_T0_E_clISt17integral_constantIbLb0EES11_EEDaSW_SX_EUlSW_E_NS1_11comp_targetILNS1_3genE5ELNS1_11target_archE942ELNS1_3gpuE9ELNS1_3repE0EEENS1_30default_config_static_selectorELNS0_4arch9wavefront6targetE1EEEvT1_,"axG",@progbits,_ZN7rocprim17ROCPRIM_400000_NS6detail17trampoline_kernelINS0_14default_configENS1_29reduce_by_key_config_selectorIddN6thrust23THRUST_200600_302600_NS4plusIdEEEEZZNS1_33reduce_by_key_impl_wrapped_configILNS1_25lookback_scan_determinismE0ES3_S9_NS6_6detail15normal_iteratorINS6_10device_ptrIdEEEESG_SG_SG_PmS8_22is_equal_div_10_reduceIdEEE10hipError_tPvRmT2_T3_mT4_T5_T6_T7_T8_P12ihipStream_tbENKUlT_T0_E_clISt17integral_constantIbLb0EES11_EEDaSW_SX_EUlSW_E_NS1_11comp_targetILNS1_3genE5ELNS1_11target_archE942ELNS1_3gpuE9ELNS1_3repE0EEENS1_30default_config_static_selectorELNS0_4arch9wavefront6targetE1EEEvT1_,comdat
	.protected	_ZN7rocprim17ROCPRIM_400000_NS6detail17trampoline_kernelINS0_14default_configENS1_29reduce_by_key_config_selectorIddN6thrust23THRUST_200600_302600_NS4plusIdEEEEZZNS1_33reduce_by_key_impl_wrapped_configILNS1_25lookback_scan_determinismE0ES3_S9_NS6_6detail15normal_iteratorINS6_10device_ptrIdEEEESG_SG_SG_PmS8_22is_equal_div_10_reduceIdEEE10hipError_tPvRmT2_T3_mT4_T5_T6_T7_T8_P12ihipStream_tbENKUlT_T0_E_clISt17integral_constantIbLb0EES11_EEDaSW_SX_EUlSW_E_NS1_11comp_targetILNS1_3genE5ELNS1_11target_archE942ELNS1_3gpuE9ELNS1_3repE0EEENS1_30default_config_static_selectorELNS0_4arch9wavefront6targetE1EEEvT1_ ; -- Begin function _ZN7rocprim17ROCPRIM_400000_NS6detail17trampoline_kernelINS0_14default_configENS1_29reduce_by_key_config_selectorIddN6thrust23THRUST_200600_302600_NS4plusIdEEEEZZNS1_33reduce_by_key_impl_wrapped_configILNS1_25lookback_scan_determinismE0ES3_S9_NS6_6detail15normal_iteratorINS6_10device_ptrIdEEEESG_SG_SG_PmS8_22is_equal_div_10_reduceIdEEE10hipError_tPvRmT2_T3_mT4_T5_T6_T7_T8_P12ihipStream_tbENKUlT_T0_E_clISt17integral_constantIbLb0EES11_EEDaSW_SX_EUlSW_E_NS1_11comp_targetILNS1_3genE5ELNS1_11target_archE942ELNS1_3gpuE9ELNS1_3repE0EEENS1_30default_config_static_selectorELNS0_4arch9wavefront6targetE1EEEvT1_
	.globl	_ZN7rocprim17ROCPRIM_400000_NS6detail17trampoline_kernelINS0_14default_configENS1_29reduce_by_key_config_selectorIddN6thrust23THRUST_200600_302600_NS4plusIdEEEEZZNS1_33reduce_by_key_impl_wrapped_configILNS1_25lookback_scan_determinismE0ES3_S9_NS6_6detail15normal_iteratorINS6_10device_ptrIdEEEESG_SG_SG_PmS8_22is_equal_div_10_reduceIdEEE10hipError_tPvRmT2_T3_mT4_T5_T6_T7_T8_P12ihipStream_tbENKUlT_T0_E_clISt17integral_constantIbLb0EES11_EEDaSW_SX_EUlSW_E_NS1_11comp_targetILNS1_3genE5ELNS1_11target_archE942ELNS1_3gpuE9ELNS1_3repE0EEENS1_30default_config_static_selectorELNS0_4arch9wavefront6targetE1EEEvT1_
	.p2align	8
	.type	_ZN7rocprim17ROCPRIM_400000_NS6detail17trampoline_kernelINS0_14default_configENS1_29reduce_by_key_config_selectorIddN6thrust23THRUST_200600_302600_NS4plusIdEEEEZZNS1_33reduce_by_key_impl_wrapped_configILNS1_25lookback_scan_determinismE0ES3_S9_NS6_6detail15normal_iteratorINS6_10device_ptrIdEEEESG_SG_SG_PmS8_22is_equal_div_10_reduceIdEEE10hipError_tPvRmT2_T3_mT4_T5_T6_T7_T8_P12ihipStream_tbENKUlT_T0_E_clISt17integral_constantIbLb0EES11_EEDaSW_SX_EUlSW_E_NS1_11comp_targetILNS1_3genE5ELNS1_11target_archE942ELNS1_3gpuE9ELNS1_3repE0EEENS1_30default_config_static_selectorELNS0_4arch9wavefront6targetE1EEEvT1_,@function
_ZN7rocprim17ROCPRIM_400000_NS6detail17trampoline_kernelINS0_14default_configENS1_29reduce_by_key_config_selectorIddN6thrust23THRUST_200600_302600_NS4plusIdEEEEZZNS1_33reduce_by_key_impl_wrapped_configILNS1_25lookback_scan_determinismE0ES3_S9_NS6_6detail15normal_iteratorINS6_10device_ptrIdEEEESG_SG_SG_PmS8_22is_equal_div_10_reduceIdEEE10hipError_tPvRmT2_T3_mT4_T5_T6_T7_T8_P12ihipStream_tbENKUlT_T0_E_clISt17integral_constantIbLb0EES11_EEDaSW_SX_EUlSW_E_NS1_11comp_targetILNS1_3genE5ELNS1_11target_archE942ELNS1_3gpuE9ELNS1_3repE0EEENS1_30default_config_static_selectorELNS0_4arch9wavefront6targetE1EEEvT1_: ; @_ZN7rocprim17ROCPRIM_400000_NS6detail17trampoline_kernelINS0_14default_configENS1_29reduce_by_key_config_selectorIddN6thrust23THRUST_200600_302600_NS4plusIdEEEEZZNS1_33reduce_by_key_impl_wrapped_configILNS1_25lookback_scan_determinismE0ES3_S9_NS6_6detail15normal_iteratorINS6_10device_ptrIdEEEESG_SG_SG_PmS8_22is_equal_div_10_reduceIdEEE10hipError_tPvRmT2_T3_mT4_T5_T6_T7_T8_P12ihipStream_tbENKUlT_T0_E_clISt17integral_constantIbLb0EES11_EEDaSW_SX_EUlSW_E_NS1_11comp_targetILNS1_3genE5ELNS1_11target_archE942ELNS1_3gpuE9ELNS1_3repE0EEENS1_30default_config_static_selectorELNS0_4arch9wavefront6targetE1EEEvT1_
; %bb.0:
	.section	.rodata,"a",@progbits
	.p2align	6, 0x0
	.amdhsa_kernel _ZN7rocprim17ROCPRIM_400000_NS6detail17trampoline_kernelINS0_14default_configENS1_29reduce_by_key_config_selectorIddN6thrust23THRUST_200600_302600_NS4plusIdEEEEZZNS1_33reduce_by_key_impl_wrapped_configILNS1_25lookback_scan_determinismE0ES3_S9_NS6_6detail15normal_iteratorINS6_10device_ptrIdEEEESG_SG_SG_PmS8_22is_equal_div_10_reduceIdEEE10hipError_tPvRmT2_T3_mT4_T5_T6_T7_T8_P12ihipStream_tbENKUlT_T0_E_clISt17integral_constantIbLb0EES11_EEDaSW_SX_EUlSW_E_NS1_11comp_targetILNS1_3genE5ELNS1_11target_archE942ELNS1_3gpuE9ELNS1_3repE0EEENS1_30default_config_static_selectorELNS0_4arch9wavefront6targetE1EEEvT1_
		.amdhsa_group_segment_fixed_size 0
		.amdhsa_private_segment_fixed_size 0
		.amdhsa_kernarg_size 136
		.amdhsa_user_sgpr_count 6
		.amdhsa_user_sgpr_private_segment_buffer 1
		.amdhsa_user_sgpr_dispatch_ptr 0
		.amdhsa_user_sgpr_queue_ptr 0
		.amdhsa_user_sgpr_kernarg_segment_ptr 1
		.amdhsa_user_sgpr_dispatch_id 0
		.amdhsa_user_sgpr_flat_scratch_init 0
		.amdhsa_user_sgpr_kernarg_preload_length 0
		.amdhsa_user_sgpr_kernarg_preload_offset 0
		.amdhsa_user_sgpr_private_segment_size 0
		.amdhsa_uses_dynamic_stack 0
		.amdhsa_system_sgpr_private_segment_wavefront_offset 0
		.amdhsa_system_sgpr_workgroup_id_x 1
		.amdhsa_system_sgpr_workgroup_id_y 0
		.amdhsa_system_sgpr_workgroup_id_z 0
		.amdhsa_system_sgpr_workgroup_info 0
		.amdhsa_system_vgpr_workitem_id 0
		.amdhsa_next_free_vgpr 1
		.amdhsa_next_free_sgpr 0
		.amdhsa_accum_offset 4
		.amdhsa_reserve_vcc 0
		.amdhsa_reserve_flat_scratch 0
		.amdhsa_float_round_mode_32 0
		.amdhsa_float_round_mode_16_64 0
		.amdhsa_float_denorm_mode_32 3
		.amdhsa_float_denorm_mode_16_64 3
		.amdhsa_dx10_clamp 1
		.amdhsa_ieee_mode 1
		.amdhsa_fp16_overflow 0
		.amdhsa_tg_split 0
		.amdhsa_exception_fp_ieee_invalid_op 0
		.amdhsa_exception_fp_denorm_src 0
		.amdhsa_exception_fp_ieee_div_zero 0
		.amdhsa_exception_fp_ieee_overflow 0
		.amdhsa_exception_fp_ieee_underflow 0
		.amdhsa_exception_fp_ieee_inexact 0
		.amdhsa_exception_int_div_zero 0
	.end_amdhsa_kernel
	.section	.text._ZN7rocprim17ROCPRIM_400000_NS6detail17trampoline_kernelINS0_14default_configENS1_29reduce_by_key_config_selectorIddN6thrust23THRUST_200600_302600_NS4plusIdEEEEZZNS1_33reduce_by_key_impl_wrapped_configILNS1_25lookback_scan_determinismE0ES3_S9_NS6_6detail15normal_iteratorINS6_10device_ptrIdEEEESG_SG_SG_PmS8_22is_equal_div_10_reduceIdEEE10hipError_tPvRmT2_T3_mT4_T5_T6_T7_T8_P12ihipStream_tbENKUlT_T0_E_clISt17integral_constantIbLb0EES11_EEDaSW_SX_EUlSW_E_NS1_11comp_targetILNS1_3genE5ELNS1_11target_archE942ELNS1_3gpuE9ELNS1_3repE0EEENS1_30default_config_static_selectorELNS0_4arch9wavefront6targetE1EEEvT1_,"axG",@progbits,_ZN7rocprim17ROCPRIM_400000_NS6detail17trampoline_kernelINS0_14default_configENS1_29reduce_by_key_config_selectorIddN6thrust23THRUST_200600_302600_NS4plusIdEEEEZZNS1_33reduce_by_key_impl_wrapped_configILNS1_25lookback_scan_determinismE0ES3_S9_NS6_6detail15normal_iteratorINS6_10device_ptrIdEEEESG_SG_SG_PmS8_22is_equal_div_10_reduceIdEEE10hipError_tPvRmT2_T3_mT4_T5_T6_T7_T8_P12ihipStream_tbENKUlT_T0_E_clISt17integral_constantIbLb0EES11_EEDaSW_SX_EUlSW_E_NS1_11comp_targetILNS1_3genE5ELNS1_11target_archE942ELNS1_3gpuE9ELNS1_3repE0EEENS1_30default_config_static_selectorELNS0_4arch9wavefront6targetE1EEEvT1_,comdat
.Lfunc_end52:
	.size	_ZN7rocprim17ROCPRIM_400000_NS6detail17trampoline_kernelINS0_14default_configENS1_29reduce_by_key_config_selectorIddN6thrust23THRUST_200600_302600_NS4plusIdEEEEZZNS1_33reduce_by_key_impl_wrapped_configILNS1_25lookback_scan_determinismE0ES3_S9_NS6_6detail15normal_iteratorINS6_10device_ptrIdEEEESG_SG_SG_PmS8_22is_equal_div_10_reduceIdEEE10hipError_tPvRmT2_T3_mT4_T5_T6_T7_T8_P12ihipStream_tbENKUlT_T0_E_clISt17integral_constantIbLb0EES11_EEDaSW_SX_EUlSW_E_NS1_11comp_targetILNS1_3genE5ELNS1_11target_archE942ELNS1_3gpuE9ELNS1_3repE0EEENS1_30default_config_static_selectorELNS0_4arch9wavefront6targetE1EEEvT1_, .Lfunc_end52-_ZN7rocprim17ROCPRIM_400000_NS6detail17trampoline_kernelINS0_14default_configENS1_29reduce_by_key_config_selectorIddN6thrust23THRUST_200600_302600_NS4plusIdEEEEZZNS1_33reduce_by_key_impl_wrapped_configILNS1_25lookback_scan_determinismE0ES3_S9_NS6_6detail15normal_iteratorINS6_10device_ptrIdEEEESG_SG_SG_PmS8_22is_equal_div_10_reduceIdEEE10hipError_tPvRmT2_T3_mT4_T5_T6_T7_T8_P12ihipStream_tbENKUlT_T0_E_clISt17integral_constantIbLb0EES11_EEDaSW_SX_EUlSW_E_NS1_11comp_targetILNS1_3genE5ELNS1_11target_archE942ELNS1_3gpuE9ELNS1_3repE0EEENS1_30default_config_static_selectorELNS0_4arch9wavefront6targetE1EEEvT1_
                                        ; -- End function
	.section	.AMDGPU.csdata,"",@progbits
; Kernel info:
; codeLenInByte = 0
; NumSgprs: 4
; NumVgprs: 0
; NumAgprs: 0
; TotalNumVgprs: 0
; ScratchSize: 0
; MemoryBound: 0
; FloatMode: 240
; IeeeMode: 1
; LDSByteSize: 0 bytes/workgroup (compile time only)
; SGPRBlocks: 0
; VGPRBlocks: 0
; NumSGPRsForWavesPerEU: 4
; NumVGPRsForWavesPerEU: 1
; AccumOffset: 4
; Occupancy: 8
; WaveLimiterHint : 0
; COMPUTE_PGM_RSRC2:SCRATCH_EN: 0
; COMPUTE_PGM_RSRC2:USER_SGPR: 6
; COMPUTE_PGM_RSRC2:TRAP_HANDLER: 0
; COMPUTE_PGM_RSRC2:TGID_X_EN: 1
; COMPUTE_PGM_RSRC2:TGID_Y_EN: 0
; COMPUTE_PGM_RSRC2:TGID_Z_EN: 0
; COMPUTE_PGM_RSRC2:TIDIG_COMP_CNT: 0
; COMPUTE_PGM_RSRC3_GFX90A:ACCUM_OFFSET: 0
; COMPUTE_PGM_RSRC3_GFX90A:TG_SPLIT: 0
	.section	.text._ZN7rocprim17ROCPRIM_400000_NS6detail17trampoline_kernelINS0_14default_configENS1_29reduce_by_key_config_selectorIddN6thrust23THRUST_200600_302600_NS4plusIdEEEEZZNS1_33reduce_by_key_impl_wrapped_configILNS1_25lookback_scan_determinismE0ES3_S9_NS6_6detail15normal_iteratorINS6_10device_ptrIdEEEESG_SG_SG_PmS8_22is_equal_div_10_reduceIdEEE10hipError_tPvRmT2_T3_mT4_T5_T6_T7_T8_P12ihipStream_tbENKUlT_T0_E_clISt17integral_constantIbLb0EES11_EEDaSW_SX_EUlSW_E_NS1_11comp_targetILNS1_3genE4ELNS1_11target_archE910ELNS1_3gpuE8ELNS1_3repE0EEENS1_30default_config_static_selectorELNS0_4arch9wavefront6targetE1EEEvT1_,"axG",@progbits,_ZN7rocprim17ROCPRIM_400000_NS6detail17trampoline_kernelINS0_14default_configENS1_29reduce_by_key_config_selectorIddN6thrust23THRUST_200600_302600_NS4plusIdEEEEZZNS1_33reduce_by_key_impl_wrapped_configILNS1_25lookback_scan_determinismE0ES3_S9_NS6_6detail15normal_iteratorINS6_10device_ptrIdEEEESG_SG_SG_PmS8_22is_equal_div_10_reduceIdEEE10hipError_tPvRmT2_T3_mT4_T5_T6_T7_T8_P12ihipStream_tbENKUlT_T0_E_clISt17integral_constantIbLb0EES11_EEDaSW_SX_EUlSW_E_NS1_11comp_targetILNS1_3genE4ELNS1_11target_archE910ELNS1_3gpuE8ELNS1_3repE0EEENS1_30default_config_static_selectorELNS0_4arch9wavefront6targetE1EEEvT1_,comdat
	.protected	_ZN7rocprim17ROCPRIM_400000_NS6detail17trampoline_kernelINS0_14default_configENS1_29reduce_by_key_config_selectorIddN6thrust23THRUST_200600_302600_NS4plusIdEEEEZZNS1_33reduce_by_key_impl_wrapped_configILNS1_25lookback_scan_determinismE0ES3_S9_NS6_6detail15normal_iteratorINS6_10device_ptrIdEEEESG_SG_SG_PmS8_22is_equal_div_10_reduceIdEEE10hipError_tPvRmT2_T3_mT4_T5_T6_T7_T8_P12ihipStream_tbENKUlT_T0_E_clISt17integral_constantIbLb0EES11_EEDaSW_SX_EUlSW_E_NS1_11comp_targetILNS1_3genE4ELNS1_11target_archE910ELNS1_3gpuE8ELNS1_3repE0EEENS1_30default_config_static_selectorELNS0_4arch9wavefront6targetE1EEEvT1_ ; -- Begin function _ZN7rocprim17ROCPRIM_400000_NS6detail17trampoline_kernelINS0_14default_configENS1_29reduce_by_key_config_selectorIddN6thrust23THRUST_200600_302600_NS4plusIdEEEEZZNS1_33reduce_by_key_impl_wrapped_configILNS1_25lookback_scan_determinismE0ES3_S9_NS6_6detail15normal_iteratorINS6_10device_ptrIdEEEESG_SG_SG_PmS8_22is_equal_div_10_reduceIdEEE10hipError_tPvRmT2_T3_mT4_T5_T6_T7_T8_P12ihipStream_tbENKUlT_T0_E_clISt17integral_constantIbLb0EES11_EEDaSW_SX_EUlSW_E_NS1_11comp_targetILNS1_3genE4ELNS1_11target_archE910ELNS1_3gpuE8ELNS1_3repE0EEENS1_30default_config_static_selectorELNS0_4arch9wavefront6targetE1EEEvT1_
	.globl	_ZN7rocprim17ROCPRIM_400000_NS6detail17trampoline_kernelINS0_14default_configENS1_29reduce_by_key_config_selectorIddN6thrust23THRUST_200600_302600_NS4plusIdEEEEZZNS1_33reduce_by_key_impl_wrapped_configILNS1_25lookback_scan_determinismE0ES3_S9_NS6_6detail15normal_iteratorINS6_10device_ptrIdEEEESG_SG_SG_PmS8_22is_equal_div_10_reduceIdEEE10hipError_tPvRmT2_T3_mT4_T5_T6_T7_T8_P12ihipStream_tbENKUlT_T0_E_clISt17integral_constantIbLb0EES11_EEDaSW_SX_EUlSW_E_NS1_11comp_targetILNS1_3genE4ELNS1_11target_archE910ELNS1_3gpuE8ELNS1_3repE0EEENS1_30default_config_static_selectorELNS0_4arch9wavefront6targetE1EEEvT1_
	.p2align	8
	.type	_ZN7rocprim17ROCPRIM_400000_NS6detail17trampoline_kernelINS0_14default_configENS1_29reduce_by_key_config_selectorIddN6thrust23THRUST_200600_302600_NS4plusIdEEEEZZNS1_33reduce_by_key_impl_wrapped_configILNS1_25lookback_scan_determinismE0ES3_S9_NS6_6detail15normal_iteratorINS6_10device_ptrIdEEEESG_SG_SG_PmS8_22is_equal_div_10_reduceIdEEE10hipError_tPvRmT2_T3_mT4_T5_T6_T7_T8_P12ihipStream_tbENKUlT_T0_E_clISt17integral_constantIbLb0EES11_EEDaSW_SX_EUlSW_E_NS1_11comp_targetILNS1_3genE4ELNS1_11target_archE910ELNS1_3gpuE8ELNS1_3repE0EEENS1_30default_config_static_selectorELNS0_4arch9wavefront6targetE1EEEvT1_,@function
_ZN7rocprim17ROCPRIM_400000_NS6detail17trampoline_kernelINS0_14default_configENS1_29reduce_by_key_config_selectorIddN6thrust23THRUST_200600_302600_NS4plusIdEEEEZZNS1_33reduce_by_key_impl_wrapped_configILNS1_25lookback_scan_determinismE0ES3_S9_NS6_6detail15normal_iteratorINS6_10device_ptrIdEEEESG_SG_SG_PmS8_22is_equal_div_10_reduceIdEEE10hipError_tPvRmT2_T3_mT4_T5_T6_T7_T8_P12ihipStream_tbENKUlT_T0_E_clISt17integral_constantIbLb0EES11_EEDaSW_SX_EUlSW_E_NS1_11comp_targetILNS1_3genE4ELNS1_11target_archE910ELNS1_3gpuE8ELNS1_3repE0EEENS1_30default_config_static_selectorELNS0_4arch9wavefront6targetE1EEEvT1_: ; @_ZN7rocprim17ROCPRIM_400000_NS6detail17trampoline_kernelINS0_14default_configENS1_29reduce_by_key_config_selectorIddN6thrust23THRUST_200600_302600_NS4plusIdEEEEZZNS1_33reduce_by_key_impl_wrapped_configILNS1_25lookback_scan_determinismE0ES3_S9_NS6_6detail15normal_iteratorINS6_10device_ptrIdEEEESG_SG_SG_PmS8_22is_equal_div_10_reduceIdEEE10hipError_tPvRmT2_T3_mT4_T5_T6_T7_T8_P12ihipStream_tbENKUlT_T0_E_clISt17integral_constantIbLb0EES11_EEDaSW_SX_EUlSW_E_NS1_11comp_targetILNS1_3genE4ELNS1_11target_archE910ELNS1_3gpuE8ELNS1_3repE0EEENS1_30default_config_static_selectorELNS0_4arch9wavefront6targetE1EEEvT1_
; %bb.0:
	s_load_dwordx8 s[52:59], s[4:5], 0x0
	s_load_dwordx4 s[60:63], s[4:5], 0x20
	s_load_dwordx16 s[36:51], s[4:5], 0x38
	v_mul_u32_u24_e32 v76, 15, v0
	s_waitcnt lgkmcnt(0)
	s_lshl_b64 s[0:1], s[54:55], 3
	s_add_u32 s2, s52, s0
	s_addc_u32 s3, s53, s1
	s_add_u32 s8, s56, s0
	s_addc_u32 s9, s57, s1
	s_mul_i32 s0, s44, s43
	s_mul_hi_u32 s1, s44, s42
	s_add_i32 s0, s1, s0
	s_mul_i32 s1, s45, s42
	s_add_i32 s10, s0, s1
	s_mul_i32 s0, s6, 0xf00
	s_mov_b32 s1, 0
	s_lshl_b64 s[0:1], s[0:1], 3
	s_add_u32 s7, s2, s0
	s_addc_u32 s56, s3, s1
	s_add_u32 s57, s8, s0
	s_mul_i32 s11, s44, s42
	s_addc_u32 s64, s9, s1
	s_add_u32 s52, s11, s6
	s_addc_u32 s53, s10, 0
	s_add_u32 s2, s46, -1
	s_addc_u32 s3, s47, -1
	s_cmp_eq_u64 s[52:53], s[2:3]
	s_cselect_b64 s[34:35], -1, 0
	s_cmp_lg_u64 s[52:53], s[2:3]
	s_mov_b64 s[0:1], -1
	s_cselect_b64 s[54:55], -1, 0
	s_mul_i32 s33, s2, 0xfffff100
	s_and_b64 vcc, exec, s[34:35]
	s_cbranch_vccnz .LBB53_2
; %bb.1:
	v_lshlrev_b32_e32 v66, 3, v0
	v_mov_b32_e32 v1, s56
	v_add_co_u32_e32 v2, vcc, s7, v66
	v_addc_co_u32_e32 v3, vcc, 0, v1, vcc
	v_add_co_u32_e32 v4, vcc, 0x1000, v2
	v_addc_co_u32_e32 v5, vcc, 0, v3, vcc
	flat_load_dwordx2 v[6:7], v[2:3]
	flat_load_dwordx2 v[8:9], v[2:3] offset:2048
	flat_load_dwordx2 v[10:11], v[4:5]
	flat_load_dwordx2 v[12:13], v[4:5] offset:2048
	v_add_co_u32_e32 v4, vcc, 0x2000, v2
	v_addc_co_u32_e32 v5, vcc, 0, v3, vcc
	v_add_co_u32_e32 v14, vcc, 0x3000, v2
	v_addc_co_u32_e32 v15, vcc, 0, v3, vcc
	flat_load_dwordx2 v[16:17], v[4:5]
	flat_load_dwordx2 v[18:19], v[4:5] offset:2048
	flat_load_dwordx2 v[20:21], v[14:15]
	flat_load_dwordx2 v[22:23], v[14:15] offset:2048
	;; [unrolled: 8-line block ×3, first 2 shown]
	v_add_co_u32_e32 v4, vcc, 0x6000, v2
	v_addc_co_u32_e32 v5, vcc, 0, v3, vcc
	v_add_co_u32_e32 v2, vcc, 0x7000, v2
	v_addc_co_u32_e32 v3, vcc, 0, v3, vcc
	flat_load_dwordx2 v[14:15], v[4:5]
	flat_load_dwordx2 v[32:33], v[4:5] offset:2048
	flat_load_dwordx2 v[34:35], v[2:3]
	v_mov_b32_e32 v36, s64
	s_movk_i32 s0, 0x1000
	s_movk_i32 s11, 0x70
	;; [unrolled: 1-line block ×3, first 2 shown]
	v_mad_u32_u24 v1, v0, s11, v66
	s_movk_i32 s2, 0x3000
	s_movk_i32 s3, 0x4000
	;; [unrolled: 1-line block ×5, first 2 shown]
	s_waitcnt vmcnt(0) lgkmcnt(0)
	ds_write2st64_b64 v66, v[6:7], v[8:9] offset1:4
	ds_write2st64_b64 v66, v[10:11], v[12:13] offset0:8 offset1:12
	ds_write2st64_b64 v66, v[16:17], v[18:19] offset0:16 offset1:20
	ds_write2st64_b64 v66, v[20:21], v[22:23] offset0:24 offset1:28
	ds_write2st64_b64 v66, v[24:25], v[26:27] offset0:32 offset1:36
	ds_write2st64_b64 v66, v[28:29], v[30:31] offset0:40 offset1:44
	ds_write2st64_b64 v66, v[14:15], v[32:33] offset0:48 offset1:52
	ds_write_b64 v66, v[34:35] offset:28672
	v_add_co_u32_e32 v30, vcc, s57, v66
	v_addc_co_u32_e32 v31, vcc, 0, v36, vcc
	v_add_co_u32_e32 v32, vcc, s0, v30
	v_addc_co_u32_e32 v33, vcc, 0, v31, vcc
	s_waitcnt lgkmcnt(0)
	s_barrier
	ds_read2_b64 v[26:29], v1 offset1:1
	ds_read2_b64 v[22:25], v1 offset0:2 offset1:3
	ds_read2_b64 v[18:21], v1 offset0:4 offset1:5
	;; [unrolled: 1-line block ×6, first 2 shown]
	ds_read_b64 v[58:59], v1 offset:112
	s_waitcnt lgkmcnt(0)
	s_barrier
	flat_load_dwordx2 v[34:35], v[30:31]
	flat_load_dwordx2 v[36:37], v[30:31] offset:2048
	flat_load_dwordx2 v[38:39], v[32:33]
	flat_load_dwordx2 v[40:41], v[32:33] offset:2048
	v_add_co_u32_e32 v32, vcc, s1, v30
	v_addc_co_u32_e32 v33, vcc, 0, v31, vcc
	v_add_co_u32_e32 v42, vcc, s2, v30
	v_addc_co_u32_e32 v43, vcc, 0, v31, vcc
	flat_load_dwordx2 v[44:45], v[32:33]
	flat_load_dwordx2 v[46:47], v[32:33] offset:2048
	flat_load_dwordx2 v[48:49], v[42:43]
	flat_load_dwordx2 v[50:51], v[42:43] offset:2048
	v_add_co_u32_e32 v32, vcc, s3, v30
	v_addc_co_u32_e32 v33, vcc, 0, v31, vcc
	v_add_co_u32_e32 v42, vcc, s8, v30
	v_addc_co_u32_e32 v43, vcc, 0, v31, vcc
	;; [unrolled: 8-line block ×3, first 2 shown]
	flat_load_dwordx2 v[42:43], v[32:33]
	flat_load_dwordx2 v[62:63], v[32:33] offset:2048
	flat_load_dwordx2 v[64:65], v[30:31]
	v_mul_u32_u24_e32 v30, 15, v0
	s_waitcnt vmcnt(0) lgkmcnt(0)
	ds_write2st64_b64 v66, v[34:35], v[36:37] offset1:4
	ds_write2st64_b64 v66, v[38:39], v[40:41] offset0:8 offset1:12
	ds_write2st64_b64 v66, v[44:45], v[46:47] offset0:16 offset1:20
	;; [unrolled: 1-line block ×6, first 2 shown]
	ds_write_b64 v66, v[64:65] offset:28672
	s_waitcnt lgkmcnt(0)
	s_barrier
	s_load_dwordx2 s[46:47], s[4:5], 0x78
	s_add_i32 s33, s33, s48
	s_cbranch_execz .LBB53_3
	s_branch .LBB53_50
.LBB53_2:
                                        ; implicit-def: $vgpr2_vgpr3_vgpr4_vgpr5
                                        ; implicit-def: $vgpr6_vgpr7_vgpr8_vgpr9
                                        ; implicit-def: $vgpr10_vgpr11_vgpr12_vgpr13
                                        ; implicit-def: $vgpr14_vgpr15_vgpr16_vgpr17
                                        ; implicit-def: $vgpr18_vgpr19_vgpr20_vgpr21
                                        ; implicit-def: $vgpr22_vgpr23_vgpr24_vgpr25
                                        ; implicit-def: $vgpr26_vgpr27_vgpr28_vgpr29
                                        ; implicit-def: $vgpr30
                                        ; implicit-def: $vgpr1
                                        ; implicit-def: $vgpr58_vgpr59
	s_load_dwordx2 s[46:47], s[4:5], 0x78
	s_andn2_b64 vcc, exec, s[0:1]
	s_add_i32 s33, s33, s48
	s_cbranch_vccnz .LBB53_50
.LBB53_3:
	v_cmp_gt_u32_e32 vcc, s33, v0
                                        ; implicit-def: $vgpr2_vgpr3
	s_and_saveexec_b64 s[2:3], vcc
	s_cbranch_execz .LBB53_5
; %bb.4:
	v_lshlrev_b32_e32 v1, 3, v0
	v_mov_b32_e32 v3, s56
	v_add_co_u32_e64 v2, s[0:1], s7, v1
	v_addc_co_u32_e64 v3, s[0:1], 0, v3, s[0:1]
	flat_load_dwordx2 v[2:3], v[2:3]
.LBB53_5:
	s_or_b64 exec, exec, s[2:3]
	v_or_b32_e32 v1, 0x100, v0
	v_cmp_gt_u32_e64 s[0:1], s33, v1
                                        ; implicit-def: $vgpr4_vgpr5
	s_and_saveexec_b64 s[4:5], s[0:1]
	s_cbranch_execz .LBB53_7
; %bb.6:
	v_lshlrev_b32_e32 v1, 3, v0
	v_mov_b32_e32 v5, s56
	v_add_co_u32_e64 v4, s[2:3], s7, v1
	v_addc_co_u32_e64 v5, s[2:3], 0, v5, s[2:3]
	flat_load_dwordx2 v[4:5], v[4:5] offset:2048
.LBB53_7:
	s_or_b64 exec, exec, s[4:5]
	v_or_b32_e32 v1, 0x200, v0
	v_cmp_gt_u32_e64 s[2:3], s33, v1
	v_lshlrev_b32_e32 v36, 3, v1
                                        ; implicit-def: $vgpr6_vgpr7
	s_and_saveexec_b64 s[8:9], s[2:3]
	s_cbranch_execz .LBB53_9
; %bb.8:
	v_mov_b32_e32 v1, s56
	v_add_co_u32_e64 v6, s[4:5], s7, v36
	v_addc_co_u32_e64 v7, s[4:5], 0, v1, s[4:5]
	flat_load_dwordx2 v[6:7], v[6:7]
.LBB53_9:
	s_or_b64 exec, exec, s[8:9]
	v_or_b32_e32 v1, 0x300, v0
	v_cmp_gt_u32_e64 s[4:5], s33, v1
	v_lshlrev_b32_e32 v38, 3, v1
                                        ; implicit-def: $vgpr8_vgpr9
	s_and_saveexec_b64 s[10:11], s[4:5]
	s_cbranch_execz .LBB53_11
; %bb.10:
	v_mov_b32_e32 v1, s56
	v_add_co_u32_e64 v8, s[8:9], s7, v38
	v_addc_co_u32_e64 v9, s[8:9], 0, v1, s[8:9]
	flat_load_dwordx2 v[8:9], v[8:9]
.LBB53_11:
	s_or_b64 exec, exec, s[10:11]
	v_or_b32_e32 v1, 0x400, v0
	v_cmp_gt_u32_e64 s[28:29], s33, v1
	v_lshlrev_b32_e32 v40, 3, v1
                                        ; implicit-def: $vgpr10_vgpr11
	s_and_saveexec_b64 s[10:11], s[28:29]
	s_cbranch_execz .LBB53_13
; %bb.12:
	v_mov_b32_e32 v1, s56
	v_add_co_u32_e64 v10, s[8:9], s7, v40
	v_addc_co_u32_e64 v11, s[8:9], 0, v1, s[8:9]
	flat_load_dwordx2 v[10:11], v[10:11]
.LBB53_13:
	s_or_b64 exec, exec, s[10:11]
	v_or_b32_e32 v1, 0x500, v0
	v_cmp_gt_u32_e64 s[8:9], s33, v1
	v_lshlrev_b32_e32 v42, 3, v1
                                        ; implicit-def: $vgpr12_vgpr13
	s_and_saveexec_b64 s[12:13], s[8:9]
	s_cbranch_execz .LBB53_15
; %bb.14:
	v_mov_b32_e32 v1, s56
	v_add_co_u32_e64 v12, s[10:11], s7, v42
	v_addc_co_u32_e64 v13, s[10:11], 0, v1, s[10:11]
	flat_load_dwordx2 v[12:13], v[12:13]
.LBB53_15:
	s_or_b64 exec, exec, s[12:13]
	v_or_b32_e32 v1, 0x600, v0
	v_cmp_gt_u32_e64 s[10:11], s33, v1
	v_lshlrev_b32_e32 v44, 3, v1
                                        ; implicit-def: $vgpr14_vgpr15
	s_and_saveexec_b64 s[14:15], s[10:11]
	s_cbranch_execz .LBB53_17
; %bb.16:
	v_mov_b32_e32 v1, s56
	v_add_co_u32_e64 v14, s[12:13], s7, v44
	v_addc_co_u32_e64 v15, s[12:13], 0, v1, s[12:13]
	flat_load_dwordx2 v[14:15], v[14:15]
.LBB53_17:
	s_or_b64 exec, exec, s[14:15]
	v_or_b32_e32 v1, 0x700, v0
	v_cmp_gt_u32_e64 s[12:13], s33, v1
	v_lshlrev_b32_e32 v46, 3, v1
                                        ; implicit-def: $vgpr16_vgpr17
	s_and_saveexec_b64 s[16:17], s[12:13]
	s_cbranch_execz .LBB53_19
; %bb.18:
	v_mov_b32_e32 v1, s56
	v_add_co_u32_e64 v16, s[14:15], s7, v46
	v_addc_co_u32_e64 v17, s[14:15], 0, v1, s[14:15]
	flat_load_dwordx2 v[16:17], v[16:17]
.LBB53_19:
	s_or_b64 exec, exec, s[16:17]
	v_or_b32_e32 v1, 0x800, v0
	v_cmp_gt_u32_e64 s[14:15], s33, v1
	v_lshlrev_b32_e32 v48, 3, v1
                                        ; implicit-def: $vgpr18_vgpr19
	s_and_saveexec_b64 s[18:19], s[14:15]
	s_cbranch_execz .LBB53_21
; %bb.20:
	v_mov_b32_e32 v1, s56
	v_add_co_u32_e64 v18, s[16:17], s7, v48
	v_addc_co_u32_e64 v19, s[16:17], 0, v1, s[16:17]
	flat_load_dwordx2 v[18:19], v[18:19]
.LBB53_21:
	s_or_b64 exec, exec, s[18:19]
	v_or_b32_e32 v1, 0x900, v0
	v_cmp_gt_u32_e64 s[16:17], s33, v1
	v_lshlrev_b32_e32 v50, 3, v1
                                        ; implicit-def: $vgpr20_vgpr21
	s_and_saveexec_b64 s[20:21], s[16:17]
	s_cbranch_execz .LBB53_23
; %bb.22:
	v_mov_b32_e32 v1, s56
	v_add_co_u32_e64 v20, s[18:19], s7, v50
	v_addc_co_u32_e64 v21, s[18:19], 0, v1, s[18:19]
	flat_load_dwordx2 v[20:21], v[20:21]
.LBB53_23:
	s_or_b64 exec, exec, s[20:21]
	v_or_b32_e32 v1, 0xa00, v0
	v_cmp_gt_u32_e64 s[18:19], s33, v1
	v_lshlrev_b32_e32 v52, 3, v1
                                        ; implicit-def: $vgpr22_vgpr23
	s_and_saveexec_b64 s[22:23], s[18:19]
	s_cbranch_execz .LBB53_25
; %bb.24:
	v_mov_b32_e32 v1, s56
	v_add_co_u32_e64 v22, s[20:21], s7, v52
	v_addc_co_u32_e64 v23, s[20:21], 0, v1, s[20:21]
	flat_load_dwordx2 v[22:23], v[22:23]
.LBB53_25:
	s_or_b64 exec, exec, s[22:23]
	v_or_b32_e32 v1, 0xb00, v0
	v_cmp_gt_u32_e64 s[20:21], s33, v1
	v_lshlrev_b32_e32 v54, 3, v1
                                        ; implicit-def: $vgpr24_vgpr25
	s_and_saveexec_b64 s[24:25], s[20:21]
	s_cbranch_execz .LBB53_27
; %bb.26:
	v_mov_b32_e32 v1, s56
	v_add_co_u32_e64 v24, s[22:23], s7, v54
	v_addc_co_u32_e64 v25, s[22:23], 0, v1, s[22:23]
	flat_load_dwordx2 v[24:25], v[24:25]
.LBB53_27:
	s_or_b64 exec, exec, s[24:25]
	v_or_b32_e32 v1, 0xc00, v0
	v_cmp_gt_u32_e64 s[22:23], s33, v1
	v_lshlrev_b32_e32 v56, 3, v1
                                        ; implicit-def: $vgpr26_vgpr27
	s_and_saveexec_b64 s[26:27], s[22:23]
	s_cbranch_execz .LBB53_29
; %bb.28:
	v_mov_b32_e32 v1, s56
	v_add_co_u32_e64 v26, s[24:25], s7, v56
	v_addc_co_u32_e64 v27, s[24:25], 0, v1, s[24:25]
	flat_load_dwordx2 v[26:27], v[26:27]
.LBB53_29:
	s_or_b64 exec, exec, s[26:27]
	v_or_b32_e32 v1, 0xd00, v0
	v_cmp_gt_u32_e64 s[24:25], s33, v1
	v_lshlrev_b32_e32 v60, 3, v1
                                        ; implicit-def: $vgpr28_vgpr29
	s_and_saveexec_b64 s[30:31], s[24:25]
	s_cbranch_execz .LBB53_31
; %bb.30:
	v_mov_b32_e32 v1, s56
	v_add_co_u32_e64 v28, s[26:27], s7, v60
	v_addc_co_u32_e64 v29, s[26:27], 0, v1, s[26:27]
	flat_load_dwordx2 v[28:29], v[28:29]
.LBB53_31:
	s_or_b64 exec, exec, s[30:31]
	v_or_b32_e32 v1, 0xe00, v0
	v_cmp_gt_u32_e64 s[26:27], s33, v1
	v_lshlrev_b32_e32 v62, 3, v1
                                        ; implicit-def: $vgpr30_vgpr31
	s_and_saveexec_b64 s[44:45], s[26:27]
	s_cbranch_execz .LBB53_33
; %bb.32:
	v_mov_b32_e32 v1, s56
	v_add_co_u32_e64 v30, s[30:31], s7, v62
	v_addc_co_u32_e64 v31, s[30:31], 0, v1, s[30:31]
	flat_load_dwordx2 v[30:31], v[30:31]
.LBB53_33:
	s_or_b64 exec, exec, s[44:45]
	v_lshlrev_b32_e32 v63, 3, v0
	s_movk_i32 s30, 0x70
	v_mad_u32_u24 v1, v0, s30, v63
	s_waitcnt vmcnt(0) lgkmcnt(0)
	ds_write2st64_b64 v63, v[2:3], v[4:5] offset1:4
	ds_write2st64_b64 v63, v[6:7], v[8:9] offset0:8 offset1:12
	ds_write2st64_b64 v63, v[10:11], v[12:13] offset0:16 offset1:20
	;; [unrolled: 1-line block ×6, first 2 shown]
	ds_write_b64 v63, v[30:31] offset:28672
	s_waitcnt lgkmcnt(0)
	s_barrier
	ds_read2_b64 v[26:29], v1 offset1:1
	ds_read2_b64 v[22:25], v1 offset0:2 offset1:3
	ds_read2_b64 v[18:21], v1 offset0:4 offset1:5
	;; [unrolled: 1-line block ×6, first 2 shown]
	ds_read_b64 v[58:59], v1 offset:112
	s_waitcnt lgkmcnt(0)
	s_barrier
	s_waitcnt lgkmcnt(0)
                                        ; implicit-def: $vgpr30_vgpr31
	s_and_saveexec_b64 s[30:31], vcc
	s_cbranch_execnz .LBB53_57
; %bb.34:
	s_or_b64 exec, exec, s[30:31]
                                        ; implicit-def: $vgpr32_vgpr33
	s_and_saveexec_b64 s[30:31], s[0:1]
	s_cbranch_execnz .LBB53_58
.LBB53_35:
	s_or_b64 exec, exec, s[30:31]
                                        ; implicit-def: $vgpr34_vgpr35
	s_and_saveexec_b64 s[0:1], s[2:3]
	s_cbranch_execnz .LBB53_59
.LBB53_36:
	s_or_b64 exec, exec, s[0:1]
                                        ; implicit-def: $vgpr36_vgpr37
	s_and_saveexec_b64 s[0:1], s[4:5]
	s_cbranch_execnz .LBB53_60
.LBB53_37:
	s_or_b64 exec, exec, s[0:1]
                                        ; implicit-def: $vgpr38_vgpr39
	s_and_saveexec_b64 s[0:1], s[28:29]
	s_cbranch_execnz .LBB53_61
.LBB53_38:
	s_or_b64 exec, exec, s[0:1]
                                        ; implicit-def: $vgpr40_vgpr41
	s_and_saveexec_b64 s[0:1], s[8:9]
	s_cbranch_execnz .LBB53_62
.LBB53_39:
	s_or_b64 exec, exec, s[0:1]
                                        ; implicit-def: $vgpr42_vgpr43
	s_and_saveexec_b64 s[0:1], s[10:11]
	s_cbranch_execnz .LBB53_63
.LBB53_40:
	s_or_b64 exec, exec, s[0:1]
                                        ; implicit-def: $vgpr44_vgpr45
	s_and_saveexec_b64 s[0:1], s[12:13]
	s_cbranch_execnz .LBB53_64
.LBB53_41:
	s_or_b64 exec, exec, s[0:1]
                                        ; implicit-def: $vgpr46_vgpr47
	s_and_saveexec_b64 s[0:1], s[14:15]
	s_cbranch_execnz .LBB53_65
.LBB53_42:
	s_or_b64 exec, exec, s[0:1]
                                        ; implicit-def: $vgpr48_vgpr49
	s_and_saveexec_b64 s[0:1], s[16:17]
	s_cbranch_execnz .LBB53_66
.LBB53_43:
	s_or_b64 exec, exec, s[0:1]
                                        ; implicit-def: $vgpr50_vgpr51
	s_and_saveexec_b64 s[0:1], s[18:19]
	s_cbranch_execnz .LBB53_67
.LBB53_44:
	s_or_b64 exec, exec, s[0:1]
                                        ; implicit-def: $vgpr52_vgpr53
	s_and_saveexec_b64 s[0:1], s[20:21]
	s_cbranch_execnz .LBB53_68
.LBB53_45:
	s_or_b64 exec, exec, s[0:1]
                                        ; implicit-def: $vgpr54_vgpr55
	s_and_saveexec_b64 s[0:1], s[22:23]
	s_cbranch_execnz .LBB53_69
.LBB53_46:
	s_or_b64 exec, exec, s[0:1]
                                        ; implicit-def: $vgpr56_vgpr57
	s_and_saveexec_b64 s[0:1], s[24:25]
	s_cbranch_execnz .LBB53_70
.LBB53_47:
	s_or_b64 exec, exec, s[0:1]
                                        ; implicit-def: $vgpr60_vgpr61
	s_and_saveexec_b64 s[0:1], s[26:27]
	s_cbranch_execz .LBB53_49
.LBB53_48:
	v_mov_b32_e32 v61, s64
	v_add_co_u32_e32 v60, vcc, s57, v62
	v_addc_co_u32_e32 v61, vcc, 0, v61, vcc
	flat_load_dwordx2 v[60:61], v[60:61]
.LBB53_49:
	s_or_b64 exec, exec, s[0:1]
	s_waitcnt vmcnt(0) lgkmcnt(0)
	ds_write2st64_b64 v63, v[30:31], v[32:33] offset1:4
	ds_write2st64_b64 v63, v[34:35], v[36:37] offset0:8 offset1:12
	ds_write2st64_b64 v63, v[38:39], v[40:41] offset0:16 offset1:20
	;; [unrolled: 1-line block ×6, first 2 shown]
	ds_write_b64 v63, v[60:61] offset:28672
	v_mov_b32_e32 v30, v76
	s_waitcnt lgkmcnt(0)
	s_barrier
.LBB53_50:
	v_lshlrev_b32_e32 v60, 3, v30
	s_waitcnt lgkmcnt(0)
	ds_read2_b64 v[50:53], v1 offset1:2
	ds_read2_b64 v[42:45], v1 offset0:4 offset1:6
	ds_read2_b64 v[54:57], v60 offset0:1 offset1:3
	;; [unrolled: 1-line block ×6, first 2 shown]
	ds_read_b64 v[72:73], v60 offset:104
	s_cmp_eq_u64 s[52:53], 0
	s_cselect_b64 s[44:45], -1, 0
	s_cmp_lg_u64 s[52:53], 0
	s_mov_b64 s[0:1], 0
	s_cselect_b64 s[30:31], -1, 0
	s_and_b64 vcc, exec, s[54:55]
	s_waitcnt lgkmcnt(0)
	s_barrier
	s_cbranch_vccz .LBB53_56
; %bb.51:
	s_and_b64 vcc, exec, s[30:31]
	s_cbranch_vccz .LBB53_71
; %bb.52:
	v_mov_b32_e32 v1, s56
	v_add_co_u32_e64 v60, vcc, -8, s7
	v_addc_co_u32_e32 v61, vcc, -1, v1, vcc
	flat_load_dwordx2 v[64:65], v[60:61]
	v_cvt_i32_f64_e32 v60, v[4:5]
	s_mov_b32 s57, 0x66666667
	v_mul_hi_i32 v60, v60, s57
	v_lshrrev_b32_e32 v61, 31, v60
	v_ashrrev_i32_e32 v60, 2, v60
	v_add_u32_e32 v60, v60, v61
	v_cvt_i32_f64_e32 v61, v[58:59]
	v_mul_hi_i32 v61, v61, s57
	v_lshrrev_b32_e32 v62, 31, v61
	v_ashrrev_i32_e32 v61, 2, v61
	v_add_u32_e32 v61, v61, v62
	v_cmp_ne_u32_e32 vcc, v60, v61
	v_cvt_i32_f64_e32 v61, v[2:3]
	v_mul_hi_i32 v61, v61, s57
	v_lshrrev_b32_e32 v62, 31, v61
	v_ashrrev_i32_e32 v61, 2, v61
	v_add_u32_e32 v61, v61, v62
	v_cmp_ne_u32_e64 s[0:1], v61, v60
	v_cvt_i32_f64_e32 v60, v[8:9]
	v_mul_hi_i32 v60, v60, s57
	v_lshrrev_b32_e32 v62, 31, v60
	v_ashrrev_i32_e32 v60, 2, v60
	v_add_u32_e32 v60, v60, v62
	v_cmp_ne_u32_e64 s[2:3], v60, v61
	;; [unrolled: 6-line block ×11, first 2 shown]
	v_cvt_i32_f64_e32 v60, v[28:29]
	v_mul_hi_i32 v60, v60, s57
	v_lshrrev_b32_e32 v62, 31, v60
	v_ashrrev_i32_e32 v60, 2, v60
	v_add_u32_e32 v62, v60, v62
	v_cvt_i32_f64_e32 v60, v[26:27]
	v_mul_hi_i32 v60, v60, s57
	v_cmp_ne_u32_e64 s[22:23], v62, v61
	v_lshrrev_b32_e32 v61, 31, v60
	v_ashrrev_i32_e32 v60, 2, v60
	v_add_u32_e32 v60, v60, v61
	v_lshlrev_b32_e32 v1, 3, v0
	v_cmp_ne_u32_e64 s[24:25], v60, v62
	v_cmp_ne_u32_e64 s[28:29], 0, v0
	ds_write_b64 v1, v[58:59]
	s_waitcnt lgkmcnt(0)
	s_barrier
	s_and_saveexec_b64 s[54:55], s[28:29]
	s_cbranch_execz .LBB53_54
; %bb.53:
	v_add_u32_e32 v1, -8, v1
	s_waitcnt vmcnt(0)
	ds_read_b64 v[64:65], v1
.LBB53_54:
	s_or_b64 exec, exec, s[54:55]
	s_waitcnt vmcnt(0) lgkmcnt(0)
	v_cvt_i32_f64_e32 v64, v[64:65]
	v_mul_hi_i32 v64, v64, s57
	v_lshrrev_b32_e32 v65, 31, v64
	v_ashrrev_i32_e32 v64, 2, v64
	v_add_u32_e32 v64, v64, v65
	v_cndmask_b32_e64 v1, 0, 1, vcc
	v_cndmask_b32_e64 v79, 0, 1, s[0:1]
	v_cndmask_b32_e64 v112, 0, 1, s[2:3]
	;; [unrolled: 1-line block ×13, first 2 shown]
	v_cmp_ne_u32_e64 s[4:5], v64, v60
	s_mov_b64 s[0:1], -1
.LBB53_55:
                                        ; implicit-def: $sgpr8
	s_branch .LBB53_75
.LBB53_56:
                                        ; implicit-def: $sgpr4_sgpr5
                                        ; implicit-def: $vgpr1
                                        ; implicit-def: $vgpr79
                                        ; implicit-def: $vgpr112
                                        ; implicit-def: $vgpr61
                                        ; implicit-def: $vgpr113
                                        ; implicit-def: $vgpr63
                                        ; implicit-def: $vgpr62
                                        ; implicit-def: $vgpr67
                                        ; implicit-def: $vgpr66
                                        ; implicit-def: $vgpr69
                                        ; implicit-def: $vgpr68
                                        ; implicit-def: $vgpr71
                                        ; implicit-def: $vgpr70
                                        ; implicit-def: $vgpr75
                                        ; implicit-def: $vgpr65
                                        ; implicit-def: $sgpr8
	s_cbranch_execnz .LBB53_76
	s_branch .LBB53_111
.LBB53_57:
	v_mov_b32_e32 v31, s64
	v_add_co_u32_e32 v30, vcc, s57, v63
	v_addc_co_u32_e32 v31, vcc, 0, v31, vcc
	flat_load_dwordx2 v[30:31], v[30:31]
	s_or_b64 exec, exec, s[30:31]
                                        ; implicit-def: $vgpr32_vgpr33
	s_and_saveexec_b64 s[30:31], s[0:1]
	s_cbranch_execz .LBB53_35
.LBB53_58:
	v_mov_b32_e32 v33, s64
	v_add_co_u32_e32 v32, vcc, s57, v63
	v_addc_co_u32_e32 v33, vcc, 0, v33, vcc
	flat_load_dwordx2 v[32:33], v[32:33] offset:2048
	s_or_b64 exec, exec, s[30:31]
                                        ; implicit-def: $vgpr34_vgpr35
	s_and_saveexec_b64 s[0:1], s[2:3]
	s_cbranch_execz .LBB53_36
.LBB53_59:
	v_mov_b32_e32 v35, s64
	v_add_co_u32_e32 v34, vcc, s57, v36
	v_addc_co_u32_e32 v35, vcc, 0, v35, vcc
	flat_load_dwordx2 v[34:35], v[34:35]
	s_or_b64 exec, exec, s[0:1]
                                        ; implicit-def: $vgpr36_vgpr37
	s_and_saveexec_b64 s[0:1], s[4:5]
	s_cbranch_execz .LBB53_37
.LBB53_60:
	v_mov_b32_e32 v37, s64
	v_add_co_u32_e32 v36, vcc, s57, v38
	v_addc_co_u32_e32 v37, vcc, 0, v37, vcc
	flat_load_dwordx2 v[36:37], v[36:37]
	s_or_b64 exec, exec, s[0:1]
                                        ; implicit-def: $vgpr38_vgpr39
	s_and_saveexec_b64 s[0:1], s[28:29]
	s_cbranch_execz .LBB53_38
.LBB53_61:
	v_mov_b32_e32 v39, s64
	v_add_co_u32_e32 v38, vcc, s57, v40
	v_addc_co_u32_e32 v39, vcc, 0, v39, vcc
	flat_load_dwordx2 v[38:39], v[38:39]
	s_or_b64 exec, exec, s[0:1]
                                        ; implicit-def: $vgpr40_vgpr41
	s_and_saveexec_b64 s[0:1], s[8:9]
	s_cbranch_execz .LBB53_39
.LBB53_62:
	v_mov_b32_e32 v41, s64
	v_add_co_u32_e32 v40, vcc, s57, v42
	v_addc_co_u32_e32 v41, vcc, 0, v41, vcc
	flat_load_dwordx2 v[40:41], v[40:41]
	s_or_b64 exec, exec, s[0:1]
                                        ; implicit-def: $vgpr42_vgpr43
	s_and_saveexec_b64 s[0:1], s[10:11]
	s_cbranch_execz .LBB53_40
.LBB53_63:
	v_mov_b32_e32 v43, s64
	v_add_co_u32_e32 v42, vcc, s57, v44
	v_addc_co_u32_e32 v43, vcc, 0, v43, vcc
	flat_load_dwordx2 v[42:43], v[42:43]
	s_or_b64 exec, exec, s[0:1]
                                        ; implicit-def: $vgpr44_vgpr45
	s_and_saveexec_b64 s[0:1], s[12:13]
	s_cbranch_execz .LBB53_41
.LBB53_64:
	v_mov_b32_e32 v45, s64
	v_add_co_u32_e32 v44, vcc, s57, v46
	v_addc_co_u32_e32 v45, vcc, 0, v45, vcc
	flat_load_dwordx2 v[44:45], v[44:45]
	s_or_b64 exec, exec, s[0:1]
                                        ; implicit-def: $vgpr46_vgpr47
	s_and_saveexec_b64 s[0:1], s[14:15]
	s_cbranch_execz .LBB53_42
.LBB53_65:
	v_mov_b32_e32 v47, s64
	v_add_co_u32_e32 v46, vcc, s57, v48
	v_addc_co_u32_e32 v47, vcc, 0, v47, vcc
	flat_load_dwordx2 v[46:47], v[46:47]
	s_or_b64 exec, exec, s[0:1]
                                        ; implicit-def: $vgpr48_vgpr49
	s_and_saveexec_b64 s[0:1], s[16:17]
	s_cbranch_execz .LBB53_43
.LBB53_66:
	v_mov_b32_e32 v49, s64
	v_add_co_u32_e32 v48, vcc, s57, v50
	v_addc_co_u32_e32 v49, vcc, 0, v49, vcc
	flat_load_dwordx2 v[48:49], v[48:49]
	s_or_b64 exec, exec, s[0:1]
                                        ; implicit-def: $vgpr50_vgpr51
	s_and_saveexec_b64 s[0:1], s[18:19]
	s_cbranch_execz .LBB53_44
.LBB53_67:
	v_mov_b32_e32 v51, s64
	v_add_co_u32_e32 v50, vcc, s57, v52
	v_addc_co_u32_e32 v51, vcc, 0, v51, vcc
	flat_load_dwordx2 v[50:51], v[50:51]
	s_or_b64 exec, exec, s[0:1]
                                        ; implicit-def: $vgpr52_vgpr53
	s_and_saveexec_b64 s[0:1], s[20:21]
	s_cbranch_execz .LBB53_45
.LBB53_68:
	v_mov_b32_e32 v53, s64
	v_add_co_u32_e32 v52, vcc, s57, v54
	v_addc_co_u32_e32 v53, vcc, 0, v53, vcc
	flat_load_dwordx2 v[52:53], v[52:53]
	s_or_b64 exec, exec, s[0:1]
                                        ; implicit-def: $vgpr54_vgpr55
	s_and_saveexec_b64 s[0:1], s[22:23]
	s_cbranch_execz .LBB53_46
.LBB53_69:
	v_mov_b32_e32 v55, s64
	v_add_co_u32_e32 v54, vcc, s57, v56
	v_addc_co_u32_e32 v55, vcc, 0, v55, vcc
	flat_load_dwordx2 v[54:55], v[54:55]
	s_or_b64 exec, exec, s[0:1]
                                        ; implicit-def: $vgpr56_vgpr57
	s_and_saveexec_b64 s[0:1], s[24:25]
	s_cbranch_execz .LBB53_47
.LBB53_70:
	v_mov_b32_e32 v57, s64
	v_add_co_u32_e32 v56, vcc, s57, v60
	v_addc_co_u32_e32 v57, vcc, 0, v57, vcc
	flat_load_dwordx2 v[56:57], v[56:57]
	s_or_b64 exec, exec, s[0:1]
                                        ; implicit-def: $vgpr60_vgpr61
	s_and_saveexec_b64 s[0:1], s[26:27]
	s_cbranch_execnz .LBB53_48
	s_branch .LBB53_49
.LBB53_71:
                                        ; implicit-def: $sgpr4_sgpr5
                                        ; implicit-def: $vgpr1
                                        ; implicit-def: $vgpr79
                                        ; implicit-def: $vgpr112
                                        ; implicit-def: $vgpr61
                                        ; implicit-def: $vgpr113
                                        ; implicit-def: $vgpr63
                                        ; implicit-def: $vgpr62
                                        ; implicit-def: $vgpr67
                                        ; implicit-def: $vgpr66
                                        ; implicit-def: $vgpr69
                                        ; implicit-def: $vgpr68
                                        ; implicit-def: $vgpr71
                                        ; implicit-def: $vgpr70
                                        ; implicit-def: $vgpr75
	s_cbranch_execz .LBB53_55
; %bb.72:
	v_cvt_i32_f64_e32 v1, v[4:5]
	s_mov_b32 s8, 0x66666667
	v_mul_hi_i32 v1, v1, s8
	v_lshrrev_b32_e32 v61, 31, v1
	v_ashrrev_i32_e32 v1, 2, v1
	v_add_u32_e32 v61, v1, v61
	v_cvt_i32_f64_e32 v1, v[58:59]
	v_mul_hi_i32 v1, v1, s8
	v_lshrrev_b32_e32 v62, 31, v1
	v_ashrrev_i32_e32 v1, 2, v1
	v_add_u32_e32 v1, v1, v62
	v_cvt_i32_f64_e32 v62, v[2:3]
	v_mul_hi_i32 v62, v62, s8
	v_lshrrev_b32_e32 v63, 31, v62
	v_ashrrev_i32_e32 v62, 2, v62
	v_cmp_ne_u32_e32 vcc, v61, v1
	v_add_u32_e32 v62, v62, v63
	v_cndmask_b32_e64 v1, 0, 1, vcc
	v_cmp_ne_u32_e32 vcc, v62, v61
	v_cvt_i32_f64_e32 v61, v[8:9]
	v_mul_hi_i32 v61, v61, s8
	v_lshrrev_b32_e32 v63, 31, v61
	v_ashrrev_i32_e32 v61, 2, v61
	v_add_u32_e32 v61, v61, v63
	v_cndmask_b32_e64 v79, 0, 1, vcc
	v_cmp_ne_u32_e32 vcc, v61, v62
	v_cvt_i32_f64_e32 v62, v[6:7]
	v_mul_hi_i32 v62, v62, s8
	v_lshrrev_b32_e32 v63, 31, v62
	v_ashrrev_i32_e32 v62, 2, v62
	v_add_u32_e32 v62, v62, v63
	v_cvt_i32_f64_e32 v63, v[12:13]
	v_mul_hi_i32 v63, v63, s8
	v_lshrrev_b32_e32 v64, 31, v63
	v_ashrrev_i32_e32 v63, 2, v63
	v_cndmask_b32_e64 v112, 0, 1, vcc
	v_cmp_ne_u32_e32 vcc, v62, v61
	v_add_u32_e32 v63, v63, v64
	v_cndmask_b32_e64 v61, 0, 1, vcc
	v_cmp_ne_u32_e32 vcc, v63, v62
	v_cvt_i32_f64_e32 v62, v[10:11]
	v_mul_hi_i32 v62, v62, s8
	v_lshrrev_b32_e32 v64, 31, v62
	v_ashrrev_i32_e32 v62, 2, v62
	v_add_u32_e32 v62, v62, v64
	v_cvt_i32_f64_e32 v64, v[16:17]
	v_mul_hi_i32 v64, v64, s8
	v_lshrrev_b32_e32 v65, 31, v64
	v_ashrrev_i32_e32 v64, 2, v64
	v_add_u32_e32 v64, v64, v65
	v_cvt_i32_f64_e32 v65, v[14:15]
	v_mul_hi_i32 v65, v65, s8
	v_cndmask_b32_e64 v113, 0, 1, vcc
	v_cmp_ne_u32_e32 vcc, v62, v63
	v_lshrrev_b32_e32 v66, 31, v65
	v_ashrrev_i32_e32 v65, 2, v65
	v_cndmask_b32_e64 v63, 0, 1, vcc
	v_cmp_ne_u32_e32 vcc, v64, v62
	v_add_u32_e32 v65, v65, v66
	v_cndmask_b32_e64 v62, 0, 1, vcc
	v_cmp_ne_u32_e32 vcc, v65, v64
	v_cvt_i32_f64_e32 v64, v[20:21]
	v_mul_hi_i32 v64, v64, s8
	v_lshrrev_b32_e32 v66, 31, v64
	v_ashrrev_i32_e32 v64, 2, v64
	v_add_u32_e32 v64, v64, v66
	v_cndmask_b32_e64 v67, 0, 1, vcc
	v_cmp_ne_u32_e32 vcc, v64, v65
	v_cvt_i32_f64_e32 v65, v[18:19]
	v_mul_hi_i32 v65, v65, s8
	v_lshrrev_b32_e32 v68, 31, v65
	v_ashrrev_i32_e32 v65, 2, v65
	;; [unrolled: 7-line block ×5, first 2 shown]
	v_add_u32_e32 v74, v64, v70
	v_cvt_i32_f64_e32 v64, v[26:27]
	v_mul_hi_i32 v64, v64, s8
	v_cndmask_b32_e64 v71, 0, 1, vcc
	v_cmp_ne_u32_e32 vcc, v74, v65
	v_lshrrev_b32_e32 v65, 31, v64
	v_ashrrev_i32_e32 v64, 2, v64
	v_add_u32_e32 v64, v64, v65
	v_cndmask_b32_e64 v70, 0, 1, vcc
	v_cmp_ne_u32_e32 vcc, v64, v74
	v_lshlrev_b32_e32 v60, 3, v0
	v_cndmask_b32_e64 v75, 0, 1, vcc
	v_cmp_ne_u32_e32 vcc, 0, v0
	ds_write_b64 v60, v[58:59]
	s_waitcnt lgkmcnt(0)
	s_barrier
	s_waitcnt lgkmcnt(0)
                                        ; implicit-def: $sgpr4_sgpr5
	s_and_saveexec_b64 s[2:3], vcc
	s_xor_b64 s[2:3], exec, s[2:3]
	s_cbranch_execz .LBB53_74
; %bb.73:
	v_add_u32_e32 v60, -8, v60
	ds_read_b64 v[80:81], v60
	s_or_b64 s[0:1], s[0:1], exec
	s_waitcnt lgkmcnt(0)
	v_cvt_i32_f64_e32 v60, v[80:81]
	v_mul_hi_i32 v60, v60, s8
	v_lshrrev_b32_e32 v65, 31, v60
	v_ashrrev_i32_e32 v60, 2, v60
	v_add_u32_e32 v60, v60, v65
	v_cmp_ne_u32_e32 vcc, v60, v64
	s_and_b64 s[4:5], vcc, exec
.LBB53_74:
	s_or_b64 exec, exec, s[2:3]
	s_mov_b32 s8, 1
.LBB53_75:
	v_mov_b32_e32 v65, v79
	s_branch .LBB53_111
.LBB53_76:
	s_mul_hi_u32 s3, s52, 0xfffff100
	s_mul_i32 s2, s53, 0xfffff100
	s_sub_i32 s3, s3, s52
	s_add_i32 s3, s3, s2
	s_mul_i32 s2, s52, 0xfffff100
	s_add_u32 s2, s2, s48
	s_addc_u32 s3, s3, s49
	s_and_b64 vcc, exec, s[30:31]
	v_mad_u32_u24 v64, v0, 15, 14
	s_cbranch_vccz .LBB53_248
; %bb.77:
	v_mov_b32_e32 v1, s56
	v_add_co_u32_e64 v60, vcc, -8, s7
	v_addc_co_u32_e32 v61, vcc, -1, v1, vcc
	flat_load_dwordx2 v[80:81], v[60:61]
	v_mov_b32_e32 v79, 0
	v_mov_b32_e32 v65, v79
	v_lshlrev_b32_e32 v77, 3, v0
	v_cmp_gt_u64_e32 vcc, s[2:3], v[64:65]
	v_mov_b32_e32 v1, 0
	ds_write_b64 v77, v[58:59]
	s_and_saveexec_b64 s[0:1], vcc
	s_cbranch_execz .LBB53_79
; %bb.78:
	v_cvt_i32_f64_e32 v60, v[4:5]
	s_mov_b32 s4, 0x66666667
	v_cvt_i32_f64_e32 v1, v[58:59]
	v_mul_hi_i32 v60, v60, s4
	v_lshrrev_b32_e32 v61, 31, v60
	v_ashrrev_i32_e32 v60, 2, v60
	v_mul_hi_i32 v1, v1, s4
	v_add_u32_e32 v60, v60, v61
	v_lshrrev_b32_e32 v61, 31, v1
	v_ashrrev_i32_e32 v1, 2, v1
	v_add_u32_e32 v1, v1, v61
	v_cmp_ne_u32_e32 vcc, v60, v1
	v_cndmask_b32_e64 v1, 0, 1, vcc
.LBB53_79:
	s_or_b64 exec, exec, s[0:1]
	v_add_u32_e32 v78, 13, v76
	v_cmp_gt_u64_e32 vcc, s[2:3], v[78:79]
	s_and_saveexec_b64 s[0:1], vcc
	s_cbranch_execz .LBB53_81
; %bb.80:
	v_cvt_i32_f64_e32 v61, v[2:3]
	s_mov_b32 s4, 0x66666667
	v_cvt_i32_f64_e32 v60, v[4:5]
	v_mul_hi_i32 v61, v61, s4
	v_lshrrev_b32_e32 v62, 31, v61
	v_ashrrev_i32_e32 v61, 2, v61
	v_mul_hi_i32 v60, v60, s4
	v_add_u32_e32 v61, v61, v62
	v_lshrrev_b32_e32 v62, 31, v60
	v_ashrrev_i32_e32 v60, 2, v60
	v_add_u32_e32 v60, v60, v62
	v_cmp_ne_u32_e32 vcc, v61, v60
	v_cndmask_b32_e64 v79, 0, 1, vcc
.LBB53_81:
	s_or_b64 exec, exec, s[0:1]
	v_add_u32_e32 v60, 12, v76
	v_mov_b32_e32 v61, 0
	v_cmp_gt_u64_e32 vcc, s[2:3], v[60:61]
	v_mov_b32_e32 v112, 0
	s_and_saveexec_b64 s[0:1], vcc
	s_cbranch_execz .LBB53_83
; %bb.82:
	v_cvt_i32_f64_e32 v62, v[8:9]
	s_mov_b32 s4, 0x66666667
	v_cvt_i32_f64_e32 v60, v[2:3]
	v_mul_hi_i32 v62, v62, s4
	v_lshrrev_b32_e32 v63, 31, v62
	v_ashrrev_i32_e32 v62, 2, v62
	v_mul_hi_i32 v60, v60, s4
	v_add_u32_e32 v62, v62, v63
	v_lshrrev_b32_e32 v63, 31, v60
	v_ashrrev_i32_e32 v60, 2, v60
	v_add_u32_e32 v60, v60, v63
	v_cmp_ne_u32_e32 vcc, v62, v60
	v_cndmask_b32_e64 v112, 0, 1, vcc
.LBB53_83:
	s_or_b64 exec, exec, s[0:1]
	v_add_u32_e32 v60, 11, v76
	v_cmp_gt_u64_e32 vcc, s[2:3], v[60:61]
	s_and_saveexec_b64 s[0:1], vcc
	s_cbranch_execz .LBB53_85
; %bb.84:
	v_cvt_i32_f64_e32 v61, v[6:7]
	s_mov_b32 s4, 0x66666667
	v_cvt_i32_f64_e32 v60, v[8:9]
	v_mul_hi_i32 v61, v61, s4
	v_lshrrev_b32_e32 v62, 31, v61
	v_ashrrev_i32_e32 v61, 2, v61
	v_mul_hi_i32 v60, v60, s4
	v_add_u32_e32 v61, v61, v62
	v_lshrrev_b32_e32 v62, 31, v60
	v_ashrrev_i32_e32 v60, 2, v60
	v_add_u32_e32 v60, v60, v62
	v_cmp_ne_u32_e32 vcc, v61, v60
	v_cndmask_b32_e64 v61, 0, 1, vcc
.LBB53_85:
	s_or_b64 exec, exec, s[0:1]
	v_add_u32_e32 v62, 10, v76
	v_mov_b32_e32 v63, 0
	v_cmp_gt_u64_e32 vcc, s[2:3], v[62:63]
	v_mov_b32_e32 v113, 0
	;; [unrolled: 42-line block ×6, first 2 shown]
	s_and_saveexec_b64 s[0:1], vcc
	s_cbranch_execz .LBB53_103
; %bb.102:
	v_cvt_i32_f64_e32 v65, v[28:29]
	s_mov_b32 s4, 0x66666667
	v_cvt_i32_f64_e32 v60, v[22:23]
	v_mul_hi_i32 v65, v65, s4
	v_lshrrev_b32_e32 v70, 31, v65
	v_ashrrev_i32_e32 v65, 2, v65
	v_mul_hi_i32 v60, v60, s4
	v_add_u32_e32 v65, v65, v70
	v_lshrrev_b32_e32 v70, 31, v60
	v_ashrrev_i32_e32 v60, 2, v60
	v_add_u32_e32 v60, v60, v70
	v_cmp_ne_u32_e32 vcc, v65, v60
	v_cndmask_b32_e64 v70, 0, 1, vcc
.LBB53_103:
	s_or_b64 exec, exec, s[0:1]
	v_add_u32_e32 v74, 1, v76
	v_cmp_gt_u64_e32 vcc, s[2:3], v[74:75]
	s_and_saveexec_b64 s[0:1], vcc
	s_cbranch_execz .LBB53_105
; %bb.104:
	v_cvt_i32_f64_e32 v65, v[26:27]
	s_mov_b32 s4, 0x66666667
	v_cvt_i32_f64_e32 v60, v[28:29]
	v_mul_hi_i32 v65, v65, s4
	v_lshrrev_b32_e32 v74, 31, v65
	v_ashrrev_i32_e32 v65, 2, v65
	v_mul_hi_i32 v60, v60, s4
	v_add_u32_e32 v65, v65, v74
	v_lshrrev_b32_e32 v74, 31, v60
	v_ashrrev_i32_e32 v60, 2, v60
	v_add_u32_e32 v60, v60, v74
	v_cmp_ne_u32_e32 vcc, v65, v60
	v_cndmask_b32_e64 v75, 0, 1, vcc
.LBB53_105:
	s_or_b64 exec, exec, s[0:1]
	v_cmp_ne_u32_e32 vcc, 0, v0
	s_waitcnt lgkmcnt(0)
	s_barrier
	s_and_saveexec_b64 s[0:1], vcc
	s_cbranch_execz .LBB53_107
; %bb.106:
	v_add_u32_e32 v60, -8, v77
	s_waitcnt vmcnt(0)
	ds_read_b64 v[80:81], v60
.LBB53_107:
	s_or_b64 exec, exec, s[0:1]
	v_mov_b32_e32 v77, 0
	v_cmp_gt_u64_e32 vcc, s[2:3], v[76:77]
	s_mov_b64 s[8:9], 0
	s_mov_b64 s[4:5], 0
	s_and_saveexec_b64 s[0:1], vcc
	s_cbranch_execz .LBB53_109
; %bb.108:
	s_waitcnt vmcnt(0) lgkmcnt(0)
	v_cvt_i32_f64_e32 v65, v[80:81]
	s_mov_b32 s4, 0x66666667
	v_cvt_i32_f64_e32 v60, v[26:27]
	v_mul_hi_i32 v65, v65, s4
	v_lshrrev_b32_e32 v74, 31, v65
	v_ashrrev_i32_e32 v65, 2, v65
	v_mul_hi_i32 v60, v60, s4
	v_add_u32_e32 v65, v65, v74
	v_lshrrev_b32_e32 v74, 31, v60
	v_ashrrev_i32_e32 v60, 2, v60
	v_add_u32_e32 v60, v60, v74
	v_cmp_ne_u32_e32 vcc, v65, v60
	s_and_b64 s[4:5], vcc, exec
.LBB53_109:
	s_or_b64 exec, exec, s[0:1]
	s_mov_b64 s[0:1], -1
	s_and_b64 vcc, exec, s[8:9]
	s_cbranch_vccnz .LBB53_249
.LBB53_110:
                                        ; implicit-def: $vgpr65
                                        ; implicit-def: $sgpr8
.LBB53_111:
	v_mov_b32_e32 v64, s8
	s_and_saveexec_b64 s[2:3], s[0:1]
.LBB53_112:
	v_cndmask_b32_e64 v64, 0, 1, s[4:5]
	v_mov_b32_e32 v65, v79
.LBB53_113:
	s_or_b64 exec, exec, s[2:3]
	s_cmp_eq_u64 s[42:43], 0
	v_add3_u32 v60, v75, v64, v70
	s_cselect_b64 s[30:31], -1, 0
	s_cmp_lg_u32 s6, 0
	v_add_f64 v[110:111], v[50:51], v[54:55]
	v_cmp_eq_u32_e64 s[24:25], 0, v75
	v_cmp_eq_u32_e64 s[22:23], 0, v70
	;; [unrolled: 1-line block ×3, first 2 shown]
	v_add3_u32 v115, v60, v71, v68
	v_cmp_eq_u32_e64 s[18:19], 0, v68
	v_cmp_eq_u32_e64 s[16:17], 0, v69
	;; [unrolled: 1-line block ×10, first 2 shown]
	v_cmp_eq_u32_e32 vcc, 0, v1
	v_mbcnt_lo_u32_b32 v114, -1, 0
	s_cbranch_scc0 .LBB53_180
; %bb.114:
	v_cndmask_b32_e64 v77, v55, v111, s[24:25]
	v_cndmask_b32_e64 v76, v54, v110, s[24:25]
	v_add_f64 v[76:77], v[52:53], v[76:77]
	v_cndmask_b32_e64 v77, v53, v77, s[22:23]
	v_cndmask_b32_e64 v76, v52, v76, s[22:23]
	v_add_f64 v[76:77], v[56:57], v[76:77]
	;; [unrolled: 3-line block ×11, first 2 shown]
	v_add3_u32 v60, v115, v69, v66
	v_cndmask_b32_e64 v77, v31, v77, s[2:3]
	v_cndmask_b32_e64 v76, v30, v76, s[2:3]
	v_add3_u32 v60, v60, v67, v62
	v_add_f64 v[76:77], v[72:73], v[76:77]
	v_add3_u32 v60, v60, v63, v113
	v_cndmask_b32_e64 v77, v73, v77, s[0:1]
	v_cndmask_b32_e64 v76, v72, v76, s[0:1]
	v_add3_u32 v60, v60, v61, v112
	v_add_f64 v[76:77], v[32:33], v[76:77]
	v_mbcnt_hi_u32_b32 v88, -1, v114
	v_add3_u32 v74, v60, v65, v1
	v_cndmask_b32_e32 v79, v33, v77, vcc
	v_cndmask_b32_e32 v78, v32, v76, vcc
	v_and_b32_e32 v60, 15, v88
	s_waitcnt vmcnt(0) lgkmcnt(0)
	v_mov_b32_dpp v80, v74 row_shr:1 row_mask:0xf bank_mask:0xf
	v_mov_b32_dpp v76, v78 row_shr:1 row_mask:0xf bank_mask:0xf
	;; [unrolled: 1-line block ×3, first 2 shown]
	v_cmp_ne_u32_e32 vcc, 0, v60
	s_and_saveexec_b64 s[26:27], vcc
; %bb.115:
	v_add_u32_e32 v80, v80, v74
	v_add_f64 v[76:77], v[78:79], v[76:77]
	v_cmp_eq_u32_e32 vcc, 0, v74
	v_cndmask_b32_e32 v79, v79, v77, vcc
	v_cndmask_b32_e32 v78, v78, v76, vcc
	v_mov_b32_e32 v74, v80
; %bb.116:
	s_or_b64 exec, exec, s[26:27]
	s_nop 0
	v_mov_b32_dpp v80, v74 row_shr:2 row_mask:0xf bank_mask:0xf
	v_mov_b32_dpp v76, v78 row_shr:2 row_mask:0xf bank_mask:0xf
	v_mov_b32_dpp v77, v79 row_shr:2 row_mask:0xf bank_mask:0xf
	v_cmp_lt_u32_e32 vcc, 1, v60
	s_and_saveexec_b64 s[26:27], vcc
; %bb.117:
	v_add_u32_e32 v80, v80, v74
	v_add_f64 v[76:77], v[78:79], v[76:77]
	v_cmp_eq_u32_e32 vcc, 0, v74
	v_cndmask_b32_e32 v79, v79, v77, vcc
	v_cndmask_b32_e32 v78, v78, v76, vcc
	v_mov_b32_e32 v74, v80
; %bb.118:
	s_or_b64 exec, exec, s[26:27]
	s_nop 0
	v_mov_b32_dpp v80, v74 row_shr:4 row_mask:0xf bank_mask:0xf
	v_mov_b32_dpp v76, v78 row_shr:4 row_mask:0xf bank_mask:0xf
	v_mov_b32_dpp v77, v79 row_shr:4 row_mask:0xf bank_mask:0xf
	v_cmp_lt_u32_e32 vcc, 3, v60
	;; [unrolled: 15-line block ×3, first 2 shown]
	s_and_saveexec_b64 s[26:27], vcc
; %bb.121:
	v_add_u32_e32 v60, v80, v74
	v_add_f64 v[76:77], v[78:79], v[76:77]
	v_cmp_eq_u32_e32 vcc, 0, v74
	v_cndmask_b32_e32 v79, v79, v77, vcc
	v_cndmask_b32_e32 v78, v78, v76, vcc
	v_mov_b32_e32 v74, v60
; %bb.122:
	s_or_b64 exec, exec, s[26:27]
	v_and_b32_e32 v80, 16, v88
	v_mov_b32_dpp v60, v74 row_bcast:15 row_mask:0xf bank_mask:0xf
	v_mov_b32_dpp v76, v78 row_bcast:15 row_mask:0xf bank_mask:0xf
	;; [unrolled: 1-line block ×3, first 2 shown]
	v_cmp_ne_u32_e32 vcc, 0, v80
	s_and_saveexec_b64 s[26:27], vcc
; %bb.123:
	v_add_u32_e32 v60, v60, v74
	v_add_f64 v[76:77], v[78:79], v[76:77]
	v_cmp_eq_u32_e32 vcc, 0, v74
	v_cndmask_b32_e32 v79, v79, v77, vcc
	v_cndmask_b32_e32 v78, v78, v76, vcc
	v_mov_b32_e32 v74, v60
; %bb.124:
	s_or_b64 exec, exec, s[26:27]
	s_nop 0
	v_mov_b32_dpp v60, v74 row_bcast:31 row_mask:0xf bank_mask:0xf
	v_mov_b32_dpp v76, v78 row_bcast:31 row_mask:0xf bank_mask:0xf
	;; [unrolled: 1-line block ×3, first 2 shown]
	v_cmp_lt_u32_e32 vcc, 31, v88
	s_and_saveexec_b64 s[26:27], vcc
; %bb.125:
	v_add_u32_e32 v60, v60, v74
	v_add_f64 v[76:77], v[78:79], v[76:77]
	v_cmp_eq_u32_e32 vcc, 0, v74
	v_cndmask_b32_e32 v79, v79, v77, vcc
	v_cndmask_b32_e32 v78, v78, v76, vcc
	v_mov_b32_e32 v74, v60
; %bb.126:
	s_or_b64 exec, exec, s[26:27]
	v_lshrrev_b32_e32 v60, 6, v0
	v_or_b32_e32 v76, 63, v0
	v_cmp_eq_u32_e32 vcc, v76, v0
	v_lshlrev_b32_e32 v82, 4, v60
	s_and_saveexec_b64 s[26:27], vcc
	s_cbranch_execz .LBB53_128
; %bb.127:
	ds_write_b32 v82, v74 offset:4128
	ds_write_b64 v82, v[78:79] offset:4136
.LBB53_128:
	s_or_b64 exec, exec, s[26:27]
	v_cmp_gt_u32_e32 vcc, 4, v0
	s_waitcnt lgkmcnt(0)
	s_barrier
	s_and_saveexec_b64 s[26:27], vcc
	s_cbranch_execz .LBB53_134
; %bb.129:
	v_lshlrev_b32_e32 v60, 4, v0
	ds_read_b32 v83, v60 offset:4128
	ds_read_b64 v[76:77], v60 offset:4136
	v_and_b32_e32 v84, 3, v88
	v_cmp_ne_u32_e32 vcc, 0, v84
	s_waitcnt lgkmcnt(1)
	v_mov_b32_dpp v85, v83 row_shr:1 row_mask:0xf bank_mask:0xf
	s_waitcnt lgkmcnt(0)
	v_mov_b32_dpp v80, v76 row_shr:1 row_mask:0xf bank_mask:0xf
	v_mov_b32_dpp v81, v77 row_shr:1 row_mask:0xf bank_mask:0xf
	s_and_saveexec_b64 s[42:43], vcc
; %bb.130:
	v_add_u32_e32 v85, v85, v83
	v_add_f64 v[80:81], v[76:77], v[80:81]
	v_cmp_eq_u32_e32 vcc, 0, v83
	v_cndmask_b32_e32 v77, v77, v81, vcc
	v_cndmask_b32_e32 v76, v76, v80, vcc
	v_mov_b32_e32 v83, v85
; %bb.131:
	s_or_b64 exec, exec, s[42:43]
	s_nop 0
	v_mov_b32_dpp v85, v83 row_shr:2 row_mask:0xf bank_mask:0xf
	v_mov_b32_dpp v80, v76 row_shr:2 row_mask:0xf bank_mask:0xf
	;; [unrolled: 1-line block ×3, first 2 shown]
	v_cmp_lt_u32_e32 vcc, 1, v84
	s_and_saveexec_b64 s[42:43], vcc
; %bb.132:
	v_add_u32_e32 v84, v85, v83
	v_add_f64 v[80:81], v[76:77], v[80:81]
	v_cmp_eq_u32_e32 vcc, 0, v83
	v_cndmask_b32_e32 v77, v77, v81, vcc
	v_cndmask_b32_e32 v76, v76, v80, vcc
	v_mov_b32_e32 v83, v84
; %bb.133:
	s_or_b64 exec, exec, s[42:43]
	ds_write_b32 v60, v83 offset:4128
	ds_write_b64 v60, v[76:77] offset:4136
.LBB53_134:
	s_or_b64 exec, exec, s[26:27]
	v_cmp_gt_u32_e32 vcc, 64, v0
	v_cmp_lt_u32_e64 s[26:27], 63, v0
	v_pk_mov_b32 v[76:77], 0, 0
	v_mov_b32_e32 v60, 0
	s_waitcnt lgkmcnt(0)
	s_barrier
	s_and_saveexec_b64 s[42:43], s[26:27]
	s_cbranch_execz .LBB53_136
; %bb.135:
	ds_read_b32 v60, v82 offset:4112
	ds_read_b64 v[76:77], v82 offset:4120
	v_cmp_eq_u32_e64 s[26:27], 0, v74
	s_waitcnt lgkmcnt(1)
	v_add_u32_e32 v82, v60, v74
	s_waitcnt lgkmcnt(0)
	v_add_f64 v[80:81], v[78:79], v[76:77]
	v_cndmask_b32_e64 v79, v79, v81, s[26:27]
	v_cndmask_b32_e64 v78, v78, v80, s[26:27]
	v_mov_b32_e32 v74, v82
.LBB53_136:
	s_or_b64 exec, exec, s[42:43]
	v_add_u32_e32 v80, -1, v88
	v_and_b32_e32 v81, 64, v88
	v_cmp_lt_i32_e64 s[26:27], v80, v81
	v_cndmask_b32_e64 v80, v80, v88, s[26:27]
	v_lshlrev_b32_e32 v80, 2, v80
	ds_bpermute_b32 v74, v80, v74
	ds_bpermute_b32 v90, v80, v78
	;; [unrolled: 1-line block ×3, first 2 shown]
	v_cmp_eq_u32_e64 s[26:27], 0, v88
	s_and_saveexec_b64 s[42:43], vcc
	s_cbranch_execz .LBB53_179
; %bb.137:
	v_mov_b32_e32 v83, 0
	ds_read_b32 v92, v83 offset:4176
	ds_read_b64 v[78:79], v83 offset:4184
	s_and_saveexec_b64 s[48:49], s[26:27]
	s_cbranch_execz .LBB53_139
; %bb.138:
	s_add_i32 s52, s6, 64
	s_mov_b32 s53, 0
	s_lshl_b64 s[54:55], s[52:53], 4
	s_add_u32 s54, s36, s54
	s_addc_u32 s55, s37, s55
	v_mov_b32_e32 v80, s52
	v_mov_b32_e32 v81, 1
	s_waitcnt lgkmcnt(1)
	global_store_dword v83, v92, s[54:55]
	s_waitcnt lgkmcnt(0)
	global_store_dwordx2 v83, v[78:79], s[54:55] offset:8
	s_waitcnt vmcnt(0)
	buffer_wbinvl1_vol
	global_store_byte v80, v81, s[40:41]
.LBB53_139:
	s_or_b64 exec, exec, s[48:49]
	v_xad_u32 v80, v88, -1, s6
	v_add_u32_e32 v82, 64, v80
	global_load_ubyte v93, v82, s[40:41] glc
	s_waitcnt vmcnt(0)
	v_cmp_eq_u16_e32 vcc, 0, v93
	s_and_saveexec_b64 s[48:49], vcc
	s_cbranch_execz .LBB53_143
; %bb.140:
	v_mov_b32_e32 v81, s41
	v_add_co_u32_e32 v84, vcc, s40, v82
	v_addc_co_u32_e32 v85, vcc, 0, v81, vcc
	s_mov_b64 s[52:53], 0
.LBB53_141:                             ; =>This Inner Loop Header: Depth=1
	global_load_ubyte v93, v[84:85], off glc
	s_waitcnt vmcnt(0)
	v_cmp_ne_u16_e32 vcc, 0, v93
	s_or_b64 s[52:53], vcc, s[52:53]
	s_andn2_b64 exec, exec, s[52:53]
	s_cbranch_execnz .LBB53_141
; %bb.142:
	s_or_b64 exec, exec, s[52:53]
.LBB53_143:
	s_or_b64 exec, exec, s[48:49]
	v_mov_b32_e32 v81, s39
	v_mov_b32_e32 v84, s37
	v_cmp_eq_u16_e32 vcc, 1, v93
	v_cndmask_b32_e32 v81, v81, v84, vcc
	v_mov_b32_e32 v84, s38
	v_mov_b32_e32 v85, s36
	v_cndmask_b32_e32 v84, v84, v85, vcc
	v_lshlrev_b64 v[82:83], 4, v[82:83]
	v_add_co_u32_e32 v82, vcc, v84, v82
	v_addc_co_u32_e32 v83, vcc, v81, v83, vcc
	s_waitcnt lgkmcnt(0)
	buffer_wbinvl1_vol
	global_load_dword v89, v[82:83], off
	global_load_dwordx2 v[86:87], v[82:83], off offset:8
	v_cmp_eq_u16_e32 vcc, 2, v93
	v_lshlrev_b64 v[82:83], v88, -1
	v_and_b32_e32 v94, 63, v88
	v_and_b32_e32 v81, vcc_hi, v83
	v_and_b32_e32 v97, vcc_lo, v82
	v_cmp_ne_u32_e32 vcc, 63, v94
	v_addc_co_u32_e32 v84, vcc, 0, v88, vcc
	v_lshlrev_b32_e32 v95, 2, v84
	v_or_b32_e32 v81, 0x80000000, v81
	v_ffbl_b32_e32 v81, v81
	v_add_u32_e32 v81, 32, v81
	v_ffbl_b32_e32 v97, v97
	v_min_u32_e32 v81, v97, v81
	v_cmp_lt_u32_e32 vcc, v94, v81
	s_waitcnt vmcnt(1)
	ds_bpermute_b32 v96, v95, v89
	s_waitcnt vmcnt(0)
	ds_bpermute_b32 v84, v95, v86
	ds_bpermute_b32 v85, v95, v87
	s_and_saveexec_b64 s[48:49], vcc
	s_cbranch_execz .LBB53_145
; %bb.144:
	s_waitcnt lgkmcnt(2)
	v_add_u32_e32 v96, v96, v89
	s_waitcnt lgkmcnt(0)
	v_add_f64 v[84:85], v[86:87], v[84:85]
	v_cmp_eq_u32_e32 vcc, 0, v89
	v_cndmask_b32_e32 v87, v87, v85, vcc
	v_cndmask_b32_e32 v86, v86, v84, vcc
	v_mov_b32_e32 v89, v96
.LBB53_145:
	s_or_b64 exec, exec, s[48:49]
	v_cmp_gt_u32_e32 vcc, 62, v94
	s_waitcnt lgkmcnt(1)
	v_cndmask_b32_e64 v84, 0, 1, vcc
	v_lshlrev_b32_e32 v84, 1, v84
	v_add_lshl_u32 v96, v84, v88, 2
	ds_bpermute_b32 v98, v96, v89
	ds_bpermute_b32 v84, v96, v86
	s_waitcnt lgkmcnt(2)
	ds_bpermute_b32 v85, v96, v87
	v_add_u32_e32 v97, 2, v94
	v_cmp_le_u32_e32 vcc, v97, v81
	s_and_saveexec_b64 s[48:49], vcc
	s_cbranch_execz .LBB53_147
; %bb.146:
	s_waitcnt lgkmcnt(2)
	v_add_u32_e32 v98, v98, v89
	s_waitcnt lgkmcnt(0)
	v_add_f64 v[84:85], v[86:87], v[84:85]
	v_cmp_eq_u32_e32 vcc, 0, v89
	v_cndmask_b32_e32 v87, v87, v85, vcc
	v_cndmask_b32_e32 v86, v86, v84, vcc
	v_mov_b32_e32 v89, v98
.LBB53_147:
	s_or_b64 exec, exec, s[48:49]
	v_cmp_gt_u32_e32 vcc, 60, v94
	s_waitcnt lgkmcnt(1)
	v_cndmask_b32_e64 v84, 0, 1, vcc
	v_lshlrev_b32_e32 v84, 2, v84
	v_add_lshl_u32 v98, v84, v88, 2
	ds_bpermute_b32 v100, v98, v89
	ds_bpermute_b32 v84, v98, v86
	s_waitcnt lgkmcnt(2)
	ds_bpermute_b32 v85, v98, v87
	v_add_u32_e32 v99, 4, v94
	v_cmp_le_u32_e32 vcc, v99, v81
	;; [unrolled: 24-line block ×5, first 2 shown]
	s_and_saveexec_b64 s[48:49], vcc
	s_cbranch_execz .LBB53_155
; %bb.154:
	s_waitcnt lgkmcnt(2)
	v_add_u32_e32 v81, v88, v89
	s_waitcnt lgkmcnt(0)
	v_add_f64 v[84:85], v[86:87], v[84:85]
	v_cmp_eq_u32_e32 vcc, 0, v89
	v_cndmask_b32_e32 v87, v87, v85, vcc
	v_cndmask_b32_e32 v86, v86, v84, vcc
	v_mov_b32_e32 v89, v81
.LBB53_155:
	s_or_b64 exec, exec, s[48:49]
	v_mov_b32_e32 v81, 0
	v_mov_b32_e32 v107, 2
	s_branch .LBB53_157
.LBB53_156:                             ;   in Loop: Header=BB53_157 Depth=1
	s_or_b64 exec, exec, s[48:49]
	v_add_f64 v[86:87], v[84:85], v[86:87]
	v_cmp_eq_u32_e32 vcc, 0, v105
	v_subrev_u32_e32 v80, 64, v80
	s_waitcnt lgkmcnt(0)
	v_add_u32_e32 v89, v108, v105
	v_cndmask_b32_e32 v87, v85, v87, vcc
	v_cndmask_b32_e32 v86, v84, v86, vcc
.LBB53_157:                             ; =>This Loop Header: Depth=1
                                        ;     Child Loop BB53_160 Depth 2
	v_cmp_ne_u16_sdwa s[48:49], v93, v107 src0_sel:BYTE_0 src1_sel:DWORD
	s_waitcnt lgkmcnt(0)
	v_pk_mov_b32 v[84:85], v[86:87], v[86:87] op_sel:[0,1]
	v_cndmask_b32_e64 v86, 0, 1, s[48:49]
	;;#ASMSTART
	;;#ASMEND
	v_cmp_ne_u32_e32 vcc, 0, v86
	s_cmp_lg_u64 vcc, exec
	v_mov_b32_e32 v105, v89
	s_cbranch_scc1 .LBB53_174
; %bb.158:                              ;   in Loop: Header=BB53_157 Depth=1
	global_load_ubyte v93, v80, s[40:41] glc
	s_waitcnt vmcnt(0)
	v_cmp_eq_u16_e32 vcc, 0, v93
	s_and_saveexec_b64 s[48:49], vcc
	s_cbranch_execz .LBB53_162
; %bb.159:                              ;   in Loop: Header=BB53_157 Depth=1
	v_mov_b32_e32 v87, s41
	v_add_co_u32_e32 v86, vcc, s40, v80
	v_addc_co_u32_e32 v87, vcc, 0, v87, vcc
	s_mov_b64 s[52:53], 0
.LBB53_160:                             ;   Parent Loop BB53_157 Depth=1
                                        ; =>  This Inner Loop Header: Depth=2
	global_load_ubyte v93, v[86:87], off glc
	s_waitcnt vmcnt(0)
	v_cmp_ne_u16_e32 vcc, 0, v93
	s_or_b64 s[52:53], vcc, s[52:53]
	s_andn2_b64 exec, exec, s[52:53]
	s_cbranch_execnz .LBB53_160
; %bb.161:                              ;   in Loop: Header=BB53_157 Depth=1
	s_or_b64 exec, exec, s[52:53]
.LBB53_162:                             ;   in Loop: Header=BB53_157 Depth=1
	s_or_b64 exec, exec, s[48:49]
	v_mov_b32_e32 v86, s39
	v_mov_b32_e32 v87, s37
	v_cmp_eq_u16_e32 vcc, 1, v93
	v_cndmask_b32_e32 v88, v86, v87, vcc
	v_mov_b32_e32 v86, s38
	v_mov_b32_e32 v87, s36
	v_cndmask_b32_e32 v89, v86, v87, vcc
	v_lshlrev_b64 v[86:87], 4, v[80:81]
	v_add_co_u32_e32 v86, vcc, v89, v86
	v_addc_co_u32_e32 v87, vcc, v88, v87, vcc
	buffer_wbinvl1_vol
	global_load_dword v108, v[86:87], off
	s_nop 0
	global_load_dwordx2 v[86:87], v[86:87], off offset:8
	v_cmp_eq_u16_e32 vcc, 2, v93
	v_and_b32_e32 v88, vcc_hi, v83
	v_or_b32_e32 v88, 0x80000000, v88
	v_ffbl_b32_e32 v117, v88
	v_and_b32_e32 v109, vcc_lo, v82
	v_add_u32_e32 v117, 32, v117
	v_ffbl_b32_e32 v109, v109
	v_min_u32_e32 v109, v109, v117
	v_cmp_lt_u32_e32 vcc, v94, v109
	s_waitcnt vmcnt(1)
	ds_bpermute_b32 v116, v95, v108
	s_waitcnt vmcnt(0)
	ds_bpermute_b32 v88, v95, v86
	ds_bpermute_b32 v89, v95, v87
	s_and_saveexec_b64 s[48:49], vcc
	s_cbranch_execz .LBB53_164
; %bb.163:                              ;   in Loop: Header=BB53_157 Depth=1
	s_waitcnt lgkmcnt(2)
	v_add_u32_e32 v116, v116, v108
	s_waitcnt lgkmcnt(0)
	v_add_f64 v[88:89], v[86:87], v[88:89]
	v_cmp_eq_u32_e32 vcc, 0, v108
	v_cndmask_b32_e32 v87, v87, v89, vcc
	v_cndmask_b32_e32 v86, v86, v88, vcc
	v_mov_b32_e32 v108, v116
.LBB53_164:                             ;   in Loop: Header=BB53_157 Depth=1
	s_or_b64 exec, exec, s[48:49]
	s_waitcnt lgkmcnt(2)
	ds_bpermute_b32 v116, v96, v108
	s_waitcnt lgkmcnt(2)
	ds_bpermute_b32 v88, v96, v86
	s_waitcnt lgkmcnt(2)
	ds_bpermute_b32 v89, v96, v87
	v_cmp_le_u32_e32 vcc, v97, v109
	s_and_saveexec_b64 s[48:49], vcc
	s_cbranch_execz .LBB53_166
; %bb.165:                              ;   in Loop: Header=BB53_157 Depth=1
	s_waitcnt lgkmcnt(2)
	v_add_u32_e32 v116, v116, v108
	s_waitcnt lgkmcnt(0)
	v_add_f64 v[88:89], v[86:87], v[88:89]
	v_cmp_eq_u32_e32 vcc, 0, v108
	v_cndmask_b32_e32 v87, v87, v89, vcc
	v_cndmask_b32_e32 v86, v86, v88, vcc
	v_mov_b32_e32 v108, v116
.LBB53_166:                             ;   in Loop: Header=BB53_157 Depth=1
	s_or_b64 exec, exec, s[48:49]
	s_waitcnt lgkmcnt(2)
	ds_bpermute_b32 v116, v98, v108
	s_waitcnt lgkmcnt(2)
	ds_bpermute_b32 v88, v98, v86
	s_waitcnt lgkmcnt(2)
	ds_bpermute_b32 v89, v98, v87
	v_cmp_le_u32_e32 vcc, v99, v109
	;; [unrolled: 20-line block ×5, first 2 shown]
	s_and_saveexec_b64 s[48:49], vcc
	s_cbranch_execz .LBB53_156
; %bb.173:                              ;   in Loop: Header=BB53_157 Depth=1
	s_waitcnt lgkmcnt(2)
	v_add_u32_e32 v109, v116, v108
	s_waitcnt lgkmcnt(0)
	v_add_f64 v[88:89], v[86:87], v[88:89]
	v_cmp_eq_u32_e32 vcc, 0, v108
	v_cndmask_b32_e32 v87, v87, v89, vcc
	v_cndmask_b32_e32 v86, v86, v88, vcc
	v_mov_b32_e32 v108, v109
	s_branch .LBB53_156
.LBB53_174:                             ;   in Loop: Header=BB53_157 Depth=1
                                        ; implicit-def: $vgpr86_vgpr87
                                        ; implicit-def: $vgpr89
                                        ; implicit-def: $vgpr93
	s_cbranch_execz .LBB53_157
; %bb.175:
	s_and_saveexec_b64 s[36:37], s[26:27]
	s_cbranch_execz .LBB53_177
; %bb.176:
	s_mov_b32 s7, 0
	s_add_i32 s6, s6, 64
	s_lshl_b64 s[48:49], s[6:7], 4
	v_add_f64 v[80:81], v[78:79], v[84:85]
	v_cmp_eq_u32_e32 vcc, 0, v92
	s_add_u32 s48, s38, s48
	v_add_u32_e32 v82, v105, v92
	v_cndmask_b32_e32 v81, v79, v81, vcc
	v_cndmask_b32_e32 v80, v78, v80, vcc
	s_addc_u32 s49, s39, s49
	v_mov_b32_e32 v83, 0
	global_store_dword v83, v82, s[48:49]
	global_store_dwordx2 v83, v[80:81], s[48:49] offset:8
	v_mov_b32_e32 v80, s6
	v_mov_b32_e32 v81, 2
	s_waitcnt vmcnt(0)
	buffer_wbinvl1_vol
	global_store_byte v80, v81, s[40:41]
	ds_write_b32 v83, v92 offset:4096
	ds_write_b64 v83, v[78:79] offset:4104
	ds_write_b32 v83, v105 offset:4112
	ds_write_b64 v83, v[84:85] offset:4120
.LBB53_177:
	s_or_b64 exec, exec, s[36:37]
	v_cmp_eq_u32_e32 vcc, 0, v0
	s_and_b64 exec, exec, vcc
	s_cbranch_execz .LBB53_179
; %bb.178:
	v_mov_b32_e32 v78, 0
	ds_write_b32 v78, v105 offset:4176
	ds_write_b64 v78, v[84:85] offset:4184
.LBB53_179:
	s_or_b64 exec, exec, s[42:43]
	v_mov_b32_e32 v82, 0
	s_waitcnt lgkmcnt(0)
	s_barrier
	ds_read_b64 v[78:79], v82 offset:4184
	ds_read_b32 v83, v82 offset:4176
	v_cndmask_b32_e64 v77, v91, v77, s[26:27]
	v_cndmask_b32_e64 v76, v90, v76, s[26:27]
	;; [unrolled: 1-line block ×3, first 2 shown]
	s_waitcnt lgkmcnt(1)
	v_add_f64 v[80:81], v[76:77], v[78:79]
	v_cmp_eq_u32_e32 vcc, 0, v60
	v_cndmask_b32_e32 v76, v76, v80, vcc
	v_cndmask_b32_e32 v77, v77, v81, vcc
	v_cmp_eq_u32_e32 vcc, 0, v0
	v_cndmask_b32_e32 v109, v77, v79, vcc
	v_cndmask_b32_e32 v108, v76, v78, vcc
	v_cndmask_b32_e64 v60, v60, 0, vcc
	v_add_f64 v[76:77], v[50:51], v[108:109]
	v_cmp_eq_u32_e32 vcc, 0, v64
	v_cndmask_b32_e32 v107, v51, v77, vcc
	v_cndmask_b32_e32 v106, v50, v76, vcc
	v_add_f64 v[76:77], v[54:55], v[106:107]
	v_cndmask_b32_e64 v105, v55, v77, s[24:25]
	v_cndmask_b32_e64 v104, v54, v76, s[24:25]
	v_add_f64 v[76:77], v[52:53], v[104:105]
	v_cndmask_b32_e64 v103, v53, v77, s[22:23]
	v_cndmask_b32_e64 v102, v52, v76, s[22:23]
	;; [unrolled: 3-line block ×10, first 2 shown]
	s_waitcnt lgkmcnt(0)
	v_add_u32_e32 v74, v83, v60
	v_add_f64 v[76:77], v[36:37], v[86:87]
	s_barrier
	ds_read_b32 v60, v82 offset:4096
	ds_read_b64 v[116:117], v82 offset:4104
	ds_read_b32 v78, v82 offset:4112
	ds_read_b64 v[118:119], v82 offset:4120
	v_cndmask_b32_e64 v85, v37, v77, s[4:5]
	v_cndmask_b32_e64 v84, v36, v76, s[4:5]
	v_add_f64 v[76:77], v[30:31], v[84:85]
	v_cndmask_b32_e64 v83, v31, v77, s[2:3]
	v_cndmask_b32_e64 v82, v30, v76, s[2:3]
	v_add_f64 v[76:77], v[72:73], v[82:83]
	v_cndmask_b32_e64 v81, v73, v77, s[0:1]
	v_cndmask_b32_e64 v80, v72, v76, s[0:1]
	s_waitcnt lgkmcnt(0)
	v_add_f64 v[76:77], v[118:119], v[116:117]
	v_cmp_eq_u32_e32 vcc, 0, v60
	v_cndmask_b32_e32 v77, v117, v77, vcc
	v_cndmask_b32_e32 v76, v116, v76, vcc
	s_branch .LBB53_208
.LBB53_180:
                                        ; implicit-def: $vgpr60
                                        ; implicit-def: $vgpr76_vgpr77
                                        ; implicit-def: $vgpr78
                                        ; implicit-def: $vgpr108_vgpr109
                                        ; implicit-def: $vgpr106_vgpr107
                                        ; implicit-def: $vgpr104_vgpr105
                                        ; implicit-def: $vgpr102_vgpr103
                                        ; implicit-def: $vgpr100_vgpr101
                                        ; implicit-def: $vgpr98_vgpr99
                                        ; implicit-def: $vgpr96_vgpr97
                                        ; implicit-def: $vgpr94_vgpr95
                                        ; implicit-def: $vgpr92_vgpr93
                                        ; implicit-def: $vgpr90_vgpr91
                                        ; implicit-def: $vgpr88_vgpr89
                                        ; implicit-def: $vgpr86_vgpr87
                                        ; implicit-def: $vgpr84_vgpr85
                                        ; implicit-def: $vgpr82_vgpr83
                                        ; implicit-def: $vgpr80_vgpr81
                                        ; implicit-def: $vgpr74
	s_cbranch_execz .LBB53_208
; %bb.181:
	s_and_b64 s[0:1], s[30:31], exec
	s_cselect_b32 s1, 0, s47
	s_cselect_b32 s0, 0, s46
	s_cmp_eq_u64 s[0:1], 0
	v_pk_mov_b32 v[78:79], v[50:51], v[50:51] op_sel:[0,1]
	s_cbranch_scc1 .LBB53_183
; %bb.182:
	v_mov_b32_e32 v60, 0
	global_load_dwordx2 v[78:79], v60, s[0:1]
.LBB53_183:
	v_cmp_eq_u32_e32 vcc, 0, v75
	v_cndmask_b32_e32 v77, v55, v111, vcc
	v_cndmask_b32_e32 v76, v54, v110, vcc
	v_add_f64 v[76:77], v[52:53], v[76:77]
	v_cmp_eq_u32_e64 s[0:1], 0, v70
	v_cndmask_b32_e64 v77, v53, v77, s[0:1]
	v_cndmask_b32_e64 v76, v52, v76, s[0:1]
	v_add_f64 v[76:77], v[56:57], v[76:77]
	v_cmp_eq_u32_e64 s[2:3], 0, v71
	v_cndmask_b32_e64 v77, v57, v77, s[2:3]
	v_cndmask_b32_e64 v76, v56, v76, s[2:3]
	;; [unrolled: 4-line block ×10, first 2 shown]
	v_add3_u32 v60, v115, v69, v66
	v_add_f64 v[76:77], v[30:31], v[76:77]
	v_cmp_eq_u32_e64 s[16:17], 0, v112
	v_add3_u32 v60, v60, v67, v62
	v_cndmask_b32_e64 v77, v31, v77, s[16:17]
	v_cndmask_b32_e64 v76, v30, v76, s[16:17]
	v_add3_u32 v60, v60, v63, v113
	v_add_f64 v[76:77], v[72:73], v[76:77]
	v_cmp_eq_u32_e64 s[20:21], 0, v65
	v_add3_u32 v60, v60, v61, v112
	v_cndmask_b32_e64 v77, v73, v77, s[20:21]
	v_cndmask_b32_e64 v76, v72, v76, s[20:21]
	v_add3_u32 v74, v60, v65, v1
	v_add_f64 v[76:77], v[32:33], v[76:77]
	v_cmp_eq_u32_e64 s[24:25], 0, v1
	v_mbcnt_hi_u32_b32 v60, -1, v114
	v_cndmask_b32_e64 v33, v33, v77, s[24:25]
	v_cndmask_b32_e64 v32, v32, v76, s[24:25]
	s_waitcnt vmcnt(0) lgkmcnt(0)
	v_and_b32_e32 v80, 15, v60
	v_mov_b32_dpp v81, v74 row_shr:1 row_mask:0xf bank_mask:0xf
	v_mov_b32_dpp v76, v32 row_shr:1 row_mask:0xf bank_mask:0xf
	;; [unrolled: 1-line block ×3, first 2 shown]
	v_cmp_ne_u32_e64 s[24:25], 0, v80
	s_and_saveexec_b64 s[26:27], s[24:25]
; %bb.184:
	v_add_u32_e32 v81, v81, v74
	v_add_f64 v[76:77], v[32:33], v[76:77]
	v_cmp_eq_u32_e64 s[24:25], 0, v74
	v_cndmask_b32_e64 v33, v33, v77, s[24:25]
	v_cndmask_b32_e64 v32, v32, v76, s[24:25]
	v_mov_b32_e32 v74, v81
; %bb.185:
	s_or_b64 exec, exec, s[26:27]
	s_nop 0
	v_mov_b32_dpp v81, v74 row_shr:2 row_mask:0xf bank_mask:0xf
	v_mov_b32_dpp v76, v32 row_shr:2 row_mask:0xf bank_mask:0xf
	v_mov_b32_dpp v77, v33 row_shr:2 row_mask:0xf bank_mask:0xf
	v_cmp_lt_u32_e64 s[24:25], 1, v80
	s_and_saveexec_b64 s[26:27], s[24:25]
; %bb.186:
	v_add_u32_e32 v81, v81, v74
	v_add_f64 v[76:77], v[32:33], v[76:77]
	v_cmp_eq_u32_e64 s[24:25], 0, v74
	v_cndmask_b32_e64 v33, v33, v77, s[24:25]
	v_cndmask_b32_e64 v32, v32, v76, s[24:25]
	v_mov_b32_e32 v74, v81
; %bb.187:
	s_or_b64 exec, exec, s[26:27]
	s_nop 0
	v_mov_b32_dpp v81, v74 row_shr:4 row_mask:0xf bank_mask:0xf
	v_mov_b32_dpp v76, v32 row_shr:4 row_mask:0xf bank_mask:0xf
	v_mov_b32_dpp v77, v33 row_shr:4 row_mask:0xf bank_mask:0xf
	v_cmp_lt_u32_e64 s[24:25], 3, v80
	;; [unrolled: 15-line block ×3, first 2 shown]
	s_and_saveexec_b64 s[26:27], s[24:25]
; %bb.190:
	v_add_u32_e32 v80, v81, v74
	v_add_f64 v[76:77], v[32:33], v[76:77]
	v_cmp_eq_u32_e64 s[24:25], 0, v74
	v_cndmask_b32_e64 v33, v33, v77, s[24:25]
	v_cndmask_b32_e64 v32, v32, v76, s[24:25]
	v_mov_b32_e32 v74, v80
; %bb.191:
	s_or_b64 exec, exec, s[26:27]
	v_and_b32_e32 v81, 16, v60
	v_mov_b32_dpp v80, v74 row_bcast:15 row_mask:0xf bank_mask:0xf
	v_mov_b32_dpp v76, v32 row_bcast:15 row_mask:0xf bank_mask:0xf
	v_mov_b32_dpp v77, v33 row_bcast:15 row_mask:0xf bank_mask:0xf
	v_cmp_ne_u32_e64 s[24:25], 0, v81
	s_and_saveexec_b64 s[26:27], s[24:25]
; %bb.192:
	v_add_u32_e32 v80, v80, v74
	v_add_f64 v[76:77], v[32:33], v[76:77]
	v_cmp_eq_u32_e64 s[24:25], 0, v74
	v_cndmask_b32_e64 v33, v33, v77, s[24:25]
	v_cndmask_b32_e64 v32, v32, v76, s[24:25]
	v_mov_b32_e32 v74, v80
; %bb.193:
	s_or_b64 exec, exec, s[26:27]
	s_nop 0
	v_mov_b32_dpp v80, v74 row_bcast:31 row_mask:0xf bank_mask:0xf
	v_mov_b32_dpp v76, v32 row_bcast:31 row_mask:0xf bank_mask:0xf
	v_mov_b32_dpp v77, v33 row_bcast:31 row_mask:0xf bank_mask:0xf
	v_cmp_lt_u32_e64 s[24:25], 31, v60
	s_and_saveexec_b64 s[26:27], s[24:25]
; %bb.194:
	v_add_u32_e32 v80, v80, v74
	v_add_f64 v[76:77], v[32:33], v[76:77]
	v_cmp_eq_u32_e64 s[24:25], 0, v74
	v_cndmask_b32_e64 v33, v33, v77, s[24:25]
	v_cndmask_b32_e64 v32, v32, v76, s[24:25]
	v_mov_b32_e32 v74, v80
; %bb.195:
	s_or_b64 exec, exec, s[26:27]
	v_lshrrev_b32_e32 v76, 6, v0
	v_or_b32_e32 v77, 63, v0
	v_cmp_eq_u32_e64 s[24:25], v77, v0
	v_lshlrev_b32_e32 v82, 4, v76
	s_and_saveexec_b64 s[26:27], s[24:25]
	s_cbranch_execz .LBB53_197
; %bb.196:
	ds_write_b32 v82, v74 offset:4128
	ds_write_b64 v82, v[32:33] offset:4136
.LBB53_197:
	s_or_b64 exec, exec, s[26:27]
	v_cmp_gt_u32_e64 s[24:25], 4, v0
	s_waitcnt lgkmcnt(0)
	s_barrier
	s_and_saveexec_b64 s[26:27], s[24:25]
	s_cbranch_execz .LBB53_203
; %bb.198:
	v_lshlrev_b32_e32 v83, 4, v0
	ds_read_b32 v84, v83 offset:4128
	ds_read_b64 v[76:77], v83 offset:4136
	v_and_b32_e32 v85, 3, v60
	v_cmp_ne_u32_e64 s[24:25], 0, v85
	s_waitcnt lgkmcnt(1)
	v_mov_b32_dpp v86, v84 row_shr:1 row_mask:0xf bank_mask:0xf
	s_waitcnt lgkmcnt(0)
	v_mov_b32_dpp v80, v76 row_shr:1 row_mask:0xf bank_mask:0xf
	v_mov_b32_dpp v81, v77 row_shr:1 row_mask:0xf bank_mask:0xf
	s_and_saveexec_b64 s[28:29], s[24:25]
; %bb.199:
	v_add_u32_e32 v86, v86, v84
	v_add_f64 v[80:81], v[76:77], v[80:81]
	v_cmp_eq_u32_e64 s[24:25], 0, v84
	v_cndmask_b32_e64 v77, v77, v81, s[24:25]
	v_cndmask_b32_e64 v76, v76, v80, s[24:25]
	v_mov_b32_e32 v84, v86
; %bb.200:
	s_or_b64 exec, exec, s[28:29]
	s_nop 0
	v_mov_b32_dpp v86, v84 row_shr:2 row_mask:0xf bank_mask:0xf
	v_mov_b32_dpp v80, v76 row_shr:2 row_mask:0xf bank_mask:0xf
	;; [unrolled: 1-line block ×3, first 2 shown]
	v_cmp_lt_u32_e64 s[24:25], 1, v85
	s_and_saveexec_b64 s[28:29], s[24:25]
; %bb.201:
	v_add_u32_e32 v85, v86, v84
	v_add_f64 v[80:81], v[76:77], v[80:81]
	v_cmp_eq_u32_e64 s[24:25], 0, v84
	v_cndmask_b32_e64 v77, v77, v81, s[24:25]
	v_cndmask_b32_e64 v76, v76, v80, s[24:25]
	v_mov_b32_e32 v84, v85
; %bb.202:
	s_or_b64 exec, exec, s[28:29]
	ds_write_b32 v83, v84 offset:4128
	ds_write_b64 v83, v[76:77] offset:4136
.LBB53_203:
	s_or_b64 exec, exec, s[26:27]
	v_cmp_lt_u32_e64 s[24:25], 63, v0
	v_mov_b32_e32 v80, 0
	v_mov_b32_e32 v81, 0
	v_pk_mov_b32 v[76:77], v[78:79], v[78:79] op_sel:[0,1]
	s_waitcnt lgkmcnt(0)
	s_barrier
	s_and_saveexec_b64 s[26:27], s[24:25]
	s_cbranch_execz .LBB53_205
; %bb.204:
	ds_read_b64 v[76:77], v82 offset:4120
	ds_read_b32 v81, v82 offset:4112
	s_waitcnt lgkmcnt(1)
	v_add_f64 v[82:83], v[78:79], v[76:77]
	s_waitcnt lgkmcnt(0)
	v_cmp_eq_u32_e64 s[24:25], 0, v81
	v_cndmask_b32_e64 v77, v77, v83, s[24:25]
	v_cndmask_b32_e64 v76, v76, v82, s[24:25]
.LBB53_205:
	s_or_b64 exec, exec, s[26:27]
	v_add_f64 v[82:83], v[32:33], v[76:77]
	v_cmp_eq_u32_e64 s[24:25], 0, v74
	v_add_u32_e32 v84, v81, v74
	v_cndmask_b32_e64 v32, v32, v82, s[24:25]
	v_add_u32_e32 v74, -1, v60
	v_and_b32_e32 v82, 64, v60
	v_cndmask_b32_e64 v33, v33, v83, s[24:25]
	v_cmp_lt_i32_e64 s[24:25], v74, v82
	v_cndmask_b32_e64 v74, v74, v60, s[24:25]
	v_lshlrev_b32_e32 v74, 2, v74
	ds_bpermute_b32 v82, v74, v84
	ds_bpermute_b32 v33, v74, v33
	;; [unrolled: 1-line block ×3, first 2 shown]
	v_cmp_eq_u32_e64 s[24:25], 0, v60
	v_cmp_eq_u32_e64 s[26:27], 0, v64
	s_waitcnt lgkmcnt(2)
	v_cndmask_b32_e64 v74, v82, v81, s[24:25]
	s_waitcnt lgkmcnt(1)
	v_cndmask_b32_e64 v109, v33, v77, s[24:25]
	;; [unrolled: 2-line block ×3, first 2 shown]
	v_cmp_eq_u32_e64 s[24:25], 0, v0
	v_cndmask_b32_e64 v33, v109, v79, s[24:25]
	v_cndmask_b32_e64 v32, v108, v78, s[24:25]
	v_add_f64 v[32:33], v[50:51], v[32:33]
	v_cndmask_b32_e64 v107, v51, v33, s[26:27]
	v_cndmask_b32_e64 v106, v50, v32, s[26:27]
	v_add_f64 v[32:33], v[54:55], v[106:107]
	v_cndmask_b32_e32 v105, v55, v33, vcc
	v_cndmask_b32_e32 v104, v54, v32, vcc
	v_add_f64 v[32:33], v[52:53], v[104:105]
	v_cndmask_b32_e64 v103, v53, v33, s[0:1]
	v_cndmask_b32_e64 v102, v52, v32, s[0:1]
	v_add_f64 v[32:33], v[56:57], v[102:103]
	v_cndmask_b32_e64 v101, v57, v33, s[2:3]
	v_cndmask_b32_e64 v100, v56, v32, s[2:3]
	;; [unrolled: 3-line block ×9, first 2 shown]
	v_add_f64 v[32:33], v[36:37], v[86:87]
	ds_read_b32 v60, v80 offset:4176
	ds_read_b64 v[34:35], v80 offset:4184
	v_cndmask_b32_e64 v85, v37, v33, s[22:23]
	v_cndmask_b32_e64 v84, v36, v32, s[22:23]
	v_add_f64 v[32:33], v[30:31], v[84:85]
	v_cndmask_b32_e64 v83, v31, v33, s[16:17]
	v_cndmask_b32_e64 v82, v30, v32, s[16:17]
	v_add_f64 v[30:31], v[72:73], v[82:83]
	v_cndmask_b32_e64 v81, v73, v31, s[20:21]
	v_cndmask_b32_e64 v80, v72, v30, s[20:21]
	s_waitcnt lgkmcnt(0)
	v_add_f64 v[30:31], v[78:79], v[34:35]
	v_cmp_eq_u32_e32 vcc, 0, v60
	v_cndmask_b32_e32 v77, v35, v31, vcc
	v_cndmask_b32_e32 v76, v34, v30, vcc
	s_and_saveexec_b64 s[0:1], s[24:25]
	s_cbranch_execz .LBB53_207
; %bb.206:
	v_mov_b32_e32 v74, 0
	v_mov_b32_e32 v30, 2
	v_pk_mov_b32 v[108:109], v[78:79], v[78:79] op_sel:[0,1]
	global_store_dword v74, v60, s[38:39] offset:1024
	global_store_dwordx2 v74, v[76:77], s[38:39] offset:1032
	s_waitcnt vmcnt(0)
	buffer_wbinvl1_vol
	global_store_byte v74, v30, s[40:41] offset:64
.LBB53_207:
	s_or_b64 exec, exec, s[0:1]
	v_mov_b32_e32 v78, 0
.LBB53_208:
	s_and_b64 s[0:1], s[30:31], exec
	s_cselect_b32 s1, 0, s51
	s_cselect_b32 s0, 0, s50
	s_cmp_eq_u64 s[0:1], 0
	v_pk_mov_b32 v[30:31], 0, 0
	s_waitcnt lgkmcnt(0)
	s_barrier
	s_cbranch_scc1 .LBB53_210
; %bb.209:
	v_mov_b32_e32 v30, 0
	global_load_dwordx2 v[30:31], v30, s[0:1]
.LBB53_210:
	s_waitcnt vmcnt(0)
	v_lshlrev_b64 v[32:33], 3, v[30:31]
	v_mov_b32_e32 v34, s59
	v_add_co_u32_e32 v50, vcc, s58, v32
	v_mov_b32_e32 v79, 0
	v_addc_co_u32_e32 v51, vcc, v34, v33, vcc
	v_lshlrev_b64 v[34:35], 3, v[78:79]
	v_add_co_u32_e32 v50, vcc, v50, v34
	v_addc_co_u32_e32 v51, vcc, v51, v35, vcc
	v_cmp_eq_u32_e32 vcc, 0, v64
	v_cndmask_b32_e64 v52, 1, 2, vcc
	v_cmp_eq_u32_e32 vcc, 0, v75
	v_cndmask_b32_e64 v53, 1, 2, vcc
	v_cmp_eq_u32_e32 vcc, 0, v70
	v_and_b32_e32 v52, v53, v52
	v_cndmask_b32_e64 v53, 1, 2, vcc
	v_cmp_eq_u32_e32 vcc, 0, v71
	v_add_u32_e32 v49, v74, v64
	v_and_b32_e32 v52, v52, v53
	v_cndmask_b32_e64 v53, 1, 2, vcc
	v_cmp_eq_u32_e32 vcc, 0, v68
	v_add_u32_e32 v48, v49, v75
	;; [unrolled: 4-line block ×12, first 2 shown]
	v_and_b32_e32 v52, v52, v53
	v_cndmask_b32_e64 v53, 1, 2, vcc
	s_movk_i32 s30, 0x100
	v_add_u32_e32 v37, v38, v112
	v_and_b32_e32 v52, v52, v53
	v_cmp_gt_u32_e32 vcc, s30, v60
	v_add_u32_e32 v36, v37, v65
	v_cmp_ne_u32_e64 s[28:29], 0, v64
	v_cmp_ne_u32_e64 s[26:27], 0, v75
	;; [unrolled: 1-line block ×15, first 2 shown]
	s_mov_b64 s[36:37], -1
	v_cmp_gt_i16_e64 s[30:31], 2, v52
	s_cbranch_vccz .LBB53_217
; %bb.211:
	s_and_saveexec_b64 s[36:37], s[30:31]
	s_cbranch_execz .LBB53_216
; %bb.212:
	v_cmp_ne_u16_e32 vcc, 1, v52
	s_mov_b64 s[38:39], 0
	s_and_saveexec_b64 s[30:31], vcc
	s_xor_b64 s[30:31], exec, s[30:31]
	s_cbranch_execnz .LBB53_282
; %bb.213:
	s_andn2_saveexec_b64 s[30:31], s[30:31]
	s_cbranch_execnz .LBB53_298
.LBB53_214:
	s_or_b64 exec, exec, s[30:31]
	s_and_b64 exec, exec, s[38:39]
	s_cbranch_execz .LBB53_216
.LBB53_215:
	v_sub_u32_e32 v54, v36, v78
	v_mov_b32_e32 v55, 0
	v_lshlrev_b64 v[54:55], 3, v[54:55]
	v_add_co_u32_e32 v54, vcc, v50, v54
	v_addc_co_u32_e32 v55, vcc, v51, v55, vcc
	global_store_dwordx2 v[54:55], v[58:59], off
.LBB53_216:
	s_or_b64 exec, exec, s[36:37]
	s_mov_b64 s[36:37], 0
.LBB53_217:
	s_and_b64 vcc, exec, s[36:37]
	s_cbranch_vccz .LBB53_227
; %bb.218:
	v_cmp_gt_i16_e32 vcc, 2, v52
	s_and_saveexec_b64 s[30:31], vcc
	s_cbranch_execz .LBB53_223
; %bb.219:
	v_cmp_ne_u16_e32 vcc, 1, v52
	s_mov_b64 s[38:39], 0
	s_and_saveexec_b64 s[36:37], vcc
	s_xor_b64 s[36:37], exec, s[36:37]
	s_cbranch_execnz .LBB53_299
; %bb.220:
	s_andn2_saveexec_b64 s[0:1], s[36:37]
	s_cbranch_execnz .LBB53_315
.LBB53_221:
	s_or_b64 exec, exec, s[0:1]
	s_and_b64 exec, exec, s[38:39]
	s_cbranch_execz .LBB53_223
.LBB53_222:
	v_sub_u32_e32 v2, v36, v78
	v_lshlrev_b32_e32 v2, 3, v2
	ds_write_b64 v2, v[58:59]
.LBB53_223:
	s_or_b64 exec, exec, s[30:31]
	v_cmp_lt_u32_e32 vcc, v0, v60
	s_waitcnt lgkmcnt(0)
	s_barrier
	s_and_saveexec_b64 s[0:1], vcc
	s_cbranch_execz .LBB53_226
; %bb.224:
	v_lshlrev_b32_e32 v4, 3, v0
	s_mov_b64 s[2:3], 0
	v_mov_b32_e32 v3, 0
	v_mov_b32_e32 v2, v0
.LBB53_225:                             ; =>This Inner Loop Header: Depth=1
	v_lshlrev_b64 v[6:7], 3, v[2:3]
	ds_read_b64 v[8:9], v4
	v_add_co_u32_e32 v6, vcc, v50, v6
	v_add_u32_e32 v2, 0x100, v2
	v_addc_co_u32_e32 v7, vcc, v51, v7, vcc
	v_cmp_ge_u32_e32 vcc, v2, v60
	v_add_u32_e32 v4, 0x800, v4
	s_or_b64 s[2:3], vcc, s[2:3]
	s_waitcnt lgkmcnt(0)
	global_store_dwordx2 v[6:7], v[8:9], off
	s_andn2_b64 exec, exec, s[2:3]
	s_cbranch_execnz .LBB53_225
.LBB53_226:
	s_or_b64 exec, exec, s[0:1]
.LBB53_227:
	s_cmpk_lg_i32 s33, 0xf00
	s_cselect_b64 s[0:1], -1, 0
	v_cndmask_b32_e64 v2, 0, 1, s[44:45]
	s_and_b64 s[0:1], s[34:35], s[0:1]
	v_cmp_eq_u32_e32 vcc, 0, v0
	v_sub_u32_e32 v3, v60, v2
	v_cndmask_b32_e64 v4, 0, 1, s[0:1]
	s_and_b64 s[0:1], vcc, s[44:45]
	v_add_u32_e32 v4, v3, v4
	v_cndmask_b32_e64 v3, v64, 0, s[0:1]
	s_mul_hi_u32 s0, s33, 0x88888889
	s_lshr_b32 s0, s0, 3
	v_mad_i32_i24 v5, v0, -15, s33
	v_cmp_eq_u32_e32 vcc, s0, v0
	v_cmp_ne_u32_e64 s[0:1], 0, v5
	v_cndmask_b32_e64 v6, 1, v3, s[0:1]
	v_cmp_ne_u32_e64 s[0:1], 1, v5
	v_cndmask_b32_e64 v7, 1, v75, s[0:1]
	;; [unrolled: 2-line block ×15, first 2 shown]
	s_and_b64 vcc, s[34:35], vcc
	v_cndmask_b32_e32 v20, v1, v5, vcc
	v_cndmask_b32_e32 v19, v65, v19, vcc
	;; [unrolled: 1-line block ×15, first 2 shown]
	v_mov_b32_e32 v1, s61
	v_add_co_u32_e32 v5, vcc, s60, v32
	v_addc_co_u32_e32 v6, vcc, v1, v33, vcc
	v_add_co_u32_e32 v1, vcc, v5, v34
	v_addc_co_u32_e32 v5, vcc, v6, v35, vcc
	v_lshlrev_b32_e32 v6, 3, v2
	v_add_co_u32_e32 v6, vcc, v6, v1
	v_addc_co_u32_e32 v7, vcc, 0, v5, vcc
	v_add_co_u32_e32 v6, vcc, -8, v6
	v_addc_co_u32_e32 v7, vcc, -1, v7, vcc
	v_cmp_eq_u32_e32 vcc, 0, v3
	v_cmp_ne_u32_e64 s[28:29], 0, v3
	v_cndmask_b32_e64 v3, 1, 2, vcc
	v_cmp_eq_u32_e32 vcc, 0, v21
	v_cmp_ne_u32_e64 s[26:27], 0, v21
	v_cndmask_b32_e64 v21, 1, 2, vcc
	v_cmp_eq_u32_e32 vcc, 0, v8
	v_and_b32_e32 v3, v21, v3
	v_cmp_ne_u32_e64 s[24:25], 0, v8
	v_cndmask_b32_e64 v8, 1, 2, vcc
	v_cmp_eq_u32_e32 vcc, 0, v9
	v_and_b32_e32 v3, v3, v8
	v_cndmask_b32_e64 v8, 1, 2, vcc
	v_cmp_eq_u32_e32 vcc, 0, v10
	v_and_b32_e32 v3, v3, v8
	;; [unrolled: 3-line block ×12, first 2 shown]
	v_cndmask_b32_e64 v8, 1, 2, vcc
	s_movk_i32 s30, 0x100
	v_and_b32_e32 v3, v3, v8
	v_cmp_gt_u32_e32 vcc, s30, v4
	v_add_u32_e32 v2, v78, v2
	v_cmp_ne_u32_e64 s[22:23], 0, v9
	v_cmp_ne_u32_e64 s[20:21], 0, v10
	;; [unrolled: 1-line block ×12, first 2 shown]
	s_mov_b64 s[36:37], -1
	v_cmp_gt_i16_e64 s[30:31], 2, v3
	s_barrier
	s_cbranch_vccz .LBB53_234
; %bb.228:
	s_and_saveexec_b64 s[36:37], s[30:31]
	s_cbranch_execz .LBB53_233
; %bb.229:
	v_cmp_ne_u16_e32 vcc, 1, v3
	s_mov_b64 s[38:39], 0
	s_and_saveexec_b64 s[30:31], vcc
	s_xor_b64 s[30:31], exec, s[30:31]
	s_cbranch_execnz .LBB53_316
; %bb.230:
	s_andn2_saveexec_b64 s[30:31], s[30:31]
	s_cbranch_execnz .LBB53_332
.LBB53_231:
	s_or_b64 exec, exec, s[30:31]
	s_and_b64 exec, exec, s[38:39]
	s_cbranch_execz .LBB53_233
.LBB53_232:
	v_sub_u32_e32 v8, v36, v2
	v_mov_b32_e32 v9, 0
	v_lshlrev_b64 v[8:9], 3, v[8:9]
	v_add_co_u32_e32 v8, vcc, v6, v8
	v_addc_co_u32_e32 v9, vcc, v7, v9, vcc
	global_store_dwordx2 v[8:9], v[80:81], off
.LBB53_233:
	s_or_b64 exec, exec, s[36:37]
	s_mov_b64 s[36:37], 0
.LBB53_234:
	s_and_b64 vcc, exec, s[36:37]
	s_cbranch_vccz .LBB53_244
; %bb.235:
	v_cmp_gt_i16_e32 vcc, 2, v3
	s_and_saveexec_b64 s[30:31], vcc
	s_cbranch_execz .LBB53_240
; %bb.236:
	v_cmp_ne_u16_e32 vcc, 1, v3
	s_mov_b64 s[38:39], 0
	s_and_saveexec_b64 s[36:37], vcc
	s_xor_b64 s[36:37], exec, s[36:37]
	s_cbranch_execnz .LBB53_333
; %bb.237:
	s_andn2_saveexec_b64 s[0:1], s[36:37]
	s_cbranch_execnz .LBB53_349
.LBB53_238:
	s_or_b64 exec, exec, s[0:1]
	s_and_b64 exec, exec, s[38:39]
	s_cbranch_execz .LBB53_240
.LBB53_239:
	v_sub_u32_e32 v2, v36, v2
	v_lshlrev_b32_e32 v2, 3, v2
	ds_write_b64 v2, v[80:81]
.LBB53_240:
	s_or_b64 exec, exec, s[30:31]
	v_cmp_lt_u32_e32 vcc, v0, v4
	s_waitcnt lgkmcnt(0)
	s_barrier
	s_and_saveexec_b64 s[0:1], vcc
	s_cbranch_execz .LBB53_243
; %bb.241:
	v_lshlrev_b32_e32 v8, 3, v0
	s_mov_b64 s[2:3], 0
	v_mov_b32_e32 v3, 0
	v_mov_b32_e32 v2, v0
.LBB53_242:                             ; =>This Inner Loop Header: Depth=1
	v_lshlrev_b64 v[10:11], 3, v[2:3]
	ds_read_b64 v[12:13], v8
	v_add_co_u32_e32 v10, vcc, v6, v10
	v_add_u32_e32 v2, 0x100, v2
	v_addc_co_u32_e32 v11, vcc, v7, v11, vcc
	v_cmp_ge_u32_e32 vcc, v2, v4
	v_add_u32_e32 v8, 0x800, v8
	s_or_b64 s[2:3], vcc, s[2:3]
	s_waitcnt lgkmcnt(0)
	global_store_dwordx2 v[10:11], v[12:13], off
	s_andn2_b64 exec, exec, s[2:3]
	s_cbranch_execnz .LBB53_242
.LBB53_243:
	s_or_b64 exec, exec, s[0:1]
.LBB53_244:
	s_movk_i32 s0, 0xff
	v_cmp_eq_u32_e32 vcc, s0, v0
	s_and_b64 s[0:1], vcc, s[34:35]
	s_and_saveexec_b64 s[2:3], s[0:1]
	s_cbranch_execz .LBB53_247
; %bb.245:
	v_add_co_u32_e32 v0, vcc, v60, v78
	v_addc_co_u32_e64 v3, s[0:1], 0, 0, vcc
	v_add_co_u32_e32 v2, vcc, v0, v30
	v_mov_b32_e32 v61, 0
	v_addc_co_u32_e32 v3, vcc, v3, v31, vcc
	s_cmpk_lg_i32 s33, 0xf00
	global_store_dwordx2 v61, v[2:3], s[62:63]
	s_cbranch_scc1 .LBB53_247
; %bb.246:
	v_lshlrev_b64 v[2:3], 3, v[60:61]
	v_add_co_u32_e32 v0, vcc, v1, v2
	v_addc_co_u32_e32 v1, vcc, v5, v3, vcc
	global_store_dwordx2 v[0:1], v[76:77], off offset:-8
.LBB53_247:
	s_endpgm
.LBB53_248:
                                        ; implicit-def: $sgpr4_sgpr5
                                        ; implicit-def: $vgpr1
                                        ; implicit-def: $vgpr79
                                        ; implicit-def: $vgpr112
                                        ; implicit-def: $vgpr61
                                        ; implicit-def: $vgpr113
                                        ; implicit-def: $vgpr63
                                        ; implicit-def: $vgpr62
                                        ; implicit-def: $vgpr67
                                        ; implicit-def: $vgpr66
                                        ; implicit-def: $vgpr69
                                        ; implicit-def: $vgpr68
                                        ; implicit-def: $vgpr71
                                        ; implicit-def: $vgpr70
                                        ; implicit-def: $vgpr75
	s_cbranch_execz .LBB53_110
.LBB53_249:
	v_mov_b32_e32 v65, 0
	v_lshlrev_b32_e32 v78, 3, v0
	v_cmp_gt_u64_e32 vcc, s[2:3], v[64:65]
	v_mov_b32_e32 v1, 0
	ds_write_b64 v78, v[58:59]
	s_and_saveexec_b64 s[4:5], vcc
	s_cbranch_execz .LBB53_251
; %bb.250:
	v_cvt_i32_f64_e32 v60, v[4:5]
	s_mov_b32 s7, 0x66666667
	v_cvt_i32_f64_e32 v1, v[58:59]
	v_mul_hi_i32 v60, v60, s7
	v_lshrrev_b32_e32 v61, 31, v60
	v_ashrrev_i32_e32 v60, 2, v60
	v_mul_hi_i32 v1, v1, s7
	v_add_u32_e32 v60, v60, v61
	v_lshrrev_b32_e32 v61, 31, v1
	v_ashrrev_i32_e32 v1, 2, v1
	v_add_u32_e32 v1, v1, v61
	v_cmp_ne_u32_e32 vcc, v60, v1
	v_cndmask_b32_e64 v1, 0, 1, vcc
.LBB53_251:
	s_or_b64 exec, exec, s[4:5]
	v_add_u32_e32 v64, 13, v76
	v_cmp_gt_u64_e32 vcc, s[2:3], v[64:65]
	s_and_saveexec_b64 s[4:5], vcc
	s_cbranch_execz .LBB53_253
; %bb.252:
	v_cvt_i32_f64_e32 v61, v[2:3]
	s_mov_b32 s7, 0x66666667
	v_cvt_i32_f64_e32 v60, v[4:5]
	v_mul_hi_i32 v61, v61, s7
	v_lshrrev_b32_e32 v62, 31, v61
	v_ashrrev_i32_e32 v61, 2, v61
	v_mul_hi_i32 v60, v60, s7
	v_add_u32_e32 v61, v61, v62
	v_lshrrev_b32_e32 v62, 31, v60
	v_ashrrev_i32_e32 v60, 2, v60
	v_add_u32_e32 v60, v60, v62
	v_cmp_ne_u32_e32 vcc, v61, v60
	v_cndmask_b32_e64 v65, 0, 1, vcc
.LBB53_253:
	s_or_b64 exec, exec, s[4:5]
	v_add_u32_e32 v60, 12, v76
	v_mov_b32_e32 v61, 0
	v_cmp_gt_u64_e32 vcc, s[2:3], v[60:61]
	v_mov_b32_e32 v112, 0
	s_and_saveexec_b64 s[4:5], vcc
	s_cbranch_execz .LBB53_255
; %bb.254:
	v_cvt_i32_f64_e32 v62, v[8:9]
	s_mov_b32 s7, 0x66666667
	v_cvt_i32_f64_e32 v60, v[2:3]
	v_mul_hi_i32 v62, v62, s7
	v_lshrrev_b32_e32 v63, 31, v62
	v_ashrrev_i32_e32 v62, 2, v62
	v_mul_hi_i32 v60, v60, s7
	v_add_u32_e32 v62, v62, v63
	v_lshrrev_b32_e32 v63, 31, v60
	v_ashrrev_i32_e32 v60, 2, v60
	v_add_u32_e32 v60, v60, v63
	v_cmp_ne_u32_e32 vcc, v62, v60
	v_cndmask_b32_e64 v112, 0, 1, vcc
.LBB53_255:
	s_or_b64 exec, exec, s[4:5]
	v_add_u32_e32 v60, 11, v76
	v_cmp_gt_u64_e32 vcc, s[2:3], v[60:61]
	s_and_saveexec_b64 s[4:5], vcc
	s_cbranch_execz .LBB53_257
; %bb.256:
	v_cvt_i32_f64_e32 v61, v[6:7]
	s_mov_b32 s7, 0x66666667
	v_cvt_i32_f64_e32 v60, v[8:9]
	v_mul_hi_i32 v61, v61, s7
	v_lshrrev_b32_e32 v62, 31, v61
	v_ashrrev_i32_e32 v61, 2, v61
	v_mul_hi_i32 v60, v60, s7
	v_add_u32_e32 v61, v61, v62
	v_lshrrev_b32_e32 v62, 31, v60
	v_ashrrev_i32_e32 v60, 2, v60
	v_add_u32_e32 v60, v60, v62
	v_cmp_ne_u32_e32 vcc, v61, v60
	v_cndmask_b32_e64 v61, 0, 1, vcc
.LBB53_257:
	s_or_b64 exec, exec, s[4:5]
	v_add_u32_e32 v62, 10, v76
	v_mov_b32_e32 v63, 0
	v_cmp_gt_u64_e32 vcc, s[2:3], v[62:63]
	v_mov_b32_e32 v113, 0
	;; [unrolled: 42-line block ×6, first 2 shown]
	s_and_saveexec_b64 s[4:5], vcc
	s_cbranch_execz .LBB53_275
; %bb.274:
	v_cvt_i32_f64_e32 v64, v[28:29]
	s_mov_b32 s7, 0x66666667
	v_cvt_i32_f64_e32 v60, v[22:23]
	v_mul_hi_i32 v64, v64, s7
	v_lshrrev_b32_e32 v70, 31, v64
	v_ashrrev_i32_e32 v64, 2, v64
	v_mul_hi_i32 v60, v60, s7
	v_add_u32_e32 v64, v64, v70
	v_lshrrev_b32_e32 v70, 31, v60
	v_ashrrev_i32_e32 v60, 2, v60
	v_add_u32_e32 v60, v60, v70
	v_cmp_ne_u32_e32 vcc, v64, v60
	v_cndmask_b32_e64 v70, 0, 1, vcc
.LBB53_275:
	s_or_b64 exec, exec, s[4:5]
	v_add_u32_e32 v74, 1, v76
	v_cmp_gt_u64_e32 vcc, s[2:3], v[74:75]
	s_and_saveexec_b64 s[4:5], vcc
	s_cbranch_execz .LBB53_277
; %bb.276:
	v_cvt_i32_f64_e32 v64, v[26:27]
	s_mov_b32 s7, 0x66666667
	v_cvt_i32_f64_e32 v60, v[28:29]
	v_mul_hi_i32 v64, v64, s7
	v_lshrrev_b32_e32 v74, 31, v64
	v_ashrrev_i32_e32 v64, 2, v64
	v_mul_hi_i32 v60, v60, s7
	v_add_u32_e32 v64, v64, v74
	v_lshrrev_b32_e32 v74, 31, v60
	v_ashrrev_i32_e32 v60, 2, v60
	v_add_u32_e32 v60, v60, v74
	v_cmp_ne_u32_e32 vcc, v64, v60
	v_cndmask_b32_e64 v75, 0, 1, vcc
.LBB53_277:
	s_or_b64 exec, exec, s[4:5]
	v_cmp_ne_u32_e32 vcc, 0, v0
	s_waitcnt lgkmcnt(0)
	s_barrier
	s_waitcnt lgkmcnt(0)
                                        ; implicit-def: $sgpr4_sgpr5
	s_and_saveexec_b64 s[8:9], vcc
	s_cbranch_execz .LBB53_281
; %bb.278:
	v_mov_b32_e32 v77, 0
	v_cmp_gt_u64_e32 vcc, s[2:3], v[76:77]
	s_mov_b64 s[4:5], 0
	s_and_saveexec_b64 s[2:3], vcc
	s_cbranch_execz .LBB53_280
; %bb.279:
	v_add_u32_e32 v60, -8, v78
	ds_read_b64 v[76:77], v60
	s_mov_b32 s4, 0x66666667
	v_cvt_i32_f64_e32 v60, v[26:27]
	v_mul_hi_i32 v60, v60, s4
	s_waitcnt lgkmcnt(0)
	v_cvt_i32_f64_e32 v64, v[76:77]
	v_mul_hi_i32 v64, v64, s4
	v_lshrrev_b32_e32 v74, 31, v64
	v_ashrrev_i32_e32 v64, 2, v64
	v_add_u32_e32 v64, v64, v74
	v_lshrrev_b32_e32 v74, 31, v60
	v_ashrrev_i32_e32 v60, 2, v60
	v_add_u32_e32 v60, v60, v74
	v_cmp_ne_u32_e32 vcc, v64, v60
	s_and_b64 s[4:5], vcc, exec
.LBB53_280:
	s_or_b64 exec, exec, s[2:3]
	s_and_b64 s[4:5], s[4:5], exec
	s_or_b64 s[0:1], s[0:1], exec
.LBB53_281:
	s_or_b64 exec, exec, s[8:9]
	s_mov_b32 s8, 1
	v_mov_b32_e32 v79, v65
	v_mov_b32_e32 v64, s8
	s_and_saveexec_b64 s[2:3], s[0:1]
	s_cbranch_execnz .LBB53_112
	s_branch .LBB53_113
.LBB53_282:
	s_and_saveexec_b64 s[38:39], s[28:29]
	s_cbranch_execnz .LBB53_350
; %bb.283:
	s_or_b64 exec, exec, s[38:39]
	s_and_saveexec_b64 s[38:39], s[26:27]
	s_cbranch_execnz .LBB53_351
.LBB53_284:
	s_or_b64 exec, exec, s[38:39]
	s_and_saveexec_b64 s[38:39], s[24:25]
	s_cbranch_execnz .LBB53_352
.LBB53_285:
	s_or_b64 exec, exec, s[38:39]
	s_and_saveexec_b64 s[38:39], s[22:23]
	s_cbranch_execnz .LBB53_353
.LBB53_286:
	s_or_b64 exec, exec, s[38:39]
	s_and_saveexec_b64 s[38:39], s[20:21]
	s_cbranch_execnz .LBB53_354
.LBB53_287:
	s_or_b64 exec, exec, s[38:39]
	s_and_saveexec_b64 s[38:39], s[18:19]
	s_cbranch_execnz .LBB53_355
.LBB53_288:
	s_or_b64 exec, exec, s[38:39]
	s_and_saveexec_b64 s[38:39], s[16:17]
	s_cbranch_execnz .LBB53_356
.LBB53_289:
	s_or_b64 exec, exec, s[38:39]
	s_and_saveexec_b64 s[38:39], s[14:15]
	s_cbranch_execnz .LBB53_357
.LBB53_290:
	s_or_b64 exec, exec, s[38:39]
	s_and_saveexec_b64 s[38:39], s[12:13]
	s_cbranch_execnz .LBB53_358
.LBB53_291:
	s_or_b64 exec, exec, s[38:39]
	s_and_saveexec_b64 s[38:39], s[10:11]
	s_cbranch_execnz .LBB53_359
.LBB53_292:
	s_or_b64 exec, exec, s[38:39]
	s_and_saveexec_b64 s[38:39], s[8:9]
	s_cbranch_execnz .LBB53_360
.LBB53_293:
	s_or_b64 exec, exec, s[38:39]
	s_and_saveexec_b64 s[38:39], s[6:7]
	s_cbranch_execnz .LBB53_361
.LBB53_294:
	s_or_b64 exec, exec, s[38:39]
	s_and_saveexec_b64 s[38:39], s[4:5]
	s_cbranch_execnz .LBB53_362
.LBB53_295:
	s_or_b64 exec, exec, s[38:39]
	s_and_saveexec_b64 s[38:39], s[2:3]
	s_cbranch_execz .LBB53_297
.LBB53_296:
	v_sub_u32_e32 v54, v37, v78
	v_mov_b32_e32 v55, 0
	v_lshlrev_b64 v[54:55], 3, v[54:55]
	v_add_co_u32_e32 v54, vcc, v50, v54
	v_addc_co_u32_e32 v55, vcc, v51, v55, vcc
	global_store_dwordx2 v[54:55], v[4:5], off
.LBB53_297:
	s_or_b64 exec, exec, s[38:39]
	s_and_b64 s[38:39], s[0:1], exec
	s_andn2_saveexec_b64 s[30:31], s[30:31]
	s_cbranch_execz .LBB53_214
.LBB53_298:
	v_sub_u32_e32 v54, v74, v78
	v_mov_b32_e32 v55, 0
	v_lshlrev_b64 v[56:57], 3, v[54:55]
	v_add_co_u32_e32 v56, vcc, v50, v56
	v_addc_co_u32_e32 v57, vcc, v51, v57, vcc
	v_sub_u32_e32 v54, v49, v78
	global_store_dwordx2 v[56:57], v[26:27], off
	v_lshlrev_b64 v[56:57], 3, v[54:55]
	v_add_co_u32_e32 v56, vcc, v50, v56
	v_addc_co_u32_e32 v57, vcc, v51, v57, vcc
	v_sub_u32_e32 v54, v48, v78
	global_store_dwordx2 v[56:57], v[28:29], off
	;; [unrolled: 5-line block ×12, first 2 shown]
	v_lshlrev_b64 v[56:57], 3, v[54:55]
	v_add_co_u32_e32 v56, vcc, v50, v56
	v_sub_u32_e32 v54, v37, v78
	v_addc_co_u32_e32 v57, vcc, v51, v57, vcc
	v_lshlrev_b64 v[54:55], 3, v[54:55]
	v_add_co_u32_e32 v54, vcc, v50, v54
	v_addc_co_u32_e32 v55, vcc, v51, v55, vcc
	s_or_b64 s[38:39], s[38:39], exec
	global_store_dwordx2 v[56:57], v[2:3], off
	global_store_dwordx2 v[54:55], v[4:5], off
	s_or_b64 exec, exec, s[30:31]
	s_and_b64 exec, exec, s[38:39]
	s_cbranch_execnz .LBB53_215
	s_branch .LBB53_216
.LBB53_299:
	s_and_saveexec_b64 s[38:39], s[28:29]
	s_cbranch_execnz .LBB53_363
; %bb.300:
	s_or_b64 exec, exec, s[38:39]
	s_and_saveexec_b64 s[28:29], s[26:27]
	s_cbranch_execnz .LBB53_364
.LBB53_301:
	s_or_b64 exec, exec, s[28:29]
	s_and_saveexec_b64 s[26:27], s[24:25]
	s_cbranch_execnz .LBB53_365
.LBB53_302:
	s_or_b64 exec, exec, s[26:27]
	s_and_saveexec_b64 s[24:25], s[22:23]
	s_cbranch_execnz .LBB53_366
.LBB53_303:
	s_or_b64 exec, exec, s[24:25]
	s_and_saveexec_b64 s[22:23], s[20:21]
	s_cbranch_execnz .LBB53_367
.LBB53_304:
	s_or_b64 exec, exec, s[22:23]
	s_and_saveexec_b64 s[20:21], s[18:19]
	s_cbranch_execnz .LBB53_368
.LBB53_305:
	s_or_b64 exec, exec, s[20:21]
	s_and_saveexec_b64 s[18:19], s[16:17]
	s_cbranch_execnz .LBB53_369
.LBB53_306:
	s_or_b64 exec, exec, s[18:19]
	s_and_saveexec_b64 s[16:17], s[14:15]
	s_cbranch_execnz .LBB53_370
.LBB53_307:
	s_or_b64 exec, exec, s[16:17]
	s_and_saveexec_b64 s[14:15], s[12:13]
	s_cbranch_execnz .LBB53_371
.LBB53_308:
	s_or_b64 exec, exec, s[14:15]
	s_and_saveexec_b64 s[12:13], s[10:11]
	s_cbranch_execnz .LBB53_372
.LBB53_309:
	s_or_b64 exec, exec, s[12:13]
	s_and_saveexec_b64 s[10:11], s[8:9]
	s_cbranch_execnz .LBB53_373
.LBB53_310:
	s_or_b64 exec, exec, s[10:11]
	s_and_saveexec_b64 s[8:9], s[6:7]
	s_cbranch_execnz .LBB53_374
.LBB53_311:
	s_or_b64 exec, exec, s[8:9]
	s_and_saveexec_b64 s[6:7], s[4:5]
	s_cbranch_execnz .LBB53_375
.LBB53_312:
	s_or_b64 exec, exec, s[6:7]
	s_and_saveexec_b64 s[4:5], s[2:3]
	s_cbranch_execz .LBB53_314
.LBB53_313:
	v_sub_u32_e32 v2, v37, v78
	v_lshlrev_b32_e32 v2, 3, v2
	ds_write_b64 v2, v[4:5]
.LBB53_314:
	s_or_b64 exec, exec, s[4:5]
	s_and_b64 s[38:39], s[0:1], exec
                                        ; implicit-def: $vgpr26_vgpr27_vgpr28_vgpr29
                                        ; implicit-def: $vgpr22_vgpr23_vgpr24_vgpr25
                                        ; implicit-def: $vgpr18_vgpr19_vgpr20_vgpr21
                                        ; implicit-def: $vgpr14_vgpr15_vgpr16_vgpr17
                                        ; implicit-def: $vgpr10_vgpr11_vgpr12_vgpr13
                                        ; implicit-def: $vgpr6_vgpr7_vgpr8_vgpr9
                                        ; implicit-def: $vgpr2_vgpr3_vgpr4_vgpr5
	s_andn2_saveexec_b64 s[0:1], s[36:37]
	s_cbranch_execz .LBB53_221
.LBB53_315:
	v_sub_u32_e32 v52, v74, v78
	v_lshlrev_b32_e32 v52, 3, v52
	ds_write_b64 v52, v[26:27]
	v_sub_u32_e32 v26, v49, v78
	v_lshlrev_b32_e32 v26, 3, v26
	ds_write_b64 v26, v[28:29]
	;; [unrolled: 3-line block ×13, first 2 shown]
	v_sub_u32_e32 v2, v37, v78
	v_lshlrev_b32_e32 v2, 3, v2
	s_or_b64 s[38:39], s[38:39], exec
	ds_write_b64 v2, v[4:5]
	s_or_b64 exec, exec, s[0:1]
	s_and_b64 exec, exec, s[38:39]
	s_cbranch_execnz .LBB53_222
	s_branch .LBB53_223
.LBB53_316:
	s_and_saveexec_b64 s[38:39], s[28:29]
	s_cbranch_execnz .LBB53_376
; %bb.317:
	s_or_b64 exec, exec, s[38:39]
	s_and_saveexec_b64 s[38:39], s[26:27]
	s_cbranch_execnz .LBB53_377
.LBB53_318:
	s_or_b64 exec, exec, s[38:39]
	s_and_saveexec_b64 s[38:39], s[24:25]
	s_cbranch_execnz .LBB53_378
.LBB53_319:
	s_or_b64 exec, exec, s[38:39]
	s_and_saveexec_b64 s[38:39], s[22:23]
	s_cbranch_execnz .LBB53_379
.LBB53_320:
	s_or_b64 exec, exec, s[38:39]
	s_and_saveexec_b64 s[38:39], s[20:21]
	s_cbranch_execnz .LBB53_380
.LBB53_321:
	s_or_b64 exec, exec, s[38:39]
	s_and_saveexec_b64 s[38:39], s[18:19]
	s_cbranch_execnz .LBB53_381
.LBB53_322:
	s_or_b64 exec, exec, s[38:39]
	s_and_saveexec_b64 s[38:39], s[16:17]
	s_cbranch_execnz .LBB53_382
.LBB53_323:
	s_or_b64 exec, exec, s[38:39]
	s_and_saveexec_b64 s[38:39], s[14:15]
	s_cbranch_execnz .LBB53_383
.LBB53_324:
	s_or_b64 exec, exec, s[38:39]
	s_and_saveexec_b64 s[38:39], s[12:13]
	s_cbranch_execnz .LBB53_384
.LBB53_325:
	s_or_b64 exec, exec, s[38:39]
	s_and_saveexec_b64 s[38:39], s[10:11]
	s_cbranch_execnz .LBB53_385
.LBB53_326:
	s_or_b64 exec, exec, s[38:39]
	s_and_saveexec_b64 s[38:39], s[8:9]
	s_cbranch_execnz .LBB53_386
.LBB53_327:
	s_or_b64 exec, exec, s[38:39]
	s_and_saveexec_b64 s[38:39], s[6:7]
	s_cbranch_execnz .LBB53_387
.LBB53_328:
	s_or_b64 exec, exec, s[38:39]
	s_and_saveexec_b64 s[38:39], s[4:5]
	s_cbranch_execnz .LBB53_388
.LBB53_329:
	s_or_b64 exec, exec, s[38:39]
	s_and_saveexec_b64 s[38:39], s[2:3]
	s_cbranch_execz .LBB53_331
.LBB53_330:
	v_sub_u32_e32 v8, v37, v2
	v_mov_b32_e32 v9, 0
	v_lshlrev_b64 v[8:9], 3, v[8:9]
	v_add_co_u32_e32 v8, vcc, v6, v8
	v_addc_co_u32_e32 v9, vcc, v7, v9, vcc
	global_store_dwordx2 v[8:9], v[82:83], off
.LBB53_331:
	s_or_b64 exec, exec, s[38:39]
	s_and_b64 s[38:39], s[0:1], exec
	s_andn2_saveexec_b64 s[30:31], s[30:31]
	s_cbranch_execz .LBB53_231
.LBB53_332:
	v_sub_u32_e32 v8, v74, v2
	v_mov_b32_e32 v9, 0
	v_lshlrev_b64 v[10:11], 3, v[8:9]
	v_add_co_u32_e32 v10, vcc, v6, v10
	v_addc_co_u32_e32 v11, vcc, v7, v11, vcc
	v_sub_u32_e32 v8, v49, v2
	global_store_dwordx2 v[10:11], v[108:109], off
	v_lshlrev_b64 v[10:11], 3, v[8:9]
	v_add_co_u32_e32 v10, vcc, v6, v10
	v_addc_co_u32_e32 v11, vcc, v7, v11, vcc
	v_sub_u32_e32 v8, v48, v2
	global_store_dwordx2 v[10:11], v[106:107], off
	;; [unrolled: 5-line block ×12, first 2 shown]
	v_lshlrev_b64 v[10:11], 3, v[8:9]
	v_add_co_u32_e32 v10, vcc, v6, v10
	v_sub_u32_e32 v8, v37, v2
	v_addc_co_u32_e32 v11, vcc, v7, v11, vcc
	v_lshlrev_b64 v[8:9], 3, v[8:9]
	v_add_co_u32_e32 v8, vcc, v6, v8
	v_addc_co_u32_e32 v9, vcc, v7, v9, vcc
	s_or_b64 s[38:39], s[38:39], exec
	global_store_dwordx2 v[10:11], v[84:85], off
	global_store_dwordx2 v[8:9], v[82:83], off
	s_or_b64 exec, exec, s[30:31]
	s_and_b64 exec, exec, s[38:39]
	s_cbranch_execnz .LBB53_232
	s_branch .LBB53_233
.LBB53_333:
	s_and_saveexec_b64 s[38:39], s[28:29]
	s_cbranch_execnz .LBB53_389
; %bb.334:
	s_or_b64 exec, exec, s[38:39]
	s_and_saveexec_b64 s[28:29], s[26:27]
	s_cbranch_execnz .LBB53_390
.LBB53_335:
	s_or_b64 exec, exec, s[28:29]
	s_and_saveexec_b64 s[26:27], s[24:25]
	s_cbranch_execnz .LBB53_391
.LBB53_336:
	s_or_b64 exec, exec, s[26:27]
	s_and_saveexec_b64 s[24:25], s[22:23]
	s_cbranch_execnz .LBB53_392
.LBB53_337:
	s_or_b64 exec, exec, s[24:25]
	s_and_saveexec_b64 s[22:23], s[20:21]
	s_cbranch_execnz .LBB53_393
.LBB53_338:
	s_or_b64 exec, exec, s[22:23]
	s_and_saveexec_b64 s[20:21], s[18:19]
	s_cbranch_execnz .LBB53_394
.LBB53_339:
	s_or_b64 exec, exec, s[20:21]
	s_and_saveexec_b64 s[18:19], s[16:17]
	s_cbranch_execnz .LBB53_395
.LBB53_340:
	s_or_b64 exec, exec, s[18:19]
	s_and_saveexec_b64 s[16:17], s[14:15]
	s_cbranch_execnz .LBB53_396
.LBB53_341:
	s_or_b64 exec, exec, s[16:17]
	s_and_saveexec_b64 s[14:15], s[12:13]
	s_cbranch_execnz .LBB53_397
.LBB53_342:
	s_or_b64 exec, exec, s[14:15]
	s_and_saveexec_b64 s[12:13], s[10:11]
	s_cbranch_execnz .LBB53_398
.LBB53_343:
	s_or_b64 exec, exec, s[12:13]
	s_and_saveexec_b64 s[10:11], s[8:9]
	s_cbranch_execnz .LBB53_399
.LBB53_344:
	s_or_b64 exec, exec, s[10:11]
	s_and_saveexec_b64 s[8:9], s[6:7]
	s_cbranch_execnz .LBB53_400
.LBB53_345:
	s_or_b64 exec, exec, s[8:9]
	s_and_saveexec_b64 s[6:7], s[4:5]
	s_cbranch_execnz .LBB53_401
.LBB53_346:
	s_or_b64 exec, exec, s[6:7]
	s_and_saveexec_b64 s[4:5], s[2:3]
	s_cbranch_execz .LBB53_348
.LBB53_347:
	v_sub_u32_e32 v3, v37, v2
	v_lshlrev_b32_e32 v3, 3, v3
	ds_write_b64 v3, v[82:83]
.LBB53_348:
	s_or_b64 exec, exec, s[4:5]
	s_and_b64 s[38:39], s[0:1], exec
                                        ; implicit-def: $vgpr108_vgpr109
                                        ; implicit-def: $vgpr106_vgpr107
                                        ; implicit-def: $vgpr104_vgpr105
                                        ; implicit-def: $vgpr102_vgpr103
                                        ; implicit-def: $vgpr100_vgpr101
                                        ; implicit-def: $vgpr98_vgpr99
                                        ; implicit-def: $vgpr96_vgpr97
                                        ; implicit-def: $vgpr94_vgpr95
                                        ; implicit-def: $vgpr92_vgpr93
                                        ; implicit-def: $vgpr90_vgpr91
                                        ; implicit-def: $vgpr88_vgpr89
                                        ; implicit-def: $vgpr86_vgpr87
                                        ; implicit-def: $vgpr84_vgpr85
                                        ; implicit-def: $vgpr82_vgpr83
                                        ; implicit-def: $vgpr74
                                        ; implicit-def: $vgpr49
                                        ; implicit-def: $vgpr48
                                        ; implicit-def: $vgpr47
                                        ; implicit-def: $vgpr46
                                        ; implicit-def: $vgpr45
                                        ; implicit-def: $vgpr44
                                        ; implicit-def: $vgpr43
                                        ; implicit-def: $vgpr42
                                        ; implicit-def: $vgpr41
                                        ; implicit-def: $vgpr40
                                        ; implicit-def: $vgpr39
                                        ; implicit-def: $vgpr38
                                        ; implicit-def: $vgpr37
	s_andn2_saveexec_b64 s[0:1], s[36:37]
	s_cbranch_execz .LBB53_238
.LBB53_349:
	v_sub_u32_e32 v3, v74, v2
	v_lshlrev_b32_e32 v3, 3, v3
	ds_write_b64 v3, v[108:109]
	v_sub_u32_e32 v3, v49, v2
	v_lshlrev_b32_e32 v3, 3, v3
	ds_write_b64 v3, v[106:107]
	;; [unrolled: 3-line block ×13, first 2 shown]
	v_sub_u32_e32 v3, v37, v2
	v_lshlrev_b32_e32 v3, 3, v3
	s_or_b64 s[38:39], s[38:39], exec
	ds_write_b64 v3, v[82:83]
	s_or_b64 exec, exec, s[0:1]
	s_and_b64 exec, exec, s[38:39]
	s_cbranch_execnz .LBB53_239
	s_branch .LBB53_240
.LBB53_350:
	v_sub_u32_e32 v54, v74, v78
	v_mov_b32_e32 v55, 0
	v_lshlrev_b64 v[54:55], 3, v[54:55]
	v_add_co_u32_e32 v54, vcc, v50, v54
	v_addc_co_u32_e32 v55, vcc, v51, v55, vcc
	global_store_dwordx2 v[54:55], v[26:27], off
	s_or_b64 exec, exec, s[38:39]
	s_and_saveexec_b64 s[38:39], s[26:27]
	s_cbranch_execz .LBB53_284
.LBB53_351:
	v_sub_u32_e32 v54, v49, v78
	v_mov_b32_e32 v55, 0
	v_lshlrev_b64 v[54:55], 3, v[54:55]
	v_add_co_u32_e32 v54, vcc, v50, v54
	v_addc_co_u32_e32 v55, vcc, v51, v55, vcc
	global_store_dwordx2 v[54:55], v[28:29], off
	s_or_b64 exec, exec, s[38:39]
	s_and_saveexec_b64 s[38:39], s[24:25]
	s_cbranch_execz .LBB53_285
.LBB53_352:
	v_sub_u32_e32 v54, v48, v78
	v_mov_b32_e32 v55, 0
	v_lshlrev_b64 v[54:55], 3, v[54:55]
	v_add_co_u32_e32 v54, vcc, v50, v54
	v_addc_co_u32_e32 v55, vcc, v51, v55, vcc
	global_store_dwordx2 v[54:55], v[22:23], off
	s_or_b64 exec, exec, s[38:39]
	s_and_saveexec_b64 s[38:39], s[22:23]
	s_cbranch_execz .LBB53_286
.LBB53_353:
	v_sub_u32_e32 v54, v47, v78
	v_mov_b32_e32 v55, 0
	v_lshlrev_b64 v[54:55], 3, v[54:55]
	v_add_co_u32_e32 v54, vcc, v50, v54
	v_addc_co_u32_e32 v55, vcc, v51, v55, vcc
	global_store_dwordx2 v[54:55], v[24:25], off
	s_or_b64 exec, exec, s[38:39]
	s_and_saveexec_b64 s[38:39], s[20:21]
	s_cbranch_execz .LBB53_287
.LBB53_354:
	v_sub_u32_e32 v54, v46, v78
	v_mov_b32_e32 v55, 0
	v_lshlrev_b64 v[54:55], 3, v[54:55]
	v_add_co_u32_e32 v54, vcc, v50, v54
	v_addc_co_u32_e32 v55, vcc, v51, v55, vcc
	global_store_dwordx2 v[54:55], v[18:19], off
	s_or_b64 exec, exec, s[38:39]
	s_and_saveexec_b64 s[38:39], s[18:19]
	s_cbranch_execz .LBB53_288
.LBB53_355:
	v_sub_u32_e32 v54, v45, v78
	v_mov_b32_e32 v55, 0
	v_lshlrev_b64 v[54:55], 3, v[54:55]
	v_add_co_u32_e32 v54, vcc, v50, v54
	v_addc_co_u32_e32 v55, vcc, v51, v55, vcc
	global_store_dwordx2 v[54:55], v[20:21], off
	s_or_b64 exec, exec, s[38:39]
	s_and_saveexec_b64 s[38:39], s[16:17]
	s_cbranch_execz .LBB53_289
.LBB53_356:
	v_sub_u32_e32 v54, v44, v78
	v_mov_b32_e32 v55, 0
	v_lshlrev_b64 v[54:55], 3, v[54:55]
	v_add_co_u32_e32 v54, vcc, v50, v54
	v_addc_co_u32_e32 v55, vcc, v51, v55, vcc
	global_store_dwordx2 v[54:55], v[14:15], off
	s_or_b64 exec, exec, s[38:39]
	s_and_saveexec_b64 s[38:39], s[14:15]
	s_cbranch_execz .LBB53_290
.LBB53_357:
	v_sub_u32_e32 v54, v43, v78
	v_mov_b32_e32 v55, 0
	v_lshlrev_b64 v[54:55], 3, v[54:55]
	v_add_co_u32_e32 v54, vcc, v50, v54
	v_addc_co_u32_e32 v55, vcc, v51, v55, vcc
	global_store_dwordx2 v[54:55], v[16:17], off
	s_or_b64 exec, exec, s[38:39]
	s_and_saveexec_b64 s[38:39], s[12:13]
	s_cbranch_execz .LBB53_291
.LBB53_358:
	v_sub_u32_e32 v54, v42, v78
	v_mov_b32_e32 v55, 0
	v_lshlrev_b64 v[54:55], 3, v[54:55]
	v_add_co_u32_e32 v54, vcc, v50, v54
	v_addc_co_u32_e32 v55, vcc, v51, v55, vcc
	global_store_dwordx2 v[54:55], v[10:11], off
	s_or_b64 exec, exec, s[38:39]
	s_and_saveexec_b64 s[38:39], s[10:11]
	s_cbranch_execz .LBB53_292
.LBB53_359:
	v_sub_u32_e32 v54, v41, v78
	v_mov_b32_e32 v55, 0
	v_lshlrev_b64 v[54:55], 3, v[54:55]
	v_add_co_u32_e32 v54, vcc, v50, v54
	v_addc_co_u32_e32 v55, vcc, v51, v55, vcc
	global_store_dwordx2 v[54:55], v[12:13], off
	s_or_b64 exec, exec, s[38:39]
	s_and_saveexec_b64 s[38:39], s[8:9]
	s_cbranch_execz .LBB53_293
.LBB53_360:
	v_sub_u32_e32 v54, v40, v78
	v_mov_b32_e32 v55, 0
	v_lshlrev_b64 v[54:55], 3, v[54:55]
	v_add_co_u32_e32 v54, vcc, v50, v54
	v_addc_co_u32_e32 v55, vcc, v51, v55, vcc
	global_store_dwordx2 v[54:55], v[6:7], off
	s_or_b64 exec, exec, s[38:39]
	s_and_saveexec_b64 s[38:39], s[6:7]
	s_cbranch_execz .LBB53_294
.LBB53_361:
	v_sub_u32_e32 v54, v39, v78
	v_mov_b32_e32 v55, 0
	v_lshlrev_b64 v[54:55], 3, v[54:55]
	v_add_co_u32_e32 v54, vcc, v50, v54
	v_addc_co_u32_e32 v55, vcc, v51, v55, vcc
	global_store_dwordx2 v[54:55], v[8:9], off
	s_or_b64 exec, exec, s[38:39]
	s_and_saveexec_b64 s[38:39], s[4:5]
	s_cbranch_execz .LBB53_295
.LBB53_362:
	v_sub_u32_e32 v54, v38, v78
	v_mov_b32_e32 v55, 0
	v_lshlrev_b64 v[54:55], 3, v[54:55]
	v_add_co_u32_e32 v54, vcc, v50, v54
	v_addc_co_u32_e32 v55, vcc, v51, v55, vcc
	global_store_dwordx2 v[54:55], v[2:3], off
	s_or_b64 exec, exec, s[38:39]
	s_and_saveexec_b64 s[38:39], s[2:3]
	s_cbranch_execnz .LBB53_296
	s_branch .LBB53_297
.LBB53_363:
	v_sub_u32_e32 v52, v74, v78
	v_lshlrev_b32_e32 v52, 3, v52
	ds_write_b64 v52, v[26:27]
	s_or_b64 exec, exec, s[38:39]
	s_and_saveexec_b64 s[28:29], s[26:27]
	s_cbranch_execz .LBB53_301
.LBB53_364:
	v_sub_u32_e32 v26, v49, v78
	v_lshlrev_b32_e32 v26, 3, v26
	ds_write_b64 v26, v[28:29]
	s_or_b64 exec, exec, s[28:29]
	s_and_saveexec_b64 s[26:27], s[24:25]
	s_cbranch_execz .LBB53_302
.LBB53_365:
	v_sub_u32_e32 v26, v48, v78
	v_lshlrev_b32_e32 v26, 3, v26
	ds_write_b64 v26, v[22:23]
	s_or_b64 exec, exec, s[26:27]
	s_and_saveexec_b64 s[24:25], s[22:23]
	s_cbranch_execz .LBB53_303
.LBB53_366:
	v_sub_u32_e32 v22, v47, v78
	v_lshlrev_b32_e32 v22, 3, v22
	ds_write_b64 v22, v[24:25]
	s_or_b64 exec, exec, s[24:25]
	s_and_saveexec_b64 s[22:23], s[20:21]
	s_cbranch_execz .LBB53_304
.LBB53_367:
	v_sub_u32_e32 v22, v46, v78
	v_lshlrev_b32_e32 v22, 3, v22
	ds_write_b64 v22, v[18:19]
	s_or_b64 exec, exec, s[22:23]
	s_and_saveexec_b64 s[20:21], s[18:19]
	s_cbranch_execz .LBB53_305
.LBB53_368:
	v_sub_u32_e32 v18, v45, v78
	v_lshlrev_b32_e32 v18, 3, v18
	ds_write_b64 v18, v[20:21]
	s_or_b64 exec, exec, s[20:21]
	s_and_saveexec_b64 s[18:19], s[16:17]
	s_cbranch_execz .LBB53_306
.LBB53_369:
	v_sub_u32_e32 v18, v44, v78
	v_lshlrev_b32_e32 v18, 3, v18
	ds_write_b64 v18, v[14:15]
	s_or_b64 exec, exec, s[18:19]
	s_and_saveexec_b64 s[16:17], s[14:15]
	s_cbranch_execz .LBB53_307
.LBB53_370:
	v_sub_u32_e32 v14, v43, v78
	v_lshlrev_b32_e32 v14, 3, v14
	ds_write_b64 v14, v[16:17]
	s_or_b64 exec, exec, s[16:17]
	s_and_saveexec_b64 s[14:15], s[12:13]
	s_cbranch_execz .LBB53_308
.LBB53_371:
	v_sub_u32_e32 v14, v42, v78
	v_lshlrev_b32_e32 v14, 3, v14
	ds_write_b64 v14, v[10:11]
	s_or_b64 exec, exec, s[14:15]
	s_and_saveexec_b64 s[12:13], s[10:11]
	s_cbranch_execz .LBB53_309
.LBB53_372:
	v_sub_u32_e32 v10, v41, v78
	v_lshlrev_b32_e32 v10, 3, v10
	ds_write_b64 v10, v[12:13]
	s_or_b64 exec, exec, s[12:13]
	s_and_saveexec_b64 s[10:11], s[8:9]
	s_cbranch_execz .LBB53_310
.LBB53_373:
	v_sub_u32_e32 v10, v40, v78
	v_lshlrev_b32_e32 v10, 3, v10
	ds_write_b64 v10, v[6:7]
	s_or_b64 exec, exec, s[10:11]
	s_and_saveexec_b64 s[8:9], s[6:7]
	s_cbranch_execz .LBB53_311
.LBB53_374:
	v_sub_u32_e32 v6, v39, v78
	v_lshlrev_b32_e32 v6, 3, v6
	ds_write_b64 v6, v[8:9]
	s_or_b64 exec, exec, s[8:9]
	s_and_saveexec_b64 s[6:7], s[4:5]
	s_cbranch_execz .LBB53_312
.LBB53_375:
	v_sub_u32_e32 v6, v38, v78
	v_lshlrev_b32_e32 v6, 3, v6
	ds_write_b64 v6, v[2:3]
	s_or_b64 exec, exec, s[6:7]
	s_and_saveexec_b64 s[4:5], s[2:3]
	s_cbranch_execnz .LBB53_313
	s_branch .LBB53_314
.LBB53_376:
	v_sub_u32_e32 v8, v74, v2
	v_mov_b32_e32 v9, 0
	v_lshlrev_b64 v[8:9], 3, v[8:9]
	v_add_co_u32_e32 v8, vcc, v6, v8
	v_addc_co_u32_e32 v9, vcc, v7, v9, vcc
	global_store_dwordx2 v[8:9], v[108:109], off
	s_or_b64 exec, exec, s[38:39]
	s_and_saveexec_b64 s[38:39], s[26:27]
	s_cbranch_execz .LBB53_318
.LBB53_377:
	v_sub_u32_e32 v8, v49, v2
	v_mov_b32_e32 v9, 0
	v_lshlrev_b64 v[8:9], 3, v[8:9]
	v_add_co_u32_e32 v8, vcc, v6, v8
	v_addc_co_u32_e32 v9, vcc, v7, v9, vcc
	global_store_dwordx2 v[8:9], v[106:107], off
	s_or_b64 exec, exec, s[38:39]
	s_and_saveexec_b64 s[38:39], s[24:25]
	s_cbranch_execz .LBB53_319
.LBB53_378:
	v_sub_u32_e32 v8, v48, v2
	v_mov_b32_e32 v9, 0
	v_lshlrev_b64 v[8:9], 3, v[8:9]
	v_add_co_u32_e32 v8, vcc, v6, v8
	v_addc_co_u32_e32 v9, vcc, v7, v9, vcc
	global_store_dwordx2 v[8:9], v[104:105], off
	s_or_b64 exec, exec, s[38:39]
	s_and_saveexec_b64 s[38:39], s[22:23]
	s_cbranch_execz .LBB53_320
.LBB53_379:
	v_sub_u32_e32 v8, v47, v2
	v_mov_b32_e32 v9, 0
	v_lshlrev_b64 v[8:9], 3, v[8:9]
	v_add_co_u32_e32 v8, vcc, v6, v8
	v_addc_co_u32_e32 v9, vcc, v7, v9, vcc
	global_store_dwordx2 v[8:9], v[102:103], off
	s_or_b64 exec, exec, s[38:39]
	s_and_saveexec_b64 s[38:39], s[20:21]
	s_cbranch_execz .LBB53_321
.LBB53_380:
	v_sub_u32_e32 v8, v46, v2
	v_mov_b32_e32 v9, 0
	v_lshlrev_b64 v[8:9], 3, v[8:9]
	v_add_co_u32_e32 v8, vcc, v6, v8
	v_addc_co_u32_e32 v9, vcc, v7, v9, vcc
	global_store_dwordx2 v[8:9], v[100:101], off
	s_or_b64 exec, exec, s[38:39]
	s_and_saveexec_b64 s[38:39], s[18:19]
	s_cbranch_execz .LBB53_322
.LBB53_381:
	v_sub_u32_e32 v8, v45, v2
	v_mov_b32_e32 v9, 0
	v_lshlrev_b64 v[8:9], 3, v[8:9]
	v_add_co_u32_e32 v8, vcc, v6, v8
	v_addc_co_u32_e32 v9, vcc, v7, v9, vcc
	global_store_dwordx2 v[8:9], v[98:99], off
	s_or_b64 exec, exec, s[38:39]
	s_and_saveexec_b64 s[38:39], s[16:17]
	s_cbranch_execz .LBB53_323
.LBB53_382:
	v_sub_u32_e32 v8, v44, v2
	v_mov_b32_e32 v9, 0
	v_lshlrev_b64 v[8:9], 3, v[8:9]
	v_add_co_u32_e32 v8, vcc, v6, v8
	v_addc_co_u32_e32 v9, vcc, v7, v9, vcc
	global_store_dwordx2 v[8:9], v[96:97], off
	s_or_b64 exec, exec, s[38:39]
	s_and_saveexec_b64 s[38:39], s[14:15]
	s_cbranch_execz .LBB53_324
.LBB53_383:
	v_sub_u32_e32 v8, v43, v2
	v_mov_b32_e32 v9, 0
	v_lshlrev_b64 v[8:9], 3, v[8:9]
	v_add_co_u32_e32 v8, vcc, v6, v8
	v_addc_co_u32_e32 v9, vcc, v7, v9, vcc
	global_store_dwordx2 v[8:9], v[94:95], off
	s_or_b64 exec, exec, s[38:39]
	s_and_saveexec_b64 s[38:39], s[12:13]
	s_cbranch_execz .LBB53_325
.LBB53_384:
	v_sub_u32_e32 v8, v42, v2
	v_mov_b32_e32 v9, 0
	v_lshlrev_b64 v[8:9], 3, v[8:9]
	v_add_co_u32_e32 v8, vcc, v6, v8
	v_addc_co_u32_e32 v9, vcc, v7, v9, vcc
	global_store_dwordx2 v[8:9], v[92:93], off
	s_or_b64 exec, exec, s[38:39]
	s_and_saveexec_b64 s[38:39], s[10:11]
	s_cbranch_execz .LBB53_326
.LBB53_385:
	v_sub_u32_e32 v8, v41, v2
	v_mov_b32_e32 v9, 0
	v_lshlrev_b64 v[8:9], 3, v[8:9]
	v_add_co_u32_e32 v8, vcc, v6, v8
	v_addc_co_u32_e32 v9, vcc, v7, v9, vcc
	global_store_dwordx2 v[8:9], v[90:91], off
	s_or_b64 exec, exec, s[38:39]
	s_and_saveexec_b64 s[38:39], s[8:9]
	s_cbranch_execz .LBB53_327
.LBB53_386:
	v_sub_u32_e32 v8, v40, v2
	v_mov_b32_e32 v9, 0
	v_lshlrev_b64 v[8:9], 3, v[8:9]
	v_add_co_u32_e32 v8, vcc, v6, v8
	v_addc_co_u32_e32 v9, vcc, v7, v9, vcc
	global_store_dwordx2 v[8:9], v[88:89], off
	s_or_b64 exec, exec, s[38:39]
	s_and_saveexec_b64 s[38:39], s[6:7]
	s_cbranch_execz .LBB53_328
.LBB53_387:
	v_sub_u32_e32 v8, v39, v2
	v_mov_b32_e32 v9, 0
	v_lshlrev_b64 v[8:9], 3, v[8:9]
	v_add_co_u32_e32 v8, vcc, v6, v8
	v_addc_co_u32_e32 v9, vcc, v7, v9, vcc
	global_store_dwordx2 v[8:9], v[86:87], off
	s_or_b64 exec, exec, s[38:39]
	s_and_saveexec_b64 s[38:39], s[4:5]
	s_cbranch_execz .LBB53_329
.LBB53_388:
	v_sub_u32_e32 v8, v38, v2
	v_mov_b32_e32 v9, 0
	v_lshlrev_b64 v[8:9], 3, v[8:9]
	v_add_co_u32_e32 v8, vcc, v6, v8
	v_addc_co_u32_e32 v9, vcc, v7, v9, vcc
	global_store_dwordx2 v[8:9], v[84:85], off
	s_or_b64 exec, exec, s[38:39]
	s_and_saveexec_b64 s[38:39], s[2:3]
	s_cbranch_execnz .LBB53_330
	s_branch .LBB53_331
.LBB53_389:
	v_sub_u32_e32 v3, v74, v2
	v_lshlrev_b32_e32 v3, 3, v3
	ds_write_b64 v3, v[108:109]
	s_or_b64 exec, exec, s[38:39]
	s_and_saveexec_b64 s[28:29], s[26:27]
	s_cbranch_execz .LBB53_335
.LBB53_390:
	v_sub_u32_e32 v3, v49, v2
	v_lshlrev_b32_e32 v3, 3, v3
	ds_write_b64 v3, v[106:107]
	s_or_b64 exec, exec, s[28:29]
	s_and_saveexec_b64 s[26:27], s[24:25]
	s_cbranch_execz .LBB53_336
.LBB53_391:
	v_sub_u32_e32 v3, v48, v2
	v_lshlrev_b32_e32 v3, 3, v3
	ds_write_b64 v3, v[104:105]
	s_or_b64 exec, exec, s[26:27]
	s_and_saveexec_b64 s[24:25], s[22:23]
	s_cbranch_execz .LBB53_337
.LBB53_392:
	v_sub_u32_e32 v3, v47, v2
	v_lshlrev_b32_e32 v3, 3, v3
	ds_write_b64 v3, v[102:103]
	s_or_b64 exec, exec, s[24:25]
	s_and_saveexec_b64 s[22:23], s[20:21]
	s_cbranch_execz .LBB53_338
.LBB53_393:
	v_sub_u32_e32 v3, v46, v2
	v_lshlrev_b32_e32 v3, 3, v3
	ds_write_b64 v3, v[100:101]
	s_or_b64 exec, exec, s[22:23]
	s_and_saveexec_b64 s[20:21], s[18:19]
	s_cbranch_execz .LBB53_339
.LBB53_394:
	v_sub_u32_e32 v3, v45, v2
	v_lshlrev_b32_e32 v3, 3, v3
	ds_write_b64 v3, v[98:99]
	s_or_b64 exec, exec, s[20:21]
	s_and_saveexec_b64 s[18:19], s[16:17]
	s_cbranch_execz .LBB53_340
.LBB53_395:
	v_sub_u32_e32 v3, v44, v2
	v_lshlrev_b32_e32 v3, 3, v3
	ds_write_b64 v3, v[96:97]
	s_or_b64 exec, exec, s[18:19]
	s_and_saveexec_b64 s[16:17], s[14:15]
	s_cbranch_execz .LBB53_341
.LBB53_396:
	v_sub_u32_e32 v3, v43, v2
	v_lshlrev_b32_e32 v3, 3, v3
	ds_write_b64 v3, v[94:95]
	s_or_b64 exec, exec, s[16:17]
	s_and_saveexec_b64 s[14:15], s[12:13]
	s_cbranch_execz .LBB53_342
.LBB53_397:
	v_sub_u32_e32 v3, v42, v2
	v_lshlrev_b32_e32 v3, 3, v3
	ds_write_b64 v3, v[92:93]
	s_or_b64 exec, exec, s[14:15]
	s_and_saveexec_b64 s[12:13], s[10:11]
	s_cbranch_execz .LBB53_343
.LBB53_398:
	v_sub_u32_e32 v3, v41, v2
	v_lshlrev_b32_e32 v3, 3, v3
	ds_write_b64 v3, v[90:91]
	s_or_b64 exec, exec, s[12:13]
	s_and_saveexec_b64 s[10:11], s[8:9]
	s_cbranch_execz .LBB53_344
.LBB53_399:
	v_sub_u32_e32 v3, v40, v2
	v_lshlrev_b32_e32 v3, 3, v3
	ds_write_b64 v3, v[88:89]
	s_or_b64 exec, exec, s[10:11]
	s_and_saveexec_b64 s[8:9], s[6:7]
	s_cbranch_execz .LBB53_345
.LBB53_400:
	v_sub_u32_e32 v3, v39, v2
	v_lshlrev_b32_e32 v3, 3, v3
	ds_write_b64 v3, v[86:87]
	s_or_b64 exec, exec, s[8:9]
	s_and_saveexec_b64 s[6:7], s[4:5]
	s_cbranch_execz .LBB53_346
.LBB53_401:
	v_sub_u32_e32 v3, v38, v2
	v_lshlrev_b32_e32 v3, 3, v3
	ds_write_b64 v3, v[84:85]
	s_or_b64 exec, exec, s[6:7]
	s_and_saveexec_b64 s[4:5], s[2:3]
	s_cbranch_execnz .LBB53_347
	s_branch .LBB53_348
	.section	.rodata,"a",@progbits
	.p2align	6, 0x0
	.amdhsa_kernel _ZN7rocprim17ROCPRIM_400000_NS6detail17trampoline_kernelINS0_14default_configENS1_29reduce_by_key_config_selectorIddN6thrust23THRUST_200600_302600_NS4plusIdEEEEZZNS1_33reduce_by_key_impl_wrapped_configILNS1_25lookback_scan_determinismE0ES3_S9_NS6_6detail15normal_iteratorINS6_10device_ptrIdEEEESG_SG_SG_PmS8_22is_equal_div_10_reduceIdEEE10hipError_tPvRmT2_T3_mT4_T5_T6_T7_T8_P12ihipStream_tbENKUlT_T0_E_clISt17integral_constantIbLb0EES11_EEDaSW_SX_EUlSW_E_NS1_11comp_targetILNS1_3genE4ELNS1_11target_archE910ELNS1_3gpuE8ELNS1_3repE0EEENS1_30default_config_static_selectorELNS0_4arch9wavefront6targetE1EEEvT1_
		.amdhsa_group_segment_fixed_size 30720
		.amdhsa_private_segment_fixed_size 0
		.amdhsa_kernarg_size 136
		.amdhsa_user_sgpr_count 6
		.amdhsa_user_sgpr_private_segment_buffer 1
		.amdhsa_user_sgpr_dispatch_ptr 0
		.amdhsa_user_sgpr_queue_ptr 0
		.amdhsa_user_sgpr_kernarg_segment_ptr 1
		.amdhsa_user_sgpr_dispatch_id 0
		.amdhsa_user_sgpr_flat_scratch_init 0
		.amdhsa_user_sgpr_kernarg_preload_length 0
		.amdhsa_user_sgpr_kernarg_preload_offset 0
		.amdhsa_user_sgpr_private_segment_size 0
		.amdhsa_uses_dynamic_stack 0
		.amdhsa_system_sgpr_private_segment_wavefront_offset 0
		.amdhsa_system_sgpr_workgroup_id_x 1
		.amdhsa_system_sgpr_workgroup_id_y 0
		.amdhsa_system_sgpr_workgroup_id_z 0
		.amdhsa_system_sgpr_workgroup_info 0
		.amdhsa_system_vgpr_workitem_id 0
		.amdhsa_next_free_vgpr 120
		.amdhsa_next_free_sgpr 65
		.amdhsa_accum_offset 120
		.amdhsa_reserve_vcc 1
		.amdhsa_reserve_flat_scratch 0
		.amdhsa_float_round_mode_32 0
		.amdhsa_float_round_mode_16_64 0
		.amdhsa_float_denorm_mode_32 3
		.amdhsa_float_denorm_mode_16_64 3
		.amdhsa_dx10_clamp 1
		.amdhsa_ieee_mode 1
		.amdhsa_fp16_overflow 0
		.amdhsa_tg_split 0
		.amdhsa_exception_fp_ieee_invalid_op 0
		.amdhsa_exception_fp_denorm_src 0
		.amdhsa_exception_fp_ieee_div_zero 0
		.amdhsa_exception_fp_ieee_overflow 0
		.amdhsa_exception_fp_ieee_underflow 0
		.amdhsa_exception_fp_ieee_inexact 0
		.amdhsa_exception_int_div_zero 0
	.end_amdhsa_kernel
	.section	.text._ZN7rocprim17ROCPRIM_400000_NS6detail17trampoline_kernelINS0_14default_configENS1_29reduce_by_key_config_selectorIddN6thrust23THRUST_200600_302600_NS4plusIdEEEEZZNS1_33reduce_by_key_impl_wrapped_configILNS1_25lookback_scan_determinismE0ES3_S9_NS6_6detail15normal_iteratorINS6_10device_ptrIdEEEESG_SG_SG_PmS8_22is_equal_div_10_reduceIdEEE10hipError_tPvRmT2_T3_mT4_T5_T6_T7_T8_P12ihipStream_tbENKUlT_T0_E_clISt17integral_constantIbLb0EES11_EEDaSW_SX_EUlSW_E_NS1_11comp_targetILNS1_3genE4ELNS1_11target_archE910ELNS1_3gpuE8ELNS1_3repE0EEENS1_30default_config_static_selectorELNS0_4arch9wavefront6targetE1EEEvT1_,"axG",@progbits,_ZN7rocprim17ROCPRIM_400000_NS6detail17trampoline_kernelINS0_14default_configENS1_29reduce_by_key_config_selectorIddN6thrust23THRUST_200600_302600_NS4plusIdEEEEZZNS1_33reduce_by_key_impl_wrapped_configILNS1_25lookback_scan_determinismE0ES3_S9_NS6_6detail15normal_iteratorINS6_10device_ptrIdEEEESG_SG_SG_PmS8_22is_equal_div_10_reduceIdEEE10hipError_tPvRmT2_T3_mT4_T5_T6_T7_T8_P12ihipStream_tbENKUlT_T0_E_clISt17integral_constantIbLb0EES11_EEDaSW_SX_EUlSW_E_NS1_11comp_targetILNS1_3genE4ELNS1_11target_archE910ELNS1_3gpuE8ELNS1_3repE0EEENS1_30default_config_static_selectorELNS0_4arch9wavefront6targetE1EEEvT1_,comdat
.Lfunc_end53:
	.size	_ZN7rocprim17ROCPRIM_400000_NS6detail17trampoline_kernelINS0_14default_configENS1_29reduce_by_key_config_selectorIddN6thrust23THRUST_200600_302600_NS4plusIdEEEEZZNS1_33reduce_by_key_impl_wrapped_configILNS1_25lookback_scan_determinismE0ES3_S9_NS6_6detail15normal_iteratorINS6_10device_ptrIdEEEESG_SG_SG_PmS8_22is_equal_div_10_reduceIdEEE10hipError_tPvRmT2_T3_mT4_T5_T6_T7_T8_P12ihipStream_tbENKUlT_T0_E_clISt17integral_constantIbLb0EES11_EEDaSW_SX_EUlSW_E_NS1_11comp_targetILNS1_3genE4ELNS1_11target_archE910ELNS1_3gpuE8ELNS1_3repE0EEENS1_30default_config_static_selectorELNS0_4arch9wavefront6targetE1EEEvT1_, .Lfunc_end53-_ZN7rocprim17ROCPRIM_400000_NS6detail17trampoline_kernelINS0_14default_configENS1_29reduce_by_key_config_selectorIddN6thrust23THRUST_200600_302600_NS4plusIdEEEEZZNS1_33reduce_by_key_impl_wrapped_configILNS1_25lookback_scan_determinismE0ES3_S9_NS6_6detail15normal_iteratorINS6_10device_ptrIdEEEESG_SG_SG_PmS8_22is_equal_div_10_reduceIdEEE10hipError_tPvRmT2_T3_mT4_T5_T6_T7_T8_P12ihipStream_tbENKUlT_T0_E_clISt17integral_constantIbLb0EES11_EEDaSW_SX_EUlSW_E_NS1_11comp_targetILNS1_3genE4ELNS1_11target_archE910ELNS1_3gpuE8ELNS1_3repE0EEENS1_30default_config_static_selectorELNS0_4arch9wavefront6targetE1EEEvT1_
                                        ; -- End function
	.section	.AMDGPU.csdata,"",@progbits
; Kernel info:
; codeLenInByte = 18984
; NumSgprs: 69
; NumVgprs: 120
; NumAgprs: 0
; TotalNumVgprs: 120
; ScratchSize: 0
; MemoryBound: 0
; FloatMode: 240
; IeeeMode: 1
; LDSByteSize: 30720 bytes/workgroup (compile time only)
; SGPRBlocks: 8
; VGPRBlocks: 14
; NumSGPRsForWavesPerEU: 69
; NumVGPRsForWavesPerEU: 120
; AccumOffset: 120
; Occupancy: 2
; WaveLimiterHint : 1
; COMPUTE_PGM_RSRC2:SCRATCH_EN: 0
; COMPUTE_PGM_RSRC2:USER_SGPR: 6
; COMPUTE_PGM_RSRC2:TRAP_HANDLER: 0
; COMPUTE_PGM_RSRC2:TGID_X_EN: 1
; COMPUTE_PGM_RSRC2:TGID_Y_EN: 0
; COMPUTE_PGM_RSRC2:TGID_Z_EN: 0
; COMPUTE_PGM_RSRC2:TIDIG_COMP_CNT: 0
; COMPUTE_PGM_RSRC3_GFX90A:ACCUM_OFFSET: 29
; COMPUTE_PGM_RSRC3_GFX90A:TG_SPLIT: 0
	.section	.text._ZN7rocprim17ROCPRIM_400000_NS6detail17trampoline_kernelINS0_14default_configENS1_29reduce_by_key_config_selectorIddN6thrust23THRUST_200600_302600_NS4plusIdEEEEZZNS1_33reduce_by_key_impl_wrapped_configILNS1_25lookback_scan_determinismE0ES3_S9_NS6_6detail15normal_iteratorINS6_10device_ptrIdEEEESG_SG_SG_PmS8_22is_equal_div_10_reduceIdEEE10hipError_tPvRmT2_T3_mT4_T5_T6_T7_T8_P12ihipStream_tbENKUlT_T0_E_clISt17integral_constantIbLb0EES11_EEDaSW_SX_EUlSW_E_NS1_11comp_targetILNS1_3genE3ELNS1_11target_archE908ELNS1_3gpuE7ELNS1_3repE0EEENS1_30default_config_static_selectorELNS0_4arch9wavefront6targetE1EEEvT1_,"axG",@progbits,_ZN7rocprim17ROCPRIM_400000_NS6detail17trampoline_kernelINS0_14default_configENS1_29reduce_by_key_config_selectorIddN6thrust23THRUST_200600_302600_NS4plusIdEEEEZZNS1_33reduce_by_key_impl_wrapped_configILNS1_25lookback_scan_determinismE0ES3_S9_NS6_6detail15normal_iteratorINS6_10device_ptrIdEEEESG_SG_SG_PmS8_22is_equal_div_10_reduceIdEEE10hipError_tPvRmT2_T3_mT4_T5_T6_T7_T8_P12ihipStream_tbENKUlT_T0_E_clISt17integral_constantIbLb0EES11_EEDaSW_SX_EUlSW_E_NS1_11comp_targetILNS1_3genE3ELNS1_11target_archE908ELNS1_3gpuE7ELNS1_3repE0EEENS1_30default_config_static_selectorELNS0_4arch9wavefront6targetE1EEEvT1_,comdat
	.protected	_ZN7rocprim17ROCPRIM_400000_NS6detail17trampoline_kernelINS0_14default_configENS1_29reduce_by_key_config_selectorIddN6thrust23THRUST_200600_302600_NS4plusIdEEEEZZNS1_33reduce_by_key_impl_wrapped_configILNS1_25lookback_scan_determinismE0ES3_S9_NS6_6detail15normal_iteratorINS6_10device_ptrIdEEEESG_SG_SG_PmS8_22is_equal_div_10_reduceIdEEE10hipError_tPvRmT2_T3_mT4_T5_T6_T7_T8_P12ihipStream_tbENKUlT_T0_E_clISt17integral_constantIbLb0EES11_EEDaSW_SX_EUlSW_E_NS1_11comp_targetILNS1_3genE3ELNS1_11target_archE908ELNS1_3gpuE7ELNS1_3repE0EEENS1_30default_config_static_selectorELNS0_4arch9wavefront6targetE1EEEvT1_ ; -- Begin function _ZN7rocprim17ROCPRIM_400000_NS6detail17trampoline_kernelINS0_14default_configENS1_29reduce_by_key_config_selectorIddN6thrust23THRUST_200600_302600_NS4plusIdEEEEZZNS1_33reduce_by_key_impl_wrapped_configILNS1_25lookback_scan_determinismE0ES3_S9_NS6_6detail15normal_iteratorINS6_10device_ptrIdEEEESG_SG_SG_PmS8_22is_equal_div_10_reduceIdEEE10hipError_tPvRmT2_T3_mT4_T5_T6_T7_T8_P12ihipStream_tbENKUlT_T0_E_clISt17integral_constantIbLb0EES11_EEDaSW_SX_EUlSW_E_NS1_11comp_targetILNS1_3genE3ELNS1_11target_archE908ELNS1_3gpuE7ELNS1_3repE0EEENS1_30default_config_static_selectorELNS0_4arch9wavefront6targetE1EEEvT1_
	.globl	_ZN7rocprim17ROCPRIM_400000_NS6detail17trampoline_kernelINS0_14default_configENS1_29reduce_by_key_config_selectorIddN6thrust23THRUST_200600_302600_NS4plusIdEEEEZZNS1_33reduce_by_key_impl_wrapped_configILNS1_25lookback_scan_determinismE0ES3_S9_NS6_6detail15normal_iteratorINS6_10device_ptrIdEEEESG_SG_SG_PmS8_22is_equal_div_10_reduceIdEEE10hipError_tPvRmT2_T3_mT4_T5_T6_T7_T8_P12ihipStream_tbENKUlT_T0_E_clISt17integral_constantIbLb0EES11_EEDaSW_SX_EUlSW_E_NS1_11comp_targetILNS1_3genE3ELNS1_11target_archE908ELNS1_3gpuE7ELNS1_3repE0EEENS1_30default_config_static_selectorELNS0_4arch9wavefront6targetE1EEEvT1_
	.p2align	8
	.type	_ZN7rocprim17ROCPRIM_400000_NS6detail17trampoline_kernelINS0_14default_configENS1_29reduce_by_key_config_selectorIddN6thrust23THRUST_200600_302600_NS4plusIdEEEEZZNS1_33reduce_by_key_impl_wrapped_configILNS1_25lookback_scan_determinismE0ES3_S9_NS6_6detail15normal_iteratorINS6_10device_ptrIdEEEESG_SG_SG_PmS8_22is_equal_div_10_reduceIdEEE10hipError_tPvRmT2_T3_mT4_T5_T6_T7_T8_P12ihipStream_tbENKUlT_T0_E_clISt17integral_constantIbLb0EES11_EEDaSW_SX_EUlSW_E_NS1_11comp_targetILNS1_3genE3ELNS1_11target_archE908ELNS1_3gpuE7ELNS1_3repE0EEENS1_30default_config_static_selectorELNS0_4arch9wavefront6targetE1EEEvT1_,@function
_ZN7rocprim17ROCPRIM_400000_NS6detail17trampoline_kernelINS0_14default_configENS1_29reduce_by_key_config_selectorIddN6thrust23THRUST_200600_302600_NS4plusIdEEEEZZNS1_33reduce_by_key_impl_wrapped_configILNS1_25lookback_scan_determinismE0ES3_S9_NS6_6detail15normal_iteratorINS6_10device_ptrIdEEEESG_SG_SG_PmS8_22is_equal_div_10_reduceIdEEE10hipError_tPvRmT2_T3_mT4_T5_T6_T7_T8_P12ihipStream_tbENKUlT_T0_E_clISt17integral_constantIbLb0EES11_EEDaSW_SX_EUlSW_E_NS1_11comp_targetILNS1_3genE3ELNS1_11target_archE908ELNS1_3gpuE7ELNS1_3repE0EEENS1_30default_config_static_selectorELNS0_4arch9wavefront6targetE1EEEvT1_: ; @_ZN7rocprim17ROCPRIM_400000_NS6detail17trampoline_kernelINS0_14default_configENS1_29reduce_by_key_config_selectorIddN6thrust23THRUST_200600_302600_NS4plusIdEEEEZZNS1_33reduce_by_key_impl_wrapped_configILNS1_25lookback_scan_determinismE0ES3_S9_NS6_6detail15normal_iteratorINS6_10device_ptrIdEEEESG_SG_SG_PmS8_22is_equal_div_10_reduceIdEEE10hipError_tPvRmT2_T3_mT4_T5_T6_T7_T8_P12ihipStream_tbENKUlT_T0_E_clISt17integral_constantIbLb0EES11_EEDaSW_SX_EUlSW_E_NS1_11comp_targetILNS1_3genE3ELNS1_11target_archE908ELNS1_3gpuE7ELNS1_3repE0EEENS1_30default_config_static_selectorELNS0_4arch9wavefront6targetE1EEEvT1_
; %bb.0:
	.section	.rodata,"a",@progbits
	.p2align	6, 0x0
	.amdhsa_kernel _ZN7rocprim17ROCPRIM_400000_NS6detail17trampoline_kernelINS0_14default_configENS1_29reduce_by_key_config_selectorIddN6thrust23THRUST_200600_302600_NS4plusIdEEEEZZNS1_33reduce_by_key_impl_wrapped_configILNS1_25lookback_scan_determinismE0ES3_S9_NS6_6detail15normal_iteratorINS6_10device_ptrIdEEEESG_SG_SG_PmS8_22is_equal_div_10_reduceIdEEE10hipError_tPvRmT2_T3_mT4_T5_T6_T7_T8_P12ihipStream_tbENKUlT_T0_E_clISt17integral_constantIbLb0EES11_EEDaSW_SX_EUlSW_E_NS1_11comp_targetILNS1_3genE3ELNS1_11target_archE908ELNS1_3gpuE7ELNS1_3repE0EEENS1_30default_config_static_selectorELNS0_4arch9wavefront6targetE1EEEvT1_
		.amdhsa_group_segment_fixed_size 0
		.amdhsa_private_segment_fixed_size 0
		.amdhsa_kernarg_size 136
		.amdhsa_user_sgpr_count 6
		.amdhsa_user_sgpr_private_segment_buffer 1
		.amdhsa_user_sgpr_dispatch_ptr 0
		.amdhsa_user_sgpr_queue_ptr 0
		.amdhsa_user_sgpr_kernarg_segment_ptr 1
		.amdhsa_user_sgpr_dispatch_id 0
		.amdhsa_user_sgpr_flat_scratch_init 0
		.amdhsa_user_sgpr_kernarg_preload_length 0
		.amdhsa_user_sgpr_kernarg_preload_offset 0
		.amdhsa_user_sgpr_private_segment_size 0
		.amdhsa_uses_dynamic_stack 0
		.amdhsa_system_sgpr_private_segment_wavefront_offset 0
		.amdhsa_system_sgpr_workgroup_id_x 1
		.amdhsa_system_sgpr_workgroup_id_y 0
		.amdhsa_system_sgpr_workgroup_id_z 0
		.amdhsa_system_sgpr_workgroup_info 0
		.amdhsa_system_vgpr_workitem_id 0
		.amdhsa_next_free_vgpr 1
		.amdhsa_next_free_sgpr 0
		.amdhsa_accum_offset 4
		.amdhsa_reserve_vcc 0
		.amdhsa_reserve_flat_scratch 0
		.amdhsa_float_round_mode_32 0
		.amdhsa_float_round_mode_16_64 0
		.amdhsa_float_denorm_mode_32 3
		.amdhsa_float_denorm_mode_16_64 3
		.amdhsa_dx10_clamp 1
		.amdhsa_ieee_mode 1
		.amdhsa_fp16_overflow 0
		.amdhsa_tg_split 0
		.amdhsa_exception_fp_ieee_invalid_op 0
		.amdhsa_exception_fp_denorm_src 0
		.amdhsa_exception_fp_ieee_div_zero 0
		.amdhsa_exception_fp_ieee_overflow 0
		.amdhsa_exception_fp_ieee_underflow 0
		.amdhsa_exception_fp_ieee_inexact 0
		.amdhsa_exception_int_div_zero 0
	.end_amdhsa_kernel
	.section	.text._ZN7rocprim17ROCPRIM_400000_NS6detail17trampoline_kernelINS0_14default_configENS1_29reduce_by_key_config_selectorIddN6thrust23THRUST_200600_302600_NS4plusIdEEEEZZNS1_33reduce_by_key_impl_wrapped_configILNS1_25lookback_scan_determinismE0ES3_S9_NS6_6detail15normal_iteratorINS6_10device_ptrIdEEEESG_SG_SG_PmS8_22is_equal_div_10_reduceIdEEE10hipError_tPvRmT2_T3_mT4_T5_T6_T7_T8_P12ihipStream_tbENKUlT_T0_E_clISt17integral_constantIbLb0EES11_EEDaSW_SX_EUlSW_E_NS1_11comp_targetILNS1_3genE3ELNS1_11target_archE908ELNS1_3gpuE7ELNS1_3repE0EEENS1_30default_config_static_selectorELNS0_4arch9wavefront6targetE1EEEvT1_,"axG",@progbits,_ZN7rocprim17ROCPRIM_400000_NS6detail17trampoline_kernelINS0_14default_configENS1_29reduce_by_key_config_selectorIddN6thrust23THRUST_200600_302600_NS4plusIdEEEEZZNS1_33reduce_by_key_impl_wrapped_configILNS1_25lookback_scan_determinismE0ES3_S9_NS6_6detail15normal_iteratorINS6_10device_ptrIdEEEESG_SG_SG_PmS8_22is_equal_div_10_reduceIdEEE10hipError_tPvRmT2_T3_mT4_T5_T6_T7_T8_P12ihipStream_tbENKUlT_T0_E_clISt17integral_constantIbLb0EES11_EEDaSW_SX_EUlSW_E_NS1_11comp_targetILNS1_3genE3ELNS1_11target_archE908ELNS1_3gpuE7ELNS1_3repE0EEENS1_30default_config_static_selectorELNS0_4arch9wavefront6targetE1EEEvT1_,comdat
.Lfunc_end54:
	.size	_ZN7rocprim17ROCPRIM_400000_NS6detail17trampoline_kernelINS0_14default_configENS1_29reduce_by_key_config_selectorIddN6thrust23THRUST_200600_302600_NS4plusIdEEEEZZNS1_33reduce_by_key_impl_wrapped_configILNS1_25lookback_scan_determinismE0ES3_S9_NS6_6detail15normal_iteratorINS6_10device_ptrIdEEEESG_SG_SG_PmS8_22is_equal_div_10_reduceIdEEE10hipError_tPvRmT2_T3_mT4_T5_T6_T7_T8_P12ihipStream_tbENKUlT_T0_E_clISt17integral_constantIbLb0EES11_EEDaSW_SX_EUlSW_E_NS1_11comp_targetILNS1_3genE3ELNS1_11target_archE908ELNS1_3gpuE7ELNS1_3repE0EEENS1_30default_config_static_selectorELNS0_4arch9wavefront6targetE1EEEvT1_, .Lfunc_end54-_ZN7rocprim17ROCPRIM_400000_NS6detail17trampoline_kernelINS0_14default_configENS1_29reduce_by_key_config_selectorIddN6thrust23THRUST_200600_302600_NS4plusIdEEEEZZNS1_33reduce_by_key_impl_wrapped_configILNS1_25lookback_scan_determinismE0ES3_S9_NS6_6detail15normal_iteratorINS6_10device_ptrIdEEEESG_SG_SG_PmS8_22is_equal_div_10_reduceIdEEE10hipError_tPvRmT2_T3_mT4_T5_T6_T7_T8_P12ihipStream_tbENKUlT_T0_E_clISt17integral_constantIbLb0EES11_EEDaSW_SX_EUlSW_E_NS1_11comp_targetILNS1_3genE3ELNS1_11target_archE908ELNS1_3gpuE7ELNS1_3repE0EEENS1_30default_config_static_selectorELNS0_4arch9wavefront6targetE1EEEvT1_
                                        ; -- End function
	.section	.AMDGPU.csdata,"",@progbits
; Kernel info:
; codeLenInByte = 0
; NumSgprs: 4
; NumVgprs: 0
; NumAgprs: 0
; TotalNumVgprs: 0
; ScratchSize: 0
; MemoryBound: 0
; FloatMode: 240
; IeeeMode: 1
; LDSByteSize: 0 bytes/workgroup (compile time only)
; SGPRBlocks: 0
; VGPRBlocks: 0
; NumSGPRsForWavesPerEU: 4
; NumVGPRsForWavesPerEU: 1
; AccumOffset: 4
; Occupancy: 8
; WaveLimiterHint : 0
; COMPUTE_PGM_RSRC2:SCRATCH_EN: 0
; COMPUTE_PGM_RSRC2:USER_SGPR: 6
; COMPUTE_PGM_RSRC2:TRAP_HANDLER: 0
; COMPUTE_PGM_RSRC2:TGID_X_EN: 1
; COMPUTE_PGM_RSRC2:TGID_Y_EN: 0
; COMPUTE_PGM_RSRC2:TGID_Z_EN: 0
; COMPUTE_PGM_RSRC2:TIDIG_COMP_CNT: 0
; COMPUTE_PGM_RSRC3_GFX90A:ACCUM_OFFSET: 0
; COMPUTE_PGM_RSRC3_GFX90A:TG_SPLIT: 0
	.section	.text._ZN7rocprim17ROCPRIM_400000_NS6detail17trampoline_kernelINS0_14default_configENS1_29reduce_by_key_config_selectorIddN6thrust23THRUST_200600_302600_NS4plusIdEEEEZZNS1_33reduce_by_key_impl_wrapped_configILNS1_25lookback_scan_determinismE0ES3_S9_NS6_6detail15normal_iteratorINS6_10device_ptrIdEEEESG_SG_SG_PmS8_22is_equal_div_10_reduceIdEEE10hipError_tPvRmT2_T3_mT4_T5_T6_T7_T8_P12ihipStream_tbENKUlT_T0_E_clISt17integral_constantIbLb0EES11_EEDaSW_SX_EUlSW_E_NS1_11comp_targetILNS1_3genE2ELNS1_11target_archE906ELNS1_3gpuE6ELNS1_3repE0EEENS1_30default_config_static_selectorELNS0_4arch9wavefront6targetE1EEEvT1_,"axG",@progbits,_ZN7rocprim17ROCPRIM_400000_NS6detail17trampoline_kernelINS0_14default_configENS1_29reduce_by_key_config_selectorIddN6thrust23THRUST_200600_302600_NS4plusIdEEEEZZNS1_33reduce_by_key_impl_wrapped_configILNS1_25lookback_scan_determinismE0ES3_S9_NS6_6detail15normal_iteratorINS6_10device_ptrIdEEEESG_SG_SG_PmS8_22is_equal_div_10_reduceIdEEE10hipError_tPvRmT2_T3_mT4_T5_T6_T7_T8_P12ihipStream_tbENKUlT_T0_E_clISt17integral_constantIbLb0EES11_EEDaSW_SX_EUlSW_E_NS1_11comp_targetILNS1_3genE2ELNS1_11target_archE906ELNS1_3gpuE6ELNS1_3repE0EEENS1_30default_config_static_selectorELNS0_4arch9wavefront6targetE1EEEvT1_,comdat
	.protected	_ZN7rocprim17ROCPRIM_400000_NS6detail17trampoline_kernelINS0_14default_configENS1_29reduce_by_key_config_selectorIddN6thrust23THRUST_200600_302600_NS4plusIdEEEEZZNS1_33reduce_by_key_impl_wrapped_configILNS1_25lookback_scan_determinismE0ES3_S9_NS6_6detail15normal_iteratorINS6_10device_ptrIdEEEESG_SG_SG_PmS8_22is_equal_div_10_reduceIdEEE10hipError_tPvRmT2_T3_mT4_T5_T6_T7_T8_P12ihipStream_tbENKUlT_T0_E_clISt17integral_constantIbLb0EES11_EEDaSW_SX_EUlSW_E_NS1_11comp_targetILNS1_3genE2ELNS1_11target_archE906ELNS1_3gpuE6ELNS1_3repE0EEENS1_30default_config_static_selectorELNS0_4arch9wavefront6targetE1EEEvT1_ ; -- Begin function _ZN7rocprim17ROCPRIM_400000_NS6detail17trampoline_kernelINS0_14default_configENS1_29reduce_by_key_config_selectorIddN6thrust23THRUST_200600_302600_NS4plusIdEEEEZZNS1_33reduce_by_key_impl_wrapped_configILNS1_25lookback_scan_determinismE0ES3_S9_NS6_6detail15normal_iteratorINS6_10device_ptrIdEEEESG_SG_SG_PmS8_22is_equal_div_10_reduceIdEEE10hipError_tPvRmT2_T3_mT4_T5_T6_T7_T8_P12ihipStream_tbENKUlT_T0_E_clISt17integral_constantIbLb0EES11_EEDaSW_SX_EUlSW_E_NS1_11comp_targetILNS1_3genE2ELNS1_11target_archE906ELNS1_3gpuE6ELNS1_3repE0EEENS1_30default_config_static_selectorELNS0_4arch9wavefront6targetE1EEEvT1_
	.globl	_ZN7rocprim17ROCPRIM_400000_NS6detail17trampoline_kernelINS0_14default_configENS1_29reduce_by_key_config_selectorIddN6thrust23THRUST_200600_302600_NS4plusIdEEEEZZNS1_33reduce_by_key_impl_wrapped_configILNS1_25lookback_scan_determinismE0ES3_S9_NS6_6detail15normal_iteratorINS6_10device_ptrIdEEEESG_SG_SG_PmS8_22is_equal_div_10_reduceIdEEE10hipError_tPvRmT2_T3_mT4_T5_T6_T7_T8_P12ihipStream_tbENKUlT_T0_E_clISt17integral_constantIbLb0EES11_EEDaSW_SX_EUlSW_E_NS1_11comp_targetILNS1_3genE2ELNS1_11target_archE906ELNS1_3gpuE6ELNS1_3repE0EEENS1_30default_config_static_selectorELNS0_4arch9wavefront6targetE1EEEvT1_
	.p2align	8
	.type	_ZN7rocprim17ROCPRIM_400000_NS6detail17trampoline_kernelINS0_14default_configENS1_29reduce_by_key_config_selectorIddN6thrust23THRUST_200600_302600_NS4plusIdEEEEZZNS1_33reduce_by_key_impl_wrapped_configILNS1_25lookback_scan_determinismE0ES3_S9_NS6_6detail15normal_iteratorINS6_10device_ptrIdEEEESG_SG_SG_PmS8_22is_equal_div_10_reduceIdEEE10hipError_tPvRmT2_T3_mT4_T5_T6_T7_T8_P12ihipStream_tbENKUlT_T0_E_clISt17integral_constantIbLb0EES11_EEDaSW_SX_EUlSW_E_NS1_11comp_targetILNS1_3genE2ELNS1_11target_archE906ELNS1_3gpuE6ELNS1_3repE0EEENS1_30default_config_static_selectorELNS0_4arch9wavefront6targetE1EEEvT1_,@function
_ZN7rocprim17ROCPRIM_400000_NS6detail17trampoline_kernelINS0_14default_configENS1_29reduce_by_key_config_selectorIddN6thrust23THRUST_200600_302600_NS4plusIdEEEEZZNS1_33reduce_by_key_impl_wrapped_configILNS1_25lookback_scan_determinismE0ES3_S9_NS6_6detail15normal_iteratorINS6_10device_ptrIdEEEESG_SG_SG_PmS8_22is_equal_div_10_reduceIdEEE10hipError_tPvRmT2_T3_mT4_T5_T6_T7_T8_P12ihipStream_tbENKUlT_T0_E_clISt17integral_constantIbLb0EES11_EEDaSW_SX_EUlSW_E_NS1_11comp_targetILNS1_3genE2ELNS1_11target_archE906ELNS1_3gpuE6ELNS1_3repE0EEENS1_30default_config_static_selectorELNS0_4arch9wavefront6targetE1EEEvT1_: ; @_ZN7rocprim17ROCPRIM_400000_NS6detail17trampoline_kernelINS0_14default_configENS1_29reduce_by_key_config_selectorIddN6thrust23THRUST_200600_302600_NS4plusIdEEEEZZNS1_33reduce_by_key_impl_wrapped_configILNS1_25lookback_scan_determinismE0ES3_S9_NS6_6detail15normal_iteratorINS6_10device_ptrIdEEEESG_SG_SG_PmS8_22is_equal_div_10_reduceIdEEE10hipError_tPvRmT2_T3_mT4_T5_T6_T7_T8_P12ihipStream_tbENKUlT_T0_E_clISt17integral_constantIbLb0EES11_EEDaSW_SX_EUlSW_E_NS1_11comp_targetILNS1_3genE2ELNS1_11target_archE906ELNS1_3gpuE6ELNS1_3repE0EEENS1_30default_config_static_selectorELNS0_4arch9wavefront6targetE1EEEvT1_
; %bb.0:
	.section	.rodata,"a",@progbits
	.p2align	6, 0x0
	.amdhsa_kernel _ZN7rocprim17ROCPRIM_400000_NS6detail17trampoline_kernelINS0_14default_configENS1_29reduce_by_key_config_selectorIddN6thrust23THRUST_200600_302600_NS4plusIdEEEEZZNS1_33reduce_by_key_impl_wrapped_configILNS1_25lookback_scan_determinismE0ES3_S9_NS6_6detail15normal_iteratorINS6_10device_ptrIdEEEESG_SG_SG_PmS8_22is_equal_div_10_reduceIdEEE10hipError_tPvRmT2_T3_mT4_T5_T6_T7_T8_P12ihipStream_tbENKUlT_T0_E_clISt17integral_constantIbLb0EES11_EEDaSW_SX_EUlSW_E_NS1_11comp_targetILNS1_3genE2ELNS1_11target_archE906ELNS1_3gpuE6ELNS1_3repE0EEENS1_30default_config_static_selectorELNS0_4arch9wavefront6targetE1EEEvT1_
		.amdhsa_group_segment_fixed_size 0
		.amdhsa_private_segment_fixed_size 0
		.amdhsa_kernarg_size 136
		.amdhsa_user_sgpr_count 6
		.amdhsa_user_sgpr_private_segment_buffer 1
		.amdhsa_user_sgpr_dispatch_ptr 0
		.amdhsa_user_sgpr_queue_ptr 0
		.amdhsa_user_sgpr_kernarg_segment_ptr 1
		.amdhsa_user_sgpr_dispatch_id 0
		.amdhsa_user_sgpr_flat_scratch_init 0
		.amdhsa_user_sgpr_kernarg_preload_length 0
		.amdhsa_user_sgpr_kernarg_preload_offset 0
		.amdhsa_user_sgpr_private_segment_size 0
		.amdhsa_uses_dynamic_stack 0
		.amdhsa_system_sgpr_private_segment_wavefront_offset 0
		.amdhsa_system_sgpr_workgroup_id_x 1
		.amdhsa_system_sgpr_workgroup_id_y 0
		.amdhsa_system_sgpr_workgroup_id_z 0
		.amdhsa_system_sgpr_workgroup_info 0
		.amdhsa_system_vgpr_workitem_id 0
		.amdhsa_next_free_vgpr 1
		.amdhsa_next_free_sgpr 0
		.amdhsa_accum_offset 4
		.amdhsa_reserve_vcc 0
		.amdhsa_reserve_flat_scratch 0
		.amdhsa_float_round_mode_32 0
		.amdhsa_float_round_mode_16_64 0
		.amdhsa_float_denorm_mode_32 3
		.amdhsa_float_denorm_mode_16_64 3
		.amdhsa_dx10_clamp 1
		.amdhsa_ieee_mode 1
		.amdhsa_fp16_overflow 0
		.amdhsa_tg_split 0
		.amdhsa_exception_fp_ieee_invalid_op 0
		.amdhsa_exception_fp_denorm_src 0
		.amdhsa_exception_fp_ieee_div_zero 0
		.amdhsa_exception_fp_ieee_overflow 0
		.amdhsa_exception_fp_ieee_underflow 0
		.amdhsa_exception_fp_ieee_inexact 0
		.amdhsa_exception_int_div_zero 0
	.end_amdhsa_kernel
	.section	.text._ZN7rocprim17ROCPRIM_400000_NS6detail17trampoline_kernelINS0_14default_configENS1_29reduce_by_key_config_selectorIddN6thrust23THRUST_200600_302600_NS4plusIdEEEEZZNS1_33reduce_by_key_impl_wrapped_configILNS1_25lookback_scan_determinismE0ES3_S9_NS6_6detail15normal_iteratorINS6_10device_ptrIdEEEESG_SG_SG_PmS8_22is_equal_div_10_reduceIdEEE10hipError_tPvRmT2_T3_mT4_T5_T6_T7_T8_P12ihipStream_tbENKUlT_T0_E_clISt17integral_constantIbLb0EES11_EEDaSW_SX_EUlSW_E_NS1_11comp_targetILNS1_3genE2ELNS1_11target_archE906ELNS1_3gpuE6ELNS1_3repE0EEENS1_30default_config_static_selectorELNS0_4arch9wavefront6targetE1EEEvT1_,"axG",@progbits,_ZN7rocprim17ROCPRIM_400000_NS6detail17trampoline_kernelINS0_14default_configENS1_29reduce_by_key_config_selectorIddN6thrust23THRUST_200600_302600_NS4plusIdEEEEZZNS1_33reduce_by_key_impl_wrapped_configILNS1_25lookback_scan_determinismE0ES3_S9_NS6_6detail15normal_iteratorINS6_10device_ptrIdEEEESG_SG_SG_PmS8_22is_equal_div_10_reduceIdEEE10hipError_tPvRmT2_T3_mT4_T5_T6_T7_T8_P12ihipStream_tbENKUlT_T0_E_clISt17integral_constantIbLb0EES11_EEDaSW_SX_EUlSW_E_NS1_11comp_targetILNS1_3genE2ELNS1_11target_archE906ELNS1_3gpuE6ELNS1_3repE0EEENS1_30default_config_static_selectorELNS0_4arch9wavefront6targetE1EEEvT1_,comdat
.Lfunc_end55:
	.size	_ZN7rocprim17ROCPRIM_400000_NS6detail17trampoline_kernelINS0_14default_configENS1_29reduce_by_key_config_selectorIddN6thrust23THRUST_200600_302600_NS4plusIdEEEEZZNS1_33reduce_by_key_impl_wrapped_configILNS1_25lookback_scan_determinismE0ES3_S9_NS6_6detail15normal_iteratorINS6_10device_ptrIdEEEESG_SG_SG_PmS8_22is_equal_div_10_reduceIdEEE10hipError_tPvRmT2_T3_mT4_T5_T6_T7_T8_P12ihipStream_tbENKUlT_T0_E_clISt17integral_constantIbLb0EES11_EEDaSW_SX_EUlSW_E_NS1_11comp_targetILNS1_3genE2ELNS1_11target_archE906ELNS1_3gpuE6ELNS1_3repE0EEENS1_30default_config_static_selectorELNS0_4arch9wavefront6targetE1EEEvT1_, .Lfunc_end55-_ZN7rocprim17ROCPRIM_400000_NS6detail17trampoline_kernelINS0_14default_configENS1_29reduce_by_key_config_selectorIddN6thrust23THRUST_200600_302600_NS4plusIdEEEEZZNS1_33reduce_by_key_impl_wrapped_configILNS1_25lookback_scan_determinismE0ES3_S9_NS6_6detail15normal_iteratorINS6_10device_ptrIdEEEESG_SG_SG_PmS8_22is_equal_div_10_reduceIdEEE10hipError_tPvRmT2_T3_mT4_T5_T6_T7_T8_P12ihipStream_tbENKUlT_T0_E_clISt17integral_constantIbLb0EES11_EEDaSW_SX_EUlSW_E_NS1_11comp_targetILNS1_3genE2ELNS1_11target_archE906ELNS1_3gpuE6ELNS1_3repE0EEENS1_30default_config_static_selectorELNS0_4arch9wavefront6targetE1EEEvT1_
                                        ; -- End function
	.section	.AMDGPU.csdata,"",@progbits
; Kernel info:
; codeLenInByte = 0
; NumSgprs: 4
; NumVgprs: 0
; NumAgprs: 0
; TotalNumVgprs: 0
; ScratchSize: 0
; MemoryBound: 0
; FloatMode: 240
; IeeeMode: 1
; LDSByteSize: 0 bytes/workgroup (compile time only)
; SGPRBlocks: 0
; VGPRBlocks: 0
; NumSGPRsForWavesPerEU: 4
; NumVGPRsForWavesPerEU: 1
; AccumOffset: 4
; Occupancy: 8
; WaveLimiterHint : 0
; COMPUTE_PGM_RSRC2:SCRATCH_EN: 0
; COMPUTE_PGM_RSRC2:USER_SGPR: 6
; COMPUTE_PGM_RSRC2:TRAP_HANDLER: 0
; COMPUTE_PGM_RSRC2:TGID_X_EN: 1
; COMPUTE_PGM_RSRC2:TGID_Y_EN: 0
; COMPUTE_PGM_RSRC2:TGID_Z_EN: 0
; COMPUTE_PGM_RSRC2:TIDIG_COMP_CNT: 0
; COMPUTE_PGM_RSRC3_GFX90A:ACCUM_OFFSET: 0
; COMPUTE_PGM_RSRC3_GFX90A:TG_SPLIT: 0
	.section	.text._ZN7rocprim17ROCPRIM_400000_NS6detail17trampoline_kernelINS0_14default_configENS1_29reduce_by_key_config_selectorIddN6thrust23THRUST_200600_302600_NS4plusIdEEEEZZNS1_33reduce_by_key_impl_wrapped_configILNS1_25lookback_scan_determinismE0ES3_S9_NS6_6detail15normal_iteratorINS6_10device_ptrIdEEEESG_SG_SG_PmS8_22is_equal_div_10_reduceIdEEE10hipError_tPvRmT2_T3_mT4_T5_T6_T7_T8_P12ihipStream_tbENKUlT_T0_E_clISt17integral_constantIbLb0EES11_EEDaSW_SX_EUlSW_E_NS1_11comp_targetILNS1_3genE10ELNS1_11target_archE1201ELNS1_3gpuE5ELNS1_3repE0EEENS1_30default_config_static_selectorELNS0_4arch9wavefront6targetE1EEEvT1_,"axG",@progbits,_ZN7rocprim17ROCPRIM_400000_NS6detail17trampoline_kernelINS0_14default_configENS1_29reduce_by_key_config_selectorIddN6thrust23THRUST_200600_302600_NS4plusIdEEEEZZNS1_33reduce_by_key_impl_wrapped_configILNS1_25lookback_scan_determinismE0ES3_S9_NS6_6detail15normal_iteratorINS6_10device_ptrIdEEEESG_SG_SG_PmS8_22is_equal_div_10_reduceIdEEE10hipError_tPvRmT2_T3_mT4_T5_T6_T7_T8_P12ihipStream_tbENKUlT_T0_E_clISt17integral_constantIbLb0EES11_EEDaSW_SX_EUlSW_E_NS1_11comp_targetILNS1_3genE10ELNS1_11target_archE1201ELNS1_3gpuE5ELNS1_3repE0EEENS1_30default_config_static_selectorELNS0_4arch9wavefront6targetE1EEEvT1_,comdat
	.protected	_ZN7rocprim17ROCPRIM_400000_NS6detail17trampoline_kernelINS0_14default_configENS1_29reduce_by_key_config_selectorIddN6thrust23THRUST_200600_302600_NS4plusIdEEEEZZNS1_33reduce_by_key_impl_wrapped_configILNS1_25lookback_scan_determinismE0ES3_S9_NS6_6detail15normal_iteratorINS6_10device_ptrIdEEEESG_SG_SG_PmS8_22is_equal_div_10_reduceIdEEE10hipError_tPvRmT2_T3_mT4_T5_T6_T7_T8_P12ihipStream_tbENKUlT_T0_E_clISt17integral_constantIbLb0EES11_EEDaSW_SX_EUlSW_E_NS1_11comp_targetILNS1_3genE10ELNS1_11target_archE1201ELNS1_3gpuE5ELNS1_3repE0EEENS1_30default_config_static_selectorELNS0_4arch9wavefront6targetE1EEEvT1_ ; -- Begin function _ZN7rocprim17ROCPRIM_400000_NS6detail17trampoline_kernelINS0_14default_configENS1_29reduce_by_key_config_selectorIddN6thrust23THRUST_200600_302600_NS4plusIdEEEEZZNS1_33reduce_by_key_impl_wrapped_configILNS1_25lookback_scan_determinismE0ES3_S9_NS6_6detail15normal_iteratorINS6_10device_ptrIdEEEESG_SG_SG_PmS8_22is_equal_div_10_reduceIdEEE10hipError_tPvRmT2_T3_mT4_T5_T6_T7_T8_P12ihipStream_tbENKUlT_T0_E_clISt17integral_constantIbLb0EES11_EEDaSW_SX_EUlSW_E_NS1_11comp_targetILNS1_3genE10ELNS1_11target_archE1201ELNS1_3gpuE5ELNS1_3repE0EEENS1_30default_config_static_selectorELNS0_4arch9wavefront6targetE1EEEvT1_
	.globl	_ZN7rocprim17ROCPRIM_400000_NS6detail17trampoline_kernelINS0_14default_configENS1_29reduce_by_key_config_selectorIddN6thrust23THRUST_200600_302600_NS4plusIdEEEEZZNS1_33reduce_by_key_impl_wrapped_configILNS1_25lookback_scan_determinismE0ES3_S9_NS6_6detail15normal_iteratorINS6_10device_ptrIdEEEESG_SG_SG_PmS8_22is_equal_div_10_reduceIdEEE10hipError_tPvRmT2_T3_mT4_T5_T6_T7_T8_P12ihipStream_tbENKUlT_T0_E_clISt17integral_constantIbLb0EES11_EEDaSW_SX_EUlSW_E_NS1_11comp_targetILNS1_3genE10ELNS1_11target_archE1201ELNS1_3gpuE5ELNS1_3repE0EEENS1_30default_config_static_selectorELNS0_4arch9wavefront6targetE1EEEvT1_
	.p2align	8
	.type	_ZN7rocprim17ROCPRIM_400000_NS6detail17trampoline_kernelINS0_14default_configENS1_29reduce_by_key_config_selectorIddN6thrust23THRUST_200600_302600_NS4plusIdEEEEZZNS1_33reduce_by_key_impl_wrapped_configILNS1_25lookback_scan_determinismE0ES3_S9_NS6_6detail15normal_iteratorINS6_10device_ptrIdEEEESG_SG_SG_PmS8_22is_equal_div_10_reduceIdEEE10hipError_tPvRmT2_T3_mT4_T5_T6_T7_T8_P12ihipStream_tbENKUlT_T0_E_clISt17integral_constantIbLb0EES11_EEDaSW_SX_EUlSW_E_NS1_11comp_targetILNS1_3genE10ELNS1_11target_archE1201ELNS1_3gpuE5ELNS1_3repE0EEENS1_30default_config_static_selectorELNS0_4arch9wavefront6targetE1EEEvT1_,@function
_ZN7rocprim17ROCPRIM_400000_NS6detail17trampoline_kernelINS0_14default_configENS1_29reduce_by_key_config_selectorIddN6thrust23THRUST_200600_302600_NS4plusIdEEEEZZNS1_33reduce_by_key_impl_wrapped_configILNS1_25lookback_scan_determinismE0ES3_S9_NS6_6detail15normal_iteratorINS6_10device_ptrIdEEEESG_SG_SG_PmS8_22is_equal_div_10_reduceIdEEE10hipError_tPvRmT2_T3_mT4_T5_T6_T7_T8_P12ihipStream_tbENKUlT_T0_E_clISt17integral_constantIbLb0EES11_EEDaSW_SX_EUlSW_E_NS1_11comp_targetILNS1_3genE10ELNS1_11target_archE1201ELNS1_3gpuE5ELNS1_3repE0EEENS1_30default_config_static_selectorELNS0_4arch9wavefront6targetE1EEEvT1_: ; @_ZN7rocprim17ROCPRIM_400000_NS6detail17trampoline_kernelINS0_14default_configENS1_29reduce_by_key_config_selectorIddN6thrust23THRUST_200600_302600_NS4plusIdEEEEZZNS1_33reduce_by_key_impl_wrapped_configILNS1_25lookback_scan_determinismE0ES3_S9_NS6_6detail15normal_iteratorINS6_10device_ptrIdEEEESG_SG_SG_PmS8_22is_equal_div_10_reduceIdEEE10hipError_tPvRmT2_T3_mT4_T5_T6_T7_T8_P12ihipStream_tbENKUlT_T0_E_clISt17integral_constantIbLb0EES11_EEDaSW_SX_EUlSW_E_NS1_11comp_targetILNS1_3genE10ELNS1_11target_archE1201ELNS1_3gpuE5ELNS1_3repE0EEENS1_30default_config_static_selectorELNS0_4arch9wavefront6targetE1EEEvT1_
; %bb.0:
	.section	.rodata,"a",@progbits
	.p2align	6, 0x0
	.amdhsa_kernel _ZN7rocprim17ROCPRIM_400000_NS6detail17trampoline_kernelINS0_14default_configENS1_29reduce_by_key_config_selectorIddN6thrust23THRUST_200600_302600_NS4plusIdEEEEZZNS1_33reduce_by_key_impl_wrapped_configILNS1_25lookback_scan_determinismE0ES3_S9_NS6_6detail15normal_iteratorINS6_10device_ptrIdEEEESG_SG_SG_PmS8_22is_equal_div_10_reduceIdEEE10hipError_tPvRmT2_T3_mT4_T5_T6_T7_T8_P12ihipStream_tbENKUlT_T0_E_clISt17integral_constantIbLb0EES11_EEDaSW_SX_EUlSW_E_NS1_11comp_targetILNS1_3genE10ELNS1_11target_archE1201ELNS1_3gpuE5ELNS1_3repE0EEENS1_30default_config_static_selectorELNS0_4arch9wavefront6targetE1EEEvT1_
		.amdhsa_group_segment_fixed_size 0
		.amdhsa_private_segment_fixed_size 0
		.amdhsa_kernarg_size 136
		.amdhsa_user_sgpr_count 6
		.amdhsa_user_sgpr_private_segment_buffer 1
		.amdhsa_user_sgpr_dispatch_ptr 0
		.amdhsa_user_sgpr_queue_ptr 0
		.amdhsa_user_sgpr_kernarg_segment_ptr 1
		.amdhsa_user_sgpr_dispatch_id 0
		.amdhsa_user_sgpr_flat_scratch_init 0
		.amdhsa_user_sgpr_kernarg_preload_length 0
		.amdhsa_user_sgpr_kernarg_preload_offset 0
		.amdhsa_user_sgpr_private_segment_size 0
		.amdhsa_uses_dynamic_stack 0
		.amdhsa_system_sgpr_private_segment_wavefront_offset 0
		.amdhsa_system_sgpr_workgroup_id_x 1
		.amdhsa_system_sgpr_workgroup_id_y 0
		.amdhsa_system_sgpr_workgroup_id_z 0
		.amdhsa_system_sgpr_workgroup_info 0
		.amdhsa_system_vgpr_workitem_id 0
		.amdhsa_next_free_vgpr 1
		.amdhsa_next_free_sgpr 0
		.amdhsa_accum_offset 4
		.amdhsa_reserve_vcc 0
		.amdhsa_reserve_flat_scratch 0
		.amdhsa_float_round_mode_32 0
		.amdhsa_float_round_mode_16_64 0
		.amdhsa_float_denorm_mode_32 3
		.amdhsa_float_denorm_mode_16_64 3
		.amdhsa_dx10_clamp 1
		.amdhsa_ieee_mode 1
		.amdhsa_fp16_overflow 0
		.amdhsa_tg_split 0
		.amdhsa_exception_fp_ieee_invalid_op 0
		.amdhsa_exception_fp_denorm_src 0
		.amdhsa_exception_fp_ieee_div_zero 0
		.amdhsa_exception_fp_ieee_overflow 0
		.amdhsa_exception_fp_ieee_underflow 0
		.amdhsa_exception_fp_ieee_inexact 0
		.amdhsa_exception_int_div_zero 0
	.end_amdhsa_kernel
	.section	.text._ZN7rocprim17ROCPRIM_400000_NS6detail17trampoline_kernelINS0_14default_configENS1_29reduce_by_key_config_selectorIddN6thrust23THRUST_200600_302600_NS4plusIdEEEEZZNS1_33reduce_by_key_impl_wrapped_configILNS1_25lookback_scan_determinismE0ES3_S9_NS6_6detail15normal_iteratorINS6_10device_ptrIdEEEESG_SG_SG_PmS8_22is_equal_div_10_reduceIdEEE10hipError_tPvRmT2_T3_mT4_T5_T6_T7_T8_P12ihipStream_tbENKUlT_T0_E_clISt17integral_constantIbLb0EES11_EEDaSW_SX_EUlSW_E_NS1_11comp_targetILNS1_3genE10ELNS1_11target_archE1201ELNS1_3gpuE5ELNS1_3repE0EEENS1_30default_config_static_selectorELNS0_4arch9wavefront6targetE1EEEvT1_,"axG",@progbits,_ZN7rocprim17ROCPRIM_400000_NS6detail17trampoline_kernelINS0_14default_configENS1_29reduce_by_key_config_selectorIddN6thrust23THRUST_200600_302600_NS4plusIdEEEEZZNS1_33reduce_by_key_impl_wrapped_configILNS1_25lookback_scan_determinismE0ES3_S9_NS6_6detail15normal_iteratorINS6_10device_ptrIdEEEESG_SG_SG_PmS8_22is_equal_div_10_reduceIdEEE10hipError_tPvRmT2_T3_mT4_T5_T6_T7_T8_P12ihipStream_tbENKUlT_T0_E_clISt17integral_constantIbLb0EES11_EEDaSW_SX_EUlSW_E_NS1_11comp_targetILNS1_3genE10ELNS1_11target_archE1201ELNS1_3gpuE5ELNS1_3repE0EEENS1_30default_config_static_selectorELNS0_4arch9wavefront6targetE1EEEvT1_,comdat
.Lfunc_end56:
	.size	_ZN7rocprim17ROCPRIM_400000_NS6detail17trampoline_kernelINS0_14default_configENS1_29reduce_by_key_config_selectorIddN6thrust23THRUST_200600_302600_NS4plusIdEEEEZZNS1_33reduce_by_key_impl_wrapped_configILNS1_25lookback_scan_determinismE0ES3_S9_NS6_6detail15normal_iteratorINS6_10device_ptrIdEEEESG_SG_SG_PmS8_22is_equal_div_10_reduceIdEEE10hipError_tPvRmT2_T3_mT4_T5_T6_T7_T8_P12ihipStream_tbENKUlT_T0_E_clISt17integral_constantIbLb0EES11_EEDaSW_SX_EUlSW_E_NS1_11comp_targetILNS1_3genE10ELNS1_11target_archE1201ELNS1_3gpuE5ELNS1_3repE0EEENS1_30default_config_static_selectorELNS0_4arch9wavefront6targetE1EEEvT1_, .Lfunc_end56-_ZN7rocprim17ROCPRIM_400000_NS6detail17trampoline_kernelINS0_14default_configENS1_29reduce_by_key_config_selectorIddN6thrust23THRUST_200600_302600_NS4plusIdEEEEZZNS1_33reduce_by_key_impl_wrapped_configILNS1_25lookback_scan_determinismE0ES3_S9_NS6_6detail15normal_iteratorINS6_10device_ptrIdEEEESG_SG_SG_PmS8_22is_equal_div_10_reduceIdEEE10hipError_tPvRmT2_T3_mT4_T5_T6_T7_T8_P12ihipStream_tbENKUlT_T0_E_clISt17integral_constantIbLb0EES11_EEDaSW_SX_EUlSW_E_NS1_11comp_targetILNS1_3genE10ELNS1_11target_archE1201ELNS1_3gpuE5ELNS1_3repE0EEENS1_30default_config_static_selectorELNS0_4arch9wavefront6targetE1EEEvT1_
                                        ; -- End function
	.section	.AMDGPU.csdata,"",@progbits
; Kernel info:
; codeLenInByte = 0
; NumSgprs: 4
; NumVgprs: 0
; NumAgprs: 0
; TotalNumVgprs: 0
; ScratchSize: 0
; MemoryBound: 0
; FloatMode: 240
; IeeeMode: 1
; LDSByteSize: 0 bytes/workgroup (compile time only)
; SGPRBlocks: 0
; VGPRBlocks: 0
; NumSGPRsForWavesPerEU: 4
; NumVGPRsForWavesPerEU: 1
; AccumOffset: 4
; Occupancy: 8
; WaveLimiterHint : 0
; COMPUTE_PGM_RSRC2:SCRATCH_EN: 0
; COMPUTE_PGM_RSRC2:USER_SGPR: 6
; COMPUTE_PGM_RSRC2:TRAP_HANDLER: 0
; COMPUTE_PGM_RSRC2:TGID_X_EN: 1
; COMPUTE_PGM_RSRC2:TGID_Y_EN: 0
; COMPUTE_PGM_RSRC2:TGID_Z_EN: 0
; COMPUTE_PGM_RSRC2:TIDIG_COMP_CNT: 0
; COMPUTE_PGM_RSRC3_GFX90A:ACCUM_OFFSET: 0
; COMPUTE_PGM_RSRC3_GFX90A:TG_SPLIT: 0
	.section	.text._ZN7rocprim17ROCPRIM_400000_NS6detail17trampoline_kernelINS0_14default_configENS1_29reduce_by_key_config_selectorIddN6thrust23THRUST_200600_302600_NS4plusIdEEEEZZNS1_33reduce_by_key_impl_wrapped_configILNS1_25lookback_scan_determinismE0ES3_S9_NS6_6detail15normal_iteratorINS6_10device_ptrIdEEEESG_SG_SG_PmS8_22is_equal_div_10_reduceIdEEE10hipError_tPvRmT2_T3_mT4_T5_T6_T7_T8_P12ihipStream_tbENKUlT_T0_E_clISt17integral_constantIbLb0EES11_EEDaSW_SX_EUlSW_E_NS1_11comp_targetILNS1_3genE10ELNS1_11target_archE1200ELNS1_3gpuE4ELNS1_3repE0EEENS1_30default_config_static_selectorELNS0_4arch9wavefront6targetE1EEEvT1_,"axG",@progbits,_ZN7rocprim17ROCPRIM_400000_NS6detail17trampoline_kernelINS0_14default_configENS1_29reduce_by_key_config_selectorIddN6thrust23THRUST_200600_302600_NS4plusIdEEEEZZNS1_33reduce_by_key_impl_wrapped_configILNS1_25lookback_scan_determinismE0ES3_S9_NS6_6detail15normal_iteratorINS6_10device_ptrIdEEEESG_SG_SG_PmS8_22is_equal_div_10_reduceIdEEE10hipError_tPvRmT2_T3_mT4_T5_T6_T7_T8_P12ihipStream_tbENKUlT_T0_E_clISt17integral_constantIbLb0EES11_EEDaSW_SX_EUlSW_E_NS1_11comp_targetILNS1_3genE10ELNS1_11target_archE1200ELNS1_3gpuE4ELNS1_3repE0EEENS1_30default_config_static_selectorELNS0_4arch9wavefront6targetE1EEEvT1_,comdat
	.protected	_ZN7rocprim17ROCPRIM_400000_NS6detail17trampoline_kernelINS0_14default_configENS1_29reduce_by_key_config_selectorIddN6thrust23THRUST_200600_302600_NS4plusIdEEEEZZNS1_33reduce_by_key_impl_wrapped_configILNS1_25lookback_scan_determinismE0ES3_S9_NS6_6detail15normal_iteratorINS6_10device_ptrIdEEEESG_SG_SG_PmS8_22is_equal_div_10_reduceIdEEE10hipError_tPvRmT2_T3_mT4_T5_T6_T7_T8_P12ihipStream_tbENKUlT_T0_E_clISt17integral_constantIbLb0EES11_EEDaSW_SX_EUlSW_E_NS1_11comp_targetILNS1_3genE10ELNS1_11target_archE1200ELNS1_3gpuE4ELNS1_3repE0EEENS1_30default_config_static_selectorELNS0_4arch9wavefront6targetE1EEEvT1_ ; -- Begin function _ZN7rocprim17ROCPRIM_400000_NS6detail17trampoline_kernelINS0_14default_configENS1_29reduce_by_key_config_selectorIddN6thrust23THRUST_200600_302600_NS4plusIdEEEEZZNS1_33reduce_by_key_impl_wrapped_configILNS1_25lookback_scan_determinismE0ES3_S9_NS6_6detail15normal_iteratorINS6_10device_ptrIdEEEESG_SG_SG_PmS8_22is_equal_div_10_reduceIdEEE10hipError_tPvRmT2_T3_mT4_T5_T6_T7_T8_P12ihipStream_tbENKUlT_T0_E_clISt17integral_constantIbLb0EES11_EEDaSW_SX_EUlSW_E_NS1_11comp_targetILNS1_3genE10ELNS1_11target_archE1200ELNS1_3gpuE4ELNS1_3repE0EEENS1_30default_config_static_selectorELNS0_4arch9wavefront6targetE1EEEvT1_
	.globl	_ZN7rocprim17ROCPRIM_400000_NS6detail17trampoline_kernelINS0_14default_configENS1_29reduce_by_key_config_selectorIddN6thrust23THRUST_200600_302600_NS4plusIdEEEEZZNS1_33reduce_by_key_impl_wrapped_configILNS1_25lookback_scan_determinismE0ES3_S9_NS6_6detail15normal_iteratorINS6_10device_ptrIdEEEESG_SG_SG_PmS8_22is_equal_div_10_reduceIdEEE10hipError_tPvRmT2_T3_mT4_T5_T6_T7_T8_P12ihipStream_tbENKUlT_T0_E_clISt17integral_constantIbLb0EES11_EEDaSW_SX_EUlSW_E_NS1_11comp_targetILNS1_3genE10ELNS1_11target_archE1200ELNS1_3gpuE4ELNS1_3repE0EEENS1_30default_config_static_selectorELNS0_4arch9wavefront6targetE1EEEvT1_
	.p2align	8
	.type	_ZN7rocprim17ROCPRIM_400000_NS6detail17trampoline_kernelINS0_14default_configENS1_29reduce_by_key_config_selectorIddN6thrust23THRUST_200600_302600_NS4plusIdEEEEZZNS1_33reduce_by_key_impl_wrapped_configILNS1_25lookback_scan_determinismE0ES3_S9_NS6_6detail15normal_iteratorINS6_10device_ptrIdEEEESG_SG_SG_PmS8_22is_equal_div_10_reduceIdEEE10hipError_tPvRmT2_T3_mT4_T5_T6_T7_T8_P12ihipStream_tbENKUlT_T0_E_clISt17integral_constantIbLb0EES11_EEDaSW_SX_EUlSW_E_NS1_11comp_targetILNS1_3genE10ELNS1_11target_archE1200ELNS1_3gpuE4ELNS1_3repE0EEENS1_30default_config_static_selectorELNS0_4arch9wavefront6targetE1EEEvT1_,@function
_ZN7rocprim17ROCPRIM_400000_NS6detail17trampoline_kernelINS0_14default_configENS1_29reduce_by_key_config_selectorIddN6thrust23THRUST_200600_302600_NS4plusIdEEEEZZNS1_33reduce_by_key_impl_wrapped_configILNS1_25lookback_scan_determinismE0ES3_S9_NS6_6detail15normal_iteratorINS6_10device_ptrIdEEEESG_SG_SG_PmS8_22is_equal_div_10_reduceIdEEE10hipError_tPvRmT2_T3_mT4_T5_T6_T7_T8_P12ihipStream_tbENKUlT_T0_E_clISt17integral_constantIbLb0EES11_EEDaSW_SX_EUlSW_E_NS1_11comp_targetILNS1_3genE10ELNS1_11target_archE1200ELNS1_3gpuE4ELNS1_3repE0EEENS1_30default_config_static_selectorELNS0_4arch9wavefront6targetE1EEEvT1_: ; @_ZN7rocprim17ROCPRIM_400000_NS6detail17trampoline_kernelINS0_14default_configENS1_29reduce_by_key_config_selectorIddN6thrust23THRUST_200600_302600_NS4plusIdEEEEZZNS1_33reduce_by_key_impl_wrapped_configILNS1_25lookback_scan_determinismE0ES3_S9_NS6_6detail15normal_iteratorINS6_10device_ptrIdEEEESG_SG_SG_PmS8_22is_equal_div_10_reduceIdEEE10hipError_tPvRmT2_T3_mT4_T5_T6_T7_T8_P12ihipStream_tbENKUlT_T0_E_clISt17integral_constantIbLb0EES11_EEDaSW_SX_EUlSW_E_NS1_11comp_targetILNS1_3genE10ELNS1_11target_archE1200ELNS1_3gpuE4ELNS1_3repE0EEENS1_30default_config_static_selectorELNS0_4arch9wavefront6targetE1EEEvT1_
; %bb.0:
	.section	.rodata,"a",@progbits
	.p2align	6, 0x0
	.amdhsa_kernel _ZN7rocprim17ROCPRIM_400000_NS6detail17trampoline_kernelINS0_14default_configENS1_29reduce_by_key_config_selectorIddN6thrust23THRUST_200600_302600_NS4plusIdEEEEZZNS1_33reduce_by_key_impl_wrapped_configILNS1_25lookback_scan_determinismE0ES3_S9_NS6_6detail15normal_iteratorINS6_10device_ptrIdEEEESG_SG_SG_PmS8_22is_equal_div_10_reduceIdEEE10hipError_tPvRmT2_T3_mT4_T5_T6_T7_T8_P12ihipStream_tbENKUlT_T0_E_clISt17integral_constantIbLb0EES11_EEDaSW_SX_EUlSW_E_NS1_11comp_targetILNS1_3genE10ELNS1_11target_archE1200ELNS1_3gpuE4ELNS1_3repE0EEENS1_30default_config_static_selectorELNS0_4arch9wavefront6targetE1EEEvT1_
		.amdhsa_group_segment_fixed_size 0
		.amdhsa_private_segment_fixed_size 0
		.amdhsa_kernarg_size 136
		.amdhsa_user_sgpr_count 6
		.amdhsa_user_sgpr_private_segment_buffer 1
		.amdhsa_user_sgpr_dispatch_ptr 0
		.amdhsa_user_sgpr_queue_ptr 0
		.amdhsa_user_sgpr_kernarg_segment_ptr 1
		.amdhsa_user_sgpr_dispatch_id 0
		.amdhsa_user_sgpr_flat_scratch_init 0
		.amdhsa_user_sgpr_kernarg_preload_length 0
		.amdhsa_user_sgpr_kernarg_preload_offset 0
		.amdhsa_user_sgpr_private_segment_size 0
		.amdhsa_uses_dynamic_stack 0
		.amdhsa_system_sgpr_private_segment_wavefront_offset 0
		.amdhsa_system_sgpr_workgroup_id_x 1
		.amdhsa_system_sgpr_workgroup_id_y 0
		.amdhsa_system_sgpr_workgroup_id_z 0
		.amdhsa_system_sgpr_workgroup_info 0
		.amdhsa_system_vgpr_workitem_id 0
		.amdhsa_next_free_vgpr 1
		.amdhsa_next_free_sgpr 0
		.amdhsa_accum_offset 4
		.amdhsa_reserve_vcc 0
		.amdhsa_reserve_flat_scratch 0
		.amdhsa_float_round_mode_32 0
		.amdhsa_float_round_mode_16_64 0
		.amdhsa_float_denorm_mode_32 3
		.amdhsa_float_denorm_mode_16_64 3
		.amdhsa_dx10_clamp 1
		.amdhsa_ieee_mode 1
		.amdhsa_fp16_overflow 0
		.amdhsa_tg_split 0
		.amdhsa_exception_fp_ieee_invalid_op 0
		.amdhsa_exception_fp_denorm_src 0
		.amdhsa_exception_fp_ieee_div_zero 0
		.amdhsa_exception_fp_ieee_overflow 0
		.amdhsa_exception_fp_ieee_underflow 0
		.amdhsa_exception_fp_ieee_inexact 0
		.amdhsa_exception_int_div_zero 0
	.end_amdhsa_kernel
	.section	.text._ZN7rocprim17ROCPRIM_400000_NS6detail17trampoline_kernelINS0_14default_configENS1_29reduce_by_key_config_selectorIddN6thrust23THRUST_200600_302600_NS4plusIdEEEEZZNS1_33reduce_by_key_impl_wrapped_configILNS1_25lookback_scan_determinismE0ES3_S9_NS6_6detail15normal_iteratorINS6_10device_ptrIdEEEESG_SG_SG_PmS8_22is_equal_div_10_reduceIdEEE10hipError_tPvRmT2_T3_mT4_T5_T6_T7_T8_P12ihipStream_tbENKUlT_T0_E_clISt17integral_constantIbLb0EES11_EEDaSW_SX_EUlSW_E_NS1_11comp_targetILNS1_3genE10ELNS1_11target_archE1200ELNS1_3gpuE4ELNS1_3repE0EEENS1_30default_config_static_selectorELNS0_4arch9wavefront6targetE1EEEvT1_,"axG",@progbits,_ZN7rocprim17ROCPRIM_400000_NS6detail17trampoline_kernelINS0_14default_configENS1_29reduce_by_key_config_selectorIddN6thrust23THRUST_200600_302600_NS4plusIdEEEEZZNS1_33reduce_by_key_impl_wrapped_configILNS1_25lookback_scan_determinismE0ES3_S9_NS6_6detail15normal_iteratorINS6_10device_ptrIdEEEESG_SG_SG_PmS8_22is_equal_div_10_reduceIdEEE10hipError_tPvRmT2_T3_mT4_T5_T6_T7_T8_P12ihipStream_tbENKUlT_T0_E_clISt17integral_constantIbLb0EES11_EEDaSW_SX_EUlSW_E_NS1_11comp_targetILNS1_3genE10ELNS1_11target_archE1200ELNS1_3gpuE4ELNS1_3repE0EEENS1_30default_config_static_selectorELNS0_4arch9wavefront6targetE1EEEvT1_,comdat
.Lfunc_end57:
	.size	_ZN7rocprim17ROCPRIM_400000_NS6detail17trampoline_kernelINS0_14default_configENS1_29reduce_by_key_config_selectorIddN6thrust23THRUST_200600_302600_NS4plusIdEEEEZZNS1_33reduce_by_key_impl_wrapped_configILNS1_25lookback_scan_determinismE0ES3_S9_NS6_6detail15normal_iteratorINS6_10device_ptrIdEEEESG_SG_SG_PmS8_22is_equal_div_10_reduceIdEEE10hipError_tPvRmT2_T3_mT4_T5_T6_T7_T8_P12ihipStream_tbENKUlT_T0_E_clISt17integral_constantIbLb0EES11_EEDaSW_SX_EUlSW_E_NS1_11comp_targetILNS1_3genE10ELNS1_11target_archE1200ELNS1_3gpuE4ELNS1_3repE0EEENS1_30default_config_static_selectorELNS0_4arch9wavefront6targetE1EEEvT1_, .Lfunc_end57-_ZN7rocprim17ROCPRIM_400000_NS6detail17trampoline_kernelINS0_14default_configENS1_29reduce_by_key_config_selectorIddN6thrust23THRUST_200600_302600_NS4plusIdEEEEZZNS1_33reduce_by_key_impl_wrapped_configILNS1_25lookback_scan_determinismE0ES3_S9_NS6_6detail15normal_iteratorINS6_10device_ptrIdEEEESG_SG_SG_PmS8_22is_equal_div_10_reduceIdEEE10hipError_tPvRmT2_T3_mT4_T5_T6_T7_T8_P12ihipStream_tbENKUlT_T0_E_clISt17integral_constantIbLb0EES11_EEDaSW_SX_EUlSW_E_NS1_11comp_targetILNS1_3genE10ELNS1_11target_archE1200ELNS1_3gpuE4ELNS1_3repE0EEENS1_30default_config_static_selectorELNS0_4arch9wavefront6targetE1EEEvT1_
                                        ; -- End function
	.section	.AMDGPU.csdata,"",@progbits
; Kernel info:
; codeLenInByte = 0
; NumSgprs: 4
; NumVgprs: 0
; NumAgprs: 0
; TotalNumVgprs: 0
; ScratchSize: 0
; MemoryBound: 0
; FloatMode: 240
; IeeeMode: 1
; LDSByteSize: 0 bytes/workgroup (compile time only)
; SGPRBlocks: 0
; VGPRBlocks: 0
; NumSGPRsForWavesPerEU: 4
; NumVGPRsForWavesPerEU: 1
; AccumOffset: 4
; Occupancy: 8
; WaveLimiterHint : 0
; COMPUTE_PGM_RSRC2:SCRATCH_EN: 0
; COMPUTE_PGM_RSRC2:USER_SGPR: 6
; COMPUTE_PGM_RSRC2:TRAP_HANDLER: 0
; COMPUTE_PGM_RSRC2:TGID_X_EN: 1
; COMPUTE_PGM_RSRC2:TGID_Y_EN: 0
; COMPUTE_PGM_RSRC2:TGID_Z_EN: 0
; COMPUTE_PGM_RSRC2:TIDIG_COMP_CNT: 0
; COMPUTE_PGM_RSRC3_GFX90A:ACCUM_OFFSET: 0
; COMPUTE_PGM_RSRC3_GFX90A:TG_SPLIT: 0
	.section	.text._ZN7rocprim17ROCPRIM_400000_NS6detail17trampoline_kernelINS0_14default_configENS1_29reduce_by_key_config_selectorIddN6thrust23THRUST_200600_302600_NS4plusIdEEEEZZNS1_33reduce_by_key_impl_wrapped_configILNS1_25lookback_scan_determinismE0ES3_S9_NS6_6detail15normal_iteratorINS6_10device_ptrIdEEEESG_SG_SG_PmS8_22is_equal_div_10_reduceIdEEE10hipError_tPvRmT2_T3_mT4_T5_T6_T7_T8_P12ihipStream_tbENKUlT_T0_E_clISt17integral_constantIbLb0EES11_EEDaSW_SX_EUlSW_E_NS1_11comp_targetILNS1_3genE9ELNS1_11target_archE1100ELNS1_3gpuE3ELNS1_3repE0EEENS1_30default_config_static_selectorELNS0_4arch9wavefront6targetE1EEEvT1_,"axG",@progbits,_ZN7rocprim17ROCPRIM_400000_NS6detail17trampoline_kernelINS0_14default_configENS1_29reduce_by_key_config_selectorIddN6thrust23THRUST_200600_302600_NS4plusIdEEEEZZNS1_33reduce_by_key_impl_wrapped_configILNS1_25lookback_scan_determinismE0ES3_S9_NS6_6detail15normal_iteratorINS6_10device_ptrIdEEEESG_SG_SG_PmS8_22is_equal_div_10_reduceIdEEE10hipError_tPvRmT2_T3_mT4_T5_T6_T7_T8_P12ihipStream_tbENKUlT_T0_E_clISt17integral_constantIbLb0EES11_EEDaSW_SX_EUlSW_E_NS1_11comp_targetILNS1_3genE9ELNS1_11target_archE1100ELNS1_3gpuE3ELNS1_3repE0EEENS1_30default_config_static_selectorELNS0_4arch9wavefront6targetE1EEEvT1_,comdat
	.protected	_ZN7rocprim17ROCPRIM_400000_NS6detail17trampoline_kernelINS0_14default_configENS1_29reduce_by_key_config_selectorIddN6thrust23THRUST_200600_302600_NS4plusIdEEEEZZNS1_33reduce_by_key_impl_wrapped_configILNS1_25lookback_scan_determinismE0ES3_S9_NS6_6detail15normal_iteratorINS6_10device_ptrIdEEEESG_SG_SG_PmS8_22is_equal_div_10_reduceIdEEE10hipError_tPvRmT2_T3_mT4_T5_T6_T7_T8_P12ihipStream_tbENKUlT_T0_E_clISt17integral_constantIbLb0EES11_EEDaSW_SX_EUlSW_E_NS1_11comp_targetILNS1_3genE9ELNS1_11target_archE1100ELNS1_3gpuE3ELNS1_3repE0EEENS1_30default_config_static_selectorELNS0_4arch9wavefront6targetE1EEEvT1_ ; -- Begin function _ZN7rocprim17ROCPRIM_400000_NS6detail17trampoline_kernelINS0_14default_configENS1_29reduce_by_key_config_selectorIddN6thrust23THRUST_200600_302600_NS4plusIdEEEEZZNS1_33reduce_by_key_impl_wrapped_configILNS1_25lookback_scan_determinismE0ES3_S9_NS6_6detail15normal_iteratorINS6_10device_ptrIdEEEESG_SG_SG_PmS8_22is_equal_div_10_reduceIdEEE10hipError_tPvRmT2_T3_mT4_T5_T6_T7_T8_P12ihipStream_tbENKUlT_T0_E_clISt17integral_constantIbLb0EES11_EEDaSW_SX_EUlSW_E_NS1_11comp_targetILNS1_3genE9ELNS1_11target_archE1100ELNS1_3gpuE3ELNS1_3repE0EEENS1_30default_config_static_selectorELNS0_4arch9wavefront6targetE1EEEvT1_
	.globl	_ZN7rocprim17ROCPRIM_400000_NS6detail17trampoline_kernelINS0_14default_configENS1_29reduce_by_key_config_selectorIddN6thrust23THRUST_200600_302600_NS4plusIdEEEEZZNS1_33reduce_by_key_impl_wrapped_configILNS1_25lookback_scan_determinismE0ES3_S9_NS6_6detail15normal_iteratorINS6_10device_ptrIdEEEESG_SG_SG_PmS8_22is_equal_div_10_reduceIdEEE10hipError_tPvRmT2_T3_mT4_T5_T6_T7_T8_P12ihipStream_tbENKUlT_T0_E_clISt17integral_constantIbLb0EES11_EEDaSW_SX_EUlSW_E_NS1_11comp_targetILNS1_3genE9ELNS1_11target_archE1100ELNS1_3gpuE3ELNS1_3repE0EEENS1_30default_config_static_selectorELNS0_4arch9wavefront6targetE1EEEvT1_
	.p2align	8
	.type	_ZN7rocprim17ROCPRIM_400000_NS6detail17trampoline_kernelINS0_14default_configENS1_29reduce_by_key_config_selectorIddN6thrust23THRUST_200600_302600_NS4plusIdEEEEZZNS1_33reduce_by_key_impl_wrapped_configILNS1_25lookback_scan_determinismE0ES3_S9_NS6_6detail15normal_iteratorINS6_10device_ptrIdEEEESG_SG_SG_PmS8_22is_equal_div_10_reduceIdEEE10hipError_tPvRmT2_T3_mT4_T5_T6_T7_T8_P12ihipStream_tbENKUlT_T0_E_clISt17integral_constantIbLb0EES11_EEDaSW_SX_EUlSW_E_NS1_11comp_targetILNS1_3genE9ELNS1_11target_archE1100ELNS1_3gpuE3ELNS1_3repE0EEENS1_30default_config_static_selectorELNS0_4arch9wavefront6targetE1EEEvT1_,@function
_ZN7rocprim17ROCPRIM_400000_NS6detail17trampoline_kernelINS0_14default_configENS1_29reduce_by_key_config_selectorIddN6thrust23THRUST_200600_302600_NS4plusIdEEEEZZNS1_33reduce_by_key_impl_wrapped_configILNS1_25lookback_scan_determinismE0ES3_S9_NS6_6detail15normal_iteratorINS6_10device_ptrIdEEEESG_SG_SG_PmS8_22is_equal_div_10_reduceIdEEE10hipError_tPvRmT2_T3_mT4_T5_T6_T7_T8_P12ihipStream_tbENKUlT_T0_E_clISt17integral_constantIbLb0EES11_EEDaSW_SX_EUlSW_E_NS1_11comp_targetILNS1_3genE9ELNS1_11target_archE1100ELNS1_3gpuE3ELNS1_3repE0EEENS1_30default_config_static_selectorELNS0_4arch9wavefront6targetE1EEEvT1_: ; @_ZN7rocprim17ROCPRIM_400000_NS6detail17trampoline_kernelINS0_14default_configENS1_29reduce_by_key_config_selectorIddN6thrust23THRUST_200600_302600_NS4plusIdEEEEZZNS1_33reduce_by_key_impl_wrapped_configILNS1_25lookback_scan_determinismE0ES3_S9_NS6_6detail15normal_iteratorINS6_10device_ptrIdEEEESG_SG_SG_PmS8_22is_equal_div_10_reduceIdEEE10hipError_tPvRmT2_T3_mT4_T5_T6_T7_T8_P12ihipStream_tbENKUlT_T0_E_clISt17integral_constantIbLb0EES11_EEDaSW_SX_EUlSW_E_NS1_11comp_targetILNS1_3genE9ELNS1_11target_archE1100ELNS1_3gpuE3ELNS1_3repE0EEENS1_30default_config_static_selectorELNS0_4arch9wavefront6targetE1EEEvT1_
; %bb.0:
	.section	.rodata,"a",@progbits
	.p2align	6, 0x0
	.amdhsa_kernel _ZN7rocprim17ROCPRIM_400000_NS6detail17trampoline_kernelINS0_14default_configENS1_29reduce_by_key_config_selectorIddN6thrust23THRUST_200600_302600_NS4plusIdEEEEZZNS1_33reduce_by_key_impl_wrapped_configILNS1_25lookback_scan_determinismE0ES3_S9_NS6_6detail15normal_iteratorINS6_10device_ptrIdEEEESG_SG_SG_PmS8_22is_equal_div_10_reduceIdEEE10hipError_tPvRmT2_T3_mT4_T5_T6_T7_T8_P12ihipStream_tbENKUlT_T0_E_clISt17integral_constantIbLb0EES11_EEDaSW_SX_EUlSW_E_NS1_11comp_targetILNS1_3genE9ELNS1_11target_archE1100ELNS1_3gpuE3ELNS1_3repE0EEENS1_30default_config_static_selectorELNS0_4arch9wavefront6targetE1EEEvT1_
		.amdhsa_group_segment_fixed_size 0
		.amdhsa_private_segment_fixed_size 0
		.amdhsa_kernarg_size 136
		.amdhsa_user_sgpr_count 6
		.amdhsa_user_sgpr_private_segment_buffer 1
		.amdhsa_user_sgpr_dispatch_ptr 0
		.amdhsa_user_sgpr_queue_ptr 0
		.amdhsa_user_sgpr_kernarg_segment_ptr 1
		.amdhsa_user_sgpr_dispatch_id 0
		.amdhsa_user_sgpr_flat_scratch_init 0
		.amdhsa_user_sgpr_kernarg_preload_length 0
		.amdhsa_user_sgpr_kernarg_preload_offset 0
		.amdhsa_user_sgpr_private_segment_size 0
		.amdhsa_uses_dynamic_stack 0
		.amdhsa_system_sgpr_private_segment_wavefront_offset 0
		.amdhsa_system_sgpr_workgroup_id_x 1
		.amdhsa_system_sgpr_workgroup_id_y 0
		.amdhsa_system_sgpr_workgroup_id_z 0
		.amdhsa_system_sgpr_workgroup_info 0
		.amdhsa_system_vgpr_workitem_id 0
		.amdhsa_next_free_vgpr 1
		.amdhsa_next_free_sgpr 0
		.amdhsa_accum_offset 4
		.amdhsa_reserve_vcc 0
		.amdhsa_reserve_flat_scratch 0
		.amdhsa_float_round_mode_32 0
		.amdhsa_float_round_mode_16_64 0
		.amdhsa_float_denorm_mode_32 3
		.amdhsa_float_denorm_mode_16_64 3
		.amdhsa_dx10_clamp 1
		.amdhsa_ieee_mode 1
		.amdhsa_fp16_overflow 0
		.amdhsa_tg_split 0
		.amdhsa_exception_fp_ieee_invalid_op 0
		.amdhsa_exception_fp_denorm_src 0
		.amdhsa_exception_fp_ieee_div_zero 0
		.amdhsa_exception_fp_ieee_overflow 0
		.amdhsa_exception_fp_ieee_underflow 0
		.amdhsa_exception_fp_ieee_inexact 0
		.amdhsa_exception_int_div_zero 0
	.end_amdhsa_kernel
	.section	.text._ZN7rocprim17ROCPRIM_400000_NS6detail17trampoline_kernelINS0_14default_configENS1_29reduce_by_key_config_selectorIddN6thrust23THRUST_200600_302600_NS4plusIdEEEEZZNS1_33reduce_by_key_impl_wrapped_configILNS1_25lookback_scan_determinismE0ES3_S9_NS6_6detail15normal_iteratorINS6_10device_ptrIdEEEESG_SG_SG_PmS8_22is_equal_div_10_reduceIdEEE10hipError_tPvRmT2_T3_mT4_T5_T6_T7_T8_P12ihipStream_tbENKUlT_T0_E_clISt17integral_constantIbLb0EES11_EEDaSW_SX_EUlSW_E_NS1_11comp_targetILNS1_3genE9ELNS1_11target_archE1100ELNS1_3gpuE3ELNS1_3repE0EEENS1_30default_config_static_selectorELNS0_4arch9wavefront6targetE1EEEvT1_,"axG",@progbits,_ZN7rocprim17ROCPRIM_400000_NS6detail17trampoline_kernelINS0_14default_configENS1_29reduce_by_key_config_selectorIddN6thrust23THRUST_200600_302600_NS4plusIdEEEEZZNS1_33reduce_by_key_impl_wrapped_configILNS1_25lookback_scan_determinismE0ES3_S9_NS6_6detail15normal_iteratorINS6_10device_ptrIdEEEESG_SG_SG_PmS8_22is_equal_div_10_reduceIdEEE10hipError_tPvRmT2_T3_mT4_T5_T6_T7_T8_P12ihipStream_tbENKUlT_T0_E_clISt17integral_constantIbLb0EES11_EEDaSW_SX_EUlSW_E_NS1_11comp_targetILNS1_3genE9ELNS1_11target_archE1100ELNS1_3gpuE3ELNS1_3repE0EEENS1_30default_config_static_selectorELNS0_4arch9wavefront6targetE1EEEvT1_,comdat
.Lfunc_end58:
	.size	_ZN7rocprim17ROCPRIM_400000_NS6detail17trampoline_kernelINS0_14default_configENS1_29reduce_by_key_config_selectorIddN6thrust23THRUST_200600_302600_NS4plusIdEEEEZZNS1_33reduce_by_key_impl_wrapped_configILNS1_25lookback_scan_determinismE0ES3_S9_NS6_6detail15normal_iteratorINS6_10device_ptrIdEEEESG_SG_SG_PmS8_22is_equal_div_10_reduceIdEEE10hipError_tPvRmT2_T3_mT4_T5_T6_T7_T8_P12ihipStream_tbENKUlT_T0_E_clISt17integral_constantIbLb0EES11_EEDaSW_SX_EUlSW_E_NS1_11comp_targetILNS1_3genE9ELNS1_11target_archE1100ELNS1_3gpuE3ELNS1_3repE0EEENS1_30default_config_static_selectorELNS0_4arch9wavefront6targetE1EEEvT1_, .Lfunc_end58-_ZN7rocprim17ROCPRIM_400000_NS6detail17trampoline_kernelINS0_14default_configENS1_29reduce_by_key_config_selectorIddN6thrust23THRUST_200600_302600_NS4plusIdEEEEZZNS1_33reduce_by_key_impl_wrapped_configILNS1_25lookback_scan_determinismE0ES3_S9_NS6_6detail15normal_iteratorINS6_10device_ptrIdEEEESG_SG_SG_PmS8_22is_equal_div_10_reduceIdEEE10hipError_tPvRmT2_T3_mT4_T5_T6_T7_T8_P12ihipStream_tbENKUlT_T0_E_clISt17integral_constantIbLb0EES11_EEDaSW_SX_EUlSW_E_NS1_11comp_targetILNS1_3genE9ELNS1_11target_archE1100ELNS1_3gpuE3ELNS1_3repE0EEENS1_30default_config_static_selectorELNS0_4arch9wavefront6targetE1EEEvT1_
                                        ; -- End function
	.section	.AMDGPU.csdata,"",@progbits
; Kernel info:
; codeLenInByte = 0
; NumSgprs: 4
; NumVgprs: 0
; NumAgprs: 0
; TotalNumVgprs: 0
; ScratchSize: 0
; MemoryBound: 0
; FloatMode: 240
; IeeeMode: 1
; LDSByteSize: 0 bytes/workgroup (compile time only)
; SGPRBlocks: 0
; VGPRBlocks: 0
; NumSGPRsForWavesPerEU: 4
; NumVGPRsForWavesPerEU: 1
; AccumOffset: 4
; Occupancy: 8
; WaveLimiterHint : 0
; COMPUTE_PGM_RSRC2:SCRATCH_EN: 0
; COMPUTE_PGM_RSRC2:USER_SGPR: 6
; COMPUTE_PGM_RSRC2:TRAP_HANDLER: 0
; COMPUTE_PGM_RSRC2:TGID_X_EN: 1
; COMPUTE_PGM_RSRC2:TGID_Y_EN: 0
; COMPUTE_PGM_RSRC2:TGID_Z_EN: 0
; COMPUTE_PGM_RSRC2:TIDIG_COMP_CNT: 0
; COMPUTE_PGM_RSRC3_GFX90A:ACCUM_OFFSET: 0
; COMPUTE_PGM_RSRC3_GFX90A:TG_SPLIT: 0
	.section	.text._ZN7rocprim17ROCPRIM_400000_NS6detail17trampoline_kernelINS0_14default_configENS1_29reduce_by_key_config_selectorIddN6thrust23THRUST_200600_302600_NS4plusIdEEEEZZNS1_33reduce_by_key_impl_wrapped_configILNS1_25lookback_scan_determinismE0ES3_S9_NS6_6detail15normal_iteratorINS6_10device_ptrIdEEEESG_SG_SG_PmS8_22is_equal_div_10_reduceIdEEE10hipError_tPvRmT2_T3_mT4_T5_T6_T7_T8_P12ihipStream_tbENKUlT_T0_E_clISt17integral_constantIbLb0EES11_EEDaSW_SX_EUlSW_E_NS1_11comp_targetILNS1_3genE8ELNS1_11target_archE1030ELNS1_3gpuE2ELNS1_3repE0EEENS1_30default_config_static_selectorELNS0_4arch9wavefront6targetE1EEEvT1_,"axG",@progbits,_ZN7rocprim17ROCPRIM_400000_NS6detail17trampoline_kernelINS0_14default_configENS1_29reduce_by_key_config_selectorIddN6thrust23THRUST_200600_302600_NS4plusIdEEEEZZNS1_33reduce_by_key_impl_wrapped_configILNS1_25lookback_scan_determinismE0ES3_S9_NS6_6detail15normal_iteratorINS6_10device_ptrIdEEEESG_SG_SG_PmS8_22is_equal_div_10_reduceIdEEE10hipError_tPvRmT2_T3_mT4_T5_T6_T7_T8_P12ihipStream_tbENKUlT_T0_E_clISt17integral_constantIbLb0EES11_EEDaSW_SX_EUlSW_E_NS1_11comp_targetILNS1_3genE8ELNS1_11target_archE1030ELNS1_3gpuE2ELNS1_3repE0EEENS1_30default_config_static_selectorELNS0_4arch9wavefront6targetE1EEEvT1_,comdat
	.protected	_ZN7rocprim17ROCPRIM_400000_NS6detail17trampoline_kernelINS0_14default_configENS1_29reduce_by_key_config_selectorIddN6thrust23THRUST_200600_302600_NS4plusIdEEEEZZNS1_33reduce_by_key_impl_wrapped_configILNS1_25lookback_scan_determinismE0ES3_S9_NS6_6detail15normal_iteratorINS6_10device_ptrIdEEEESG_SG_SG_PmS8_22is_equal_div_10_reduceIdEEE10hipError_tPvRmT2_T3_mT4_T5_T6_T7_T8_P12ihipStream_tbENKUlT_T0_E_clISt17integral_constantIbLb0EES11_EEDaSW_SX_EUlSW_E_NS1_11comp_targetILNS1_3genE8ELNS1_11target_archE1030ELNS1_3gpuE2ELNS1_3repE0EEENS1_30default_config_static_selectorELNS0_4arch9wavefront6targetE1EEEvT1_ ; -- Begin function _ZN7rocprim17ROCPRIM_400000_NS6detail17trampoline_kernelINS0_14default_configENS1_29reduce_by_key_config_selectorIddN6thrust23THRUST_200600_302600_NS4plusIdEEEEZZNS1_33reduce_by_key_impl_wrapped_configILNS1_25lookback_scan_determinismE0ES3_S9_NS6_6detail15normal_iteratorINS6_10device_ptrIdEEEESG_SG_SG_PmS8_22is_equal_div_10_reduceIdEEE10hipError_tPvRmT2_T3_mT4_T5_T6_T7_T8_P12ihipStream_tbENKUlT_T0_E_clISt17integral_constantIbLb0EES11_EEDaSW_SX_EUlSW_E_NS1_11comp_targetILNS1_3genE8ELNS1_11target_archE1030ELNS1_3gpuE2ELNS1_3repE0EEENS1_30default_config_static_selectorELNS0_4arch9wavefront6targetE1EEEvT1_
	.globl	_ZN7rocprim17ROCPRIM_400000_NS6detail17trampoline_kernelINS0_14default_configENS1_29reduce_by_key_config_selectorIddN6thrust23THRUST_200600_302600_NS4plusIdEEEEZZNS1_33reduce_by_key_impl_wrapped_configILNS1_25lookback_scan_determinismE0ES3_S9_NS6_6detail15normal_iteratorINS6_10device_ptrIdEEEESG_SG_SG_PmS8_22is_equal_div_10_reduceIdEEE10hipError_tPvRmT2_T3_mT4_T5_T6_T7_T8_P12ihipStream_tbENKUlT_T0_E_clISt17integral_constantIbLb0EES11_EEDaSW_SX_EUlSW_E_NS1_11comp_targetILNS1_3genE8ELNS1_11target_archE1030ELNS1_3gpuE2ELNS1_3repE0EEENS1_30default_config_static_selectorELNS0_4arch9wavefront6targetE1EEEvT1_
	.p2align	8
	.type	_ZN7rocprim17ROCPRIM_400000_NS6detail17trampoline_kernelINS0_14default_configENS1_29reduce_by_key_config_selectorIddN6thrust23THRUST_200600_302600_NS4plusIdEEEEZZNS1_33reduce_by_key_impl_wrapped_configILNS1_25lookback_scan_determinismE0ES3_S9_NS6_6detail15normal_iteratorINS6_10device_ptrIdEEEESG_SG_SG_PmS8_22is_equal_div_10_reduceIdEEE10hipError_tPvRmT2_T3_mT4_T5_T6_T7_T8_P12ihipStream_tbENKUlT_T0_E_clISt17integral_constantIbLb0EES11_EEDaSW_SX_EUlSW_E_NS1_11comp_targetILNS1_3genE8ELNS1_11target_archE1030ELNS1_3gpuE2ELNS1_3repE0EEENS1_30default_config_static_selectorELNS0_4arch9wavefront6targetE1EEEvT1_,@function
_ZN7rocprim17ROCPRIM_400000_NS6detail17trampoline_kernelINS0_14default_configENS1_29reduce_by_key_config_selectorIddN6thrust23THRUST_200600_302600_NS4plusIdEEEEZZNS1_33reduce_by_key_impl_wrapped_configILNS1_25lookback_scan_determinismE0ES3_S9_NS6_6detail15normal_iteratorINS6_10device_ptrIdEEEESG_SG_SG_PmS8_22is_equal_div_10_reduceIdEEE10hipError_tPvRmT2_T3_mT4_T5_T6_T7_T8_P12ihipStream_tbENKUlT_T0_E_clISt17integral_constantIbLb0EES11_EEDaSW_SX_EUlSW_E_NS1_11comp_targetILNS1_3genE8ELNS1_11target_archE1030ELNS1_3gpuE2ELNS1_3repE0EEENS1_30default_config_static_selectorELNS0_4arch9wavefront6targetE1EEEvT1_: ; @_ZN7rocprim17ROCPRIM_400000_NS6detail17trampoline_kernelINS0_14default_configENS1_29reduce_by_key_config_selectorIddN6thrust23THRUST_200600_302600_NS4plusIdEEEEZZNS1_33reduce_by_key_impl_wrapped_configILNS1_25lookback_scan_determinismE0ES3_S9_NS6_6detail15normal_iteratorINS6_10device_ptrIdEEEESG_SG_SG_PmS8_22is_equal_div_10_reduceIdEEE10hipError_tPvRmT2_T3_mT4_T5_T6_T7_T8_P12ihipStream_tbENKUlT_T0_E_clISt17integral_constantIbLb0EES11_EEDaSW_SX_EUlSW_E_NS1_11comp_targetILNS1_3genE8ELNS1_11target_archE1030ELNS1_3gpuE2ELNS1_3repE0EEENS1_30default_config_static_selectorELNS0_4arch9wavefront6targetE1EEEvT1_
; %bb.0:
	.section	.rodata,"a",@progbits
	.p2align	6, 0x0
	.amdhsa_kernel _ZN7rocprim17ROCPRIM_400000_NS6detail17trampoline_kernelINS0_14default_configENS1_29reduce_by_key_config_selectorIddN6thrust23THRUST_200600_302600_NS4plusIdEEEEZZNS1_33reduce_by_key_impl_wrapped_configILNS1_25lookback_scan_determinismE0ES3_S9_NS6_6detail15normal_iteratorINS6_10device_ptrIdEEEESG_SG_SG_PmS8_22is_equal_div_10_reduceIdEEE10hipError_tPvRmT2_T3_mT4_T5_T6_T7_T8_P12ihipStream_tbENKUlT_T0_E_clISt17integral_constantIbLb0EES11_EEDaSW_SX_EUlSW_E_NS1_11comp_targetILNS1_3genE8ELNS1_11target_archE1030ELNS1_3gpuE2ELNS1_3repE0EEENS1_30default_config_static_selectorELNS0_4arch9wavefront6targetE1EEEvT1_
		.amdhsa_group_segment_fixed_size 0
		.amdhsa_private_segment_fixed_size 0
		.amdhsa_kernarg_size 136
		.amdhsa_user_sgpr_count 6
		.amdhsa_user_sgpr_private_segment_buffer 1
		.amdhsa_user_sgpr_dispatch_ptr 0
		.amdhsa_user_sgpr_queue_ptr 0
		.amdhsa_user_sgpr_kernarg_segment_ptr 1
		.amdhsa_user_sgpr_dispatch_id 0
		.amdhsa_user_sgpr_flat_scratch_init 0
		.amdhsa_user_sgpr_kernarg_preload_length 0
		.amdhsa_user_sgpr_kernarg_preload_offset 0
		.amdhsa_user_sgpr_private_segment_size 0
		.amdhsa_uses_dynamic_stack 0
		.amdhsa_system_sgpr_private_segment_wavefront_offset 0
		.amdhsa_system_sgpr_workgroup_id_x 1
		.amdhsa_system_sgpr_workgroup_id_y 0
		.amdhsa_system_sgpr_workgroup_id_z 0
		.amdhsa_system_sgpr_workgroup_info 0
		.amdhsa_system_vgpr_workitem_id 0
		.amdhsa_next_free_vgpr 1
		.amdhsa_next_free_sgpr 0
		.amdhsa_accum_offset 4
		.amdhsa_reserve_vcc 0
		.amdhsa_reserve_flat_scratch 0
		.amdhsa_float_round_mode_32 0
		.amdhsa_float_round_mode_16_64 0
		.amdhsa_float_denorm_mode_32 3
		.amdhsa_float_denorm_mode_16_64 3
		.amdhsa_dx10_clamp 1
		.amdhsa_ieee_mode 1
		.amdhsa_fp16_overflow 0
		.amdhsa_tg_split 0
		.amdhsa_exception_fp_ieee_invalid_op 0
		.amdhsa_exception_fp_denorm_src 0
		.amdhsa_exception_fp_ieee_div_zero 0
		.amdhsa_exception_fp_ieee_overflow 0
		.amdhsa_exception_fp_ieee_underflow 0
		.amdhsa_exception_fp_ieee_inexact 0
		.amdhsa_exception_int_div_zero 0
	.end_amdhsa_kernel
	.section	.text._ZN7rocprim17ROCPRIM_400000_NS6detail17trampoline_kernelINS0_14default_configENS1_29reduce_by_key_config_selectorIddN6thrust23THRUST_200600_302600_NS4plusIdEEEEZZNS1_33reduce_by_key_impl_wrapped_configILNS1_25lookback_scan_determinismE0ES3_S9_NS6_6detail15normal_iteratorINS6_10device_ptrIdEEEESG_SG_SG_PmS8_22is_equal_div_10_reduceIdEEE10hipError_tPvRmT2_T3_mT4_T5_T6_T7_T8_P12ihipStream_tbENKUlT_T0_E_clISt17integral_constantIbLb0EES11_EEDaSW_SX_EUlSW_E_NS1_11comp_targetILNS1_3genE8ELNS1_11target_archE1030ELNS1_3gpuE2ELNS1_3repE0EEENS1_30default_config_static_selectorELNS0_4arch9wavefront6targetE1EEEvT1_,"axG",@progbits,_ZN7rocprim17ROCPRIM_400000_NS6detail17trampoline_kernelINS0_14default_configENS1_29reduce_by_key_config_selectorIddN6thrust23THRUST_200600_302600_NS4plusIdEEEEZZNS1_33reduce_by_key_impl_wrapped_configILNS1_25lookback_scan_determinismE0ES3_S9_NS6_6detail15normal_iteratorINS6_10device_ptrIdEEEESG_SG_SG_PmS8_22is_equal_div_10_reduceIdEEE10hipError_tPvRmT2_T3_mT4_T5_T6_T7_T8_P12ihipStream_tbENKUlT_T0_E_clISt17integral_constantIbLb0EES11_EEDaSW_SX_EUlSW_E_NS1_11comp_targetILNS1_3genE8ELNS1_11target_archE1030ELNS1_3gpuE2ELNS1_3repE0EEENS1_30default_config_static_selectorELNS0_4arch9wavefront6targetE1EEEvT1_,comdat
.Lfunc_end59:
	.size	_ZN7rocprim17ROCPRIM_400000_NS6detail17trampoline_kernelINS0_14default_configENS1_29reduce_by_key_config_selectorIddN6thrust23THRUST_200600_302600_NS4plusIdEEEEZZNS1_33reduce_by_key_impl_wrapped_configILNS1_25lookback_scan_determinismE0ES3_S9_NS6_6detail15normal_iteratorINS6_10device_ptrIdEEEESG_SG_SG_PmS8_22is_equal_div_10_reduceIdEEE10hipError_tPvRmT2_T3_mT4_T5_T6_T7_T8_P12ihipStream_tbENKUlT_T0_E_clISt17integral_constantIbLb0EES11_EEDaSW_SX_EUlSW_E_NS1_11comp_targetILNS1_3genE8ELNS1_11target_archE1030ELNS1_3gpuE2ELNS1_3repE0EEENS1_30default_config_static_selectorELNS0_4arch9wavefront6targetE1EEEvT1_, .Lfunc_end59-_ZN7rocprim17ROCPRIM_400000_NS6detail17trampoline_kernelINS0_14default_configENS1_29reduce_by_key_config_selectorIddN6thrust23THRUST_200600_302600_NS4plusIdEEEEZZNS1_33reduce_by_key_impl_wrapped_configILNS1_25lookback_scan_determinismE0ES3_S9_NS6_6detail15normal_iteratorINS6_10device_ptrIdEEEESG_SG_SG_PmS8_22is_equal_div_10_reduceIdEEE10hipError_tPvRmT2_T3_mT4_T5_T6_T7_T8_P12ihipStream_tbENKUlT_T0_E_clISt17integral_constantIbLb0EES11_EEDaSW_SX_EUlSW_E_NS1_11comp_targetILNS1_3genE8ELNS1_11target_archE1030ELNS1_3gpuE2ELNS1_3repE0EEENS1_30default_config_static_selectorELNS0_4arch9wavefront6targetE1EEEvT1_
                                        ; -- End function
	.section	.AMDGPU.csdata,"",@progbits
; Kernel info:
; codeLenInByte = 0
; NumSgprs: 4
; NumVgprs: 0
; NumAgprs: 0
; TotalNumVgprs: 0
; ScratchSize: 0
; MemoryBound: 0
; FloatMode: 240
; IeeeMode: 1
; LDSByteSize: 0 bytes/workgroup (compile time only)
; SGPRBlocks: 0
; VGPRBlocks: 0
; NumSGPRsForWavesPerEU: 4
; NumVGPRsForWavesPerEU: 1
; AccumOffset: 4
; Occupancy: 8
; WaveLimiterHint : 0
; COMPUTE_PGM_RSRC2:SCRATCH_EN: 0
; COMPUTE_PGM_RSRC2:USER_SGPR: 6
; COMPUTE_PGM_RSRC2:TRAP_HANDLER: 0
; COMPUTE_PGM_RSRC2:TGID_X_EN: 1
; COMPUTE_PGM_RSRC2:TGID_Y_EN: 0
; COMPUTE_PGM_RSRC2:TGID_Z_EN: 0
; COMPUTE_PGM_RSRC2:TIDIG_COMP_CNT: 0
; COMPUTE_PGM_RSRC3_GFX90A:ACCUM_OFFSET: 0
; COMPUTE_PGM_RSRC3_GFX90A:TG_SPLIT: 0
	.section	.text._ZN7rocprim17ROCPRIM_400000_NS6detail17trampoline_kernelINS0_14default_configENS1_29reduce_by_key_config_selectorIddN6thrust23THRUST_200600_302600_NS4plusIdEEEEZZNS1_33reduce_by_key_impl_wrapped_configILNS1_25lookback_scan_determinismE0ES3_S9_NS6_6detail15normal_iteratorINS6_10device_ptrIdEEEESG_SG_SG_PmS8_22is_equal_div_10_reduceIdEEE10hipError_tPvRmT2_T3_mT4_T5_T6_T7_T8_P12ihipStream_tbENKUlT_T0_E_clISt17integral_constantIbLb1EES11_EEDaSW_SX_EUlSW_E_NS1_11comp_targetILNS1_3genE0ELNS1_11target_archE4294967295ELNS1_3gpuE0ELNS1_3repE0EEENS1_30default_config_static_selectorELNS0_4arch9wavefront6targetE1EEEvT1_,"axG",@progbits,_ZN7rocprim17ROCPRIM_400000_NS6detail17trampoline_kernelINS0_14default_configENS1_29reduce_by_key_config_selectorIddN6thrust23THRUST_200600_302600_NS4plusIdEEEEZZNS1_33reduce_by_key_impl_wrapped_configILNS1_25lookback_scan_determinismE0ES3_S9_NS6_6detail15normal_iteratorINS6_10device_ptrIdEEEESG_SG_SG_PmS8_22is_equal_div_10_reduceIdEEE10hipError_tPvRmT2_T3_mT4_T5_T6_T7_T8_P12ihipStream_tbENKUlT_T0_E_clISt17integral_constantIbLb1EES11_EEDaSW_SX_EUlSW_E_NS1_11comp_targetILNS1_3genE0ELNS1_11target_archE4294967295ELNS1_3gpuE0ELNS1_3repE0EEENS1_30default_config_static_selectorELNS0_4arch9wavefront6targetE1EEEvT1_,comdat
	.protected	_ZN7rocprim17ROCPRIM_400000_NS6detail17trampoline_kernelINS0_14default_configENS1_29reduce_by_key_config_selectorIddN6thrust23THRUST_200600_302600_NS4plusIdEEEEZZNS1_33reduce_by_key_impl_wrapped_configILNS1_25lookback_scan_determinismE0ES3_S9_NS6_6detail15normal_iteratorINS6_10device_ptrIdEEEESG_SG_SG_PmS8_22is_equal_div_10_reduceIdEEE10hipError_tPvRmT2_T3_mT4_T5_T6_T7_T8_P12ihipStream_tbENKUlT_T0_E_clISt17integral_constantIbLb1EES11_EEDaSW_SX_EUlSW_E_NS1_11comp_targetILNS1_3genE0ELNS1_11target_archE4294967295ELNS1_3gpuE0ELNS1_3repE0EEENS1_30default_config_static_selectorELNS0_4arch9wavefront6targetE1EEEvT1_ ; -- Begin function _ZN7rocprim17ROCPRIM_400000_NS6detail17trampoline_kernelINS0_14default_configENS1_29reduce_by_key_config_selectorIddN6thrust23THRUST_200600_302600_NS4plusIdEEEEZZNS1_33reduce_by_key_impl_wrapped_configILNS1_25lookback_scan_determinismE0ES3_S9_NS6_6detail15normal_iteratorINS6_10device_ptrIdEEEESG_SG_SG_PmS8_22is_equal_div_10_reduceIdEEE10hipError_tPvRmT2_T3_mT4_T5_T6_T7_T8_P12ihipStream_tbENKUlT_T0_E_clISt17integral_constantIbLb1EES11_EEDaSW_SX_EUlSW_E_NS1_11comp_targetILNS1_3genE0ELNS1_11target_archE4294967295ELNS1_3gpuE0ELNS1_3repE0EEENS1_30default_config_static_selectorELNS0_4arch9wavefront6targetE1EEEvT1_
	.globl	_ZN7rocprim17ROCPRIM_400000_NS6detail17trampoline_kernelINS0_14default_configENS1_29reduce_by_key_config_selectorIddN6thrust23THRUST_200600_302600_NS4plusIdEEEEZZNS1_33reduce_by_key_impl_wrapped_configILNS1_25lookback_scan_determinismE0ES3_S9_NS6_6detail15normal_iteratorINS6_10device_ptrIdEEEESG_SG_SG_PmS8_22is_equal_div_10_reduceIdEEE10hipError_tPvRmT2_T3_mT4_T5_T6_T7_T8_P12ihipStream_tbENKUlT_T0_E_clISt17integral_constantIbLb1EES11_EEDaSW_SX_EUlSW_E_NS1_11comp_targetILNS1_3genE0ELNS1_11target_archE4294967295ELNS1_3gpuE0ELNS1_3repE0EEENS1_30default_config_static_selectorELNS0_4arch9wavefront6targetE1EEEvT1_
	.p2align	8
	.type	_ZN7rocprim17ROCPRIM_400000_NS6detail17trampoline_kernelINS0_14default_configENS1_29reduce_by_key_config_selectorIddN6thrust23THRUST_200600_302600_NS4plusIdEEEEZZNS1_33reduce_by_key_impl_wrapped_configILNS1_25lookback_scan_determinismE0ES3_S9_NS6_6detail15normal_iteratorINS6_10device_ptrIdEEEESG_SG_SG_PmS8_22is_equal_div_10_reduceIdEEE10hipError_tPvRmT2_T3_mT4_T5_T6_T7_T8_P12ihipStream_tbENKUlT_T0_E_clISt17integral_constantIbLb1EES11_EEDaSW_SX_EUlSW_E_NS1_11comp_targetILNS1_3genE0ELNS1_11target_archE4294967295ELNS1_3gpuE0ELNS1_3repE0EEENS1_30default_config_static_selectorELNS0_4arch9wavefront6targetE1EEEvT1_,@function
_ZN7rocprim17ROCPRIM_400000_NS6detail17trampoline_kernelINS0_14default_configENS1_29reduce_by_key_config_selectorIddN6thrust23THRUST_200600_302600_NS4plusIdEEEEZZNS1_33reduce_by_key_impl_wrapped_configILNS1_25lookback_scan_determinismE0ES3_S9_NS6_6detail15normal_iteratorINS6_10device_ptrIdEEEESG_SG_SG_PmS8_22is_equal_div_10_reduceIdEEE10hipError_tPvRmT2_T3_mT4_T5_T6_T7_T8_P12ihipStream_tbENKUlT_T0_E_clISt17integral_constantIbLb1EES11_EEDaSW_SX_EUlSW_E_NS1_11comp_targetILNS1_3genE0ELNS1_11target_archE4294967295ELNS1_3gpuE0ELNS1_3repE0EEENS1_30default_config_static_selectorELNS0_4arch9wavefront6targetE1EEEvT1_: ; @_ZN7rocprim17ROCPRIM_400000_NS6detail17trampoline_kernelINS0_14default_configENS1_29reduce_by_key_config_selectorIddN6thrust23THRUST_200600_302600_NS4plusIdEEEEZZNS1_33reduce_by_key_impl_wrapped_configILNS1_25lookback_scan_determinismE0ES3_S9_NS6_6detail15normal_iteratorINS6_10device_ptrIdEEEESG_SG_SG_PmS8_22is_equal_div_10_reduceIdEEE10hipError_tPvRmT2_T3_mT4_T5_T6_T7_T8_P12ihipStream_tbENKUlT_T0_E_clISt17integral_constantIbLb1EES11_EEDaSW_SX_EUlSW_E_NS1_11comp_targetILNS1_3genE0ELNS1_11target_archE4294967295ELNS1_3gpuE0ELNS1_3repE0EEENS1_30default_config_static_selectorELNS0_4arch9wavefront6targetE1EEEvT1_
; %bb.0:
	.section	.rodata,"a",@progbits
	.p2align	6, 0x0
	.amdhsa_kernel _ZN7rocprim17ROCPRIM_400000_NS6detail17trampoline_kernelINS0_14default_configENS1_29reduce_by_key_config_selectorIddN6thrust23THRUST_200600_302600_NS4plusIdEEEEZZNS1_33reduce_by_key_impl_wrapped_configILNS1_25lookback_scan_determinismE0ES3_S9_NS6_6detail15normal_iteratorINS6_10device_ptrIdEEEESG_SG_SG_PmS8_22is_equal_div_10_reduceIdEEE10hipError_tPvRmT2_T3_mT4_T5_T6_T7_T8_P12ihipStream_tbENKUlT_T0_E_clISt17integral_constantIbLb1EES11_EEDaSW_SX_EUlSW_E_NS1_11comp_targetILNS1_3genE0ELNS1_11target_archE4294967295ELNS1_3gpuE0ELNS1_3repE0EEENS1_30default_config_static_selectorELNS0_4arch9wavefront6targetE1EEEvT1_
		.amdhsa_group_segment_fixed_size 0
		.amdhsa_private_segment_fixed_size 0
		.amdhsa_kernarg_size 136
		.amdhsa_user_sgpr_count 6
		.amdhsa_user_sgpr_private_segment_buffer 1
		.amdhsa_user_sgpr_dispatch_ptr 0
		.amdhsa_user_sgpr_queue_ptr 0
		.amdhsa_user_sgpr_kernarg_segment_ptr 1
		.amdhsa_user_sgpr_dispatch_id 0
		.amdhsa_user_sgpr_flat_scratch_init 0
		.amdhsa_user_sgpr_kernarg_preload_length 0
		.amdhsa_user_sgpr_kernarg_preload_offset 0
		.amdhsa_user_sgpr_private_segment_size 0
		.amdhsa_uses_dynamic_stack 0
		.amdhsa_system_sgpr_private_segment_wavefront_offset 0
		.amdhsa_system_sgpr_workgroup_id_x 1
		.amdhsa_system_sgpr_workgroup_id_y 0
		.amdhsa_system_sgpr_workgroup_id_z 0
		.amdhsa_system_sgpr_workgroup_info 0
		.amdhsa_system_vgpr_workitem_id 0
		.amdhsa_next_free_vgpr 1
		.amdhsa_next_free_sgpr 0
		.amdhsa_accum_offset 4
		.amdhsa_reserve_vcc 0
		.amdhsa_reserve_flat_scratch 0
		.amdhsa_float_round_mode_32 0
		.amdhsa_float_round_mode_16_64 0
		.amdhsa_float_denorm_mode_32 3
		.amdhsa_float_denorm_mode_16_64 3
		.amdhsa_dx10_clamp 1
		.amdhsa_ieee_mode 1
		.amdhsa_fp16_overflow 0
		.amdhsa_tg_split 0
		.amdhsa_exception_fp_ieee_invalid_op 0
		.amdhsa_exception_fp_denorm_src 0
		.amdhsa_exception_fp_ieee_div_zero 0
		.amdhsa_exception_fp_ieee_overflow 0
		.amdhsa_exception_fp_ieee_underflow 0
		.amdhsa_exception_fp_ieee_inexact 0
		.amdhsa_exception_int_div_zero 0
	.end_amdhsa_kernel
	.section	.text._ZN7rocprim17ROCPRIM_400000_NS6detail17trampoline_kernelINS0_14default_configENS1_29reduce_by_key_config_selectorIddN6thrust23THRUST_200600_302600_NS4plusIdEEEEZZNS1_33reduce_by_key_impl_wrapped_configILNS1_25lookback_scan_determinismE0ES3_S9_NS6_6detail15normal_iteratorINS6_10device_ptrIdEEEESG_SG_SG_PmS8_22is_equal_div_10_reduceIdEEE10hipError_tPvRmT2_T3_mT4_T5_T6_T7_T8_P12ihipStream_tbENKUlT_T0_E_clISt17integral_constantIbLb1EES11_EEDaSW_SX_EUlSW_E_NS1_11comp_targetILNS1_3genE0ELNS1_11target_archE4294967295ELNS1_3gpuE0ELNS1_3repE0EEENS1_30default_config_static_selectorELNS0_4arch9wavefront6targetE1EEEvT1_,"axG",@progbits,_ZN7rocprim17ROCPRIM_400000_NS6detail17trampoline_kernelINS0_14default_configENS1_29reduce_by_key_config_selectorIddN6thrust23THRUST_200600_302600_NS4plusIdEEEEZZNS1_33reduce_by_key_impl_wrapped_configILNS1_25lookback_scan_determinismE0ES3_S9_NS6_6detail15normal_iteratorINS6_10device_ptrIdEEEESG_SG_SG_PmS8_22is_equal_div_10_reduceIdEEE10hipError_tPvRmT2_T3_mT4_T5_T6_T7_T8_P12ihipStream_tbENKUlT_T0_E_clISt17integral_constantIbLb1EES11_EEDaSW_SX_EUlSW_E_NS1_11comp_targetILNS1_3genE0ELNS1_11target_archE4294967295ELNS1_3gpuE0ELNS1_3repE0EEENS1_30default_config_static_selectorELNS0_4arch9wavefront6targetE1EEEvT1_,comdat
.Lfunc_end60:
	.size	_ZN7rocprim17ROCPRIM_400000_NS6detail17trampoline_kernelINS0_14default_configENS1_29reduce_by_key_config_selectorIddN6thrust23THRUST_200600_302600_NS4plusIdEEEEZZNS1_33reduce_by_key_impl_wrapped_configILNS1_25lookback_scan_determinismE0ES3_S9_NS6_6detail15normal_iteratorINS6_10device_ptrIdEEEESG_SG_SG_PmS8_22is_equal_div_10_reduceIdEEE10hipError_tPvRmT2_T3_mT4_T5_T6_T7_T8_P12ihipStream_tbENKUlT_T0_E_clISt17integral_constantIbLb1EES11_EEDaSW_SX_EUlSW_E_NS1_11comp_targetILNS1_3genE0ELNS1_11target_archE4294967295ELNS1_3gpuE0ELNS1_3repE0EEENS1_30default_config_static_selectorELNS0_4arch9wavefront6targetE1EEEvT1_, .Lfunc_end60-_ZN7rocprim17ROCPRIM_400000_NS6detail17trampoline_kernelINS0_14default_configENS1_29reduce_by_key_config_selectorIddN6thrust23THRUST_200600_302600_NS4plusIdEEEEZZNS1_33reduce_by_key_impl_wrapped_configILNS1_25lookback_scan_determinismE0ES3_S9_NS6_6detail15normal_iteratorINS6_10device_ptrIdEEEESG_SG_SG_PmS8_22is_equal_div_10_reduceIdEEE10hipError_tPvRmT2_T3_mT4_T5_T6_T7_T8_P12ihipStream_tbENKUlT_T0_E_clISt17integral_constantIbLb1EES11_EEDaSW_SX_EUlSW_E_NS1_11comp_targetILNS1_3genE0ELNS1_11target_archE4294967295ELNS1_3gpuE0ELNS1_3repE0EEENS1_30default_config_static_selectorELNS0_4arch9wavefront6targetE1EEEvT1_
                                        ; -- End function
	.section	.AMDGPU.csdata,"",@progbits
; Kernel info:
; codeLenInByte = 0
; NumSgprs: 4
; NumVgprs: 0
; NumAgprs: 0
; TotalNumVgprs: 0
; ScratchSize: 0
; MemoryBound: 0
; FloatMode: 240
; IeeeMode: 1
; LDSByteSize: 0 bytes/workgroup (compile time only)
; SGPRBlocks: 0
; VGPRBlocks: 0
; NumSGPRsForWavesPerEU: 4
; NumVGPRsForWavesPerEU: 1
; AccumOffset: 4
; Occupancy: 8
; WaveLimiterHint : 0
; COMPUTE_PGM_RSRC2:SCRATCH_EN: 0
; COMPUTE_PGM_RSRC2:USER_SGPR: 6
; COMPUTE_PGM_RSRC2:TRAP_HANDLER: 0
; COMPUTE_PGM_RSRC2:TGID_X_EN: 1
; COMPUTE_PGM_RSRC2:TGID_Y_EN: 0
; COMPUTE_PGM_RSRC2:TGID_Z_EN: 0
; COMPUTE_PGM_RSRC2:TIDIG_COMP_CNT: 0
; COMPUTE_PGM_RSRC3_GFX90A:ACCUM_OFFSET: 0
; COMPUTE_PGM_RSRC3_GFX90A:TG_SPLIT: 0
	.section	.text._ZN7rocprim17ROCPRIM_400000_NS6detail17trampoline_kernelINS0_14default_configENS1_29reduce_by_key_config_selectorIddN6thrust23THRUST_200600_302600_NS4plusIdEEEEZZNS1_33reduce_by_key_impl_wrapped_configILNS1_25lookback_scan_determinismE0ES3_S9_NS6_6detail15normal_iteratorINS6_10device_ptrIdEEEESG_SG_SG_PmS8_22is_equal_div_10_reduceIdEEE10hipError_tPvRmT2_T3_mT4_T5_T6_T7_T8_P12ihipStream_tbENKUlT_T0_E_clISt17integral_constantIbLb1EES11_EEDaSW_SX_EUlSW_E_NS1_11comp_targetILNS1_3genE5ELNS1_11target_archE942ELNS1_3gpuE9ELNS1_3repE0EEENS1_30default_config_static_selectorELNS0_4arch9wavefront6targetE1EEEvT1_,"axG",@progbits,_ZN7rocprim17ROCPRIM_400000_NS6detail17trampoline_kernelINS0_14default_configENS1_29reduce_by_key_config_selectorIddN6thrust23THRUST_200600_302600_NS4plusIdEEEEZZNS1_33reduce_by_key_impl_wrapped_configILNS1_25lookback_scan_determinismE0ES3_S9_NS6_6detail15normal_iteratorINS6_10device_ptrIdEEEESG_SG_SG_PmS8_22is_equal_div_10_reduceIdEEE10hipError_tPvRmT2_T3_mT4_T5_T6_T7_T8_P12ihipStream_tbENKUlT_T0_E_clISt17integral_constantIbLb1EES11_EEDaSW_SX_EUlSW_E_NS1_11comp_targetILNS1_3genE5ELNS1_11target_archE942ELNS1_3gpuE9ELNS1_3repE0EEENS1_30default_config_static_selectorELNS0_4arch9wavefront6targetE1EEEvT1_,comdat
	.protected	_ZN7rocprim17ROCPRIM_400000_NS6detail17trampoline_kernelINS0_14default_configENS1_29reduce_by_key_config_selectorIddN6thrust23THRUST_200600_302600_NS4plusIdEEEEZZNS1_33reduce_by_key_impl_wrapped_configILNS1_25lookback_scan_determinismE0ES3_S9_NS6_6detail15normal_iteratorINS6_10device_ptrIdEEEESG_SG_SG_PmS8_22is_equal_div_10_reduceIdEEE10hipError_tPvRmT2_T3_mT4_T5_T6_T7_T8_P12ihipStream_tbENKUlT_T0_E_clISt17integral_constantIbLb1EES11_EEDaSW_SX_EUlSW_E_NS1_11comp_targetILNS1_3genE5ELNS1_11target_archE942ELNS1_3gpuE9ELNS1_3repE0EEENS1_30default_config_static_selectorELNS0_4arch9wavefront6targetE1EEEvT1_ ; -- Begin function _ZN7rocprim17ROCPRIM_400000_NS6detail17trampoline_kernelINS0_14default_configENS1_29reduce_by_key_config_selectorIddN6thrust23THRUST_200600_302600_NS4plusIdEEEEZZNS1_33reduce_by_key_impl_wrapped_configILNS1_25lookback_scan_determinismE0ES3_S9_NS6_6detail15normal_iteratorINS6_10device_ptrIdEEEESG_SG_SG_PmS8_22is_equal_div_10_reduceIdEEE10hipError_tPvRmT2_T3_mT4_T5_T6_T7_T8_P12ihipStream_tbENKUlT_T0_E_clISt17integral_constantIbLb1EES11_EEDaSW_SX_EUlSW_E_NS1_11comp_targetILNS1_3genE5ELNS1_11target_archE942ELNS1_3gpuE9ELNS1_3repE0EEENS1_30default_config_static_selectorELNS0_4arch9wavefront6targetE1EEEvT1_
	.globl	_ZN7rocprim17ROCPRIM_400000_NS6detail17trampoline_kernelINS0_14default_configENS1_29reduce_by_key_config_selectorIddN6thrust23THRUST_200600_302600_NS4plusIdEEEEZZNS1_33reduce_by_key_impl_wrapped_configILNS1_25lookback_scan_determinismE0ES3_S9_NS6_6detail15normal_iteratorINS6_10device_ptrIdEEEESG_SG_SG_PmS8_22is_equal_div_10_reduceIdEEE10hipError_tPvRmT2_T3_mT4_T5_T6_T7_T8_P12ihipStream_tbENKUlT_T0_E_clISt17integral_constantIbLb1EES11_EEDaSW_SX_EUlSW_E_NS1_11comp_targetILNS1_3genE5ELNS1_11target_archE942ELNS1_3gpuE9ELNS1_3repE0EEENS1_30default_config_static_selectorELNS0_4arch9wavefront6targetE1EEEvT1_
	.p2align	8
	.type	_ZN7rocprim17ROCPRIM_400000_NS6detail17trampoline_kernelINS0_14default_configENS1_29reduce_by_key_config_selectorIddN6thrust23THRUST_200600_302600_NS4plusIdEEEEZZNS1_33reduce_by_key_impl_wrapped_configILNS1_25lookback_scan_determinismE0ES3_S9_NS6_6detail15normal_iteratorINS6_10device_ptrIdEEEESG_SG_SG_PmS8_22is_equal_div_10_reduceIdEEE10hipError_tPvRmT2_T3_mT4_T5_T6_T7_T8_P12ihipStream_tbENKUlT_T0_E_clISt17integral_constantIbLb1EES11_EEDaSW_SX_EUlSW_E_NS1_11comp_targetILNS1_3genE5ELNS1_11target_archE942ELNS1_3gpuE9ELNS1_3repE0EEENS1_30default_config_static_selectorELNS0_4arch9wavefront6targetE1EEEvT1_,@function
_ZN7rocprim17ROCPRIM_400000_NS6detail17trampoline_kernelINS0_14default_configENS1_29reduce_by_key_config_selectorIddN6thrust23THRUST_200600_302600_NS4plusIdEEEEZZNS1_33reduce_by_key_impl_wrapped_configILNS1_25lookback_scan_determinismE0ES3_S9_NS6_6detail15normal_iteratorINS6_10device_ptrIdEEEESG_SG_SG_PmS8_22is_equal_div_10_reduceIdEEE10hipError_tPvRmT2_T3_mT4_T5_T6_T7_T8_P12ihipStream_tbENKUlT_T0_E_clISt17integral_constantIbLb1EES11_EEDaSW_SX_EUlSW_E_NS1_11comp_targetILNS1_3genE5ELNS1_11target_archE942ELNS1_3gpuE9ELNS1_3repE0EEENS1_30default_config_static_selectorELNS0_4arch9wavefront6targetE1EEEvT1_: ; @_ZN7rocprim17ROCPRIM_400000_NS6detail17trampoline_kernelINS0_14default_configENS1_29reduce_by_key_config_selectorIddN6thrust23THRUST_200600_302600_NS4plusIdEEEEZZNS1_33reduce_by_key_impl_wrapped_configILNS1_25lookback_scan_determinismE0ES3_S9_NS6_6detail15normal_iteratorINS6_10device_ptrIdEEEESG_SG_SG_PmS8_22is_equal_div_10_reduceIdEEE10hipError_tPvRmT2_T3_mT4_T5_T6_T7_T8_P12ihipStream_tbENKUlT_T0_E_clISt17integral_constantIbLb1EES11_EEDaSW_SX_EUlSW_E_NS1_11comp_targetILNS1_3genE5ELNS1_11target_archE942ELNS1_3gpuE9ELNS1_3repE0EEENS1_30default_config_static_selectorELNS0_4arch9wavefront6targetE1EEEvT1_
; %bb.0:
	.section	.rodata,"a",@progbits
	.p2align	6, 0x0
	.amdhsa_kernel _ZN7rocprim17ROCPRIM_400000_NS6detail17trampoline_kernelINS0_14default_configENS1_29reduce_by_key_config_selectorIddN6thrust23THRUST_200600_302600_NS4plusIdEEEEZZNS1_33reduce_by_key_impl_wrapped_configILNS1_25lookback_scan_determinismE0ES3_S9_NS6_6detail15normal_iteratorINS6_10device_ptrIdEEEESG_SG_SG_PmS8_22is_equal_div_10_reduceIdEEE10hipError_tPvRmT2_T3_mT4_T5_T6_T7_T8_P12ihipStream_tbENKUlT_T0_E_clISt17integral_constantIbLb1EES11_EEDaSW_SX_EUlSW_E_NS1_11comp_targetILNS1_3genE5ELNS1_11target_archE942ELNS1_3gpuE9ELNS1_3repE0EEENS1_30default_config_static_selectorELNS0_4arch9wavefront6targetE1EEEvT1_
		.amdhsa_group_segment_fixed_size 0
		.amdhsa_private_segment_fixed_size 0
		.amdhsa_kernarg_size 136
		.amdhsa_user_sgpr_count 6
		.amdhsa_user_sgpr_private_segment_buffer 1
		.amdhsa_user_sgpr_dispatch_ptr 0
		.amdhsa_user_sgpr_queue_ptr 0
		.amdhsa_user_sgpr_kernarg_segment_ptr 1
		.amdhsa_user_sgpr_dispatch_id 0
		.amdhsa_user_sgpr_flat_scratch_init 0
		.amdhsa_user_sgpr_kernarg_preload_length 0
		.amdhsa_user_sgpr_kernarg_preload_offset 0
		.amdhsa_user_sgpr_private_segment_size 0
		.amdhsa_uses_dynamic_stack 0
		.amdhsa_system_sgpr_private_segment_wavefront_offset 0
		.amdhsa_system_sgpr_workgroup_id_x 1
		.amdhsa_system_sgpr_workgroup_id_y 0
		.amdhsa_system_sgpr_workgroup_id_z 0
		.amdhsa_system_sgpr_workgroup_info 0
		.amdhsa_system_vgpr_workitem_id 0
		.amdhsa_next_free_vgpr 1
		.amdhsa_next_free_sgpr 0
		.amdhsa_accum_offset 4
		.amdhsa_reserve_vcc 0
		.amdhsa_reserve_flat_scratch 0
		.amdhsa_float_round_mode_32 0
		.amdhsa_float_round_mode_16_64 0
		.amdhsa_float_denorm_mode_32 3
		.amdhsa_float_denorm_mode_16_64 3
		.amdhsa_dx10_clamp 1
		.amdhsa_ieee_mode 1
		.amdhsa_fp16_overflow 0
		.amdhsa_tg_split 0
		.amdhsa_exception_fp_ieee_invalid_op 0
		.amdhsa_exception_fp_denorm_src 0
		.amdhsa_exception_fp_ieee_div_zero 0
		.amdhsa_exception_fp_ieee_overflow 0
		.amdhsa_exception_fp_ieee_underflow 0
		.amdhsa_exception_fp_ieee_inexact 0
		.amdhsa_exception_int_div_zero 0
	.end_amdhsa_kernel
	.section	.text._ZN7rocprim17ROCPRIM_400000_NS6detail17trampoline_kernelINS0_14default_configENS1_29reduce_by_key_config_selectorIddN6thrust23THRUST_200600_302600_NS4plusIdEEEEZZNS1_33reduce_by_key_impl_wrapped_configILNS1_25lookback_scan_determinismE0ES3_S9_NS6_6detail15normal_iteratorINS6_10device_ptrIdEEEESG_SG_SG_PmS8_22is_equal_div_10_reduceIdEEE10hipError_tPvRmT2_T3_mT4_T5_T6_T7_T8_P12ihipStream_tbENKUlT_T0_E_clISt17integral_constantIbLb1EES11_EEDaSW_SX_EUlSW_E_NS1_11comp_targetILNS1_3genE5ELNS1_11target_archE942ELNS1_3gpuE9ELNS1_3repE0EEENS1_30default_config_static_selectorELNS0_4arch9wavefront6targetE1EEEvT1_,"axG",@progbits,_ZN7rocprim17ROCPRIM_400000_NS6detail17trampoline_kernelINS0_14default_configENS1_29reduce_by_key_config_selectorIddN6thrust23THRUST_200600_302600_NS4plusIdEEEEZZNS1_33reduce_by_key_impl_wrapped_configILNS1_25lookback_scan_determinismE0ES3_S9_NS6_6detail15normal_iteratorINS6_10device_ptrIdEEEESG_SG_SG_PmS8_22is_equal_div_10_reduceIdEEE10hipError_tPvRmT2_T3_mT4_T5_T6_T7_T8_P12ihipStream_tbENKUlT_T0_E_clISt17integral_constantIbLb1EES11_EEDaSW_SX_EUlSW_E_NS1_11comp_targetILNS1_3genE5ELNS1_11target_archE942ELNS1_3gpuE9ELNS1_3repE0EEENS1_30default_config_static_selectorELNS0_4arch9wavefront6targetE1EEEvT1_,comdat
.Lfunc_end61:
	.size	_ZN7rocprim17ROCPRIM_400000_NS6detail17trampoline_kernelINS0_14default_configENS1_29reduce_by_key_config_selectorIddN6thrust23THRUST_200600_302600_NS4plusIdEEEEZZNS1_33reduce_by_key_impl_wrapped_configILNS1_25lookback_scan_determinismE0ES3_S9_NS6_6detail15normal_iteratorINS6_10device_ptrIdEEEESG_SG_SG_PmS8_22is_equal_div_10_reduceIdEEE10hipError_tPvRmT2_T3_mT4_T5_T6_T7_T8_P12ihipStream_tbENKUlT_T0_E_clISt17integral_constantIbLb1EES11_EEDaSW_SX_EUlSW_E_NS1_11comp_targetILNS1_3genE5ELNS1_11target_archE942ELNS1_3gpuE9ELNS1_3repE0EEENS1_30default_config_static_selectorELNS0_4arch9wavefront6targetE1EEEvT1_, .Lfunc_end61-_ZN7rocprim17ROCPRIM_400000_NS6detail17trampoline_kernelINS0_14default_configENS1_29reduce_by_key_config_selectorIddN6thrust23THRUST_200600_302600_NS4plusIdEEEEZZNS1_33reduce_by_key_impl_wrapped_configILNS1_25lookback_scan_determinismE0ES3_S9_NS6_6detail15normal_iteratorINS6_10device_ptrIdEEEESG_SG_SG_PmS8_22is_equal_div_10_reduceIdEEE10hipError_tPvRmT2_T3_mT4_T5_T6_T7_T8_P12ihipStream_tbENKUlT_T0_E_clISt17integral_constantIbLb1EES11_EEDaSW_SX_EUlSW_E_NS1_11comp_targetILNS1_3genE5ELNS1_11target_archE942ELNS1_3gpuE9ELNS1_3repE0EEENS1_30default_config_static_selectorELNS0_4arch9wavefront6targetE1EEEvT1_
                                        ; -- End function
	.section	.AMDGPU.csdata,"",@progbits
; Kernel info:
; codeLenInByte = 0
; NumSgprs: 4
; NumVgprs: 0
; NumAgprs: 0
; TotalNumVgprs: 0
; ScratchSize: 0
; MemoryBound: 0
; FloatMode: 240
; IeeeMode: 1
; LDSByteSize: 0 bytes/workgroup (compile time only)
; SGPRBlocks: 0
; VGPRBlocks: 0
; NumSGPRsForWavesPerEU: 4
; NumVGPRsForWavesPerEU: 1
; AccumOffset: 4
; Occupancy: 8
; WaveLimiterHint : 0
; COMPUTE_PGM_RSRC2:SCRATCH_EN: 0
; COMPUTE_PGM_RSRC2:USER_SGPR: 6
; COMPUTE_PGM_RSRC2:TRAP_HANDLER: 0
; COMPUTE_PGM_RSRC2:TGID_X_EN: 1
; COMPUTE_PGM_RSRC2:TGID_Y_EN: 0
; COMPUTE_PGM_RSRC2:TGID_Z_EN: 0
; COMPUTE_PGM_RSRC2:TIDIG_COMP_CNT: 0
; COMPUTE_PGM_RSRC3_GFX90A:ACCUM_OFFSET: 0
; COMPUTE_PGM_RSRC3_GFX90A:TG_SPLIT: 0
	.section	.text._ZN7rocprim17ROCPRIM_400000_NS6detail17trampoline_kernelINS0_14default_configENS1_29reduce_by_key_config_selectorIddN6thrust23THRUST_200600_302600_NS4plusIdEEEEZZNS1_33reduce_by_key_impl_wrapped_configILNS1_25lookback_scan_determinismE0ES3_S9_NS6_6detail15normal_iteratorINS6_10device_ptrIdEEEESG_SG_SG_PmS8_22is_equal_div_10_reduceIdEEE10hipError_tPvRmT2_T3_mT4_T5_T6_T7_T8_P12ihipStream_tbENKUlT_T0_E_clISt17integral_constantIbLb1EES11_EEDaSW_SX_EUlSW_E_NS1_11comp_targetILNS1_3genE4ELNS1_11target_archE910ELNS1_3gpuE8ELNS1_3repE0EEENS1_30default_config_static_selectorELNS0_4arch9wavefront6targetE1EEEvT1_,"axG",@progbits,_ZN7rocprim17ROCPRIM_400000_NS6detail17trampoline_kernelINS0_14default_configENS1_29reduce_by_key_config_selectorIddN6thrust23THRUST_200600_302600_NS4plusIdEEEEZZNS1_33reduce_by_key_impl_wrapped_configILNS1_25lookback_scan_determinismE0ES3_S9_NS6_6detail15normal_iteratorINS6_10device_ptrIdEEEESG_SG_SG_PmS8_22is_equal_div_10_reduceIdEEE10hipError_tPvRmT2_T3_mT4_T5_T6_T7_T8_P12ihipStream_tbENKUlT_T0_E_clISt17integral_constantIbLb1EES11_EEDaSW_SX_EUlSW_E_NS1_11comp_targetILNS1_3genE4ELNS1_11target_archE910ELNS1_3gpuE8ELNS1_3repE0EEENS1_30default_config_static_selectorELNS0_4arch9wavefront6targetE1EEEvT1_,comdat
	.protected	_ZN7rocprim17ROCPRIM_400000_NS6detail17trampoline_kernelINS0_14default_configENS1_29reduce_by_key_config_selectorIddN6thrust23THRUST_200600_302600_NS4plusIdEEEEZZNS1_33reduce_by_key_impl_wrapped_configILNS1_25lookback_scan_determinismE0ES3_S9_NS6_6detail15normal_iteratorINS6_10device_ptrIdEEEESG_SG_SG_PmS8_22is_equal_div_10_reduceIdEEE10hipError_tPvRmT2_T3_mT4_T5_T6_T7_T8_P12ihipStream_tbENKUlT_T0_E_clISt17integral_constantIbLb1EES11_EEDaSW_SX_EUlSW_E_NS1_11comp_targetILNS1_3genE4ELNS1_11target_archE910ELNS1_3gpuE8ELNS1_3repE0EEENS1_30default_config_static_selectorELNS0_4arch9wavefront6targetE1EEEvT1_ ; -- Begin function _ZN7rocprim17ROCPRIM_400000_NS6detail17trampoline_kernelINS0_14default_configENS1_29reduce_by_key_config_selectorIddN6thrust23THRUST_200600_302600_NS4plusIdEEEEZZNS1_33reduce_by_key_impl_wrapped_configILNS1_25lookback_scan_determinismE0ES3_S9_NS6_6detail15normal_iteratorINS6_10device_ptrIdEEEESG_SG_SG_PmS8_22is_equal_div_10_reduceIdEEE10hipError_tPvRmT2_T3_mT4_T5_T6_T7_T8_P12ihipStream_tbENKUlT_T0_E_clISt17integral_constantIbLb1EES11_EEDaSW_SX_EUlSW_E_NS1_11comp_targetILNS1_3genE4ELNS1_11target_archE910ELNS1_3gpuE8ELNS1_3repE0EEENS1_30default_config_static_selectorELNS0_4arch9wavefront6targetE1EEEvT1_
	.globl	_ZN7rocprim17ROCPRIM_400000_NS6detail17trampoline_kernelINS0_14default_configENS1_29reduce_by_key_config_selectorIddN6thrust23THRUST_200600_302600_NS4plusIdEEEEZZNS1_33reduce_by_key_impl_wrapped_configILNS1_25lookback_scan_determinismE0ES3_S9_NS6_6detail15normal_iteratorINS6_10device_ptrIdEEEESG_SG_SG_PmS8_22is_equal_div_10_reduceIdEEE10hipError_tPvRmT2_T3_mT4_T5_T6_T7_T8_P12ihipStream_tbENKUlT_T0_E_clISt17integral_constantIbLb1EES11_EEDaSW_SX_EUlSW_E_NS1_11comp_targetILNS1_3genE4ELNS1_11target_archE910ELNS1_3gpuE8ELNS1_3repE0EEENS1_30default_config_static_selectorELNS0_4arch9wavefront6targetE1EEEvT1_
	.p2align	8
	.type	_ZN7rocprim17ROCPRIM_400000_NS6detail17trampoline_kernelINS0_14default_configENS1_29reduce_by_key_config_selectorIddN6thrust23THRUST_200600_302600_NS4plusIdEEEEZZNS1_33reduce_by_key_impl_wrapped_configILNS1_25lookback_scan_determinismE0ES3_S9_NS6_6detail15normal_iteratorINS6_10device_ptrIdEEEESG_SG_SG_PmS8_22is_equal_div_10_reduceIdEEE10hipError_tPvRmT2_T3_mT4_T5_T6_T7_T8_P12ihipStream_tbENKUlT_T0_E_clISt17integral_constantIbLb1EES11_EEDaSW_SX_EUlSW_E_NS1_11comp_targetILNS1_3genE4ELNS1_11target_archE910ELNS1_3gpuE8ELNS1_3repE0EEENS1_30default_config_static_selectorELNS0_4arch9wavefront6targetE1EEEvT1_,@function
_ZN7rocprim17ROCPRIM_400000_NS6detail17trampoline_kernelINS0_14default_configENS1_29reduce_by_key_config_selectorIddN6thrust23THRUST_200600_302600_NS4plusIdEEEEZZNS1_33reduce_by_key_impl_wrapped_configILNS1_25lookback_scan_determinismE0ES3_S9_NS6_6detail15normal_iteratorINS6_10device_ptrIdEEEESG_SG_SG_PmS8_22is_equal_div_10_reduceIdEEE10hipError_tPvRmT2_T3_mT4_T5_T6_T7_T8_P12ihipStream_tbENKUlT_T0_E_clISt17integral_constantIbLb1EES11_EEDaSW_SX_EUlSW_E_NS1_11comp_targetILNS1_3genE4ELNS1_11target_archE910ELNS1_3gpuE8ELNS1_3repE0EEENS1_30default_config_static_selectorELNS0_4arch9wavefront6targetE1EEEvT1_: ; @_ZN7rocprim17ROCPRIM_400000_NS6detail17trampoline_kernelINS0_14default_configENS1_29reduce_by_key_config_selectorIddN6thrust23THRUST_200600_302600_NS4plusIdEEEEZZNS1_33reduce_by_key_impl_wrapped_configILNS1_25lookback_scan_determinismE0ES3_S9_NS6_6detail15normal_iteratorINS6_10device_ptrIdEEEESG_SG_SG_PmS8_22is_equal_div_10_reduceIdEEE10hipError_tPvRmT2_T3_mT4_T5_T6_T7_T8_P12ihipStream_tbENKUlT_T0_E_clISt17integral_constantIbLb1EES11_EEDaSW_SX_EUlSW_E_NS1_11comp_targetILNS1_3genE4ELNS1_11target_archE910ELNS1_3gpuE8ELNS1_3repE0EEENS1_30default_config_static_selectorELNS0_4arch9wavefront6targetE1EEEvT1_
; %bb.0:
	s_load_dwordx8 s[52:59], s[4:5], 0x0
	s_load_dwordx4 s[60:63], s[4:5], 0x20
	s_load_dwordx2 s[64:65], s[4:5], 0x78
	v_cmp_ne_u32_e64 s[2:3], 0, v0
	v_cmp_eq_u32_e64 s[0:1], 0, v0
	s_and_saveexec_b64 s[6:7], s[0:1]
	s_cbranch_execz .LBB62_4
; %bb.1:
	s_mov_b64 s[10:11], exec
	v_mbcnt_lo_u32_b32 v1, s10, 0
	v_mbcnt_hi_u32_b32 v1, s11, v1
	v_cmp_eq_u32_e32 vcc, 0, v1
                                        ; implicit-def: $vgpr2
	s_and_saveexec_b64 s[8:9], vcc
	s_cbranch_execz .LBB62_3
; %bb.2:
	s_load_dwordx2 s[12:13], s[4:5], 0x80
	s_bcnt1_i32_b64 s10, s[10:11]
	v_mov_b32_e32 v2, 0
	v_mov_b32_e32 v3, s10
	s_waitcnt lgkmcnt(0)
	global_atomic_add v2, v2, v3, s[12:13] glc
.LBB62_3:
	s_or_b64 exec, exec, s[8:9]
	s_waitcnt vmcnt(0)
	v_readfirstlane_b32 s8, v2
	v_add_u32_e32 v1, s8, v1
	v_mov_b32_e32 v2, 0
	ds_write_b32 v2, v1
.LBB62_4:
	s_or_b64 exec, exec, s[6:7]
	s_load_dwordx16 s[36:51], s[4:5], 0x38
	v_mov_b32_e32 v3, 0
	s_waitcnt lgkmcnt(0)
	s_lshl_b64 s[4:5], s[54:55], 3
	s_barrier
	ds_read_b32 v1, v3
	s_add_u32 s6, s52, s4
	s_addc_u32 s7, s53, s5
	s_add_u32 s4, s56, s4
	s_mul_i32 s8, s44, s43
	s_mul_hi_u32 s9, s44, s42
	s_addc_u32 s5, s57, s5
	s_add_i32 s8, s9, s8
	s_mul_i32 s9, s45, s42
	s_add_i32 s8, s8, s9
	s_mul_i32 s9, s44, s42
	s_waitcnt lgkmcnt(0)
	v_readfirstlane_b32 s56, v1
	s_movk_i32 s10, 0xf00
	v_mul_lo_u32 v2, v1, s10
	s_add_u32 s52, s9, s56
	v_lshlrev_b64 v[2:3], 3, v[2:3]
	s_addc_u32 s53, s8, 0
	v_mov_b32_e32 v1, s7
	v_add_co_u32_e32 v74, vcc, s6, v2
	s_add_u32 s6, s46, -1
	v_addc_co_u32_e32 v78, vcc, v1, v3, vcc
	s_addc_u32 s7, s47, -1
	v_mov_b32_e32 v4, s5
	v_add_co_u32_e32 v1, vcc, s4, v2
	s_cmp_eq_u64 s[52:53], s[6:7]
	v_addc_co_u32_e32 v62, vcc, v4, v3, vcc
	s_cselect_b64 s[44:45], -1, 0
	s_cmp_lg_u64 s[52:53], s[6:7]
	s_mov_b64 s[4:5], -1
	s_cselect_b64 s[54:55], -1, 0
	s_mul_i32 s33, s6, 0xfffff100
	s_and_b64 vcc, exec, s[44:45]
	s_barrier
	s_cbranch_vccnz .LBB62_6
; %bb.5:
	v_lshlrev_b32_e32 v65, 3, v0
	v_add_co_u32_e32 v2, vcc, v74, v65
	v_addc_co_u32_e32 v3, vcc, 0, v78, vcc
	v_add_co_u32_e32 v4, vcc, 0x1000, v2
	v_addc_co_u32_e32 v5, vcc, 0, v3, vcc
	flat_load_dwordx2 v[6:7], v[2:3]
	flat_load_dwordx2 v[8:9], v[2:3] offset:2048
	flat_load_dwordx2 v[10:11], v[4:5]
	flat_load_dwordx2 v[12:13], v[4:5] offset:2048
	v_add_co_u32_e32 v4, vcc, 0x2000, v2
	v_addc_co_u32_e32 v5, vcc, 0, v3, vcc
	v_add_co_u32_e32 v14, vcc, 0x3000, v2
	v_addc_co_u32_e32 v15, vcc, 0, v3, vcc
	flat_load_dwordx2 v[16:17], v[4:5]
	flat_load_dwordx2 v[18:19], v[4:5] offset:2048
	flat_load_dwordx2 v[20:21], v[14:15]
	flat_load_dwordx2 v[22:23], v[14:15] offset:2048
	;; [unrolled: 8-line block ×3, first 2 shown]
	v_add_co_u32_e32 v4, vcc, 0x6000, v2
	v_addc_co_u32_e32 v5, vcc, 0, v3, vcc
	v_add_co_u32_e32 v2, vcc, 0x7000, v2
	v_addc_co_u32_e32 v3, vcc, 0, v3, vcc
	flat_load_dwordx2 v[14:15], v[4:5]
	flat_load_dwordx2 v[32:33], v[4:5] offset:2048
	flat_load_dwordx2 v[34:35], v[2:3]
	v_add_co_u32_e32 v36, vcc, v1, v65
	s_movk_i32 s4, 0x1000
	v_addc_co_u32_e32 v37, vcc, 0, v62, vcc
	s_movk_i32 s11, 0x70
	s_movk_i32 s5, 0x2000
	v_mad_u32_u24 v63, v0, s11, v65
	s_movk_i32 s6, 0x3000
	s_movk_i32 s7, 0x4000
	;; [unrolled: 1-line block ×5, first 2 shown]
	v_mul_u32_u24_e32 v64, 15, v0
	s_waitcnt vmcnt(0) lgkmcnt(0)
	ds_write2st64_b64 v65, v[6:7], v[8:9] offset1:4
	ds_write2st64_b64 v65, v[10:11], v[12:13] offset0:8 offset1:12
	ds_write2st64_b64 v65, v[16:17], v[18:19] offset0:16 offset1:20
	;; [unrolled: 1-line block ×6, first 2 shown]
	ds_write_b64 v65, v[34:35] offset:28672
	v_add_co_u32_e32 v30, vcc, s4, v36
	v_addc_co_u32_e32 v31, vcc, 0, v37, vcc
	s_waitcnt lgkmcnt(0)
	s_barrier
	ds_read2_b64 v[26:29], v63 offset1:1
	ds_read2_b64 v[22:25], v63 offset0:2 offset1:3
	ds_read2_b64 v[18:21], v63 offset0:4 offset1:5
	;; [unrolled: 1-line block ×6, first 2 shown]
	ds_read_b64 v[58:59], v63 offset:112
	s_waitcnt lgkmcnt(0)
	s_barrier
	flat_load_dwordx2 v[32:33], v[36:37]
	flat_load_dwordx2 v[34:35], v[36:37] offset:2048
	flat_load_dwordx2 v[38:39], v[30:31]
	flat_load_dwordx2 v[40:41], v[30:31] offset:2048
	v_add_co_u32_e32 v30, vcc, s5, v36
	v_addc_co_u32_e32 v31, vcc, 0, v37, vcc
	v_add_co_u32_e32 v42, vcc, s6, v36
	v_addc_co_u32_e32 v43, vcc, 0, v37, vcc
	flat_load_dwordx2 v[44:45], v[30:31]
	flat_load_dwordx2 v[46:47], v[30:31] offset:2048
	flat_load_dwordx2 v[48:49], v[42:43]
	flat_load_dwordx2 v[50:51], v[42:43] offset:2048
	v_add_co_u32_e32 v30, vcc, s7, v36
	v_addc_co_u32_e32 v31, vcc, 0, v37, vcc
	v_add_co_u32_e32 v42, vcc, s8, v36
	v_addc_co_u32_e32 v43, vcc, 0, v37, vcc
	;; [unrolled: 8-line block ×3, first 2 shown]
	flat_load_dwordx2 v[42:43], v[30:31]
	flat_load_dwordx2 v[66:67], v[30:31] offset:2048
	flat_load_dwordx2 v[68:69], v[36:37]
	s_waitcnt vmcnt(0) lgkmcnt(0)
	ds_write2st64_b64 v65, v[32:33], v[34:35] offset1:4
	ds_write2st64_b64 v65, v[38:39], v[40:41] offset0:8 offset1:12
	ds_write2st64_b64 v65, v[44:45], v[46:47] offset0:16 offset1:20
	;; [unrolled: 1-line block ×6, first 2 shown]
	ds_write_b64 v65, v[68:69] offset:28672
	s_waitcnt lgkmcnt(0)
	s_barrier
	s_add_i32 s33, s33, s48
	s_cbranch_execz .LBB62_7
	s_branch .LBB62_54
.LBB62_6:
                                        ; implicit-def: $vgpr2_vgpr3_vgpr4_vgpr5
                                        ; implicit-def: $vgpr6_vgpr7_vgpr8_vgpr9
                                        ; implicit-def: $vgpr10_vgpr11_vgpr12_vgpr13
                                        ; implicit-def: $vgpr14_vgpr15_vgpr16_vgpr17
                                        ; implicit-def: $vgpr18_vgpr19_vgpr20_vgpr21
                                        ; implicit-def: $vgpr22_vgpr23_vgpr24_vgpr25
                                        ; implicit-def: $vgpr26_vgpr27_vgpr28_vgpr29
                                        ; implicit-def: $vgpr64
                                        ; implicit-def: $vgpr63
                                        ; implicit-def: $vgpr58_vgpr59
	s_andn2_b64 vcc, exec, s[4:5]
	s_add_i32 s33, s33, s48
	s_cbranch_vccnz .LBB62_54
.LBB62_7:
	v_cmp_gt_u32_e32 vcc, s33, v0
                                        ; implicit-def: $vgpr2_vgpr3
	s_and_saveexec_b64 s[6:7], vcc
	s_cbranch_execz .LBB62_9
; %bb.8:
	v_lshlrev_b32_e32 v2, 3, v0
	v_add_co_u32_e64 v2, s[4:5], v74, v2
	v_addc_co_u32_e64 v3, s[4:5], 0, v78, s[4:5]
	flat_load_dwordx2 v[2:3], v[2:3]
.LBB62_9:
	s_or_b64 exec, exec, s[6:7]
	v_or_b32_e32 v4, 0x100, v0
	v_cmp_gt_u32_e64 s[4:5], s33, v4
                                        ; implicit-def: $vgpr4_vgpr5
	s_and_saveexec_b64 s[8:9], s[4:5]
	s_cbranch_execz .LBB62_11
; %bb.10:
	v_lshlrev_b32_e32 v4, 3, v0
	v_add_co_u32_e64 v4, s[6:7], v74, v4
	v_addc_co_u32_e64 v5, s[6:7], 0, v78, s[6:7]
	flat_load_dwordx2 v[4:5], v[4:5] offset:2048
.LBB62_11:
	s_or_b64 exec, exec, s[8:9]
	v_or_b32_e32 v36, 0x200, v0
	v_cmp_gt_u32_e64 s[6:7], s33, v36
                                        ; implicit-def: $vgpr6_vgpr7
	s_and_saveexec_b64 s[10:11], s[6:7]
	s_cbranch_execz .LBB62_13
; %bb.12:
	v_lshlrev_b32_e32 v6, 3, v36
	v_add_co_u32_e64 v6, s[8:9], v74, v6
	v_addc_co_u32_e64 v7, s[8:9], 0, v78, s[8:9]
	flat_load_dwordx2 v[6:7], v[6:7]
.LBB62_13:
	s_or_b64 exec, exec, s[10:11]
	v_or_b32_e32 v38, 0x300, v0
	v_cmp_gt_u32_e64 s[8:9], s33, v38
                                        ; implicit-def: $vgpr8_vgpr9
	s_and_saveexec_b64 s[12:13], s[8:9]
	s_cbranch_execz .LBB62_15
; %bb.14:
	v_lshlrev_b32_e32 v8, 3, v38
	v_add_co_u32_e64 v8, s[10:11], v74, v8
	v_addc_co_u32_e64 v9, s[10:11], 0, v78, s[10:11]
	flat_load_dwordx2 v[8:9], v[8:9]
.LBB62_15:
	s_or_b64 exec, exec, s[12:13]
	v_or_b32_e32 v40, 0x400, v0
	v_cmp_gt_u32_e64 s[10:11], s33, v40
                                        ; implicit-def: $vgpr10_vgpr11
	s_and_saveexec_b64 s[14:15], s[10:11]
	s_cbranch_execz .LBB62_17
; %bb.16:
	v_lshlrev_b32_e32 v10, 3, v40
	v_add_co_u32_e64 v10, s[12:13], v74, v10
	v_addc_co_u32_e64 v11, s[12:13], 0, v78, s[12:13]
	flat_load_dwordx2 v[10:11], v[10:11]
.LBB62_17:
	s_or_b64 exec, exec, s[14:15]
	v_or_b32_e32 v42, 0x500, v0
	v_cmp_gt_u32_e64 s[12:13], s33, v42
                                        ; implicit-def: $vgpr12_vgpr13
	s_and_saveexec_b64 s[16:17], s[12:13]
	s_cbranch_execz .LBB62_19
; %bb.18:
	v_lshlrev_b32_e32 v12, 3, v42
	v_add_co_u32_e64 v12, s[14:15], v74, v12
	v_addc_co_u32_e64 v13, s[14:15], 0, v78, s[14:15]
	flat_load_dwordx2 v[12:13], v[12:13]
.LBB62_19:
	s_or_b64 exec, exec, s[16:17]
	v_or_b32_e32 v44, 0x600, v0
	v_cmp_gt_u32_e64 s[14:15], s33, v44
                                        ; implicit-def: $vgpr14_vgpr15
	s_and_saveexec_b64 s[18:19], s[14:15]
	s_cbranch_execz .LBB62_21
; %bb.20:
	v_lshlrev_b32_e32 v14, 3, v44
	v_add_co_u32_e64 v14, s[16:17], v74, v14
	v_addc_co_u32_e64 v15, s[16:17], 0, v78, s[16:17]
	flat_load_dwordx2 v[14:15], v[14:15]
.LBB62_21:
	s_or_b64 exec, exec, s[18:19]
	v_or_b32_e32 v46, 0x700, v0
	v_cmp_gt_u32_e64 s[16:17], s33, v46
                                        ; implicit-def: $vgpr16_vgpr17
	s_and_saveexec_b64 s[20:21], s[16:17]
	s_cbranch_execz .LBB62_23
; %bb.22:
	v_lshlrev_b32_e32 v16, 3, v46
	v_add_co_u32_e64 v16, s[18:19], v74, v16
	v_addc_co_u32_e64 v17, s[18:19], 0, v78, s[18:19]
	flat_load_dwordx2 v[16:17], v[16:17]
.LBB62_23:
	s_or_b64 exec, exec, s[20:21]
	v_or_b32_e32 v48, 0x800, v0
	v_cmp_gt_u32_e64 s[18:19], s33, v48
                                        ; implicit-def: $vgpr18_vgpr19
	s_and_saveexec_b64 s[22:23], s[18:19]
	s_cbranch_execz .LBB62_25
; %bb.24:
	v_lshlrev_b32_e32 v18, 3, v48
	v_add_co_u32_e64 v18, s[20:21], v74, v18
	v_addc_co_u32_e64 v19, s[20:21], 0, v78, s[20:21]
	flat_load_dwordx2 v[18:19], v[18:19]
.LBB62_25:
	s_or_b64 exec, exec, s[22:23]
	v_or_b32_e32 v50, 0x900, v0
	v_cmp_gt_u32_e64 s[20:21], s33, v50
                                        ; implicit-def: $vgpr20_vgpr21
	s_and_saveexec_b64 s[24:25], s[20:21]
	s_cbranch_execz .LBB62_27
; %bb.26:
	v_lshlrev_b32_e32 v20, 3, v50
	v_add_co_u32_e64 v20, s[22:23], v74, v20
	v_addc_co_u32_e64 v21, s[22:23], 0, v78, s[22:23]
	flat_load_dwordx2 v[20:21], v[20:21]
.LBB62_27:
	s_or_b64 exec, exec, s[24:25]
	v_or_b32_e32 v52, 0xa00, v0
	v_cmp_gt_u32_e64 s[22:23], s33, v52
                                        ; implicit-def: $vgpr22_vgpr23
	s_and_saveexec_b64 s[26:27], s[22:23]
	s_cbranch_execz .LBB62_29
; %bb.28:
	v_lshlrev_b32_e32 v22, 3, v52
	v_add_co_u32_e64 v22, s[24:25], v74, v22
	v_addc_co_u32_e64 v23, s[24:25], 0, v78, s[24:25]
	flat_load_dwordx2 v[22:23], v[22:23]
.LBB62_29:
	s_or_b64 exec, exec, s[26:27]
	v_or_b32_e32 v54, 0xb00, v0
	v_cmp_gt_u32_e64 s[24:25], s33, v54
                                        ; implicit-def: $vgpr24_vgpr25
	s_and_saveexec_b64 s[28:29], s[24:25]
	s_cbranch_execz .LBB62_31
; %bb.30:
	v_lshlrev_b32_e32 v24, 3, v54
	v_add_co_u32_e64 v24, s[26:27], v74, v24
	v_addc_co_u32_e64 v25, s[26:27], 0, v78, s[26:27]
	flat_load_dwordx2 v[24:25], v[24:25]
.LBB62_31:
	s_or_b64 exec, exec, s[28:29]
	v_or_b32_e32 v56, 0xc00, v0
	v_cmp_gt_u32_e64 s[26:27], s33, v56
                                        ; implicit-def: $vgpr26_vgpr27
	s_and_saveexec_b64 s[30:31], s[26:27]
	s_cbranch_execz .LBB62_33
; %bb.32:
	v_lshlrev_b32_e32 v26, 3, v56
	v_add_co_u32_e64 v26, s[28:29], v74, v26
	v_addc_co_u32_e64 v27, s[28:29], 0, v78, s[28:29]
	flat_load_dwordx2 v[26:27], v[26:27]
.LBB62_33:
	s_or_b64 exec, exec, s[30:31]
	v_or_b32_e32 v60, 0xd00, v0
	v_cmp_gt_u32_e64 s[28:29], s33, v60
                                        ; implicit-def: $vgpr28_vgpr29
	s_and_saveexec_b64 s[34:35], s[28:29]
	s_cbranch_execz .LBB62_35
; %bb.34:
	v_lshlrev_b32_e32 v28, 3, v60
	v_add_co_u32_e64 v28, s[30:31], v74, v28
	v_addc_co_u32_e64 v29, s[30:31], 0, v78, s[30:31]
	flat_load_dwordx2 v[28:29], v[28:29]
.LBB62_35:
	s_or_b64 exec, exec, s[34:35]
	v_or_b32_e32 v64, 0xe00, v0
	v_cmp_gt_u32_e64 s[30:31], s33, v64
                                        ; implicit-def: $vgpr30_vgpr31
	s_and_saveexec_b64 s[46:47], s[30:31]
	s_cbranch_execz .LBB62_37
; %bb.36:
	v_lshlrev_b32_e32 v30, 3, v64
	v_add_co_u32_e64 v30, s[34:35], v74, v30
	v_addc_co_u32_e64 v31, s[34:35], 0, v78, s[34:35]
	flat_load_dwordx2 v[30:31], v[30:31]
.LBB62_37:
	s_or_b64 exec, exec, s[46:47]
	v_lshlrev_b32_e32 v65, 3, v0
	s_movk_i32 s34, 0x70
	v_mad_u32_u24 v63, v0, s34, v65
	s_waitcnt vmcnt(0) lgkmcnt(0)
	ds_write2st64_b64 v65, v[2:3], v[4:5] offset1:4
	ds_write2st64_b64 v65, v[6:7], v[8:9] offset0:8 offset1:12
	ds_write2st64_b64 v65, v[10:11], v[12:13] offset0:16 offset1:20
	;; [unrolled: 1-line block ×6, first 2 shown]
	ds_write_b64 v65, v[30:31] offset:28672
	s_waitcnt lgkmcnt(0)
	s_barrier
	ds_read2_b64 v[26:29], v63 offset1:1
	ds_read2_b64 v[22:25], v63 offset0:2 offset1:3
	ds_read2_b64 v[18:21], v63 offset0:4 offset1:5
	;; [unrolled: 1-line block ×6, first 2 shown]
	ds_read_b64 v[58:59], v63 offset:112
	s_waitcnt lgkmcnt(0)
	s_barrier
	s_waitcnt lgkmcnt(0)
                                        ; implicit-def: $vgpr30_vgpr31
	s_and_saveexec_b64 s[34:35], vcc
	s_cbranch_execnz .LBB62_61
; %bb.38:
	s_or_b64 exec, exec, s[34:35]
                                        ; implicit-def: $vgpr32_vgpr33
	s_and_saveexec_b64 s[34:35], s[4:5]
	s_cbranch_execnz .LBB62_62
.LBB62_39:
	s_or_b64 exec, exec, s[34:35]
                                        ; implicit-def: $vgpr34_vgpr35
	s_and_saveexec_b64 s[4:5], s[6:7]
	s_cbranch_execnz .LBB62_63
.LBB62_40:
	s_or_b64 exec, exec, s[4:5]
                                        ; implicit-def: $vgpr36_vgpr37
	s_and_saveexec_b64 s[4:5], s[8:9]
	s_cbranch_execnz .LBB62_64
.LBB62_41:
	s_or_b64 exec, exec, s[4:5]
                                        ; implicit-def: $vgpr38_vgpr39
	s_and_saveexec_b64 s[4:5], s[10:11]
	s_cbranch_execnz .LBB62_65
.LBB62_42:
	s_or_b64 exec, exec, s[4:5]
                                        ; implicit-def: $vgpr40_vgpr41
	s_and_saveexec_b64 s[4:5], s[12:13]
	s_cbranch_execnz .LBB62_66
.LBB62_43:
	s_or_b64 exec, exec, s[4:5]
                                        ; implicit-def: $vgpr42_vgpr43
	s_and_saveexec_b64 s[4:5], s[14:15]
	s_cbranch_execnz .LBB62_67
.LBB62_44:
	s_or_b64 exec, exec, s[4:5]
                                        ; implicit-def: $vgpr44_vgpr45
	s_and_saveexec_b64 s[4:5], s[16:17]
	s_cbranch_execnz .LBB62_68
.LBB62_45:
	s_or_b64 exec, exec, s[4:5]
                                        ; implicit-def: $vgpr46_vgpr47
	s_and_saveexec_b64 s[4:5], s[18:19]
	s_cbranch_execnz .LBB62_69
.LBB62_46:
	s_or_b64 exec, exec, s[4:5]
                                        ; implicit-def: $vgpr48_vgpr49
	s_and_saveexec_b64 s[4:5], s[20:21]
	s_cbranch_execnz .LBB62_70
.LBB62_47:
	s_or_b64 exec, exec, s[4:5]
                                        ; implicit-def: $vgpr50_vgpr51
	s_and_saveexec_b64 s[4:5], s[22:23]
	s_cbranch_execnz .LBB62_71
.LBB62_48:
	s_or_b64 exec, exec, s[4:5]
                                        ; implicit-def: $vgpr52_vgpr53
	s_and_saveexec_b64 s[4:5], s[24:25]
	s_cbranch_execnz .LBB62_72
.LBB62_49:
	s_or_b64 exec, exec, s[4:5]
                                        ; implicit-def: $vgpr54_vgpr55
	s_and_saveexec_b64 s[4:5], s[26:27]
	s_cbranch_execnz .LBB62_73
.LBB62_50:
	s_or_b64 exec, exec, s[4:5]
                                        ; implicit-def: $vgpr56_vgpr57
	s_and_saveexec_b64 s[4:5], s[28:29]
	s_cbranch_execnz .LBB62_74
.LBB62_51:
	s_or_b64 exec, exec, s[4:5]
                                        ; implicit-def: $vgpr60_vgpr61
	s_and_saveexec_b64 s[4:5], s[30:31]
	s_cbranch_execz .LBB62_53
.LBB62_52:
	v_lshlrev_b32_e32 v60, 3, v64
	v_add_co_u32_e32 v60, vcc, v1, v60
	v_addc_co_u32_e32 v61, vcc, 0, v62, vcc
	flat_load_dwordx2 v[60:61], v[60:61]
.LBB62_53:
	s_or_b64 exec, exec, s[4:5]
	v_mul_u32_u24_e32 v64, 15, v0
	s_waitcnt vmcnt(0) lgkmcnt(0)
	ds_write2st64_b64 v65, v[30:31], v[32:33] offset1:4
	ds_write2st64_b64 v65, v[34:35], v[36:37] offset0:8 offset1:12
	ds_write2st64_b64 v65, v[38:39], v[40:41] offset0:16 offset1:20
	;; [unrolled: 1-line block ×6, first 2 shown]
	ds_write_b64 v65, v[60:61] offset:28672
	s_waitcnt lgkmcnt(0)
	s_barrier
.LBB62_54:
	v_lshlrev_b32_e32 v1, 3, v64
	ds_read2_b64 v[50:53], v63 offset1:2
	ds_read2_b64 v[42:45], v63 offset0:4 offset1:6
	ds_read2_b64 v[54:57], v1 offset0:1 offset1:3
	;; [unrolled: 1-line block ×6, first 2 shown]
	ds_read_b64 v[72:73], v1 offset:104
	s_cmp_eq_u64 s[52:53], 0
	s_cselect_b64 s[46:47], -1, 0
	s_cmp_lg_u64 s[52:53], 0
	s_mov_b64 s[4:5], 0
	s_cselect_b64 s[30:31], -1, 0
	s_and_b64 vcc, exec, s[54:55]
	s_waitcnt lgkmcnt(0)
	s_barrier
	s_cbranch_vccz .LBB62_60
; %bb.55:
	s_and_b64 vcc, exec, s[30:31]
	s_cbranch_vccz .LBB62_75
; %bb.56:
	v_add_co_u32_e32 v60, vcc, -8, v74
	v_addc_co_u32_e32 v61, vcc, -1, v78, vcc
	flat_load_dwordx2 v[76:77], v[60:61]
	v_cvt_i32_f64_e32 v60, v[4:5]
	s_mov_b32 s54, 0x66666667
	v_mul_hi_i32 v60, v60, s54
	v_lshrrev_b32_e32 v61, 31, v60
	v_ashrrev_i32_e32 v60, 2, v60
	v_add_u32_e32 v60, v60, v61
	v_cvt_i32_f64_e32 v61, v[58:59]
	v_mul_hi_i32 v61, v61, s54
	v_lshrrev_b32_e32 v62, 31, v61
	v_ashrrev_i32_e32 v61, 2, v61
	v_add_u32_e32 v61, v61, v62
	v_cmp_ne_u32_e32 vcc, v60, v61
	v_cvt_i32_f64_e32 v61, v[2:3]
	v_mul_hi_i32 v61, v61, s54
	v_lshrrev_b32_e32 v62, 31, v61
	v_ashrrev_i32_e32 v61, 2, v61
	v_add_u32_e32 v61, v61, v62
	v_cmp_ne_u32_e64 s[4:5], v61, v60
	v_cvt_i32_f64_e32 v60, v[8:9]
	v_mul_hi_i32 v60, v60, s54
	v_lshrrev_b32_e32 v62, 31, v60
	v_ashrrev_i32_e32 v60, 2, v60
	v_add_u32_e32 v60, v60, v62
	v_cmp_ne_u32_e64 s[6:7], v60, v61
	;; [unrolled: 6-line block ×11, first 2 shown]
	v_cvt_i32_f64_e32 v60, v[28:29]
	v_mul_hi_i32 v60, v60, s54
	v_lshrrev_b32_e32 v62, 31, v60
	v_ashrrev_i32_e32 v60, 2, v60
	v_add_u32_e32 v62, v60, v62
	v_cvt_i32_f64_e32 v60, v[26:27]
	v_mul_hi_i32 v60, v60, s54
	v_cmp_ne_u32_e64 s[26:27], v62, v61
	v_lshrrev_b32_e32 v61, 31, v60
	v_ashrrev_i32_e32 v60, 2, v60
	v_add_u32_e32 v60, v60, v61
	v_lshlrev_b32_e32 v1, 3, v0
	v_cmp_ne_u32_e64 s[28:29], v60, v62
	ds_write_b64 v1, v[58:59]
	s_waitcnt lgkmcnt(0)
	s_barrier
	s_and_saveexec_b64 s[34:35], s[2:3]
	s_cbranch_execz .LBB62_58
; %bb.57:
	v_add_u32_e32 v1, -8, v1
	s_waitcnt vmcnt(0)
	ds_read_b64 v[76:77], v1
.LBB62_58:
	s_or_b64 exec, exec, s[34:35]
	s_waitcnt vmcnt(0) lgkmcnt(0)
	v_cvt_i32_f64_e32 v76, v[76:77]
	v_mul_hi_i32 v76, v76, s54
	v_lshrrev_b32_e32 v77, 31, v76
	v_ashrrev_i32_e32 v76, 2, v76
	v_add_u32_e32 v76, v76, v77
	v_cndmask_b32_e64 v1, 0, 1, vcc
	v_cndmask_b32_e64 v61, 0, 1, s[4:5]
	v_cndmask_b32_e64 v112, 0, 1, s[6:7]
	;; [unrolled: 1-line block ×13, first 2 shown]
	v_cmp_ne_u32_e64 s[8:9], v76, v60
	s_mov_b64 s[4:5], -1
.LBB62_59:
                                        ; implicit-def: $sgpr10
	s_branch .LBB62_114
.LBB62_60:
                                        ; implicit-def: $sgpr8_sgpr9
                                        ; implicit-def: $vgpr1
                                        ; implicit-def: $vgpr61
                                        ; implicit-def: $vgpr112
                                        ; implicit-def: $vgpr63
                                        ; implicit-def: $vgpr62
                                        ; implicit-def: $vgpr65
                                        ; implicit-def: $vgpr64
                                        ; implicit-def: $vgpr67
                                        ; implicit-def: $vgpr66
                                        ; implicit-def: $vgpr69
                                        ; implicit-def: $vgpr68
                                        ; implicit-def: $vgpr71
                                        ; implicit-def: $vgpr70
                                        ; implicit-def: $vgpr75
                                        ; implicit-def: $sgpr10
	s_cbranch_execnz .LBB62_79
	s_branch .LBB62_114
.LBB62_61:
	v_add_co_u32_e32 v30, vcc, v1, v65
	v_addc_co_u32_e32 v31, vcc, 0, v62, vcc
	flat_load_dwordx2 v[30:31], v[30:31]
	s_or_b64 exec, exec, s[34:35]
                                        ; implicit-def: $vgpr32_vgpr33
	s_and_saveexec_b64 s[34:35], s[4:5]
	s_cbranch_execz .LBB62_39
.LBB62_62:
	v_add_co_u32_e32 v32, vcc, v1, v65
	v_addc_co_u32_e32 v33, vcc, 0, v62, vcc
	flat_load_dwordx2 v[32:33], v[32:33] offset:2048
	s_or_b64 exec, exec, s[34:35]
                                        ; implicit-def: $vgpr34_vgpr35
	s_and_saveexec_b64 s[4:5], s[6:7]
	s_cbranch_execz .LBB62_40
.LBB62_63:
	v_lshlrev_b32_e32 v34, 3, v36
	v_add_co_u32_e32 v34, vcc, v1, v34
	v_addc_co_u32_e32 v35, vcc, 0, v62, vcc
	flat_load_dwordx2 v[34:35], v[34:35]
	s_or_b64 exec, exec, s[4:5]
                                        ; implicit-def: $vgpr36_vgpr37
	s_and_saveexec_b64 s[4:5], s[8:9]
	s_cbranch_execz .LBB62_41
.LBB62_64:
	v_lshlrev_b32_e32 v36, 3, v38
	v_add_co_u32_e32 v36, vcc, v1, v36
	v_addc_co_u32_e32 v37, vcc, 0, v62, vcc
	flat_load_dwordx2 v[36:37], v[36:37]
	s_or_b64 exec, exec, s[4:5]
                                        ; implicit-def: $vgpr38_vgpr39
	s_and_saveexec_b64 s[4:5], s[10:11]
	s_cbranch_execz .LBB62_42
.LBB62_65:
	v_lshlrev_b32_e32 v38, 3, v40
	v_add_co_u32_e32 v38, vcc, v1, v38
	v_addc_co_u32_e32 v39, vcc, 0, v62, vcc
	flat_load_dwordx2 v[38:39], v[38:39]
	s_or_b64 exec, exec, s[4:5]
                                        ; implicit-def: $vgpr40_vgpr41
	s_and_saveexec_b64 s[4:5], s[12:13]
	s_cbranch_execz .LBB62_43
.LBB62_66:
	v_lshlrev_b32_e32 v40, 3, v42
	v_add_co_u32_e32 v40, vcc, v1, v40
	v_addc_co_u32_e32 v41, vcc, 0, v62, vcc
	flat_load_dwordx2 v[40:41], v[40:41]
	s_or_b64 exec, exec, s[4:5]
                                        ; implicit-def: $vgpr42_vgpr43
	s_and_saveexec_b64 s[4:5], s[14:15]
	s_cbranch_execz .LBB62_44
.LBB62_67:
	v_lshlrev_b32_e32 v42, 3, v44
	v_add_co_u32_e32 v42, vcc, v1, v42
	v_addc_co_u32_e32 v43, vcc, 0, v62, vcc
	flat_load_dwordx2 v[42:43], v[42:43]
	s_or_b64 exec, exec, s[4:5]
                                        ; implicit-def: $vgpr44_vgpr45
	s_and_saveexec_b64 s[4:5], s[16:17]
	s_cbranch_execz .LBB62_45
.LBB62_68:
	v_lshlrev_b32_e32 v44, 3, v46
	v_add_co_u32_e32 v44, vcc, v1, v44
	v_addc_co_u32_e32 v45, vcc, 0, v62, vcc
	flat_load_dwordx2 v[44:45], v[44:45]
	s_or_b64 exec, exec, s[4:5]
                                        ; implicit-def: $vgpr46_vgpr47
	s_and_saveexec_b64 s[4:5], s[18:19]
	s_cbranch_execz .LBB62_46
.LBB62_69:
	v_lshlrev_b32_e32 v46, 3, v48
	v_add_co_u32_e32 v46, vcc, v1, v46
	v_addc_co_u32_e32 v47, vcc, 0, v62, vcc
	flat_load_dwordx2 v[46:47], v[46:47]
	s_or_b64 exec, exec, s[4:5]
                                        ; implicit-def: $vgpr48_vgpr49
	s_and_saveexec_b64 s[4:5], s[20:21]
	s_cbranch_execz .LBB62_47
.LBB62_70:
	v_lshlrev_b32_e32 v48, 3, v50
	v_add_co_u32_e32 v48, vcc, v1, v48
	v_addc_co_u32_e32 v49, vcc, 0, v62, vcc
	flat_load_dwordx2 v[48:49], v[48:49]
	s_or_b64 exec, exec, s[4:5]
                                        ; implicit-def: $vgpr50_vgpr51
	s_and_saveexec_b64 s[4:5], s[22:23]
	s_cbranch_execz .LBB62_48
.LBB62_71:
	v_lshlrev_b32_e32 v50, 3, v52
	v_add_co_u32_e32 v50, vcc, v1, v50
	v_addc_co_u32_e32 v51, vcc, 0, v62, vcc
	flat_load_dwordx2 v[50:51], v[50:51]
	s_or_b64 exec, exec, s[4:5]
                                        ; implicit-def: $vgpr52_vgpr53
	s_and_saveexec_b64 s[4:5], s[24:25]
	s_cbranch_execz .LBB62_49
.LBB62_72:
	v_lshlrev_b32_e32 v52, 3, v54
	v_add_co_u32_e32 v52, vcc, v1, v52
	v_addc_co_u32_e32 v53, vcc, 0, v62, vcc
	flat_load_dwordx2 v[52:53], v[52:53]
	s_or_b64 exec, exec, s[4:5]
                                        ; implicit-def: $vgpr54_vgpr55
	s_and_saveexec_b64 s[4:5], s[26:27]
	s_cbranch_execz .LBB62_50
.LBB62_73:
	v_lshlrev_b32_e32 v54, 3, v56
	v_add_co_u32_e32 v54, vcc, v1, v54
	v_addc_co_u32_e32 v55, vcc, 0, v62, vcc
	flat_load_dwordx2 v[54:55], v[54:55]
	s_or_b64 exec, exec, s[4:5]
                                        ; implicit-def: $vgpr56_vgpr57
	s_and_saveexec_b64 s[4:5], s[28:29]
	s_cbranch_execz .LBB62_51
.LBB62_74:
	v_lshlrev_b32_e32 v56, 3, v60
	v_add_co_u32_e32 v56, vcc, v1, v56
	v_addc_co_u32_e32 v57, vcc, 0, v62, vcc
	flat_load_dwordx2 v[56:57], v[56:57]
	s_or_b64 exec, exec, s[4:5]
                                        ; implicit-def: $vgpr60_vgpr61
	s_and_saveexec_b64 s[4:5], s[30:31]
	s_cbranch_execnz .LBB62_52
	s_branch .LBB62_53
.LBB62_75:
                                        ; implicit-def: $sgpr8_sgpr9
                                        ; implicit-def: $vgpr1
                                        ; implicit-def: $vgpr61
                                        ; implicit-def: $vgpr112
                                        ; implicit-def: $vgpr63
                                        ; implicit-def: $vgpr62
                                        ; implicit-def: $vgpr65
                                        ; implicit-def: $vgpr64
                                        ; implicit-def: $vgpr67
                                        ; implicit-def: $vgpr66
                                        ; implicit-def: $vgpr69
                                        ; implicit-def: $vgpr68
                                        ; implicit-def: $vgpr71
                                        ; implicit-def: $vgpr70
                                        ; implicit-def: $vgpr75
	s_cbranch_execz .LBB62_59
; %bb.76:
	v_cvt_i32_f64_e32 v1, v[4:5]
	s_mov_b32 s10, 0x66666667
	v_mul_hi_i32 v1, v1, s10
	v_lshrrev_b32_e32 v61, 31, v1
	v_ashrrev_i32_e32 v1, 2, v1
	v_add_u32_e32 v61, v1, v61
	v_cvt_i32_f64_e32 v1, v[58:59]
	v_mul_hi_i32 v1, v1, s10
	v_lshrrev_b32_e32 v62, 31, v1
	v_ashrrev_i32_e32 v1, 2, v1
	v_add_u32_e32 v1, v1, v62
	v_cvt_i32_f64_e32 v62, v[2:3]
	;; [unrolled: 5-line block ×3, first 2 shown]
	v_mul_hi_i32 v63, v63, s10
	v_cmp_ne_u32_e32 vcc, v61, v1
	v_lshrrev_b32_e32 v64, 31, v63
	v_ashrrev_i32_e32 v63, 2, v63
	v_cndmask_b32_e64 v1, 0, 1, vcc
	v_cmp_ne_u32_e32 vcc, v62, v61
	v_add_u32_e32 v63, v63, v64
	v_cndmask_b32_e64 v61, 0, 1, vcc
	v_cmp_ne_u32_e32 vcc, v63, v62
	v_cvt_i32_f64_e32 v62, v[6:7]
	v_mul_hi_i32 v62, v62, s10
	v_lshrrev_b32_e32 v64, 31, v62
	v_ashrrev_i32_e32 v62, 2, v62
	v_add_u32_e32 v62, v62, v64
	v_cvt_i32_f64_e32 v64, v[12:13]
	v_mul_hi_i32 v64, v64, s10
	v_lshrrev_b32_e32 v65, 31, v64
	v_ashrrev_i32_e32 v64, 2, v64
	v_add_u32_e32 v64, v64, v65
	v_cvt_i32_f64_e32 v65, v[10:11]
	v_mul_hi_i32 v65, v65, s10
	v_cndmask_b32_e64 v112, 0, 1, vcc
	v_cmp_ne_u32_e32 vcc, v62, v63
	v_lshrrev_b32_e32 v66, 31, v65
	v_ashrrev_i32_e32 v65, 2, v65
	v_cndmask_b32_e64 v63, 0, 1, vcc
	v_cmp_ne_u32_e32 vcc, v64, v62
	v_add_u32_e32 v66, v65, v66
	v_cndmask_b32_e64 v62, 0, 1, vcc
	v_cmp_ne_u32_e32 vcc, v66, v64
	v_cvt_i32_f64_e32 v64, v[16:17]
	v_mul_hi_i32 v64, v64, s10
	v_lshrrev_b32_e32 v67, 31, v64
	v_ashrrev_i32_e32 v64, 2, v64
	v_add_u32_e32 v67, v64, v67
	v_cndmask_b32_e64 v65, 0, 1, vcc
	v_cmp_ne_u32_e32 vcc, v67, v66
	v_cvt_i32_f64_e32 v66, v[14:15]
	v_mul_hi_i32 v66, v66, s10
	v_lshrrev_b32_e32 v68, 31, v66
	v_ashrrev_i32_e32 v66, 2, v66
	v_add_u32_e32 v66, v66, v68
	v_cvt_i32_f64_e32 v68, v[20:21]
	v_mul_hi_i32 v68, v68, s10
	v_lshrrev_b32_e32 v69, 31, v68
	v_ashrrev_i32_e32 v68, 2, v68
	v_add_u32_e32 v68, v68, v69
	v_cvt_i32_f64_e32 v69, v[18:19]
	v_mul_hi_i32 v69, v69, s10
	v_cndmask_b32_e64 v64, 0, 1, vcc
	v_cmp_ne_u32_e32 vcc, v66, v67
	v_lshrrev_b32_e32 v70, 31, v69
	v_ashrrev_i32_e32 v69, 2, v69
	v_cndmask_b32_e64 v67, 0, 1, vcc
	v_cmp_ne_u32_e32 vcc, v68, v66
	v_add_u32_e32 v70, v69, v70
	v_cndmask_b32_e64 v66, 0, 1, vcc
	v_cmp_ne_u32_e32 vcc, v70, v68
	v_cvt_i32_f64_e32 v68, v[24:25]
	v_mul_hi_i32 v68, v68, s10
	v_lshrrev_b32_e32 v71, 31, v68
	v_ashrrev_i32_e32 v68, 2, v68
	v_add_u32_e32 v71, v68, v71
	v_cndmask_b32_e64 v69, 0, 1, vcc
	v_cmp_ne_u32_e32 vcc, v71, v70
	v_cvt_i32_f64_e32 v70, v[22:23]
	v_mul_hi_i32 v70, v70, s10
	v_lshrrev_b32_e32 v75, 31, v70
	v_ashrrev_i32_e32 v70, 2, v70
	v_add_u32_e32 v70, v70, v75
	v_cvt_i32_f64_e32 v75, v[28:29]
	v_mul_hi_i32 v75, v75, s10
	v_lshrrev_b32_e32 v76, 31, v75
	v_ashrrev_i32_e32 v75, 2, v75
	v_add_u32_e32 v75, v75, v76
	v_cvt_i32_f64_e32 v76, v[26:27]
	v_mul_hi_i32 v76, v76, s10
	v_cndmask_b32_e64 v68, 0, 1, vcc
	v_cmp_ne_u32_e32 vcc, v70, v71
	v_lshrrev_b32_e32 v77, 31, v76
	v_ashrrev_i32_e32 v76, 2, v76
	v_cndmask_b32_e64 v71, 0, 1, vcc
	v_cmp_ne_u32_e32 vcc, v75, v70
	v_add_u32_e32 v76, v76, v77
	v_cndmask_b32_e64 v70, 0, 1, vcc
	v_cmp_ne_u32_e32 vcc, v76, v75
	v_lshlrev_b32_e32 v60, 3, v0
	v_cndmask_b32_e64 v75, 0, 1, vcc
	ds_write_b64 v60, v[58:59]
	s_waitcnt lgkmcnt(0)
	s_barrier
	s_waitcnt lgkmcnt(0)
                                        ; implicit-def: $sgpr8_sgpr9
	s_and_saveexec_b64 s[6:7], s[2:3]
	s_xor_b64 s[6:7], exec, s[6:7]
	s_cbranch_execz .LBB62_78
; %bb.77:
	v_add_u32_e32 v60, -8, v60
	ds_read_b64 v[80:81], v60
	s_or_b64 s[4:5], s[4:5], exec
	s_waitcnt lgkmcnt(0)
	v_cvt_i32_f64_e32 v60, v[80:81]
	v_mul_hi_i32 v60, v60, s10
	v_lshrrev_b32_e32 v77, 31, v60
	v_ashrrev_i32_e32 v60, 2, v60
	v_add_u32_e32 v60, v60, v77
	v_cmp_ne_u32_e32 vcc, v60, v76
	s_and_b64 s[8:9], vcc, exec
.LBB62_78:
	s_or_b64 exec, exec, s[6:7]
	s_mov_b32 s10, 1
	s_branch .LBB62_114
.LBB62_79:
	s_mul_hi_u32 s7, s52, 0xfffff100
	s_mul_i32 s6, s53, 0xfffff100
	s_sub_i32 s7, s7, s52
	s_add_i32 s7, s7, s6
	s_mul_i32 s6, s52, 0xfffff100
	s_add_u32 s6, s6, s48
	s_addc_u32 s7, s7, s49
	s_and_b64 vcc, exec, s[30:31]
	s_cbranch_vccz .LBB62_255
; %bb.80:
	v_add_co_u32_e32 v60, vcc, -8, v74
	v_addc_co_u32_e32 v61, vcc, -1, v78, vcc
	flat_load_dwordx2 v[76:77], v[60:61]
	v_mad_u32_u24 v60, v0, 15, 14
	v_mov_b32_e32 v61, 0
	v_lshlrev_b32_e32 v79, 3, v0
	v_mul_u32_u24_e32 v78, 15, v0
	v_cmp_gt_u64_e32 vcc, s[6:7], v[60:61]
	v_mov_b32_e32 v1, 0
	ds_write_b64 v79, v[58:59]
	s_and_saveexec_b64 s[4:5], vcc
	s_cbranch_execz .LBB62_82
; %bb.81:
	v_cvt_i32_f64_e32 v60, v[4:5]
	s_mov_b32 s8, 0x66666667
	v_cvt_i32_f64_e32 v1, v[58:59]
	v_mul_hi_i32 v60, v60, s8
	v_lshrrev_b32_e32 v62, 31, v60
	v_ashrrev_i32_e32 v60, 2, v60
	v_mul_hi_i32 v1, v1, s8
	v_add_u32_e32 v60, v60, v62
	v_lshrrev_b32_e32 v62, 31, v1
	v_ashrrev_i32_e32 v1, 2, v1
	v_add_u32_e32 v1, v1, v62
	v_cmp_ne_u32_e32 vcc, v60, v1
	v_cndmask_b32_e64 v1, 0, 1, vcc
.LBB62_82:
	s_or_b64 exec, exec, s[4:5]
	v_add_u32_e32 v60, 13, v78
	v_cmp_gt_u64_e32 vcc, s[6:7], v[60:61]
	s_and_saveexec_b64 s[4:5], vcc
	s_cbranch_execz .LBB62_84
; %bb.83:
	v_cvt_i32_f64_e32 v61, v[2:3]
	s_mov_b32 s8, 0x66666667
	v_cvt_i32_f64_e32 v60, v[4:5]
	v_mul_hi_i32 v61, v61, s8
	v_lshrrev_b32_e32 v62, 31, v61
	v_ashrrev_i32_e32 v61, 2, v61
	v_mul_hi_i32 v60, v60, s8
	v_add_u32_e32 v61, v61, v62
	v_lshrrev_b32_e32 v62, 31, v60
	v_ashrrev_i32_e32 v60, 2, v60
	v_add_u32_e32 v60, v60, v62
	v_cmp_ne_u32_e32 vcc, v61, v60
	v_cndmask_b32_e64 v61, 0, 1, vcc
.LBB62_84:
	s_or_b64 exec, exec, s[4:5]
	v_add_u32_e32 v62, 12, v78
	v_mov_b32_e32 v63, 0
	v_cmp_gt_u64_e32 vcc, s[6:7], v[62:63]
	v_mov_b32_e32 v112, 0
	s_and_saveexec_b64 s[4:5], vcc
	s_cbranch_execz .LBB62_86
; %bb.85:
	v_cvt_i32_f64_e32 v62, v[8:9]
	s_mov_b32 s8, 0x66666667
	v_cvt_i32_f64_e32 v60, v[2:3]
	v_mul_hi_i32 v62, v62, s8
	v_lshrrev_b32_e32 v64, 31, v62
	v_ashrrev_i32_e32 v62, 2, v62
	v_mul_hi_i32 v60, v60, s8
	v_add_u32_e32 v62, v62, v64
	v_lshrrev_b32_e32 v64, 31, v60
	v_ashrrev_i32_e32 v60, 2, v60
	v_add_u32_e32 v60, v60, v64
	v_cmp_ne_u32_e32 vcc, v62, v60
	v_cndmask_b32_e64 v112, 0, 1, vcc
.LBB62_86:
	s_or_b64 exec, exec, s[4:5]
	v_add_u32_e32 v62, 11, v78
	v_cmp_gt_u64_e32 vcc, s[6:7], v[62:63]
	s_and_saveexec_b64 s[4:5], vcc
	s_cbranch_execz .LBB62_88
; %bb.87:
	v_cvt_i32_f64_e32 v62, v[6:7]
	s_mov_b32 s8, 0x66666667
	v_cvt_i32_f64_e32 v60, v[8:9]
	v_mul_hi_i32 v62, v62, s8
	v_lshrrev_b32_e32 v63, 31, v62
	v_ashrrev_i32_e32 v62, 2, v62
	v_mul_hi_i32 v60, v60, s8
	v_add_u32_e32 v62, v62, v63
	v_lshrrev_b32_e32 v63, 31, v60
	v_ashrrev_i32_e32 v60, 2, v60
	v_add_u32_e32 v60, v60, v63
	v_cmp_ne_u32_e32 vcc, v62, v60
	v_cndmask_b32_e64 v63, 0, 1, vcc
.LBB62_88:
	s_or_b64 exec, exec, s[4:5]
	v_add_u32_e32 v64, 10, v78
	v_mov_b32_e32 v65, 0
	v_cmp_gt_u64_e32 vcc, s[6:7], v[64:65]
	v_mov_b32_e32 v62, 0
	;; [unrolled: 42-line block ×6, first 2 shown]
	s_and_saveexec_b64 s[4:5], vcc
	s_cbranch_execz .LBB62_106
; %bb.105:
	v_cvt_i32_f64_e32 v70, v[28:29]
	s_mov_b32 s8, 0x66666667
	v_cvt_i32_f64_e32 v60, v[22:23]
	v_mul_hi_i32 v70, v70, s8
	v_lshrrev_b32_e32 v74, 31, v70
	v_ashrrev_i32_e32 v70, 2, v70
	v_mul_hi_i32 v60, v60, s8
	v_add_u32_e32 v70, v70, v74
	v_lshrrev_b32_e32 v74, 31, v60
	v_ashrrev_i32_e32 v60, 2, v60
	v_add_u32_e32 v60, v60, v74
	v_cmp_ne_u32_e32 vcc, v70, v60
	v_cndmask_b32_e64 v70, 0, 1, vcc
.LBB62_106:
	s_or_b64 exec, exec, s[4:5]
	v_add_u32_e32 v74, 1, v78
	v_cmp_gt_u64_e32 vcc, s[6:7], v[74:75]
	s_and_saveexec_b64 s[4:5], vcc
	s_cbranch_execz .LBB62_108
; %bb.107:
	v_cvt_i32_f64_e32 v74, v[26:27]
	s_mov_b32 s8, 0x66666667
	v_cvt_i32_f64_e32 v60, v[28:29]
	v_mul_hi_i32 v74, v74, s8
	v_lshrrev_b32_e32 v75, 31, v74
	v_ashrrev_i32_e32 v74, 2, v74
	v_mul_hi_i32 v60, v60, s8
	v_add_u32_e32 v74, v74, v75
	v_lshrrev_b32_e32 v75, 31, v60
	v_ashrrev_i32_e32 v60, 2, v60
	v_add_u32_e32 v60, v60, v75
	v_cmp_ne_u32_e32 vcc, v74, v60
	v_cndmask_b32_e64 v75, 0, 1, vcc
.LBB62_108:
	s_or_b64 exec, exec, s[4:5]
	s_waitcnt lgkmcnt(0)
	s_barrier
	s_and_saveexec_b64 s[4:5], s[2:3]
	s_cbranch_execz .LBB62_110
; %bb.109:
	v_add_u32_e32 v60, -8, v79
	s_waitcnt vmcnt(0)
	ds_read_b64 v[76:77], v60
.LBB62_110:
	s_or_b64 exec, exec, s[4:5]
	v_mov_b32_e32 v79, 0
	v_cmp_gt_u64_e32 vcc, s[6:7], v[78:79]
	s_mov_b64 s[10:11], 0
	s_mov_b64 s[8:9], 0
	s_and_saveexec_b64 s[4:5], vcc
	s_cbranch_execz .LBB62_112
; %bb.111:
	s_waitcnt vmcnt(0) lgkmcnt(0)
	v_cvt_i32_f64_e32 v74, v[76:77]
	s_mov_b32 s8, 0x66666667
	v_cvt_i32_f64_e32 v60, v[26:27]
	v_mul_hi_i32 v74, v74, s8
	v_lshrrev_b32_e32 v76, 31, v74
	v_ashrrev_i32_e32 v74, 2, v74
	v_mul_hi_i32 v60, v60, s8
	v_add_u32_e32 v74, v74, v76
	v_lshrrev_b32_e32 v76, 31, v60
	v_ashrrev_i32_e32 v60, 2, v60
	v_add_u32_e32 v60, v60, v76
	v_cmp_ne_u32_e32 vcc, v74, v60
	s_and_b64 s[8:9], vcc, exec
.LBB62_112:
	s_or_b64 exec, exec, s[4:5]
	s_mov_b64 s[4:5], -1
	s_and_b64 vcc, exec, s[10:11]
	s_cbranch_vccnz .LBB62_256
.LBB62_113:
                                        ; implicit-def: $sgpr10
.LBB62_114:
	v_mov_b32_e32 v74, s10
	s_and_saveexec_b64 s[2:3], s[4:5]
.LBB62_115:
	v_cndmask_b32_e64 v74, 0, 1, s[8:9]
.LBB62_116:
	s_or_b64 exec, exec, s[2:3]
	s_cmp_eq_u64 s[42:43], 0
	v_add3_u32 v60, v75, v74, v70
	s_cselect_b64 s[30:31], -1, 0
	s_cmp_lg_u32 s56, 0
	v_add_f64 v[110:111], v[50:51], v[54:55]
	v_cmp_eq_u32_e64 s[26:27], 0, v75
	v_cmp_eq_u32_e64 s[24:25], 0, v70
	;; [unrolled: 1-line block ×3, first 2 shown]
	v_add3_u32 v115, v60, v71, v68
	v_cmp_eq_u32_e64 s[20:21], 0, v68
	v_cmp_eq_u32_e64 s[18:19], 0, v69
	v_cmp_eq_u32_e64 s[16:17], 0, v66
	v_cmp_eq_u32_e64 s[14:15], 0, v67
	v_cmp_eq_u32_e64 s[12:13], 0, v64
	v_cmp_eq_u32_e64 s[10:11], 0, v65
	v_cmp_eq_u32_e64 s[8:9], 0, v62
	v_cmp_eq_u32_e64 s[6:7], 0, v63
	v_cmp_eq_u32_e64 s[4:5], 0, v112
	v_cmp_eq_u32_e64 s[2:3], 0, v61
	v_cmp_eq_u32_e32 vcc, 0, v1
	v_mbcnt_lo_u32_b32 v114, -1, 0
	s_cbranch_scc0 .LBB62_187
; %bb.117:
	s_waitcnt vmcnt(0) lgkmcnt(0)
	v_cndmask_b32_e64 v77, v55, v111, s[26:27]
	v_cndmask_b32_e64 v76, v54, v110, s[26:27]
	v_add_f64 v[76:77], v[52:53], v[76:77]
	v_cndmask_b32_e64 v77, v53, v77, s[24:25]
	v_cndmask_b32_e64 v76, v52, v76, s[24:25]
	v_add_f64 v[76:77], v[56:57], v[76:77]
	;; [unrolled: 3-line block ×11, first 2 shown]
	v_add3_u32 v60, v115, v69, v66
	v_cndmask_b32_e64 v77, v31, v77, s[4:5]
	v_cndmask_b32_e64 v76, v30, v76, s[4:5]
	v_add3_u32 v60, v60, v67, v64
	v_add_f64 v[76:77], v[72:73], v[76:77]
	v_add3_u32 v60, v60, v65, v62
	v_cndmask_b32_e64 v77, v73, v77, s[2:3]
	v_cndmask_b32_e64 v76, v72, v76, s[2:3]
	v_add3_u32 v60, v60, v63, v112
	v_add_f64 v[76:77], v[32:33], v[76:77]
	v_mbcnt_hi_u32_b32 v88, -1, v114
	v_add3_u32 v82, v60, v61, v1
	v_cndmask_b32_e32 v79, v33, v77, vcc
	v_cndmask_b32_e32 v78, v32, v76, vcc
	v_and_b32_e32 v60, 15, v88
	v_mov_b32_dpp v80, v82 row_shr:1 row_mask:0xf bank_mask:0xf
	v_mov_b32_dpp v76, v78 row_shr:1 row_mask:0xf bank_mask:0xf
	;; [unrolled: 1-line block ×3, first 2 shown]
	v_cmp_ne_u32_e32 vcc, 0, v60
	s_and_saveexec_b64 s[28:29], vcc
; %bb.118:
	v_add_u32_e32 v80, v80, v82
	v_add_f64 v[76:77], v[78:79], v[76:77]
	v_cmp_eq_u32_e32 vcc, 0, v82
	v_cndmask_b32_e32 v79, v79, v77, vcc
	v_cndmask_b32_e32 v78, v78, v76, vcc
	v_mov_b32_e32 v82, v80
; %bb.119:
	s_or_b64 exec, exec, s[28:29]
	s_nop 0
	v_mov_b32_dpp v80, v82 row_shr:2 row_mask:0xf bank_mask:0xf
	v_mov_b32_dpp v76, v78 row_shr:2 row_mask:0xf bank_mask:0xf
	v_mov_b32_dpp v77, v79 row_shr:2 row_mask:0xf bank_mask:0xf
	v_cmp_lt_u32_e32 vcc, 1, v60
	s_and_saveexec_b64 s[28:29], vcc
; %bb.120:
	v_add_u32_e32 v80, v80, v82
	v_add_f64 v[76:77], v[78:79], v[76:77]
	v_cmp_eq_u32_e32 vcc, 0, v82
	v_cndmask_b32_e32 v79, v79, v77, vcc
	v_cndmask_b32_e32 v78, v78, v76, vcc
	v_mov_b32_e32 v82, v80
; %bb.121:
	s_or_b64 exec, exec, s[28:29]
	s_nop 0
	v_mov_b32_dpp v80, v82 row_shr:4 row_mask:0xf bank_mask:0xf
	v_mov_b32_dpp v76, v78 row_shr:4 row_mask:0xf bank_mask:0xf
	v_mov_b32_dpp v77, v79 row_shr:4 row_mask:0xf bank_mask:0xf
	v_cmp_lt_u32_e32 vcc, 3, v60
	;; [unrolled: 15-line block ×3, first 2 shown]
	s_and_saveexec_b64 s[28:29], vcc
; %bb.124:
	v_add_u32_e32 v60, v80, v82
	v_add_f64 v[76:77], v[78:79], v[76:77]
	v_cmp_eq_u32_e32 vcc, 0, v82
	v_cndmask_b32_e32 v79, v79, v77, vcc
	v_cndmask_b32_e32 v78, v78, v76, vcc
	v_mov_b32_e32 v82, v60
; %bb.125:
	s_or_b64 exec, exec, s[28:29]
	v_and_b32_e32 v80, 16, v88
	v_mov_b32_dpp v60, v82 row_bcast:15 row_mask:0xf bank_mask:0xf
	v_mov_b32_dpp v76, v78 row_bcast:15 row_mask:0xf bank_mask:0xf
	;; [unrolled: 1-line block ×3, first 2 shown]
	v_cmp_ne_u32_e32 vcc, 0, v80
	s_and_saveexec_b64 s[28:29], vcc
; %bb.126:
	v_add_u32_e32 v60, v60, v82
	v_add_f64 v[76:77], v[78:79], v[76:77]
	v_cmp_eq_u32_e32 vcc, 0, v82
	v_cndmask_b32_e32 v79, v79, v77, vcc
	v_cndmask_b32_e32 v78, v78, v76, vcc
	v_mov_b32_e32 v82, v60
; %bb.127:
	s_or_b64 exec, exec, s[28:29]
	s_nop 0
	v_mov_b32_dpp v60, v82 row_bcast:31 row_mask:0xf bank_mask:0xf
	v_mov_b32_dpp v76, v78 row_bcast:31 row_mask:0xf bank_mask:0xf
	;; [unrolled: 1-line block ×3, first 2 shown]
	v_cmp_lt_u32_e32 vcc, 31, v88
	s_and_saveexec_b64 s[28:29], vcc
; %bb.128:
	v_add_u32_e32 v60, v60, v82
	v_add_f64 v[76:77], v[78:79], v[76:77]
	v_cmp_eq_u32_e32 vcc, 0, v82
	v_cndmask_b32_e32 v79, v79, v77, vcc
	v_cndmask_b32_e32 v78, v78, v76, vcc
	v_mov_b32_e32 v82, v60
; %bb.129:
	s_or_b64 exec, exec, s[28:29]
	v_lshrrev_b32_e32 v60, 6, v0
	v_or_b32_e32 v76, 63, v0
	v_cmp_eq_u32_e32 vcc, v76, v0
	v_lshlrev_b32_e32 v83, 4, v60
	s_and_saveexec_b64 s[28:29], vcc
	s_cbranch_execz .LBB62_131
; %bb.130:
	ds_write_b32 v83, v82 offset:4128
	ds_write_b64 v83, v[78:79] offset:4136
.LBB62_131:
	s_or_b64 exec, exec, s[28:29]
	v_cmp_gt_u32_e32 vcc, 4, v0
	s_waitcnt lgkmcnt(0)
	s_barrier
	s_and_saveexec_b64 s[28:29], vcc
	s_cbranch_execz .LBB62_137
; %bb.132:
	v_lshlrev_b32_e32 v60, 4, v0
	ds_read_b32 v84, v60 offset:4128
	ds_read_b64 v[76:77], v60 offset:4136
	v_and_b32_e32 v85, 3, v88
	v_cmp_ne_u32_e32 vcc, 0, v85
	s_waitcnt lgkmcnt(1)
	v_mov_b32_dpp v86, v84 row_shr:1 row_mask:0xf bank_mask:0xf
	s_waitcnt lgkmcnt(0)
	v_mov_b32_dpp v80, v76 row_shr:1 row_mask:0xf bank_mask:0xf
	v_mov_b32_dpp v81, v77 row_shr:1 row_mask:0xf bank_mask:0xf
	s_and_saveexec_b64 s[34:35], vcc
; %bb.133:
	v_add_u32_e32 v86, v86, v84
	v_add_f64 v[80:81], v[76:77], v[80:81]
	v_cmp_eq_u32_e32 vcc, 0, v84
	v_cndmask_b32_e32 v77, v77, v81, vcc
	v_cndmask_b32_e32 v76, v76, v80, vcc
	v_mov_b32_e32 v84, v86
; %bb.134:
	s_or_b64 exec, exec, s[34:35]
	s_nop 0
	v_mov_b32_dpp v86, v84 row_shr:2 row_mask:0xf bank_mask:0xf
	v_mov_b32_dpp v80, v76 row_shr:2 row_mask:0xf bank_mask:0xf
	;; [unrolled: 1-line block ×3, first 2 shown]
	v_cmp_lt_u32_e32 vcc, 1, v85
	s_and_saveexec_b64 s[34:35], vcc
; %bb.135:
	v_add_u32_e32 v85, v86, v84
	v_add_f64 v[80:81], v[76:77], v[80:81]
	v_cmp_eq_u32_e32 vcc, 0, v84
	v_cndmask_b32_e32 v77, v77, v81, vcc
	v_cndmask_b32_e32 v76, v76, v80, vcc
	v_mov_b32_e32 v84, v85
; %bb.136:
	s_or_b64 exec, exec, s[34:35]
	ds_write_b32 v60, v84 offset:4128
	ds_write_b64 v60, v[76:77] offset:4136
.LBB62_137:
	s_or_b64 exec, exec, s[28:29]
	v_cmp_gt_u32_e32 vcc, 64, v0
	v_cmp_lt_u32_e64 s[28:29], 63, v0
	v_pk_mov_b32 v[76:77], 0, 0
	v_mov_b32_e32 v60, 0
	s_waitcnt lgkmcnt(0)
	s_barrier
	s_and_saveexec_b64 s[34:35], s[28:29]
	s_cbranch_execz .LBB62_139
; %bb.138:
	ds_read_b32 v60, v83 offset:4112
	ds_read_b64 v[76:77], v83 offset:4120
	v_cmp_eq_u32_e64 s[28:29], 0, v82
	s_waitcnt lgkmcnt(1)
	v_add_u32_e32 v83, v60, v82
	s_waitcnt lgkmcnt(0)
	v_add_f64 v[80:81], v[78:79], v[76:77]
	v_cndmask_b32_e64 v79, v79, v81, s[28:29]
	v_cndmask_b32_e64 v78, v78, v80, s[28:29]
	v_mov_b32_e32 v82, v83
.LBB62_139:
	s_or_b64 exec, exec, s[34:35]
	v_add_u32_e32 v80, -1, v88
	v_and_b32_e32 v81, 64, v88
	v_cmp_lt_i32_e64 s[28:29], v80, v81
	v_cndmask_b32_e64 v80, v80, v88, s[28:29]
	v_lshlrev_b32_e32 v80, 2, v80
	ds_bpermute_b32 v90, v80, v82
	ds_bpermute_b32 v91, v80, v78
	;; [unrolled: 1-line block ×3, first 2 shown]
	v_cmp_eq_u32_e64 s[28:29], 0, v88
	s_and_saveexec_b64 s[34:35], vcc
	s_cbranch_execz .LBB62_186
; %bb.140:
	v_mov_b32_e32 v83, 0
	ds_read_b32 v93, v83 offset:4176
	ds_read_b64 v[78:79], v83 offset:4184
	s_and_saveexec_b64 s[42:43], s[28:29]
	s_cbranch_execz .LBB62_142
; %bb.141:
	s_add_i32 s48, s56, 64
	s_mov_b32 s49, 0
	s_lshl_b64 s[52:53], s[48:49], 4
	s_add_u32 s52, s36, s52
	s_addc_u32 s53, s37, s53
	v_mov_b32_e32 v80, s48
	v_mov_b32_e32 v81, 1
	s_waitcnt lgkmcnt(1)
	global_store_dword v83, v93, s[52:53]
	s_waitcnt lgkmcnt(0)
	global_store_dwordx2 v83, v[78:79], s[52:53] offset:8
	s_waitcnt vmcnt(0)
	buffer_wbinvl1_vol
	global_store_byte v80, v81, s[40:41]
.LBB62_142:
	s_or_b64 exec, exec, s[42:43]
	v_xad_u32 v80, v88, -1, s56
	v_add_u32_e32 v82, 64, v80
	global_load_ubyte v94, v82, s[40:41] glc
	s_waitcnt vmcnt(0)
	v_cmp_eq_u16_e32 vcc, 0, v94
	s_and_saveexec_b64 s[42:43], vcc
	s_cbranch_execz .LBB62_148
; %bb.143:
	v_mov_b32_e32 v81, s41
	v_add_co_u32_e32 v84, vcc, s40, v82
	v_addc_co_u32_e32 v85, vcc, 0, v81, vcc
	s_mov_b32 s52, 1
	s_mov_b64 s[48:49], 0
.LBB62_144:                             ; =>This Loop Header: Depth=1
                                        ;     Child Loop BB62_145 Depth 2
	s_max_u32 s53, s52, 1
.LBB62_145:                             ;   Parent Loop BB62_144 Depth=1
                                        ; =>  This Inner Loop Header: Depth=2
	s_add_i32 s53, s53, -1
	s_cmp_eq_u32 s53, 0
	s_sleep 1
	s_cbranch_scc0 .LBB62_145
; %bb.146:                              ;   in Loop: Header=BB62_144 Depth=1
	global_load_ubyte v94, v[84:85], off glc
	s_cmp_lt_u32 s52, 32
	s_cselect_b64 s[54:55], -1, 0
	s_cmp_lg_u64 s[54:55], 0
	s_addc_u32 s52, s52, 0
	s_waitcnt vmcnt(0)
	v_cmp_ne_u16_e32 vcc, 0, v94
	s_or_b64 s[48:49], vcc, s[48:49]
	s_andn2_b64 exec, exec, s[48:49]
	s_cbranch_execnz .LBB62_144
; %bb.147:
	s_or_b64 exec, exec, s[48:49]
.LBB62_148:
	s_or_b64 exec, exec, s[42:43]
	v_mov_b32_e32 v81, s39
	v_mov_b32_e32 v84, s37
	v_cmp_eq_u16_e32 vcc, 1, v94
	v_cndmask_b32_e32 v81, v81, v84, vcc
	v_mov_b32_e32 v84, s38
	v_mov_b32_e32 v85, s36
	v_cndmask_b32_e32 v84, v84, v85, vcc
	v_lshlrev_b64 v[82:83], 4, v[82:83]
	v_add_co_u32_e32 v82, vcc, v84, v82
	v_addc_co_u32_e32 v83, vcc, v81, v83, vcc
	s_waitcnt lgkmcnt(0)
	buffer_wbinvl1_vol
	global_load_dword v89, v[82:83], off
	global_load_dwordx2 v[86:87], v[82:83], off offset:8
	v_cmp_eq_u16_e32 vcc, 2, v94
	v_lshlrev_b64 v[82:83], v88, -1
	v_and_b32_e32 v95, 63, v88
	v_and_b32_e32 v81, vcc_hi, v83
	v_and_b32_e32 v98, vcc_lo, v82
	v_cmp_ne_u32_e32 vcc, 63, v95
	v_addc_co_u32_e32 v84, vcc, 0, v88, vcc
	v_lshlrev_b32_e32 v96, 2, v84
	v_or_b32_e32 v81, 0x80000000, v81
	v_ffbl_b32_e32 v81, v81
	v_add_u32_e32 v81, 32, v81
	v_ffbl_b32_e32 v98, v98
	v_min_u32_e32 v81, v98, v81
	v_cmp_lt_u32_e32 vcc, v95, v81
	s_waitcnt vmcnt(1)
	ds_bpermute_b32 v97, v96, v89
	s_waitcnt vmcnt(0)
	ds_bpermute_b32 v84, v96, v86
	ds_bpermute_b32 v85, v96, v87
	s_and_saveexec_b64 s[42:43], vcc
	s_cbranch_execz .LBB62_150
; %bb.149:
	s_waitcnt lgkmcnt(2)
	v_add_u32_e32 v97, v97, v89
	s_waitcnt lgkmcnt(0)
	v_add_f64 v[84:85], v[86:87], v[84:85]
	v_cmp_eq_u32_e32 vcc, 0, v89
	v_cndmask_b32_e32 v87, v87, v85, vcc
	v_cndmask_b32_e32 v86, v86, v84, vcc
	v_mov_b32_e32 v89, v97
.LBB62_150:
	s_or_b64 exec, exec, s[42:43]
	v_cmp_gt_u32_e32 vcc, 62, v95
	s_waitcnt lgkmcnt(1)
	v_cndmask_b32_e64 v84, 0, 1, vcc
	v_lshlrev_b32_e32 v84, 1, v84
	v_add_lshl_u32 v97, v84, v88, 2
	ds_bpermute_b32 v99, v97, v89
	ds_bpermute_b32 v84, v97, v86
	s_waitcnt lgkmcnt(2)
	ds_bpermute_b32 v85, v97, v87
	v_add_u32_e32 v98, 2, v95
	v_cmp_le_u32_e32 vcc, v98, v81
	s_and_saveexec_b64 s[42:43], vcc
	s_cbranch_execz .LBB62_152
; %bb.151:
	s_waitcnt lgkmcnt(2)
	v_add_u32_e32 v99, v99, v89
	s_waitcnt lgkmcnt(0)
	v_add_f64 v[84:85], v[86:87], v[84:85]
	v_cmp_eq_u32_e32 vcc, 0, v89
	v_cndmask_b32_e32 v87, v87, v85, vcc
	v_cndmask_b32_e32 v86, v86, v84, vcc
	v_mov_b32_e32 v89, v99
.LBB62_152:
	s_or_b64 exec, exec, s[42:43]
	v_cmp_gt_u32_e32 vcc, 60, v95
	s_waitcnt lgkmcnt(1)
	v_cndmask_b32_e64 v84, 0, 1, vcc
	v_lshlrev_b32_e32 v84, 2, v84
	v_add_lshl_u32 v99, v84, v88, 2
	ds_bpermute_b32 v101, v99, v89
	ds_bpermute_b32 v84, v99, v86
	s_waitcnt lgkmcnt(2)
	ds_bpermute_b32 v85, v99, v87
	v_add_u32_e32 v100, 4, v95
	v_cmp_le_u32_e32 vcc, v100, v81
	;; [unrolled: 24-line block ×5, first 2 shown]
	s_and_saveexec_b64 s[42:43], vcc
	s_cbranch_execz .LBB62_160
; %bb.159:
	s_waitcnt lgkmcnt(2)
	v_add_u32_e32 v81, v88, v89
	s_waitcnt lgkmcnt(0)
	v_add_f64 v[84:85], v[86:87], v[84:85]
	v_cmp_eq_u32_e32 vcc, 0, v89
	v_cndmask_b32_e32 v87, v87, v85, vcc
	v_cndmask_b32_e32 v86, v86, v84, vcc
	v_mov_b32_e32 v89, v81
.LBB62_160:
	s_or_b64 exec, exec, s[42:43]
	v_mov_b32_e32 v81, 0
	v_mov_b32_e32 v108, 2
	s_branch .LBB62_162
.LBB62_161:                             ;   in Loop: Header=BB62_162 Depth=1
	s_or_b64 exec, exec, s[42:43]
	v_add_f64 v[86:87], v[84:85], v[86:87]
	v_cmp_eq_u32_e32 vcc, 0, v107
	v_subrev_u32_e32 v80, 64, v80
	s_waitcnt lgkmcnt(0)
	v_add_u32_e32 v89, v109, v107
	v_cndmask_b32_e32 v87, v85, v87, vcc
	v_cndmask_b32_e32 v86, v84, v86, vcc
.LBB62_162:                             ; =>This Loop Header: Depth=1
                                        ;     Child Loop BB62_165 Depth 2
                                        ;       Child Loop BB62_166 Depth 3
	v_cmp_ne_u16_sdwa s[42:43], v94, v108 src0_sel:BYTE_0 src1_sel:DWORD
	s_waitcnt lgkmcnt(0)
	v_pk_mov_b32 v[84:85], v[86:87], v[86:87] op_sel:[0,1]
	v_cndmask_b32_e64 v86, 0, 1, s[42:43]
	;;#ASMSTART
	;;#ASMEND
	v_cmp_ne_u32_e32 vcc, 0, v86
	s_cmp_lg_u64 vcc, exec
	v_mov_b32_e32 v107, v89
	s_cbranch_scc1 .LBB62_181
; %bb.163:                              ;   in Loop: Header=BB62_162 Depth=1
	global_load_ubyte v94, v80, s[40:41] glc
	s_waitcnt vmcnt(0)
	v_cmp_eq_u16_e32 vcc, 0, v94
	s_and_saveexec_b64 s[42:43], vcc
	s_cbranch_execz .LBB62_169
; %bb.164:                              ;   in Loop: Header=BB62_162 Depth=1
	v_mov_b32_e32 v87, s41
	v_add_co_u32_e32 v86, vcc, s40, v80
	v_addc_co_u32_e32 v87, vcc, 0, v87, vcc
	s_mov_b32 s52, 1
	s_mov_b64 s[48:49], 0
.LBB62_165:                             ;   Parent Loop BB62_162 Depth=1
                                        ; =>  This Loop Header: Depth=2
                                        ;       Child Loop BB62_166 Depth 3
	s_max_u32 s53, s52, 1
.LBB62_166:                             ;   Parent Loop BB62_162 Depth=1
                                        ;     Parent Loop BB62_165 Depth=2
                                        ; =>    This Inner Loop Header: Depth=3
	s_add_i32 s53, s53, -1
	s_cmp_eq_u32 s53, 0
	s_sleep 1
	s_cbranch_scc0 .LBB62_166
; %bb.167:                              ;   in Loop: Header=BB62_165 Depth=2
	global_load_ubyte v94, v[86:87], off glc
	s_cmp_lt_u32 s52, 32
	s_cselect_b64 s[54:55], -1, 0
	s_cmp_lg_u64 s[54:55], 0
	s_addc_u32 s52, s52, 0
	s_waitcnt vmcnt(0)
	v_cmp_ne_u16_e32 vcc, 0, v94
	s_or_b64 s[48:49], vcc, s[48:49]
	s_andn2_b64 exec, exec, s[48:49]
	s_cbranch_execnz .LBB62_165
; %bb.168:                              ;   in Loop: Header=BB62_162 Depth=1
	s_or_b64 exec, exec, s[48:49]
.LBB62_169:                             ;   in Loop: Header=BB62_162 Depth=1
	s_or_b64 exec, exec, s[42:43]
	v_mov_b32_e32 v86, s39
	v_mov_b32_e32 v87, s37
	v_cmp_eq_u16_e32 vcc, 1, v94
	v_cndmask_b32_e32 v88, v86, v87, vcc
	v_mov_b32_e32 v86, s38
	v_mov_b32_e32 v87, s36
	v_cndmask_b32_e32 v89, v86, v87, vcc
	v_lshlrev_b64 v[86:87], 4, v[80:81]
	v_add_co_u32_e32 v86, vcc, v89, v86
	v_addc_co_u32_e32 v87, vcc, v88, v87, vcc
	buffer_wbinvl1_vol
	global_load_dword v109, v[86:87], off
	s_nop 0
	global_load_dwordx2 v[86:87], v[86:87], off offset:8
	v_cmp_eq_u16_e32 vcc, 2, v94
	v_and_b32_e32 v88, vcc_hi, v83
	v_or_b32_e32 v88, 0x80000000, v88
	v_ffbl_b32_e32 v117, v88
	v_and_b32_e32 v113, vcc_lo, v82
	v_add_u32_e32 v117, 32, v117
	v_ffbl_b32_e32 v113, v113
	v_min_u32_e32 v113, v113, v117
	v_cmp_lt_u32_e32 vcc, v95, v113
	s_waitcnt vmcnt(1)
	ds_bpermute_b32 v116, v96, v109
	s_waitcnt vmcnt(0)
	ds_bpermute_b32 v88, v96, v86
	ds_bpermute_b32 v89, v96, v87
	s_and_saveexec_b64 s[42:43], vcc
	s_cbranch_execz .LBB62_171
; %bb.170:                              ;   in Loop: Header=BB62_162 Depth=1
	s_waitcnt lgkmcnt(2)
	v_add_u32_e32 v116, v116, v109
	s_waitcnt lgkmcnt(0)
	v_add_f64 v[88:89], v[86:87], v[88:89]
	v_cmp_eq_u32_e32 vcc, 0, v109
	v_cndmask_b32_e32 v87, v87, v89, vcc
	v_cndmask_b32_e32 v86, v86, v88, vcc
	v_mov_b32_e32 v109, v116
.LBB62_171:                             ;   in Loop: Header=BB62_162 Depth=1
	s_or_b64 exec, exec, s[42:43]
	s_waitcnt lgkmcnt(2)
	ds_bpermute_b32 v116, v97, v109
	s_waitcnt lgkmcnt(2)
	ds_bpermute_b32 v88, v97, v86
	s_waitcnt lgkmcnt(2)
	ds_bpermute_b32 v89, v97, v87
	v_cmp_le_u32_e32 vcc, v98, v113
	s_and_saveexec_b64 s[42:43], vcc
	s_cbranch_execz .LBB62_173
; %bb.172:                              ;   in Loop: Header=BB62_162 Depth=1
	s_waitcnt lgkmcnt(2)
	v_add_u32_e32 v116, v116, v109
	s_waitcnt lgkmcnt(0)
	v_add_f64 v[88:89], v[86:87], v[88:89]
	v_cmp_eq_u32_e32 vcc, 0, v109
	v_cndmask_b32_e32 v87, v87, v89, vcc
	v_cndmask_b32_e32 v86, v86, v88, vcc
	v_mov_b32_e32 v109, v116
.LBB62_173:                             ;   in Loop: Header=BB62_162 Depth=1
	s_or_b64 exec, exec, s[42:43]
	s_waitcnt lgkmcnt(2)
	ds_bpermute_b32 v116, v99, v109
	s_waitcnt lgkmcnt(2)
	ds_bpermute_b32 v88, v99, v86
	s_waitcnt lgkmcnt(2)
	ds_bpermute_b32 v89, v99, v87
	v_cmp_le_u32_e32 vcc, v100, v113
	s_and_saveexec_b64 s[42:43], vcc
	s_cbranch_execz .LBB62_175
; %bb.174:                              ;   in Loop: Header=BB62_162 Depth=1
	s_waitcnt lgkmcnt(2)
	v_add_u32_e32 v116, v116, v109
	s_waitcnt lgkmcnt(0)
	v_add_f64 v[88:89], v[86:87], v[88:89]
	v_cmp_eq_u32_e32 vcc, 0, v109
	v_cndmask_b32_e32 v87, v87, v89, vcc
	v_cndmask_b32_e32 v86, v86, v88, vcc
	v_mov_b32_e32 v109, v116
.LBB62_175:                             ;   in Loop: Header=BB62_162 Depth=1
	s_or_b64 exec, exec, s[42:43]
	s_waitcnt lgkmcnt(2)
	ds_bpermute_b32 v116, v101, v109
	s_waitcnt lgkmcnt(2)
	ds_bpermute_b32 v88, v101, v86
	s_waitcnt lgkmcnt(2)
	ds_bpermute_b32 v89, v101, v87
	v_cmp_le_u32_e32 vcc, v102, v113
	s_and_saveexec_b64 s[42:43], vcc
	s_cbranch_execz .LBB62_177
; %bb.176:                              ;   in Loop: Header=BB62_162 Depth=1
	s_waitcnt lgkmcnt(2)
	v_add_u32_e32 v116, v116, v109
	s_waitcnt lgkmcnt(0)
	v_add_f64 v[88:89], v[86:87], v[88:89]
	v_cmp_eq_u32_e32 vcc, 0, v109
	v_cndmask_b32_e32 v87, v87, v89, vcc
	v_cndmask_b32_e32 v86, v86, v88, vcc
	v_mov_b32_e32 v109, v116
.LBB62_177:                             ;   in Loop: Header=BB62_162 Depth=1
	s_or_b64 exec, exec, s[42:43]
	s_waitcnt lgkmcnt(2)
	ds_bpermute_b32 v116, v103, v109
	s_waitcnt lgkmcnt(2)
	ds_bpermute_b32 v88, v103, v86
	s_waitcnt lgkmcnt(2)
	ds_bpermute_b32 v89, v103, v87
	v_cmp_le_u32_e32 vcc, v104, v113
	s_and_saveexec_b64 s[42:43], vcc
	s_cbranch_execz .LBB62_179
; %bb.178:                              ;   in Loop: Header=BB62_162 Depth=1
	s_waitcnt lgkmcnt(2)
	v_add_u32_e32 v116, v116, v109
	s_waitcnt lgkmcnt(0)
	v_add_f64 v[88:89], v[86:87], v[88:89]
	v_cmp_eq_u32_e32 vcc, 0, v109
	v_cndmask_b32_e32 v87, v87, v89, vcc
	v_cndmask_b32_e32 v86, v86, v88, vcc
	v_mov_b32_e32 v109, v116
.LBB62_179:                             ;   in Loop: Header=BB62_162 Depth=1
	s_or_b64 exec, exec, s[42:43]
	s_waitcnt lgkmcnt(2)
	ds_bpermute_b32 v116, v105, v109
	s_waitcnt lgkmcnt(2)
	ds_bpermute_b32 v88, v105, v86
	s_waitcnt lgkmcnt(2)
	ds_bpermute_b32 v89, v105, v87
	v_cmp_le_u32_e32 vcc, v106, v113
	s_and_saveexec_b64 s[42:43], vcc
	s_cbranch_execz .LBB62_161
; %bb.180:                              ;   in Loop: Header=BB62_162 Depth=1
	s_waitcnt lgkmcnt(2)
	v_add_u32_e32 v113, v116, v109
	s_waitcnt lgkmcnt(0)
	v_add_f64 v[88:89], v[86:87], v[88:89]
	v_cmp_eq_u32_e32 vcc, 0, v109
	v_cndmask_b32_e32 v87, v87, v89, vcc
	v_cndmask_b32_e32 v86, v86, v88, vcc
	v_mov_b32_e32 v109, v113
	s_branch .LBB62_161
.LBB62_181:                             ;   in Loop: Header=BB62_162 Depth=1
                                        ; implicit-def: $vgpr86_vgpr87
                                        ; implicit-def: $vgpr89
                                        ; implicit-def: $vgpr94
	s_cbranch_execz .LBB62_162
; %bb.182:
	s_and_saveexec_b64 s[36:37], s[28:29]
	s_cbranch_execz .LBB62_184
; %bb.183:
	s_mov_b32 s43, 0
	s_add_i32 s42, s56, 64
	s_lshl_b64 s[48:49], s[42:43], 4
	v_add_f64 v[80:81], v[78:79], v[84:85]
	v_cmp_eq_u32_e32 vcc, 0, v93
	s_add_u32 s48, s38, s48
	v_add_u32_e32 v82, v107, v93
	v_cndmask_b32_e32 v81, v79, v81, vcc
	v_cndmask_b32_e32 v80, v78, v80, vcc
	s_addc_u32 s49, s39, s49
	v_mov_b32_e32 v83, 0
	global_store_dword v83, v82, s[48:49]
	global_store_dwordx2 v83, v[80:81], s[48:49] offset:8
	v_mov_b32_e32 v80, s42
	v_mov_b32_e32 v81, 2
	s_waitcnt vmcnt(0)
	buffer_wbinvl1_vol
	global_store_byte v80, v81, s[40:41]
	ds_write_b32 v83, v93 offset:4096
	ds_write_b64 v83, v[78:79] offset:4104
	ds_write_b32 v83, v107 offset:4112
	ds_write_b64 v83, v[84:85] offset:4120
.LBB62_184:
	s_or_b64 exec, exec, s[36:37]
	s_and_b64 exec, exec, s[0:1]
	s_cbranch_execz .LBB62_186
; %bb.185:
	v_mov_b32_e32 v78, 0
	ds_write_b32 v78, v107 offset:4176
	ds_write_b64 v78, v[84:85] offset:4184
.LBB62_186:
	s_or_b64 exec, exec, s[34:35]
	v_mov_b32_e32 v82, 0
	s_waitcnt lgkmcnt(0)
	s_barrier
	ds_read_b64 v[78:79], v82 offset:4184
	ds_read_b32 v83, v82 offset:4176
	v_cndmask_b32_e64 v77, v92, v77, s[28:29]
	v_cndmask_b32_e64 v76, v91, v76, s[28:29]
	;; [unrolled: 1-line block ×3, first 2 shown]
	s_waitcnt lgkmcnt(1)
	v_add_f64 v[80:81], v[76:77], v[78:79]
	v_cmp_eq_u32_e32 vcc, 0, v60
	v_cndmask_b32_e32 v76, v76, v80, vcc
	v_cndmask_b32_e32 v77, v77, v81, vcc
	v_cndmask_b32_e64 v109, v77, v79, s[0:1]
	v_cndmask_b32_e64 v108, v76, v78, s[0:1]
	v_add_f64 v[76:77], v[50:51], v[108:109]
	v_cmp_eq_u32_e32 vcc, 0, v74
	v_cndmask_b32_e32 v107, v51, v77, vcc
	v_cndmask_b32_e32 v106, v50, v76, vcc
	v_add_f64 v[76:77], v[54:55], v[106:107]
	v_cndmask_b32_e64 v105, v55, v77, s[26:27]
	v_cndmask_b32_e64 v104, v54, v76, s[26:27]
	v_add_f64 v[76:77], v[52:53], v[104:105]
	v_cndmask_b32_e64 v103, v53, v77, s[24:25]
	v_cndmask_b32_e64 v102, v52, v76, s[24:25]
	;; [unrolled: 3-line block ×10, first 2 shown]
	v_cndmask_b32_e64 v86, v40, v76, s[8:9]
	s_waitcnt lgkmcnt(0)
	v_add_u32_e32 v113, v83, v60
	v_add_f64 v[76:77], v[36:37], v[86:87]
	s_barrier
	ds_read_b32 v60, v82 offset:4096
	ds_read_b64 v[116:117], v82 offset:4104
	ds_read_b32 v78, v82 offset:4112
	ds_read_b64 v[118:119], v82 offset:4120
	v_cndmask_b32_e64 v85, v37, v77, s[6:7]
	v_cndmask_b32_e64 v84, v36, v76, s[6:7]
	v_add_f64 v[76:77], v[30:31], v[84:85]
	v_cndmask_b32_e64 v83, v31, v77, s[4:5]
	v_cndmask_b32_e64 v82, v30, v76, s[4:5]
	v_add_f64 v[76:77], v[72:73], v[82:83]
	v_cndmask_b32_e64 v81, v73, v77, s[2:3]
	v_cndmask_b32_e64 v80, v72, v76, s[2:3]
	s_waitcnt lgkmcnt(0)
	v_add_f64 v[76:77], v[118:119], v[116:117]
	v_cmp_eq_u32_e32 vcc, 0, v60
	v_cndmask_b32_e32 v77, v117, v77, vcc
	v_cndmask_b32_e32 v76, v116, v76, vcc
	s_branch .LBB62_215
.LBB62_187:
                                        ; implicit-def: $vgpr60
                                        ; implicit-def: $vgpr76_vgpr77
                                        ; implicit-def: $vgpr78
                                        ; implicit-def: $vgpr108_vgpr109
                                        ; implicit-def: $vgpr106_vgpr107
                                        ; implicit-def: $vgpr104_vgpr105
                                        ; implicit-def: $vgpr102_vgpr103
                                        ; implicit-def: $vgpr100_vgpr101
                                        ; implicit-def: $vgpr98_vgpr99
                                        ; implicit-def: $vgpr96_vgpr97
                                        ; implicit-def: $vgpr94_vgpr95
                                        ; implicit-def: $vgpr92_vgpr93
                                        ; implicit-def: $vgpr90_vgpr91
                                        ; implicit-def: $vgpr88_vgpr89
                                        ; implicit-def: $vgpr86_vgpr87
                                        ; implicit-def: $vgpr84_vgpr85
                                        ; implicit-def: $vgpr82_vgpr83
                                        ; implicit-def: $vgpr80_vgpr81
                                        ; implicit-def: $vgpr113
	s_cbranch_execz .LBB62_215
; %bb.188:
	s_and_b64 s[2:3], s[30:31], exec
	s_cselect_b32 s3, 0, s65
	s_cselect_b32 s2, 0, s64
	s_cmp_eq_u64 s[2:3], 0
	v_pk_mov_b32 v[78:79], v[50:51], v[50:51] op_sel:[0,1]
	s_cbranch_scc1 .LBB62_190
; %bb.189:
	v_mov_b32_e32 v60, 0
	global_load_dwordx2 v[78:79], v60, s[2:3]
.LBB62_190:
	v_cmp_eq_u32_e32 vcc, 0, v75
	s_waitcnt vmcnt(0) lgkmcnt(0)
	v_cndmask_b32_e32 v77, v55, v111, vcc
	v_cndmask_b32_e32 v76, v54, v110, vcc
	v_add_f64 v[76:77], v[52:53], v[76:77]
	v_cmp_eq_u32_e64 s[2:3], 0, v70
	v_cndmask_b32_e64 v77, v53, v77, s[2:3]
	v_cndmask_b32_e64 v76, v52, v76, s[2:3]
	v_add_f64 v[76:77], v[56:57], v[76:77]
	v_cmp_eq_u32_e64 s[4:5], 0, v71
	v_cndmask_b32_e64 v77, v57, v77, s[4:5]
	v_cndmask_b32_e64 v76, v56, v76, s[4:5]
	;; [unrolled: 4-line block ×10, first 2 shown]
	v_add3_u32 v60, v115, v69, v66
	v_add_f64 v[76:77], v[30:31], v[76:77]
	v_cmp_eq_u32_e64 s[18:19], 0, v112
	v_add3_u32 v60, v60, v67, v64
	v_cndmask_b32_e64 v77, v31, v77, s[18:19]
	v_cndmask_b32_e64 v76, v30, v76, s[18:19]
	v_add3_u32 v60, v60, v65, v62
	v_add_f64 v[76:77], v[72:73], v[76:77]
	v_cmp_eq_u32_e64 s[22:23], 0, v61
	v_add3_u32 v60, v60, v63, v112
	v_cndmask_b32_e64 v77, v73, v77, s[22:23]
	v_cndmask_b32_e64 v76, v72, v76, s[22:23]
	v_add3_u32 v82, v60, v61, v1
	v_add_f64 v[76:77], v[32:33], v[76:77]
	v_cmp_eq_u32_e64 s[26:27], 0, v1
	v_mbcnt_hi_u32_b32 v60, -1, v114
	v_cndmask_b32_e64 v33, v33, v77, s[26:27]
	v_cndmask_b32_e64 v32, v32, v76, s[26:27]
	v_and_b32_e32 v80, 15, v60
	v_mov_b32_dpp v81, v82 row_shr:1 row_mask:0xf bank_mask:0xf
	v_mov_b32_dpp v76, v32 row_shr:1 row_mask:0xf bank_mask:0xf
	;; [unrolled: 1-line block ×3, first 2 shown]
	v_cmp_ne_u32_e64 s[26:27], 0, v80
	s_and_saveexec_b64 s[28:29], s[26:27]
; %bb.191:
	v_add_u32_e32 v81, v81, v82
	v_add_f64 v[76:77], v[32:33], v[76:77]
	v_cmp_eq_u32_e64 s[26:27], 0, v82
	v_cndmask_b32_e64 v33, v33, v77, s[26:27]
	v_cndmask_b32_e64 v32, v32, v76, s[26:27]
	v_mov_b32_e32 v82, v81
; %bb.192:
	s_or_b64 exec, exec, s[28:29]
	s_nop 0
	v_mov_b32_dpp v81, v82 row_shr:2 row_mask:0xf bank_mask:0xf
	v_mov_b32_dpp v76, v32 row_shr:2 row_mask:0xf bank_mask:0xf
	v_mov_b32_dpp v77, v33 row_shr:2 row_mask:0xf bank_mask:0xf
	v_cmp_lt_u32_e64 s[26:27], 1, v80
	s_and_saveexec_b64 s[28:29], s[26:27]
; %bb.193:
	v_add_u32_e32 v81, v81, v82
	v_add_f64 v[76:77], v[32:33], v[76:77]
	v_cmp_eq_u32_e64 s[26:27], 0, v82
	v_cndmask_b32_e64 v33, v33, v77, s[26:27]
	v_cndmask_b32_e64 v32, v32, v76, s[26:27]
	v_mov_b32_e32 v82, v81
; %bb.194:
	s_or_b64 exec, exec, s[28:29]
	s_nop 0
	v_mov_b32_dpp v81, v82 row_shr:4 row_mask:0xf bank_mask:0xf
	v_mov_b32_dpp v76, v32 row_shr:4 row_mask:0xf bank_mask:0xf
	v_mov_b32_dpp v77, v33 row_shr:4 row_mask:0xf bank_mask:0xf
	v_cmp_lt_u32_e64 s[26:27], 3, v80
	;; [unrolled: 15-line block ×3, first 2 shown]
	s_and_saveexec_b64 s[28:29], s[26:27]
; %bb.197:
	v_add_u32_e32 v80, v81, v82
	v_add_f64 v[76:77], v[32:33], v[76:77]
	v_cmp_eq_u32_e64 s[26:27], 0, v82
	v_cndmask_b32_e64 v33, v33, v77, s[26:27]
	v_cndmask_b32_e64 v32, v32, v76, s[26:27]
	v_mov_b32_e32 v82, v80
; %bb.198:
	s_or_b64 exec, exec, s[28:29]
	v_and_b32_e32 v81, 16, v60
	v_mov_b32_dpp v80, v82 row_bcast:15 row_mask:0xf bank_mask:0xf
	v_mov_b32_dpp v76, v32 row_bcast:15 row_mask:0xf bank_mask:0xf
	;; [unrolled: 1-line block ×3, first 2 shown]
	v_cmp_ne_u32_e64 s[26:27], 0, v81
	s_and_saveexec_b64 s[28:29], s[26:27]
; %bb.199:
	v_add_u32_e32 v80, v80, v82
	v_add_f64 v[76:77], v[32:33], v[76:77]
	v_cmp_eq_u32_e64 s[26:27], 0, v82
	v_cndmask_b32_e64 v33, v33, v77, s[26:27]
	v_cndmask_b32_e64 v32, v32, v76, s[26:27]
	v_mov_b32_e32 v82, v80
; %bb.200:
	s_or_b64 exec, exec, s[28:29]
	s_nop 0
	v_mov_b32_dpp v80, v82 row_bcast:31 row_mask:0xf bank_mask:0xf
	v_mov_b32_dpp v76, v32 row_bcast:31 row_mask:0xf bank_mask:0xf
	;; [unrolled: 1-line block ×3, first 2 shown]
	v_cmp_lt_u32_e64 s[26:27], 31, v60
	s_and_saveexec_b64 s[28:29], s[26:27]
; %bb.201:
	v_add_u32_e32 v80, v80, v82
	v_add_f64 v[76:77], v[32:33], v[76:77]
	v_cmp_eq_u32_e64 s[26:27], 0, v82
	v_cndmask_b32_e64 v33, v33, v77, s[26:27]
	v_cndmask_b32_e64 v32, v32, v76, s[26:27]
	v_mov_b32_e32 v82, v80
; %bb.202:
	s_or_b64 exec, exec, s[28:29]
	v_or_b32_e32 v76, 63, v0
	v_lshrrev_b32_e32 v83, 6, v0
	v_cmp_eq_u32_e64 s[26:27], v76, v0
	s_and_saveexec_b64 s[28:29], s[26:27]
	s_cbranch_execz .LBB62_204
; %bb.203:
	v_lshlrev_b32_e32 v76, 4, v83
	ds_write_b32 v76, v82 offset:4128
	ds_write_b64 v76, v[32:33] offset:4136
.LBB62_204:
	s_or_b64 exec, exec, s[28:29]
	v_cmp_gt_u32_e64 s[26:27], 4, v0
	s_waitcnt lgkmcnt(0)
	s_barrier
	s_and_saveexec_b64 s[28:29], s[26:27]
	s_cbranch_execz .LBB62_210
; %bb.205:
	v_lshlrev_b32_e32 v84, 4, v0
	ds_read_b32 v85, v84 offset:4128
	ds_read_b64 v[76:77], v84 offset:4136
	v_and_b32_e32 v86, 3, v60
	v_cmp_ne_u32_e64 s[26:27], 0, v86
	s_waitcnt lgkmcnt(1)
	v_mov_b32_dpp v87, v85 row_shr:1 row_mask:0xf bank_mask:0xf
	s_waitcnt lgkmcnt(0)
	v_mov_b32_dpp v80, v76 row_shr:1 row_mask:0xf bank_mask:0xf
	v_mov_b32_dpp v81, v77 row_shr:1 row_mask:0xf bank_mask:0xf
	s_and_saveexec_b64 s[34:35], s[26:27]
; %bb.206:
	v_add_u32_e32 v87, v87, v85
	v_add_f64 v[80:81], v[76:77], v[80:81]
	v_cmp_eq_u32_e64 s[26:27], 0, v85
	v_cndmask_b32_e64 v77, v77, v81, s[26:27]
	v_cndmask_b32_e64 v76, v76, v80, s[26:27]
	v_mov_b32_e32 v85, v87
; %bb.207:
	s_or_b64 exec, exec, s[34:35]
	s_nop 0
	v_mov_b32_dpp v87, v85 row_shr:2 row_mask:0xf bank_mask:0xf
	v_mov_b32_dpp v80, v76 row_shr:2 row_mask:0xf bank_mask:0xf
	;; [unrolled: 1-line block ×3, first 2 shown]
	v_cmp_lt_u32_e64 s[26:27], 1, v86
	s_and_saveexec_b64 s[34:35], s[26:27]
; %bb.208:
	v_add_u32_e32 v86, v87, v85
	v_add_f64 v[80:81], v[76:77], v[80:81]
	v_cmp_eq_u32_e64 s[26:27], 0, v85
	v_cndmask_b32_e64 v77, v77, v81, s[26:27]
	v_cndmask_b32_e64 v76, v76, v80, s[26:27]
	v_mov_b32_e32 v85, v86
; %bb.209:
	s_or_b64 exec, exec, s[34:35]
	ds_write_b32 v84, v85 offset:4128
	ds_write_b64 v84, v[76:77] offset:4136
.LBB62_210:
	s_or_b64 exec, exec, s[28:29]
	v_cmp_lt_u32_e64 s[26:27], 63, v0
	v_mov_b32_e32 v80, 0
	v_mov_b32_e32 v81, 0
	v_pk_mov_b32 v[76:77], v[78:79], v[78:79] op_sel:[0,1]
	s_waitcnt lgkmcnt(0)
	s_barrier
	s_and_saveexec_b64 s[28:29], s[26:27]
	s_cbranch_execz .LBB62_212
; %bb.211:
	v_lshlrev_b32_e32 v81, 4, v83
	ds_read_b64 v[76:77], v81 offset:4120
	ds_read_b32 v81, v81 offset:4112
	s_waitcnt lgkmcnt(1)
	v_add_f64 v[84:85], v[78:79], v[76:77]
	s_waitcnt lgkmcnt(0)
	v_cmp_eq_u32_e64 s[26:27], 0, v81
	v_cndmask_b32_e64 v77, v77, v85, s[26:27]
	v_cndmask_b32_e64 v76, v76, v84, s[26:27]
.LBB62_212:
	s_or_b64 exec, exec, s[28:29]
	v_add_f64 v[84:85], v[32:33], v[76:77]
	v_cmp_eq_u32_e64 s[26:27], 0, v82
	v_add_u32_e32 v83, v81, v82
	v_cndmask_b32_e64 v32, v32, v84, s[26:27]
	v_add_u32_e32 v82, -1, v60
	v_and_b32_e32 v84, 64, v60
	v_cndmask_b32_e64 v33, v33, v85, s[26:27]
	v_cmp_lt_i32_e64 s[26:27], v82, v84
	v_cndmask_b32_e64 v82, v82, v60, s[26:27]
	v_lshlrev_b32_e32 v82, 2, v82
	ds_bpermute_b32 v33, v82, v33
	ds_bpermute_b32 v32, v82, v32
	;; [unrolled: 1-line block ×3, first 2 shown]
	v_cmp_eq_u32_e64 s[26:27], 0, v60
	s_waitcnt lgkmcnt(2)
	v_cndmask_b32_e64 v109, v33, v77, s[26:27]
	s_waitcnt lgkmcnt(1)
	v_cndmask_b32_e64 v108, v32, v76, s[26:27]
	v_cndmask_b32_e64 v33, v109, v79, s[0:1]
	;; [unrolled: 1-line block ×3, first 2 shown]
	s_waitcnt lgkmcnt(0)
	v_cndmask_b32_e64 v113, v83, v81, s[26:27]
	v_add_f64 v[32:33], v[50:51], v[32:33]
	v_cmp_eq_u32_e64 s[26:27], 0, v74
	v_cndmask_b32_e64 v107, v51, v33, s[26:27]
	v_cndmask_b32_e64 v106, v50, v32, s[26:27]
	v_add_f64 v[32:33], v[54:55], v[106:107]
	v_cndmask_b32_e32 v105, v55, v33, vcc
	v_cndmask_b32_e32 v104, v54, v32, vcc
	v_add_f64 v[32:33], v[52:53], v[104:105]
	v_cndmask_b32_e64 v103, v53, v33, s[2:3]
	v_cndmask_b32_e64 v102, v52, v32, s[2:3]
	v_add_f64 v[32:33], v[56:57], v[102:103]
	v_cndmask_b32_e64 v101, v57, v33, s[4:5]
	v_cndmask_b32_e64 v100, v56, v32, s[4:5]
	;; [unrolled: 3-line block ×9, first 2 shown]
	v_add_f64 v[32:33], v[36:37], v[86:87]
	ds_read_b32 v60, v80 offset:4176
	ds_read_b64 v[34:35], v80 offset:4184
	v_cndmask_b32_e64 v85, v37, v33, s[24:25]
	v_cndmask_b32_e64 v84, v36, v32, s[24:25]
	v_add_f64 v[32:33], v[30:31], v[84:85]
	v_cndmask_b32_e64 v83, v31, v33, s[18:19]
	v_cndmask_b32_e64 v82, v30, v32, s[18:19]
	v_add_f64 v[30:31], v[72:73], v[82:83]
	v_cndmask_b32_e64 v81, v73, v31, s[22:23]
	v_cndmask_b32_e64 v80, v72, v30, s[22:23]
	s_waitcnt lgkmcnt(0)
	v_add_f64 v[30:31], v[78:79], v[34:35]
	v_cmp_eq_u32_e32 vcc, 0, v60
	v_cndmask_b32_e32 v77, v35, v31, vcc
	v_cndmask_b32_e32 v76, v34, v30, vcc
	s_and_saveexec_b64 s[2:3], s[0:1]
	s_cbranch_execz .LBB62_214
; %bb.213:
	v_mov_b32_e32 v113, 0
	v_mov_b32_e32 v30, 2
	v_pk_mov_b32 v[108:109], v[78:79], v[78:79] op_sel:[0,1]
	global_store_dword v113, v60, s[38:39] offset:1024
	global_store_dwordx2 v113, v[76:77], s[38:39] offset:1032
	s_waitcnt vmcnt(0)
	buffer_wbinvl1_vol
	global_store_byte v113, v30, s[40:41] offset:64
.LBB62_214:
	s_or_b64 exec, exec, s[2:3]
	v_mov_b32_e32 v78, 0
.LBB62_215:
	s_and_b64 s[2:3], s[30:31], exec
	s_cselect_b32 s3, 0, s51
	s_cselect_b32 s2, 0, s50
	s_cmp_eq_u64 s[2:3], 0
	v_pk_mov_b32 v[30:31], 0, 0
	s_waitcnt lgkmcnt(0)
	s_barrier
	s_cbranch_scc1 .LBB62_217
; %bb.216:
	v_mov_b32_e32 v30, 0
	global_load_dwordx2 v[30:31], v30, s[2:3]
.LBB62_217:
	s_waitcnt vmcnt(0)
	v_lshlrev_b64 v[32:33], 3, v[30:31]
	v_mov_b32_e32 v34, s59
	v_add_co_u32_e32 v50, vcc, s58, v32
	v_mov_b32_e32 v79, 0
	v_addc_co_u32_e32 v51, vcc, v34, v33, vcc
	v_lshlrev_b64 v[34:35], 3, v[78:79]
	v_add_co_u32_e32 v50, vcc, v50, v34
	v_addc_co_u32_e32 v51, vcc, v51, v35, vcc
	v_cmp_eq_u32_e32 vcc, 0, v74
	v_cndmask_b32_e64 v52, 1, 2, vcc
	v_cmp_eq_u32_e32 vcc, 0, v75
	v_cndmask_b32_e64 v53, 1, 2, vcc
	v_cmp_eq_u32_e32 vcc, 0, v70
	v_and_b32_e32 v52, v53, v52
	v_cndmask_b32_e64 v53, 1, 2, vcc
	v_cmp_eq_u32_e32 vcc, 0, v71
	v_add_u32_e32 v49, v113, v74
	v_and_b32_e32 v52, v52, v53
	v_cndmask_b32_e64 v53, 1, 2, vcc
	v_cmp_eq_u32_e32 vcc, 0, v68
	v_add_u32_e32 v48, v49, v75
	;; [unrolled: 4-line block ×12, first 2 shown]
	v_and_b32_e32 v52, v52, v53
	v_cndmask_b32_e64 v53, 1, 2, vcc
	s_movk_i32 s34, 0x100
	v_add_u32_e32 v37, v38, v112
	v_and_b32_e32 v52, v52, v53
	v_cmp_gt_u32_e32 vcc, s34, v60
	v_add_u32_e32 v36, v37, v61
	v_cmp_ne_u32_e64 s[30:31], 0, v74
	v_cmp_ne_u32_e64 s[28:29], 0, v75
	;; [unrolled: 1-line block ×15, first 2 shown]
	s_mov_b64 s[36:37], -1
	v_cmp_gt_i16_e64 s[34:35], 2, v52
	s_cbranch_vccz .LBB62_224
; %bb.218:
	s_and_saveexec_b64 s[36:37], s[34:35]
	s_cbranch_execz .LBB62_223
; %bb.219:
	v_cmp_ne_u16_e32 vcc, 1, v52
	s_mov_b64 s[38:39], 0
	s_and_saveexec_b64 s[34:35], vcc
	s_xor_b64 s[34:35], exec, s[34:35]
	s_cbranch_execnz .LBB62_289
; %bb.220:
	s_andn2_saveexec_b64 s[34:35], s[34:35]
	s_cbranch_execnz .LBB62_305
.LBB62_221:
	s_or_b64 exec, exec, s[34:35]
	s_and_b64 exec, exec, s[38:39]
	s_cbranch_execz .LBB62_223
.LBB62_222:
	v_sub_u32_e32 v54, v36, v78
	v_mov_b32_e32 v55, 0
	v_lshlrev_b64 v[54:55], 3, v[54:55]
	v_add_co_u32_e32 v54, vcc, v50, v54
	v_addc_co_u32_e32 v55, vcc, v51, v55, vcc
	global_store_dwordx2 v[54:55], v[58:59], off
.LBB62_223:
	s_or_b64 exec, exec, s[36:37]
	s_mov_b64 s[36:37], 0
.LBB62_224:
	s_and_b64 vcc, exec, s[36:37]
	s_cbranch_vccz .LBB62_234
; %bb.225:
	v_cmp_gt_i16_e32 vcc, 2, v52
	s_and_saveexec_b64 s[34:35], vcc
	s_cbranch_execz .LBB62_230
; %bb.226:
	v_cmp_ne_u16_e32 vcc, 1, v52
	s_mov_b64 s[38:39], 0
	s_and_saveexec_b64 s[36:37], vcc
	s_xor_b64 s[36:37], exec, s[36:37]
	s_cbranch_execnz .LBB62_306
; %bb.227:
	s_andn2_saveexec_b64 s[2:3], s[36:37]
	s_cbranch_execnz .LBB62_322
.LBB62_228:
	s_or_b64 exec, exec, s[2:3]
	s_and_b64 exec, exec, s[38:39]
	s_cbranch_execz .LBB62_230
.LBB62_229:
	v_sub_u32_e32 v2, v36, v78
	v_lshlrev_b32_e32 v2, 3, v2
	ds_write_b64 v2, v[58:59]
.LBB62_230:
	s_or_b64 exec, exec, s[34:35]
	v_cmp_lt_u32_e32 vcc, v0, v60
	s_waitcnt lgkmcnt(0)
	s_barrier
	s_and_saveexec_b64 s[2:3], vcc
	s_cbranch_execz .LBB62_233
; %bb.231:
	v_lshlrev_b32_e32 v4, 3, v0
	s_mov_b64 s[4:5], 0
	v_mov_b32_e32 v3, 0
	v_mov_b32_e32 v2, v0
.LBB62_232:                             ; =>This Inner Loop Header: Depth=1
	v_lshlrev_b64 v[6:7], 3, v[2:3]
	ds_read_b64 v[8:9], v4
	v_add_co_u32_e32 v6, vcc, v50, v6
	v_add_u32_e32 v2, 0x100, v2
	v_addc_co_u32_e32 v7, vcc, v51, v7, vcc
	v_cmp_ge_u32_e32 vcc, v2, v60
	v_add_u32_e32 v4, 0x800, v4
	s_or_b64 s[4:5], vcc, s[4:5]
	s_waitcnt lgkmcnt(0)
	global_store_dwordx2 v[6:7], v[8:9], off
	s_andn2_b64 exec, exec, s[4:5]
	s_cbranch_execnz .LBB62_232
.LBB62_233:
	s_or_b64 exec, exec, s[2:3]
.LBB62_234:
	s_cmpk_lg_i32 s33, 0xf00
	s_cselect_b64 s[2:3], -1, 0
	v_cndmask_b32_e64 v2, 0, 1, s[46:47]
	s_and_b64 s[2:3], s[2:3], s[44:45]
	v_sub_u32_e32 v3, v60, v2
	v_cndmask_b32_e64 v4, 0, 1, s[2:3]
	s_and_b64 s[0:1], s[0:1], s[46:47]
	v_add_u32_e32 v4, v3, v4
	v_cndmask_b32_e64 v3, v74, 0, s[0:1]
	s_mul_hi_u32 s0, s33, 0x88888889
	s_lshr_b32 s0, s0, 3
	v_mad_i32_i24 v5, v0, -15, s33
	v_cmp_eq_u32_e32 vcc, s0, v0
	v_cmp_ne_u32_e64 s[0:1], 0, v5
	v_cndmask_b32_e64 v6, 1, v3, s[0:1]
	v_cmp_ne_u32_e64 s[0:1], 1, v5
	v_cndmask_b32_e64 v7, 1, v75, s[0:1]
	;; [unrolled: 2-line block ×15, first 2 shown]
	s_and_b64 vcc, vcc, s[44:45]
	v_cndmask_b32_e32 v20, v1, v5, vcc
	v_cndmask_b32_e32 v19, v61, v19, vcc
	;; [unrolled: 1-line block ×15, first 2 shown]
	v_mov_b32_e32 v1, s61
	v_add_co_u32_e32 v5, vcc, s60, v32
	v_addc_co_u32_e32 v6, vcc, v1, v33, vcc
	v_add_co_u32_e32 v1, vcc, v5, v34
	v_addc_co_u32_e32 v5, vcc, v6, v35, vcc
	v_lshlrev_b32_e32 v6, 3, v2
	v_add_co_u32_e32 v6, vcc, v6, v1
	v_addc_co_u32_e32 v7, vcc, 0, v5, vcc
	v_add_co_u32_e32 v6, vcc, -8, v6
	v_addc_co_u32_e32 v7, vcc, -1, v7, vcc
	v_cmp_eq_u32_e32 vcc, 0, v3
	v_cmp_ne_u32_e64 s[28:29], 0, v3
	v_cndmask_b32_e64 v3, 1, 2, vcc
	v_cmp_eq_u32_e32 vcc, 0, v21
	v_cmp_ne_u32_e64 s[26:27], 0, v21
	v_cndmask_b32_e64 v21, 1, 2, vcc
	v_cmp_eq_u32_e32 vcc, 0, v8
	v_and_b32_e32 v3, v21, v3
	v_cmp_ne_u32_e64 s[24:25], 0, v8
	v_cndmask_b32_e64 v8, 1, 2, vcc
	v_cmp_eq_u32_e32 vcc, 0, v9
	v_and_b32_e32 v3, v3, v8
	v_cndmask_b32_e64 v8, 1, 2, vcc
	v_cmp_eq_u32_e32 vcc, 0, v10
	v_and_b32_e32 v3, v3, v8
	;; [unrolled: 3-line block ×12, first 2 shown]
	v_cndmask_b32_e64 v8, 1, 2, vcc
	s_movk_i32 s30, 0x100
	v_and_b32_e32 v3, v3, v8
	v_cmp_gt_u32_e32 vcc, s30, v4
	v_add_u32_e32 v2, v78, v2
	v_cmp_ne_u32_e64 s[22:23], 0, v9
	v_cmp_ne_u32_e64 s[20:21], 0, v10
	;; [unrolled: 1-line block ×12, first 2 shown]
	s_mov_b64 s[34:35], -1
	v_cmp_gt_i16_e64 s[30:31], 2, v3
	s_barrier
	s_cbranch_vccz .LBB62_241
; %bb.235:
	s_and_saveexec_b64 s[34:35], s[30:31]
	s_cbranch_execz .LBB62_240
; %bb.236:
	v_cmp_ne_u16_e32 vcc, 1, v3
	s_mov_b64 s[36:37], 0
	s_and_saveexec_b64 s[30:31], vcc
	s_xor_b64 s[30:31], exec, s[30:31]
	s_cbranch_execnz .LBB62_323
; %bb.237:
	s_andn2_saveexec_b64 s[30:31], s[30:31]
	s_cbranch_execnz .LBB62_339
.LBB62_238:
	s_or_b64 exec, exec, s[30:31]
	s_and_b64 exec, exec, s[36:37]
	s_cbranch_execz .LBB62_240
.LBB62_239:
	v_sub_u32_e32 v8, v36, v2
	v_mov_b32_e32 v9, 0
	v_lshlrev_b64 v[8:9], 3, v[8:9]
	v_add_co_u32_e32 v8, vcc, v6, v8
	v_addc_co_u32_e32 v9, vcc, v7, v9, vcc
	global_store_dwordx2 v[8:9], v[80:81], off
.LBB62_240:
	s_or_b64 exec, exec, s[34:35]
	s_mov_b64 s[34:35], 0
.LBB62_241:
	s_and_b64 vcc, exec, s[34:35]
	s_cbranch_vccz .LBB62_251
; %bb.242:
	v_cmp_gt_i16_e32 vcc, 2, v3
	s_and_saveexec_b64 s[30:31], vcc
	s_cbranch_execz .LBB62_247
; %bb.243:
	v_cmp_ne_u16_e32 vcc, 1, v3
	s_mov_b64 s[36:37], 0
	s_and_saveexec_b64 s[34:35], vcc
	s_xor_b64 s[34:35], exec, s[34:35]
	s_cbranch_execnz .LBB62_340
; %bb.244:
	s_andn2_saveexec_b64 s[0:1], s[34:35]
	s_cbranch_execnz .LBB62_356
.LBB62_245:
	s_or_b64 exec, exec, s[0:1]
	s_and_b64 exec, exec, s[36:37]
	s_cbranch_execz .LBB62_247
.LBB62_246:
	v_sub_u32_e32 v2, v36, v2
	v_lshlrev_b32_e32 v2, 3, v2
	ds_write_b64 v2, v[80:81]
.LBB62_247:
	s_or_b64 exec, exec, s[30:31]
	v_cmp_lt_u32_e32 vcc, v0, v4
	s_waitcnt lgkmcnt(0)
	s_barrier
	s_and_saveexec_b64 s[0:1], vcc
	s_cbranch_execz .LBB62_250
; %bb.248:
	v_lshlrev_b32_e32 v8, 3, v0
	s_mov_b64 s[2:3], 0
	v_mov_b32_e32 v3, 0
	v_mov_b32_e32 v2, v0
.LBB62_249:                             ; =>This Inner Loop Header: Depth=1
	v_lshlrev_b64 v[10:11], 3, v[2:3]
	ds_read_b64 v[12:13], v8
	v_add_co_u32_e32 v10, vcc, v6, v10
	v_add_u32_e32 v2, 0x100, v2
	v_addc_co_u32_e32 v11, vcc, v7, v11, vcc
	v_cmp_ge_u32_e32 vcc, v2, v4
	v_add_u32_e32 v8, 0x800, v8
	s_or_b64 s[2:3], vcc, s[2:3]
	s_waitcnt lgkmcnt(0)
	global_store_dwordx2 v[10:11], v[12:13], off
	s_andn2_b64 exec, exec, s[2:3]
	s_cbranch_execnz .LBB62_249
.LBB62_250:
	s_or_b64 exec, exec, s[0:1]
.LBB62_251:
	s_movk_i32 s0, 0xff
	v_cmp_eq_u32_e32 vcc, s0, v0
	s_and_b64 s[0:1], vcc, s[44:45]
	s_and_saveexec_b64 s[2:3], s[0:1]
	s_cbranch_execz .LBB62_254
; %bb.252:
	v_add_co_u32_e32 v0, vcc, v60, v78
	v_addc_co_u32_e64 v3, s[0:1], 0, 0, vcc
	v_add_co_u32_e32 v2, vcc, v0, v30
	v_mov_b32_e32 v61, 0
	v_addc_co_u32_e32 v3, vcc, v3, v31, vcc
	s_cmpk_lg_i32 s33, 0xf00
	global_store_dwordx2 v61, v[2:3], s[62:63]
	s_cbranch_scc1 .LBB62_254
; %bb.253:
	v_lshlrev_b64 v[2:3], 3, v[60:61]
	v_add_co_u32_e32 v0, vcc, v1, v2
	v_addc_co_u32_e32 v1, vcc, v5, v3, vcc
	global_store_dwordx2 v[0:1], v[76:77], off offset:-8
.LBB62_254:
	s_endpgm
.LBB62_255:
                                        ; implicit-def: $sgpr8_sgpr9
                                        ; implicit-def: $vgpr1
                                        ; implicit-def: $vgpr61
                                        ; implicit-def: $vgpr112
                                        ; implicit-def: $vgpr63
                                        ; implicit-def: $vgpr62
                                        ; implicit-def: $vgpr65
                                        ; implicit-def: $vgpr64
                                        ; implicit-def: $vgpr67
                                        ; implicit-def: $vgpr66
                                        ; implicit-def: $vgpr69
                                        ; implicit-def: $vgpr68
                                        ; implicit-def: $vgpr71
                                        ; implicit-def: $vgpr70
                                        ; implicit-def: $vgpr75
	s_cbranch_execz .LBB62_113
.LBB62_256:
	v_mad_u32_u24 v60, v0, 15, 14
	v_mov_b32_e32 v61, 0
	v_lshlrev_b32_e32 v78, 3, v0
	s_waitcnt vmcnt(0) lgkmcnt(0)
	v_mul_u32_u24_e32 v76, 15, v0
	v_cmp_gt_u64_e32 vcc, s[6:7], v[60:61]
	v_mov_b32_e32 v1, 0
	ds_write_b64 v78, v[58:59]
	s_and_saveexec_b64 s[8:9], vcc
	s_cbranch_execz .LBB62_258
; %bb.257:
	v_cvt_i32_f64_e32 v60, v[4:5]
	s_mov_b32 s10, 0x66666667
	v_cvt_i32_f64_e32 v1, v[58:59]
	v_mul_hi_i32 v60, v60, s10
	v_lshrrev_b32_e32 v62, 31, v60
	v_ashrrev_i32_e32 v60, 2, v60
	v_mul_hi_i32 v1, v1, s10
	v_add_u32_e32 v60, v60, v62
	v_lshrrev_b32_e32 v62, 31, v1
	v_ashrrev_i32_e32 v1, 2, v1
	v_add_u32_e32 v1, v1, v62
	v_cmp_ne_u32_e32 vcc, v60, v1
	v_cndmask_b32_e64 v1, 0, 1, vcc
.LBB62_258:
	s_or_b64 exec, exec, s[8:9]
	v_add_u32_e32 v60, 13, v76
	v_cmp_gt_u64_e32 vcc, s[6:7], v[60:61]
	s_and_saveexec_b64 s[8:9], vcc
	s_cbranch_execz .LBB62_260
; %bb.259:
	v_cvt_i32_f64_e32 v61, v[2:3]
	s_mov_b32 s10, 0x66666667
	v_cvt_i32_f64_e32 v60, v[4:5]
	v_mul_hi_i32 v61, v61, s10
	v_lshrrev_b32_e32 v62, 31, v61
	v_ashrrev_i32_e32 v61, 2, v61
	v_mul_hi_i32 v60, v60, s10
	v_add_u32_e32 v61, v61, v62
	v_lshrrev_b32_e32 v62, 31, v60
	v_ashrrev_i32_e32 v60, 2, v60
	v_add_u32_e32 v60, v60, v62
	v_cmp_ne_u32_e32 vcc, v61, v60
	v_cndmask_b32_e64 v61, 0, 1, vcc
.LBB62_260:
	s_or_b64 exec, exec, s[8:9]
	v_add_u32_e32 v62, 12, v76
	v_mov_b32_e32 v63, 0
	v_cmp_gt_u64_e32 vcc, s[6:7], v[62:63]
	v_mov_b32_e32 v112, 0
	s_and_saveexec_b64 s[8:9], vcc
	s_cbranch_execz .LBB62_262
; %bb.261:
	v_cvt_i32_f64_e32 v62, v[8:9]
	s_mov_b32 s10, 0x66666667
	v_cvt_i32_f64_e32 v60, v[2:3]
	v_mul_hi_i32 v62, v62, s10
	v_lshrrev_b32_e32 v64, 31, v62
	v_ashrrev_i32_e32 v62, 2, v62
	v_mul_hi_i32 v60, v60, s10
	v_add_u32_e32 v62, v62, v64
	v_lshrrev_b32_e32 v64, 31, v60
	v_ashrrev_i32_e32 v60, 2, v60
	v_add_u32_e32 v60, v60, v64
	v_cmp_ne_u32_e32 vcc, v62, v60
	v_cndmask_b32_e64 v112, 0, 1, vcc
.LBB62_262:
	s_or_b64 exec, exec, s[8:9]
	v_add_u32_e32 v62, 11, v76
	v_cmp_gt_u64_e32 vcc, s[6:7], v[62:63]
	s_and_saveexec_b64 s[8:9], vcc
	s_cbranch_execz .LBB62_264
; %bb.263:
	v_cvt_i32_f64_e32 v62, v[6:7]
	s_mov_b32 s10, 0x66666667
	v_cvt_i32_f64_e32 v60, v[8:9]
	v_mul_hi_i32 v62, v62, s10
	v_lshrrev_b32_e32 v63, 31, v62
	v_ashrrev_i32_e32 v62, 2, v62
	v_mul_hi_i32 v60, v60, s10
	v_add_u32_e32 v62, v62, v63
	v_lshrrev_b32_e32 v63, 31, v60
	v_ashrrev_i32_e32 v60, 2, v60
	v_add_u32_e32 v60, v60, v63
	v_cmp_ne_u32_e32 vcc, v62, v60
	v_cndmask_b32_e64 v63, 0, 1, vcc
.LBB62_264:
	s_or_b64 exec, exec, s[8:9]
	v_add_u32_e32 v64, 10, v76
	v_mov_b32_e32 v65, 0
	v_cmp_gt_u64_e32 vcc, s[6:7], v[64:65]
	v_mov_b32_e32 v62, 0
	;; [unrolled: 42-line block ×6, first 2 shown]
	s_and_saveexec_b64 s[8:9], vcc
	s_cbranch_execz .LBB62_282
; %bb.281:
	v_cvt_i32_f64_e32 v70, v[28:29]
	s_mov_b32 s10, 0x66666667
	v_cvt_i32_f64_e32 v60, v[22:23]
	v_mul_hi_i32 v70, v70, s10
	v_lshrrev_b32_e32 v74, 31, v70
	v_ashrrev_i32_e32 v70, 2, v70
	v_mul_hi_i32 v60, v60, s10
	v_add_u32_e32 v70, v70, v74
	v_lshrrev_b32_e32 v74, 31, v60
	v_ashrrev_i32_e32 v60, 2, v60
	v_add_u32_e32 v60, v60, v74
	v_cmp_ne_u32_e32 vcc, v70, v60
	v_cndmask_b32_e64 v70, 0, 1, vcc
.LBB62_282:
	s_or_b64 exec, exec, s[8:9]
	v_add_u32_e32 v74, 1, v76
	v_cmp_gt_u64_e32 vcc, s[6:7], v[74:75]
	s_and_saveexec_b64 s[8:9], vcc
	s_cbranch_execz .LBB62_284
; %bb.283:
	v_cvt_i32_f64_e32 v74, v[26:27]
	s_mov_b32 s10, 0x66666667
	v_cvt_i32_f64_e32 v60, v[28:29]
	v_mul_hi_i32 v74, v74, s10
	v_lshrrev_b32_e32 v75, 31, v74
	v_ashrrev_i32_e32 v74, 2, v74
	v_mul_hi_i32 v60, v60, s10
	v_add_u32_e32 v74, v74, v75
	v_lshrrev_b32_e32 v75, 31, v60
	v_ashrrev_i32_e32 v60, 2, v60
	v_add_u32_e32 v60, v60, v75
	v_cmp_ne_u32_e32 vcc, v74, v60
	v_cndmask_b32_e64 v75, 0, 1, vcc
.LBB62_284:
	s_or_b64 exec, exec, s[8:9]
	s_waitcnt lgkmcnt(0)
	s_barrier
	s_waitcnt lgkmcnt(0)
                                        ; implicit-def: $sgpr8_sgpr9
	s_and_saveexec_b64 s[10:11], s[2:3]
	s_cbranch_execz .LBB62_288
; %bb.285:
	v_mov_b32_e32 v77, 0
	v_cmp_gt_u64_e32 vcc, s[6:7], v[76:77]
	s_mov_b64 s[6:7], 0
	s_and_saveexec_b64 s[2:3], vcc
	s_cbranch_execz .LBB62_287
; %bb.286:
	v_add_u32_e32 v60, -8, v78
	ds_read_b64 v[76:77], v60
	s_mov_b32 s6, 0x66666667
	v_cvt_i32_f64_e32 v60, v[26:27]
	v_mul_hi_i32 v60, v60, s6
	s_waitcnt lgkmcnt(0)
	v_cvt_i32_f64_e32 v74, v[76:77]
	v_mul_hi_i32 v74, v74, s6
	v_lshrrev_b32_e32 v76, 31, v74
	v_ashrrev_i32_e32 v74, 2, v74
	v_add_u32_e32 v74, v74, v76
	v_lshrrev_b32_e32 v76, 31, v60
	v_ashrrev_i32_e32 v60, 2, v60
	v_add_u32_e32 v60, v60, v76
	v_cmp_ne_u32_e32 vcc, v74, v60
	s_and_b64 s[6:7], vcc, exec
.LBB62_287:
	s_or_b64 exec, exec, s[2:3]
	s_and_b64 s[8:9], s[6:7], exec
	s_or_b64 s[4:5], s[4:5], exec
.LBB62_288:
	s_or_b64 exec, exec, s[10:11]
	s_mov_b32 s10, 1
	v_mov_b32_e32 v74, s10
	s_and_saveexec_b64 s[2:3], s[4:5]
	s_cbranch_execnz .LBB62_115
	s_branch .LBB62_116
.LBB62_289:
	s_and_saveexec_b64 s[38:39], s[30:31]
	s_cbranch_execnz .LBB62_357
; %bb.290:
	s_or_b64 exec, exec, s[38:39]
	s_and_saveexec_b64 s[38:39], s[28:29]
	s_cbranch_execnz .LBB62_358
.LBB62_291:
	s_or_b64 exec, exec, s[38:39]
	s_and_saveexec_b64 s[38:39], s[26:27]
	s_cbranch_execnz .LBB62_359
.LBB62_292:
	s_or_b64 exec, exec, s[38:39]
	s_and_saveexec_b64 s[38:39], s[24:25]
	s_cbranch_execnz .LBB62_360
.LBB62_293:
	s_or_b64 exec, exec, s[38:39]
	s_and_saveexec_b64 s[38:39], s[22:23]
	s_cbranch_execnz .LBB62_361
.LBB62_294:
	s_or_b64 exec, exec, s[38:39]
	s_and_saveexec_b64 s[38:39], s[20:21]
	s_cbranch_execnz .LBB62_362
.LBB62_295:
	s_or_b64 exec, exec, s[38:39]
	s_and_saveexec_b64 s[38:39], s[18:19]
	s_cbranch_execnz .LBB62_363
.LBB62_296:
	s_or_b64 exec, exec, s[38:39]
	s_and_saveexec_b64 s[38:39], s[16:17]
	s_cbranch_execnz .LBB62_364
.LBB62_297:
	s_or_b64 exec, exec, s[38:39]
	s_and_saveexec_b64 s[38:39], s[14:15]
	s_cbranch_execnz .LBB62_365
.LBB62_298:
	s_or_b64 exec, exec, s[38:39]
	s_and_saveexec_b64 s[38:39], s[12:13]
	s_cbranch_execnz .LBB62_366
.LBB62_299:
	s_or_b64 exec, exec, s[38:39]
	s_and_saveexec_b64 s[38:39], s[10:11]
	s_cbranch_execnz .LBB62_367
.LBB62_300:
	s_or_b64 exec, exec, s[38:39]
	s_and_saveexec_b64 s[38:39], s[8:9]
	s_cbranch_execnz .LBB62_368
.LBB62_301:
	s_or_b64 exec, exec, s[38:39]
	s_and_saveexec_b64 s[38:39], s[6:7]
	s_cbranch_execnz .LBB62_369
.LBB62_302:
	s_or_b64 exec, exec, s[38:39]
	s_and_saveexec_b64 s[38:39], s[4:5]
	s_cbranch_execz .LBB62_304
.LBB62_303:
	v_sub_u32_e32 v54, v37, v78
	v_mov_b32_e32 v55, 0
	v_lshlrev_b64 v[54:55], 3, v[54:55]
	v_add_co_u32_e32 v54, vcc, v50, v54
	v_addc_co_u32_e32 v55, vcc, v51, v55, vcc
	global_store_dwordx2 v[54:55], v[4:5], off
.LBB62_304:
	s_or_b64 exec, exec, s[38:39]
	s_and_b64 s[38:39], s[2:3], exec
	s_andn2_saveexec_b64 s[34:35], s[34:35]
	s_cbranch_execz .LBB62_221
.LBB62_305:
	v_sub_u32_e32 v54, v113, v78
	v_mov_b32_e32 v55, 0
	v_lshlrev_b64 v[56:57], 3, v[54:55]
	v_add_co_u32_e32 v56, vcc, v50, v56
	v_addc_co_u32_e32 v57, vcc, v51, v57, vcc
	v_sub_u32_e32 v54, v49, v78
	global_store_dwordx2 v[56:57], v[26:27], off
	v_lshlrev_b64 v[56:57], 3, v[54:55]
	v_add_co_u32_e32 v56, vcc, v50, v56
	v_addc_co_u32_e32 v57, vcc, v51, v57, vcc
	v_sub_u32_e32 v54, v48, v78
	global_store_dwordx2 v[56:57], v[28:29], off
	;; [unrolled: 5-line block ×12, first 2 shown]
	v_lshlrev_b64 v[56:57], 3, v[54:55]
	v_add_co_u32_e32 v56, vcc, v50, v56
	v_sub_u32_e32 v54, v37, v78
	v_addc_co_u32_e32 v57, vcc, v51, v57, vcc
	v_lshlrev_b64 v[54:55], 3, v[54:55]
	v_add_co_u32_e32 v54, vcc, v50, v54
	v_addc_co_u32_e32 v55, vcc, v51, v55, vcc
	s_or_b64 s[38:39], s[38:39], exec
	global_store_dwordx2 v[56:57], v[2:3], off
	global_store_dwordx2 v[54:55], v[4:5], off
	s_or_b64 exec, exec, s[34:35]
	s_and_b64 exec, exec, s[38:39]
	s_cbranch_execnz .LBB62_222
	s_branch .LBB62_223
.LBB62_306:
	s_and_saveexec_b64 s[38:39], s[30:31]
	s_cbranch_execnz .LBB62_370
; %bb.307:
	s_or_b64 exec, exec, s[38:39]
	s_and_saveexec_b64 s[30:31], s[28:29]
	s_cbranch_execnz .LBB62_371
.LBB62_308:
	s_or_b64 exec, exec, s[30:31]
	s_and_saveexec_b64 s[28:29], s[26:27]
	s_cbranch_execnz .LBB62_372
.LBB62_309:
	s_or_b64 exec, exec, s[28:29]
	s_and_saveexec_b64 s[26:27], s[24:25]
	s_cbranch_execnz .LBB62_373
.LBB62_310:
	s_or_b64 exec, exec, s[26:27]
	s_and_saveexec_b64 s[24:25], s[22:23]
	s_cbranch_execnz .LBB62_374
.LBB62_311:
	s_or_b64 exec, exec, s[24:25]
	s_and_saveexec_b64 s[22:23], s[20:21]
	s_cbranch_execnz .LBB62_375
.LBB62_312:
	s_or_b64 exec, exec, s[22:23]
	s_and_saveexec_b64 s[20:21], s[18:19]
	s_cbranch_execnz .LBB62_376
.LBB62_313:
	s_or_b64 exec, exec, s[20:21]
	s_and_saveexec_b64 s[18:19], s[16:17]
	s_cbranch_execnz .LBB62_377
.LBB62_314:
	s_or_b64 exec, exec, s[18:19]
	s_and_saveexec_b64 s[16:17], s[14:15]
	s_cbranch_execnz .LBB62_378
.LBB62_315:
	s_or_b64 exec, exec, s[16:17]
	s_and_saveexec_b64 s[14:15], s[12:13]
	s_cbranch_execnz .LBB62_379
.LBB62_316:
	s_or_b64 exec, exec, s[14:15]
	s_and_saveexec_b64 s[12:13], s[10:11]
	s_cbranch_execnz .LBB62_380
.LBB62_317:
	s_or_b64 exec, exec, s[12:13]
	s_and_saveexec_b64 s[10:11], s[8:9]
	s_cbranch_execnz .LBB62_381
.LBB62_318:
	s_or_b64 exec, exec, s[10:11]
	s_and_saveexec_b64 s[8:9], s[6:7]
	s_cbranch_execnz .LBB62_382
.LBB62_319:
	s_or_b64 exec, exec, s[8:9]
	s_and_saveexec_b64 s[6:7], s[4:5]
	s_cbranch_execz .LBB62_321
.LBB62_320:
	v_sub_u32_e32 v2, v37, v78
	v_lshlrev_b32_e32 v2, 3, v2
	ds_write_b64 v2, v[4:5]
.LBB62_321:
	s_or_b64 exec, exec, s[6:7]
	s_and_b64 s[38:39], s[2:3], exec
                                        ; implicit-def: $vgpr26_vgpr27_vgpr28_vgpr29
                                        ; implicit-def: $vgpr22_vgpr23_vgpr24_vgpr25
                                        ; implicit-def: $vgpr18_vgpr19_vgpr20_vgpr21
                                        ; implicit-def: $vgpr14_vgpr15_vgpr16_vgpr17
                                        ; implicit-def: $vgpr10_vgpr11_vgpr12_vgpr13
                                        ; implicit-def: $vgpr6_vgpr7_vgpr8_vgpr9
                                        ; implicit-def: $vgpr2_vgpr3_vgpr4_vgpr5
	s_andn2_saveexec_b64 s[2:3], s[36:37]
	s_cbranch_execz .LBB62_228
.LBB62_322:
	v_sub_u32_e32 v52, v113, v78
	v_lshlrev_b32_e32 v52, 3, v52
	ds_write_b64 v52, v[26:27]
	v_sub_u32_e32 v26, v49, v78
	v_lshlrev_b32_e32 v26, 3, v26
	ds_write_b64 v26, v[28:29]
	v_sub_u32_e32 v26, v48, v78
	v_lshlrev_b32_e32 v26, 3, v26
	ds_write_b64 v26, v[22:23]
	v_sub_u32_e32 v22, v47, v78
	v_lshlrev_b32_e32 v22, 3, v22
	ds_write_b64 v22, v[24:25]
	v_sub_u32_e32 v22, v46, v78
	v_lshlrev_b32_e32 v22, 3, v22
	ds_write_b64 v22, v[18:19]
	v_sub_u32_e32 v18, v45, v78
	v_lshlrev_b32_e32 v18, 3, v18
	ds_write_b64 v18, v[20:21]
	v_sub_u32_e32 v18, v44, v78
	v_lshlrev_b32_e32 v18, 3, v18
	ds_write_b64 v18, v[14:15]
	v_sub_u32_e32 v14, v43, v78
	v_lshlrev_b32_e32 v14, 3, v14
	ds_write_b64 v14, v[16:17]
	v_sub_u32_e32 v14, v42, v78
	v_lshlrev_b32_e32 v14, 3, v14
	ds_write_b64 v14, v[10:11]
	v_sub_u32_e32 v10, v41, v78
	v_lshlrev_b32_e32 v10, 3, v10
	ds_write_b64 v10, v[12:13]
	v_sub_u32_e32 v10, v40, v78
	v_lshlrev_b32_e32 v10, 3, v10
	ds_write_b64 v10, v[6:7]
	v_sub_u32_e32 v6, v39, v78
	v_lshlrev_b32_e32 v6, 3, v6
	ds_write_b64 v6, v[8:9]
	v_sub_u32_e32 v6, v38, v78
	v_lshlrev_b32_e32 v6, 3, v6
	ds_write_b64 v6, v[2:3]
	v_sub_u32_e32 v2, v37, v78
	v_lshlrev_b32_e32 v2, 3, v2
	s_or_b64 s[38:39], s[38:39], exec
	ds_write_b64 v2, v[4:5]
	s_or_b64 exec, exec, s[2:3]
	s_and_b64 exec, exec, s[38:39]
	s_cbranch_execnz .LBB62_229
	s_branch .LBB62_230
.LBB62_323:
	s_and_saveexec_b64 s[36:37], s[28:29]
	s_cbranch_execnz .LBB62_383
; %bb.324:
	s_or_b64 exec, exec, s[36:37]
	s_and_saveexec_b64 s[36:37], s[26:27]
	s_cbranch_execnz .LBB62_384
.LBB62_325:
	s_or_b64 exec, exec, s[36:37]
	s_and_saveexec_b64 s[36:37], s[24:25]
	s_cbranch_execnz .LBB62_385
.LBB62_326:
	s_or_b64 exec, exec, s[36:37]
	s_and_saveexec_b64 s[36:37], s[22:23]
	s_cbranch_execnz .LBB62_386
.LBB62_327:
	s_or_b64 exec, exec, s[36:37]
	s_and_saveexec_b64 s[36:37], s[20:21]
	s_cbranch_execnz .LBB62_387
.LBB62_328:
	s_or_b64 exec, exec, s[36:37]
	s_and_saveexec_b64 s[36:37], s[18:19]
	s_cbranch_execnz .LBB62_388
.LBB62_329:
	s_or_b64 exec, exec, s[36:37]
	s_and_saveexec_b64 s[36:37], s[16:17]
	s_cbranch_execnz .LBB62_389
.LBB62_330:
	s_or_b64 exec, exec, s[36:37]
	s_and_saveexec_b64 s[36:37], s[14:15]
	s_cbranch_execnz .LBB62_390
.LBB62_331:
	s_or_b64 exec, exec, s[36:37]
	s_and_saveexec_b64 s[36:37], s[12:13]
	s_cbranch_execnz .LBB62_391
.LBB62_332:
	s_or_b64 exec, exec, s[36:37]
	s_and_saveexec_b64 s[36:37], s[10:11]
	s_cbranch_execnz .LBB62_392
.LBB62_333:
	s_or_b64 exec, exec, s[36:37]
	s_and_saveexec_b64 s[36:37], s[8:9]
	s_cbranch_execnz .LBB62_393
.LBB62_334:
	s_or_b64 exec, exec, s[36:37]
	s_and_saveexec_b64 s[36:37], s[6:7]
	s_cbranch_execnz .LBB62_394
.LBB62_335:
	s_or_b64 exec, exec, s[36:37]
	s_and_saveexec_b64 s[36:37], s[4:5]
	s_cbranch_execnz .LBB62_395
.LBB62_336:
	s_or_b64 exec, exec, s[36:37]
	s_and_saveexec_b64 s[36:37], s[2:3]
	s_cbranch_execz .LBB62_338
.LBB62_337:
	v_sub_u32_e32 v8, v37, v2
	v_mov_b32_e32 v9, 0
	v_lshlrev_b64 v[8:9], 3, v[8:9]
	v_add_co_u32_e32 v8, vcc, v6, v8
	v_addc_co_u32_e32 v9, vcc, v7, v9, vcc
	global_store_dwordx2 v[8:9], v[82:83], off
.LBB62_338:
	s_or_b64 exec, exec, s[36:37]
	s_and_b64 s[36:37], s[0:1], exec
	s_andn2_saveexec_b64 s[30:31], s[30:31]
	s_cbranch_execz .LBB62_238
.LBB62_339:
	v_sub_u32_e32 v8, v113, v2
	v_mov_b32_e32 v9, 0
	v_lshlrev_b64 v[10:11], 3, v[8:9]
	v_add_co_u32_e32 v10, vcc, v6, v10
	v_addc_co_u32_e32 v11, vcc, v7, v11, vcc
	v_sub_u32_e32 v8, v49, v2
	global_store_dwordx2 v[10:11], v[108:109], off
	v_lshlrev_b64 v[10:11], 3, v[8:9]
	v_add_co_u32_e32 v10, vcc, v6, v10
	v_addc_co_u32_e32 v11, vcc, v7, v11, vcc
	v_sub_u32_e32 v8, v48, v2
	global_store_dwordx2 v[10:11], v[106:107], off
	;; [unrolled: 5-line block ×12, first 2 shown]
	v_lshlrev_b64 v[10:11], 3, v[8:9]
	v_add_co_u32_e32 v10, vcc, v6, v10
	v_sub_u32_e32 v8, v37, v2
	v_addc_co_u32_e32 v11, vcc, v7, v11, vcc
	v_lshlrev_b64 v[8:9], 3, v[8:9]
	v_add_co_u32_e32 v8, vcc, v6, v8
	v_addc_co_u32_e32 v9, vcc, v7, v9, vcc
	s_or_b64 s[36:37], s[36:37], exec
	global_store_dwordx2 v[10:11], v[84:85], off
	global_store_dwordx2 v[8:9], v[82:83], off
	s_or_b64 exec, exec, s[30:31]
	s_and_b64 exec, exec, s[36:37]
	s_cbranch_execnz .LBB62_239
	s_branch .LBB62_240
.LBB62_340:
	s_and_saveexec_b64 s[36:37], s[28:29]
	s_cbranch_execnz .LBB62_396
; %bb.341:
	s_or_b64 exec, exec, s[36:37]
	s_and_saveexec_b64 s[28:29], s[26:27]
	s_cbranch_execnz .LBB62_397
.LBB62_342:
	s_or_b64 exec, exec, s[28:29]
	s_and_saveexec_b64 s[26:27], s[24:25]
	s_cbranch_execnz .LBB62_398
.LBB62_343:
	s_or_b64 exec, exec, s[26:27]
	s_and_saveexec_b64 s[24:25], s[22:23]
	s_cbranch_execnz .LBB62_399
.LBB62_344:
	s_or_b64 exec, exec, s[24:25]
	s_and_saveexec_b64 s[22:23], s[20:21]
	s_cbranch_execnz .LBB62_400
.LBB62_345:
	s_or_b64 exec, exec, s[22:23]
	s_and_saveexec_b64 s[20:21], s[18:19]
	s_cbranch_execnz .LBB62_401
.LBB62_346:
	s_or_b64 exec, exec, s[20:21]
	s_and_saveexec_b64 s[18:19], s[16:17]
	s_cbranch_execnz .LBB62_402
.LBB62_347:
	s_or_b64 exec, exec, s[18:19]
	s_and_saveexec_b64 s[16:17], s[14:15]
	s_cbranch_execnz .LBB62_403
.LBB62_348:
	s_or_b64 exec, exec, s[16:17]
	s_and_saveexec_b64 s[14:15], s[12:13]
	s_cbranch_execnz .LBB62_404
.LBB62_349:
	s_or_b64 exec, exec, s[14:15]
	s_and_saveexec_b64 s[12:13], s[10:11]
	s_cbranch_execnz .LBB62_405
.LBB62_350:
	s_or_b64 exec, exec, s[12:13]
	s_and_saveexec_b64 s[10:11], s[8:9]
	s_cbranch_execnz .LBB62_406
.LBB62_351:
	s_or_b64 exec, exec, s[10:11]
	s_and_saveexec_b64 s[8:9], s[6:7]
	s_cbranch_execnz .LBB62_407
.LBB62_352:
	s_or_b64 exec, exec, s[8:9]
	s_and_saveexec_b64 s[6:7], s[4:5]
	s_cbranch_execnz .LBB62_408
.LBB62_353:
	s_or_b64 exec, exec, s[6:7]
	s_and_saveexec_b64 s[4:5], s[2:3]
	s_cbranch_execz .LBB62_355
.LBB62_354:
	v_sub_u32_e32 v3, v37, v2
	v_lshlrev_b32_e32 v3, 3, v3
	ds_write_b64 v3, v[82:83]
.LBB62_355:
	s_or_b64 exec, exec, s[4:5]
	s_and_b64 s[36:37], s[0:1], exec
                                        ; implicit-def: $vgpr108_vgpr109
                                        ; implicit-def: $vgpr106_vgpr107
                                        ; implicit-def: $vgpr104_vgpr105
                                        ; implicit-def: $vgpr102_vgpr103
                                        ; implicit-def: $vgpr100_vgpr101
                                        ; implicit-def: $vgpr98_vgpr99
                                        ; implicit-def: $vgpr96_vgpr97
                                        ; implicit-def: $vgpr94_vgpr95
                                        ; implicit-def: $vgpr92_vgpr93
                                        ; implicit-def: $vgpr90_vgpr91
                                        ; implicit-def: $vgpr88_vgpr89
                                        ; implicit-def: $vgpr86_vgpr87
                                        ; implicit-def: $vgpr84_vgpr85
                                        ; implicit-def: $vgpr82_vgpr83
                                        ; implicit-def: $vgpr113
                                        ; implicit-def: $vgpr49
                                        ; implicit-def: $vgpr48
                                        ; implicit-def: $vgpr47
                                        ; implicit-def: $vgpr46
                                        ; implicit-def: $vgpr45
                                        ; implicit-def: $vgpr44
                                        ; implicit-def: $vgpr43
                                        ; implicit-def: $vgpr42
                                        ; implicit-def: $vgpr41
                                        ; implicit-def: $vgpr40
                                        ; implicit-def: $vgpr39
                                        ; implicit-def: $vgpr38
                                        ; implicit-def: $vgpr37
	s_andn2_saveexec_b64 s[0:1], s[34:35]
	s_cbranch_execz .LBB62_245
.LBB62_356:
	v_sub_u32_e32 v3, v113, v2
	v_lshlrev_b32_e32 v3, 3, v3
	ds_write_b64 v3, v[108:109]
	v_sub_u32_e32 v3, v49, v2
	v_lshlrev_b32_e32 v3, 3, v3
	ds_write_b64 v3, v[106:107]
	;; [unrolled: 3-line block ×13, first 2 shown]
	v_sub_u32_e32 v3, v37, v2
	v_lshlrev_b32_e32 v3, 3, v3
	s_or_b64 s[36:37], s[36:37], exec
	ds_write_b64 v3, v[82:83]
	s_or_b64 exec, exec, s[0:1]
	s_and_b64 exec, exec, s[36:37]
	s_cbranch_execnz .LBB62_246
	s_branch .LBB62_247
.LBB62_357:
	v_sub_u32_e32 v54, v113, v78
	v_mov_b32_e32 v55, 0
	v_lshlrev_b64 v[54:55], 3, v[54:55]
	v_add_co_u32_e32 v54, vcc, v50, v54
	v_addc_co_u32_e32 v55, vcc, v51, v55, vcc
	global_store_dwordx2 v[54:55], v[26:27], off
	s_or_b64 exec, exec, s[38:39]
	s_and_saveexec_b64 s[38:39], s[28:29]
	s_cbranch_execz .LBB62_291
.LBB62_358:
	v_sub_u32_e32 v54, v49, v78
	v_mov_b32_e32 v55, 0
	v_lshlrev_b64 v[54:55], 3, v[54:55]
	v_add_co_u32_e32 v54, vcc, v50, v54
	v_addc_co_u32_e32 v55, vcc, v51, v55, vcc
	global_store_dwordx2 v[54:55], v[28:29], off
	s_or_b64 exec, exec, s[38:39]
	s_and_saveexec_b64 s[38:39], s[26:27]
	s_cbranch_execz .LBB62_292
.LBB62_359:
	v_sub_u32_e32 v54, v48, v78
	v_mov_b32_e32 v55, 0
	v_lshlrev_b64 v[54:55], 3, v[54:55]
	v_add_co_u32_e32 v54, vcc, v50, v54
	v_addc_co_u32_e32 v55, vcc, v51, v55, vcc
	global_store_dwordx2 v[54:55], v[22:23], off
	s_or_b64 exec, exec, s[38:39]
	s_and_saveexec_b64 s[38:39], s[24:25]
	s_cbranch_execz .LBB62_293
.LBB62_360:
	v_sub_u32_e32 v54, v47, v78
	v_mov_b32_e32 v55, 0
	v_lshlrev_b64 v[54:55], 3, v[54:55]
	v_add_co_u32_e32 v54, vcc, v50, v54
	v_addc_co_u32_e32 v55, vcc, v51, v55, vcc
	global_store_dwordx2 v[54:55], v[24:25], off
	s_or_b64 exec, exec, s[38:39]
	s_and_saveexec_b64 s[38:39], s[22:23]
	s_cbranch_execz .LBB62_294
.LBB62_361:
	v_sub_u32_e32 v54, v46, v78
	v_mov_b32_e32 v55, 0
	v_lshlrev_b64 v[54:55], 3, v[54:55]
	v_add_co_u32_e32 v54, vcc, v50, v54
	v_addc_co_u32_e32 v55, vcc, v51, v55, vcc
	global_store_dwordx2 v[54:55], v[18:19], off
	s_or_b64 exec, exec, s[38:39]
	s_and_saveexec_b64 s[38:39], s[20:21]
	s_cbranch_execz .LBB62_295
.LBB62_362:
	v_sub_u32_e32 v54, v45, v78
	v_mov_b32_e32 v55, 0
	v_lshlrev_b64 v[54:55], 3, v[54:55]
	v_add_co_u32_e32 v54, vcc, v50, v54
	v_addc_co_u32_e32 v55, vcc, v51, v55, vcc
	global_store_dwordx2 v[54:55], v[20:21], off
	s_or_b64 exec, exec, s[38:39]
	s_and_saveexec_b64 s[38:39], s[18:19]
	s_cbranch_execz .LBB62_296
.LBB62_363:
	v_sub_u32_e32 v54, v44, v78
	v_mov_b32_e32 v55, 0
	v_lshlrev_b64 v[54:55], 3, v[54:55]
	v_add_co_u32_e32 v54, vcc, v50, v54
	v_addc_co_u32_e32 v55, vcc, v51, v55, vcc
	global_store_dwordx2 v[54:55], v[14:15], off
	s_or_b64 exec, exec, s[38:39]
	s_and_saveexec_b64 s[38:39], s[16:17]
	s_cbranch_execz .LBB62_297
.LBB62_364:
	v_sub_u32_e32 v54, v43, v78
	v_mov_b32_e32 v55, 0
	v_lshlrev_b64 v[54:55], 3, v[54:55]
	v_add_co_u32_e32 v54, vcc, v50, v54
	v_addc_co_u32_e32 v55, vcc, v51, v55, vcc
	global_store_dwordx2 v[54:55], v[16:17], off
	s_or_b64 exec, exec, s[38:39]
	s_and_saveexec_b64 s[38:39], s[14:15]
	s_cbranch_execz .LBB62_298
.LBB62_365:
	v_sub_u32_e32 v54, v42, v78
	v_mov_b32_e32 v55, 0
	v_lshlrev_b64 v[54:55], 3, v[54:55]
	v_add_co_u32_e32 v54, vcc, v50, v54
	v_addc_co_u32_e32 v55, vcc, v51, v55, vcc
	global_store_dwordx2 v[54:55], v[10:11], off
	s_or_b64 exec, exec, s[38:39]
	s_and_saveexec_b64 s[38:39], s[12:13]
	s_cbranch_execz .LBB62_299
.LBB62_366:
	v_sub_u32_e32 v54, v41, v78
	v_mov_b32_e32 v55, 0
	v_lshlrev_b64 v[54:55], 3, v[54:55]
	v_add_co_u32_e32 v54, vcc, v50, v54
	v_addc_co_u32_e32 v55, vcc, v51, v55, vcc
	global_store_dwordx2 v[54:55], v[12:13], off
	s_or_b64 exec, exec, s[38:39]
	s_and_saveexec_b64 s[38:39], s[10:11]
	s_cbranch_execz .LBB62_300
.LBB62_367:
	v_sub_u32_e32 v54, v40, v78
	v_mov_b32_e32 v55, 0
	v_lshlrev_b64 v[54:55], 3, v[54:55]
	v_add_co_u32_e32 v54, vcc, v50, v54
	v_addc_co_u32_e32 v55, vcc, v51, v55, vcc
	global_store_dwordx2 v[54:55], v[6:7], off
	s_or_b64 exec, exec, s[38:39]
	s_and_saveexec_b64 s[38:39], s[8:9]
	s_cbranch_execz .LBB62_301
.LBB62_368:
	v_sub_u32_e32 v54, v39, v78
	v_mov_b32_e32 v55, 0
	v_lshlrev_b64 v[54:55], 3, v[54:55]
	v_add_co_u32_e32 v54, vcc, v50, v54
	v_addc_co_u32_e32 v55, vcc, v51, v55, vcc
	global_store_dwordx2 v[54:55], v[8:9], off
	s_or_b64 exec, exec, s[38:39]
	s_and_saveexec_b64 s[38:39], s[6:7]
	s_cbranch_execz .LBB62_302
.LBB62_369:
	v_sub_u32_e32 v54, v38, v78
	v_mov_b32_e32 v55, 0
	v_lshlrev_b64 v[54:55], 3, v[54:55]
	v_add_co_u32_e32 v54, vcc, v50, v54
	v_addc_co_u32_e32 v55, vcc, v51, v55, vcc
	global_store_dwordx2 v[54:55], v[2:3], off
	s_or_b64 exec, exec, s[38:39]
	s_and_saveexec_b64 s[38:39], s[4:5]
	s_cbranch_execnz .LBB62_303
	s_branch .LBB62_304
.LBB62_370:
	v_sub_u32_e32 v52, v113, v78
	v_lshlrev_b32_e32 v52, 3, v52
	ds_write_b64 v52, v[26:27]
	s_or_b64 exec, exec, s[38:39]
	s_and_saveexec_b64 s[30:31], s[28:29]
	s_cbranch_execz .LBB62_308
.LBB62_371:
	v_sub_u32_e32 v26, v49, v78
	v_lshlrev_b32_e32 v26, 3, v26
	ds_write_b64 v26, v[28:29]
	s_or_b64 exec, exec, s[30:31]
	s_and_saveexec_b64 s[28:29], s[26:27]
	s_cbranch_execz .LBB62_309
.LBB62_372:
	v_sub_u32_e32 v26, v48, v78
	v_lshlrev_b32_e32 v26, 3, v26
	ds_write_b64 v26, v[22:23]
	s_or_b64 exec, exec, s[28:29]
	s_and_saveexec_b64 s[26:27], s[24:25]
	s_cbranch_execz .LBB62_310
.LBB62_373:
	v_sub_u32_e32 v22, v47, v78
	v_lshlrev_b32_e32 v22, 3, v22
	ds_write_b64 v22, v[24:25]
	s_or_b64 exec, exec, s[26:27]
	s_and_saveexec_b64 s[24:25], s[22:23]
	s_cbranch_execz .LBB62_311
.LBB62_374:
	v_sub_u32_e32 v22, v46, v78
	v_lshlrev_b32_e32 v22, 3, v22
	ds_write_b64 v22, v[18:19]
	s_or_b64 exec, exec, s[24:25]
	s_and_saveexec_b64 s[22:23], s[20:21]
	s_cbranch_execz .LBB62_312
.LBB62_375:
	v_sub_u32_e32 v18, v45, v78
	v_lshlrev_b32_e32 v18, 3, v18
	ds_write_b64 v18, v[20:21]
	s_or_b64 exec, exec, s[22:23]
	s_and_saveexec_b64 s[20:21], s[18:19]
	s_cbranch_execz .LBB62_313
.LBB62_376:
	v_sub_u32_e32 v18, v44, v78
	v_lshlrev_b32_e32 v18, 3, v18
	ds_write_b64 v18, v[14:15]
	s_or_b64 exec, exec, s[20:21]
	s_and_saveexec_b64 s[18:19], s[16:17]
	s_cbranch_execz .LBB62_314
.LBB62_377:
	v_sub_u32_e32 v14, v43, v78
	v_lshlrev_b32_e32 v14, 3, v14
	ds_write_b64 v14, v[16:17]
	s_or_b64 exec, exec, s[18:19]
	s_and_saveexec_b64 s[16:17], s[14:15]
	s_cbranch_execz .LBB62_315
.LBB62_378:
	v_sub_u32_e32 v14, v42, v78
	v_lshlrev_b32_e32 v14, 3, v14
	ds_write_b64 v14, v[10:11]
	s_or_b64 exec, exec, s[16:17]
	s_and_saveexec_b64 s[14:15], s[12:13]
	s_cbranch_execz .LBB62_316
.LBB62_379:
	v_sub_u32_e32 v10, v41, v78
	v_lshlrev_b32_e32 v10, 3, v10
	ds_write_b64 v10, v[12:13]
	s_or_b64 exec, exec, s[14:15]
	s_and_saveexec_b64 s[12:13], s[10:11]
	s_cbranch_execz .LBB62_317
.LBB62_380:
	v_sub_u32_e32 v10, v40, v78
	v_lshlrev_b32_e32 v10, 3, v10
	ds_write_b64 v10, v[6:7]
	s_or_b64 exec, exec, s[12:13]
	s_and_saveexec_b64 s[10:11], s[8:9]
	s_cbranch_execz .LBB62_318
.LBB62_381:
	v_sub_u32_e32 v6, v39, v78
	v_lshlrev_b32_e32 v6, 3, v6
	ds_write_b64 v6, v[8:9]
	s_or_b64 exec, exec, s[10:11]
	s_and_saveexec_b64 s[8:9], s[6:7]
	s_cbranch_execz .LBB62_319
.LBB62_382:
	v_sub_u32_e32 v6, v38, v78
	v_lshlrev_b32_e32 v6, 3, v6
	ds_write_b64 v6, v[2:3]
	s_or_b64 exec, exec, s[8:9]
	s_and_saveexec_b64 s[6:7], s[4:5]
	s_cbranch_execnz .LBB62_320
	s_branch .LBB62_321
.LBB62_383:
	v_sub_u32_e32 v8, v113, v2
	v_mov_b32_e32 v9, 0
	v_lshlrev_b64 v[8:9], 3, v[8:9]
	v_add_co_u32_e32 v8, vcc, v6, v8
	v_addc_co_u32_e32 v9, vcc, v7, v9, vcc
	global_store_dwordx2 v[8:9], v[108:109], off
	s_or_b64 exec, exec, s[36:37]
	s_and_saveexec_b64 s[36:37], s[26:27]
	s_cbranch_execz .LBB62_325
.LBB62_384:
	v_sub_u32_e32 v8, v49, v2
	v_mov_b32_e32 v9, 0
	v_lshlrev_b64 v[8:9], 3, v[8:9]
	v_add_co_u32_e32 v8, vcc, v6, v8
	v_addc_co_u32_e32 v9, vcc, v7, v9, vcc
	global_store_dwordx2 v[8:9], v[106:107], off
	s_or_b64 exec, exec, s[36:37]
	s_and_saveexec_b64 s[36:37], s[24:25]
	s_cbranch_execz .LBB62_326
.LBB62_385:
	v_sub_u32_e32 v8, v48, v2
	v_mov_b32_e32 v9, 0
	v_lshlrev_b64 v[8:9], 3, v[8:9]
	v_add_co_u32_e32 v8, vcc, v6, v8
	v_addc_co_u32_e32 v9, vcc, v7, v9, vcc
	global_store_dwordx2 v[8:9], v[104:105], off
	s_or_b64 exec, exec, s[36:37]
	s_and_saveexec_b64 s[36:37], s[22:23]
	s_cbranch_execz .LBB62_327
.LBB62_386:
	v_sub_u32_e32 v8, v47, v2
	v_mov_b32_e32 v9, 0
	v_lshlrev_b64 v[8:9], 3, v[8:9]
	v_add_co_u32_e32 v8, vcc, v6, v8
	v_addc_co_u32_e32 v9, vcc, v7, v9, vcc
	global_store_dwordx2 v[8:9], v[102:103], off
	s_or_b64 exec, exec, s[36:37]
	s_and_saveexec_b64 s[36:37], s[20:21]
	s_cbranch_execz .LBB62_328
.LBB62_387:
	v_sub_u32_e32 v8, v46, v2
	v_mov_b32_e32 v9, 0
	v_lshlrev_b64 v[8:9], 3, v[8:9]
	v_add_co_u32_e32 v8, vcc, v6, v8
	v_addc_co_u32_e32 v9, vcc, v7, v9, vcc
	global_store_dwordx2 v[8:9], v[100:101], off
	s_or_b64 exec, exec, s[36:37]
	s_and_saveexec_b64 s[36:37], s[18:19]
	s_cbranch_execz .LBB62_329
.LBB62_388:
	v_sub_u32_e32 v8, v45, v2
	v_mov_b32_e32 v9, 0
	v_lshlrev_b64 v[8:9], 3, v[8:9]
	v_add_co_u32_e32 v8, vcc, v6, v8
	v_addc_co_u32_e32 v9, vcc, v7, v9, vcc
	global_store_dwordx2 v[8:9], v[98:99], off
	s_or_b64 exec, exec, s[36:37]
	s_and_saveexec_b64 s[36:37], s[16:17]
	s_cbranch_execz .LBB62_330
.LBB62_389:
	v_sub_u32_e32 v8, v44, v2
	v_mov_b32_e32 v9, 0
	v_lshlrev_b64 v[8:9], 3, v[8:9]
	v_add_co_u32_e32 v8, vcc, v6, v8
	v_addc_co_u32_e32 v9, vcc, v7, v9, vcc
	global_store_dwordx2 v[8:9], v[96:97], off
	s_or_b64 exec, exec, s[36:37]
	s_and_saveexec_b64 s[36:37], s[14:15]
	s_cbranch_execz .LBB62_331
.LBB62_390:
	v_sub_u32_e32 v8, v43, v2
	v_mov_b32_e32 v9, 0
	v_lshlrev_b64 v[8:9], 3, v[8:9]
	v_add_co_u32_e32 v8, vcc, v6, v8
	v_addc_co_u32_e32 v9, vcc, v7, v9, vcc
	global_store_dwordx2 v[8:9], v[94:95], off
	s_or_b64 exec, exec, s[36:37]
	s_and_saveexec_b64 s[36:37], s[12:13]
	s_cbranch_execz .LBB62_332
.LBB62_391:
	v_sub_u32_e32 v8, v42, v2
	v_mov_b32_e32 v9, 0
	v_lshlrev_b64 v[8:9], 3, v[8:9]
	v_add_co_u32_e32 v8, vcc, v6, v8
	v_addc_co_u32_e32 v9, vcc, v7, v9, vcc
	global_store_dwordx2 v[8:9], v[92:93], off
	s_or_b64 exec, exec, s[36:37]
	s_and_saveexec_b64 s[36:37], s[10:11]
	s_cbranch_execz .LBB62_333
.LBB62_392:
	v_sub_u32_e32 v8, v41, v2
	v_mov_b32_e32 v9, 0
	v_lshlrev_b64 v[8:9], 3, v[8:9]
	v_add_co_u32_e32 v8, vcc, v6, v8
	v_addc_co_u32_e32 v9, vcc, v7, v9, vcc
	global_store_dwordx2 v[8:9], v[90:91], off
	s_or_b64 exec, exec, s[36:37]
	s_and_saveexec_b64 s[36:37], s[8:9]
	s_cbranch_execz .LBB62_334
.LBB62_393:
	v_sub_u32_e32 v8, v40, v2
	v_mov_b32_e32 v9, 0
	v_lshlrev_b64 v[8:9], 3, v[8:9]
	v_add_co_u32_e32 v8, vcc, v6, v8
	v_addc_co_u32_e32 v9, vcc, v7, v9, vcc
	global_store_dwordx2 v[8:9], v[88:89], off
	s_or_b64 exec, exec, s[36:37]
	s_and_saveexec_b64 s[36:37], s[6:7]
	s_cbranch_execz .LBB62_335
.LBB62_394:
	v_sub_u32_e32 v8, v39, v2
	v_mov_b32_e32 v9, 0
	v_lshlrev_b64 v[8:9], 3, v[8:9]
	v_add_co_u32_e32 v8, vcc, v6, v8
	v_addc_co_u32_e32 v9, vcc, v7, v9, vcc
	global_store_dwordx2 v[8:9], v[86:87], off
	s_or_b64 exec, exec, s[36:37]
	s_and_saveexec_b64 s[36:37], s[4:5]
	s_cbranch_execz .LBB62_336
.LBB62_395:
	v_sub_u32_e32 v8, v38, v2
	v_mov_b32_e32 v9, 0
	v_lshlrev_b64 v[8:9], 3, v[8:9]
	v_add_co_u32_e32 v8, vcc, v6, v8
	v_addc_co_u32_e32 v9, vcc, v7, v9, vcc
	global_store_dwordx2 v[8:9], v[84:85], off
	s_or_b64 exec, exec, s[36:37]
	s_and_saveexec_b64 s[36:37], s[2:3]
	s_cbranch_execnz .LBB62_337
	s_branch .LBB62_338
.LBB62_396:
	v_sub_u32_e32 v3, v113, v2
	v_lshlrev_b32_e32 v3, 3, v3
	ds_write_b64 v3, v[108:109]
	s_or_b64 exec, exec, s[36:37]
	s_and_saveexec_b64 s[28:29], s[26:27]
	s_cbranch_execz .LBB62_342
.LBB62_397:
	v_sub_u32_e32 v3, v49, v2
	v_lshlrev_b32_e32 v3, 3, v3
	ds_write_b64 v3, v[106:107]
	s_or_b64 exec, exec, s[28:29]
	s_and_saveexec_b64 s[26:27], s[24:25]
	s_cbranch_execz .LBB62_343
.LBB62_398:
	v_sub_u32_e32 v3, v48, v2
	v_lshlrev_b32_e32 v3, 3, v3
	ds_write_b64 v3, v[104:105]
	s_or_b64 exec, exec, s[26:27]
	s_and_saveexec_b64 s[24:25], s[22:23]
	s_cbranch_execz .LBB62_344
.LBB62_399:
	v_sub_u32_e32 v3, v47, v2
	v_lshlrev_b32_e32 v3, 3, v3
	ds_write_b64 v3, v[102:103]
	s_or_b64 exec, exec, s[24:25]
	s_and_saveexec_b64 s[22:23], s[20:21]
	s_cbranch_execz .LBB62_345
.LBB62_400:
	v_sub_u32_e32 v3, v46, v2
	v_lshlrev_b32_e32 v3, 3, v3
	ds_write_b64 v3, v[100:101]
	s_or_b64 exec, exec, s[22:23]
	s_and_saveexec_b64 s[20:21], s[18:19]
	s_cbranch_execz .LBB62_346
.LBB62_401:
	v_sub_u32_e32 v3, v45, v2
	v_lshlrev_b32_e32 v3, 3, v3
	ds_write_b64 v3, v[98:99]
	s_or_b64 exec, exec, s[20:21]
	s_and_saveexec_b64 s[18:19], s[16:17]
	s_cbranch_execz .LBB62_347
.LBB62_402:
	v_sub_u32_e32 v3, v44, v2
	v_lshlrev_b32_e32 v3, 3, v3
	ds_write_b64 v3, v[96:97]
	s_or_b64 exec, exec, s[18:19]
	s_and_saveexec_b64 s[16:17], s[14:15]
	s_cbranch_execz .LBB62_348
.LBB62_403:
	v_sub_u32_e32 v3, v43, v2
	v_lshlrev_b32_e32 v3, 3, v3
	ds_write_b64 v3, v[94:95]
	s_or_b64 exec, exec, s[16:17]
	s_and_saveexec_b64 s[14:15], s[12:13]
	s_cbranch_execz .LBB62_349
.LBB62_404:
	v_sub_u32_e32 v3, v42, v2
	v_lshlrev_b32_e32 v3, 3, v3
	ds_write_b64 v3, v[92:93]
	s_or_b64 exec, exec, s[14:15]
	s_and_saveexec_b64 s[12:13], s[10:11]
	s_cbranch_execz .LBB62_350
.LBB62_405:
	v_sub_u32_e32 v3, v41, v2
	v_lshlrev_b32_e32 v3, 3, v3
	ds_write_b64 v3, v[90:91]
	s_or_b64 exec, exec, s[12:13]
	s_and_saveexec_b64 s[10:11], s[8:9]
	s_cbranch_execz .LBB62_351
.LBB62_406:
	v_sub_u32_e32 v3, v40, v2
	v_lshlrev_b32_e32 v3, 3, v3
	ds_write_b64 v3, v[88:89]
	s_or_b64 exec, exec, s[10:11]
	s_and_saveexec_b64 s[8:9], s[6:7]
	s_cbranch_execz .LBB62_352
.LBB62_407:
	v_sub_u32_e32 v3, v39, v2
	v_lshlrev_b32_e32 v3, 3, v3
	ds_write_b64 v3, v[86:87]
	s_or_b64 exec, exec, s[8:9]
	s_and_saveexec_b64 s[6:7], s[4:5]
	s_cbranch_execz .LBB62_353
.LBB62_408:
	v_sub_u32_e32 v3, v38, v2
	v_lshlrev_b32_e32 v3, 3, v3
	ds_write_b64 v3, v[84:85]
	s_or_b64 exec, exec, s[6:7]
	s_and_saveexec_b64 s[4:5], s[2:3]
	s_cbranch_execnz .LBB62_354
	s_branch .LBB62_355
	.section	.rodata,"a",@progbits
	.p2align	6, 0x0
	.amdhsa_kernel _ZN7rocprim17ROCPRIM_400000_NS6detail17trampoline_kernelINS0_14default_configENS1_29reduce_by_key_config_selectorIddN6thrust23THRUST_200600_302600_NS4plusIdEEEEZZNS1_33reduce_by_key_impl_wrapped_configILNS1_25lookback_scan_determinismE0ES3_S9_NS6_6detail15normal_iteratorINS6_10device_ptrIdEEEESG_SG_SG_PmS8_22is_equal_div_10_reduceIdEEE10hipError_tPvRmT2_T3_mT4_T5_T6_T7_T8_P12ihipStream_tbENKUlT_T0_E_clISt17integral_constantIbLb1EES11_EEDaSW_SX_EUlSW_E_NS1_11comp_targetILNS1_3genE4ELNS1_11target_archE910ELNS1_3gpuE8ELNS1_3repE0EEENS1_30default_config_static_selectorELNS0_4arch9wavefront6targetE1EEEvT1_
		.amdhsa_group_segment_fixed_size 30720
		.amdhsa_private_segment_fixed_size 0
		.amdhsa_kernarg_size 136
		.amdhsa_user_sgpr_count 6
		.amdhsa_user_sgpr_private_segment_buffer 1
		.amdhsa_user_sgpr_dispatch_ptr 0
		.amdhsa_user_sgpr_queue_ptr 0
		.amdhsa_user_sgpr_kernarg_segment_ptr 1
		.amdhsa_user_sgpr_dispatch_id 0
		.amdhsa_user_sgpr_flat_scratch_init 0
		.amdhsa_user_sgpr_kernarg_preload_length 0
		.amdhsa_user_sgpr_kernarg_preload_offset 0
		.amdhsa_user_sgpr_private_segment_size 0
		.amdhsa_uses_dynamic_stack 0
		.amdhsa_system_sgpr_private_segment_wavefront_offset 0
		.amdhsa_system_sgpr_workgroup_id_x 1
		.amdhsa_system_sgpr_workgroup_id_y 0
		.amdhsa_system_sgpr_workgroup_id_z 0
		.amdhsa_system_sgpr_workgroup_info 0
		.amdhsa_system_vgpr_workitem_id 0
		.amdhsa_next_free_vgpr 120
		.amdhsa_next_free_sgpr 66
		.amdhsa_accum_offset 120
		.amdhsa_reserve_vcc 1
		.amdhsa_reserve_flat_scratch 0
		.amdhsa_float_round_mode_32 0
		.amdhsa_float_round_mode_16_64 0
		.amdhsa_float_denorm_mode_32 3
		.amdhsa_float_denorm_mode_16_64 3
		.amdhsa_dx10_clamp 1
		.amdhsa_ieee_mode 1
		.amdhsa_fp16_overflow 0
		.amdhsa_tg_split 0
		.amdhsa_exception_fp_ieee_invalid_op 0
		.amdhsa_exception_fp_denorm_src 0
		.amdhsa_exception_fp_ieee_div_zero 0
		.amdhsa_exception_fp_ieee_overflow 0
		.amdhsa_exception_fp_ieee_underflow 0
		.amdhsa_exception_fp_ieee_inexact 0
		.amdhsa_exception_int_div_zero 0
	.end_amdhsa_kernel
	.section	.text._ZN7rocprim17ROCPRIM_400000_NS6detail17trampoline_kernelINS0_14default_configENS1_29reduce_by_key_config_selectorIddN6thrust23THRUST_200600_302600_NS4plusIdEEEEZZNS1_33reduce_by_key_impl_wrapped_configILNS1_25lookback_scan_determinismE0ES3_S9_NS6_6detail15normal_iteratorINS6_10device_ptrIdEEEESG_SG_SG_PmS8_22is_equal_div_10_reduceIdEEE10hipError_tPvRmT2_T3_mT4_T5_T6_T7_T8_P12ihipStream_tbENKUlT_T0_E_clISt17integral_constantIbLb1EES11_EEDaSW_SX_EUlSW_E_NS1_11comp_targetILNS1_3genE4ELNS1_11target_archE910ELNS1_3gpuE8ELNS1_3repE0EEENS1_30default_config_static_selectorELNS0_4arch9wavefront6targetE1EEEvT1_,"axG",@progbits,_ZN7rocprim17ROCPRIM_400000_NS6detail17trampoline_kernelINS0_14default_configENS1_29reduce_by_key_config_selectorIddN6thrust23THRUST_200600_302600_NS4plusIdEEEEZZNS1_33reduce_by_key_impl_wrapped_configILNS1_25lookback_scan_determinismE0ES3_S9_NS6_6detail15normal_iteratorINS6_10device_ptrIdEEEESG_SG_SG_PmS8_22is_equal_div_10_reduceIdEEE10hipError_tPvRmT2_T3_mT4_T5_T6_T7_T8_P12ihipStream_tbENKUlT_T0_E_clISt17integral_constantIbLb1EES11_EEDaSW_SX_EUlSW_E_NS1_11comp_targetILNS1_3genE4ELNS1_11target_archE910ELNS1_3gpuE8ELNS1_3repE0EEENS1_30default_config_static_selectorELNS0_4arch9wavefront6targetE1EEEvT1_,comdat
.Lfunc_end62:
	.size	_ZN7rocprim17ROCPRIM_400000_NS6detail17trampoline_kernelINS0_14default_configENS1_29reduce_by_key_config_selectorIddN6thrust23THRUST_200600_302600_NS4plusIdEEEEZZNS1_33reduce_by_key_impl_wrapped_configILNS1_25lookback_scan_determinismE0ES3_S9_NS6_6detail15normal_iteratorINS6_10device_ptrIdEEEESG_SG_SG_PmS8_22is_equal_div_10_reduceIdEEE10hipError_tPvRmT2_T3_mT4_T5_T6_T7_T8_P12ihipStream_tbENKUlT_T0_E_clISt17integral_constantIbLb1EES11_EEDaSW_SX_EUlSW_E_NS1_11comp_targetILNS1_3genE4ELNS1_11target_archE910ELNS1_3gpuE8ELNS1_3repE0EEENS1_30default_config_static_selectorELNS0_4arch9wavefront6targetE1EEEvT1_, .Lfunc_end62-_ZN7rocprim17ROCPRIM_400000_NS6detail17trampoline_kernelINS0_14default_configENS1_29reduce_by_key_config_selectorIddN6thrust23THRUST_200600_302600_NS4plusIdEEEEZZNS1_33reduce_by_key_impl_wrapped_configILNS1_25lookback_scan_determinismE0ES3_S9_NS6_6detail15normal_iteratorINS6_10device_ptrIdEEEESG_SG_SG_PmS8_22is_equal_div_10_reduceIdEEE10hipError_tPvRmT2_T3_mT4_T5_T6_T7_T8_P12ihipStream_tbENKUlT_T0_E_clISt17integral_constantIbLb1EES11_EEDaSW_SX_EUlSW_E_NS1_11comp_targetILNS1_3genE4ELNS1_11target_archE910ELNS1_3gpuE8ELNS1_3repE0EEENS1_30default_config_static_selectorELNS0_4arch9wavefront6targetE1EEEvT1_
                                        ; -- End function
	.section	.AMDGPU.csdata,"",@progbits
; Kernel info:
; codeLenInByte = 19092
; NumSgprs: 70
; NumVgprs: 120
; NumAgprs: 0
; TotalNumVgprs: 120
; ScratchSize: 0
; MemoryBound: 0
; FloatMode: 240
; IeeeMode: 1
; LDSByteSize: 30720 bytes/workgroup (compile time only)
; SGPRBlocks: 8
; VGPRBlocks: 14
; NumSGPRsForWavesPerEU: 70
; NumVGPRsForWavesPerEU: 120
; AccumOffset: 120
; Occupancy: 2
; WaveLimiterHint : 1
; COMPUTE_PGM_RSRC2:SCRATCH_EN: 0
; COMPUTE_PGM_RSRC2:USER_SGPR: 6
; COMPUTE_PGM_RSRC2:TRAP_HANDLER: 0
; COMPUTE_PGM_RSRC2:TGID_X_EN: 1
; COMPUTE_PGM_RSRC2:TGID_Y_EN: 0
; COMPUTE_PGM_RSRC2:TGID_Z_EN: 0
; COMPUTE_PGM_RSRC2:TIDIG_COMP_CNT: 0
; COMPUTE_PGM_RSRC3_GFX90A:ACCUM_OFFSET: 29
; COMPUTE_PGM_RSRC3_GFX90A:TG_SPLIT: 0
	.section	.text._ZN7rocprim17ROCPRIM_400000_NS6detail17trampoline_kernelINS0_14default_configENS1_29reduce_by_key_config_selectorIddN6thrust23THRUST_200600_302600_NS4plusIdEEEEZZNS1_33reduce_by_key_impl_wrapped_configILNS1_25lookback_scan_determinismE0ES3_S9_NS6_6detail15normal_iteratorINS6_10device_ptrIdEEEESG_SG_SG_PmS8_22is_equal_div_10_reduceIdEEE10hipError_tPvRmT2_T3_mT4_T5_T6_T7_T8_P12ihipStream_tbENKUlT_T0_E_clISt17integral_constantIbLb1EES11_EEDaSW_SX_EUlSW_E_NS1_11comp_targetILNS1_3genE3ELNS1_11target_archE908ELNS1_3gpuE7ELNS1_3repE0EEENS1_30default_config_static_selectorELNS0_4arch9wavefront6targetE1EEEvT1_,"axG",@progbits,_ZN7rocprim17ROCPRIM_400000_NS6detail17trampoline_kernelINS0_14default_configENS1_29reduce_by_key_config_selectorIddN6thrust23THRUST_200600_302600_NS4plusIdEEEEZZNS1_33reduce_by_key_impl_wrapped_configILNS1_25lookback_scan_determinismE0ES3_S9_NS6_6detail15normal_iteratorINS6_10device_ptrIdEEEESG_SG_SG_PmS8_22is_equal_div_10_reduceIdEEE10hipError_tPvRmT2_T3_mT4_T5_T6_T7_T8_P12ihipStream_tbENKUlT_T0_E_clISt17integral_constantIbLb1EES11_EEDaSW_SX_EUlSW_E_NS1_11comp_targetILNS1_3genE3ELNS1_11target_archE908ELNS1_3gpuE7ELNS1_3repE0EEENS1_30default_config_static_selectorELNS0_4arch9wavefront6targetE1EEEvT1_,comdat
	.protected	_ZN7rocprim17ROCPRIM_400000_NS6detail17trampoline_kernelINS0_14default_configENS1_29reduce_by_key_config_selectorIddN6thrust23THRUST_200600_302600_NS4plusIdEEEEZZNS1_33reduce_by_key_impl_wrapped_configILNS1_25lookback_scan_determinismE0ES3_S9_NS6_6detail15normal_iteratorINS6_10device_ptrIdEEEESG_SG_SG_PmS8_22is_equal_div_10_reduceIdEEE10hipError_tPvRmT2_T3_mT4_T5_T6_T7_T8_P12ihipStream_tbENKUlT_T0_E_clISt17integral_constantIbLb1EES11_EEDaSW_SX_EUlSW_E_NS1_11comp_targetILNS1_3genE3ELNS1_11target_archE908ELNS1_3gpuE7ELNS1_3repE0EEENS1_30default_config_static_selectorELNS0_4arch9wavefront6targetE1EEEvT1_ ; -- Begin function _ZN7rocprim17ROCPRIM_400000_NS6detail17trampoline_kernelINS0_14default_configENS1_29reduce_by_key_config_selectorIddN6thrust23THRUST_200600_302600_NS4plusIdEEEEZZNS1_33reduce_by_key_impl_wrapped_configILNS1_25lookback_scan_determinismE0ES3_S9_NS6_6detail15normal_iteratorINS6_10device_ptrIdEEEESG_SG_SG_PmS8_22is_equal_div_10_reduceIdEEE10hipError_tPvRmT2_T3_mT4_T5_T6_T7_T8_P12ihipStream_tbENKUlT_T0_E_clISt17integral_constantIbLb1EES11_EEDaSW_SX_EUlSW_E_NS1_11comp_targetILNS1_3genE3ELNS1_11target_archE908ELNS1_3gpuE7ELNS1_3repE0EEENS1_30default_config_static_selectorELNS0_4arch9wavefront6targetE1EEEvT1_
	.globl	_ZN7rocprim17ROCPRIM_400000_NS6detail17trampoline_kernelINS0_14default_configENS1_29reduce_by_key_config_selectorIddN6thrust23THRUST_200600_302600_NS4plusIdEEEEZZNS1_33reduce_by_key_impl_wrapped_configILNS1_25lookback_scan_determinismE0ES3_S9_NS6_6detail15normal_iteratorINS6_10device_ptrIdEEEESG_SG_SG_PmS8_22is_equal_div_10_reduceIdEEE10hipError_tPvRmT2_T3_mT4_T5_T6_T7_T8_P12ihipStream_tbENKUlT_T0_E_clISt17integral_constantIbLb1EES11_EEDaSW_SX_EUlSW_E_NS1_11comp_targetILNS1_3genE3ELNS1_11target_archE908ELNS1_3gpuE7ELNS1_3repE0EEENS1_30default_config_static_selectorELNS0_4arch9wavefront6targetE1EEEvT1_
	.p2align	8
	.type	_ZN7rocprim17ROCPRIM_400000_NS6detail17trampoline_kernelINS0_14default_configENS1_29reduce_by_key_config_selectorIddN6thrust23THRUST_200600_302600_NS4plusIdEEEEZZNS1_33reduce_by_key_impl_wrapped_configILNS1_25lookback_scan_determinismE0ES3_S9_NS6_6detail15normal_iteratorINS6_10device_ptrIdEEEESG_SG_SG_PmS8_22is_equal_div_10_reduceIdEEE10hipError_tPvRmT2_T3_mT4_T5_T6_T7_T8_P12ihipStream_tbENKUlT_T0_E_clISt17integral_constantIbLb1EES11_EEDaSW_SX_EUlSW_E_NS1_11comp_targetILNS1_3genE3ELNS1_11target_archE908ELNS1_3gpuE7ELNS1_3repE0EEENS1_30default_config_static_selectorELNS0_4arch9wavefront6targetE1EEEvT1_,@function
_ZN7rocprim17ROCPRIM_400000_NS6detail17trampoline_kernelINS0_14default_configENS1_29reduce_by_key_config_selectorIddN6thrust23THRUST_200600_302600_NS4plusIdEEEEZZNS1_33reduce_by_key_impl_wrapped_configILNS1_25lookback_scan_determinismE0ES3_S9_NS6_6detail15normal_iteratorINS6_10device_ptrIdEEEESG_SG_SG_PmS8_22is_equal_div_10_reduceIdEEE10hipError_tPvRmT2_T3_mT4_T5_T6_T7_T8_P12ihipStream_tbENKUlT_T0_E_clISt17integral_constantIbLb1EES11_EEDaSW_SX_EUlSW_E_NS1_11comp_targetILNS1_3genE3ELNS1_11target_archE908ELNS1_3gpuE7ELNS1_3repE0EEENS1_30default_config_static_selectorELNS0_4arch9wavefront6targetE1EEEvT1_: ; @_ZN7rocprim17ROCPRIM_400000_NS6detail17trampoline_kernelINS0_14default_configENS1_29reduce_by_key_config_selectorIddN6thrust23THRUST_200600_302600_NS4plusIdEEEEZZNS1_33reduce_by_key_impl_wrapped_configILNS1_25lookback_scan_determinismE0ES3_S9_NS6_6detail15normal_iteratorINS6_10device_ptrIdEEEESG_SG_SG_PmS8_22is_equal_div_10_reduceIdEEE10hipError_tPvRmT2_T3_mT4_T5_T6_T7_T8_P12ihipStream_tbENKUlT_T0_E_clISt17integral_constantIbLb1EES11_EEDaSW_SX_EUlSW_E_NS1_11comp_targetILNS1_3genE3ELNS1_11target_archE908ELNS1_3gpuE7ELNS1_3repE0EEENS1_30default_config_static_selectorELNS0_4arch9wavefront6targetE1EEEvT1_
; %bb.0:
	.section	.rodata,"a",@progbits
	.p2align	6, 0x0
	.amdhsa_kernel _ZN7rocprim17ROCPRIM_400000_NS6detail17trampoline_kernelINS0_14default_configENS1_29reduce_by_key_config_selectorIddN6thrust23THRUST_200600_302600_NS4plusIdEEEEZZNS1_33reduce_by_key_impl_wrapped_configILNS1_25lookback_scan_determinismE0ES3_S9_NS6_6detail15normal_iteratorINS6_10device_ptrIdEEEESG_SG_SG_PmS8_22is_equal_div_10_reduceIdEEE10hipError_tPvRmT2_T3_mT4_T5_T6_T7_T8_P12ihipStream_tbENKUlT_T0_E_clISt17integral_constantIbLb1EES11_EEDaSW_SX_EUlSW_E_NS1_11comp_targetILNS1_3genE3ELNS1_11target_archE908ELNS1_3gpuE7ELNS1_3repE0EEENS1_30default_config_static_selectorELNS0_4arch9wavefront6targetE1EEEvT1_
		.amdhsa_group_segment_fixed_size 0
		.amdhsa_private_segment_fixed_size 0
		.amdhsa_kernarg_size 136
		.amdhsa_user_sgpr_count 6
		.amdhsa_user_sgpr_private_segment_buffer 1
		.amdhsa_user_sgpr_dispatch_ptr 0
		.amdhsa_user_sgpr_queue_ptr 0
		.amdhsa_user_sgpr_kernarg_segment_ptr 1
		.amdhsa_user_sgpr_dispatch_id 0
		.amdhsa_user_sgpr_flat_scratch_init 0
		.amdhsa_user_sgpr_kernarg_preload_length 0
		.amdhsa_user_sgpr_kernarg_preload_offset 0
		.amdhsa_user_sgpr_private_segment_size 0
		.amdhsa_uses_dynamic_stack 0
		.amdhsa_system_sgpr_private_segment_wavefront_offset 0
		.amdhsa_system_sgpr_workgroup_id_x 1
		.amdhsa_system_sgpr_workgroup_id_y 0
		.amdhsa_system_sgpr_workgroup_id_z 0
		.amdhsa_system_sgpr_workgroup_info 0
		.amdhsa_system_vgpr_workitem_id 0
		.amdhsa_next_free_vgpr 1
		.amdhsa_next_free_sgpr 0
		.amdhsa_accum_offset 4
		.amdhsa_reserve_vcc 0
		.amdhsa_reserve_flat_scratch 0
		.amdhsa_float_round_mode_32 0
		.amdhsa_float_round_mode_16_64 0
		.amdhsa_float_denorm_mode_32 3
		.amdhsa_float_denorm_mode_16_64 3
		.amdhsa_dx10_clamp 1
		.amdhsa_ieee_mode 1
		.amdhsa_fp16_overflow 0
		.amdhsa_tg_split 0
		.amdhsa_exception_fp_ieee_invalid_op 0
		.amdhsa_exception_fp_denorm_src 0
		.amdhsa_exception_fp_ieee_div_zero 0
		.amdhsa_exception_fp_ieee_overflow 0
		.amdhsa_exception_fp_ieee_underflow 0
		.amdhsa_exception_fp_ieee_inexact 0
		.amdhsa_exception_int_div_zero 0
	.end_amdhsa_kernel
	.section	.text._ZN7rocprim17ROCPRIM_400000_NS6detail17trampoline_kernelINS0_14default_configENS1_29reduce_by_key_config_selectorIddN6thrust23THRUST_200600_302600_NS4plusIdEEEEZZNS1_33reduce_by_key_impl_wrapped_configILNS1_25lookback_scan_determinismE0ES3_S9_NS6_6detail15normal_iteratorINS6_10device_ptrIdEEEESG_SG_SG_PmS8_22is_equal_div_10_reduceIdEEE10hipError_tPvRmT2_T3_mT4_T5_T6_T7_T8_P12ihipStream_tbENKUlT_T0_E_clISt17integral_constantIbLb1EES11_EEDaSW_SX_EUlSW_E_NS1_11comp_targetILNS1_3genE3ELNS1_11target_archE908ELNS1_3gpuE7ELNS1_3repE0EEENS1_30default_config_static_selectorELNS0_4arch9wavefront6targetE1EEEvT1_,"axG",@progbits,_ZN7rocprim17ROCPRIM_400000_NS6detail17trampoline_kernelINS0_14default_configENS1_29reduce_by_key_config_selectorIddN6thrust23THRUST_200600_302600_NS4plusIdEEEEZZNS1_33reduce_by_key_impl_wrapped_configILNS1_25lookback_scan_determinismE0ES3_S9_NS6_6detail15normal_iteratorINS6_10device_ptrIdEEEESG_SG_SG_PmS8_22is_equal_div_10_reduceIdEEE10hipError_tPvRmT2_T3_mT4_T5_T6_T7_T8_P12ihipStream_tbENKUlT_T0_E_clISt17integral_constantIbLb1EES11_EEDaSW_SX_EUlSW_E_NS1_11comp_targetILNS1_3genE3ELNS1_11target_archE908ELNS1_3gpuE7ELNS1_3repE0EEENS1_30default_config_static_selectorELNS0_4arch9wavefront6targetE1EEEvT1_,comdat
.Lfunc_end63:
	.size	_ZN7rocprim17ROCPRIM_400000_NS6detail17trampoline_kernelINS0_14default_configENS1_29reduce_by_key_config_selectorIddN6thrust23THRUST_200600_302600_NS4plusIdEEEEZZNS1_33reduce_by_key_impl_wrapped_configILNS1_25lookback_scan_determinismE0ES3_S9_NS6_6detail15normal_iteratorINS6_10device_ptrIdEEEESG_SG_SG_PmS8_22is_equal_div_10_reduceIdEEE10hipError_tPvRmT2_T3_mT4_T5_T6_T7_T8_P12ihipStream_tbENKUlT_T0_E_clISt17integral_constantIbLb1EES11_EEDaSW_SX_EUlSW_E_NS1_11comp_targetILNS1_3genE3ELNS1_11target_archE908ELNS1_3gpuE7ELNS1_3repE0EEENS1_30default_config_static_selectorELNS0_4arch9wavefront6targetE1EEEvT1_, .Lfunc_end63-_ZN7rocprim17ROCPRIM_400000_NS6detail17trampoline_kernelINS0_14default_configENS1_29reduce_by_key_config_selectorIddN6thrust23THRUST_200600_302600_NS4plusIdEEEEZZNS1_33reduce_by_key_impl_wrapped_configILNS1_25lookback_scan_determinismE0ES3_S9_NS6_6detail15normal_iteratorINS6_10device_ptrIdEEEESG_SG_SG_PmS8_22is_equal_div_10_reduceIdEEE10hipError_tPvRmT2_T3_mT4_T5_T6_T7_T8_P12ihipStream_tbENKUlT_T0_E_clISt17integral_constantIbLb1EES11_EEDaSW_SX_EUlSW_E_NS1_11comp_targetILNS1_3genE3ELNS1_11target_archE908ELNS1_3gpuE7ELNS1_3repE0EEENS1_30default_config_static_selectorELNS0_4arch9wavefront6targetE1EEEvT1_
                                        ; -- End function
	.section	.AMDGPU.csdata,"",@progbits
; Kernel info:
; codeLenInByte = 0
; NumSgprs: 4
; NumVgprs: 0
; NumAgprs: 0
; TotalNumVgprs: 0
; ScratchSize: 0
; MemoryBound: 0
; FloatMode: 240
; IeeeMode: 1
; LDSByteSize: 0 bytes/workgroup (compile time only)
; SGPRBlocks: 0
; VGPRBlocks: 0
; NumSGPRsForWavesPerEU: 4
; NumVGPRsForWavesPerEU: 1
; AccumOffset: 4
; Occupancy: 8
; WaveLimiterHint : 0
; COMPUTE_PGM_RSRC2:SCRATCH_EN: 0
; COMPUTE_PGM_RSRC2:USER_SGPR: 6
; COMPUTE_PGM_RSRC2:TRAP_HANDLER: 0
; COMPUTE_PGM_RSRC2:TGID_X_EN: 1
; COMPUTE_PGM_RSRC2:TGID_Y_EN: 0
; COMPUTE_PGM_RSRC2:TGID_Z_EN: 0
; COMPUTE_PGM_RSRC2:TIDIG_COMP_CNT: 0
; COMPUTE_PGM_RSRC3_GFX90A:ACCUM_OFFSET: 0
; COMPUTE_PGM_RSRC3_GFX90A:TG_SPLIT: 0
	.section	.text._ZN7rocprim17ROCPRIM_400000_NS6detail17trampoline_kernelINS0_14default_configENS1_29reduce_by_key_config_selectorIddN6thrust23THRUST_200600_302600_NS4plusIdEEEEZZNS1_33reduce_by_key_impl_wrapped_configILNS1_25lookback_scan_determinismE0ES3_S9_NS6_6detail15normal_iteratorINS6_10device_ptrIdEEEESG_SG_SG_PmS8_22is_equal_div_10_reduceIdEEE10hipError_tPvRmT2_T3_mT4_T5_T6_T7_T8_P12ihipStream_tbENKUlT_T0_E_clISt17integral_constantIbLb1EES11_EEDaSW_SX_EUlSW_E_NS1_11comp_targetILNS1_3genE2ELNS1_11target_archE906ELNS1_3gpuE6ELNS1_3repE0EEENS1_30default_config_static_selectorELNS0_4arch9wavefront6targetE1EEEvT1_,"axG",@progbits,_ZN7rocprim17ROCPRIM_400000_NS6detail17trampoline_kernelINS0_14default_configENS1_29reduce_by_key_config_selectorIddN6thrust23THRUST_200600_302600_NS4plusIdEEEEZZNS1_33reduce_by_key_impl_wrapped_configILNS1_25lookback_scan_determinismE0ES3_S9_NS6_6detail15normal_iteratorINS6_10device_ptrIdEEEESG_SG_SG_PmS8_22is_equal_div_10_reduceIdEEE10hipError_tPvRmT2_T3_mT4_T5_T6_T7_T8_P12ihipStream_tbENKUlT_T0_E_clISt17integral_constantIbLb1EES11_EEDaSW_SX_EUlSW_E_NS1_11comp_targetILNS1_3genE2ELNS1_11target_archE906ELNS1_3gpuE6ELNS1_3repE0EEENS1_30default_config_static_selectorELNS0_4arch9wavefront6targetE1EEEvT1_,comdat
	.protected	_ZN7rocprim17ROCPRIM_400000_NS6detail17trampoline_kernelINS0_14default_configENS1_29reduce_by_key_config_selectorIddN6thrust23THRUST_200600_302600_NS4plusIdEEEEZZNS1_33reduce_by_key_impl_wrapped_configILNS1_25lookback_scan_determinismE0ES3_S9_NS6_6detail15normal_iteratorINS6_10device_ptrIdEEEESG_SG_SG_PmS8_22is_equal_div_10_reduceIdEEE10hipError_tPvRmT2_T3_mT4_T5_T6_T7_T8_P12ihipStream_tbENKUlT_T0_E_clISt17integral_constantIbLb1EES11_EEDaSW_SX_EUlSW_E_NS1_11comp_targetILNS1_3genE2ELNS1_11target_archE906ELNS1_3gpuE6ELNS1_3repE0EEENS1_30default_config_static_selectorELNS0_4arch9wavefront6targetE1EEEvT1_ ; -- Begin function _ZN7rocprim17ROCPRIM_400000_NS6detail17trampoline_kernelINS0_14default_configENS1_29reduce_by_key_config_selectorIddN6thrust23THRUST_200600_302600_NS4plusIdEEEEZZNS1_33reduce_by_key_impl_wrapped_configILNS1_25lookback_scan_determinismE0ES3_S9_NS6_6detail15normal_iteratorINS6_10device_ptrIdEEEESG_SG_SG_PmS8_22is_equal_div_10_reduceIdEEE10hipError_tPvRmT2_T3_mT4_T5_T6_T7_T8_P12ihipStream_tbENKUlT_T0_E_clISt17integral_constantIbLb1EES11_EEDaSW_SX_EUlSW_E_NS1_11comp_targetILNS1_3genE2ELNS1_11target_archE906ELNS1_3gpuE6ELNS1_3repE0EEENS1_30default_config_static_selectorELNS0_4arch9wavefront6targetE1EEEvT1_
	.globl	_ZN7rocprim17ROCPRIM_400000_NS6detail17trampoline_kernelINS0_14default_configENS1_29reduce_by_key_config_selectorIddN6thrust23THRUST_200600_302600_NS4plusIdEEEEZZNS1_33reduce_by_key_impl_wrapped_configILNS1_25lookback_scan_determinismE0ES3_S9_NS6_6detail15normal_iteratorINS6_10device_ptrIdEEEESG_SG_SG_PmS8_22is_equal_div_10_reduceIdEEE10hipError_tPvRmT2_T3_mT4_T5_T6_T7_T8_P12ihipStream_tbENKUlT_T0_E_clISt17integral_constantIbLb1EES11_EEDaSW_SX_EUlSW_E_NS1_11comp_targetILNS1_3genE2ELNS1_11target_archE906ELNS1_3gpuE6ELNS1_3repE0EEENS1_30default_config_static_selectorELNS0_4arch9wavefront6targetE1EEEvT1_
	.p2align	8
	.type	_ZN7rocprim17ROCPRIM_400000_NS6detail17trampoline_kernelINS0_14default_configENS1_29reduce_by_key_config_selectorIddN6thrust23THRUST_200600_302600_NS4plusIdEEEEZZNS1_33reduce_by_key_impl_wrapped_configILNS1_25lookback_scan_determinismE0ES3_S9_NS6_6detail15normal_iteratorINS6_10device_ptrIdEEEESG_SG_SG_PmS8_22is_equal_div_10_reduceIdEEE10hipError_tPvRmT2_T3_mT4_T5_T6_T7_T8_P12ihipStream_tbENKUlT_T0_E_clISt17integral_constantIbLb1EES11_EEDaSW_SX_EUlSW_E_NS1_11comp_targetILNS1_3genE2ELNS1_11target_archE906ELNS1_3gpuE6ELNS1_3repE0EEENS1_30default_config_static_selectorELNS0_4arch9wavefront6targetE1EEEvT1_,@function
_ZN7rocprim17ROCPRIM_400000_NS6detail17trampoline_kernelINS0_14default_configENS1_29reduce_by_key_config_selectorIddN6thrust23THRUST_200600_302600_NS4plusIdEEEEZZNS1_33reduce_by_key_impl_wrapped_configILNS1_25lookback_scan_determinismE0ES3_S9_NS6_6detail15normal_iteratorINS6_10device_ptrIdEEEESG_SG_SG_PmS8_22is_equal_div_10_reduceIdEEE10hipError_tPvRmT2_T3_mT4_T5_T6_T7_T8_P12ihipStream_tbENKUlT_T0_E_clISt17integral_constantIbLb1EES11_EEDaSW_SX_EUlSW_E_NS1_11comp_targetILNS1_3genE2ELNS1_11target_archE906ELNS1_3gpuE6ELNS1_3repE0EEENS1_30default_config_static_selectorELNS0_4arch9wavefront6targetE1EEEvT1_: ; @_ZN7rocprim17ROCPRIM_400000_NS6detail17trampoline_kernelINS0_14default_configENS1_29reduce_by_key_config_selectorIddN6thrust23THRUST_200600_302600_NS4plusIdEEEEZZNS1_33reduce_by_key_impl_wrapped_configILNS1_25lookback_scan_determinismE0ES3_S9_NS6_6detail15normal_iteratorINS6_10device_ptrIdEEEESG_SG_SG_PmS8_22is_equal_div_10_reduceIdEEE10hipError_tPvRmT2_T3_mT4_T5_T6_T7_T8_P12ihipStream_tbENKUlT_T0_E_clISt17integral_constantIbLb1EES11_EEDaSW_SX_EUlSW_E_NS1_11comp_targetILNS1_3genE2ELNS1_11target_archE906ELNS1_3gpuE6ELNS1_3repE0EEENS1_30default_config_static_selectorELNS0_4arch9wavefront6targetE1EEEvT1_
; %bb.0:
	.section	.rodata,"a",@progbits
	.p2align	6, 0x0
	.amdhsa_kernel _ZN7rocprim17ROCPRIM_400000_NS6detail17trampoline_kernelINS0_14default_configENS1_29reduce_by_key_config_selectorIddN6thrust23THRUST_200600_302600_NS4plusIdEEEEZZNS1_33reduce_by_key_impl_wrapped_configILNS1_25lookback_scan_determinismE0ES3_S9_NS6_6detail15normal_iteratorINS6_10device_ptrIdEEEESG_SG_SG_PmS8_22is_equal_div_10_reduceIdEEE10hipError_tPvRmT2_T3_mT4_T5_T6_T7_T8_P12ihipStream_tbENKUlT_T0_E_clISt17integral_constantIbLb1EES11_EEDaSW_SX_EUlSW_E_NS1_11comp_targetILNS1_3genE2ELNS1_11target_archE906ELNS1_3gpuE6ELNS1_3repE0EEENS1_30default_config_static_selectorELNS0_4arch9wavefront6targetE1EEEvT1_
		.amdhsa_group_segment_fixed_size 0
		.amdhsa_private_segment_fixed_size 0
		.amdhsa_kernarg_size 136
		.amdhsa_user_sgpr_count 6
		.amdhsa_user_sgpr_private_segment_buffer 1
		.amdhsa_user_sgpr_dispatch_ptr 0
		.amdhsa_user_sgpr_queue_ptr 0
		.amdhsa_user_sgpr_kernarg_segment_ptr 1
		.amdhsa_user_sgpr_dispatch_id 0
		.amdhsa_user_sgpr_flat_scratch_init 0
		.amdhsa_user_sgpr_kernarg_preload_length 0
		.amdhsa_user_sgpr_kernarg_preload_offset 0
		.amdhsa_user_sgpr_private_segment_size 0
		.amdhsa_uses_dynamic_stack 0
		.amdhsa_system_sgpr_private_segment_wavefront_offset 0
		.amdhsa_system_sgpr_workgroup_id_x 1
		.amdhsa_system_sgpr_workgroup_id_y 0
		.amdhsa_system_sgpr_workgroup_id_z 0
		.amdhsa_system_sgpr_workgroup_info 0
		.amdhsa_system_vgpr_workitem_id 0
		.amdhsa_next_free_vgpr 1
		.amdhsa_next_free_sgpr 0
		.amdhsa_accum_offset 4
		.amdhsa_reserve_vcc 0
		.amdhsa_reserve_flat_scratch 0
		.amdhsa_float_round_mode_32 0
		.amdhsa_float_round_mode_16_64 0
		.amdhsa_float_denorm_mode_32 3
		.amdhsa_float_denorm_mode_16_64 3
		.amdhsa_dx10_clamp 1
		.amdhsa_ieee_mode 1
		.amdhsa_fp16_overflow 0
		.amdhsa_tg_split 0
		.amdhsa_exception_fp_ieee_invalid_op 0
		.amdhsa_exception_fp_denorm_src 0
		.amdhsa_exception_fp_ieee_div_zero 0
		.amdhsa_exception_fp_ieee_overflow 0
		.amdhsa_exception_fp_ieee_underflow 0
		.amdhsa_exception_fp_ieee_inexact 0
		.amdhsa_exception_int_div_zero 0
	.end_amdhsa_kernel
	.section	.text._ZN7rocprim17ROCPRIM_400000_NS6detail17trampoline_kernelINS0_14default_configENS1_29reduce_by_key_config_selectorIddN6thrust23THRUST_200600_302600_NS4plusIdEEEEZZNS1_33reduce_by_key_impl_wrapped_configILNS1_25lookback_scan_determinismE0ES3_S9_NS6_6detail15normal_iteratorINS6_10device_ptrIdEEEESG_SG_SG_PmS8_22is_equal_div_10_reduceIdEEE10hipError_tPvRmT2_T3_mT4_T5_T6_T7_T8_P12ihipStream_tbENKUlT_T0_E_clISt17integral_constantIbLb1EES11_EEDaSW_SX_EUlSW_E_NS1_11comp_targetILNS1_3genE2ELNS1_11target_archE906ELNS1_3gpuE6ELNS1_3repE0EEENS1_30default_config_static_selectorELNS0_4arch9wavefront6targetE1EEEvT1_,"axG",@progbits,_ZN7rocprim17ROCPRIM_400000_NS6detail17trampoline_kernelINS0_14default_configENS1_29reduce_by_key_config_selectorIddN6thrust23THRUST_200600_302600_NS4plusIdEEEEZZNS1_33reduce_by_key_impl_wrapped_configILNS1_25lookback_scan_determinismE0ES3_S9_NS6_6detail15normal_iteratorINS6_10device_ptrIdEEEESG_SG_SG_PmS8_22is_equal_div_10_reduceIdEEE10hipError_tPvRmT2_T3_mT4_T5_T6_T7_T8_P12ihipStream_tbENKUlT_T0_E_clISt17integral_constantIbLb1EES11_EEDaSW_SX_EUlSW_E_NS1_11comp_targetILNS1_3genE2ELNS1_11target_archE906ELNS1_3gpuE6ELNS1_3repE0EEENS1_30default_config_static_selectorELNS0_4arch9wavefront6targetE1EEEvT1_,comdat
.Lfunc_end64:
	.size	_ZN7rocprim17ROCPRIM_400000_NS6detail17trampoline_kernelINS0_14default_configENS1_29reduce_by_key_config_selectorIddN6thrust23THRUST_200600_302600_NS4plusIdEEEEZZNS1_33reduce_by_key_impl_wrapped_configILNS1_25lookback_scan_determinismE0ES3_S9_NS6_6detail15normal_iteratorINS6_10device_ptrIdEEEESG_SG_SG_PmS8_22is_equal_div_10_reduceIdEEE10hipError_tPvRmT2_T3_mT4_T5_T6_T7_T8_P12ihipStream_tbENKUlT_T0_E_clISt17integral_constantIbLb1EES11_EEDaSW_SX_EUlSW_E_NS1_11comp_targetILNS1_3genE2ELNS1_11target_archE906ELNS1_3gpuE6ELNS1_3repE0EEENS1_30default_config_static_selectorELNS0_4arch9wavefront6targetE1EEEvT1_, .Lfunc_end64-_ZN7rocprim17ROCPRIM_400000_NS6detail17trampoline_kernelINS0_14default_configENS1_29reduce_by_key_config_selectorIddN6thrust23THRUST_200600_302600_NS4plusIdEEEEZZNS1_33reduce_by_key_impl_wrapped_configILNS1_25lookback_scan_determinismE0ES3_S9_NS6_6detail15normal_iteratorINS6_10device_ptrIdEEEESG_SG_SG_PmS8_22is_equal_div_10_reduceIdEEE10hipError_tPvRmT2_T3_mT4_T5_T6_T7_T8_P12ihipStream_tbENKUlT_T0_E_clISt17integral_constantIbLb1EES11_EEDaSW_SX_EUlSW_E_NS1_11comp_targetILNS1_3genE2ELNS1_11target_archE906ELNS1_3gpuE6ELNS1_3repE0EEENS1_30default_config_static_selectorELNS0_4arch9wavefront6targetE1EEEvT1_
                                        ; -- End function
	.section	.AMDGPU.csdata,"",@progbits
; Kernel info:
; codeLenInByte = 0
; NumSgprs: 4
; NumVgprs: 0
; NumAgprs: 0
; TotalNumVgprs: 0
; ScratchSize: 0
; MemoryBound: 0
; FloatMode: 240
; IeeeMode: 1
; LDSByteSize: 0 bytes/workgroup (compile time only)
; SGPRBlocks: 0
; VGPRBlocks: 0
; NumSGPRsForWavesPerEU: 4
; NumVGPRsForWavesPerEU: 1
; AccumOffset: 4
; Occupancy: 8
; WaveLimiterHint : 0
; COMPUTE_PGM_RSRC2:SCRATCH_EN: 0
; COMPUTE_PGM_RSRC2:USER_SGPR: 6
; COMPUTE_PGM_RSRC2:TRAP_HANDLER: 0
; COMPUTE_PGM_RSRC2:TGID_X_EN: 1
; COMPUTE_PGM_RSRC2:TGID_Y_EN: 0
; COMPUTE_PGM_RSRC2:TGID_Z_EN: 0
; COMPUTE_PGM_RSRC2:TIDIG_COMP_CNT: 0
; COMPUTE_PGM_RSRC3_GFX90A:ACCUM_OFFSET: 0
; COMPUTE_PGM_RSRC3_GFX90A:TG_SPLIT: 0
	.section	.text._ZN7rocprim17ROCPRIM_400000_NS6detail17trampoline_kernelINS0_14default_configENS1_29reduce_by_key_config_selectorIddN6thrust23THRUST_200600_302600_NS4plusIdEEEEZZNS1_33reduce_by_key_impl_wrapped_configILNS1_25lookback_scan_determinismE0ES3_S9_NS6_6detail15normal_iteratorINS6_10device_ptrIdEEEESG_SG_SG_PmS8_22is_equal_div_10_reduceIdEEE10hipError_tPvRmT2_T3_mT4_T5_T6_T7_T8_P12ihipStream_tbENKUlT_T0_E_clISt17integral_constantIbLb1EES11_EEDaSW_SX_EUlSW_E_NS1_11comp_targetILNS1_3genE10ELNS1_11target_archE1201ELNS1_3gpuE5ELNS1_3repE0EEENS1_30default_config_static_selectorELNS0_4arch9wavefront6targetE1EEEvT1_,"axG",@progbits,_ZN7rocprim17ROCPRIM_400000_NS6detail17trampoline_kernelINS0_14default_configENS1_29reduce_by_key_config_selectorIddN6thrust23THRUST_200600_302600_NS4plusIdEEEEZZNS1_33reduce_by_key_impl_wrapped_configILNS1_25lookback_scan_determinismE0ES3_S9_NS6_6detail15normal_iteratorINS6_10device_ptrIdEEEESG_SG_SG_PmS8_22is_equal_div_10_reduceIdEEE10hipError_tPvRmT2_T3_mT4_T5_T6_T7_T8_P12ihipStream_tbENKUlT_T0_E_clISt17integral_constantIbLb1EES11_EEDaSW_SX_EUlSW_E_NS1_11comp_targetILNS1_3genE10ELNS1_11target_archE1201ELNS1_3gpuE5ELNS1_3repE0EEENS1_30default_config_static_selectorELNS0_4arch9wavefront6targetE1EEEvT1_,comdat
	.protected	_ZN7rocprim17ROCPRIM_400000_NS6detail17trampoline_kernelINS0_14default_configENS1_29reduce_by_key_config_selectorIddN6thrust23THRUST_200600_302600_NS4plusIdEEEEZZNS1_33reduce_by_key_impl_wrapped_configILNS1_25lookback_scan_determinismE0ES3_S9_NS6_6detail15normal_iteratorINS6_10device_ptrIdEEEESG_SG_SG_PmS8_22is_equal_div_10_reduceIdEEE10hipError_tPvRmT2_T3_mT4_T5_T6_T7_T8_P12ihipStream_tbENKUlT_T0_E_clISt17integral_constantIbLb1EES11_EEDaSW_SX_EUlSW_E_NS1_11comp_targetILNS1_3genE10ELNS1_11target_archE1201ELNS1_3gpuE5ELNS1_3repE0EEENS1_30default_config_static_selectorELNS0_4arch9wavefront6targetE1EEEvT1_ ; -- Begin function _ZN7rocprim17ROCPRIM_400000_NS6detail17trampoline_kernelINS0_14default_configENS1_29reduce_by_key_config_selectorIddN6thrust23THRUST_200600_302600_NS4plusIdEEEEZZNS1_33reduce_by_key_impl_wrapped_configILNS1_25lookback_scan_determinismE0ES3_S9_NS6_6detail15normal_iteratorINS6_10device_ptrIdEEEESG_SG_SG_PmS8_22is_equal_div_10_reduceIdEEE10hipError_tPvRmT2_T3_mT4_T5_T6_T7_T8_P12ihipStream_tbENKUlT_T0_E_clISt17integral_constantIbLb1EES11_EEDaSW_SX_EUlSW_E_NS1_11comp_targetILNS1_3genE10ELNS1_11target_archE1201ELNS1_3gpuE5ELNS1_3repE0EEENS1_30default_config_static_selectorELNS0_4arch9wavefront6targetE1EEEvT1_
	.globl	_ZN7rocprim17ROCPRIM_400000_NS6detail17trampoline_kernelINS0_14default_configENS1_29reduce_by_key_config_selectorIddN6thrust23THRUST_200600_302600_NS4plusIdEEEEZZNS1_33reduce_by_key_impl_wrapped_configILNS1_25lookback_scan_determinismE0ES3_S9_NS6_6detail15normal_iteratorINS6_10device_ptrIdEEEESG_SG_SG_PmS8_22is_equal_div_10_reduceIdEEE10hipError_tPvRmT2_T3_mT4_T5_T6_T7_T8_P12ihipStream_tbENKUlT_T0_E_clISt17integral_constantIbLb1EES11_EEDaSW_SX_EUlSW_E_NS1_11comp_targetILNS1_3genE10ELNS1_11target_archE1201ELNS1_3gpuE5ELNS1_3repE0EEENS1_30default_config_static_selectorELNS0_4arch9wavefront6targetE1EEEvT1_
	.p2align	8
	.type	_ZN7rocprim17ROCPRIM_400000_NS6detail17trampoline_kernelINS0_14default_configENS1_29reduce_by_key_config_selectorIddN6thrust23THRUST_200600_302600_NS4plusIdEEEEZZNS1_33reduce_by_key_impl_wrapped_configILNS1_25lookback_scan_determinismE0ES3_S9_NS6_6detail15normal_iteratorINS6_10device_ptrIdEEEESG_SG_SG_PmS8_22is_equal_div_10_reduceIdEEE10hipError_tPvRmT2_T3_mT4_T5_T6_T7_T8_P12ihipStream_tbENKUlT_T0_E_clISt17integral_constantIbLb1EES11_EEDaSW_SX_EUlSW_E_NS1_11comp_targetILNS1_3genE10ELNS1_11target_archE1201ELNS1_3gpuE5ELNS1_3repE0EEENS1_30default_config_static_selectorELNS0_4arch9wavefront6targetE1EEEvT1_,@function
_ZN7rocprim17ROCPRIM_400000_NS6detail17trampoline_kernelINS0_14default_configENS1_29reduce_by_key_config_selectorIddN6thrust23THRUST_200600_302600_NS4plusIdEEEEZZNS1_33reduce_by_key_impl_wrapped_configILNS1_25lookback_scan_determinismE0ES3_S9_NS6_6detail15normal_iteratorINS6_10device_ptrIdEEEESG_SG_SG_PmS8_22is_equal_div_10_reduceIdEEE10hipError_tPvRmT2_T3_mT4_T5_T6_T7_T8_P12ihipStream_tbENKUlT_T0_E_clISt17integral_constantIbLb1EES11_EEDaSW_SX_EUlSW_E_NS1_11comp_targetILNS1_3genE10ELNS1_11target_archE1201ELNS1_3gpuE5ELNS1_3repE0EEENS1_30default_config_static_selectorELNS0_4arch9wavefront6targetE1EEEvT1_: ; @_ZN7rocprim17ROCPRIM_400000_NS6detail17trampoline_kernelINS0_14default_configENS1_29reduce_by_key_config_selectorIddN6thrust23THRUST_200600_302600_NS4plusIdEEEEZZNS1_33reduce_by_key_impl_wrapped_configILNS1_25lookback_scan_determinismE0ES3_S9_NS6_6detail15normal_iteratorINS6_10device_ptrIdEEEESG_SG_SG_PmS8_22is_equal_div_10_reduceIdEEE10hipError_tPvRmT2_T3_mT4_T5_T6_T7_T8_P12ihipStream_tbENKUlT_T0_E_clISt17integral_constantIbLb1EES11_EEDaSW_SX_EUlSW_E_NS1_11comp_targetILNS1_3genE10ELNS1_11target_archE1201ELNS1_3gpuE5ELNS1_3repE0EEENS1_30default_config_static_selectorELNS0_4arch9wavefront6targetE1EEEvT1_
; %bb.0:
	.section	.rodata,"a",@progbits
	.p2align	6, 0x0
	.amdhsa_kernel _ZN7rocprim17ROCPRIM_400000_NS6detail17trampoline_kernelINS0_14default_configENS1_29reduce_by_key_config_selectorIddN6thrust23THRUST_200600_302600_NS4plusIdEEEEZZNS1_33reduce_by_key_impl_wrapped_configILNS1_25lookback_scan_determinismE0ES3_S9_NS6_6detail15normal_iteratorINS6_10device_ptrIdEEEESG_SG_SG_PmS8_22is_equal_div_10_reduceIdEEE10hipError_tPvRmT2_T3_mT4_T5_T6_T7_T8_P12ihipStream_tbENKUlT_T0_E_clISt17integral_constantIbLb1EES11_EEDaSW_SX_EUlSW_E_NS1_11comp_targetILNS1_3genE10ELNS1_11target_archE1201ELNS1_3gpuE5ELNS1_3repE0EEENS1_30default_config_static_selectorELNS0_4arch9wavefront6targetE1EEEvT1_
		.amdhsa_group_segment_fixed_size 0
		.amdhsa_private_segment_fixed_size 0
		.amdhsa_kernarg_size 136
		.amdhsa_user_sgpr_count 6
		.amdhsa_user_sgpr_private_segment_buffer 1
		.amdhsa_user_sgpr_dispatch_ptr 0
		.amdhsa_user_sgpr_queue_ptr 0
		.amdhsa_user_sgpr_kernarg_segment_ptr 1
		.amdhsa_user_sgpr_dispatch_id 0
		.amdhsa_user_sgpr_flat_scratch_init 0
		.amdhsa_user_sgpr_kernarg_preload_length 0
		.amdhsa_user_sgpr_kernarg_preload_offset 0
		.amdhsa_user_sgpr_private_segment_size 0
		.amdhsa_uses_dynamic_stack 0
		.amdhsa_system_sgpr_private_segment_wavefront_offset 0
		.amdhsa_system_sgpr_workgroup_id_x 1
		.amdhsa_system_sgpr_workgroup_id_y 0
		.amdhsa_system_sgpr_workgroup_id_z 0
		.amdhsa_system_sgpr_workgroup_info 0
		.amdhsa_system_vgpr_workitem_id 0
		.amdhsa_next_free_vgpr 1
		.amdhsa_next_free_sgpr 0
		.amdhsa_accum_offset 4
		.amdhsa_reserve_vcc 0
		.amdhsa_reserve_flat_scratch 0
		.amdhsa_float_round_mode_32 0
		.amdhsa_float_round_mode_16_64 0
		.amdhsa_float_denorm_mode_32 3
		.amdhsa_float_denorm_mode_16_64 3
		.amdhsa_dx10_clamp 1
		.amdhsa_ieee_mode 1
		.amdhsa_fp16_overflow 0
		.amdhsa_tg_split 0
		.amdhsa_exception_fp_ieee_invalid_op 0
		.amdhsa_exception_fp_denorm_src 0
		.amdhsa_exception_fp_ieee_div_zero 0
		.amdhsa_exception_fp_ieee_overflow 0
		.amdhsa_exception_fp_ieee_underflow 0
		.amdhsa_exception_fp_ieee_inexact 0
		.amdhsa_exception_int_div_zero 0
	.end_amdhsa_kernel
	.section	.text._ZN7rocprim17ROCPRIM_400000_NS6detail17trampoline_kernelINS0_14default_configENS1_29reduce_by_key_config_selectorIddN6thrust23THRUST_200600_302600_NS4plusIdEEEEZZNS1_33reduce_by_key_impl_wrapped_configILNS1_25lookback_scan_determinismE0ES3_S9_NS6_6detail15normal_iteratorINS6_10device_ptrIdEEEESG_SG_SG_PmS8_22is_equal_div_10_reduceIdEEE10hipError_tPvRmT2_T3_mT4_T5_T6_T7_T8_P12ihipStream_tbENKUlT_T0_E_clISt17integral_constantIbLb1EES11_EEDaSW_SX_EUlSW_E_NS1_11comp_targetILNS1_3genE10ELNS1_11target_archE1201ELNS1_3gpuE5ELNS1_3repE0EEENS1_30default_config_static_selectorELNS0_4arch9wavefront6targetE1EEEvT1_,"axG",@progbits,_ZN7rocprim17ROCPRIM_400000_NS6detail17trampoline_kernelINS0_14default_configENS1_29reduce_by_key_config_selectorIddN6thrust23THRUST_200600_302600_NS4plusIdEEEEZZNS1_33reduce_by_key_impl_wrapped_configILNS1_25lookback_scan_determinismE0ES3_S9_NS6_6detail15normal_iteratorINS6_10device_ptrIdEEEESG_SG_SG_PmS8_22is_equal_div_10_reduceIdEEE10hipError_tPvRmT2_T3_mT4_T5_T6_T7_T8_P12ihipStream_tbENKUlT_T0_E_clISt17integral_constantIbLb1EES11_EEDaSW_SX_EUlSW_E_NS1_11comp_targetILNS1_3genE10ELNS1_11target_archE1201ELNS1_3gpuE5ELNS1_3repE0EEENS1_30default_config_static_selectorELNS0_4arch9wavefront6targetE1EEEvT1_,comdat
.Lfunc_end65:
	.size	_ZN7rocprim17ROCPRIM_400000_NS6detail17trampoline_kernelINS0_14default_configENS1_29reduce_by_key_config_selectorIddN6thrust23THRUST_200600_302600_NS4plusIdEEEEZZNS1_33reduce_by_key_impl_wrapped_configILNS1_25lookback_scan_determinismE0ES3_S9_NS6_6detail15normal_iteratorINS6_10device_ptrIdEEEESG_SG_SG_PmS8_22is_equal_div_10_reduceIdEEE10hipError_tPvRmT2_T3_mT4_T5_T6_T7_T8_P12ihipStream_tbENKUlT_T0_E_clISt17integral_constantIbLb1EES11_EEDaSW_SX_EUlSW_E_NS1_11comp_targetILNS1_3genE10ELNS1_11target_archE1201ELNS1_3gpuE5ELNS1_3repE0EEENS1_30default_config_static_selectorELNS0_4arch9wavefront6targetE1EEEvT1_, .Lfunc_end65-_ZN7rocprim17ROCPRIM_400000_NS6detail17trampoline_kernelINS0_14default_configENS1_29reduce_by_key_config_selectorIddN6thrust23THRUST_200600_302600_NS4plusIdEEEEZZNS1_33reduce_by_key_impl_wrapped_configILNS1_25lookback_scan_determinismE0ES3_S9_NS6_6detail15normal_iteratorINS6_10device_ptrIdEEEESG_SG_SG_PmS8_22is_equal_div_10_reduceIdEEE10hipError_tPvRmT2_T3_mT4_T5_T6_T7_T8_P12ihipStream_tbENKUlT_T0_E_clISt17integral_constantIbLb1EES11_EEDaSW_SX_EUlSW_E_NS1_11comp_targetILNS1_3genE10ELNS1_11target_archE1201ELNS1_3gpuE5ELNS1_3repE0EEENS1_30default_config_static_selectorELNS0_4arch9wavefront6targetE1EEEvT1_
                                        ; -- End function
	.section	.AMDGPU.csdata,"",@progbits
; Kernel info:
; codeLenInByte = 0
; NumSgprs: 4
; NumVgprs: 0
; NumAgprs: 0
; TotalNumVgprs: 0
; ScratchSize: 0
; MemoryBound: 0
; FloatMode: 240
; IeeeMode: 1
; LDSByteSize: 0 bytes/workgroup (compile time only)
; SGPRBlocks: 0
; VGPRBlocks: 0
; NumSGPRsForWavesPerEU: 4
; NumVGPRsForWavesPerEU: 1
; AccumOffset: 4
; Occupancy: 8
; WaveLimiterHint : 0
; COMPUTE_PGM_RSRC2:SCRATCH_EN: 0
; COMPUTE_PGM_RSRC2:USER_SGPR: 6
; COMPUTE_PGM_RSRC2:TRAP_HANDLER: 0
; COMPUTE_PGM_RSRC2:TGID_X_EN: 1
; COMPUTE_PGM_RSRC2:TGID_Y_EN: 0
; COMPUTE_PGM_RSRC2:TGID_Z_EN: 0
; COMPUTE_PGM_RSRC2:TIDIG_COMP_CNT: 0
; COMPUTE_PGM_RSRC3_GFX90A:ACCUM_OFFSET: 0
; COMPUTE_PGM_RSRC3_GFX90A:TG_SPLIT: 0
	.section	.text._ZN7rocprim17ROCPRIM_400000_NS6detail17trampoline_kernelINS0_14default_configENS1_29reduce_by_key_config_selectorIddN6thrust23THRUST_200600_302600_NS4plusIdEEEEZZNS1_33reduce_by_key_impl_wrapped_configILNS1_25lookback_scan_determinismE0ES3_S9_NS6_6detail15normal_iteratorINS6_10device_ptrIdEEEESG_SG_SG_PmS8_22is_equal_div_10_reduceIdEEE10hipError_tPvRmT2_T3_mT4_T5_T6_T7_T8_P12ihipStream_tbENKUlT_T0_E_clISt17integral_constantIbLb1EES11_EEDaSW_SX_EUlSW_E_NS1_11comp_targetILNS1_3genE10ELNS1_11target_archE1200ELNS1_3gpuE4ELNS1_3repE0EEENS1_30default_config_static_selectorELNS0_4arch9wavefront6targetE1EEEvT1_,"axG",@progbits,_ZN7rocprim17ROCPRIM_400000_NS6detail17trampoline_kernelINS0_14default_configENS1_29reduce_by_key_config_selectorIddN6thrust23THRUST_200600_302600_NS4plusIdEEEEZZNS1_33reduce_by_key_impl_wrapped_configILNS1_25lookback_scan_determinismE0ES3_S9_NS6_6detail15normal_iteratorINS6_10device_ptrIdEEEESG_SG_SG_PmS8_22is_equal_div_10_reduceIdEEE10hipError_tPvRmT2_T3_mT4_T5_T6_T7_T8_P12ihipStream_tbENKUlT_T0_E_clISt17integral_constantIbLb1EES11_EEDaSW_SX_EUlSW_E_NS1_11comp_targetILNS1_3genE10ELNS1_11target_archE1200ELNS1_3gpuE4ELNS1_3repE0EEENS1_30default_config_static_selectorELNS0_4arch9wavefront6targetE1EEEvT1_,comdat
	.protected	_ZN7rocprim17ROCPRIM_400000_NS6detail17trampoline_kernelINS0_14default_configENS1_29reduce_by_key_config_selectorIddN6thrust23THRUST_200600_302600_NS4plusIdEEEEZZNS1_33reduce_by_key_impl_wrapped_configILNS1_25lookback_scan_determinismE0ES3_S9_NS6_6detail15normal_iteratorINS6_10device_ptrIdEEEESG_SG_SG_PmS8_22is_equal_div_10_reduceIdEEE10hipError_tPvRmT2_T3_mT4_T5_T6_T7_T8_P12ihipStream_tbENKUlT_T0_E_clISt17integral_constantIbLb1EES11_EEDaSW_SX_EUlSW_E_NS1_11comp_targetILNS1_3genE10ELNS1_11target_archE1200ELNS1_3gpuE4ELNS1_3repE0EEENS1_30default_config_static_selectorELNS0_4arch9wavefront6targetE1EEEvT1_ ; -- Begin function _ZN7rocprim17ROCPRIM_400000_NS6detail17trampoline_kernelINS0_14default_configENS1_29reduce_by_key_config_selectorIddN6thrust23THRUST_200600_302600_NS4plusIdEEEEZZNS1_33reduce_by_key_impl_wrapped_configILNS1_25lookback_scan_determinismE0ES3_S9_NS6_6detail15normal_iteratorINS6_10device_ptrIdEEEESG_SG_SG_PmS8_22is_equal_div_10_reduceIdEEE10hipError_tPvRmT2_T3_mT4_T5_T6_T7_T8_P12ihipStream_tbENKUlT_T0_E_clISt17integral_constantIbLb1EES11_EEDaSW_SX_EUlSW_E_NS1_11comp_targetILNS1_3genE10ELNS1_11target_archE1200ELNS1_3gpuE4ELNS1_3repE0EEENS1_30default_config_static_selectorELNS0_4arch9wavefront6targetE1EEEvT1_
	.globl	_ZN7rocprim17ROCPRIM_400000_NS6detail17trampoline_kernelINS0_14default_configENS1_29reduce_by_key_config_selectorIddN6thrust23THRUST_200600_302600_NS4plusIdEEEEZZNS1_33reduce_by_key_impl_wrapped_configILNS1_25lookback_scan_determinismE0ES3_S9_NS6_6detail15normal_iteratorINS6_10device_ptrIdEEEESG_SG_SG_PmS8_22is_equal_div_10_reduceIdEEE10hipError_tPvRmT2_T3_mT4_T5_T6_T7_T8_P12ihipStream_tbENKUlT_T0_E_clISt17integral_constantIbLb1EES11_EEDaSW_SX_EUlSW_E_NS1_11comp_targetILNS1_3genE10ELNS1_11target_archE1200ELNS1_3gpuE4ELNS1_3repE0EEENS1_30default_config_static_selectorELNS0_4arch9wavefront6targetE1EEEvT1_
	.p2align	8
	.type	_ZN7rocprim17ROCPRIM_400000_NS6detail17trampoline_kernelINS0_14default_configENS1_29reduce_by_key_config_selectorIddN6thrust23THRUST_200600_302600_NS4plusIdEEEEZZNS1_33reduce_by_key_impl_wrapped_configILNS1_25lookback_scan_determinismE0ES3_S9_NS6_6detail15normal_iteratorINS6_10device_ptrIdEEEESG_SG_SG_PmS8_22is_equal_div_10_reduceIdEEE10hipError_tPvRmT2_T3_mT4_T5_T6_T7_T8_P12ihipStream_tbENKUlT_T0_E_clISt17integral_constantIbLb1EES11_EEDaSW_SX_EUlSW_E_NS1_11comp_targetILNS1_3genE10ELNS1_11target_archE1200ELNS1_3gpuE4ELNS1_3repE0EEENS1_30default_config_static_selectorELNS0_4arch9wavefront6targetE1EEEvT1_,@function
_ZN7rocprim17ROCPRIM_400000_NS6detail17trampoline_kernelINS0_14default_configENS1_29reduce_by_key_config_selectorIddN6thrust23THRUST_200600_302600_NS4plusIdEEEEZZNS1_33reduce_by_key_impl_wrapped_configILNS1_25lookback_scan_determinismE0ES3_S9_NS6_6detail15normal_iteratorINS6_10device_ptrIdEEEESG_SG_SG_PmS8_22is_equal_div_10_reduceIdEEE10hipError_tPvRmT2_T3_mT4_T5_T6_T7_T8_P12ihipStream_tbENKUlT_T0_E_clISt17integral_constantIbLb1EES11_EEDaSW_SX_EUlSW_E_NS1_11comp_targetILNS1_3genE10ELNS1_11target_archE1200ELNS1_3gpuE4ELNS1_3repE0EEENS1_30default_config_static_selectorELNS0_4arch9wavefront6targetE1EEEvT1_: ; @_ZN7rocprim17ROCPRIM_400000_NS6detail17trampoline_kernelINS0_14default_configENS1_29reduce_by_key_config_selectorIddN6thrust23THRUST_200600_302600_NS4plusIdEEEEZZNS1_33reduce_by_key_impl_wrapped_configILNS1_25lookback_scan_determinismE0ES3_S9_NS6_6detail15normal_iteratorINS6_10device_ptrIdEEEESG_SG_SG_PmS8_22is_equal_div_10_reduceIdEEE10hipError_tPvRmT2_T3_mT4_T5_T6_T7_T8_P12ihipStream_tbENKUlT_T0_E_clISt17integral_constantIbLb1EES11_EEDaSW_SX_EUlSW_E_NS1_11comp_targetILNS1_3genE10ELNS1_11target_archE1200ELNS1_3gpuE4ELNS1_3repE0EEENS1_30default_config_static_selectorELNS0_4arch9wavefront6targetE1EEEvT1_
; %bb.0:
	.section	.rodata,"a",@progbits
	.p2align	6, 0x0
	.amdhsa_kernel _ZN7rocprim17ROCPRIM_400000_NS6detail17trampoline_kernelINS0_14default_configENS1_29reduce_by_key_config_selectorIddN6thrust23THRUST_200600_302600_NS4plusIdEEEEZZNS1_33reduce_by_key_impl_wrapped_configILNS1_25lookback_scan_determinismE0ES3_S9_NS6_6detail15normal_iteratorINS6_10device_ptrIdEEEESG_SG_SG_PmS8_22is_equal_div_10_reduceIdEEE10hipError_tPvRmT2_T3_mT4_T5_T6_T7_T8_P12ihipStream_tbENKUlT_T0_E_clISt17integral_constantIbLb1EES11_EEDaSW_SX_EUlSW_E_NS1_11comp_targetILNS1_3genE10ELNS1_11target_archE1200ELNS1_3gpuE4ELNS1_3repE0EEENS1_30default_config_static_selectorELNS0_4arch9wavefront6targetE1EEEvT1_
		.amdhsa_group_segment_fixed_size 0
		.amdhsa_private_segment_fixed_size 0
		.amdhsa_kernarg_size 136
		.amdhsa_user_sgpr_count 6
		.amdhsa_user_sgpr_private_segment_buffer 1
		.amdhsa_user_sgpr_dispatch_ptr 0
		.amdhsa_user_sgpr_queue_ptr 0
		.amdhsa_user_sgpr_kernarg_segment_ptr 1
		.amdhsa_user_sgpr_dispatch_id 0
		.amdhsa_user_sgpr_flat_scratch_init 0
		.amdhsa_user_sgpr_kernarg_preload_length 0
		.amdhsa_user_sgpr_kernarg_preload_offset 0
		.amdhsa_user_sgpr_private_segment_size 0
		.amdhsa_uses_dynamic_stack 0
		.amdhsa_system_sgpr_private_segment_wavefront_offset 0
		.amdhsa_system_sgpr_workgroup_id_x 1
		.amdhsa_system_sgpr_workgroup_id_y 0
		.amdhsa_system_sgpr_workgroup_id_z 0
		.amdhsa_system_sgpr_workgroup_info 0
		.amdhsa_system_vgpr_workitem_id 0
		.amdhsa_next_free_vgpr 1
		.amdhsa_next_free_sgpr 0
		.amdhsa_accum_offset 4
		.amdhsa_reserve_vcc 0
		.amdhsa_reserve_flat_scratch 0
		.amdhsa_float_round_mode_32 0
		.amdhsa_float_round_mode_16_64 0
		.amdhsa_float_denorm_mode_32 3
		.amdhsa_float_denorm_mode_16_64 3
		.amdhsa_dx10_clamp 1
		.amdhsa_ieee_mode 1
		.amdhsa_fp16_overflow 0
		.amdhsa_tg_split 0
		.amdhsa_exception_fp_ieee_invalid_op 0
		.amdhsa_exception_fp_denorm_src 0
		.amdhsa_exception_fp_ieee_div_zero 0
		.amdhsa_exception_fp_ieee_overflow 0
		.amdhsa_exception_fp_ieee_underflow 0
		.amdhsa_exception_fp_ieee_inexact 0
		.amdhsa_exception_int_div_zero 0
	.end_amdhsa_kernel
	.section	.text._ZN7rocprim17ROCPRIM_400000_NS6detail17trampoline_kernelINS0_14default_configENS1_29reduce_by_key_config_selectorIddN6thrust23THRUST_200600_302600_NS4plusIdEEEEZZNS1_33reduce_by_key_impl_wrapped_configILNS1_25lookback_scan_determinismE0ES3_S9_NS6_6detail15normal_iteratorINS6_10device_ptrIdEEEESG_SG_SG_PmS8_22is_equal_div_10_reduceIdEEE10hipError_tPvRmT2_T3_mT4_T5_T6_T7_T8_P12ihipStream_tbENKUlT_T0_E_clISt17integral_constantIbLb1EES11_EEDaSW_SX_EUlSW_E_NS1_11comp_targetILNS1_3genE10ELNS1_11target_archE1200ELNS1_3gpuE4ELNS1_3repE0EEENS1_30default_config_static_selectorELNS0_4arch9wavefront6targetE1EEEvT1_,"axG",@progbits,_ZN7rocprim17ROCPRIM_400000_NS6detail17trampoline_kernelINS0_14default_configENS1_29reduce_by_key_config_selectorIddN6thrust23THRUST_200600_302600_NS4plusIdEEEEZZNS1_33reduce_by_key_impl_wrapped_configILNS1_25lookback_scan_determinismE0ES3_S9_NS6_6detail15normal_iteratorINS6_10device_ptrIdEEEESG_SG_SG_PmS8_22is_equal_div_10_reduceIdEEE10hipError_tPvRmT2_T3_mT4_T5_T6_T7_T8_P12ihipStream_tbENKUlT_T0_E_clISt17integral_constantIbLb1EES11_EEDaSW_SX_EUlSW_E_NS1_11comp_targetILNS1_3genE10ELNS1_11target_archE1200ELNS1_3gpuE4ELNS1_3repE0EEENS1_30default_config_static_selectorELNS0_4arch9wavefront6targetE1EEEvT1_,comdat
.Lfunc_end66:
	.size	_ZN7rocprim17ROCPRIM_400000_NS6detail17trampoline_kernelINS0_14default_configENS1_29reduce_by_key_config_selectorIddN6thrust23THRUST_200600_302600_NS4plusIdEEEEZZNS1_33reduce_by_key_impl_wrapped_configILNS1_25lookback_scan_determinismE0ES3_S9_NS6_6detail15normal_iteratorINS6_10device_ptrIdEEEESG_SG_SG_PmS8_22is_equal_div_10_reduceIdEEE10hipError_tPvRmT2_T3_mT4_T5_T6_T7_T8_P12ihipStream_tbENKUlT_T0_E_clISt17integral_constantIbLb1EES11_EEDaSW_SX_EUlSW_E_NS1_11comp_targetILNS1_3genE10ELNS1_11target_archE1200ELNS1_3gpuE4ELNS1_3repE0EEENS1_30default_config_static_selectorELNS0_4arch9wavefront6targetE1EEEvT1_, .Lfunc_end66-_ZN7rocprim17ROCPRIM_400000_NS6detail17trampoline_kernelINS0_14default_configENS1_29reduce_by_key_config_selectorIddN6thrust23THRUST_200600_302600_NS4plusIdEEEEZZNS1_33reduce_by_key_impl_wrapped_configILNS1_25lookback_scan_determinismE0ES3_S9_NS6_6detail15normal_iteratorINS6_10device_ptrIdEEEESG_SG_SG_PmS8_22is_equal_div_10_reduceIdEEE10hipError_tPvRmT2_T3_mT4_T5_T6_T7_T8_P12ihipStream_tbENKUlT_T0_E_clISt17integral_constantIbLb1EES11_EEDaSW_SX_EUlSW_E_NS1_11comp_targetILNS1_3genE10ELNS1_11target_archE1200ELNS1_3gpuE4ELNS1_3repE0EEENS1_30default_config_static_selectorELNS0_4arch9wavefront6targetE1EEEvT1_
                                        ; -- End function
	.section	.AMDGPU.csdata,"",@progbits
; Kernel info:
; codeLenInByte = 0
; NumSgprs: 4
; NumVgprs: 0
; NumAgprs: 0
; TotalNumVgprs: 0
; ScratchSize: 0
; MemoryBound: 0
; FloatMode: 240
; IeeeMode: 1
; LDSByteSize: 0 bytes/workgroup (compile time only)
; SGPRBlocks: 0
; VGPRBlocks: 0
; NumSGPRsForWavesPerEU: 4
; NumVGPRsForWavesPerEU: 1
; AccumOffset: 4
; Occupancy: 8
; WaveLimiterHint : 0
; COMPUTE_PGM_RSRC2:SCRATCH_EN: 0
; COMPUTE_PGM_RSRC2:USER_SGPR: 6
; COMPUTE_PGM_RSRC2:TRAP_HANDLER: 0
; COMPUTE_PGM_RSRC2:TGID_X_EN: 1
; COMPUTE_PGM_RSRC2:TGID_Y_EN: 0
; COMPUTE_PGM_RSRC2:TGID_Z_EN: 0
; COMPUTE_PGM_RSRC2:TIDIG_COMP_CNT: 0
; COMPUTE_PGM_RSRC3_GFX90A:ACCUM_OFFSET: 0
; COMPUTE_PGM_RSRC3_GFX90A:TG_SPLIT: 0
	.section	.text._ZN7rocprim17ROCPRIM_400000_NS6detail17trampoline_kernelINS0_14default_configENS1_29reduce_by_key_config_selectorIddN6thrust23THRUST_200600_302600_NS4plusIdEEEEZZNS1_33reduce_by_key_impl_wrapped_configILNS1_25lookback_scan_determinismE0ES3_S9_NS6_6detail15normal_iteratorINS6_10device_ptrIdEEEESG_SG_SG_PmS8_22is_equal_div_10_reduceIdEEE10hipError_tPvRmT2_T3_mT4_T5_T6_T7_T8_P12ihipStream_tbENKUlT_T0_E_clISt17integral_constantIbLb1EES11_EEDaSW_SX_EUlSW_E_NS1_11comp_targetILNS1_3genE9ELNS1_11target_archE1100ELNS1_3gpuE3ELNS1_3repE0EEENS1_30default_config_static_selectorELNS0_4arch9wavefront6targetE1EEEvT1_,"axG",@progbits,_ZN7rocprim17ROCPRIM_400000_NS6detail17trampoline_kernelINS0_14default_configENS1_29reduce_by_key_config_selectorIddN6thrust23THRUST_200600_302600_NS4plusIdEEEEZZNS1_33reduce_by_key_impl_wrapped_configILNS1_25lookback_scan_determinismE0ES3_S9_NS6_6detail15normal_iteratorINS6_10device_ptrIdEEEESG_SG_SG_PmS8_22is_equal_div_10_reduceIdEEE10hipError_tPvRmT2_T3_mT4_T5_T6_T7_T8_P12ihipStream_tbENKUlT_T0_E_clISt17integral_constantIbLb1EES11_EEDaSW_SX_EUlSW_E_NS1_11comp_targetILNS1_3genE9ELNS1_11target_archE1100ELNS1_3gpuE3ELNS1_3repE0EEENS1_30default_config_static_selectorELNS0_4arch9wavefront6targetE1EEEvT1_,comdat
	.protected	_ZN7rocprim17ROCPRIM_400000_NS6detail17trampoline_kernelINS0_14default_configENS1_29reduce_by_key_config_selectorIddN6thrust23THRUST_200600_302600_NS4plusIdEEEEZZNS1_33reduce_by_key_impl_wrapped_configILNS1_25lookback_scan_determinismE0ES3_S9_NS6_6detail15normal_iteratorINS6_10device_ptrIdEEEESG_SG_SG_PmS8_22is_equal_div_10_reduceIdEEE10hipError_tPvRmT2_T3_mT4_T5_T6_T7_T8_P12ihipStream_tbENKUlT_T0_E_clISt17integral_constantIbLb1EES11_EEDaSW_SX_EUlSW_E_NS1_11comp_targetILNS1_3genE9ELNS1_11target_archE1100ELNS1_3gpuE3ELNS1_3repE0EEENS1_30default_config_static_selectorELNS0_4arch9wavefront6targetE1EEEvT1_ ; -- Begin function _ZN7rocprim17ROCPRIM_400000_NS6detail17trampoline_kernelINS0_14default_configENS1_29reduce_by_key_config_selectorIddN6thrust23THRUST_200600_302600_NS4plusIdEEEEZZNS1_33reduce_by_key_impl_wrapped_configILNS1_25lookback_scan_determinismE0ES3_S9_NS6_6detail15normal_iteratorINS6_10device_ptrIdEEEESG_SG_SG_PmS8_22is_equal_div_10_reduceIdEEE10hipError_tPvRmT2_T3_mT4_T5_T6_T7_T8_P12ihipStream_tbENKUlT_T0_E_clISt17integral_constantIbLb1EES11_EEDaSW_SX_EUlSW_E_NS1_11comp_targetILNS1_3genE9ELNS1_11target_archE1100ELNS1_3gpuE3ELNS1_3repE0EEENS1_30default_config_static_selectorELNS0_4arch9wavefront6targetE1EEEvT1_
	.globl	_ZN7rocprim17ROCPRIM_400000_NS6detail17trampoline_kernelINS0_14default_configENS1_29reduce_by_key_config_selectorIddN6thrust23THRUST_200600_302600_NS4plusIdEEEEZZNS1_33reduce_by_key_impl_wrapped_configILNS1_25lookback_scan_determinismE0ES3_S9_NS6_6detail15normal_iteratorINS6_10device_ptrIdEEEESG_SG_SG_PmS8_22is_equal_div_10_reduceIdEEE10hipError_tPvRmT2_T3_mT4_T5_T6_T7_T8_P12ihipStream_tbENKUlT_T0_E_clISt17integral_constantIbLb1EES11_EEDaSW_SX_EUlSW_E_NS1_11comp_targetILNS1_3genE9ELNS1_11target_archE1100ELNS1_3gpuE3ELNS1_3repE0EEENS1_30default_config_static_selectorELNS0_4arch9wavefront6targetE1EEEvT1_
	.p2align	8
	.type	_ZN7rocprim17ROCPRIM_400000_NS6detail17trampoline_kernelINS0_14default_configENS1_29reduce_by_key_config_selectorIddN6thrust23THRUST_200600_302600_NS4plusIdEEEEZZNS1_33reduce_by_key_impl_wrapped_configILNS1_25lookback_scan_determinismE0ES3_S9_NS6_6detail15normal_iteratorINS6_10device_ptrIdEEEESG_SG_SG_PmS8_22is_equal_div_10_reduceIdEEE10hipError_tPvRmT2_T3_mT4_T5_T6_T7_T8_P12ihipStream_tbENKUlT_T0_E_clISt17integral_constantIbLb1EES11_EEDaSW_SX_EUlSW_E_NS1_11comp_targetILNS1_3genE9ELNS1_11target_archE1100ELNS1_3gpuE3ELNS1_3repE0EEENS1_30default_config_static_selectorELNS0_4arch9wavefront6targetE1EEEvT1_,@function
_ZN7rocprim17ROCPRIM_400000_NS6detail17trampoline_kernelINS0_14default_configENS1_29reduce_by_key_config_selectorIddN6thrust23THRUST_200600_302600_NS4plusIdEEEEZZNS1_33reduce_by_key_impl_wrapped_configILNS1_25lookback_scan_determinismE0ES3_S9_NS6_6detail15normal_iteratorINS6_10device_ptrIdEEEESG_SG_SG_PmS8_22is_equal_div_10_reduceIdEEE10hipError_tPvRmT2_T3_mT4_T5_T6_T7_T8_P12ihipStream_tbENKUlT_T0_E_clISt17integral_constantIbLb1EES11_EEDaSW_SX_EUlSW_E_NS1_11comp_targetILNS1_3genE9ELNS1_11target_archE1100ELNS1_3gpuE3ELNS1_3repE0EEENS1_30default_config_static_selectorELNS0_4arch9wavefront6targetE1EEEvT1_: ; @_ZN7rocprim17ROCPRIM_400000_NS6detail17trampoline_kernelINS0_14default_configENS1_29reduce_by_key_config_selectorIddN6thrust23THRUST_200600_302600_NS4plusIdEEEEZZNS1_33reduce_by_key_impl_wrapped_configILNS1_25lookback_scan_determinismE0ES3_S9_NS6_6detail15normal_iteratorINS6_10device_ptrIdEEEESG_SG_SG_PmS8_22is_equal_div_10_reduceIdEEE10hipError_tPvRmT2_T3_mT4_T5_T6_T7_T8_P12ihipStream_tbENKUlT_T0_E_clISt17integral_constantIbLb1EES11_EEDaSW_SX_EUlSW_E_NS1_11comp_targetILNS1_3genE9ELNS1_11target_archE1100ELNS1_3gpuE3ELNS1_3repE0EEENS1_30default_config_static_selectorELNS0_4arch9wavefront6targetE1EEEvT1_
; %bb.0:
	.section	.rodata,"a",@progbits
	.p2align	6, 0x0
	.amdhsa_kernel _ZN7rocprim17ROCPRIM_400000_NS6detail17trampoline_kernelINS0_14default_configENS1_29reduce_by_key_config_selectorIddN6thrust23THRUST_200600_302600_NS4plusIdEEEEZZNS1_33reduce_by_key_impl_wrapped_configILNS1_25lookback_scan_determinismE0ES3_S9_NS6_6detail15normal_iteratorINS6_10device_ptrIdEEEESG_SG_SG_PmS8_22is_equal_div_10_reduceIdEEE10hipError_tPvRmT2_T3_mT4_T5_T6_T7_T8_P12ihipStream_tbENKUlT_T0_E_clISt17integral_constantIbLb1EES11_EEDaSW_SX_EUlSW_E_NS1_11comp_targetILNS1_3genE9ELNS1_11target_archE1100ELNS1_3gpuE3ELNS1_3repE0EEENS1_30default_config_static_selectorELNS0_4arch9wavefront6targetE1EEEvT1_
		.amdhsa_group_segment_fixed_size 0
		.amdhsa_private_segment_fixed_size 0
		.amdhsa_kernarg_size 136
		.amdhsa_user_sgpr_count 6
		.amdhsa_user_sgpr_private_segment_buffer 1
		.amdhsa_user_sgpr_dispatch_ptr 0
		.amdhsa_user_sgpr_queue_ptr 0
		.amdhsa_user_sgpr_kernarg_segment_ptr 1
		.amdhsa_user_sgpr_dispatch_id 0
		.amdhsa_user_sgpr_flat_scratch_init 0
		.amdhsa_user_sgpr_kernarg_preload_length 0
		.amdhsa_user_sgpr_kernarg_preload_offset 0
		.amdhsa_user_sgpr_private_segment_size 0
		.amdhsa_uses_dynamic_stack 0
		.amdhsa_system_sgpr_private_segment_wavefront_offset 0
		.amdhsa_system_sgpr_workgroup_id_x 1
		.amdhsa_system_sgpr_workgroup_id_y 0
		.amdhsa_system_sgpr_workgroup_id_z 0
		.amdhsa_system_sgpr_workgroup_info 0
		.amdhsa_system_vgpr_workitem_id 0
		.amdhsa_next_free_vgpr 1
		.amdhsa_next_free_sgpr 0
		.amdhsa_accum_offset 4
		.amdhsa_reserve_vcc 0
		.amdhsa_reserve_flat_scratch 0
		.amdhsa_float_round_mode_32 0
		.amdhsa_float_round_mode_16_64 0
		.amdhsa_float_denorm_mode_32 3
		.amdhsa_float_denorm_mode_16_64 3
		.amdhsa_dx10_clamp 1
		.amdhsa_ieee_mode 1
		.amdhsa_fp16_overflow 0
		.amdhsa_tg_split 0
		.amdhsa_exception_fp_ieee_invalid_op 0
		.amdhsa_exception_fp_denorm_src 0
		.amdhsa_exception_fp_ieee_div_zero 0
		.amdhsa_exception_fp_ieee_overflow 0
		.amdhsa_exception_fp_ieee_underflow 0
		.amdhsa_exception_fp_ieee_inexact 0
		.amdhsa_exception_int_div_zero 0
	.end_amdhsa_kernel
	.section	.text._ZN7rocprim17ROCPRIM_400000_NS6detail17trampoline_kernelINS0_14default_configENS1_29reduce_by_key_config_selectorIddN6thrust23THRUST_200600_302600_NS4plusIdEEEEZZNS1_33reduce_by_key_impl_wrapped_configILNS1_25lookback_scan_determinismE0ES3_S9_NS6_6detail15normal_iteratorINS6_10device_ptrIdEEEESG_SG_SG_PmS8_22is_equal_div_10_reduceIdEEE10hipError_tPvRmT2_T3_mT4_T5_T6_T7_T8_P12ihipStream_tbENKUlT_T0_E_clISt17integral_constantIbLb1EES11_EEDaSW_SX_EUlSW_E_NS1_11comp_targetILNS1_3genE9ELNS1_11target_archE1100ELNS1_3gpuE3ELNS1_3repE0EEENS1_30default_config_static_selectorELNS0_4arch9wavefront6targetE1EEEvT1_,"axG",@progbits,_ZN7rocprim17ROCPRIM_400000_NS6detail17trampoline_kernelINS0_14default_configENS1_29reduce_by_key_config_selectorIddN6thrust23THRUST_200600_302600_NS4plusIdEEEEZZNS1_33reduce_by_key_impl_wrapped_configILNS1_25lookback_scan_determinismE0ES3_S9_NS6_6detail15normal_iteratorINS6_10device_ptrIdEEEESG_SG_SG_PmS8_22is_equal_div_10_reduceIdEEE10hipError_tPvRmT2_T3_mT4_T5_T6_T7_T8_P12ihipStream_tbENKUlT_T0_E_clISt17integral_constantIbLb1EES11_EEDaSW_SX_EUlSW_E_NS1_11comp_targetILNS1_3genE9ELNS1_11target_archE1100ELNS1_3gpuE3ELNS1_3repE0EEENS1_30default_config_static_selectorELNS0_4arch9wavefront6targetE1EEEvT1_,comdat
.Lfunc_end67:
	.size	_ZN7rocprim17ROCPRIM_400000_NS6detail17trampoline_kernelINS0_14default_configENS1_29reduce_by_key_config_selectorIddN6thrust23THRUST_200600_302600_NS4plusIdEEEEZZNS1_33reduce_by_key_impl_wrapped_configILNS1_25lookback_scan_determinismE0ES3_S9_NS6_6detail15normal_iteratorINS6_10device_ptrIdEEEESG_SG_SG_PmS8_22is_equal_div_10_reduceIdEEE10hipError_tPvRmT2_T3_mT4_T5_T6_T7_T8_P12ihipStream_tbENKUlT_T0_E_clISt17integral_constantIbLb1EES11_EEDaSW_SX_EUlSW_E_NS1_11comp_targetILNS1_3genE9ELNS1_11target_archE1100ELNS1_3gpuE3ELNS1_3repE0EEENS1_30default_config_static_selectorELNS0_4arch9wavefront6targetE1EEEvT1_, .Lfunc_end67-_ZN7rocprim17ROCPRIM_400000_NS6detail17trampoline_kernelINS0_14default_configENS1_29reduce_by_key_config_selectorIddN6thrust23THRUST_200600_302600_NS4plusIdEEEEZZNS1_33reduce_by_key_impl_wrapped_configILNS1_25lookback_scan_determinismE0ES3_S9_NS6_6detail15normal_iteratorINS6_10device_ptrIdEEEESG_SG_SG_PmS8_22is_equal_div_10_reduceIdEEE10hipError_tPvRmT2_T3_mT4_T5_T6_T7_T8_P12ihipStream_tbENKUlT_T0_E_clISt17integral_constantIbLb1EES11_EEDaSW_SX_EUlSW_E_NS1_11comp_targetILNS1_3genE9ELNS1_11target_archE1100ELNS1_3gpuE3ELNS1_3repE0EEENS1_30default_config_static_selectorELNS0_4arch9wavefront6targetE1EEEvT1_
                                        ; -- End function
	.section	.AMDGPU.csdata,"",@progbits
; Kernel info:
; codeLenInByte = 0
; NumSgprs: 4
; NumVgprs: 0
; NumAgprs: 0
; TotalNumVgprs: 0
; ScratchSize: 0
; MemoryBound: 0
; FloatMode: 240
; IeeeMode: 1
; LDSByteSize: 0 bytes/workgroup (compile time only)
; SGPRBlocks: 0
; VGPRBlocks: 0
; NumSGPRsForWavesPerEU: 4
; NumVGPRsForWavesPerEU: 1
; AccumOffset: 4
; Occupancy: 8
; WaveLimiterHint : 0
; COMPUTE_PGM_RSRC2:SCRATCH_EN: 0
; COMPUTE_PGM_RSRC2:USER_SGPR: 6
; COMPUTE_PGM_RSRC2:TRAP_HANDLER: 0
; COMPUTE_PGM_RSRC2:TGID_X_EN: 1
; COMPUTE_PGM_RSRC2:TGID_Y_EN: 0
; COMPUTE_PGM_RSRC2:TGID_Z_EN: 0
; COMPUTE_PGM_RSRC2:TIDIG_COMP_CNT: 0
; COMPUTE_PGM_RSRC3_GFX90A:ACCUM_OFFSET: 0
; COMPUTE_PGM_RSRC3_GFX90A:TG_SPLIT: 0
	.section	.text._ZN7rocprim17ROCPRIM_400000_NS6detail17trampoline_kernelINS0_14default_configENS1_29reduce_by_key_config_selectorIddN6thrust23THRUST_200600_302600_NS4plusIdEEEEZZNS1_33reduce_by_key_impl_wrapped_configILNS1_25lookback_scan_determinismE0ES3_S9_NS6_6detail15normal_iteratorINS6_10device_ptrIdEEEESG_SG_SG_PmS8_22is_equal_div_10_reduceIdEEE10hipError_tPvRmT2_T3_mT4_T5_T6_T7_T8_P12ihipStream_tbENKUlT_T0_E_clISt17integral_constantIbLb1EES11_EEDaSW_SX_EUlSW_E_NS1_11comp_targetILNS1_3genE8ELNS1_11target_archE1030ELNS1_3gpuE2ELNS1_3repE0EEENS1_30default_config_static_selectorELNS0_4arch9wavefront6targetE1EEEvT1_,"axG",@progbits,_ZN7rocprim17ROCPRIM_400000_NS6detail17trampoline_kernelINS0_14default_configENS1_29reduce_by_key_config_selectorIddN6thrust23THRUST_200600_302600_NS4plusIdEEEEZZNS1_33reduce_by_key_impl_wrapped_configILNS1_25lookback_scan_determinismE0ES3_S9_NS6_6detail15normal_iteratorINS6_10device_ptrIdEEEESG_SG_SG_PmS8_22is_equal_div_10_reduceIdEEE10hipError_tPvRmT2_T3_mT4_T5_T6_T7_T8_P12ihipStream_tbENKUlT_T0_E_clISt17integral_constantIbLb1EES11_EEDaSW_SX_EUlSW_E_NS1_11comp_targetILNS1_3genE8ELNS1_11target_archE1030ELNS1_3gpuE2ELNS1_3repE0EEENS1_30default_config_static_selectorELNS0_4arch9wavefront6targetE1EEEvT1_,comdat
	.protected	_ZN7rocprim17ROCPRIM_400000_NS6detail17trampoline_kernelINS0_14default_configENS1_29reduce_by_key_config_selectorIddN6thrust23THRUST_200600_302600_NS4plusIdEEEEZZNS1_33reduce_by_key_impl_wrapped_configILNS1_25lookback_scan_determinismE0ES3_S9_NS6_6detail15normal_iteratorINS6_10device_ptrIdEEEESG_SG_SG_PmS8_22is_equal_div_10_reduceIdEEE10hipError_tPvRmT2_T3_mT4_T5_T6_T7_T8_P12ihipStream_tbENKUlT_T0_E_clISt17integral_constantIbLb1EES11_EEDaSW_SX_EUlSW_E_NS1_11comp_targetILNS1_3genE8ELNS1_11target_archE1030ELNS1_3gpuE2ELNS1_3repE0EEENS1_30default_config_static_selectorELNS0_4arch9wavefront6targetE1EEEvT1_ ; -- Begin function _ZN7rocprim17ROCPRIM_400000_NS6detail17trampoline_kernelINS0_14default_configENS1_29reduce_by_key_config_selectorIddN6thrust23THRUST_200600_302600_NS4plusIdEEEEZZNS1_33reduce_by_key_impl_wrapped_configILNS1_25lookback_scan_determinismE0ES3_S9_NS6_6detail15normal_iteratorINS6_10device_ptrIdEEEESG_SG_SG_PmS8_22is_equal_div_10_reduceIdEEE10hipError_tPvRmT2_T3_mT4_T5_T6_T7_T8_P12ihipStream_tbENKUlT_T0_E_clISt17integral_constantIbLb1EES11_EEDaSW_SX_EUlSW_E_NS1_11comp_targetILNS1_3genE8ELNS1_11target_archE1030ELNS1_3gpuE2ELNS1_3repE0EEENS1_30default_config_static_selectorELNS0_4arch9wavefront6targetE1EEEvT1_
	.globl	_ZN7rocprim17ROCPRIM_400000_NS6detail17trampoline_kernelINS0_14default_configENS1_29reduce_by_key_config_selectorIddN6thrust23THRUST_200600_302600_NS4plusIdEEEEZZNS1_33reduce_by_key_impl_wrapped_configILNS1_25lookback_scan_determinismE0ES3_S9_NS6_6detail15normal_iteratorINS6_10device_ptrIdEEEESG_SG_SG_PmS8_22is_equal_div_10_reduceIdEEE10hipError_tPvRmT2_T3_mT4_T5_T6_T7_T8_P12ihipStream_tbENKUlT_T0_E_clISt17integral_constantIbLb1EES11_EEDaSW_SX_EUlSW_E_NS1_11comp_targetILNS1_3genE8ELNS1_11target_archE1030ELNS1_3gpuE2ELNS1_3repE0EEENS1_30default_config_static_selectorELNS0_4arch9wavefront6targetE1EEEvT1_
	.p2align	8
	.type	_ZN7rocprim17ROCPRIM_400000_NS6detail17trampoline_kernelINS0_14default_configENS1_29reduce_by_key_config_selectorIddN6thrust23THRUST_200600_302600_NS4plusIdEEEEZZNS1_33reduce_by_key_impl_wrapped_configILNS1_25lookback_scan_determinismE0ES3_S9_NS6_6detail15normal_iteratorINS6_10device_ptrIdEEEESG_SG_SG_PmS8_22is_equal_div_10_reduceIdEEE10hipError_tPvRmT2_T3_mT4_T5_T6_T7_T8_P12ihipStream_tbENKUlT_T0_E_clISt17integral_constantIbLb1EES11_EEDaSW_SX_EUlSW_E_NS1_11comp_targetILNS1_3genE8ELNS1_11target_archE1030ELNS1_3gpuE2ELNS1_3repE0EEENS1_30default_config_static_selectorELNS0_4arch9wavefront6targetE1EEEvT1_,@function
_ZN7rocprim17ROCPRIM_400000_NS6detail17trampoline_kernelINS0_14default_configENS1_29reduce_by_key_config_selectorIddN6thrust23THRUST_200600_302600_NS4plusIdEEEEZZNS1_33reduce_by_key_impl_wrapped_configILNS1_25lookback_scan_determinismE0ES3_S9_NS6_6detail15normal_iteratorINS6_10device_ptrIdEEEESG_SG_SG_PmS8_22is_equal_div_10_reduceIdEEE10hipError_tPvRmT2_T3_mT4_T5_T6_T7_T8_P12ihipStream_tbENKUlT_T0_E_clISt17integral_constantIbLb1EES11_EEDaSW_SX_EUlSW_E_NS1_11comp_targetILNS1_3genE8ELNS1_11target_archE1030ELNS1_3gpuE2ELNS1_3repE0EEENS1_30default_config_static_selectorELNS0_4arch9wavefront6targetE1EEEvT1_: ; @_ZN7rocprim17ROCPRIM_400000_NS6detail17trampoline_kernelINS0_14default_configENS1_29reduce_by_key_config_selectorIddN6thrust23THRUST_200600_302600_NS4plusIdEEEEZZNS1_33reduce_by_key_impl_wrapped_configILNS1_25lookback_scan_determinismE0ES3_S9_NS6_6detail15normal_iteratorINS6_10device_ptrIdEEEESG_SG_SG_PmS8_22is_equal_div_10_reduceIdEEE10hipError_tPvRmT2_T3_mT4_T5_T6_T7_T8_P12ihipStream_tbENKUlT_T0_E_clISt17integral_constantIbLb1EES11_EEDaSW_SX_EUlSW_E_NS1_11comp_targetILNS1_3genE8ELNS1_11target_archE1030ELNS1_3gpuE2ELNS1_3repE0EEENS1_30default_config_static_selectorELNS0_4arch9wavefront6targetE1EEEvT1_
; %bb.0:
	.section	.rodata,"a",@progbits
	.p2align	6, 0x0
	.amdhsa_kernel _ZN7rocprim17ROCPRIM_400000_NS6detail17trampoline_kernelINS0_14default_configENS1_29reduce_by_key_config_selectorIddN6thrust23THRUST_200600_302600_NS4plusIdEEEEZZNS1_33reduce_by_key_impl_wrapped_configILNS1_25lookback_scan_determinismE0ES3_S9_NS6_6detail15normal_iteratorINS6_10device_ptrIdEEEESG_SG_SG_PmS8_22is_equal_div_10_reduceIdEEE10hipError_tPvRmT2_T3_mT4_T5_T6_T7_T8_P12ihipStream_tbENKUlT_T0_E_clISt17integral_constantIbLb1EES11_EEDaSW_SX_EUlSW_E_NS1_11comp_targetILNS1_3genE8ELNS1_11target_archE1030ELNS1_3gpuE2ELNS1_3repE0EEENS1_30default_config_static_selectorELNS0_4arch9wavefront6targetE1EEEvT1_
		.amdhsa_group_segment_fixed_size 0
		.amdhsa_private_segment_fixed_size 0
		.amdhsa_kernarg_size 136
		.amdhsa_user_sgpr_count 6
		.amdhsa_user_sgpr_private_segment_buffer 1
		.amdhsa_user_sgpr_dispatch_ptr 0
		.amdhsa_user_sgpr_queue_ptr 0
		.amdhsa_user_sgpr_kernarg_segment_ptr 1
		.amdhsa_user_sgpr_dispatch_id 0
		.amdhsa_user_sgpr_flat_scratch_init 0
		.amdhsa_user_sgpr_kernarg_preload_length 0
		.amdhsa_user_sgpr_kernarg_preload_offset 0
		.amdhsa_user_sgpr_private_segment_size 0
		.amdhsa_uses_dynamic_stack 0
		.amdhsa_system_sgpr_private_segment_wavefront_offset 0
		.amdhsa_system_sgpr_workgroup_id_x 1
		.amdhsa_system_sgpr_workgroup_id_y 0
		.amdhsa_system_sgpr_workgroup_id_z 0
		.amdhsa_system_sgpr_workgroup_info 0
		.amdhsa_system_vgpr_workitem_id 0
		.amdhsa_next_free_vgpr 1
		.amdhsa_next_free_sgpr 0
		.amdhsa_accum_offset 4
		.amdhsa_reserve_vcc 0
		.amdhsa_reserve_flat_scratch 0
		.amdhsa_float_round_mode_32 0
		.amdhsa_float_round_mode_16_64 0
		.amdhsa_float_denorm_mode_32 3
		.amdhsa_float_denorm_mode_16_64 3
		.amdhsa_dx10_clamp 1
		.amdhsa_ieee_mode 1
		.amdhsa_fp16_overflow 0
		.amdhsa_tg_split 0
		.amdhsa_exception_fp_ieee_invalid_op 0
		.amdhsa_exception_fp_denorm_src 0
		.amdhsa_exception_fp_ieee_div_zero 0
		.amdhsa_exception_fp_ieee_overflow 0
		.amdhsa_exception_fp_ieee_underflow 0
		.amdhsa_exception_fp_ieee_inexact 0
		.amdhsa_exception_int_div_zero 0
	.end_amdhsa_kernel
	.section	.text._ZN7rocprim17ROCPRIM_400000_NS6detail17trampoline_kernelINS0_14default_configENS1_29reduce_by_key_config_selectorIddN6thrust23THRUST_200600_302600_NS4plusIdEEEEZZNS1_33reduce_by_key_impl_wrapped_configILNS1_25lookback_scan_determinismE0ES3_S9_NS6_6detail15normal_iteratorINS6_10device_ptrIdEEEESG_SG_SG_PmS8_22is_equal_div_10_reduceIdEEE10hipError_tPvRmT2_T3_mT4_T5_T6_T7_T8_P12ihipStream_tbENKUlT_T0_E_clISt17integral_constantIbLb1EES11_EEDaSW_SX_EUlSW_E_NS1_11comp_targetILNS1_3genE8ELNS1_11target_archE1030ELNS1_3gpuE2ELNS1_3repE0EEENS1_30default_config_static_selectorELNS0_4arch9wavefront6targetE1EEEvT1_,"axG",@progbits,_ZN7rocprim17ROCPRIM_400000_NS6detail17trampoline_kernelINS0_14default_configENS1_29reduce_by_key_config_selectorIddN6thrust23THRUST_200600_302600_NS4plusIdEEEEZZNS1_33reduce_by_key_impl_wrapped_configILNS1_25lookback_scan_determinismE0ES3_S9_NS6_6detail15normal_iteratorINS6_10device_ptrIdEEEESG_SG_SG_PmS8_22is_equal_div_10_reduceIdEEE10hipError_tPvRmT2_T3_mT4_T5_T6_T7_T8_P12ihipStream_tbENKUlT_T0_E_clISt17integral_constantIbLb1EES11_EEDaSW_SX_EUlSW_E_NS1_11comp_targetILNS1_3genE8ELNS1_11target_archE1030ELNS1_3gpuE2ELNS1_3repE0EEENS1_30default_config_static_selectorELNS0_4arch9wavefront6targetE1EEEvT1_,comdat
.Lfunc_end68:
	.size	_ZN7rocprim17ROCPRIM_400000_NS6detail17trampoline_kernelINS0_14default_configENS1_29reduce_by_key_config_selectorIddN6thrust23THRUST_200600_302600_NS4plusIdEEEEZZNS1_33reduce_by_key_impl_wrapped_configILNS1_25lookback_scan_determinismE0ES3_S9_NS6_6detail15normal_iteratorINS6_10device_ptrIdEEEESG_SG_SG_PmS8_22is_equal_div_10_reduceIdEEE10hipError_tPvRmT2_T3_mT4_T5_T6_T7_T8_P12ihipStream_tbENKUlT_T0_E_clISt17integral_constantIbLb1EES11_EEDaSW_SX_EUlSW_E_NS1_11comp_targetILNS1_3genE8ELNS1_11target_archE1030ELNS1_3gpuE2ELNS1_3repE0EEENS1_30default_config_static_selectorELNS0_4arch9wavefront6targetE1EEEvT1_, .Lfunc_end68-_ZN7rocprim17ROCPRIM_400000_NS6detail17trampoline_kernelINS0_14default_configENS1_29reduce_by_key_config_selectorIddN6thrust23THRUST_200600_302600_NS4plusIdEEEEZZNS1_33reduce_by_key_impl_wrapped_configILNS1_25lookback_scan_determinismE0ES3_S9_NS6_6detail15normal_iteratorINS6_10device_ptrIdEEEESG_SG_SG_PmS8_22is_equal_div_10_reduceIdEEE10hipError_tPvRmT2_T3_mT4_T5_T6_T7_T8_P12ihipStream_tbENKUlT_T0_E_clISt17integral_constantIbLb1EES11_EEDaSW_SX_EUlSW_E_NS1_11comp_targetILNS1_3genE8ELNS1_11target_archE1030ELNS1_3gpuE2ELNS1_3repE0EEENS1_30default_config_static_selectorELNS0_4arch9wavefront6targetE1EEEvT1_
                                        ; -- End function
	.section	.AMDGPU.csdata,"",@progbits
; Kernel info:
; codeLenInByte = 0
; NumSgprs: 4
; NumVgprs: 0
; NumAgprs: 0
; TotalNumVgprs: 0
; ScratchSize: 0
; MemoryBound: 0
; FloatMode: 240
; IeeeMode: 1
; LDSByteSize: 0 bytes/workgroup (compile time only)
; SGPRBlocks: 0
; VGPRBlocks: 0
; NumSGPRsForWavesPerEU: 4
; NumVGPRsForWavesPerEU: 1
; AccumOffset: 4
; Occupancy: 8
; WaveLimiterHint : 0
; COMPUTE_PGM_RSRC2:SCRATCH_EN: 0
; COMPUTE_PGM_RSRC2:USER_SGPR: 6
; COMPUTE_PGM_RSRC2:TRAP_HANDLER: 0
; COMPUTE_PGM_RSRC2:TGID_X_EN: 1
; COMPUTE_PGM_RSRC2:TGID_Y_EN: 0
; COMPUTE_PGM_RSRC2:TGID_Z_EN: 0
; COMPUTE_PGM_RSRC2:TIDIG_COMP_CNT: 0
; COMPUTE_PGM_RSRC3_GFX90A:ACCUM_OFFSET: 0
; COMPUTE_PGM_RSRC3_GFX90A:TG_SPLIT: 0
	.section	.text._ZN7rocprim17ROCPRIM_400000_NS6detail17trampoline_kernelINS0_14default_configENS1_29reduce_by_key_config_selectorIddN6thrust23THRUST_200600_302600_NS4plusIdEEEEZZNS1_33reduce_by_key_impl_wrapped_configILNS1_25lookback_scan_determinismE0ES3_S9_NS6_6detail15normal_iteratorINS6_10device_ptrIdEEEESG_SG_SG_PmS8_22is_equal_div_10_reduceIdEEE10hipError_tPvRmT2_T3_mT4_T5_T6_T7_T8_P12ihipStream_tbENKUlT_T0_E_clISt17integral_constantIbLb1EES10_IbLb0EEEEDaSW_SX_EUlSW_E_NS1_11comp_targetILNS1_3genE0ELNS1_11target_archE4294967295ELNS1_3gpuE0ELNS1_3repE0EEENS1_30default_config_static_selectorELNS0_4arch9wavefront6targetE1EEEvT1_,"axG",@progbits,_ZN7rocprim17ROCPRIM_400000_NS6detail17trampoline_kernelINS0_14default_configENS1_29reduce_by_key_config_selectorIddN6thrust23THRUST_200600_302600_NS4plusIdEEEEZZNS1_33reduce_by_key_impl_wrapped_configILNS1_25lookback_scan_determinismE0ES3_S9_NS6_6detail15normal_iteratorINS6_10device_ptrIdEEEESG_SG_SG_PmS8_22is_equal_div_10_reduceIdEEE10hipError_tPvRmT2_T3_mT4_T5_T6_T7_T8_P12ihipStream_tbENKUlT_T0_E_clISt17integral_constantIbLb1EES10_IbLb0EEEEDaSW_SX_EUlSW_E_NS1_11comp_targetILNS1_3genE0ELNS1_11target_archE4294967295ELNS1_3gpuE0ELNS1_3repE0EEENS1_30default_config_static_selectorELNS0_4arch9wavefront6targetE1EEEvT1_,comdat
	.protected	_ZN7rocprim17ROCPRIM_400000_NS6detail17trampoline_kernelINS0_14default_configENS1_29reduce_by_key_config_selectorIddN6thrust23THRUST_200600_302600_NS4plusIdEEEEZZNS1_33reduce_by_key_impl_wrapped_configILNS1_25lookback_scan_determinismE0ES3_S9_NS6_6detail15normal_iteratorINS6_10device_ptrIdEEEESG_SG_SG_PmS8_22is_equal_div_10_reduceIdEEE10hipError_tPvRmT2_T3_mT4_T5_T6_T7_T8_P12ihipStream_tbENKUlT_T0_E_clISt17integral_constantIbLb1EES10_IbLb0EEEEDaSW_SX_EUlSW_E_NS1_11comp_targetILNS1_3genE0ELNS1_11target_archE4294967295ELNS1_3gpuE0ELNS1_3repE0EEENS1_30default_config_static_selectorELNS0_4arch9wavefront6targetE1EEEvT1_ ; -- Begin function _ZN7rocprim17ROCPRIM_400000_NS6detail17trampoline_kernelINS0_14default_configENS1_29reduce_by_key_config_selectorIddN6thrust23THRUST_200600_302600_NS4plusIdEEEEZZNS1_33reduce_by_key_impl_wrapped_configILNS1_25lookback_scan_determinismE0ES3_S9_NS6_6detail15normal_iteratorINS6_10device_ptrIdEEEESG_SG_SG_PmS8_22is_equal_div_10_reduceIdEEE10hipError_tPvRmT2_T3_mT4_T5_T6_T7_T8_P12ihipStream_tbENKUlT_T0_E_clISt17integral_constantIbLb1EES10_IbLb0EEEEDaSW_SX_EUlSW_E_NS1_11comp_targetILNS1_3genE0ELNS1_11target_archE4294967295ELNS1_3gpuE0ELNS1_3repE0EEENS1_30default_config_static_selectorELNS0_4arch9wavefront6targetE1EEEvT1_
	.globl	_ZN7rocprim17ROCPRIM_400000_NS6detail17trampoline_kernelINS0_14default_configENS1_29reduce_by_key_config_selectorIddN6thrust23THRUST_200600_302600_NS4plusIdEEEEZZNS1_33reduce_by_key_impl_wrapped_configILNS1_25lookback_scan_determinismE0ES3_S9_NS6_6detail15normal_iteratorINS6_10device_ptrIdEEEESG_SG_SG_PmS8_22is_equal_div_10_reduceIdEEE10hipError_tPvRmT2_T3_mT4_T5_T6_T7_T8_P12ihipStream_tbENKUlT_T0_E_clISt17integral_constantIbLb1EES10_IbLb0EEEEDaSW_SX_EUlSW_E_NS1_11comp_targetILNS1_3genE0ELNS1_11target_archE4294967295ELNS1_3gpuE0ELNS1_3repE0EEENS1_30default_config_static_selectorELNS0_4arch9wavefront6targetE1EEEvT1_
	.p2align	8
	.type	_ZN7rocprim17ROCPRIM_400000_NS6detail17trampoline_kernelINS0_14default_configENS1_29reduce_by_key_config_selectorIddN6thrust23THRUST_200600_302600_NS4plusIdEEEEZZNS1_33reduce_by_key_impl_wrapped_configILNS1_25lookback_scan_determinismE0ES3_S9_NS6_6detail15normal_iteratorINS6_10device_ptrIdEEEESG_SG_SG_PmS8_22is_equal_div_10_reduceIdEEE10hipError_tPvRmT2_T3_mT4_T5_T6_T7_T8_P12ihipStream_tbENKUlT_T0_E_clISt17integral_constantIbLb1EES10_IbLb0EEEEDaSW_SX_EUlSW_E_NS1_11comp_targetILNS1_3genE0ELNS1_11target_archE4294967295ELNS1_3gpuE0ELNS1_3repE0EEENS1_30default_config_static_selectorELNS0_4arch9wavefront6targetE1EEEvT1_,@function
_ZN7rocprim17ROCPRIM_400000_NS6detail17trampoline_kernelINS0_14default_configENS1_29reduce_by_key_config_selectorIddN6thrust23THRUST_200600_302600_NS4plusIdEEEEZZNS1_33reduce_by_key_impl_wrapped_configILNS1_25lookback_scan_determinismE0ES3_S9_NS6_6detail15normal_iteratorINS6_10device_ptrIdEEEESG_SG_SG_PmS8_22is_equal_div_10_reduceIdEEE10hipError_tPvRmT2_T3_mT4_T5_T6_T7_T8_P12ihipStream_tbENKUlT_T0_E_clISt17integral_constantIbLb1EES10_IbLb0EEEEDaSW_SX_EUlSW_E_NS1_11comp_targetILNS1_3genE0ELNS1_11target_archE4294967295ELNS1_3gpuE0ELNS1_3repE0EEENS1_30default_config_static_selectorELNS0_4arch9wavefront6targetE1EEEvT1_: ; @_ZN7rocprim17ROCPRIM_400000_NS6detail17trampoline_kernelINS0_14default_configENS1_29reduce_by_key_config_selectorIddN6thrust23THRUST_200600_302600_NS4plusIdEEEEZZNS1_33reduce_by_key_impl_wrapped_configILNS1_25lookback_scan_determinismE0ES3_S9_NS6_6detail15normal_iteratorINS6_10device_ptrIdEEEESG_SG_SG_PmS8_22is_equal_div_10_reduceIdEEE10hipError_tPvRmT2_T3_mT4_T5_T6_T7_T8_P12ihipStream_tbENKUlT_T0_E_clISt17integral_constantIbLb1EES10_IbLb0EEEEDaSW_SX_EUlSW_E_NS1_11comp_targetILNS1_3genE0ELNS1_11target_archE4294967295ELNS1_3gpuE0ELNS1_3repE0EEENS1_30default_config_static_selectorELNS0_4arch9wavefront6targetE1EEEvT1_
; %bb.0:
	.section	.rodata,"a",@progbits
	.p2align	6, 0x0
	.amdhsa_kernel _ZN7rocprim17ROCPRIM_400000_NS6detail17trampoline_kernelINS0_14default_configENS1_29reduce_by_key_config_selectorIddN6thrust23THRUST_200600_302600_NS4plusIdEEEEZZNS1_33reduce_by_key_impl_wrapped_configILNS1_25lookback_scan_determinismE0ES3_S9_NS6_6detail15normal_iteratorINS6_10device_ptrIdEEEESG_SG_SG_PmS8_22is_equal_div_10_reduceIdEEE10hipError_tPvRmT2_T3_mT4_T5_T6_T7_T8_P12ihipStream_tbENKUlT_T0_E_clISt17integral_constantIbLb1EES10_IbLb0EEEEDaSW_SX_EUlSW_E_NS1_11comp_targetILNS1_3genE0ELNS1_11target_archE4294967295ELNS1_3gpuE0ELNS1_3repE0EEENS1_30default_config_static_selectorELNS0_4arch9wavefront6targetE1EEEvT1_
		.amdhsa_group_segment_fixed_size 0
		.amdhsa_private_segment_fixed_size 0
		.amdhsa_kernarg_size 136
		.amdhsa_user_sgpr_count 6
		.amdhsa_user_sgpr_private_segment_buffer 1
		.amdhsa_user_sgpr_dispatch_ptr 0
		.amdhsa_user_sgpr_queue_ptr 0
		.amdhsa_user_sgpr_kernarg_segment_ptr 1
		.amdhsa_user_sgpr_dispatch_id 0
		.amdhsa_user_sgpr_flat_scratch_init 0
		.amdhsa_user_sgpr_kernarg_preload_length 0
		.amdhsa_user_sgpr_kernarg_preload_offset 0
		.amdhsa_user_sgpr_private_segment_size 0
		.amdhsa_uses_dynamic_stack 0
		.amdhsa_system_sgpr_private_segment_wavefront_offset 0
		.amdhsa_system_sgpr_workgroup_id_x 1
		.amdhsa_system_sgpr_workgroup_id_y 0
		.amdhsa_system_sgpr_workgroup_id_z 0
		.amdhsa_system_sgpr_workgroup_info 0
		.amdhsa_system_vgpr_workitem_id 0
		.amdhsa_next_free_vgpr 1
		.amdhsa_next_free_sgpr 0
		.amdhsa_accum_offset 4
		.amdhsa_reserve_vcc 0
		.amdhsa_reserve_flat_scratch 0
		.amdhsa_float_round_mode_32 0
		.amdhsa_float_round_mode_16_64 0
		.amdhsa_float_denorm_mode_32 3
		.amdhsa_float_denorm_mode_16_64 3
		.amdhsa_dx10_clamp 1
		.amdhsa_ieee_mode 1
		.amdhsa_fp16_overflow 0
		.amdhsa_tg_split 0
		.amdhsa_exception_fp_ieee_invalid_op 0
		.amdhsa_exception_fp_denorm_src 0
		.amdhsa_exception_fp_ieee_div_zero 0
		.amdhsa_exception_fp_ieee_overflow 0
		.amdhsa_exception_fp_ieee_underflow 0
		.amdhsa_exception_fp_ieee_inexact 0
		.amdhsa_exception_int_div_zero 0
	.end_amdhsa_kernel
	.section	.text._ZN7rocprim17ROCPRIM_400000_NS6detail17trampoline_kernelINS0_14default_configENS1_29reduce_by_key_config_selectorIddN6thrust23THRUST_200600_302600_NS4plusIdEEEEZZNS1_33reduce_by_key_impl_wrapped_configILNS1_25lookback_scan_determinismE0ES3_S9_NS6_6detail15normal_iteratorINS6_10device_ptrIdEEEESG_SG_SG_PmS8_22is_equal_div_10_reduceIdEEE10hipError_tPvRmT2_T3_mT4_T5_T6_T7_T8_P12ihipStream_tbENKUlT_T0_E_clISt17integral_constantIbLb1EES10_IbLb0EEEEDaSW_SX_EUlSW_E_NS1_11comp_targetILNS1_3genE0ELNS1_11target_archE4294967295ELNS1_3gpuE0ELNS1_3repE0EEENS1_30default_config_static_selectorELNS0_4arch9wavefront6targetE1EEEvT1_,"axG",@progbits,_ZN7rocprim17ROCPRIM_400000_NS6detail17trampoline_kernelINS0_14default_configENS1_29reduce_by_key_config_selectorIddN6thrust23THRUST_200600_302600_NS4plusIdEEEEZZNS1_33reduce_by_key_impl_wrapped_configILNS1_25lookback_scan_determinismE0ES3_S9_NS6_6detail15normal_iteratorINS6_10device_ptrIdEEEESG_SG_SG_PmS8_22is_equal_div_10_reduceIdEEE10hipError_tPvRmT2_T3_mT4_T5_T6_T7_T8_P12ihipStream_tbENKUlT_T0_E_clISt17integral_constantIbLb1EES10_IbLb0EEEEDaSW_SX_EUlSW_E_NS1_11comp_targetILNS1_3genE0ELNS1_11target_archE4294967295ELNS1_3gpuE0ELNS1_3repE0EEENS1_30default_config_static_selectorELNS0_4arch9wavefront6targetE1EEEvT1_,comdat
.Lfunc_end69:
	.size	_ZN7rocprim17ROCPRIM_400000_NS6detail17trampoline_kernelINS0_14default_configENS1_29reduce_by_key_config_selectorIddN6thrust23THRUST_200600_302600_NS4plusIdEEEEZZNS1_33reduce_by_key_impl_wrapped_configILNS1_25lookback_scan_determinismE0ES3_S9_NS6_6detail15normal_iteratorINS6_10device_ptrIdEEEESG_SG_SG_PmS8_22is_equal_div_10_reduceIdEEE10hipError_tPvRmT2_T3_mT4_T5_T6_T7_T8_P12ihipStream_tbENKUlT_T0_E_clISt17integral_constantIbLb1EES10_IbLb0EEEEDaSW_SX_EUlSW_E_NS1_11comp_targetILNS1_3genE0ELNS1_11target_archE4294967295ELNS1_3gpuE0ELNS1_3repE0EEENS1_30default_config_static_selectorELNS0_4arch9wavefront6targetE1EEEvT1_, .Lfunc_end69-_ZN7rocprim17ROCPRIM_400000_NS6detail17trampoline_kernelINS0_14default_configENS1_29reduce_by_key_config_selectorIddN6thrust23THRUST_200600_302600_NS4plusIdEEEEZZNS1_33reduce_by_key_impl_wrapped_configILNS1_25lookback_scan_determinismE0ES3_S9_NS6_6detail15normal_iteratorINS6_10device_ptrIdEEEESG_SG_SG_PmS8_22is_equal_div_10_reduceIdEEE10hipError_tPvRmT2_T3_mT4_T5_T6_T7_T8_P12ihipStream_tbENKUlT_T0_E_clISt17integral_constantIbLb1EES10_IbLb0EEEEDaSW_SX_EUlSW_E_NS1_11comp_targetILNS1_3genE0ELNS1_11target_archE4294967295ELNS1_3gpuE0ELNS1_3repE0EEENS1_30default_config_static_selectorELNS0_4arch9wavefront6targetE1EEEvT1_
                                        ; -- End function
	.section	.AMDGPU.csdata,"",@progbits
; Kernel info:
; codeLenInByte = 0
; NumSgprs: 4
; NumVgprs: 0
; NumAgprs: 0
; TotalNumVgprs: 0
; ScratchSize: 0
; MemoryBound: 0
; FloatMode: 240
; IeeeMode: 1
; LDSByteSize: 0 bytes/workgroup (compile time only)
; SGPRBlocks: 0
; VGPRBlocks: 0
; NumSGPRsForWavesPerEU: 4
; NumVGPRsForWavesPerEU: 1
; AccumOffset: 4
; Occupancy: 8
; WaveLimiterHint : 0
; COMPUTE_PGM_RSRC2:SCRATCH_EN: 0
; COMPUTE_PGM_RSRC2:USER_SGPR: 6
; COMPUTE_PGM_RSRC2:TRAP_HANDLER: 0
; COMPUTE_PGM_RSRC2:TGID_X_EN: 1
; COMPUTE_PGM_RSRC2:TGID_Y_EN: 0
; COMPUTE_PGM_RSRC2:TGID_Z_EN: 0
; COMPUTE_PGM_RSRC2:TIDIG_COMP_CNT: 0
; COMPUTE_PGM_RSRC3_GFX90A:ACCUM_OFFSET: 0
; COMPUTE_PGM_RSRC3_GFX90A:TG_SPLIT: 0
	.section	.text._ZN7rocprim17ROCPRIM_400000_NS6detail17trampoline_kernelINS0_14default_configENS1_29reduce_by_key_config_selectorIddN6thrust23THRUST_200600_302600_NS4plusIdEEEEZZNS1_33reduce_by_key_impl_wrapped_configILNS1_25lookback_scan_determinismE0ES3_S9_NS6_6detail15normal_iteratorINS6_10device_ptrIdEEEESG_SG_SG_PmS8_22is_equal_div_10_reduceIdEEE10hipError_tPvRmT2_T3_mT4_T5_T6_T7_T8_P12ihipStream_tbENKUlT_T0_E_clISt17integral_constantIbLb1EES10_IbLb0EEEEDaSW_SX_EUlSW_E_NS1_11comp_targetILNS1_3genE5ELNS1_11target_archE942ELNS1_3gpuE9ELNS1_3repE0EEENS1_30default_config_static_selectorELNS0_4arch9wavefront6targetE1EEEvT1_,"axG",@progbits,_ZN7rocprim17ROCPRIM_400000_NS6detail17trampoline_kernelINS0_14default_configENS1_29reduce_by_key_config_selectorIddN6thrust23THRUST_200600_302600_NS4plusIdEEEEZZNS1_33reduce_by_key_impl_wrapped_configILNS1_25lookback_scan_determinismE0ES3_S9_NS6_6detail15normal_iteratorINS6_10device_ptrIdEEEESG_SG_SG_PmS8_22is_equal_div_10_reduceIdEEE10hipError_tPvRmT2_T3_mT4_T5_T6_T7_T8_P12ihipStream_tbENKUlT_T0_E_clISt17integral_constantIbLb1EES10_IbLb0EEEEDaSW_SX_EUlSW_E_NS1_11comp_targetILNS1_3genE5ELNS1_11target_archE942ELNS1_3gpuE9ELNS1_3repE0EEENS1_30default_config_static_selectorELNS0_4arch9wavefront6targetE1EEEvT1_,comdat
	.protected	_ZN7rocprim17ROCPRIM_400000_NS6detail17trampoline_kernelINS0_14default_configENS1_29reduce_by_key_config_selectorIddN6thrust23THRUST_200600_302600_NS4plusIdEEEEZZNS1_33reduce_by_key_impl_wrapped_configILNS1_25lookback_scan_determinismE0ES3_S9_NS6_6detail15normal_iteratorINS6_10device_ptrIdEEEESG_SG_SG_PmS8_22is_equal_div_10_reduceIdEEE10hipError_tPvRmT2_T3_mT4_T5_T6_T7_T8_P12ihipStream_tbENKUlT_T0_E_clISt17integral_constantIbLb1EES10_IbLb0EEEEDaSW_SX_EUlSW_E_NS1_11comp_targetILNS1_3genE5ELNS1_11target_archE942ELNS1_3gpuE9ELNS1_3repE0EEENS1_30default_config_static_selectorELNS0_4arch9wavefront6targetE1EEEvT1_ ; -- Begin function _ZN7rocprim17ROCPRIM_400000_NS6detail17trampoline_kernelINS0_14default_configENS1_29reduce_by_key_config_selectorIddN6thrust23THRUST_200600_302600_NS4plusIdEEEEZZNS1_33reduce_by_key_impl_wrapped_configILNS1_25lookback_scan_determinismE0ES3_S9_NS6_6detail15normal_iteratorINS6_10device_ptrIdEEEESG_SG_SG_PmS8_22is_equal_div_10_reduceIdEEE10hipError_tPvRmT2_T3_mT4_T5_T6_T7_T8_P12ihipStream_tbENKUlT_T0_E_clISt17integral_constantIbLb1EES10_IbLb0EEEEDaSW_SX_EUlSW_E_NS1_11comp_targetILNS1_3genE5ELNS1_11target_archE942ELNS1_3gpuE9ELNS1_3repE0EEENS1_30default_config_static_selectorELNS0_4arch9wavefront6targetE1EEEvT1_
	.globl	_ZN7rocprim17ROCPRIM_400000_NS6detail17trampoline_kernelINS0_14default_configENS1_29reduce_by_key_config_selectorIddN6thrust23THRUST_200600_302600_NS4plusIdEEEEZZNS1_33reduce_by_key_impl_wrapped_configILNS1_25lookback_scan_determinismE0ES3_S9_NS6_6detail15normal_iteratorINS6_10device_ptrIdEEEESG_SG_SG_PmS8_22is_equal_div_10_reduceIdEEE10hipError_tPvRmT2_T3_mT4_T5_T6_T7_T8_P12ihipStream_tbENKUlT_T0_E_clISt17integral_constantIbLb1EES10_IbLb0EEEEDaSW_SX_EUlSW_E_NS1_11comp_targetILNS1_3genE5ELNS1_11target_archE942ELNS1_3gpuE9ELNS1_3repE0EEENS1_30default_config_static_selectorELNS0_4arch9wavefront6targetE1EEEvT1_
	.p2align	8
	.type	_ZN7rocprim17ROCPRIM_400000_NS6detail17trampoline_kernelINS0_14default_configENS1_29reduce_by_key_config_selectorIddN6thrust23THRUST_200600_302600_NS4plusIdEEEEZZNS1_33reduce_by_key_impl_wrapped_configILNS1_25lookback_scan_determinismE0ES3_S9_NS6_6detail15normal_iteratorINS6_10device_ptrIdEEEESG_SG_SG_PmS8_22is_equal_div_10_reduceIdEEE10hipError_tPvRmT2_T3_mT4_T5_T6_T7_T8_P12ihipStream_tbENKUlT_T0_E_clISt17integral_constantIbLb1EES10_IbLb0EEEEDaSW_SX_EUlSW_E_NS1_11comp_targetILNS1_3genE5ELNS1_11target_archE942ELNS1_3gpuE9ELNS1_3repE0EEENS1_30default_config_static_selectorELNS0_4arch9wavefront6targetE1EEEvT1_,@function
_ZN7rocprim17ROCPRIM_400000_NS6detail17trampoline_kernelINS0_14default_configENS1_29reduce_by_key_config_selectorIddN6thrust23THRUST_200600_302600_NS4plusIdEEEEZZNS1_33reduce_by_key_impl_wrapped_configILNS1_25lookback_scan_determinismE0ES3_S9_NS6_6detail15normal_iteratorINS6_10device_ptrIdEEEESG_SG_SG_PmS8_22is_equal_div_10_reduceIdEEE10hipError_tPvRmT2_T3_mT4_T5_T6_T7_T8_P12ihipStream_tbENKUlT_T0_E_clISt17integral_constantIbLb1EES10_IbLb0EEEEDaSW_SX_EUlSW_E_NS1_11comp_targetILNS1_3genE5ELNS1_11target_archE942ELNS1_3gpuE9ELNS1_3repE0EEENS1_30default_config_static_selectorELNS0_4arch9wavefront6targetE1EEEvT1_: ; @_ZN7rocprim17ROCPRIM_400000_NS6detail17trampoline_kernelINS0_14default_configENS1_29reduce_by_key_config_selectorIddN6thrust23THRUST_200600_302600_NS4plusIdEEEEZZNS1_33reduce_by_key_impl_wrapped_configILNS1_25lookback_scan_determinismE0ES3_S9_NS6_6detail15normal_iteratorINS6_10device_ptrIdEEEESG_SG_SG_PmS8_22is_equal_div_10_reduceIdEEE10hipError_tPvRmT2_T3_mT4_T5_T6_T7_T8_P12ihipStream_tbENKUlT_T0_E_clISt17integral_constantIbLb1EES10_IbLb0EEEEDaSW_SX_EUlSW_E_NS1_11comp_targetILNS1_3genE5ELNS1_11target_archE942ELNS1_3gpuE9ELNS1_3repE0EEENS1_30default_config_static_selectorELNS0_4arch9wavefront6targetE1EEEvT1_
; %bb.0:
	.section	.rodata,"a",@progbits
	.p2align	6, 0x0
	.amdhsa_kernel _ZN7rocprim17ROCPRIM_400000_NS6detail17trampoline_kernelINS0_14default_configENS1_29reduce_by_key_config_selectorIddN6thrust23THRUST_200600_302600_NS4plusIdEEEEZZNS1_33reduce_by_key_impl_wrapped_configILNS1_25lookback_scan_determinismE0ES3_S9_NS6_6detail15normal_iteratorINS6_10device_ptrIdEEEESG_SG_SG_PmS8_22is_equal_div_10_reduceIdEEE10hipError_tPvRmT2_T3_mT4_T5_T6_T7_T8_P12ihipStream_tbENKUlT_T0_E_clISt17integral_constantIbLb1EES10_IbLb0EEEEDaSW_SX_EUlSW_E_NS1_11comp_targetILNS1_3genE5ELNS1_11target_archE942ELNS1_3gpuE9ELNS1_3repE0EEENS1_30default_config_static_selectorELNS0_4arch9wavefront6targetE1EEEvT1_
		.amdhsa_group_segment_fixed_size 0
		.amdhsa_private_segment_fixed_size 0
		.amdhsa_kernarg_size 136
		.amdhsa_user_sgpr_count 6
		.amdhsa_user_sgpr_private_segment_buffer 1
		.amdhsa_user_sgpr_dispatch_ptr 0
		.amdhsa_user_sgpr_queue_ptr 0
		.amdhsa_user_sgpr_kernarg_segment_ptr 1
		.amdhsa_user_sgpr_dispatch_id 0
		.amdhsa_user_sgpr_flat_scratch_init 0
		.amdhsa_user_sgpr_kernarg_preload_length 0
		.amdhsa_user_sgpr_kernarg_preload_offset 0
		.amdhsa_user_sgpr_private_segment_size 0
		.amdhsa_uses_dynamic_stack 0
		.amdhsa_system_sgpr_private_segment_wavefront_offset 0
		.amdhsa_system_sgpr_workgroup_id_x 1
		.amdhsa_system_sgpr_workgroup_id_y 0
		.amdhsa_system_sgpr_workgroup_id_z 0
		.amdhsa_system_sgpr_workgroup_info 0
		.amdhsa_system_vgpr_workitem_id 0
		.amdhsa_next_free_vgpr 1
		.amdhsa_next_free_sgpr 0
		.amdhsa_accum_offset 4
		.amdhsa_reserve_vcc 0
		.amdhsa_reserve_flat_scratch 0
		.amdhsa_float_round_mode_32 0
		.amdhsa_float_round_mode_16_64 0
		.amdhsa_float_denorm_mode_32 3
		.amdhsa_float_denorm_mode_16_64 3
		.amdhsa_dx10_clamp 1
		.amdhsa_ieee_mode 1
		.amdhsa_fp16_overflow 0
		.amdhsa_tg_split 0
		.amdhsa_exception_fp_ieee_invalid_op 0
		.amdhsa_exception_fp_denorm_src 0
		.amdhsa_exception_fp_ieee_div_zero 0
		.amdhsa_exception_fp_ieee_overflow 0
		.amdhsa_exception_fp_ieee_underflow 0
		.amdhsa_exception_fp_ieee_inexact 0
		.amdhsa_exception_int_div_zero 0
	.end_amdhsa_kernel
	.section	.text._ZN7rocprim17ROCPRIM_400000_NS6detail17trampoline_kernelINS0_14default_configENS1_29reduce_by_key_config_selectorIddN6thrust23THRUST_200600_302600_NS4plusIdEEEEZZNS1_33reduce_by_key_impl_wrapped_configILNS1_25lookback_scan_determinismE0ES3_S9_NS6_6detail15normal_iteratorINS6_10device_ptrIdEEEESG_SG_SG_PmS8_22is_equal_div_10_reduceIdEEE10hipError_tPvRmT2_T3_mT4_T5_T6_T7_T8_P12ihipStream_tbENKUlT_T0_E_clISt17integral_constantIbLb1EES10_IbLb0EEEEDaSW_SX_EUlSW_E_NS1_11comp_targetILNS1_3genE5ELNS1_11target_archE942ELNS1_3gpuE9ELNS1_3repE0EEENS1_30default_config_static_selectorELNS0_4arch9wavefront6targetE1EEEvT1_,"axG",@progbits,_ZN7rocprim17ROCPRIM_400000_NS6detail17trampoline_kernelINS0_14default_configENS1_29reduce_by_key_config_selectorIddN6thrust23THRUST_200600_302600_NS4plusIdEEEEZZNS1_33reduce_by_key_impl_wrapped_configILNS1_25lookback_scan_determinismE0ES3_S9_NS6_6detail15normal_iteratorINS6_10device_ptrIdEEEESG_SG_SG_PmS8_22is_equal_div_10_reduceIdEEE10hipError_tPvRmT2_T3_mT4_T5_T6_T7_T8_P12ihipStream_tbENKUlT_T0_E_clISt17integral_constantIbLb1EES10_IbLb0EEEEDaSW_SX_EUlSW_E_NS1_11comp_targetILNS1_3genE5ELNS1_11target_archE942ELNS1_3gpuE9ELNS1_3repE0EEENS1_30default_config_static_selectorELNS0_4arch9wavefront6targetE1EEEvT1_,comdat
.Lfunc_end70:
	.size	_ZN7rocprim17ROCPRIM_400000_NS6detail17trampoline_kernelINS0_14default_configENS1_29reduce_by_key_config_selectorIddN6thrust23THRUST_200600_302600_NS4plusIdEEEEZZNS1_33reduce_by_key_impl_wrapped_configILNS1_25lookback_scan_determinismE0ES3_S9_NS6_6detail15normal_iteratorINS6_10device_ptrIdEEEESG_SG_SG_PmS8_22is_equal_div_10_reduceIdEEE10hipError_tPvRmT2_T3_mT4_T5_T6_T7_T8_P12ihipStream_tbENKUlT_T0_E_clISt17integral_constantIbLb1EES10_IbLb0EEEEDaSW_SX_EUlSW_E_NS1_11comp_targetILNS1_3genE5ELNS1_11target_archE942ELNS1_3gpuE9ELNS1_3repE0EEENS1_30default_config_static_selectorELNS0_4arch9wavefront6targetE1EEEvT1_, .Lfunc_end70-_ZN7rocprim17ROCPRIM_400000_NS6detail17trampoline_kernelINS0_14default_configENS1_29reduce_by_key_config_selectorIddN6thrust23THRUST_200600_302600_NS4plusIdEEEEZZNS1_33reduce_by_key_impl_wrapped_configILNS1_25lookback_scan_determinismE0ES3_S9_NS6_6detail15normal_iteratorINS6_10device_ptrIdEEEESG_SG_SG_PmS8_22is_equal_div_10_reduceIdEEE10hipError_tPvRmT2_T3_mT4_T5_T6_T7_T8_P12ihipStream_tbENKUlT_T0_E_clISt17integral_constantIbLb1EES10_IbLb0EEEEDaSW_SX_EUlSW_E_NS1_11comp_targetILNS1_3genE5ELNS1_11target_archE942ELNS1_3gpuE9ELNS1_3repE0EEENS1_30default_config_static_selectorELNS0_4arch9wavefront6targetE1EEEvT1_
                                        ; -- End function
	.section	.AMDGPU.csdata,"",@progbits
; Kernel info:
; codeLenInByte = 0
; NumSgprs: 4
; NumVgprs: 0
; NumAgprs: 0
; TotalNumVgprs: 0
; ScratchSize: 0
; MemoryBound: 0
; FloatMode: 240
; IeeeMode: 1
; LDSByteSize: 0 bytes/workgroup (compile time only)
; SGPRBlocks: 0
; VGPRBlocks: 0
; NumSGPRsForWavesPerEU: 4
; NumVGPRsForWavesPerEU: 1
; AccumOffset: 4
; Occupancy: 8
; WaveLimiterHint : 0
; COMPUTE_PGM_RSRC2:SCRATCH_EN: 0
; COMPUTE_PGM_RSRC2:USER_SGPR: 6
; COMPUTE_PGM_RSRC2:TRAP_HANDLER: 0
; COMPUTE_PGM_RSRC2:TGID_X_EN: 1
; COMPUTE_PGM_RSRC2:TGID_Y_EN: 0
; COMPUTE_PGM_RSRC2:TGID_Z_EN: 0
; COMPUTE_PGM_RSRC2:TIDIG_COMP_CNT: 0
; COMPUTE_PGM_RSRC3_GFX90A:ACCUM_OFFSET: 0
; COMPUTE_PGM_RSRC3_GFX90A:TG_SPLIT: 0
	.section	.text._ZN7rocprim17ROCPRIM_400000_NS6detail17trampoline_kernelINS0_14default_configENS1_29reduce_by_key_config_selectorIddN6thrust23THRUST_200600_302600_NS4plusIdEEEEZZNS1_33reduce_by_key_impl_wrapped_configILNS1_25lookback_scan_determinismE0ES3_S9_NS6_6detail15normal_iteratorINS6_10device_ptrIdEEEESG_SG_SG_PmS8_22is_equal_div_10_reduceIdEEE10hipError_tPvRmT2_T3_mT4_T5_T6_T7_T8_P12ihipStream_tbENKUlT_T0_E_clISt17integral_constantIbLb1EES10_IbLb0EEEEDaSW_SX_EUlSW_E_NS1_11comp_targetILNS1_3genE4ELNS1_11target_archE910ELNS1_3gpuE8ELNS1_3repE0EEENS1_30default_config_static_selectorELNS0_4arch9wavefront6targetE1EEEvT1_,"axG",@progbits,_ZN7rocprim17ROCPRIM_400000_NS6detail17trampoline_kernelINS0_14default_configENS1_29reduce_by_key_config_selectorIddN6thrust23THRUST_200600_302600_NS4plusIdEEEEZZNS1_33reduce_by_key_impl_wrapped_configILNS1_25lookback_scan_determinismE0ES3_S9_NS6_6detail15normal_iteratorINS6_10device_ptrIdEEEESG_SG_SG_PmS8_22is_equal_div_10_reduceIdEEE10hipError_tPvRmT2_T3_mT4_T5_T6_T7_T8_P12ihipStream_tbENKUlT_T0_E_clISt17integral_constantIbLb1EES10_IbLb0EEEEDaSW_SX_EUlSW_E_NS1_11comp_targetILNS1_3genE4ELNS1_11target_archE910ELNS1_3gpuE8ELNS1_3repE0EEENS1_30default_config_static_selectorELNS0_4arch9wavefront6targetE1EEEvT1_,comdat
	.protected	_ZN7rocprim17ROCPRIM_400000_NS6detail17trampoline_kernelINS0_14default_configENS1_29reduce_by_key_config_selectorIddN6thrust23THRUST_200600_302600_NS4plusIdEEEEZZNS1_33reduce_by_key_impl_wrapped_configILNS1_25lookback_scan_determinismE0ES3_S9_NS6_6detail15normal_iteratorINS6_10device_ptrIdEEEESG_SG_SG_PmS8_22is_equal_div_10_reduceIdEEE10hipError_tPvRmT2_T3_mT4_T5_T6_T7_T8_P12ihipStream_tbENKUlT_T0_E_clISt17integral_constantIbLb1EES10_IbLb0EEEEDaSW_SX_EUlSW_E_NS1_11comp_targetILNS1_3genE4ELNS1_11target_archE910ELNS1_3gpuE8ELNS1_3repE0EEENS1_30default_config_static_selectorELNS0_4arch9wavefront6targetE1EEEvT1_ ; -- Begin function _ZN7rocprim17ROCPRIM_400000_NS6detail17trampoline_kernelINS0_14default_configENS1_29reduce_by_key_config_selectorIddN6thrust23THRUST_200600_302600_NS4plusIdEEEEZZNS1_33reduce_by_key_impl_wrapped_configILNS1_25lookback_scan_determinismE0ES3_S9_NS6_6detail15normal_iteratorINS6_10device_ptrIdEEEESG_SG_SG_PmS8_22is_equal_div_10_reduceIdEEE10hipError_tPvRmT2_T3_mT4_T5_T6_T7_T8_P12ihipStream_tbENKUlT_T0_E_clISt17integral_constantIbLb1EES10_IbLb0EEEEDaSW_SX_EUlSW_E_NS1_11comp_targetILNS1_3genE4ELNS1_11target_archE910ELNS1_3gpuE8ELNS1_3repE0EEENS1_30default_config_static_selectorELNS0_4arch9wavefront6targetE1EEEvT1_
	.globl	_ZN7rocprim17ROCPRIM_400000_NS6detail17trampoline_kernelINS0_14default_configENS1_29reduce_by_key_config_selectorIddN6thrust23THRUST_200600_302600_NS4plusIdEEEEZZNS1_33reduce_by_key_impl_wrapped_configILNS1_25lookback_scan_determinismE0ES3_S9_NS6_6detail15normal_iteratorINS6_10device_ptrIdEEEESG_SG_SG_PmS8_22is_equal_div_10_reduceIdEEE10hipError_tPvRmT2_T3_mT4_T5_T6_T7_T8_P12ihipStream_tbENKUlT_T0_E_clISt17integral_constantIbLb1EES10_IbLb0EEEEDaSW_SX_EUlSW_E_NS1_11comp_targetILNS1_3genE4ELNS1_11target_archE910ELNS1_3gpuE8ELNS1_3repE0EEENS1_30default_config_static_selectorELNS0_4arch9wavefront6targetE1EEEvT1_
	.p2align	8
	.type	_ZN7rocprim17ROCPRIM_400000_NS6detail17trampoline_kernelINS0_14default_configENS1_29reduce_by_key_config_selectorIddN6thrust23THRUST_200600_302600_NS4plusIdEEEEZZNS1_33reduce_by_key_impl_wrapped_configILNS1_25lookback_scan_determinismE0ES3_S9_NS6_6detail15normal_iteratorINS6_10device_ptrIdEEEESG_SG_SG_PmS8_22is_equal_div_10_reduceIdEEE10hipError_tPvRmT2_T3_mT4_T5_T6_T7_T8_P12ihipStream_tbENKUlT_T0_E_clISt17integral_constantIbLb1EES10_IbLb0EEEEDaSW_SX_EUlSW_E_NS1_11comp_targetILNS1_3genE4ELNS1_11target_archE910ELNS1_3gpuE8ELNS1_3repE0EEENS1_30default_config_static_selectorELNS0_4arch9wavefront6targetE1EEEvT1_,@function
_ZN7rocprim17ROCPRIM_400000_NS6detail17trampoline_kernelINS0_14default_configENS1_29reduce_by_key_config_selectorIddN6thrust23THRUST_200600_302600_NS4plusIdEEEEZZNS1_33reduce_by_key_impl_wrapped_configILNS1_25lookback_scan_determinismE0ES3_S9_NS6_6detail15normal_iteratorINS6_10device_ptrIdEEEESG_SG_SG_PmS8_22is_equal_div_10_reduceIdEEE10hipError_tPvRmT2_T3_mT4_T5_T6_T7_T8_P12ihipStream_tbENKUlT_T0_E_clISt17integral_constantIbLb1EES10_IbLb0EEEEDaSW_SX_EUlSW_E_NS1_11comp_targetILNS1_3genE4ELNS1_11target_archE910ELNS1_3gpuE8ELNS1_3repE0EEENS1_30default_config_static_selectorELNS0_4arch9wavefront6targetE1EEEvT1_: ; @_ZN7rocprim17ROCPRIM_400000_NS6detail17trampoline_kernelINS0_14default_configENS1_29reduce_by_key_config_selectorIddN6thrust23THRUST_200600_302600_NS4plusIdEEEEZZNS1_33reduce_by_key_impl_wrapped_configILNS1_25lookback_scan_determinismE0ES3_S9_NS6_6detail15normal_iteratorINS6_10device_ptrIdEEEESG_SG_SG_PmS8_22is_equal_div_10_reduceIdEEE10hipError_tPvRmT2_T3_mT4_T5_T6_T7_T8_P12ihipStream_tbENKUlT_T0_E_clISt17integral_constantIbLb1EES10_IbLb0EEEEDaSW_SX_EUlSW_E_NS1_11comp_targetILNS1_3genE4ELNS1_11target_archE910ELNS1_3gpuE8ELNS1_3repE0EEENS1_30default_config_static_selectorELNS0_4arch9wavefront6targetE1EEEvT1_
; %bb.0:
	s_load_dwordx8 s[52:59], s[4:5], 0x0
	s_load_dwordx4 s[60:63], s[4:5], 0x20
	s_load_dwordx16 s[36:51], s[4:5], 0x38
	s_waitcnt lgkmcnt(0)
	s_lshl_b64 s[0:1], s[54:55], 3
	s_add_u32 s2, s52, s0
	s_addc_u32 s3, s53, s1
	s_add_u32 s8, s56, s0
	s_addc_u32 s9, s57, s1
	s_mul_i32 s0, s44, s43
	s_mul_hi_u32 s1, s44, s42
	s_add_i32 s0, s1, s0
	s_mul_i32 s1, s45, s42
	s_add_i32 s10, s0, s1
	s_mul_i32 s0, s6, 0xf00
	s_mov_b32 s1, 0
	s_lshl_b64 s[0:1], s[0:1], 3
	s_add_u32 s7, s2, s0
	s_addc_u32 s56, s3, s1
	s_add_u32 s57, s8, s0
	s_mul_i32 s11, s44, s42
	s_addc_u32 s64, s9, s1
	s_add_u32 s52, s11, s6
	s_addc_u32 s53, s10, 0
	s_add_u32 s2, s46, -1
	s_addc_u32 s3, s47, -1
	s_cmp_eq_u64 s[52:53], s[2:3]
	s_cselect_b64 s[34:35], -1, 0
	s_cmp_lg_u64 s[52:53], s[2:3]
	s_mov_b64 s[0:1], -1
	s_cselect_b64 s[54:55], -1, 0
	s_mul_i32 s33, s2, 0xfffff100
	s_and_b64 vcc, exec, s[34:35]
	s_cbranch_vccnz .LBB71_2
; %bb.1:
	v_lshlrev_b32_e32 v63, 3, v0
	v_mov_b32_e32 v1, s56
	v_add_co_u32_e32 v2, vcc, s7, v63
	v_addc_co_u32_e32 v3, vcc, 0, v1, vcc
	v_add_co_u32_e32 v4, vcc, 0x1000, v2
	v_addc_co_u32_e32 v5, vcc, 0, v3, vcc
	flat_load_dwordx2 v[6:7], v[2:3]
	flat_load_dwordx2 v[8:9], v[2:3] offset:2048
	flat_load_dwordx2 v[10:11], v[4:5]
	flat_load_dwordx2 v[12:13], v[4:5] offset:2048
	v_add_co_u32_e32 v4, vcc, 0x2000, v2
	v_addc_co_u32_e32 v5, vcc, 0, v3, vcc
	v_add_co_u32_e32 v14, vcc, 0x3000, v2
	v_addc_co_u32_e32 v15, vcc, 0, v3, vcc
	flat_load_dwordx2 v[16:17], v[4:5]
	flat_load_dwordx2 v[18:19], v[4:5] offset:2048
	flat_load_dwordx2 v[20:21], v[14:15]
	flat_load_dwordx2 v[22:23], v[14:15] offset:2048
	;; [unrolled: 8-line block ×3, first 2 shown]
	v_add_co_u32_e32 v4, vcc, 0x6000, v2
	v_addc_co_u32_e32 v5, vcc, 0, v3, vcc
	v_add_co_u32_e32 v2, vcc, 0x7000, v2
	v_addc_co_u32_e32 v3, vcc, 0, v3, vcc
	flat_load_dwordx2 v[14:15], v[4:5]
	flat_load_dwordx2 v[32:33], v[4:5] offset:2048
	flat_load_dwordx2 v[34:35], v[2:3]
	v_mov_b32_e32 v36, s64
	s_movk_i32 s0, 0x1000
	s_movk_i32 s11, 0x70
	;; [unrolled: 1-line block ×3, first 2 shown]
	v_mad_u32_u24 v1, v0, s11, v63
	s_movk_i32 s2, 0x3000
	s_movk_i32 s3, 0x4000
	;; [unrolled: 1-line block ×5, first 2 shown]
	v_mul_u32_u24_e32 v62, 15, v0
	s_waitcnt vmcnt(0) lgkmcnt(0)
	ds_write2st64_b64 v63, v[6:7], v[8:9] offset1:4
	ds_write2st64_b64 v63, v[10:11], v[12:13] offset0:8 offset1:12
	ds_write2st64_b64 v63, v[16:17], v[18:19] offset0:16 offset1:20
	;; [unrolled: 1-line block ×6, first 2 shown]
	ds_write_b64 v63, v[34:35] offset:28672
	v_add_co_u32_e32 v30, vcc, s57, v63
	v_addc_co_u32_e32 v31, vcc, 0, v36, vcc
	v_add_co_u32_e32 v32, vcc, s0, v30
	v_addc_co_u32_e32 v33, vcc, 0, v31, vcc
	s_waitcnt lgkmcnt(0)
	s_barrier
	ds_read2_b64 v[26:29], v1 offset1:1
	ds_read2_b64 v[22:25], v1 offset0:2 offset1:3
	ds_read2_b64 v[18:21], v1 offset0:4 offset1:5
	ds_read2_b64 v[14:17], v1 offset0:6 offset1:7
	ds_read2_b64 v[10:13], v1 offset0:8 offset1:9
	ds_read2_b64 v[6:9], v1 offset0:10 offset1:11
	ds_read2_b64 v[2:5], v1 offset0:12 offset1:13
	ds_read_b64 v[58:59], v1 offset:112
	s_waitcnt lgkmcnt(0)
	s_barrier
	flat_load_dwordx2 v[34:35], v[30:31]
	flat_load_dwordx2 v[36:37], v[30:31] offset:2048
	flat_load_dwordx2 v[38:39], v[32:33]
	flat_load_dwordx2 v[40:41], v[32:33] offset:2048
	v_add_co_u32_e32 v32, vcc, s1, v30
	v_addc_co_u32_e32 v33, vcc, 0, v31, vcc
	v_add_co_u32_e32 v42, vcc, s2, v30
	v_addc_co_u32_e32 v43, vcc, 0, v31, vcc
	flat_load_dwordx2 v[44:45], v[32:33]
	flat_load_dwordx2 v[46:47], v[32:33] offset:2048
	flat_load_dwordx2 v[48:49], v[42:43]
	flat_load_dwordx2 v[50:51], v[42:43] offset:2048
	v_add_co_u32_e32 v32, vcc, s3, v30
	v_addc_co_u32_e32 v33, vcc, 0, v31, vcc
	v_add_co_u32_e32 v42, vcc, s8, v30
	v_addc_co_u32_e32 v43, vcc, 0, v31, vcc
	;; [unrolled: 8-line block ×3, first 2 shown]
	flat_load_dwordx2 v[42:43], v[32:33]
	flat_load_dwordx2 v[64:65], v[32:33] offset:2048
	flat_load_dwordx2 v[66:67], v[30:31]
	s_waitcnt vmcnt(0) lgkmcnt(0)
	ds_write2st64_b64 v63, v[34:35], v[36:37] offset1:4
	ds_write2st64_b64 v63, v[38:39], v[40:41] offset0:8 offset1:12
	ds_write2st64_b64 v63, v[44:45], v[46:47] offset0:16 offset1:20
	;; [unrolled: 1-line block ×6, first 2 shown]
	ds_write_b64 v63, v[66:67] offset:28672
	s_waitcnt lgkmcnt(0)
	s_barrier
	s_load_dwordx2 s[46:47], s[4:5], 0x78
	s_add_i32 s33, s33, s48
	s_cbranch_execz .LBB71_3
	s_branch .LBB71_50
.LBB71_2:
                                        ; implicit-def: $vgpr2_vgpr3_vgpr4_vgpr5
                                        ; implicit-def: $vgpr6_vgpr7_vgpr8_vgpr9
                                        ; implicit-def: $vgpr10_vgpr11_vgpr12_vgpr13
                                        ; implicit-def: $vgpr14_vgpr15_vgpr16_vgpr17
                                        ; implicit-def: $vgpr18_vgpr19_vgpr20_vgpr21
                                        ; implicit-def: $vgpr22_vgpr23_vgpr24_vgpr25
                                        ; implicit-def: $vgpr26_vgpr27_vgpr28_vgpr29
                                        ; implicit-def: $vgpr62
                                        ; implicit-def: $vgpr1
                                        ; implicit-def: $vgpr58_vgpr59
	s_load_dwordx2 s[46:47], s[4:5], 0x78
	s_andn2_b64 vcc, exec, s[0:1]
	s_add_i32 s33, s33, s48
	s_cbranch_vccnz .LBB71_50
.LBB71_3:
	v_cmp_gt_u32_e32 vcc, s33, v0
                                        ; implicit-def: $vgpr2_vgpr3
	s_and_saveexec_b64 s[2:3], vcc
	s_cbranch_execz .LBB71_5
; %bb.4:
	v_lshlrev_b32_e32 v1, 3, v0
	v_mov_b32_e32 v3, s56
	v_add_co_u32_e64 v2, s[0:1], s7, v1
	v_addc_co_u32_e64 v3, s[0:1], 0, v3, s[0:1]
	flat_load_dwordx2 v[2:3], v[2:3]
.LBB71_5:
	s_or_b64 exec, exec, s[2:3]
	v_or_b32_e32 v1, 0x100, v0
	v_cmp_gt_u32_e64 s[0:1], s33, v1
                                        ; implicit-def: $vgpr4_vgpr5
	s_and_saveexec_b64 s[4:5], s[0:1]
	s_cbranch_execz .LBB71_7
; %bb.6:
	v_lshlrev_b32_e32 v1, 3, v0
	v_mov_b32_e32 v5, s56
	v_add_co_u32_e64 v4, s[2:3], s7, v1
	v_addc_co_u32_e64 v5, s[2:3], 0, v5, s[2:3]
	flat_load_dwordx2 v[4:5], v[4:5] offset:2048
.LBB71_7:
	s_or_b64 exec, exec, s[4:5]
	v_or_b32_e32 v36, 0x200, v0
	v_cmp_gt_u32_e64 s[2:3], s33, v36
                                        ; implicit-def: $vgpr6_vgpr7
	s_and_saveexec_b64 s[8:9], s[2:3]
	s_cbranch_execz .LBB71_9
; %bb.8:
	v_lshlrev_b32_e32 v1, 3, v36
	v_mov_b32_e32 v7, s56
	v_add_co_u32_e64 v6, s[4:5], s7, v1
	v_addc_co_u32_e64 v7, s[4:5], 0, v7, s[4:5]
	flat_load_dwordx2 v[6:7], v[6:7]
.LBB71_9:
	s_or_b64 exec, exec, s[8:9]
	v_or_b32_e32 v38, 0x300, v0
	v_cmp_gt_u32_e64 s[4:5], s33, v38
                                        ; implicit-def: $vgpr8_vgpr9
	s_and_saveexec_b64 s[10:11], s[4:5]
	s_cbranch_execz .LBB71_11
; %bb.10:
	v_lshlrev_b32_e32 v1, 3, v38
	v_mov_b32_e32 v9, s56
	v_add_co_u32_e64 v8, s[8:9], s7, v1
	v_addc_co_u32_e64 v9, s[8:9], 0, v9, s[8:9]
	flat_load_dwordx2 v[8:9], v[8:9]
.LBB71_11:
	s_or_b64 exec, exec, s[10:11]
	v_or_b32_e32 v40, 0x400, v0
	v_cmp_gt_u32_e64 s[28:29], s33, v40
                                        ; implicit-def: $vgpr10_vgpr11
	s_and_saveexec_b64 s[10:11], s[28:29]
	s_cbranch_execz .LBB71_13
; %bb.12:
	v_lshlrev_b32_e32 v1, 3, v40
	v_mov_b32_e32 v11, s56
	v_add_co_u32_e64 v10, s[8:9], s7, v1
	v_addc_co_u32_e64 v11, s[8:9], 0, v11, s[8:9]
	flat_load_dwordx2 v[10:11], v[10:11]
.LBB71_13:
	s_or_b64 exec, exec, s[10:11]
	v_or_b32_e32 v42, 0x500, v0
	v_cmp_gt_u32_e64 s[8:9], s33, v42
                                        ; implicit-def: $vgpr12_vgpr13
	s_and_saveexec_b64 s[12:13], s[8:9]
	s_cbranch_execz .LBB71_15
; %bb.14:
	v_lshlrev_b32_e32 v1, 3, v42
	v_mov_b32_e32 v13, s56
	v_add_co_u32_e64 v12, s[10:11], s7, v1
	v_addc_co_u32_e64 v13, s[10:11], 0, v13, s[10:11]
	flat_load_dwordx2 v[12:13], v[12:13]
.LBB71_15:
	s_or_b64 exec, exec, s[12:13]
	v_or_b32_e32 v44, 0x600, v0
	v_cmp_gt_u32_e64 s[10:11], s33, v44
                                        ; implicit-def: $vgpr14_vgpr15
	s_and_saveexec_b64 s[14:15], s[10:11]
	s_cbranch_execz .LBB71_17
; %bb.16:
	v_lshlrev_b32_e32 v1, 3, v44
	v_mov_b32_e32 v15, s56
	v_add_co_u32_e64 v14, s[12:13], s7, v1
	v_addc_co_u32_e64 v15, s[12:13], 0, v15, s[12:13]
	flat_load_dwordx2 v[14:15], v[14:15]
.LBB71_17:
	s_or_b64 exec, exec, s[14:15]
	v_or_b32_e32 v46, 0x700, v0
	v_cmp_gt_u32_e64 s[12:13], s33, v46
                                        ; implicit-def: $vgpr16_vgpr17
	s_and_saveexec_b64 s[16:17], s[12:13]
	s_cbranch_execz .LBB71_19
; %bb.18:
	v_lshlrev_b32_e32 v1, 3, v46
	v_mov_b32_e32 v17, s56
	v_add_co_u32_e64 v16, s[14:15], s7, v1
	v_addc_co_u32_e64 v17, s[14:15], 0, v17, s[14:15]
	flat_load_dwordx2 v[16:17], v[16:17]
.LBB71_19:
	s_or_b64 exec, exec, s[16:17]
	v_or_b32_e32 v48, 0x800, v0
	v_cmp_gt_u32_e64 s[14:15], s33, v48
                                        ; implicit-def: $vgpr18_vgpr19
	s_and_saveexec_b64 s[18:19], s[14:15]
	s_cbranch_execz .LBB71_21
; %bb.20:
	v_lshlrev_b32_e32 v1, 3, v48
	v_mov_b32_e32 v19, s56
	v_add_co_u32_e64 v18, s[16:17], s7, v1
	v_addc_co_u32_e64 v19, s[16:17], 0, v19, s[16:17]
	flat_load_dwordx2 v[18:19], v[18:19]
.LBB71_21:
	s_or_b64 exec, exec, s[18:19]
	v_or_b32_e32 v50, 0x900, v0
	v_cmp_gt_u32_e64 s[16:17], s33, v50
                                        ; implicit-def: $vgpr20_vgpr21
	s_and_saveexec_b64 s[20:21], s[16:17]
	s_cbranch_execz .LBB71_23
; %bb.22:
	v_lshlrev_b32_e32 v1, 3, v50
	v_mov_b32_e32 v21, s56
	v_add_co_u32_e64 v20, s[18:19], s7, v1
	v_addc_co_u32_e64 v21, s[18:19], 0, v21, s[18:19]
	flat_load_dwordx2 v[20:21], v[20:21]
.LBB71_23:
	s_or_b64 exec, exec, s[20:21]
	v_or_b32_e32 v52, 0xa00, v0
	v_cmp_gt_u32_e64 s[18:19], s33, v52
                                        ; implicit-def: $vgpr22_vgpr23
	s_and_saveexec_b64 s[22:23], s[18:19]
	s_cbranch_execz .LBB71_25
; %bb.24:
	v_lshlrev_b32_e32 v1, 3, v52
	v_mov_b32_e32 v23, s56
	v_add_co_u32_e64 v22, s[20:21], s7, v1
	v_addc_co_u32_e64 v23, s[20:21], 0, v23, s[20:21]
	flat_load_dwordx2 v[22:23], v[22:23]
.LBB71_25:
	s_or_b64 exec, exec, s[22:23]
	v_or_b32_e32 v54, 0xb00, v0
	v_cmp_gt_u32_e64 s[20:21], s33, v54
                                        ; implicit-def: $vgpr24_vgpr25
	s_and_saveexec_b64 s[24:25], s[20:21]
	s_cbranch_execz .LBB71_27
; %bb.26:
	v_lshlrev_b32_e32 v1, 3, v54
	v_mov_b32_e32 v25, s56
	v_add_co_u32_e64 v24, s[22:23], s7, v1
	v_addc_co_u32_e64 v25, s[22:23], 0, v25, s[22:23]
	flat_load_dwordx2 v[24:25], v[24:25]
.LBB71_27:
	s_or_b64 exec, exec, s[24:25]
	v_or_b32_e32 v56, 0xc00, v0
	v_cmp_gt_u32_e64 s[22:23], s33, v56
                                        ; implicit-def: $vgpr26_vgpr27
	s_and_saveexec_b64 s[26:27], s[22:23]
	s_cbranch_execz .LBB71_29
; %bb.28:
	v_lshlrev_b32_e32 v1, 3, v56
	v_mov_b32_e32 v27, s56
	v_add_co_u32_e64 v26, s[24:25], s7, v1
	v_addc_co_u32_e64 v27, s[24:25], 0, v27, s[24:25]
	flat_load_dwordx2 v[26:27], v[26:27]
.LBB71_29:
	s_or_b64 exec, exec, s[26:27]
	v_or_b32_e32 v60, 0xd00, v0
	v_cmp_gt_u32_e64 s[24:25], s33, v60
                                        ; implicit-def: $vgpr28_vgpr29
	s_and_saveexec_b64 s[30:31], s[24:25]
	s_cbranch_execz .LBB71_31
; %bb.30:
	v_lshlrev_b32_e32 v1, 3, v60
	v_mov_b32_e32 v29, s56
	v_add_co_u32_e64 v28, s[26:27], s7, v1
	v_addc_co_u32_e64 v29, s[26:27], 0, v29, s[26:27]
	flat_load_dwordx2 v[28:29], v[28:29]
.LBB71_31:
	s_or_b64 exec, exec, s[30:31]
	v_or_b32_e32 v62, 0xe00, v0
	v_cmp_gt_u32_e64 s[26:27], s33, v62
                                        ; implicit-def: $vgpr30_vgpr31
	s_and_saveexec_b64 s[44:45], s[26:27]
	s_cbranch_execz .LBB71_33
; %bb.32:
	v_lshlrev_b32_e32 v1, 3, v62
	v_mov_b32_e32 v31, s56
	v_add_co_u32_e64 v30, s[30:31], s7, v1
	v_addc_co_u32_e64 v31, s[30:31], 0, v31, s[30:31]
	flat_load_dwordx2 v[30:31], v[30:31]
.LBB71_33:
	s_or_b64 exec, exec, s[44:45]
	v_lshlrev_b32_e32 v63, 3, v0
	s_movk_i32 s30, 0x70
	v_mad_u32_u24 v1, v0, s30, v63
	s_waitcnt vmcnt(0) lgkmcnt(0)
	ds_write2st64_b64 v63, v[2:3], v[4:5] offset1:4
	ds_write2st64_b64 v63, v[6:7], v[8:9] offset0:8 offset1:12
	ds_write2st64_b64 v63, v[10:11], v[12:13] offset0:16 offset1:20
	;; [unrolled: 1-line block ×6, first 2 shown]
	ds_write_b64 v63, v[30:31] offset:28672
	s_waitcnt lgkmcnt(0)
	s_barrier
	ds_read2_b64 v[26:29], v1 offset1:1
	ds_read2_b64 v[22:25], v1 offset0:2 offset1:3
	ds_read2_b64 v[18:21], v1 offset0:4 offset1:5
	;; [unrolled: 1-line block ×6, first 2 shown]
	ds_read_b64 v[58:59], v1 offset:112
	s_waitcnt lgkmcnt(0)
	s_barrier
	s_waitcnt lgkmcnt(0)
                                        ; implicit-def: $vgpr30_vgpr31
	s_and_saveexec_b64 s[30:31], vcc
	s_cbranch_execnz .LBB71_57
; %bb.34:
	s_or_b64 exec, exec, s[30:31]
                                        ; implicit-def: $vgpr32_vgpr33
	s_and_saveexec_b64 s[30:31], s[0:1]
	s_cbranch_execnz .LBB71_58
.LBB71_35:
	s_or_b64 exec, exec, s[30:31]
                                        ; implicit-def: $vgpr34_vgpr35
	s_and_saveexec_b64 s[0:1], s[2:3]
	s_cbranch_execnz .LBB71_59
.LBB71_36:
	s_or_b64 exec, exec, s[0:1]
                                        ; implicit-def: $vgpr36_vgpr37
	s_and_saveexec_b64 s[0:1], s[4:5]
	s_cbranch_execnz .LBB71_60
.LBB71_37:
	s_or_b64 exec, exec, s[0:1]
                                        ; implicit-def: $vgpr38_vgpr39
	s_and_saveexec_b64 s[0:1], s[28:29]
	s_cbranch_execnz .LBB71_61
.LBB71_38:
	s_or_b64 exec, exec, s[0:1]
                                        ; implicit-def: $vgpr40_vgpr41
	s_and_saveexec_b64 s[0:1], s[8:9]
	s_cbranch_execnz .LBB71_62
.LBB71_39:
	s_or_b64 exec, exec, s[0:1]
                                        ; implicit-def: $vgpr42_vgpr43
	s_and_saveexec_b64 s[0:1], s[10:11]
	s_cbranch_execnz .LBB71_63
.LBB71_40:
	s_or_b64 exec, exec, s[0:1]
                                        ; implicit-def: $vgpr44_vgpr45
	s_and_saveexec_b64 s[0:1], s[12:13]
	s_cbranch_execnz .LBB71_64
.LBB71_41:
	s_or_b64 exec, exec, s[0:1]
                                        ; implicit-def: $vgpr46_vgpr47
	s_and_saveexec_b64 s[0:1], s[14:15]
	s_cbranch_execnz .LBB71_65
.LBB71_42:
	s_or_b64 exec, exec, s[0:1]
                                        ; implicit-def: $vgpr48_vgpr49
	s_and_saveexec_b64 s[0:1], s[16:17]
	s_cbranch_execnz .LBB71_66
.LBB71_43:
	s_or_b64 exec, exec, s[0:1]
                                        ; implicit-def: $vgpr50_vgpr51
	s_and_saveexec_b64 s[0:1], s[18:19]
	s_cbranch_execnz .LBB71_67
.LBB71_44:
	s_or_b64 exec, exec, s[0:1]
                                        ; implicit-def: $vgpr52_vgpr53
	s_and_saveexec_b64 s[0:1], s[20:21]
	s_cbranch_execnz .LBB71_68
.LBB71_45:
	s_or_b64 exec, exec, s[0:1]
                                        ; implicit-def: $vgpr54_vgpr55
	s_and_saveexec_b64 s[0:1], s[22:23]
	s_cbranch_execnz .LBB71_69
.LBB71_46:
	s_or_b64 exec, exec, s[0:1]
                                        ; implicit-def: $vgpr56_vgpr57
	s_and_saveexec_b64 s[0:1], s[24:25]
	s_cbranch_execnz .LBB71_70
.LBB71_47:
	s_or_b64 exec, exec, s[0:1]
                                        ; implicit-def: $vgpr60_vgpr61
	s_and_saveexec_b64 s[0:1], s[26:27]
	s_cbranch_execz .LBB71_49
.LBB71_48:
	v_lshlrev_b32_e32 v60, 3, v62
	v_mov_b32_e32 v61, s64
	v_add_co_u32_e32 v60, vcc, s57, v60
	v_addc_co_u32_e32 v61, vcc, 0, v61, vcc
	flat_load_dwordx2 v[60:61], v[60:61]
.LBB71_49:
	s_or_b64 exec, exec, s[0:1]
	v_mul_u32_u24_e32 v62, 15, v0
	s_waitcnt vmcnt(0) lgkmcnt(0)
	ds_write2st64_b64 v63, v[30:31], v[32:33] offset1:4
	ds_write2st64_b64 v63, v[34:35], v[36:37] offset0:8 offset1:12
	ds_write2st64_b64 v63, v[38:39], v[40:41] offset0:16 offset1:20
	;; [unrolled: 1-line block ×6, first 2 shown]
	ds_write_b64 v63, v[60:61] offset:28672
	s_waitcnt lgkmcnt(0)
	s_barrier
.LBB71_50:
	v_lshlrev_b32_e32 v60, 3, v62
	s_waitcnt lgkmcnt(0)
	ds_read2_b64 v[50:53], v1 offset1:2
	ds_read2_b64 v[42:45], v1 offset0:4 offset1:6
	ds_read2_b64 v[54:57], v60 offset0:1 offset1:3
	;; [unrolled: 1-line block ×6, first 2 shown]
	ds_read_b64 v[72:73], v60 offset:104
	s_cmp_eq_u64 s[52:53], 0
	s_cselect_b64 s[44:45], -1, 0
	s_cmp_lg_u64 s[52:53], 0
	s_mov_b64 s[0:1], 0
	s_cselect_b64 s[30:31], -1, 0
	s_and_b64 vcc, exec, s[54:55]
	s_waitcnt lgkmcnt(0)
	s_barrier
	s_cbranch_vccz .LBB71_56
; %bb.51:
	s_and_b64 vcc, exec, s[30:31]
	s_cbranch_vccz .LBB71_71
; %bb.52:
	v_mov_b32_e32 v1, s56
	v_add_co_u32_e64 v60, vcc, -8, s7
	v_addc_co_u32_e32 v61, vcc, -1, v1, vcc
	flat_load_dwordx2 v[76:77], v[60:61]
	v_cvt_i32_f64_e32 v60, v[4:5]
	s_mov_b32 s57, 0x66666667
	v_mul_hi_i32 v60, v60, s57
	v_lshrrev_b32_e32 v61, 31, v60
	v_ashrrev_i32_e32 v60, 2, v60
	v_add_u32_e32 v60, v60, v61
	v_cvt_i32_f64_e32 v61, v[58:59]
	v_mul_hi_i32 v61, v61, s57
	v_lshrrev_b32_e32 v62, 31, v61
	v_ashrrev_i32_e32 v61, 2, v61
	v_add_u32_e32 v61, v61, v62
	v_cmp_ne_u32_e32 vcc, v60, v61
	v_cvt_i32_f64_e32 v61, v[2:3]
	v_mul_hi_i32 v61, v61, s57
	v_lshrrev_b32_e32 v62, 31, v61
	v_ashrrev_i32_e32 v61, 2, v61
	v_add_u32_e32 v61, v61, v62
	v_cmp_ne_u32_e64 s[0:1], v61, v60
	v_cvt_i32_f64_e32 v60, v[8:9]
	v_mul_hi_i32 v60, v60, s57
	v_lshrrev_b32_e32 v62, 31, v60
	v_ashrrev_i32_e32 v60, 2, v60
	v_add_u32_e32 v60, v60, v62
	v_cmp_ne_u32_e64 s[2:3], v60, v61
	;; [unrolled: 6-line block ×11, first 2 shown]
	v_cvt_i32_f64_e32 v60, v[28:29]
	v_mul_hi_i32 v60, v60, s57
	v_lshrrev_b32_e32 v62, 31, v60
	v_ashrrev_i32_e32 v60, 2, v60
	v_add_u32_e32 v62, v60, v62
	v_cvt_i32_f64_e32 v60, v[26:27]
	v_mul_hi_i32 v60, v60, s57
	v_cmp_ne_u32_e64 s[22:23], v62, v61
	v_lshrrev_b32_e32 v61, 31, v60
	v_ashrrev_i32_e32 v60, 2, v60
	v_add_u32_e32 v60, v60, v61
	v_lshlrev_b32_e32 v1, 3, v0
	v_cmp_ne_u32_e64 s[24:25], v60, v62
	v_cmp_ne_u32_e64 s[28:29], 0, v0
	ds_write_b64 v1, v[58:59]
	s_waitcnt lgkmcnt(0)
	s_barrier
	s_and_saveexec_b64 s[54:55], s[28:29]
	s_cbranch_execz .LBB71_54
; %bb.53:
	v_add_u32_e32 v1, -8, v1
	s_waitcnt vmcnt(0)
	ds_read_b64 v[76:77], v1
.LBB71_54:
	s_or_b64 exec, exec, s[54:55]
	s_waitcnt vmcnt(0) lgkmcnt(0)
	v_cvt_i32_f64_e32 v74, v[76:77]
	v_mul_hi_i32 v74, v74, s57
	v_lshrrev_b32_e32 v76, 31, v74
	v_ashrrev_i32_e32 v74, 2, v74
	v_add_u32_e32 v74, v74, v76
	v_cndmask_b32_e64 v1, 0, 1, vcc
	v_cndmask_b32_e64 v61, 0, 1, s[0:1]
	v_cndmask_b32_e64 v112, 0, 1, s[2:3]
	;; [unrolled: 1-line block ×13, first 2 shown]
	v_cmp_ne_u32_e64 s[4:5], v74, v60
	s_mov_b64 s[0:1], -1
.LBB71_55:
                                        ; implicit-def: $sgpr8
	s_branch .LBB71_110
.LBB71_56:
                                        ; implicit-def: $sgpr4_sgpr5
                                        ; implicit-def: $vgpr1
                                        ; implicit-def: $vgpr61
                                        ; implicit-def: $vgpr112
                                        ; implicit-def: $vgpr63
                                        ; implicit-def: $vgpr62
                                        ; implicit-def: $vgpr65
                                        ; implicit-def: $vgpr64
                                        ; implicit-def: $vgpr67
                                        ; implicit-def: $vgpr66
                                        ; implicit-def: $vgpr69
                                        ; implicit-def: $vgpr68
                                        ; implicit-def: $vgpr71
                                        ; implicit-def: $vgpr70
                                        ; implicit-def: $vgpr75
                                        ; implicit-def: $sgpr8
	s_cbranch_execnz .LBB71_75
	s_branch .LBB71_110
.LBB71_57:
	v_mov_b32_e32 v31, s64
	v_add_co_u32_e32 v30, vcc, s57, v63
	v_addc_co_u32_e32 v31, vcc, 0, v31, vcc
	flat_load_dwordx2 v[30:31], v[30:31]
	s_or_b64 exec, exec, s[30:31]
                                        ; implicit-def: $vgpr32_vgpr33
	s_and_saveexec_b64 s[30:31], s[0:1]
	s_cbranch_execz .LBB71_35
.LBB71_58:
	v_mov_b32_e32 v33, s64
	v_add_co_u32_e32 v32, vcc, s57, v63
	v_addc_co_u32_e32 v33, vcc, 0, v33, vcc
	flat_load_dwordx2 v[32:33], v[32:33] offset:2048
	s_or_b64 exec, exec, s[30:31]
                                        ; implicit-def: $vgpr34_vgpr35
	s_and_saveexec_b64 s[0:1], s[2:3]
	s_cbranch_execz .LBB71_36
.LBB71_59:
	v_lshlrev_b32_e32 v34, 3, v36
	v_mov_b32_e32 v35, s64
	v_add_co_u32_e32 v34, vcc, s57, v34
	v_addc_co_u32_e32 v35, vcc, 0, v35, vcc
	flat_load_dwordx2 v[34:35], v[34:35]
	s_or_b64 exec, exec, s[0:1]
                                        ; implicit-def: $vgpr36_vgpr37
	s_and_saveexec_b64 s[0:1], s[4:5]
	s_cbranch_execz .LBB71_37
.LBB71_60:
	v_lshlrev_b32_e32 v36, 3, v38
	v_mov_b32_e32 v37, s64
	v_add_co_u32_e32 v36, vcc, s57, v36
	v_addc_co_u32_e32 v37, vcc, 0, v37, vcc
	flat_load_dwordx2 v[36:37], v[36:37]
	s_or_b64 exec, exec, s[0:1]
                                        ; implicit-def: $vgpr38_vgpr39
	s_and_saveexec_b64 s[0:1], s[28:29]
	s_cbranch_execz .LBB71_38
.LBB71_61:
	v_lshlrev_b32_e32 v38, 3, v40
	v_mov_b32_e32 v39, s64
	v_add_co_u32_e32 v38, vcc, s57, v38
	v_addc_co_u32_e32 v39, vcc, 0, v39, vcc
	flat_load_dwordx2 v[38:39], v[38:39]
	s_or_b64 exec, exec, s[0:1]
                                        ; implicit-def: $vgpr40_vgpr41
	s_and_saveexec_b64 s[0:1], s[8:9]
	s_cbranch_execz .LBB71_39
.LBB71_62:
	v_lshlrev_b32_e32 v40, 3, v42
	v_mov_b32_e32 v41, s64
	v_add_co_u32_e32 v40, vcc, s57, v40
	v_addc_co_u32_e32 v41, vcc, 0, v41, vcc
	flat_load_dwordx2 v[40:41], v[40:41]
	s_or_b64 exec, exec, s[0:1]
                                        ; implicit-def: $vgpr42_vgpr43
	s_and_saveexec_b64 s[0:1], s[10:11]
	s_cbranch_execz .LBB71_40
.LBB71_63:
	v_lshlrev_b32_e32 v42, 3, v44
	v_mov_b32_e32 v43, s64
	v_add_co_u32_e32 v42, vcc, s57, v42
	v_addc_co_u32_e32 v43, vcc, 0, v43, vcc
	flat_load_dwordx2 v[42:43], v[42:43]
	s_or_b64 exec, exec, s[0:1]
                                        ; implicit-def: $vgpr44_vgpr45
	s_and_saveexec_b64 s[0:1], s[12:13]
	s_cbranch_execz .LBB71_41
.LBB71_64:
	v_lshlrev_b32_e32 v44, 3, v46
	v_mov_b32_e32 v45, s64
	v_add_co_u32_e32 v44, vcc, s57, v44
	v_addc_co_u32_e32 v45, vcc, 0, v45, vcc
	flat_load_dwordx2 v[44:45], v[44:45]
	s_or_b64 exec, exec, s[0:1]
                                        ; implicit-def: $vgpr46_vgpr47
	s_and_saveexec_b64 s[0:1], s[14:15]
	s_cbranch_execz .LBB71_42
.LBB71_65:
	v_lshlrev_b32_e32 v46, 3, v48
	v_mov_b32_e32 v47, s64
	v_add_co_u32_e32 v46, vcc, s57, v46
	v_addc_co_u32_e32 v47, vcc, 0, v47, vcc
	flat_load_dwordx2 v[46:47], v[46:47]
	s_or_b64 exec, exec, s[0:1]
                                        ; implicit-def: $vgpr48_vgpr49
	s_and_saveexec_b64 s[0:1], s[16:17]
	s_cbranch_execz .LBB71_43
.LBB71_66:
	v_lshlrev_b32_e32 v48, 3, v50
	v_mov_b32_e32 v49, s64
	v_add_co_u32_e32 v48, vcc, s57, v48
	v_addc_co_u32_e32 v49, vcc, 0, v49, vcc
	flat_load_dwordx2 v[48:49], v[48:49]
	s_or_b64 exec, exec, s[0:1]
                                        ; implicit-def: $vgpr50_vgpr51
	s_and_saveexec_b64 s[0:1], s[18:19]
	s_cbranch_execz .LBB71_44
.LBB71_67:
	v_lshlrev_b32_e32 v50, 3, v52
	v_mov_b32_e32 v51, s64
	v_add_co_u32_e32 v50, vcc, s57, v50
	v_addc_co_u32_e32 v51, vcc, 0, v51, vcc
	flat_load_dwordx2 v[50:51], v[50:51]
	s_or_b64 exec, exec, s[0:1]
                                        ; implicit-def: $vgpr52_vgpr53
	s_and_saveexec_b64 s[0:1], s[20:21]
	s_cbranch_execz .LBB71_45
.LBB71_68:
	v_lshlrev_b32_e32 v52, 3, v54
	v_mov_b32_e32 v53, s64
	v_add_co_u32_e32 v52, vcc, s57, v52
	v_addc_co_u32_e32 v53, vcc, 0, v53, vcc
	flat_load_dwordx2 v[52:53], v[52:53]
	s_or_b64 exec, exec, s[0:1]
                                        ; implicit-def: $vgpr54_vgpr55
	s_and_saveexec_b64 s[0:1], s[22:23]
	s_cbranch_execz .LBB71_46
.LBB71_69:
	v_lshlrev_b32_e32 v54, 3, v56
	v_mov_b32_e32 v55, s64
	v_add_co_u32_e32 v54, vcc, s57, v54
	v_addc_co_u32_e32 v55, vcc, 0, v55, vcc
	flat_load_dwordx2 v[54:55], v[54:55]
	s_or_b64 exec, exec, s[0:1]
                                        ; implicit-def: $vgpr56_vgpr57
	s_and_saveexec_b64 s[0:1], s[24:25]
	s_cbranch_execz .LBB71_47
.LBB71_70:
	v_lshlrev_b32_e32 v56, 3, v60
	v_mov_b32_e32 v57, s64
	v_add_co_u32_e32 v56, vcc, s57, v56
	v_addc_co_u32_e32 v57, vcc, 0, v57, vcc
	flat_load_dwordx2 v[56:57], v[56:57]
	s_or_b64 exec, exec, s[0:1]
                                        ; implicit-def: $vgpr60_vgpr61
	s_and_saveexec_b64 s[0:1], s[26:27]
	s_cbranch_execnz .LBB71_48
	s_branch .LBB71_49
.LBB71_71:
                                        ; implicit-def: $sgpr4_sgpr5
                                        ; implicit-def: $vgpr1
                                        ; implicit-def: $vgpr61
                                        ; implicit-def: $vgpr112
                                        ; implicit-def: $vgpr63
                                        ; implicit-def: $vgpr62
                                        ; implicit-def: $vgpr65
                                        ; implicit-def: $vgpr64
                                        ; implicit-def: $vgpr67
                                        ; implicit-def: $vgpr66
                                        ; implicit-def: $vgpr69
                                        ; implicit-def: $vgpr68
                                        ; implicit-def: $vgpr71
                                        ; implicit-def: $vgpr70
                                        ; implicit-def: $vgpr75
	s_cbranch_execz .LBB71_55
; %bb.72:
	v_cvt_i32_f64_e32 v1, v[4:5]
	s_mov_b32 s8, 0x66666667
	v_mul_hi_i32 v1, v1, s8
	v_lshrrev_b32_e32 v61, 31, v1
	v_ashrrev_i32_e32 v1, 2, v1
	v_add_u32_e32 v61, v1, v61
	v_cvt_i32_f64_e32 v1, v[58:59]
	v_mul_hi_i32 v1, v1, s8
	v_lshrrev_b32_e32 v62, 31, v1
	v_ashrrev_i32_e32 v1, 2, v1
	v_add_u32_e32 v1, v1, v62
	v_cvt_i32_f64_e32 v62, v[2:3]
	;; [unrolled: 5-line block ×3, first 2 shown]
	v_mul_hi_i32 v63, v63, s8
	v_cmp_ne_u32_e32 vcc, v61, v1
	v_lshrrev_b32_e32 v64, 31, v63
	v_ashrrev_i32_e32 v63, 2, v63
	v_cndmask_b32_e64 v1, 0, 1, vcc
	v_cmp_ne_u32_e32 vcc, v62, v61
	v_add_u32_e32 v63, v63, v64
	v_cndmask_b32_e64 v61, 0, 1, vcc
	v_cmp_ne_u32_e32 vcc, v63, v62
	v_cvt_i32_f64_e32 v62, v[6:7]
	v_mul_hi_i32 v62, v62, s8
	v_lshrrev_b32_e32 v64, 31, v62
	v_ashrrev_i32_e32 v62, 2, v62
	v_add_u32_e32 v62, v62, v64
	v_cvt_i32_f64_e32 v64, v[12:13]
	v_mul_hi_i32 v64, v64, s8
	v_lshrrev_b32_e32 v65, 31, v64
	v_ashrrev_i32_e32 v64, 2, v64
	v_add_u32_e32 v64, v64, v65
	v_cvt_i32_f64_e32 v65, v[10:11]
	v_mul_hi_i32 v65, v65, s8
	v_cndmask_b32_e64 v112, 0, 1, vcc
	v_cmp_ne_u32_e32 vcc, v62, v63
	v_lshrrev_b32_e32 v66, 31, v65
	v_ashrrev_i32_e32 v65, 2, v65
	v_cndmask_b32_e64 v63, 0, 1, vcc
	v_cmp_ne_u32_e32 vcc, v64, v62
	v_add_u32_e32 v66, v65, v66
	v_cndmask_b32_e64 v62, 0, 1, vcc
	v_cmp_ne_u32_e32 vcc, v66, v64
	v_cvt_i32_f64_e32 v64, v[16:17]
	v_mul_hi_i32 v64, v64, s8
	v_lshrrev_b32_e32 v67, 31, v64
	v_ashrrev_i32_e32 v64, 2, v64
	v_add_u32_e32 v67, v64, v67
	v_cndmask_b32_e64 v65, 0, 1, vcc
	v_cmp_ne_u32_e32 vcc, v67, v66
	v_cvt_i32_f64_e32 v66, v[14:15]
	v_mul_hi_i32 v66, v66, s8
	v_lshrrev_b32_e32 v68, 31, v66
	v_ashrrev_i32_e32 v66, 2, v66
	v_add_u32_e32 v66, v66, v68
	v_cvt_i32_f64_e32 v68, v[20:21]
	v_mul_hi_i32 v68, v68, s8
	v_lshrrev_b32_e32 v69, 31, v68
	v_ashrrev_i32_e32 v68, 2, v68
	v_add_u32_e32 v68, v68, v69
	v_cvt_i32_f64_e32 v69, v[18:19]
	v_mul_hi_i32 v69, v69, s8
	v_cndmask_b32_e64 v64, 0, 1, vcc
	v_cmp_ne_u32_e32 vcc, v66, v67
	v_lshrrev_b32_e32 v70, 31, v69
	v_ashrrev_i32_e32 v69, 2, v69
	v_cndmask_b32_e64 v67, 0, 1, vcc
	v_cmp_ne_u32_e32 vcc, v68, v66
	v_add_u32_e32 v70, v69, v70
	v_cndmask_b32_e64 v66, 0, 1, vcc
	v_cmp_ne_u32_e32 vcc, v70, v68
	v_cvt_i32_f64_e32 v68, v[24:25]
	v_mul_hi_i32 v68, v68, s8
	v_lshrrev_b32_e32 v71, 31, v68
	v_ashrrev_i32_e32 v68, 2, v68
	v_add_u32_e32 v71, v68, v71
	v_cndmask_b32_e64 v69, 0, 1, vcc
	v_cmp_ne_u32_e32 vcc, v71, v70
	v_cvt_i32_f64_e32 v70, v[22:23]
	v_mul_hi_i32 v70, v70, s8
	v_lshrrev_b32_e32 v74, 31, v70
	v_ashrrev_i32_e32 v70, 2, v70
	v_add_u32_e32 v70, v70, v74
	v_cvt_i32_f64_e32 v74, v[28:29]
	v_mul_hi_i32 v74, v74, s8
	v_lshrrev_b32_e32 v75, 31, v74
	v_ashrrev_i32_e32 v74, 2, v74
	v_add_u32_e32 v75, v74, v75
	v_cvt_i32_f64_e32 v74, v[26:27]
	v_mul_hi_i32 v74, v74, s8
	v_cndmask_b32_e64 v68, 0, 1, vcc
	v_cmp_ne_u32_e32 vcc, v70, v71
	v_lshrrev_b32_e32 v76, 31, v74
	v_ashrrev_i32_e32 v74, 2, v74
	v_cndmask_b32_e64 v71, 0, 1, vcc
	v_cmp_ne_u32_e32 vcc, v75, v70
	v_add_u32_e32 v74, v74, v76
	v_cndmask_b32_e64 v70, 0, 1, vcc
	v_cmp_ne_u32_e32 vcc, v74, v75
	v_lshlrev_b32_e32 v60, 3, v0
	v_cndmask_b32_e64 v75, 0, 1, vcc
	v_cmp_ne_u32_e32 vcc, 0, v0
	ds_write_b64 v60, v[58:59]
	s_waitcnt lgkmcnt(0)
	s_barrier
	s_waitcnt lgkmcnt(0)
                                        ; implicit-def: $sgpr4_sgpr5
	s_and_saveexec_b64 s[2:3], vcc
	s_xor_b64 s[2:3], exec, s[2:3]
	s_cbranch_execz .LBB71_74
; %bb.73:
	v_add_u32_e32 v60, -8, v60
	ds_read_b64 v[76:77], v60
	s_or_b64 s[0:1], s[0:1], exec
	s_waitcnt lgkmcnt(0)
	v_cvt_i32_f64_e32 v60, v[76:77]
	v_mul_hi_i32 v60, v60, s8
	v_lshrrev_b32_e32 v76, 31, v60
	v_ashrrev_i32_e32 v60, 2, v60
	v_add_u32_e32 v60, v60, v76
	v_cmp_ne_u32_e32 vcc, v60, v74
	s_and_b64 s[4:5], vcc, exec
.LBB71_74:
	s_or_b64 exec, exec, s[2:3]
	s_mov_b32 s8, 1
	s_branch .LBB71_110
.LBB71_75:
	s_mul_hi_u32 s3, s52, 0xfffff100
	s_mul_i32 s2, s53, 0xfffff100
	s_sub_i32 s3, s3, s52
	s_add_i32 s3, s3, s2
	s_mul_i32 s2, s52, 0xfffff100
	s_add_u32 s2, s2, s48
	s_addc_u32 s3, s3, s49
	s_and_b64 vcc, exec, s[30:31]
	s_cbranch_vccz .LBB71_251
; %bb.76:
	v_mov_b32_e32 v1, s56
	v_add_co_u32_e64 v60, vcc, -8, s7
	v_addc_co_u32_e32 v61, vcc, -1, v1, vcc
	flat_load_dwordx2 v[76:77], v[60:61]
	v_mad_u32_u24 v60, v0, 15, 14
	v_mov_b32_e32 v61, 0
	v_lshlrev_b32_e32 v79, 3, v0
	v_mul_u32_u24_e32 v78, 15, v0
	v_cmp_gt_u64_e32 vcc, s[2:3], v[60:61]
	v_mov_b32_e32 v1, 0
	ds_write_b64 v79, v[58:59]
	s_and_saveexec_b64 s[0:1], vcc
	s_cbranch_execz .LBB71_78
; %bb.77:
	v_cvt_i32_f64_e32 v60, v[4:5]
	s_mov_b32 s4, 0x66666667
	v_cvt_i32_f64_e32 v1, v[58:59]
	v_mul_hi_i32 v60, v60, s4
	v_lshrrev_b32_e32 v62, 31, v60
	v_ashrrev_i32_e32 v60, 2, v60
	v_mul_hi_i32 v1, v1, s4
	v_add_u32_e32 v60, v60, v62
	v_lshrrev_b32_e32 v62, 31, v1
	v_ashrrev_i32_e32 v1, 2, v1
	v_add_u32_e32 v1, v1, v62
	v_cmp_ne_u32_e32 vcc, v60, v1
	v_cndmask_b32_e64 v1, 0, 1, vcc
.LBB71_78:
	s_or_b64 exec, exec, s[0:1]
	v_add_u32_e32 v60, 13, v78
	v_cmp_gt_u64_e32 vcc, s[2:3], v[60:61]
	s_and_saveexec_b64 s[0:1], vcc
	s_cbranch_execz .LBB71_80
; %bb.79:
	v_cvt_i32_f64_e32 v61, v[2:3]
	s_mov_b32 s4, 0x66666667
	v_cvt_i32_f64_e32 v60, v[4:5]
	v_mul_hi_i32 v61, v61, s4
	v_lshrrev_b32_e32 v62, 31, v61
	v_ashrrev_i32_e32 v61, 2, v61
	v_mul_hi_i32 v60, v60, s4
	v_add_u32_e32 v61, v61, v62
	v_lshrrev_b32_e32 v62, 31, v60
	v_ashrrev_i32_e32 v60, 2, v60
	v_add_u32_e32 v60, v60, v62
	v_cmp_ne_u32_e32 vcc, v61, v60
	v_cndmask_b32_e64 v61, 0, 1, vcc
.LBB71_80:
	s_or_b64 exec, exec, s[0:1]
	v_add_u32_e32 v62, 12, v78
	v_mov_b32_e32 v63, 0
	v_cmp_gt_u64_e32 vcc, s[2:3], v[62:63]
	v_mov_b32_e32 v112, 0
	s_and_saveexec_b64 s[0:1], vcc
	s_cbranch_execz .LBB71_82
; %bb.81:
	v_cvt_i32_f64_e32 v62, v[8:9]
	s_mov_b32 s4, 0x66666667
	v_cvt_i32_f64_e32 v60, v[2:3]
	v_mul_hi_i32 v62, v62, s4
	v_lshrrev_b32_e32 v64, 31, v62
	v_ashrrev_i32_e32 v62, 2, v62
	v_mul_hi_i32 v60, v60, s4
	v_add_u32_e32 v62, v62, v64
	v_lshrrev_b32_e32 v64, 31, v60
	v_ashrrev_i32_e32 v60, 2, v60
	v_add_u32_e32 v60, v60, v64
	v_cmp_ne_u32_e32 vcc, v62, v60
	v_cndmask_b32_e64 v112, 0, 1, vcc
.LBB71_82:
	s_or_b64 exec, exec, s[0:1]
	v_add_u32_e32 v62, 11, v78
	v_cmp_gt_u64_e32 vcc, s[2:3], v[62:63]
	s_and_saveexec_b64 s[0:1], vcc
	s_cbranch_execz .LBB71_84
; %bb.83:
	v_cvt_i32_f64_e32 v62, v[6:7]
	s_mov_b32 s4, 0x66666667
	v_cvt_i32_f64_e32 v60, v[8:9]
	v_mul_hi_i32 v62, v62, s4
	v_lshrrev_b32_e32 v63, 31, v62
	v_ashrrev_i32_e32 v62, 2, v62
	v_mul_hi_i32 v60, v60, s4
	v_add_u32_e32 v62, v62, v63
	v_lshrrev_b32_e32 v63, 31, v60
	v_ashrrev_i32_e32 v60, 2, v60
	v_add_u32_e32 v60, v60, v63
	v_cmp_ne_u32_e32 vcc, v62, v60
	v_cndmask_b32_e64 v63, 0, 1, vcc
.LBB71_84:
	s_or_b64 exec, exec, s[0:1]
	v_add_u32_e32 v64, 10, v78
	v_mov_b32_e32 v65, 0
	v_cmp_gt_u64_e32 vcc, s[2:3], v[64:65]
	v_mov_b32_e32 v62, 0
	;; [unrolled: 42-line block ×6, first 2 shown]
	s_and_saveexec_b64 s[0:1], vcc
	s_cbranch_execz .LBB71_102
; %bb.101:
	v_cvt_i32_f64_e32 v70, v[28:29]
	s_mov_b32 s4, 0x66666667
	v_cvt_i32_f64_e32 v60, v[22:23]
	v_mul_hi_i32 v70, v70, s4
	v_lshrrev_b32_e32 v74, 31, v70
	v_ashrrev_i32_e32 v70, 2, v70
	v_mul_hi_i32 v60, v60, s4
	v_add_u32_e32 v70, v70, v74
	v_lshrrev_b32_e32 v74, 31, v60
	v_ashrrev_i32_e32 v60, 2, v60
	v_add_u32_e32 v60, v60, v74
	v_cmp_ne_u32_e32 vcc, v70, v60
	v_cndmask_b32_e64 v70, 0, 1, vcc
.LBB71_102:
	s_or_b64 exec, exec, s[0:1]
	v_add_u32_e32 v74, 1, v78
	v_cmp_gt_u64_e32 vcc, s[2:3], v[74:75]
	s_and_saveexec_b64 s[0:1], vcc
	s_cbranch_execz .LBB71_104
; %bb.103:
	v_cvt_i32_f64_e32 v74, v[26:27]
	s_mov_b32 s4, 0x66666667
	v_cvt_i32_f64_e32 v60, v[28:29]
	v_mul_hi_i32 v74, v74, s4
	v_lshrrev_b32_e32 v75, 31, v74
	v_ashrrev_i32_e32 v74, 2, v74
	v_mul_hi_i32 v60, v60, s4
	v_add_u32_e32 v74, v74, v75
	v_lshrrev_b32_e32 v75, 31, v60
	v_ashrrev_i32_e32 v60, 2, v60
	v_add_u32_e32 v60, v60, v75
	v_cmp_ne_u32_e32 vcc, v74, v60
	v_cndmask_b32_e64 v75, 0, 1, vcc
.LBB71_104:
	s_or_b64 exec, exec, s[0:1]
	v_cmp_ne_u32_e32 vcc, 0, v0
	s_waitcnt lgkmcnt(0)
	s_barrier
	s_and_saveexec_b64 s[0:1], vcc
	s_cbranch_execz .LBB71_106
; %bb.105:
	v_add_u32_e32 v60, -8, v79
	s_waitcnt vmcnt(0)
	ds_read_b64 v[76:77], v60
.LBB71_106:
	s_or_b64 exec, exec, s[0:1]
	v_mov_b32_e32 v79, 0
	v_cmp_gt_u64_e32 vcc, s[2:3], v[78:79]
	s_mov_b64 s[8:9], 0
	s_mov_b64 s[4:5], 0
	s_and_saveexec_b64 s[0:1], vcc
	s_cbranch_execz .LBB71_108
; %bb.107:
	s_waitcnt vmcnt(0) lgkmcnt(0)
	v_cvt_i32_f64_e32 v74, v[76:77]
	s_mov_b32 s4, 0x66666667
	v_cvt_i32_f64_e32 v60, v[26:27]
	v_mul_hi_i32 v74, v74, s4
	v_lshrrev_b32_e32 v76, 31, v74
	v_ashrrev_i32_e32 v74, 2, v74
	v_mul_hi_i32 v60, v60, s4
	v_add_u32_e32 v74, v74, v76
	v_lshrrev_b32_e32 v76, 31, v60
	v_ashrrev_i32_e32 v60, 2, v60
	v_add_u32_e32 v60, v60, v76
	v_cmp_ne_u32_e32 vcc, v74, v60
	s_and_b64 s[4:5], vcc, exec
.LBB71_108:
	s_or_b64 exec, exec, s[0:1]
	s_mov_b64 s[0:1], -1
	s_and_b64 vcc, exec, s[8:9]
	s_cbranch_vccnz .LBB71_252
.LBB71_109:
                                        ; implicit-def: $sgpr8
.LBB71_110:
	v_mov_b32_e32 v74, s8
	s_and_saveexec_b64 s[2:3], s[0:1]
.LBB71_111:
	v_cndmask_b32_e64 v74, 0, 1, s[4:5]
.LBB71_112:
	s_or_b64 exec, exec, s[2:3]
	s_cmp_eq_u64 s[42:43], 0
	v_add3_u32 v60, v75, v74, v70
	s_cselect_b64 s[30:31], -1, 0
	s_cmp_lg_u32 s6, 0
	v_add_f64 v[110:111], v[50:51], v[54:55]
	v_cmp_eq_u32_e64 s[24:25], 0, v75
	v_cmp_eq_u32_e64 s[22:23], 0, v70
	;; [unrolled: 1-line block ×3, first 2 shown]
	v_add3_u32 v115, v60, v71, v68
	v_cmp_eq_u32_e64 s[18:19], 0, v68
	v_cmp_eq_u32_e64 s[16:17], 0, v69
	;; [unrolled: 1-line block ×10, first 2 shown]
	v_cmp_eq_u32_e32 vcc, 0, v1
	v_mbcnt_lo_u32_b32 v114, -1, 0
	s_cbranch_scc0 .LBB71_183
; %bb.113:
	s_waitcnt vmcnt(0) lgkmcnt(0)
	v_cndmask_b32_e64 v77, v55, v111, s[24:25]
	v_cndmask_b32_e64 v76, v54, v110, s[24:25]
	v_add_f64 v[76:77], v[52:53], v[76:77]
	v_cndmask_b32_e64 v77, v53, v77, s[22:23]
	v_cndmask_b32_e64 v76, v52, v76, s[22:23]
	v_add_f64 v[76:77], v[56:57], v[76:77]
	;; [unrolled: 3-line block ×11, first 2 shown]
	v_add3_u32 v60, v115, v69, v66
	v_cndmask_b32_e64 v77, v31, v77, s[2:3]
	v_cndmask_b32_e64 v76, v30, v76, s[2:3]
	v_add3_u32 v60, v60, v67, v64
	v_add_f64 v[76:77], v[72:73], v[76:77]
	v_add3_u32 v60, v60, v65, v62
	v_cndmask_b32_e64 v77, v73, v77, s[0:1]
	v_cndmask_b32_e64 v76, v72, v76, s[0:1]
	v_add3_u32 v60, v60, v63, v112
	v_add_f64 v[76:77], v[32:33], v[76:77]
	v_mbcnt_hi_u32_b32 v88, -1, v114
	v_add3_u32 v82, v60, v61, v1
	v_cndmask_b32_e32 v79, v33, v77, vcc
	v_cndmask_b32_e32 v78, v32, v76, vcc
	v_and_b32_e32 v60, 15, v88
	v_mov_b32_dpp v80, v82 row_shr:1 row_mask:0xf bank_mask:0xf
	v_mov_b32_dpp v76, v78 row_shr:1 row_mask:0xf bank_mask:0xf
	;; [unrolled: 1-line block ×3, first 2 shown]
	v_cmp_ne_u32_e32 vcc, 0, v60
	s_and_saveexec_b64 s[26:27], vcc
; %bb.114:
	v_add_u32_e32 v80, v80, v82
	v_add_f64 v[76:77], v[78:79], v[76:77]
	v_cmp_eq_u32_e32 vcc, 0, v82
	v_cndmask_b32_e32 v79, v79, v77, vcc
	v_cndmask_b32_e32 v78, v78, v76, vcc
	v_mov_b32_e32 v82, v80
; %bb.115:
	s_or_b64 exec, exec, s[26:27]
	s_nop 0
	v_mov_b32_dpp v80, v82 row_shr:2 row_mask:0xf bank_mask:0xf
	v_mov_b32_dpp v76, v78 row_shr:2 row_mask:0xf bank_mask:0xf
	v_mov_b32_dpp v77, v79 row_shr:2 row_mask:0xf bank_mask:0xf
	v_cmp_lt_u32_e32 vcc, 1, v60
	s_and_saveexec_b64 s[26:27], vcc
; %bb.116:
	v_add_u32_e32 v80, v80, v82
	v_add_f64 v[76:77], v[78:79], v[76:77]
	v_cmp_eq_u32_e32 vcc, 0, v82
	v_cndmask_b32_e32 v79, v79, v77, vcc
	v_cndmask_b32_e32 v78, v78, v76, vcc
	v_mov_b32_e32 v82, v80
; %bb.117:
	s_or_b64 exec, exec, s[26:27]
	s_nop 0
	v_mov_b32_dpp v80, v82 row_shr:4 row_mask:0xf bank_mask:0xf
	v_mov_b32_dpp v76, v78 row_shr:4 row_mask:0xf bank_mask:0xf
	v_mov_b32_dpp v77, v79 row_shr:4 row_mask:0xf bank_mask:0xf
	v_cmp_lt_u32_e32 vcc, 3, v60
	;; [unrolled: 15-line block ×3, first 2 shown]
	s_and_saveexec_b64 s[26:27], vcc
; %bb.120:
	v_add_u32_e32 v60, v80, v82
	v_add_f64 v[76:77], v[78:79], v[76:77]
	v_cmp_eq_u32_e32 vcc, 0, v82
	v_cndmask_b32_e32 v79, v79, v77, vcc
	v_cndmask_b32_e32 v78, v78, v76, vcc
	v_mov_b32_e32 v82, v60
; %bb.121:
	s_or_b64 exec, exec, s[26:27]
	v_and_b32_e32 v80, 16, v88
	v_mov_b32_dpp v60, v82 row_bcast:15 row_mask:0xf bank_mask:0xf
	v_mov_b32_dpp v76, v78 row_bcast:15 row_mask:0xf bank_mask:0xf
	;; [unrolled: 1-line block ×3, first 2 shown]
	v_cmp_ne_u32_e32 vcc, 0, v80
	s_and_saveexec_b64 s[26:27], vcc
; %bb.122:
	v_add_u32_e32 v60, v60, v82
	v_add_f64 v[76:77], v[78:79], v[76:77]
	v_cmp_eq_u32_e32 vcc, 0, v82
	v_cndmask_b32_e32 v79, v79, v77, vcc
	v_cndmask_b32_e32 v78, v78, v76, vcc
	v_mov_b32_e32 v82, v60
; %bb.123:
	s_or_b64 exec, exec, s[26:27]
	s_nop 0
	v_mov_b32_dpp v60, v82 row_bcast:31 row_mask:0xf bank_mask:0xf
	v_mov_b32_dpp v76, v78 row_bcast:31 row_mask:0xf bank_mask:0xf
	;; [unrolled: 1-line block ×3, first 2 shown]
	v_cmp_lt_u32_e32 vcc, 31, v88
	s_and_saveexec_b64 s[26:27], vcc
; %bb.124:
	v_add_u32_e32 v60, v60, v82
	v_add_f64 v[76:77], v[78:79], v[76:77]
	v_cmp_eq_u32_e32 vcc, 0, v82
	v_cndmask_b32_e32 v79, v79, v77, vcc
	v_cndmask_b32_e32 v78, v78, v76, vcc
	v_mov_b32_e32 v82, v60
; %bb.125:
	s_or_b64 exec, exec, s[26:27]
	v_lshrrev_b32_e32 v60, 6, v0
	v_or_b32_e32 v76, 63, v0
	v_cmp_eq_u32_e32 vcc, v76, v0
	v_lshlrev_b32_e32 v83, 4, v60
	s_and_saveexec_b64 s[26:27], vcc
	s_cbranch_execz .LBB71_127
; %bb.126:
	ds_write_b32 v83, v82 offset:4128
	ds_write_b64 v83, v[78:79] offset:4136
.LBB71_127:
	s_or_b64 exec, exec, s[26:27]
	v_cmp_gt_u32_e32 vcc, 4, v0
	s_waitcnt lgkmcnt(0)
	s_barrier
	s_and_saveexec_b64 s[26:27], vcc
	s_cbranch_execz .LBB71_133
; %bb.128:
	v_lshlrev_b32_e32 v60, 4, v0
	ds_read_b32 v84, v60 offset:4128
	ds_read_b64 v[76:77], v60 offset:4136
	v_and_b32_e32 v85, 3, v88
	v_cmp_ne_u32_e32 vcc, 0, v85
	s_waitcnt lgkmcnt(1)
	v_mov_b32_dpp v86, v84 row_shr:1 row_mask:0xf bank_mask:0xf
	s_waitcnt lgkmcnt(0)
	v_mov_b32_dpp v80, v76 row_shr:1 row_mask:0xf bank_mask:0xf
	v_mov_b32_dpp v81, v77 row_shr:1 row_mask:0xf bank_mask:0xf
	s_and_saveexec_b64 s[42:43], vcc
; %bb.129:
	v_add_u32_e32 v86, v86, v84
	v_add_f64 v[80:81], v[76:77], v[80:81]
	v_cmp_eq_u32_e32 vcc, 0, v84
	v_cndmask_b32_e32 v77, v77, v81, vcc
	v_cndmask_b32_e32 v76, v76, v80, vcc
	v_mov_b32_e32 v84, v86
; %bb.130:
	s_or_b64 exec, exec, s[42:43]
	s_nop 0
	v_mov_b32_dpp v86, v84 row_shr:2 row_mask:0xf bank_mask:0xf
	v_mov_b32_dpp v80, v76 row_shr:2 row_mask:0xf bank_mask:0xf
	;; [unrolled: 1-line block ×3, first 2 shown]
	v_cmp_lt_u32_e32 vcc, 1, v85
	s_and_saveexec_b64 s[42:43], vcc
; %bb.131:
	v_add_u32_e32 v85, v86, v84
	v_add_f64 v[80:81], v[76:77], v[80:81]
	v_cmp_eq_u32_e32 vcc, 0, v84
	v_cndmask_b32_e32 v77, v77, v81, vcc
	v_cndmask_b32_e32 v76, v76, v80, vcc
	v_mov_b32_e32 v84, v85
; %bb.132:
	s_or_b64 exec, exec, s[42:43]
	ds_write_b32 v60, v84 offset:4128
	ds_write_b64 v60, v[76:77] offset:4136
.LBB71_133:
	s_or_b64 exec, exec, s[26:27]
	v_cmp_gt_u32_e32 vcc, 64, v0
	v_cmp_lt_u32_e64 s[26:27], 63, v0
	v_pk_mov_b32 v[76:77], 0, 0
	v_mov_b32_e32 v60, 0
	s_waitcnt lgkmcnt(0)
	s_barrier
	s_and_saveexec_b64 s[42:43], s[26:27]
	s_cbranch_execz .LBB71_135
; %bb.134:
	ds_read_b32 v60, v83 offset:4112
	ds_read_b64 v[76:77], v83 offset:4120
	v_cmp_eq_u32_e64 s[26:27], 0, v82
	s_waitcnt lgkmcnt(1)
	v_add_u32_e32 v83, v60, v82
	s_waitcnt lgkmcnt(0)
	v_add_f64 v[80:81], v[78:79], v[76:77]
	v_cndmask_b32_e64 v79, v79, v81, s[26:27]
	v_cndmask_b32_e64 v78, v78, v80, s[26:27]
	v_mov_b32_e32 v82, v83
.LBB71_135:
	s_or_b64 exec, exec, s[42:43]
	v_add_u32_e32 v80, -1, v88
	v_and_b32_e32 v81, 64, v88
	v_cmp_lt_i32_e64 s[26:27], v80, v81
	v_cndmask_b32_e64 v80, v80, v88, s[26:27]
	v_lshlrev_b32_e32 v80, 2, v80
	ds_bpermute_b32 v90, v80, v82
	ds_bpermute_b32 v91, v80, v78
	;; [unrolled: 1-line block ×3, first 2 shown]
	v_cmp_eq_u32_e64 s[26:27], 0, v88
	s_and_saveexec_b64 s[42:43], vcc
	s_cbranch_execz .LBB71_182
; %bb.136:
	v_mov_b32_e32 v83, 0
	ds_read_b32 v93, v83 offset:4176
	ds_read_b64 v[78:79], v83 offset:4184
	s_and_saveexec_b64 s[48:49], s[26:27]
	s_cbranch_execz .LBB71_138
; %bb.137:
	s_add_i32 s52, s6, 64
	s_mov_b32 s53, 0
	s_lshl_b64 s[54:55], s[52:53], 4
	s_add_u32 s54, s36, s54
	s_addc_u32 s55, s37, s55
	v_mov_b32_e32 v80, s52
	v_mov_b32_e32 v81, 1
	s_waitcnt lgkmcnt(1)
	global_store_dword v83, v93, s[54:55]
	s_waitcnt lgkmcnt(0)
	global_store_dwordx2 v83, v[78:79], s[54:55] offset:8
	s_waitcnt vmcnt(0)
	buffer_wbinvl1_vol
	global_store_byte v80, v81, s[40:41]
.LBB71_138:
	s_or_b64 exec, exec, s[48:49]
	v_xad_u32 v80, v88, -1, s6
	v_add_u32_e32 v82, 64, v80
	global_load_ubyte v94, v82, s[40:41] glc
	s_waitcnt vmcnt(0)
	v_cmp_eq_u16_e32 vcc, 0, v94
	s_and_saveexec_b64 s[48:49], vcc
	s_cbranch_execz .LBB71_144
; %bb.139:
	v_mov_b32_e32 v81, s41
	v_add_co_u32_e32 v84, vcc, s40, v82
	v_addc_co_u32_e32 v85, vcc, 0, v81, vcc
	s_mov_b32 s7, 1
	s_mov_b64 s[52:53], 0
.LBB71_140:                             ; =>This Loop Header: Depth=1
                                        ;     Child Loop BB71_141 Depth 2
	s_max_u32 s54, s7, 1
.LBB71_141:                             ;   Parent Loop BB71_140 Depth=1
                                        ; =>  This Inner Loop Header: Depth=2
	s_add_i32 s54, s54, -1
	s_cmp_eq_u32 s54, 0
	s_sleep 1
	s_cbranch_scc0 .LBB71_141
; %bb.142:                              ;   in Loop: Header=BB71_140 Depth=1
	global_load_ubyte v94, v[84:85], off glc
	s_cmp_lt_u32 s7, 32
	s_cselect_b64 s[54:55], -1, 0
	s_cmp_lg_u64 s[54:55], 0
	s_addc_u32 s7, s7, 0
	s_waitcnt vmcnt(0)
	v_cmp_ne_u16_e32 vcc, 0, v94
	s_or_b64 s[52:53], vcc, s[52:53]
	s_andn2_b64 exec, exec, s[52:53]
	s_cbranch_execnz .LBB71_140
; %bb.143:
	s_or_b64 exec, exec, s[52:53]
.LBB71_144:
	s_or_b64 exec, exec, s[48:49]
	v_mov_b32_e32 v81, s39
	v_mov_b32_e32 v84, s37
	v_cmp_eq_u16_e32 vcc, 1, v94
	v_cndmask_b32_e32 v81, v81, v84, vcc
	v_mov_b32_e32 v84, s38
	v_mov_b32_e32 v85, s36
	v_cndmask_b32_e32 v84, v84, v85, vcc
	v_lshlrev_b64 v[82:83], 4, v[82:83]
	v_add_co_u32_e32 v82, vcc, v84, v82
	v_addc_co_u32_e32 v83, vcc, v81, v83, vcc
	s_waitcnt lgkmcnt(0)
	buffer_wbinvl1_vol
	global_load_dword v89, v[82:83], off
	global_load_dwordx2 v[86:87], v[82:83], off offset:8
	v_cmp_eq_u16_e32 vcc, 2, v94
	v_lshlrev_b64 v[82:83], v88, -1
	v_and_b32_e32 v95, 63, v88
	v_and_b32_e32 v81, vcc_hi, v83
	v_and_b32_e32 v98, vcc_lo, v82
	v_cmp_ne_u32_e32 vcc, 63, v95
	v_addc_co_u32_e32 v84, vcc, 0, v88, vcc
	v_lshlrev_b32_e32 v96, 2, v84
	v_or_b32_e32 v81, 0x80000000, v81
	v_ffbl_b32_e32 v81, v81
	v_add_u32_e32 v81, 32, v81
	v_ffbl_b32_e32 v98, v98
	v_min_u32_e32 v81, v98, v81
	v_cmp_lt_u32_e32 vcc, v95, v81
	s_waitcnt vmcnt(1)
	ds_bpermute_b32 v97, v96, v89
	s_waitcnt vmcnt(0)
	ds_bpermute_b32 v84, v96, v86
	ds_bpermute_b32 v85, v96, v87
	s_and_saveexec_b64 s[48:49], vcc
	s_cbranch_execz .LBB71_146
; %bb.145:
	s_waitcnt lgkmcnt(2)
	v_add_u32_e32 v97, v97, v89
	s_waitcnt lgkmcnt(0)
	v_add_f64 v[84:85], v[86:87], v[84:85]
	v_cmp_eq_u32_e32 vcc, 0, v89
	v_cndmask_b32_e32 v87, v87, v85, vcc
	v_cndmask_b32_e32 v86, v86, v84, vcc
	v_mov_b32_e32 v89, v97
.LBB71_146:
	s_or_b64 exec, exec, s[48:49]
	v_cmp_gt_u32_e32 vcc, 62, v95
	s_waitcnt lgkmcnt(1)
	v_cndmask_b32_e64 v84, 0, 1, vcc
	v_lshlrev_b32_e32 v84, 1, v84
	v_add_lshl_u32 v97, v84, v88, 2
	ds_bpermute_b32 v99, v97, v89
	ds_bpermute_b32 v84, v97, v86
	s_waitcnt lgkmcnt(2)
	ds_bpermute_b32 v85, v97, v87
	v_add_u32_e32 v98, 2, v95
	v_cmp_le_u32_e32 vcc, v98, v81
	s_and_saveexec_b64 s[48:49], vcc
	s_cbranch_execz .LBB71_148
; %bb.147:
	s_waitcnt lgkmcnt(2)
	v_add_u32_e32 v99, v99, v89
	s_waitcnt lgkmcnt(0)
	v_add_f64 v[84:85], v[86:87], v[84:85]
	v_cmp_eq_u32_e32 vcc, 0, v89
	v_cndmask_b32_e32 v87, v87, v85, vcc
	v_cndmask_b32_e32 v86, v86, v84, vcc
	v_mov_b32_e32 v89, v99
.LBB71_148:
	s_or_b64 exec, exec, s[48:49]
	v_cmp_gt_u32_e32 vcc, 60, v95
	s_waitcnt lgkmcnt(1)
	v_cndmask_b32_e64 v84, 0, 1, vcc
	v_lshlrev_b32_e32 v84, 2, v84
	v_add_lshl_u32 v99, v84, v88, 2
	ds_bpermute_b32 v101, v99, v89
	ds_bpermute_b32 v84, v99, v86
	s_waitcnt lgkmcnt(2)
	ds_bpermute_b32 v85, v99, v87
	v_add_u32_e32 v100, 4, v95
	v_cmp_le_u32_e32 vcc, v100, v81
	;; [unrolled: 24-line block ×5, first 2 shown]
	s_and_saveexec_b64 s[48:49], vcc
	s_cbranch_execz .LBB71_156
; %bb.155:
	s_waitcnt lgkmcnt(2)
	v_add_u32_e32 v81, v88, v89
	s_waitcnt lgkmcnt(0)
	v_add_f64 v[84:85], v[86:87], v[84:85]
	v_cmp_eq_u32_e32 vcc, 0, v89
	v_cndmask_b32_e32 v87, v87, v85, vcc
	v_cndmask_b32_e32 v86, v86, v84, vcc
	v_mov_b32_e32 v89, v81
.LBB71_156:
	s_or_b64 exec, exec, s[48:49]
	v_mov_b32_e32 v81, 0
	v_mov_b32_e32 v108, 2
	s_branch .LBB71_158
.LBB71_157:                             ;   in Loop: Header=BB71_158 Depth=1
	s_or_b64 exec, exec, s[48:49]
	v_add_f64 v[86:87], v[84:85], v[86:87]
	v_cmp_eq_u32_e32 vcc, 0, v106
	v_subrev_u32_e32 v80, 64, v80
	s_waitcnt lgkmcnt(0)
	v_add_u32_e32 v89, v109, v106
	v_cndmask_b32_e32 v87, v85, v87, vcc
	v_cndmask_b32_e32 v86, v84, v86, vcc
.LBB71_158:                             ; =>This Loop Header: Depth=1
                                        ;     Child Loop BB71_161 Depth 2
                                        ;       Child Loop BB71_162 Depth 3
	v_cmp_ne_u16_sdwa s[48:49], v94, v108 src0_sel:BYTE_0 src1_sel:DWORD
	s_waitcnt lgkmcnt(0)
	v_pk_mov_b32 v[84:85], v[86:87], v[86:87] op_sel:[0,1]
	v_cndmask_b32_e64 v86, 0, 1, s[48:49]
	;;#ASMSTART
	;;#ASMEND
	v_cmp_ne_u32_e32 vcc, 0, v86
	s_cmp_lg_u64 vcc, exec
	v_mov_b32_e32 v106, v89
	s_cbranch_scc1 .LBB71_177
; %bb.159:                              ;   in Loop: Header=BB71_158 Depth=1
	global_load_ubyte v94, v80, s[40:41] glc
	s_waitcnt vmcnt(0)
	v_cmp_eq_u16_e32 vcc, 0, v94
	s_and_saveexec_b64 s[48:49], vcc
	s_cbranch_execz .LBB71_165
; %bb.160:                              ;   in Loop: Header=BB71_158 Depth=1
	v_mov_b32_e32 v87, s41
	v_add_co_u32_e32 v86, vcc, s40, v80
	v_addc_co_u32_e32 v87, vcc, 0, v87, vcc
	s_mov_b32 s7, 1
	s_mov_b64 s[52:53], 0
.LBB71_161:                             ;   Parent Loop BB71_158 Depth=1
                                        ; =>  This Loop Header: Depth=2
                                        ;       Child Loop BB71_162 Depth 3
	s_max_u32 s54, s7, 1
.LBB71_162:                             ;   Parent Loop BB71_158 Depth=1
                                        ;     Parent Loop BB71_161 Depth=2
                                        ; =>    This Inner Loop Header: Depth=3
	s_add_i32 s54, s54, -1
	s_cmp_eq_u32 s54, 0
	s_sleep 1
	s_cbranch_scc0 .LBB71_162
; %bb.163:                              ;   in Loop: Header=BB71_161 Depth=2
	global_load_ubyte v94, v[86:87], off glc
	s_cmp_lt_u32 s7, 32
	s_cselect_b64 s[54:55], -1, 0
	s_cmp_lg_u64 s[54:55], 0
	s_addc_u32 s7, s7, 0
	s_waitcnt vmcnt(0)
	v_cmp_ne_u16_e32 vcc, 0, v94
	s_or_b64 s[52:53], vcc, s[52:53]
	s_andn2_b64 exec, exec, s[52:53]
	s_cbranch_execnz .LBB71_161
; %bb.164:                              ;   in Loop: Header=BB71_158 Depth=1
	s_or_b64 exec, exec, s[52:53]
.LBB71_165:                             ;   in Loop: Header=BB71_158 Depth=1
	s_or_b64 exec, exec, s[48:49]
	v_mov_b32_e32 v86, s39
	v_mov_b32_e32 v87, s37
	v_cmp_eq_u16_e32 vcc, 1, v94
	v_cndmask_b32_e32 v88, v86, v87, vcc
	v_mov_b32_e32 v86, s38
	v_mov_b32_e32 v87, s36
	v_cndmask_b32_e32 v89, v86, v87, vcc
	v_lshlrev_b64 v[86:87], 4, v[80:81]
	v_add_co_u32_e32 v86, vcc, v89, v86
	v_addc_co_u32_e32 v87, vcc, v88, v87, vcc
	buffer_wbinvl1_vol
	global_load_dword v109, v[86:87], off
	s_nop 0
	global_load_dwordx2 v[86:87], v[86:87], off offset:8
	v_cmp_eq_u16_e32 vcc, 2, v94
	v_and_b32_e32 v88, vcc_hi, v83
	v_or_b32_e32 v88, 0x80000000, v88
	v_ffbl_b32_e32 v117, v88
	v_and_b32_e32 v113, vcc_lo, v82
	v_add_u32_e32 v117, 32, v117
	v_ffbl_b32_e32 v113, v113
	v_min_u32_e32 v113, v113, v117
	v_cmp_lt_u32_e32 vcc, v95, v113
	s_waitcnt vmcnt(1)
	ds_bpermute_b32 v116, v96, v109
	s_waitcnt vmcnt(0)
	ds_bpermute_b32 v88, v96, v86
	ds_bpermute_b32 v89, v96, v87
	s_and_saveexec_b64 s[48:49], vcc
	s_cbranch_execz .LBB71_167
; %bb.166:                              ;   in Loop: Header=BB71_158 Depth=1
	s_waitcnt lgkmcnt(2)
	v_add_u32_e32 v116, v116, v109
	s_waitcnt lgkmcnt(0)
	v_add_f64 v[88:89], v[86:87], v[88:89]
	v_cmp_eq_u32_e32 vcc, 0, v109
	v_cndmask_b32_e32 v87, v87, v89, vcc
	v_cndmask_b32_e32 v86, v86, v88, vcc
	v_mov_b32_e32 v109, v116
.LBB71_167:                             ;   in Loop: Header=BB71_158 Depth=1
	s_or_b64 exec, exec, s[48:49]
	s_waitcnt lgkmcnt(2)
	ds_bpermute_b32 v116, v97, v109
	s_waitcnt lgkmcnt(2)
	ds_bpermute_b32 v88, v97, v86
	s_waitcnt lgkmcnt(2)
	ds_bpermute_b32 v89, v97, v87
	v_cmp_le_u32_e32 vcc, v98, v113
	s_and_saveexec_b64 s[48:49], vcc
	s_cbranch_execz .LBB71_169
; %bb.168:                              ;   in Loop: Header=BB71_158 Depth=1
	s_waitcnt lgkmcnt(2)
	v_add_u32_e32 v116, v116, v109
	s_waitcnt lgkmcnt(0)
	v_add_f64 v[88:89], v[86:87], v[88:89]
	v_cmp_eq_u32_e32 vcc, 0, v109
	v_cndmask_b32_e32 v87, v87, v89, vcc
	v_cndmask_b32_e32 v86, v86, v88, vcc
	v_mov_b32_e32 v109, v116
.LBB71_169:                             ;   in Loop: Header=BB71_158 Depth=1
	s_or_b64 exec, exec, s[48:49]
	s_waitcnt lgkmcnt(2)
	ds_bpermute_b32 v116, v99, v109
	s_waitcnt lgkmcnt(2)
	ds_bpermute_b32 v88, v99, v86
	s_waitcnt lgkmcnt(2)
	ds_bpermute_b32 v89, v99, v87
	v_cmp_le_u32_e32 vcc, v100, v113
	;; [unrolled: 20-line block ×5, first 2 shown]
	s_and_saveexec_b64 s[48:49], vcc
	s_cbranch_execz .LBB71_157
; %bb.176:                              ;   in Loop: Header=BB71_158 Depth=1
	s_waitcnt lgkmcnt(2)
	v_add_u32_e32 v113, v116, v109
	s_waitcnt lgkmcnt(0)
	v_add_f64 v[88:89], v[86:87], v[88:89]
	v_cmp_eq_u32_e32 vcc, 0, v109
	v_cndmask_b32_e32 v87, v87, v89, vcc
	v_cndmask_b32_e32 v86, v86, v88, vcc
	v_mov_b32_e32 v109, v113
	s_branch .LBB71_157
.LBB71_177:                             ;   in Loop: Header=BB71_158 Depth=1
                                        ; implicit-def: $vgpr86_vgpr87
                                        ; implicit-def: $vgpr89
                                        ; implicit-def: $vgpr94
	s_cbranch_execz .LBB71_158
; %bb.178:
	s_and_saveexec_b64 s[36:37], s[26:27]
	s_cbranch_execz .LBB71_180
; %bb.179:
	s_mov_b32 s7, 0
	s_add_i32 s6, s6, 64
	s_lshl_b64 s[48:49], s[6:7], 4
	v_add_f64 v[80:81], v[78:79], v[84:85]
	v_cmp_eq_u32_e32 vcc, 0, v93
	s_add_u32 s48, s38, s48
	v_add_u32_e32 v82, v106, v93
	v_cndmask_b32_e32 v81, v79, v81, vcc
	v_cndmask_b32_e32 v80, v78, v80, vcc
	s_addc_u32 s49, s39, s49
	v_mov_b32_e32 v83, 0
	global_store_dword v83, v82, s[48:49]
	global_store_dwordx2 v83, v[80:81], s[48:49] offset:8
	v_mov_b32_e32 v80, s6
	v_mov_b32_e32 v81, 2
	s_waitcnt vmcnt(0)
	buffer_wbinvl1_vol
	global_store_byte v80, v81, s[40:41]
	ds_write_b32 v83, v93 offset:4096
	ds_write_b64 v83, v[78:79] offset:4104
	ds_write_b32 v83, v106 offset:4112
	ds_write_b64 v83, v[84:85] offset:4120
.LBB71_180:
	s_or_b64 exec, exec, s[36:37]
	v_cmp_eq_u32_e32 vcc, 0, v0
	s_and_b64 exec, exec, vcc
	s_cbranch_execz .LBB71_182
; %bb.181:
	v_mov_b32_e32 v78, 0
	ds_write_b32 v78, v106 offset:4176
	ds_write_b64 v78, v[84:85] offset:4184
.LBB71_182:
	s_or_b64 exec, exec, s[42:43]
	v_mov_b32_e32 v82, 0
	s_waitcnt lgkmcnt(0)
	s_barrier
	ds_read_b64 v[78:79], v82 offset:4184
	ds_read_b32 v83, v82 offset:4176
	v_cndmask_b32_e64 v77, v92, v77, s[26:27]
	v_cndmask_b32_e64 v76, v91, v76, s[26:27]
	;; [unrolled: 1-line block ×3, first 2 shown]
	s_waitcnt lgkmcnt(1)
	v_add_f64 v[80:81], v[76:77], v[78:79]
	v_cmp_eq_u32_e32 vcc, 0, v60
	v_cndmask_b32_e32 v76, v76, v80, vcc
	v_cndmask_b32_e32 v77, v77, v81, vcc
	v_cmp_eq_u32_e32 vcc, 0, v0
	v_cndmask_b32_e32 v109, v77, v79, vcc
	v_cndmask_b32_e32 v108, v76, v78, vcc
	v_cndmask_b32_e64 v60, v60, 0, vcc
	v_add_f64 v[76:77], v[50:51], v[108:109]
	v_cmp_eq_u32_e32 vcc, 0, v74
	v_cndmask_b32_e32 v107, v51, v77, vcc
	v_cndmask_b32_e32 v106, v50, v76, vcc
	v_add_f64 v[76:77], v[54:55], v[106:107]
	v_cndmask_b32_e64 v105, v55, v77, s[24:25]
	v_cndmask_b32_e64 v104, v54, v76, s[24:25]
	v_add_f64 v[76:77], v[52:53], v[104:105]
	v_cndmask_b32_e64 v103, v53, v77, s[22:23]
	v_cndmask_b32_e64 v102, v52, v76, s[22:23]
	;; [unrolled: 3-line block ×10, first 2 shown]
	s_waitcnt lgkmcnt(0)
	v_add_u32_e32 v113, v83, v60
	v_add_f64 v[76:77], v[36:37], v[86:87]
	s_barrier
	ds_read_b32 v60, v82 offset:4096
	ds_read_b64 v[116:117], v82 offset:4104
	ds_read_b32 v78, v82 offset:4112
	ds_read_b64 v[118:119], v82 offset:4120
	v_cndmask_b32_e64 v85, v37, v77, s[4:5]
	v_cndmask_b32_e64 v84, v36, v76, s[4:5]
	v_add_f64 v[76:77], v[30:31], v[84:85]
	v_cndmask_b32_e64 v83, v31, v77, s[2:3]
	v_cndmask_b32_e64 v82, v30, v76, s[2:3]
	v_add_f64 v[76:77], v[72:73], v[82:83]
	v_cndmask_b32_e64 v81, v73, v77, s[0:1]
	v_cndmask_b32_e64 v80, v72, v76, s[0:1]
	s_waitcnt lgkmcnt(0)
	v_add_f64 v[76:77], v[118:119], v[116:117]
	v_cmp_eq_u32_e32 vcc, 0, v60
	v_cndmask_b32_e32 v77, v117, v77, vcc
	v_cndmask_b32_e32 v76, v116, v76, vcc
	s_branch .LBB71_211
.LBB71_183:
                                        ; implicit-def: $vgpr60
                                        ; implicit-def: $vgpr76_vgpr77
                                        ; implicit-def: $vgpr78
                                        ; implicit-def: $vgpr108_vgpr109
                                        ; implicit-def: $vgpr106_vgpr107
                                        ; implicit-def: $vgpr104_vgpr105
                                        ; implicit-def: $vgpr102_vgpr103
                                        ; implicit-def: $vgpr100_vgpr101
                                        ; implicit-def: $vgpr98_vgpr99
                                        ; implicit-def: $vgpr96_vgpr97
                                        ; implicit-def: $vgpr94_vgpr95
                                        ; implicit-def: $vgpr92_vgpr93
                                        ; implicit-def: $vgpr90_vgpr91
                                        ; implicit-def: $vgpr88_vgpr89
                                        ; implicit-def: $vgpr86_vgpr87
                                        ; implicit-def: $vgpr84_vgpr85
                                        ; implicit-def: $vgpr82_vgpr83
                                        ; implicit-def: $vgpr80_vgpr81
                                        ; implicit-def: $vgpr113
	s_cbranch_execz .LBB71_211
; %bb.184:
	s_and_b64 s[0:1], s[30:31], exec
	s_cselect_b32 s1, 0, s47
	s_cselect_b32 s0, 0, s46
	s_cmp_eq_u64 s[0:1], 0
	v_pk_mov_b32 v[78:79], v[50:51], v[50:51] op_sel:[0,1]
	s_cbranch_scc1 .LBB71_186
; %bb.185:
	v_mov_b32_e32 v60, 0
	global_load_dwordx2 v[78:79], v60, s[0:1]
.LBB71_186:
	v_cmp_eq_u32_e32 vcc, 0, v75
	s_waitcnt vmcnt(0) lgkmcnt(0)
	v_cndmask_b32_e32 v77, v55, v111, vcc
	v_cndmask_b32_e32 v76, v54, v110, vcc
	v_add_f64 v[76:77], v[52:53], v[76:77]
	v_cmp_eq_u32_e64 s[0:1], 0, v70
	v_cndmask_b32_e64 v77, v53, v77, s[0:1]
	v_cndmask_b32_e64 v76, v52, v76, s[0:1]
	v_add_f64 v[76:77], v[56:57], v[76:77]
	v_cmp_eq_u32_e64 s[2:3], 0, v71
	v_cndmask_b32_e64 v77, v57, v77, s[2:3]
	v_cndmask_b32_e64 v76, v56, v76, s[2:3]
	v_add_f64 v[76:77], v[42:43], v[76:77]
	v_cmp_eq_u32_e64 s[4:5], 0, v68
	v_cndmask_b32_e64 v77, v43, v77, s[4:5]
	v_cndmask_b32_e64 v76, v42, v76, s[4:5]
	v_add_f64 v[76:77], v[46:47], v[76:77]
	v_cmp_eq_u32_e64 s[6:7], 0, v69
	v_cndmask_b32_e64 v77, v47, v77, s[6:7]
	v_cndmask_b32_e64 v76, v46, v76, s[6:7]
	v_add_f64 v[76:77], v[44:45], v[76:77]
	v_cmp_eq_u32_e64 s[8:9], 0, v66
	v_cndmask_b32_e64 v77, v45, v77, s[8:9]
	v_cndmask_b32_e64 v76, v44, v76, s[8:9]
	v_add_f64 v[76:77], v[48:49], v[76:77]
	v_cmp_eq_u32_e64 s[10:11], 0, v67
	v_cndmask_b32_e64 v77, v49, v77, s[10:11]
	v_cndmask_b32_e64 v76, v48, v76, s[10:11]
	v_add_f64 v[76:77], v[38:39], v[76:77]
	v_cmp_eq_u32_e64 s[12:13], 0, v64
	v_cndmask_b32_e64 v77, v39, v77, s[12:13]
	v_cndmask_b32_e64 v76, v38, v76, s[12:13]
	v_add_f64 v[76:77], v[34:35], v[76:77]
	v_cmp_eq_u32_e64 s[14:15], 0, v65
	v_cndmask_b32_e64 v77, v35, v77, s[14:15]
	v_cndmask_b32_e64 v76, v34, v76, s[14:15]
	v_add_f64 v[76:77], v[40:41], v[76:77]
	v_cmp_eq_u32_e64 s[18:19], 0, v62
	v_cndmask_b32_e64 v77, v41, v77, s[18:19]
	v_cndmask_b32_e64 v76, v40, v76, s[18:19]
	v_add_f64 v[76:77], v[36:37], v[76:77]
	v_cmp_eq_u32_e64 s[22:23], 0, v63
	v_cndmask_b32_e64 v77, v37, v77, s[22:23]
	v_cndmask_b32_e64 v76, v36, v76, s[22:23]
	v_add3_u32 v60, v115, v69, v66
	v_add_f64 v[76:77], v[30:31], v[76:77]
	v_cmp_eq_u32_e64 s[16:17], 0, v112
	v_add3_u32 v60, v60, v67, v64
	v_cndmask_b32_e64 v77, v31, v77, s[16:17]
	v_cndmask_b32_e64 v76, v30, v76, s[16:17]
	v_add3_u32 v60, v60, v65, v62
	v_add_f64 v[76:77], v[72:73], v[76:77]
	v_cmp_eq_u32_e64 s[20:21], 0, v61
	v_add3_u32 v60, v60, v63, v112
	v_cndmask_b32_e64 v77, v73, v77, s[20:21]
	v_cndmask_b32_e64 v76, v72, v76, s[20:21]
	v_add3_u32 v82, v60, v61, v1
	v_add_f64 v[76:77], v[32:33], v[76:77]
	v_cmp_eq_u32_e64 s[24:25], 0, v1
	v_mbcnt_hi_u32_b32 v60, -1, v114
	v_cndmask_b32_e64 v33, v33, v77, s[24:25]
	v_cndmask_b32_e64 v32, v32, v76, s[24:25]
	v_and_b32_e32 v80, 15, v60
	v_mov_b32_dpp v81, v82 row_shr:1 row_mask:0xf bank_mask:0xf
	v_mov_b32_dpp v76, v32 row_shr:1 row_mask:0xf bank_mask:0xf
	;; [unrolled: 1-line block ×3, first 2 shown]
	v_cmp_ne_u32_e64 s[24:25], 0, v80
	s_and_saveexec_b64 s[26:27], s[24:25]
; %bb.187:
	v_add_u32_e32 v81, v81, v82
	v_add_f64 v[76:77], v[32:33], v[76:77]
	v_cmp_eq_u32_e64 s[24:25], 0, v82
	v_cndmask_b32_e64 v33, v33, v77, s[24:25]
	v_cndmask_b32_e64 v32, v32, v76, s[24:25]
	v_mov_b32_e32 v82, v81
; %bb.188:
	s_or_b64 exec, exec, s[26:27]
	s_nop 0
	v_mov_b32_dpp v81, v82 row_shr:2 row_mask:0xf bank_mask:0xf
	v_mov_b32_dpp v76, v32 row_shr:2 row_mask:0xf bank_mask:0xf
	v_mov_b32_dpp v77, v33 row_shr:2 row_mask:0xf bank_mask:0xf
	v_cmp_lt_u32_e64 s[24:25], 1, v80
	s_and_saveexec_b64 s[26:27], s[24:25]
; %bb.189:
	v_add_u32_e32 v81, v81, v82
	v_add_f64 v[76:77], v[32:33], v[76:77]
	v_cmp_eq_u32_e64 s[24:25], 0, v82
	v_cndmask_b32_e64 v33, v33, v77, s[24:25]
	v_cndmask_b32_e64 v32, v32, v76, s[24:25]
	v_mov_b32_e32 v82, v81
; %bb.190:
	s_or_b64 exec, exec, s[26:27]
	s_nop 0
	v_mov_b32_dpp v81, v82 row_shr:4 row_mask:0xf bank_mask:0xf
	v_mov_b32_dpp v76, v32 row_shr:4 row_mask:0xf bank_mask:0xf
	v_mov_b32_dpp v77, v33 row_shr:4 row_mask:0xf bank_mask:0xf
	v_cmp_lt_u32_e64 s[24:25], 3, v80
	;; [unrolled: 15-line block ×3, first 2 shown]
	s_and_saveexec_b64 s[26:27], s[24:25]
; %bb.193:
	v_add_u32_e32 v80, v81, v82
	v_add_f64 v[76:77], v[32:33], v[76:77]
	v_cmp_eq_u32_e64 s[24:25], 0, v82
	v_cndmask_b32_e64 v33, v33, v77, s[24:25]
	v_cndmask_b32_e64 v32, v32, v76, s[24:25]
	v_mov_b32_e32 v82, v80
; %bb.194:
	s_or_b64 exec, exec, s[26:27]
	v_and_b32_e32 v81, 16, v60
	v_mov_b32_dpp v80, v82 row_bcast:15 row_mask:0xf bank_mask:0xf
	v_mov_b32_dpp v76, v32 row_bcast:15 row_mask:0xf bank_mask:0xf
	;; [unrolled: 1-line block ×3, first 2 shown]
	v_cmp_ne_u32_e64 s[24:25], 0, v81
	s_and_saveexec_b64 s[26:27], s[24:25]
; %bb.195:
	v_add_u32_e32 v80, v80, v82
	v_add_f64 v[76:77], v[32:33], v[76:77]
	v_cmp_eq_u32_e64 s[24:25], 0, v82
	v_cndmask_b32_e64 v33, v33, v77, s[24:25]
	v_cndmask_b32_e64 v32, v32, v76, s[24:25]
	v_mov_b32_e32 v82, v80
; %bb.196:
	s_or_b64 exec, exec, s[26:27]
	s_nop 0
	v_mov_b32_dpp v80, v82 row_bcast:31 row_mask:0xf bank_mask:0xf
	v_mov_b32_dpp v76, v32 row_bcast:31 row_mask:0xf bank_mask:0xf
	;; [unrolled: 1-line block ×3, first 2 shown]
	v_cmp_lt_u32_e64 s[24:25], 31, v60
	s_and_saveexec_b64 s[26:27], s[24:25]
; %bb.197:
	v_add_u32_e32 v80, v80, v82
	v_add_f64 v[76:77], v[32:33], v[76:77]
	v_cmp_eq_u32_e64 s[24:25], 0, v82
	v_cndmask_b32_e64 v33, v33, v77, s[24:25]
	v_cndmask_b32_e64 v32, v32, v76, s[24:25]
	v_mov_b32_e32 v82, v80
; %bb.198:
	s_or_b64 exec, exec, s[26:27]
	v_or_b32_e32 v76, 63, v0
	v_lshrrev_b32_e32 v83, 6, v0
	v_cmp_eq_u32_e64 s[24:25], v76, v0
	s_and_saveexec_b64 s[26:27], s[24:25]
	s_cbranch_execz .LBB71_200
; %bb.199:
	v_lshlrev_b32_e32 v76, 4, v83
	ds_write_b32 v76, v82 offset:4128
	ds_write_b64 v76, v[32:33] offset:4136
.LBB71_200:
	s_or_b64 exec, exec, s[26:27]
	v_cmp_gt_u32_e64 s[24:25], 4, v0
	s_waitcnt lgkmcnt(0)
	s_barrier
	s_and_saveexec_b64 s[26:27], s[24:25]
	s_cbranch_execz .LBB71_206
; %bb.201:
	v_lshlrev_b32_e32 v84, 4, v0
	ds_read_b32 v85, v84 offset:4128
	ds_read_b64 v[76:77], v84 offset:4136
	v_and_b32_e32 v86, 3, v60
	v_cmp_ne_u32_e64 s[24:25], 0, v86
	s_waitcnt lgkmcnt(1)
	v_mov_b32_dpp v87, v85 row_shr:1 row_mask:0xf bank_mask:0xf
	s_waitcnt lgkmcnt(0)
	v_mov_b32_dpp v80, v76 row_shr:1 row_mask:0xf bank_mask:0xf
	v_mov_b32_dpp v81, v77 row_shr:1 row_mask:0xf bank_mask:0xf
	s_and_saveexec_b64 s[28:29], s[24:25]
; %bb.202:
	v_add_u32_e32 v87, v87, v85
	v_add_f64 v[80:81], v[76:77], v[80:81]
	v_cmp_eq_u32_e64 s[24:25], 0, v85
	v_cndmask_b32_e64 v77, v77, v81, s[24:25]
	v_cndmask_b32_e64 v76, v76, v80, s[24:25]
	v_mov_b32_e32 v85, v87
; %bb.203:
	s_or_b64 exec, exec, s[28:29]
	s_nop 0
	v_mov_b32_dpp v87, v85 row_shr:2 row_mask:0xf bank_mask:0xf
	v_mov_b32_dpp v80, v76 row_shr:2 row_mask:0xf bank_mask:0xf
	v_mov_b32_dpp v81, v77 row_shr:2 row_mask:0xf bank_mask:0xf
	v_cmp_lt_u32_e64 s[24:25], 1, v86
	s_and_saveexec_b64 s[28:29], s[24:25]
; %bb.204:
	v_add_u32_e32 v86, v87, v85
	v_add_f64 v[80:81], v[76:77], v[80:81]
	v_cmp_eq_u32_e64 s[24:25], 0, v85
	v_cndmask_b32_e64 v77, v77, v81, s[24:25]
	v_cndmask_b32_e64 v76, v76, v80, s[24:25]
	v_mov_b32_e32 v85, v86
; %bb.205:
	s_or_b64 exec, exec, s[28:29]
	ds_write_b32 v84, v85 offset:4128
	ds_write_b64 v84, v[76:77] offset:4136
.LBB71_206:
	s_or_b64 exec, exec, s[26:27]
	v_cmp_lt_u32_e64 s[24:25], 63, v0
	v_mov_b32_e32 v80, 0
	v_mov_b32_e32 v81, 0
	v_pk_mov_b32 v[76:77], v[78:79], v[78:79] op_sel:[0,1]
	s_waitcnt lgkmcnt(0)
	s_barrier
	s_and_saveexec_b64 s[26:27], s[24:25]
	s_cbranch_execz .LBB71_208
; %bb.207:
	v_lshlrev_b32_e32 v81, 4, v83
	ds_read_b64 v[76:77], v81 offset:4120
	ds_read_b32 v81, v81 offset:4112
	s_waitcnt lgkmcnt(1)
	v_add_f64 v[84:85], v[78:79], v[76:77]
	s_waitcnt lgkmcnt(0)
	v_cmp_eq_u32_e64 s[24:25], 0, v81
	v_cndmask_b32_e64 v77, v77, v85, s[24:25]
	v_cndmask_b32_e64 v76, v76, v84, s[24:25]
.LBB71_208:
	s_or_b64 exec, exec, s[26:27]
	v_add_f64 v[84:85], v[32:33], v[76:77]
	v_cmp_eq_u32_e64 s[24:25], 0, v82
	v_add_u32_e32 v83, v81, v82
	v_cndmask_b32_e64 v32, v32, v84, s[24:25]
	v_add_u32_e32 v82, -1, v60
	v_and_b32_e32 v84, 64, v60
	v_cndmask_b32_e64 v33, v33, v85, s[24:25]
	v_cmp_lt_i32_e64 s[24:25], v82, v84
	v_cndmask_b32_e64 v82, v82, v60, s[24:25]
	v_lshlrev_b32_e32 v82, 2, v82
	ds_bpermute_b32 v83, v82, v83
	ds_bpermute_b32 v33, v82, v33
	;; [unrolled: 1-line block ×3, first 2 shown]
	v_cmp_eq_u32_e64 s[24:25], 0, v60
	v_cmp_eq_u32_e64 s[26:27], 0, v74
	s_waitcnt lgkmcnt(2)
	v_cndmask_b32_e64 v113, v83, v81, s[24:25]
	s_waitcnt lgkmcnt(1)
	v_cndmask_b32_e64 v109, v33, v77, s[24:25]
	;; [unrolled: 2-line block ×3, first 2 shown]
	v_cmp_eq_u32_e64 s[24:25], 0, v0
	v_cndmask_b32_e64 v33, v109, v79, s[24:25]
	v_cndmask_b32_e64 v32, v108, v78, s[24:25]
	v_add_f64 v[32:33], v[50:51], v[32:33]
	v_cndmask_b32_e64 v107, v51, v33, s[26:27]
	v_cndmask_b32_e64 v106, v50, v32, s[26:27]
	v_add_f64 v[32:33], v[54:55], v[106:107]
	v_cndmask_b32_e32 v105, v55, v33, vcc
	v_cndmask_b32_e32 v104, v54, v32, vcc
	v_add_f64 v[32:33], v[52:53], v[104:105]
	v_cndmask_b32_e64 v103, v53, v33, s[0:1]
	v_cndmask_b32_e64 v102, v52, v32, s[0:1]
	v_add_f64 v[32:33], v[56:57], v[102:103]
	v_cndmask_b32_e64 v101, v57, v33, s[2:3]
	v_cndmask_b32_e64 v100, v56, v32, s[2:3]
	;; [unrolled: 3-line block ×9, first 2 shown]
	v_add_f64 v[32:33], v[36:37], v[86:87]
	ds_read_b32 v60, v80 offset:4176
	ds_read_b64 v[34:35], v80 offset:4184
	v_cndmask_b32_e64 v85, v37, v33, s[22:23]
	v_cndmask_b32_e64 v84, v36, v32, s[22:23]
	v_add_f64 v[32:33], v[30:31], v[84:85]
	v_cndmask_b32_e64 v83, v31, v33, s[16:17]
	v_cndmask_b32_e64 v82, v30, v32, s[16:17]
	v_add_f64 v[30:31], v[72:73], v[82:83]
	v_cndmask_b32_e64 v81, v73, v31, s[20:21]
	v_cndmask_b32_e64 v80, v72, v30, s[20:21]
	s_waitcnt lgkmcnt(0)
	v_add_f64 v[30:31], v[78:79], v[34:35]
	v_cmp_eq_u32_e32 vcc, 0, v60
	v_cndmask_b32_e32 v77, v35, v31, vcc
	v_cndmask_b32_e32 v76, v34, v30, vcc
	s_and_saveexec_b64 s[0:1], s[24:25]
	s_cbranch_execz .LBB71_210
; %bb.209:
	v_mov_b32_e32 v113, 0
	v_mov_b32_e32 v30, 2
	v_pk_mov_b32 v[108:109], v[78:79], v[78:79] op_sel:[0,1]
	global_store_dword v113, v60, s[38:39] offset:1024
	global_store_dwordx2 v113, v[76:77], s[38:39] offset:1032
	s_waitcnt vmcnt(0)
	buffer_wbinvl1_vol
	global_store_byte v113, v30, s[40:41] offset:64
.LBB71_210:
	s_or_b64 exec, exec, s[0:1]
	v_mov_b32_e32 v78, 0
.LBB71_211:
	s_and_b64 s[0:1], s[30:31], exec
	s_cselect_b32 s1, 0, s51
	s_cselect_b32 s0, 0, s50
	s_cmp_eq_u64 s[0:1], 0
	v_pk_mov_b32 v[30:31], 0, 0
	s_waitcnt lgkmcnt(0)
	s_barrier
	s_cbranch_scc1 .LBB71_213
; %bb.212:
	v_mov_b32_e32 v30, 0
	global_load_dwordx2 v[30:31], v30, s[0:1]
.LBB71_213:
	s_waitcnt vmcnt(0)
	v_lshlrev_b64 v[32:33], 3, v[30:31]
	v_mov_b32_e32 v34, s59
	v_add_co_u32_e32 v50, vcc, s58, v32
	v_mov_b32_e32 v79, 0
	v_addc_co_u32_e32 v51, vcc, v34, v33, vcc
	v_lshlrev_b64 v[34:35], 3, v[78:79]
	v_add_co_u32_e32 v50, vcc, v50, v34
	v_addc_co_u32_e32 v51, vcc, v51, v35, vcc
	v_cmp_eq_u32_e32 vcc, 0, v74
	v_cndmask_b32_e64 v52, 1, 2, vcc
	v_cmp_eq_u32_e32 vcc, 0, v75
	v_cndmask_b32_e64 v53, 1, 2, vcc
	v_cmp_eq_u32_e32 vcc, 0, v70
	v_and_b32_e32 v52, v53, v52
	v_cndmask_b32_e64 v53, 1, 2, vcc
	v_cmp_eq_u32_e32 vcc, 0, v71
	v_add_u32_e32 v49, v113, v74
	v_and_b32_e32 v52, v52, v53
	v_cndmask_b32_e64 v53, 1, 2, vcc
	v_cmp_eq_u32_e32 vcc, 0, v68
	v_add_u32_e32 v48, v49, v75
	v_and_b32_e32 v52, v52, v53
	v_cndmask_b32_e64 v53, 1, 2, vcc
	v_cmp_eq_u32_e32 vcc, 0, v69
	v_add_u32_e32 v47, v48, v70
	v_and_b32_e32 v52, v52, v53
	v_cndmask_b32_e64 v53, 1, 2, vcc
	v_cmp_eq_u32_e32 vcc, 0, v66
	v_add_u32_e32 v46, v47, v71
	v_and_b32_e32 v52, v52, v53
	v_cndmask_b32_e64 v53, 1, 2, vcc
	v_cmp_eq_u32_e32 vcc, 0, v67
	v_add_u32_e32 v45, v46, v68
	v_and_b32_e32 v52, v52, v53
	v_cndmask_b32_e64 v53, 1, 2, vcc
	v_cmp_eq_u32_e32 vcc, 0, v64
	v_add_u32_e32 v44, v45, v69
	v_and_b32_e32 v52, v52, v53
	v_cndmask_b32_e64 v53, 1, 2, vcc
	v_cmp_eq_u32_e32 vcc, 0, v65
	v_add_u32_e32 v43, v44, v66
	v_and_b32_e32 v52, v52, v53
	v_cndmask_b32_e64 v53, 1, 2, vcc
	v_cmp_eq_u32_e32 vcc, 0, v62
	v_add_u32_e32 v42, v43, v67
	v_and_b32_e32 v52, v52, v53
	v_cndmask_b32_e64 v53, 1, 2, vcc
	v_cmp_eq_u32_e32 vcc, 0, v63
	v_add_u32_e32 v41, v42, v64
	v_and_b32_e32 v52, v52, v53
	v_cndmask_b32_e64 v53, 1, 2, vcc
	v_cmp_eq_u32_e32 vcc, 0, v112
	v_add_u32_e32 v40, v41, v65
	v_and_b32_e32 v52, v52, v53
	v_cndmask_b32_e64 v53, 1, 2, vcc
	v_cmp_eq_u32_e32 vcc, 0, v61
	v_add_u32_e32 v39, v40, v62
	v_and_b32_e32 v52, v52, v53
	v_cndmask_b32_e64 v53, 1, 2, vcc
	v_cmp_eq_u32_e32 vcc, 0, v1
	v_add_u32_e32 v38, v39, v63
	v_and_b32_e32 v52, v52, v53
	v_cndmask_b32_e64 v53, 1, 2, vcc
	s_movk_i32 s30, 0x100
	v_add_u32_e32 v37, v38, v112
	v_and_b32_e32 v52, v52, v53
	v_cmp_gt_u32_e32 vcc, s30, v60
	v_add_u32_e32 v36, v37, v61
	v_cmp_ne_u32_e64 s[28:29], 0, v74
	v_cmp_ne_u32_e64 s[26:27], 0, v75
	;; [unrolled: 1-line block ×15, first 2 shown]
	s_mov_b64 s[36:37], -1
	v_cmp_gt_i16_e64 s[30:31], 2, v52
	s_cbranch_vccz .LBB71_220
; %bb.214:
	s_and_saveexec_b64 s[36:37], s[30:31]
	s_cbranch_execz .LBB71_219
; %bb.215:
	v_cmp_ne_u16_e32 vcc, 1, v52
	s_mov_b64 s[38:39], 0
	s_and_saveexec_b64 s[30:31], vcc
	s_xor_b64 s[30:31], exec, s[30:31]
	s_cbranch_execnz .LBB71_285
; %bb.216:
	s_andn2_saveexec_b64 s[30:31], s[30:31]
	s_cbranch_execnz .LBB71_301
.LBB71_217:
	s_or_b64 exec, exec, s[30:31]
	s_and_b64 exec, exec, s[38:39]
	s_cbranch_execz .LBB71_219
.LBB71_218:
	v_sub_u32_e32 v54, v36, v78
	v_mov_b32_e32 v55, 0
	v_lshlrev_b64 v[54:55], 3, v[54:55]
	v_add_co_u32_e32 v54, vcc, v50, v54
	v_addc_co_u32_e32 v55, vcc, v51, v55, vcc
	global_store_dwordx2 v[54:55], v[58:59], off
.LBB71_219:
	s_or_b64 exec, exec, s[36:37]
	s_mov_b64 s[36:37], 0
.LBB71_220:
	s_and_b64 vcc, exec, s[36:37]
	s_cbranch_vccz .LBB71_230
; %bb.221:
	v_cmp_gt_i16_e32 vcc, 2, v52
	s_and_saveexec_b64 s[30:31], vcc
	s_cbranch_execz .LBB71_226
; %bb.222:
	v_cmp_ne_u16_e32 vcc, 1, v52
	s_mov_b64 s[38:39], 0
	s_and_saveexec_b64 s[36:37], vcc
	s_xor_b64 s[36:37], exec, s[36:37]
	s_cbranch_execnz .LBB71_302
; %bb.223:
	s_andn2_saveexec_b64 s[0:1], s[36:37]
	s_cbranch_execnz .LBB71_318
.LBB71_224:
	s_or_b64 exec, exec, s[0:1]
	s_and_b64 exec, exec, s[38:39]
	s_cbranch_execz .LBB71_226
.LBB71_225:
	v_sub_u32_e32 v2, v36, v78
	v_lshlrev_b32_e32 v2, 3, v2
	ds_write_b64 v2, v[58:59]
.LBB71_226:
	s_or_b64 exec, exec, s[30:31]
	v_cmp_lt_u32_e32 vcc, v0, v60
	s_waitcnt lgkmcnt(0)
	s_barrier
	s_and_saveexec_b64 s[0:1], vcc
	s_cbranch_execz .LBB71_229
; %bb.227:
	v_lshlrev_b32_e32 v4, 3, v0
	s_mov_b64 s[2:3], 0
	v_mov_b32_e32 v3, 0
	v_mov_b32_e32 v2, v0
.LBB71_228:                             ; =>This Inner Loop Header: Depth=1
	v_lshlrev_b64 v[6:7], 3, v[2:3]
	ds_read_b64 v[8:9], v4
	v_add_co_u32_e32 v6, vcc, v50, v6
	v_add_u32_e32 v2, 0x100, v2
	v_addc_co_u32_e32 v7, vcc, v51, v7, vcc
	v_cmp_ge_u32_e32 vcc, v2, v60
	v_add_u32_e32 v4, 0x800, v4
	s_or_b64 s[2:3], vcc, s[2:3]
	s_waitcnt lgkmcnt(0)
	global_store_dwordx2 v[6:7], v[8:9], off
	s_andn2_b64 exec, exec, s[2:3]
	s_cbranch_execnz .LBB71_228
.LBB71_229:
	s_or_b64 exec, exec, s[0:1]
.LBB71_230:
	s_cmpk_lg_i32 s33, 0xf00
	s_cselect_b64 s[0:1], -1, 0
	v_cndmask_b32_e64 v2, 0, 1, s[44:45]
	s_and_b64 s[0:1], s[34:35], s[0:1]
	v_cmp_eq_u32_e32 vcc, 0, v0
	v_sub_u32_e32 v3, v60, v2
	v_cndmask_b32_e64 v4, 0, 1, s[0:1]
	s_and_b64 s[0:1], vcc, s[44:45]
	v_add_u32_e32 v4, v3, v4
	v_cndmask_b32_e64 v3, v74, 0, s[0:1]
	s_mul_hi_u32 s0, s33, 0x88888889
	s_lshr_b32 s0, s0, 3
	v_mad_i32_i24 v5, v0, -15, s33
	v_cmp_eq_u32_e32 vcc, s0, v0
	v_cmp_ne_u32_e64 s[0:1], 0, v5
	v_cndmask_b32_e64 v6, 1, v3, s[0:1]
	v_cmp_ne_u32_e64 s[0:1], 1, v5
	v_cndmask_b32_e64 v7, 1, v75, s[0:1]
	;; [unrolled: 2-line block ×15, first 2 shown]
	s_and_b64 vcc, s[34:35], vcc
	v_cndmask_b32_e32 v20, v1, v5, vcc
	v_cndmask_b32_e32 v19, v61, v19, vcc
	;; [unrolled: 1-line block ×15, first 2 shown]
	v_mov_b32_e32 v1, s61
	v_add_co_u32_e32 v5, vcc, s60, v32
	v_addc_co_u32_e32 v6, vcc, v1, v33, vcc
	v_add_co_u32_e32 v1, vcc, v5, v34
	v_addc_co_u32_e32 v5, vcc, v6, v35, vcc
	v_lshlrev_b32_e32 v6, 3, v2
	v_add_co_u32_e32 v6, vcc, v6, v1
	v_addc_co_u32_e32 v7, vcc, 0, v5, vcc
	v_add_co_u32_e32 v6, vcc, -8, v6
	v_addc_co_u32_e32 v7, vcc, -1, v7, vcc
	v_cmp_eq_u32_e32 vcc, 0, v3
	v_cmp_ne_u32_e64 s[28:29], 0, v3
	v_cndmask_b32_e64 v3, 1, 2, vcc
	v_cmp_eq_u32_e32 vcc, 0, v21
	v_cmp_ne_u32_e64 s[26:27], 0, v21
	v_cndmask_b32_e64 v21, 1, 2, vcc
	v_cmp_eq_u32_e32 vcc, 0, v8
	v_and_b32_e32 v3, v21, v3
	v_cmp_ne_u32_e64 s[24:25], 0, v8
	v_cndmask_b32_e64 v8, 1, 2, vcc
	v_cmp_eq_u32_e32 vcc, 0, v9
	v_and_b32_e32 v3, v3, v8
	v_cndmask_b32_e64 v8, 1, 2, vcc
	v_cmp_eq_u32_e32 vcc, 0, v10
	v_and_b32_e32 v3, v3, v8
	;; [unrolled: 3-line block ×12, first 2 shown]
	v_cndmask_b32_e64 v8, 1, 2, vcc
	s_movk_i32 s30, 0x100
	v_and_b32_e32 v3, v3, v8
	v_cmp_gt_u32_e32 vcc, s30, v4
	v_add_u32_e32 v2, v78, v2
	v_cmp_ne_u32_e64 s[22:23], 0, v9
	v_cmp_ne_u32_e64 s[20:21], 0, v10
	;; [unrolled: 1-line block ×12, first 2 shown]
	s_mov_b64 s[36:37], -1
	v_cmp_gt_i16_e64 s[30:31], 2, v3
	s_barrier
	s_cbranch_vccz .LBB71_237
; %bb.231:
	s_and_saveexec_b64 s[36:37], s[30:31]
	s_cbranch_execz .LBB71_236
; %bb.232:
	v_cmp_ne_u16_e32 vcc, 1, v3
	s_mov_b64 s[38:39], 0
	s_and_saveexec_b64 s[30:31], vcc
	s_xor_b64 s[30:31], exec, s[30:31]
	s_cbranch_execnz .LBB71_319
; %bb.233:
	s_andn2_saveexec_b64 s[30:31], s[30:31]
	s_cbranch_execnz .LBB71_335
.LBB71_234:
	s_or_b64 exec, exec, s[30:31]
	s_and_b64 exec, exec, s[38:39]
	s_cbranch_execz .LBB71_236
.LBB71_235:
	v_sub_u32_e32 v8, v36, v2
	v_mov_b32_e32 v9, 0
	v_lshlrev_b64 v[8:9], 3, v[8:9]
	v_add_co_u32_e32 v8, vcc, v6, v8
	v_addc_co_u32_e32 v9, vcc, v7, v9, vcc
	global_store_dwordx2 v[8:9], v[80:81], off
.LBB71_236:
	s_or_b64 exec, exec, s[36:37]
	s_mov_b64 s[36:37], 0
.LBB71_237:
	s_and_b64 vcc, exec, s[36:37]
	s_cbranch_vccz .LBB71_247
; %bb.238:
	v_cmp_gt_i16_e32 vcc, 2, v3
	s_and_saveexec_b64 s[30:31], vcc
	s_cbranch_execz .LBB71_243
; %bb.239:
	v_cmp_ne_u16_e32 vcc, 1, v3
	s_mov_b64 s[38:39], 0
	s_and_saveexec_b64 s[36:37], vcc
	s_xor_b64 s[36:37], exec, s[36:37]
	s_cbranch_execnz .LBB71_336
; %bb.240:
	s_andn2_saveexec_b64 s[0:1], s[36:37]
	s_cbranch_execnz .LBB71_352
.LBB71_241:
	s_or_b64 exec, exec, s[0:1]
	s_and_b64 exec, exec, s[38:39]
	s_cbranch_execz .LBB71_243
.LBB71_242:
	v_sub_u32_e32 v2, v36, v2
	v_lshlrev_b32_e32 v2, 3, v2
	ds_write_b64 v2, v[80:81]
.LBB71_243:
	s_or_b64 exec, exec, s[30:31]
	v_cmp_lt_u32_e32 vcc, v0, v4
	s_waitcnt lgkmcnt(0)
	s_barrier
	s_and_saveexec_b64 s[0:1], vcc
	s_cbranch_execz .LBB71_246
; %bb.244:
	v_lshlrev_b32_e32 v8, 3, v0
	s_mov_b64 s[2:3], 0
	v_mov_b32_e32 v3, 0
	v_mov_b32_e32 v2, v0
.LBB71_245:                             ; =>This Inner Loop Header: Depth=1
	v_lshlrev_b64 v[10:11], 3, v[2:3]
	ds_read_b64 v[12:13], v8
	v_add_co_u32_e32 v10, vcc, v6, v10
	v_add_u32_e32 v2, 0x100, v2
	v_addc_co_u32_e32 v11, vcc, v7, v11, vcc
	v_cmp_ge_u32_e32 vcc, v2, v4
	v_add_u32_e32 v8, 0x800, v8
	s_or_b64 s[2:3], vcc, s[2:3]
	s_waitcnt lgkmcnt(0)
	global_store_dwordx2 v[10:11], v[12:13], off
	s_andn2_b64 exec, exec, s[2:3]
	s_cbranch_execnz .LBB71_245
.LBB71_246:
	s_or_b64 exec, exec, s[0:1]
.LBB71_247:
	s_movk_i32 s0, 0xff
	v_cmp_eq_u32_e32 vcc, s0, v0
	s_and_b64 s[0:1], vcc, s[34:35]
	s_and_saveexec_b64 s[2:3], s[0:1]
	s_cbranch_execz .LBB71_250
; %bb.248:
	v_add_co_u32_e32 v0, vcc, v60, v78
	v_addc_co_u32_e64 v3, s[0:1], 0, 0, vcc
	v_add_co_u32_e32 v2, vcc, v0, v30
	v_mov_b32_e32 v61, 0
	v_addc_co_u32_e32 v3, vcc, v3, v31, vcc
	s_cmpk_lg_i32 s33, 0xf00
	global_store_dwordx2 v61, v[2:3], s[62:63]
	s_cbranch_scc1 .LBB71_250
; %bb.249:
	v_lshlrev_b64 v[2:3], 3, v[60:61]
	v_add_co_u32_e32 v0, vcc, v1, v2
	v_addc_co_u32_e32 v1, vcc, v5, v3, vcc
	global_store_dwordx2 v[0:1], v[76:77], off offset:-8
.LBB71_250:
	s_endpgm
.LBB71_251:
                                        ; implicit-def: $sgpr4_sgpr5
                                        ; implicit-def: $vgpr1
                                        ; implicit-def: $vgpr61
                                        ; implicit-def: $vgpr112
                                        ; implicit-def: $vgpr63
                                        ; implicit-def: $vgpr62
                                        ; implicit-def: $vgpr65
                                        ; implicit-def: $vgpr64
                                        ; implicit-def: $vgpr67
                                        ; implicit-def: $vgpr66
                                        ; implicit-def: $vgpr69
                                        ; implicit-def: $vgpr68
                                        ; implicit-def: $vgpr71
                                        ; implicit-def: $vgpr70
                                        ; implicit-def: $vgpr75
	s_cbranch_execz .LBB71_109
.LBB71_252:
	v_mad_u32_u24 v60, v0, 15, 14
	v_mov_b32_e32 v61, 0
	v_lshlrev_b32_e32 v78, 3, v0
	s_waitcnt vmcnt(0) lgkmcnt(0)
	v_mul_u32_u24_e32 v76, 15, v0
	v_cmp_gt_u64_e32 vcc, s[2:3], v[60:61]
	v_mov_b32_e32 v1, 0
	ds_write_b64 v78, v[58:59]
	s_and_saveexec_b64 s[4:5], vcc
	s_cbranch_execz .LBB71_254
; %bb.253:
	v_cvt_i32_f64_e32 v60, v[4:5]
	s_mov_b32 s7, 0x66666667
	v_cvt_i32_f64_e32 v1, v[58:59]
	v_mul_hi_i32 v60, v60, s7
	v_lshrrev_b32_e32 v62, 31, v60
	v_ashrrev_i32_e32 v60, 2, v60
	v_mul_hi_i32 v1, v1, s7
	v_add_u32_e32 v60, v60, v62
	v_lshrrev_b32_e32 v62, 31, v1
	v_ashrrev_i32_e32 v1, 2, v1
	v_add_u32_e32 v1, v1, v62
	v_cmp_ne_u32_e32 vcc, v60, v1
	v_cndmask_b32_e64 v1, 0, 1, vcc
.LBB71_254:
	s_or_b64 exec, exec, s[4:5]
	v_add_u32_e32 v60, 13, v76
	v_cmp_gt_u64_e32 vcc, s[2:3], v[60:61]
	s_and_saveexec_b64 s[4:5], vcc
	s_cbranch_execz .LBB71_256
; %bb.255:
	v_cvt_i32_f64_e32 v61, v[2:3]
	s_mov_b32 s7, 0x66666667
	v_cvt_i32_f64_e32 v60, v[4:5]
	v_mul_hi_i32 v61, v61, s7
	v_lshrrev_b32_e32 v62, 31, v61
	v_ashrrev_i32_e32 v61, 2, v61
	v_mul_hi_i32 v60, v60, s7
	v_add_u32_e32 v61, v61, v62
	v_lshrrev_b32_e32 v62, 31, v60
	v_ashrrev_i32_e32 v60, 2, v60
	v_add_u32_e32 v60, v60, v62
	v_cmp_ne_u32_e32 vcc, v61, v60
	v_cndmask_b32_e64 v61, 0, 1, vcc
.LBB71_256:
	s_or_b64 exec, exec, s[4:5]
	v_add_u32_e32 v62, 12, v76
	v_mov_b32_e32 v63, 0
	v_cmp_gt_u64_e32 vcc, s[2:3], v[62:63]
	v_mov_b32_e32 v112, 0
	s_and_saveexec_b64 s[4:5], vcc
	s_cbranch_execz .LBB71_258
; %bb.257:
	v_cvt_i32_f64_e32 v62, v[8:9]
	s_mov_b32 s7, 0x66666667
	v_cvt_i32_f64_e32 v60, v[2:3]
	v_mul_hi_i32 v62, v62, s7
	v_lshrrev_b32_e32 v64, 31, v62
	v_ashrrev_i32_e32 v62, 2, v62
	v_mul_hi_i32 v60, v60, s7
	v_add_u32_e32 v62, v62, v64
	v_lshrrev_b32_e32 v64, 31, v60
	v_ashrrev_i32_e32 v60, 2, v60
	v_add_u32_e32 v60, v60, v64
	v_cmp_ne_u32_e32 vcc, v62, v60
	v_cndmask_b32_e64 v112, 0, 1, vcc
.LBB71_258:
	s_or_b64 exec, exec, s[4:5]
	v_add_u32_e32 v62, 11, v76
	v_cmp_gt_u64_e32 vcc, s[2:3], v[62:63]
	s_and_saveexec_b64 s[4:5], vcc
	s_cbranch_execz .LBB71_260
; %bb.259:
	v_cvt_i32_f64_e32 v62, v[6:7]
	s_mov_b32 s7, 0x66666667
	v_cvt_i32_f64_e32 v60, v[8:9]
	v_mul_hi_i32 v62, v62, s7
	v_lshrrev_b32_e32 v63, 31, v62
	v_ashrrev_i32_e32 v62, 2, v62
	v_mul_hi_i32 v60, v60, s7
	v_add_u32_e32 v62, v62, v63
	v_lshrrev_b32_e32 v63, 31, v60
	v_ashrrev_i32_e32 v60, 2, v60
	v_add_u32_e32 v60, v60, v63
	v_cmp_ne_u32_e32 vcc, v62, v60
	v_cndmask_b32_e64 v63, 0, 1, vcc
.LBB71_260:
	s_or_b64 exec, exec, s[4:5]
	v_add_u32_e32 v64, 10, v76
	v_mov_b32_e32 v65, 0
	v_cmp_gt_u64_e32 vcc, s[2:3], v[64:65]
	v_mov_b32_e32 v62, 0
	;; [unrolled: 42-line block ×6, first 2 shown]
	s_and_saveexec_b64 s[4:5], vcc
	s_cbranch_execz .LBB71_278
; %bb.277:
	v_cvt_i32_f64_e32 v70, v[28:29]
	s_mov_b32 s7, 0x66666667
	v_cvt_i32_f64_e32 v60, v[22:23]
	v_mul_hi_i32 v70, v70, s7
	v_lshrrev_b32_e32 v74, 31, v70
	v_ashrrev_i32_e32 v70, 2, v70
	v_mul_hi_i32 v60, v60, s7
	v_add_u32_e32 v70, v70, v74
	v_lshrrev_b32_e32 v74, 31, v60
	v_ashrrev_i32_e32 v60, 2, v60
	v_add_u32_e32 v60, v60, v74
	v_cmp_ne_u32_e32 vcc, v70, v60
	v_cndmask_b32_e64 v70, 0, 1, vcc
.LBB71_278:
	s_or_b64 exec, exec, s[4:5]
	v_add_u32_e32 v74, 1, v76
	v_cmp_gt_u64_e32 vcc, s[2:3], v[74:75]
	s_and_saveexec_b64 s[4:5], vcc
	s_cbranch_execz .LBB71_280
; %bb.279:
	v_cvt_i32_f64_e32 v74, v[26:27]
	s_mov_b32 s7, 0x66666667
	v_cvt_i32_f64_e32 v60, v[28:29]
	v_mul_hi_i32 v74, v74, s7
	v_lshrrev_b32_e32 v75, 31, v74
	v_ashrrev_i32_e32 v74, 2, v74
	v_mul_hi_i32 v60, v60, s7
	v_add_u32_e32 v74, v74, v75
	v_lshrrev_b32_e32 v75, 31, v60
	v_ashrrev_i32_e32 v60, 2, v60
	v_add_u32_e32 v60, v60, v75
	v_cmp_ne_u32_e32 vcc, v74, v60
	v_cndmask_b32_e64 v75, 0, 1, vcc
.LBB71_280:
	s_or_b64 exec, exec, s[4:5]
	v_cmp_ne_u32_e32 vcc, 0, v0
	s_waitcnt lgkmcnt(0)
	s_barrier
	s_waitcnt lgkmcnt(0)
                                        ; implicit-def: $sgpr4_sgpr5
	s_and_saveexec_b64 s[8:9], vcc
	s_cbranch_execz .LBB71_284
; %bb.281:
	v_mov_b32_e32 v77, 0
	v_cmp_gt_u64_e32 vcc, s[2:3], v[76:77]
	s_mov_b64 s[4:5], 0
	s_and_saveexec_b64 s[2:3], vcc
	s_cbranch_execz .LBB71_283
; %bb.282:
	v_add_u32_e32 v60, -8, v78
	ds_read_b64 v[76:77], v60
	s_mov_b32 s4, 0x66666667
	v_cvt_i32_f64_e32 v60, v[26:27]
	v_mul_hi_i32 v60, v60, s4
	s_waitcnt lgkmcnt(0)
	v_cvt_i32_f64_e32 v74, v[76:77]
	v_mul_hi_i32 v74, v74, s4
	v_lshrrev_b32_e32 v76, 31, v74
	v_ashrrev_i32_e32 v74, 2, v74
	v_add_u32_e32 v74, v74, v76
	v_lshrrev_b32_e32 v76, 31, v60
	v_ashrrev_i32_e32 v60, 2, v60
	v_add_u32_e32 v60, v60, v76
	v_cmp_ne_u32_e32 vcc, v74, v60
	s_and_b64 s[4:5], vcc, exec
.LBB71_283:
	s_or_b64 exec, exec, s[2:3]
	s_and_b64 s[4:5], s[4:5], exec
	s_or_b64 s[0:1], s[0:1], exec
.LBB71_284:
	s_or_b64 exec, exec, s[8:9]
	s_mov_b32 s8, 1
	v_mov_b32_e32 v74, s8
	s_and_saveexec_b64 s[2:3], s[0:1]
	s_cbranch_execnz .LBB71_111
	s_branch .LBB71_112
.LBB71_285:
	s_and_saveexec_b64 s[38:39], s[28:29]
	s_cbranch_execnz .LBB71_353
; %bb.286:
	s_or_b64 exec, exec, s[38:39]
	s_and_saveexec_b64 s[38:39], s[26:27]
	s_cbranch_execnz .LBB71_354
.LBB71_287:
	s_or_b64 exec, exec, s[38:39]
	s_and_saveexec_b64 s[38:39], s[24:25]
	s_cbranch_execnz .LBB71_355
.LBB71_288:
	s_or_b64 exec, exec, s[38:39]
	s_and_saveexec_b64 s[38:39], s[22:23]
	s_cbranch_execnz .LBB71_356
.LBB71_289:
	s_or_b64 exec, exec, s[38:39]
	s_and_saveexec_b64 s[38:39], s[20:21]
	s_cbranch_execnz .LBB71_357
.LBB71_290:
	s_or_b64 exec, exec, s[38:39]
	s_and_saveexec_b64 s[38:39], s[18:19]
	s_cbranch_execnz .LBB71_358
.LBB71_291:
	s_or_b64 exec, exec, s[38:39]
	s_and_saveexec_b64 s[38:39], s[16:17]
	s_cbranch_execnz .LBB71_359
.LBB71_292:
	s_or_b64 exec, exec, s[38:39]
	s_and_saveexec_b64 s[38:39], s[14:15]
	s_cbranch_execnz .LBB71_360
.LBB71_293:
	s_or_b64 exec, exec, s[38:39]
	s_and_saveexec_b64 s[38:39], s[12:13]
	s_cbranch_execnz .LBB71_361
.LBB71_294:
	s_or_b64 exec, exec, s[38:39]
	s_and_saveexec_b64 s[38:39], s[10:11]
	s_cbranch_execnz .LBB71_362
.LBB71_295:
	s_or_b64 exec, exec, s[38:39]
	s_and_saveexec_b64 s[38:39], s[8:9]
	s_cbranch_execnz .LBB71_363
.LBB71_296:
	s_or_b64 exec, exec, s[38:39]
	s_and_saveexec_b64 s[38:39], s[6:7]
	s_cbranch_execnz .LBB71_364
.LBB71_297:
	s_or_b64 exec, exec, s[38:39]
	s_and_saveexec_b64 s[38:39], s[4:5]
	s_cbranch_execnz .LBB71_365
.LBB71_298:
	s_or_b64 exec, exec, s[38:39]
	s_and_saveexec_b64 s[38:39], s[2:3]
	s_cbranch_execz .LBB71_300
.LBB71_299:
	v_sub_u32_e32 v54, v37, v78
	v_mov_b32_e32 v55, 0
	v_lshlrev_b64 v[54:55], 3, v[54:55]
	v_add_co_u32_e32 v54, vcc, v50, v54
	v_addc_co_u32_e32 v55, vcc, v51, v55, vcc
	global_store_dwordx2 v[54:55], v[4:5], off
.LBB71_300:
	s_or_b64 exec, exec, s[38:39]
	s_and_b64 s[38:39], s[0:1], exec
	s_andn2_saveexec_b64 s[30:31], s[30:31]
	s_cbranch_execz .LBB71_217
.LBB71_301:
	v_sub_u32_e32 v54, v113, v78
	v_mov_b32_e32 v55, 0
	v_lshlrev_b64 v[56:57], 3, v[54:55]
	v_add_co_u32_e32 v56, vcc, v50, v56
	v_addc_co_u32_e32 v57, vcc, v51, v57, vcc
	v_sub_u32_e32 v54, v49, v78
	global_store_dwordx2 v[56:57], v[26:27], off
	v_lshlrev_b64 v[56:57], 3, v[54:55]
	v_add_co_u32_e32 v56, vcc, v50, v56
	v_addc_co_u32_e32 v57, vcc, v51, v57, vcc
	v_sub_u32_e32 v54, v48, v78
	global_store_dwordx2 v[56:57], v[28:29], off
	v_lshlrev_b64 v[56:57], 3, v[54:55]
	v_add_co_u32_e32 v56, vcc, v50, v56
	v_addc_co_u32_e32 v57, vcc, v51, v57, vcc
	v_sub_u32_e32 v54, v47, v78
	global_store_dwordx2 v[56:57], v[22:23], off
	v_lshlrev_b64 v[56:57], 3, v[54:55]
	v_add_co_u32_e32 v56, vcc, v50, v56
	v_addc_co_u32_e32 v57, vcc, v51, v57, vcc
	v_sub_u32_e32 v54, v46, v78
	global_store_dwordx2 v[56:57], v[24:25], off
	v_lshlrev_b64 v[56:57], 3, v[54:55]
	v_add_co_u32_e32 v56, vcc, v50, v56
	v_addc_co_u32_e32 v57, vcc, v51, v57, vcc
	v_sub_u32_e32 v54, v45, v78
	global_store_dwordx2 v[56:57], v[18:19], off
	v_lshlrev_b64 v[56:57], 3, v[54:55]
	v_add_co_u32_e32 v56, vcc, v50, v56
	v_addc_co_u32_e32 v57, vcc, v51, v57, vcc
	v_sub_u32_e32 v54, v44, v78
	global_store_dwordx2 v[56:57], v[20:21], off
	v_lshlrev_b64 v[56:57], 3, v[54:55]
	v_add_co_u32_e32 v56, vcc, v50, v56
	v_addc_co_u32_e32 v57, vcc, v51, v57, vcc
	v_sub_u32_e32 v54, v43, v78
	global_store_dwordx2 v[56:57], v[14:15], off
	v_lshlrev_b64 v[56:57], 3, v[54:55]
	v_add_co_u32_e32 v56, vcc, v50, v56
	v_addc_co_u32_e32 v57, vcc, v51, v57, vcc
	v_sub_u32_e32 v54, v42, v78
	global_store_dwordx2 v[56:57], v[16:17], off
	v_lshlrev_b64 v[56:57], 3, v[54:55]
	v_add_co_u32_e32 v56, vcc, v50, v56
	v_addc_co_u32_e32 v57, vcc, v51, v57, vcc
	v_sub_u32_e32 v54, v41, v78
	global_store_dwordx2 v[56:57], v[10:11], off
	v_lshlrev_b64 v[56:57], 3, v[54:55]
	v_add_co_u32_e32 v56, vcc, v50, v56
	v_addc_co_u32_e32 v57, vcc, v51, v57, vcc
	v_sub_u32_e32 v54, v40, v78
	global_store_dwordx2 v[56:57], v[12:13], off
	v_lshlrev_b64 v[56:57], 3, v[54:55]
	v_add_co_u32_e32 v56, vcc, v50, v56
	v_addc_co_u32_e32 v57, vcc, v51, v57, vcc
	v_sub_u32_e32 v54, v39, v78
	global_store_dwordx2 v[56:57], v[6:7], off
	v_lshlrev_b64 v[56:57], 3, v[54:55]
	v_add_co_u32_e32 v56, vcc, v50, v56
	v_addc_co_u32_e32 v57, vcc, v51, v57, vcc
	v_sub_u32_e32 v54, v38, v78
	global_store_dwordx2 v[56:57], v[8:9], off
	v_lshlrev_b64 v[56:57], 3, v[54:55]
	v_add_co_u32_e32 v56, vcc, v50, v56
	v_sub_u32_e32 v54, v37, v78
	v_addc_co_u32_e32 v57, vcc, v51, v57, vcc
	v_lshlrev_b64 v[54:55], 3, v[54:55]
	v_add_co_u32_e32 v54, vcc, v50, v54
	v_addc_co_u32_e32 v55, vcc, v51, v55, vcc
	s_or_b64 s[38:39], s[38:39], exec
	global_store_dwordx2 v[56:57], v[2:3], off
	global_store_dwordx2 v[54:55], v[4:5], off
	s_or_b64 exec, exec, s[30:31]
	s_and_b64 exec, exec, s[38:39]
	s_cbranch_execnz .LBB71_218
	s_branch .LBB71_219
.LBB71_302:
	s_and_saveexec_b64 s[38:39], s[28:29]
	s_cbranch_execnz .LBB71_366
; %bb.303:
	s_or_b64 exec, exec, s[38:39]
	s_and_saveexec_b64 s[28:29], s[26:27]
	s_cbranch_execnz .LBB71_367
.LBB71_304:
	s_or_b64 exec, exec, s[28:29]
	s_and_saveexec_b64 s[26:27], s[24:25]
	s_cbranch_execnz .LBB71_368
.LBB71_305:
	s_or_b64 exec, exec, s[26:27]
	s_and_saveexec_b64 s[24:25], s[22:23]
	s_cbranch_execnz .LBB71_369
.LBB71_306:
	s_or_b64 exec, exec, s[24:25]
	s_and_saveexec_b64 s[22:23], s[20:21]
	s_cbranch_execnz .LBB71_370
.LBB71_307:
	s_or_b64 exec, exec, s[22:23]
	s_and_saveexec_b64 s[20:21], s[18:19]
	s_cbranch_execnz .LBB71_371
.LBB71_308:
	s_or_b64 exec, exec, s[20:21]
	s_and_saveexec_b64 s[18:19], s[16:17]
	s_cbranch_execnz .LBB71_372
.LBB71_309:
	s_or_b64 exec, exec, s[18:19]
	s_and_saveexec_b64 s[16:17], s[14:15]
	s_cbranch_execnz .LBB71_373
.LBB71_310:
	s_or_b64 exec, exec, s[16:17]
	s_and_saveexec_b64 s[14:15], s[12:13]
	s_cbranch_execnz .LBB71_374
.LBB71_311:
	s_or_b64 exec, exec, s[14:15]
	s_and_saveexec_b64 s[12:13], s[10:11]
	s_cbranch_execnz .LBB71_375
.LBB71_312:
	s_or_b64 exec, exec, s[12:13]
	s_and_saveexec_b64 s[10:11], s[8:9]
	s_cbranch_execnz .LBB71_376
.LBB71_313:
	s_or_b64 exec, exec, s[10:11]
	s_and_saveexec_b64 s[8:9], s[6:7]
	s_cbranch_execnz .LBB71_377
.LBB71_314:
	s_or_b64 exec, exec, s[8:9]
	s_and_saveexec_b64 s[6:7], s[4:5]
	s_cbranch_execnz .LBB71_378
.LBB71_315:
	s_or_b64 exec, exec, s[6:7]
	s_and_saveexec_b64 s[4:5], s[2:3]
	s_cbranch_execz .LBB71_317
.LBB71_316:
	v_sub_u32_e32 v2, v37, v78
	v_lshlrev_b32_e32 v2, 3, v2
	ds_write_b64 v2, v[4:5]
.LBB71_317:
	s_or_b64 exec, exec, s[4:5]
	s_and_b64 s[38:39], s[0:1], exec
                                        ; implicit-def: $vgpr26_vgpr27_vgpr28_vgpr29
                                        ; implicit-def: $vgpr22_vgpr23_vgpr24_vgpr25
                                        ; implicit-def: $vgpr18_vgpr19_vgpr20_vgpr21
                                        ; implicit-def: $vgpr14_vgpr15_vgpr16_vgpr17
                                        ; implicit-def: $vgpr10_vgpr11_vgpr12_vgpr13
                                        ; implicit-def: $vgpr6_vgpr7_vgpr8_vgpr9
                                        ; implicit-def: $vgpr2_vgpr3_vgpr4_vgpr5
	s_andn2_saveexec_b64 s[0:1], s[36:37]
	s_cbranch_execz .LBB71_224
.LBB71_318:
	v_sub_u32_e32 v52, v113, v78
	v_lshlrev_b32_e32 v52, 3, v52
	ds_write_b64 v52, v[26:27]
	v_sub_u32_e32 v26, v49, v78
	v_lshlrev_b32_e32 v26, 3, v26
	ds_write_b64 v26, v[28:29]
	;; [unrolled: 3-line block ×13, first 2 shown]
	v_sub_u32_e32 v2, v37, v78
	v_lshlrev_b32_e32 v2, 3, v2
	s_or_b64 s[38:39], s[38:39], exec
	ds_write_b64 v2, v[4:5]
	s_or_b64 exec, exec, s[0:1]
	s_and_b64 exec, exec, s[38:39]
	s_cbranch_execnz .LBB71_225
	s_branch .LBB71_226
.LBB71_319:
	s_and_saveexec_b64 s[38:39], s[28:29]
	s_cbranch_execnz .LBB71_379
; %bb.320:
	s_or_b64 exec, exec, s[38:39]
	s_and_saveexec_b64 s[38:39], s[26:27]
	s_cbranch_execnz .LBB71_380
.LBB71_321:
	s_or_b64 exec, exec, s[38:39]
	s_and_saveexec_b64 s[38:39], s[24:25]
	s_cbranch_execnz .LBB71_381
.LBB71_322:
	s_or_b64 exec, exec, s[38:39]
	s_and_saveexec_b64 s[38:39], s[22:23]
	s_cbranch_execnz .LBB71_382
.LBB71_323:
	s_or_b64 exec, exec, s[38:39]
	s_and_saveexec_b64 s[38:39], s[20:21]
	s_cbranch_execnz .LBB71_383
.LBB71_324:
	s_or_b64 exec, exec, s[38:39]
	s_and_saveexec_b64 s[38:39], s[18:19]
	s_cbranch_execnz .LBB71_384
.LBB71_325:
	s_or_b64 exec, exec, s[38:39]
	s_and_saveexec_b64 s[38:39], s[16:17]
	s_cbranch_execnz .LBB71_385
.LBB71_326:
	s_or_b64 exec, exec, s[38:39]
	s_and_saveexec_b64 s[38:39], s[14:15]
	s_cbranch_execnz .LBB71_386
.LBB71_327:
	s_or_b64 exec, exec, s[38:39]
	s_and_saveexec_b64 s[38:39], s[12:13]
	s_cbranch_execnz .LBB71_387
.LBB71_328:
	s_or_b64 exec, exec, s[38:39]
	s_and_saveexec_b64 s[38:39], s[10:11]
	s_cbranch_execnz .LBB71_388
.LBB71_329:
	s_or_b64 exec, exec, s[38:39]
	s_and_saveexec_b64 s[38:39], s[8:9]
	s_cbranch_execnz .LBB71_389
.LBB71_330:
	s_or_b64 exec, exec, s[38:39]
	s_and_saveexec_b64 s[38:39], s[6:7]
	s_cbranch_execnz .LBB71_390
.LBB71_331:
	s_or_b64 exec, exec, s[38:39]
	s_and_saveexec_b64 s[38:39], s[4:5]
	s_cbranch_execnz .LBB71_391
.LBB71_332:
	s_or_b64 exec, exec, s[38:39]
	s_and_saveexec_b64 s[38:39], s[2:3]
	s_cbranch_execz .LBB71_334
.LBB71_333:
	v_sub_u32_e32 v8, v37, v2
	v_mov_b32_e32 v9, 0
	v_lshlrev_b64 v[8:9], 3, v[8:9]
	v_add_co_u32_e32 v8, vcc, v6, v8
	v_addc_co_u32_e32 v9, vcc, v7, v9, vcc
	global_store_dwordx2 v[8:9], v[82:83], off
.LBB71_334:
	s_or_b64 exec, exec, s[38:39]
	s_and_b64 s[38:39], s[0:1], exec
	s_andn2_saveexec_b64 s[30:31], s[30:31]
	s_cbranch_execz .LBB71_234
.LBB71_335:
	v_sub_u32_e32 v8, v113, v2
	v_mov_b32_e32 v9, 0
	v_lshlrev_b64 v[10:11], 3, v[8:9]
	v_add_co_u32_e32 v10, vcc, v6, v10
	v_addc_co_u32_e32 v11, vcc, v7, v11, vcc
	v_sub_u32_e32 v8, v49, v2
	global_store_dwordx2 v[10:11], v[108:109], off
	v_lshlrev_b64 v[10:11], 3, v[8:9]
	v_add_co_u32_e32 v10, vcc, v6, v10
	v_addc_co_u32_e32 v11, vcc, v7, v11, vcc
	v_sub_u32_e32 v8, v48, v2
	global_store_dwordx2 v[10:11], v[106:107], off
	;; [unrolled: 5-line block ×12, first 2 shown]
	v_lshlrev_b64 v[10:11], 3, v[8:9]
	v_add_co_u32_e32 v10, vcc, v6, v10
	v_sub_u32_e32 v8, v37, v2
	v_addc_co_u32_e32 v11, vcc, v7, v11, vcc
	v_lshlrev_b64 v[8:9], 3, v[8:9]
	v_add_co_u32_e32 v8, vcc, v6, v8
	v_addc_co_u32_e32 v9, vcc, v7, v9, vcc
	s_or_b64 s[38:39], s[38:39], exec
	global_store_dwordx2 v[10:11], v[84:85], off
	global_store_dwordx2 v[8:9], v[82:83], off
	s_or_b64 exec, exec, s[30:31]
	s_and_b64 exec, exec, s[38:39]
	s_cbranch_execnz .LBB71_235
	s_branch .LBB71_236
.LBB71_336:
	s_and_saveexec_b64 s[38:39], s[28:29]
	s_cbranch_execnz .LBB71_392
; %bb.337:
	s_or_b64 exec, exec, s[38:39]
	s_and_saveexec_b64 s[28:29], s[26:27]
	s_cbranch_execnz .LBB71_393
.LBB71_338:
	s_or_b64 exec, exec, s[28:29]
	s_and_saveexec_b64 s[26:27], s[24:25]
	s_cbranch_execnz .LBB71_394
.LBB71_339:
	s_or_b64 exec, exec, s[26:27]
	s_and_saveexec_b64 s[24:25], s[22:23]
	s_cbranch_execnz .LBB71_395
.LBB71_340:
	s_or_b64 exec, exec, s[24:25]
	s_and_saveexec_b64 s[22:23], s[20:21]
	s_cbranch_execnz .LBB71_396
.LBB71_341:
	s_or_b64 exec, exec, s[22:23]
	s_and_saveexec_b64 s[20:21], s[18:19]
	s_cbranch_execnz .LBB71_397
.LBB71_342:
	s_or_b64 exec, exec, s[20:21]
	s_and_saveexec_b64 s[18:19], s[16:17]
	s_cbranch_execnz .LBB71_398
.LBB71_343:
	s_or_b64 exec, exec, s[18:19]
	s_and_saveexec_b64 s[16:17], s[14:15]
	s_cbranch_execnz .LBB71_399
.LBB71_344:
	s_or_b64 exec, exec, s[16:17]
	s_and_saveexec_b64 s[14:15], s[12:13]
	s_cbranch_execnz .LBB71_400
.LBB71_345:
	s_or_b64 exec, exec, s[14:15]
	s_and_saveexec_b64 s[12:13], s[10:11]
	s_cbranch_execnz .LBB71_401
.LBB71_346:
	s_or_b64 exec, exec, s[12:13]
	s_and_saveexec_b64 s[10:11], s[8:9]
	s_cbranch_execnz .LBB71_402
.LBB71_347:
	s_or_b64 exec, exec, s[10:11]
	s_and_saveexec_b64 s[8:9], s[6:7]
	s_cbranch_execnz .LBB71_403
.LBB71_348:
	s_or_b64 exec, exec, s[8:9]
	s_and_saveexec_b64 s[6:7], s[4:5]
	s_cbranch_execnz .LBB71_404
.LBB71_349:
	s_or_b64 exec, exec, s[6:7]
	s_and_saveexec_b64 s[4:5], s[2:3]
	s_cbranch_execz .LBB71_351
.LBB71_350:
	v_sub_u32_e32 v3, v37, v2
	v_lshlrev_b32_e32 v3, 3, v3
	ds_write_b64 v3, v[82:83]
.LBB71_351:
	s_or_b64 exec, exec, s[4:5]
	s_and_b64 s[38:39], s[0:1], exec
                                        ; implicit-def: $vgpr108_vgpr109
                                        ; implicit-def: $vgpr106_vgpr107
                                        ; implicit-def: $vgpr104_vgpr105
                                        ; implicit-def: $vgpr102_vgpr103
                                        ; implicit-def: $vgpr100_vgpr101
                                        ; implicit-def: $vgpr98_vgpr99
                                        ; implicit-def: $vgpr96_vgpr97
                                        ; implicit-def: $vgpr94_vgpr95
                                        ; implicit-def: $vgpr92_vgpr93
                                        ; implicit-def: $vgpr90_vgpr91
                                        ; implicit-def: $vgpr88_vgpr89
                                        ; implicit-def: $vgpr86_vgpr87
                                        ; implicit-def: $vgpr84_vgpr85
                                        ; implicit-def: $vgpr82_vgpr83
                                        ; implicit-def: $vgpr113
                                        ; implicit-def: $vgpr49
                                        ; implicit-def: $vgpr48
                                        ; implicit-def: $vgpr47
                                        ; implicit-def: $vgpr46
                                        ; implicit-def: $vgpr45
                                        ; implicit-def: $vgpr44
                                        ; implicit-def: $vgpr43
                                        ; implicit-def: $vgpr42
                                        ; implicit-def: $vgpr41
                                        ; implicit-def: $vgpr40
                                        ; implicit-def: $vgpr39
                                        ; implicit-def: $vgpr38
                                        ; implicit-def: $vgpr37
	s_andn2_saveexec_b64 s[0:1], s[36:37]
	s_cbranch_execz .LBB71_241
.LBB71_352:
	v_sub_u32_e32 v3, v113, v2
	v_lshlrev_b32_e32 v3, 3, v3
	ds_write_b64 v3, v[108:109]
	v_sub_u32_e32 v3, v49, v2
	v_lshlrev_b32_e32 v3, 3, v3
	ds_write_b64 v3, v[106:107]
	;; [unrolled: 3-line block ×13, first 2 shown]
	v_sub_u32_e32 v3, v37, v2
	v_lshlrev_b32_e32 v3, 3, v3
	s_or_b64 s[38:39], s[38:39], exec
	ds_write_b64 v3, v[82:83]
	s_or_b64 exec, exec, s[0:1]
	s_and_b64 exec, exec, s[38:39]
	s_cbranch_execnz .LBB71_242
	s_branch .LBB71_243
.LBB71_353:
	v_sub_u32_e32 v54, v113, v78
	v_mov_b32_e32 v55, 0
	v_lshlrev_b64 v[54:55], 3, v[54:55]
	v_add_co_u32_e32 v54, vcc, v50, v54
	v_addc_co_u32_e32 v55, vcc, v51, v55, vcc
	global_store_dwordx2 v[54:55], v[26:27], off
	s_or_b64 exec, exec, s[38:39]
	s_and_saveexec_b64 s[38:39], s[26:27]
	s_cbranch_execz .LBB71_287
.LBB71_354:
	v_sub_u32_e32 v54, v49, v78
	v_mov_b32_e32 v55, 0
	v_lshlrev_b64 v[54:55], 3, v[54:55]
	v_add_co_u32_e32 v54, vcc, v50, v54
	v_addc_co_u32_e32 v55, vcc, v51, v55, vcc
	global_store_dwordx2 v[54:55], v[28:29], off
	s_or_b64 exec, exec, s[38:39]
	s_and_saveexec_b64 s[38:39], s[24:25]
	s_cbranch_execz .LBB71_288
.LBB71_355:
	v_sub_u32_e32 v54, v48, v78
	v_mov_b32_e32 v55, 0
	v_lshlrev_b64 v[54:55], 3, v[54:55]
	v_add_co_u32_e32 v54, vcc, v50, v54
	v_addc_co_u32_e32 v55, vcc, v51, v55, vcc
	global_store_dwordx2 v[54:55], v[22:23], off
	s_or_b64 exec, exec, s[38:39]
	s_and_saveexec_b64 s[38:39], s[22:23]
	s_cbranch_execz .LBB71_289
.LBB71_356:
	v_sub_u32_e32 v54, v47, v78
	v_mov_b32_e32 v55, 0
	v_lshlrev_b64 v[54:55], 3, v[54:55]
	v_add_co_u32_e32 v54, vcc, v50, v54
	v_addc_co_u32_e32 v55, vcc, v51, v55, vcc
	global_store_dwordx2 v[54:55], v[24:25], off
	s_or_b64 exec, exec, s[38:39]
	s_and_saveexec_b64 s[38:39], s[20:21]
	s_cbranch_execz .LBB71_290
.LBB71_357:
	v_sub_u32_e32 v54, v46, v78
	v_mov_b32_e32 v55, 0
	v_lshlrev_b64 v[54:55], 3, v[54:55]
	v_add_co_u32_e32 v54, vcc, v50, v54
	v_addc_co_u32_e32 v55, vcc, v51, v55, vcc
	global_store_dwordx2 v[54:55], v[18:19], off
	s_or_b64 exec, exec, s[38:39]
	s_and_saveexec_b64 s[38:39], s[18:19]
	s_cbranch_execz .LBB71_291
.LBB71_358:
	v_sub_u32_e32 v54, v45, v78
	v_mov_b32_e32 v55, 0
	v_lshlrev_b64 v[54:55], 3, v[54:55]
	v_add_co_u32_e32 v54, vcc, v50, v54
	v_addc_co_u32_e32 v55, vcc, v51, v55, vcc
	global_store_dwordx2 v[54:55], v[20:21], off
	s_or_b64 exec, exec, s[38:39]
	s_and_saveexec_b64 s[38:39], s[16:17]
	s_cbranch_execz .LBB71_292
.LBB71_359:
	v_sub_u32_e32 v54, v44, v78
	v_mov_b32_e32 v55, 0
	v_lshlrev_b64 v[54:55], 3, v[54:55]
	v_add_co_u32_e32 v54, vcc, v50, v54
	v_addc_co_u32_e32 v55, vcc, v51, v55, vcc
	global_store_dwordx2 v[54:55], v[14:15], off
	s_or_b64 exec, exec, s[38:39]
	s_and_saveexec_b64 s[38:39], s[14:15]
	s_cbranch_execz .LBB71_293
.LBB71_360:
	v_sub_u32_e32 v54, v43, v78
	v_mov_b32_e32 v55, 0
	v_lshlrev_b64 v[54:55], 3, v[54:55]
	v_add_co_u32_e32 v54, vcc, v50, v54
	v_addc_co_u32_e32 v55, vcc, v51, v55, vcc
	global_store_dwordx2 v[54:55], v[16:17], off
	s_or_b64 exec, exec, s[38:39]
	s_and_saveexec_b64 s[38:39], s[12:13]
	s_cbranch_execz .LBB71_294
.LBB71_361:
	v_sub_u32_e32 v54, v42, v78
	v_mov_b32_e32 v55, 0
	v_lshlrev_b64 v[54:55], 3, v[54:55]
	v_add_co_u32_e32 v54, vcc, v50, v54
	v_addc_co_u32_e32 v55, vcc, v51, v55, vcc
	global_store_dwordx2 v[54:55], v[10:11], off
	s_or_b64 exec, exec, s[38:39]
	s_and_saveexec_b64 s[38:39], s[10:11]
	s_cbranch_execz .LBB71_295
.LBB71_362:
	v_sub_u32_e32 v54, v41, v78
	v_mov_b32_e32 v55, 0
	v_lshlrev_b64 v[54:55], 3, v[54:55]
	v_add_co_u32_e32 v54, vcc, v50, v54
	v_addc_co_u32_e32 v55, vcc, v51, v55, vcc
	global_store_dwordx2 v[54:55], v[12:13], off
	s_or_b64 exec, exec, s[38:39]
	s_and_saveexec_b64 s[38:39], s[8:9]
	s_cbranch_execz .LBB71_296
.LBB71_363:
	v_sub_u32_e32 v54, v40, v78
	v_mov_b32_e32 v55, 0
	v_lshlrev_b64 v[54:55], 3, v[54:55]
	v_add_co_u32_e32 v54, vcc, v50, v54
	v_addc_co_u32_e32 v55, vcc, v51, v55, vcc
	global_store_dwordx2 v[54:55], v[6:7], off
	s_or_b64 exec, exec, s[38:39]
	s_and_saveexec_b64 s[38:39], s[6:7]
	s_cbranch_execz .LBB71_297
.LBB71_364:
	v_sub_u32_e32 v54, v39, v78
	v_mov_b32_e32 v55, 0
	v_lshlrev_b64 v[54:55], 3, v[54:55]
	v_add_co_u32_e32 v54, vcc, v50, v54
	v_addc_co_u32_e32 v55, vcc, v51, v55, vcc
	global_store_dwordx2 v[54:55], v[8:9], off
	s_or_b64 exec, exec, s[38:39]
	s_and_saveexec_b64 s[38:39], s[4:5]
	s_cbranch_execz .LBB71_298
.LBB71_365:
	v_sub_u32_e32 v54, v38, v78
	v_mov_b32_e32 v55, 0
	v_lshlrev_b64 v[54:55], 3, v[54:55]
	v_add_co_u32_e32 v54, vcc, v50, v54
	v_addc_co_u32_e32 v55, vcc, v51, v55, vcc
	global_store_dwordx2 v[54:55], v[2:3], off
	s_or_b64 exec, exec, s[38:39]
	s_and_saveexec_b64 s[38:39], s[2:3]
	s_cbranch_execnz .LBB71_299
	s_branch .LBB71_300
.LBB71_366:
	v_sub_u32_e32 v52, v113, v78
	v_lshlrev_b32_e32 v52, 3, v52
	ds_write_b64 v52, v[26:27]
	s_or_b64 exec, exec, s[38:39]
	s_and_saveexec_b64 s[28:29], s[26:27]
	s_cbranch_execz .LBB71_304
.LBB71_367:
	v_sub_u32_e32 v26, v49, v78
	v_lshlrev_b32_e32 v26, 3, v26
	ds_write_b64 v26, v[28:29]
	s_or_b64 exec, exec, s[28:29]
	s_and_saveexec_b64 s[26:27], s[24:25]
	s_cbranch_execz .LBB71_305
.LBB71_368:
	v_sub_u32_e32 v26, v48, v78
	v_lshlrev_b32_e32 v26, 3, v26
	ds_write_b64 v26, v[22:23]
	s_or_b64 exec, exec, s[26:27]
	s_and_saveexec_b64 s[24:25], s[22:23]
	s_cbranch_execz .LBB71_306
.LBB71_369:
	v_sub_u32_e32 v22, v47, v78
	v_lshlrev_b32_e32 v22, 3, v22
	ds_write_b64 v22, v[24:25]
	s_or_b64 exec, exec, s[24:25]
	s_and_saveexec_b64 s[22:23], s[20:21]
	s_cbranch_execz .LBB71_307
.LBB71_370:
	v_sub_u32_e32 v22, v46, v78
	v_lshlrev_b32_e32 v22, 3, v22
	ds_write_b64 v22, v[18:19]
	s_or_b64 exec, exec, s[22:23]
	s_and_saveexec_b64 s[20:21], s[18:19]
	s_cbranch_execz .LBB71_308
.LBB71_371:
	v_sub_u32_e32 v18, v45, v78
	v_lshlrev_b32_e32 v18, 3, v18
	ds_write_b64 v18, v[20:21]
	s_or_b64 exec, exec, s[20:21]
	s_and_saveexec_b64 s[18:19], s[16:17]
	s_cbranch_execz .LBB71_309
.LBB71_372:
	v_sub_u32_e32 v18, v44, v78
	v_lshlrev_b32_e32 v18, 3, v18
	ds_write_b64 v18, v[14:15]
	s_or_b64 exec, exec, s[18:19]
	s_and_saveexec_b64 s[16:17], s[14:15]
	s_cbranch_execz .LBB71_310
.LBB71_373:
	v_sub_u32_e32 v14, v43, v78
	v_lshlrev_b32_e32 v14, 3, v14
	ds_write_b64 v14, v[16:17]
	s_or_b64 exec, exec, s[16:17]
	s_and_saveexec_b64 s[14:15], s[12:13]
	s_cbranch_execz .LBB71_311
.LBB71_374:
	v_sub_u32_e32 v14, v42, v78
	v_lshlrev_b32_e32 v14, 3, v14
	ds_write_b64 v14, v[10:11]
	s_or_b64 exec, exec, s[14:15]
	s_and_saveexec_b64 s[12:13], s[10:11]
	s_cbranch_execz .LBB71_312
.LBB71_375:
	v_sub_u32_e32 v10, v41, v78
	v_lshlrev_b32_e32 v10, 3, v10
	ds_write_b64 v10, v[12:13]
	s_or_b64 exec, exec, s[12:13]
	s_and_saveexec_b64 s[10:11], s[8:9]
	s_cbranch_execz .LBB71_313
.LBB71_376:
	v_sub_u32_e32 v10, v40, v78
	v_lshlrev_b32_e32 v10, 3, v10
	ds_write_b64 v10, v[6:7]
	s_or_b64 exec, exec, s[10:11]
	s_and_saveexec_b64 s[8:9], s[6:7]
	s_cbranch_execz .LBB71_314
.LBB71_377:
	v_sub_u32_e32 v6, v39, v78
	v_lshlrev_b32_e32 v6, 3, v6
	ds_write_b64 v6, v[8:9]
	s_or_b64 exec, exec, s[8:9]
	s_and_saveexec_b64 s[6:7], s[4:5]
	s_cbranch_execz .LBB71_315
.LBB71_378:
	v_sub_u32_e32 v6, v38, v78
	v_lshlrev_b32_e32 v6, 3, v6
	ds_write_b64 v6, v[2:3]
	s_or_b64 exec, exec, s[6:7]
	s_and_saveexec_b64 s[4:5], s[2:3]
	s_cbranch_execnz .LBB71_316
	s_branch .LBB71_317
.LBB71_379:
	v_sub_u32_e32 v8, v113, v2
	v_mov_b32_e32 v9, 0
	v_lshlrev_b64 v[8:9], 3, v[8:9]
	v_add_co_u32_e32 v8, vcc, v6, v8
	v_addc_co_u32_e32 v9, vcc, v7, v9, vcc
	global_store_dwordx2 v[8:9], v[108:109], off
	s_or_b64 exec, exec, s[38:39]
	s_and_saveexec_b64 s[38:39], s[26:27]
	s_cbranch_execz .LBB71_321
.LBB71_380:
	v_sub_u32_e32 v8, v49, v2
	v_mov_b32_e32 v9, 0
	v_lshlrev_b64 v[8:9], 3, v[8:9]
	v_add_co_u32_e32 v8, vcc, v6, v8
	v_addc_co_u32_e32 v9, vcc, v7, v9, vcc
	global_store_dwordx2 v[8:9], v[106:107], off
	s_or_b64 exec, exec, s[38:39]
	s_and_saveexec_b64 s[38:39], s[24:25]
	s_cbranch_execz .LBB71_322
.LBB71_381:
	v_sub_u32_e32 v8, v48, v2
	v_mov_b32_e32 v9, 0
	v_lshlrev_b64 v[8:9], 3, v[8:9]
	v_add_co_u32_e32 v8, vcc, v6, v8
	v_addc_co_u32_e32 v9, vcc, v7, v9, vcc
	global_store_dwordx2 v[8:9], v[104:105], off
	s_or_b64 exec, exec, s[38:39]
	s_and_saveexec_b64 s[38:39], s[22:23]
	s_cbranch_execz .LBB71_323
.LBB71_382:
	v_sub_u32_e32 v8, v47, v2
	v_mov_b32_e32 v9, 0
	v_lshlrev_b64 v[8:9], 3, v[8:9]
	v_add_co_u32_e32 v8, vcc, v6, v8
	v_addc_co_u32_e32 v9, vcc, v7, v9, vcc
	global_store_dwordx2 v[8:9], v[102:103], off
	s_or_b64 exec, exec, s[38:39]
	s_and_saveexec_b64 s[38:39], s[20:21]
	s_cbranch_execz .LBB71_324
.LBB71_383:
	v_sub_u32_e32 v8, v46, v2
	v_mov_b32_e32 v9, 0
	v_lshlrev_b64 v[8:9], 3, v[8:9]
	v_add_co_u32_e32 v8, vcc, v6, v8
	v_addc_co_u32_e32 v9, vcc, v7, v9, vcc
	global_store_dwordx2 v[8:9], v[100:101], off
	s_or_b64 exec, exec, s[38:39]
	s_and_saveexec_b64 s[38:39], s[18:19]
	s_cbranch_execz .LBB71_325
.LBB71_384:
	v_sub_u32_e32 v8, v45, v2
	v_mov_b32_e32 v9, 0
	v_lshlrev_b64 v[8:9], 3, v[8:9]
	v_add_co_u32_e32 v8, vcc, v6, v8
	v_addc_co_u32_e32 v9, vcc, v7, v9, vcc
	global_store_dwordx2 v[8:9], v[98:99], off
	s_or_b64 exec, exec, s[38:39]
	s_and_saveexec_b64 s[38:39], s[16:17]
	s_cbranch_execz .LBB71_326
.LBB71_385:
	v_sub_u32_e32 v8, v44, v2
	v_mov_b32_e32 v9, 0
	v_lshlrev_b64 v[8:9], 3, v[8:9]
	v_add_co_u32_e32 v8, vcc, v6, v8
	v_addc_co_u32_e32 v9, vcc, v7, v9, vcc
	global_store_dwordx2 v[8:9], v[96:97], off
	s_or_b64 exec, exec, s[38:39]
	s_and_saveexec_b64 s[38:39], s[14:15]
	s_cbranch_execz .LBB71_327
.LBB71_386:
	v_sub_u32_e32 v8, v43, v2
	v_mov_b32_e32 v9, 0
	v_lshlrev_b64 v[8:9], 3, v[8:9]
	v_add_co_u32_e32 v8, vcc, v6, v8
	v_addc_co_u32_e32 v9, vcc, v7, v9, vcc
	global_store_dwordx2 v[8:9], v[94:95], off
	s_or_b64 exec, exec, s[38:39]
	s_and_saveexec_b64 s[38:39], s[12:13]
	s_cbranch_execz .LBB71_328
.LBB71_387:
	v_sub_u32_e32 v8, v42, v2
	v_mov_b32_e32 v9, 0
	v_lshlrev_b64 v[8:9], 3, v[8:9]
	v_add_co_u32_e32 v8, vcc, v6, v8
	v_addc_co_u32_e32 v9, vcc, v7, v9, vcc
	global_store_dwordx2 v[8:9], v[92:93], off
	s_or_b64 exec, exec, s[38:39]
	s_and_saveexec_b64 s[38:39], s[10:11]
	s_cbranch_execz .LBB71_329
.LBB71_388:
	v_sub_u32_e32 v8, v41, v2
	v_mov_b32_e32 v9, 0
	v_lshlrev_b64 v[8:9], 3, v[8:9]
	v_add_co_u32_e32 v8, vcc, v6, v8
	v_addc_co_u32_e32 v9, vcc, v7, v9, vcc
	global_store_dwordx2 v[8:9], v[90:91], off
	s_or_b64 exec, exec, s[38:39]
	s_and_saveexec_b64 s[38:39], s[8:9]
	s_cbranch_execz .LBB71_330
.LBB71_389:
	v_sub_u32_e32 v8, v40, v2
	v_mov_b32_e32 v9, 0
	v_lshlrev_b64 v[8:9], 3, v[8:9]
	v_add_co_u32_e32 v8, vcc, v6, v8
	v_addc_co_u32_e32 v9, vcc, v7, v9, vcc
	global_store_dwordx2 v[8:9], v[88:89], off
	s_or_b64 exec, exec, s[38:39]
	s_and_saveexec_b64 s[38:39], s[6:7]
	s_cbranch_execz .LBB71_331
.LBB71_390:
	v_sub_u32_e32 v8, v39, v2
	v_mov_b32_e32 v9, 0
	v_lshlrev_b64 v[8:9], 3, v[8:9]
	v_add_co_u32_e32 v8, vcc, v6, v8
	v_addc_co_u32_e32 v9, vcc, v7, v9, vcc
	global_store_dwordx2 v[8:9], v[86:87], off
	s_or_b64 exec, exec, s[38:39]
	s_and_saveexec_b64 s[38:39], s[4:5]
	s_cbranch_execz .LBB71_332
.LBB71_391:
	v_sub_u32_e32 v8, v38, v2
	v_mov_b32_e32 v9, 0
	v_lshlrev_b64 v[8:9], 3, v[8:9]
	v_add_co_u32_e32 v8, vcc, v6, v8
	v_addc_co_u32_e32 v9, vcc, v7, v9, vcc
	global_store_dwordx2 v[8:9], v[84:85], off
	s_or_b64 exec, exec, s[38:39]
	s_and_saveexec_b64 s[38:39], s[2:3]
	s_cbranch_execnz .LBB71_333
	s_branch .LBB71_334
.LBB71_392:
	v_sub_u32_e32 v3, v113, v2
	v_lshlrev_b32_e32 v3, 3, v3
	ds_write_b64 v3, v[108:109]
	s_or_b64 exec, exec, s[38:39]
	s_and_saveexec_b64 s[28:29], s[26:27]
	s_cbranch_execz .LBB71_338
.LBB71_393:
	v_sub_u32_e32 v3, v49, v2
	v_lshlrev_b32_e32 v3, 3, v3
	ds_write_b64 v3, v[106:107]
	s_or_b64 exec, exec, s[28:29]
	s_and_saveexec_b64 s[26:27], s[24:25]
	s_cbranch_execz .LBB71_339
.LBB71_394:
	v_sub_u32_e32 v3, v48, v2
	v_lshlrev_b32_e32 v3, 3, v3
	ds_write_b64 v3, v[104:105]
	s_or_b64 exec, exec, s[26:27]
	s_and_saveexec_b64 s[24:25], s[22:23]
	s_cbranch_execz .LBB71_340
.LBB71_395:
	v_sub_u32_e32 v3, v47, v2
	v_lshlrev_b32_e32 v3, 3, v3
	ds_write_b64 v3, v[102:103]
	s_or_b64 exec, exec, s[24:25]
	s_and_saveexec_b64 s[22:23], s[20:21]
	s_cbranch_execz .LBB71_341
.LBB71_396:
	v_sub_u32_e32 v3, v46, v2
	v_lshlrev_b32_e32 v3, 3, v3
	ds_write_b64 v3, v[100:101]
	s_or_b64 exec, exec, s[22:23]
	s_and_saveexec_b64 s[20:21], s[18:19]
	s_cbranch_execz .LBB71_342
.LBB71_397:
	v_sub_u32_e32 v3, v45, v2
	v_lshlrev_b32_e32 v3, 3, v3
	ds_write_b64 v3, v[98:99]
	s_or_b64 exec, exec, s[20:21]
	s_and_saveexec_b64 s[18:19], s[16:17]
	s_cbranch_execz .LBB71_343
.LBB71_398:
	v_sub_u32_e32 v3, v44, v2
	v_lshlrev_b32_e32 v3, 3, v3
	ds_write_b64 v3, v[96:97]
	s_or_b64 exec, exec, s[18:19]
	s_and_saveexec_b64 s[16:17], s[14:15]
	s_cbranch_execz .LBB71_344
.LBB71_399:
	v_sub_u32_e32 v3, v43, v2
	v_lshlrev_b32_e32 v3, 3, v3
	ds_write_b64 v3, v[94:95]
	s_or_b64 exec, exec, s[16:17]
	s_and_saveexec_b64 s[14:15], s[12:13]
	s_cbranch_execz .LBB71_345
.LBB71_400:
	v_sub_u32_e32 v3, v42, v2
	v_lshlrev_b32_e32 v3, 3, v3
	ds_write_b64 v3, v[92:93]
	s_or_b64 exec, exec, s[14:15]
	s_and_saveexec_b64 s[12:13], s[10:11]
	s_cbranch_execz .LBB71_346
.LBB71_401:
	v_sub_u32_e32 v3, v41, v2
	v_lshlrev_b32_e32 v3, 3, v3
	ds_write_b64 v3, v[90:91]
	s_or_b64 exec, exec, s[12:13]
	s_and_saveexec_b64 s[10:11], s[8:9]
	s_cbranch_execz .LBB71_347
.LBB71_402:
	v_sub_u32_e32 v3, v40, v2
	v_lshlrev_b32_e32 v3, 3, v3
	ds_write_b64 v3, v[88:89]
	s_or_b64 exec, exec, s[10:11]
	s_and_saveexec_b64 s[8:9], s[6:7]
	s_cbranch_execz .LBB71_348
.LBB71_403:
	v_sub_u32_e32 v3, v39, v2
	v_lshlrev_b32_e32 v3, 3, v3
	ds_write_b64 v3, v[86:87]
	s_or_b64 exec, exec, s[8:9]
	s_and_saveexec_b64 s[6:7], s[4:5]
	s_cbranch_execz .LBB71_349
.LBB71_404:
	v_sub_u32_e32 v3, v38, v2
	v_lshlrev_b32_e32 v3, 3, v3
	ds_write_b64 v3, v[84:85]
	s_or_b64 exec, exec, s[6:7]
	s_and_saveexec_b64 s[4:5], s[2:3]
	s_cbranch_execnz .LBB71_350
	s_branch .LBB71_351
	.section	.rodata,"a",@progbits
	.p2align	6, 0x0
	.amdhsa_kernel _ZN7rocprim17ROCPRIM_400000_NS6detail17trampoline_kernelINS0_14default_configENS1_29reduce_by_key_config_selectorIddN6thrust23THRUST_200600_302600_NS4plusIdEEEEZZNS1_33reduce_by_key_impl_wrapped_configILNS1_25lookback_scan_determinismE0ES3_S9_NS6_6detail15normal_iteratorINS6_10device_ptrIdEEEESG_SG_SG_PmS8_22is_equal_div_10_reduceIdEEE10hipError_tPvRmT2_T3_mT4_T5_T6_T7_T8_P12ihipStream_tbENKUlT_T0_E_clISt17integral_constantIbLb1EES10_IbLb0EEEEDaSW_SX_EUlSW_E_NS1_11comp_targetILNS1_3genE4ELNS1_11target_archE910ELNS1_3gpuE8ELNS1_3repE0EEENS1_30default_config_static_selectorELNS0_4arch9wavefront6targetE1EEEvT1_
		.amdhsa_group_segment_fixed_size 30720
		.amdhsa_private_segment_fixed_size 0
		.amdhsa_kernarg_size 136
		.amdhsa_user_sgpr_count 6
		.amdhsa_user_sgpr_private_segment_buffer 1
		.amdhsa_user_sgpr_dispatch_ptr 0
		.amdhsa_user_sgpr_queue_ptr 0
		.amdhsa_user_sgpr_kernarg_segment_ptr 1
		.amdhsa_user_sgpr_dispatch_id 0
		.amdhsa_user_sgpr_flat_scratch_init 0
		.amdhsa_user_sgpr_kernarg_preload_length 0
		.amdhsa_user_sgpr_kernarg_preload_offset 0
		.amdhsa_user_sgpr_private_segment_size 0
		.amdhsa_uses_dynamic_stack 0
		.amdhsa_system_sgpr_private_segment_wavefront_offset 0
		.amdhsa_system_sgpr_workgroup_id_x 1
		.amdhsa_system_sgpr_workgroup_id_y 0
		.amdhsa_system_sgpr_workgroup_id_z 0
		.amdhsa_system_sgpr_workgroup_info 0
		.amdhsa_system_vgpr_workitem_id 0
		.amdhsa_next_free_vgpr 120
		.amdhsa_next_free_sgpr 65
		.amdhsa_accum_offset 120
		.amdhsa_reserve_vcc 1
		.amdhsa_reserve_flat_scratch 0
		.amdhsa_float_round_mode_32 0
		.amdhsa_float_round_mode_16_64 0
		.amdhsa_float_denorm_mode_32 3
		.amdhsa_float_denorm_mode_16_64 3
		.amdhsa_dx10_clamp 1
		.amdhsa_ieee_mode 1
		.amdhsa_fp16_overflow 0
		.amdhsa_tg_split 0
		.amdhsa_exception_fp_ieee_invalid_op 0
		.amdhsa_exception_fp_denorm_src 0
		.amdhsa_exception_fp_ieee_div_zero 0
		.amdhsa_exception_fp_ieee_overflow 0
		.amdhsa_exception_fp_ieee_underflow 0
		.amdhsa_exception_fp_ieee_inexact 0
		.amdhsa_exception_int_div_zero 0
	.end_amdhsa_kernel
	.section	.text._ZN7rocprim17ROCPRIM_400000_NS6detail17trampoline_kernelINS0_14default_configENS1_29reduce_by_key_config_selectorIddN6thrust23THRUST_200600_302600_NS4plusIdEEEEZZNS1_33reduce_by_key_impl_wrapped_configILNS1_25lookback_scan_determinismE0ES3_S9_NS6_6detail15normal_iteratorINS6_10device_ptrIdEEEESG_SG_SG_PmS8_22is_equal_div_10_reduceIdEEE10hipError_tPvRmT2_T3_mT4_T5_T6_T7_T8_P12ihipStream_tbENKUlT_T0_E_clISt17integral_constantIbLb1EES10_IbLb0EEEEDaSW_SX_EUlSW_E_NS1_11comp_targetILNS1_3genE4ELNS1_11target_archE910ELNS1_3gpuE8ELNS1_3repE0EEENS1_30default_config_static_selectorELNS0_4arch9wavefront6targetE1EEEvT1_,"axG",@progbits,_ZN7rocprim17ROCPRIM_400000_NS6detail17trampoline_kernelINS0_14default_configENS1_29reduce_by_key_config_selectorIddN6thrust23THRUST_200600_302600_NS4plusIdEEEEZZNS1_33reduce_by_key_impl_wrapped_configILNS1_25lookback_scan_determinismE0ES3_S9_NS6_6detail15normal_iteratorINS6_10device_ptrIdEEEESG_SG_SG_PmS8_22is_equal_div_10_reduceIdEEE10hipError_tPvRmT2_T3_mT4_T5_T6_T7_T8_P12ihipStream_tbENKUlT_T0_E_clISt17integral_constantIbLb1EES10_IbLb0EEEEDaSW_SX_EUlSW_E_NS1_11comp_targetILNS1_3genE4ELNS1_11target_archE910ELNS1_3gpuE8ELNS1_3repE0EEENS1_30default_config_static_selectorELNS0_4arch9wavefront6targetE1EEEvT1_,comdat
.Lfunc_end71:
	.size	_ZN7rocprim17ROCPRIM_400000_NS6detail17trampoline_kernelINS0_14default_configENS1_29reduce_by_key_config_selectorIddN6thrust23THRUST_200600_302600_NS4plusIdEEEEZZNS1_33reduce_by_key_impl_wrapped_configILNS1_25lookback_scan_determinismE0ES3_S9_NS6_6detail15normal_iteratorINS6_10device_ptrIdEEEESG_SG_SG_PmS8_22is_equal_div_10_reduceIdEEE10hipError_tPvRmT2_T3_mT4_T5_T6_T7_T8_P12ihipStream_tbENKUlT_T0_E_clISt17integral_constantIbLb1EES10_IbLb0EEEEDaSW_SX_EUlSW_E_NS1_11comp_targetILNS1_3genE4ELNS1_11target_archE910ELNS1_3gpuE8ELNS1_3repE0EEENS1_30default_config_static_selectorELNS0_4arch9wavefront6targetE1EEEvT1_, .Lfunc_end71-_ZN7rocprim17ROCPRIM_400000_NS6detail17trampoline_kernelINS0_14default_configENS1_29reduce_by_key_config_selectorIddN6thrust23THRUST_200600_302600_NS4plusIdEEEEZZNS1_33reduce_by_key_impl_wrapped_configILNS1_25lookback_scan_determinismE0ES3_S9_NS6_6detail15normal_iteratorINS6_10device_ptrIdEEEESG_SG_SG_PmS8_22is_equal_div_10_reduceIdEEE10hipError_tPvRmT2_T3_mT4_T5_T6_T7_T8_P12ihipStream_tbENKUlT_T0_E_clISt17integral_constantIbLb1EES10_IbLb0EEEEDaSW_SX_EUlSW_E_NS1_11comp_targetILNS1_3genE4ELNS1_11target_archE910ELNS1_3gpuE8ELNS1_3repE0EEENS1_30default_config_static_selectorELNS0_4arch9wavefront6targetE1EEEvT1_
                                        ; -- End function
	.section	.AMDGPU.csdata,"",@progbits
; Kernel info:
; codeLenInByte = 19120
; NumSgprs: 69
; NumVgprs: 120
; NumAgprs: 0
; TotalNumVgprs: 120
; ScratchSize: 0
; MemoryBound: 0
; FloatMode: 240
; IeeeMode: 1
; LDSByteSize: 30720 bytes/workgroup (compile time only)
; SGPRBlocks: 8
; VGPRBlocks: 14
; NumSGPRsForWavesPerEU: 69
; NumVGPRsForWavesPerEU: 120
; AccumOffset: 120
; Occupancy: 2
; WaveLimiterHint : 1
; COMPUTE_PGM_RSRC2:SCRATCH_EN: 0
; COMPUTE_PGM_RSRC2:USER_SGPR: 6
; COMPUTE_PGM_RSRC2:TRAP_HANDLER: 0
; COMPUTE_PGM_RSRC2:TGID_X_EN: 1
; COMPUTE_PGM_RSRC2:TGID_Y_EN: 0
; COMPUTE_PGM_RSRC2:TGID_Z_EN: 0
; COMPUTE_PGM_RSRC2:TIDIG_COMP_CNT: 0
; COMPUTE_PGM_RSRC3_GFX90A:ACCUM_OFFSET: 29
; COMPUTE_PGM_RSRC3_GFX90A:TG_SPLIT: 0
	.section	.text._ZN7rocprim17ROCPRIM_400000_NS6detail17trampoline_kernelINS0_14default_configENS1_29reduce_by_key_config_selectorIddN6thrust23THRUST_200600_302600_NS4plusIdEEEEZZNS1_33reduce_by_key_impl_wrapped_configILNS1_25lookback_scan_determinismE0ES3_S9_NS6_6detail15normal_iteratorINS6_10device_ptrIdEEEESG_SG_SG_PmS8_22is_equal_div_10_reduceIdEEE10hipError_tPvRmT2_T3_mT4_T5_T6_T7_T8_P12ihipStream_tbENKUlT_T0_E_clISt17integral_constantIbLb1EES10_IbLb0EEEEDaSW_SX_EUlSW_E_NS1_11comp_targetILNS1_3genE3ELNS1_11target_archE908ELNS1_3gpuE7ELNS1_3repE0EEENS1_30default_config_static_selectorELNS0_4arch9wavefront6targetE1EEEvT1_,"axG",@progbits,_ZN7rocprim17ROCPRIM_400000_NS6detail17trampoline_kernelINS0_14default_configENS1_29reduce_by_key_config_selectorIddN6thrust23THRUST_200600_302600_NS4plusIdEEEEZZNS1_33reduce_by_key_impl_wrapped_configILNS1_25lookback_scan_determinismE0ES3_S9_NS6_6detail15normal_iteratorINS6_10device_ptrIdEEEESG_SG_SG_PmS8_22is_equal_div_10_reduceIdEEE10hipError_tPvRmT2_T3_mT4_T5_T6_T7_T8_P12ihipStream_tbENKUlT_T0_E_clISt17integral_constantIbLb1EES10_IbLb0EEEEDaSW_SX_EUlSW_E_NS1_11comp_targetILNS1_3genE3ELNS1_11target_archE908ELNS1_3gpuE7ELNS1_3repE0EEENS1_30default_config_static_selectorELNS0_4arch9wavefront6targetE1EEEvT1_,comdat
	.protected	_ZN7rocprim17ROCPRIM_400000_NS6detail17trampoline_kernelINS0_14default_configENS1_29reduce_by_key_config_selectorIddN6thrust23THRUST_200600_302600_NS4plusIdEEEEZZNS1_33reduce_by_key_impl_wrapped_configILNS1_25lookback_scan_determinismE0ES3_S9_NS6_6detail15normal_iteratorINS6_10device_ptrIdEEEESG_SG_SG_PmS8_22is_equal_div_10_reduceIdEEE10hipError_tPvRmT2_T3_mT4_T5_T6_T7_T8_P12ihipStream_tbENKUlT_T0_E_clISt17integral_constantIbLb1EES10_IbLb0EEEEDaSW_SX_EUlSW_E_NS1_11comp_targetILNS1_3genE3ELNS1_11target_archE908ELNS1_3gpuE7ELNS1_3repE0EEENS1_30default_config_static_selectorELNS0_4arch9wavefront6targetE1EEEvT1_ ; -- Begin function _ZN7rocprim17ROCPRIM_400000_NS6detail17trampoline_kernelINS0_14default_configENS1_29reduce_by_key_config_selectorIddN6thrust23THRUST_200600_302600_NS4plusIdEEEEZZNS1_33reduce_by_key_impl_wrapped_configILNS1_25lookback_scan_determinismE0ES3_S9_NS6_6detail15normal_iteratorINS6_10device_ptrIdEEEESG_SG_SG_PmS8_22is_equal_div_10_reduceIdEEE10hipError_tPvRmT2_T3_mT4_T5_T6_T7_T8_P12ihipStream_tbENKUlT_T0_E_clISt17integral_constantIbLb1EES10_IbLb0EEEEDaSW_SX_EUlSW_E_NS1_11comp_targetILNS1_3genE3ELNS1_11target_archE908ELNS1_3gpuE7ELNS1_3repE0EEENS1_30default_config_static_selectorELNS0_4arch9wavefront6targetE1EEEvT1_
	.globl	_ZN7rocprim17ROCPRIM_400000_NS6detail17trampoline_kernelINS0_14default_configENS1_29reduce_by_key_config_selectorIddN6thrust23THRUST_200600_302600_NS4plusIdEEEEZZNS1_33reduce_by_key_impl_wrapped_configILNS1_25lookback_scan_determinismE0ES3_S9_NS6_6detail15normal_iteratorINS6_10device_ptrIdEEEESG_SG_SG_PmS8_22is_equal_div_10_reduceIdEEE10hipError_tPvRmT2_T3_mT4_T5_T6_T7_T8_P12ihipStream_tbENKUlT_T0_E_clISt17integral_constantIbLb1EES10_IbLb0EEEEDaSW_SX_EUlSW_E_NS1_11comp_targetILNS1_3genE3ELNS1_11target_archE908ELNS1_3gpuE7ELNS1_3repE0EEENS1_30default_config_static_selectorELNS0_4arch9wavefront6targetE1EEEvT1_
	.p2align	8
	.type	_ZN7rocprim17ROCPRIM_400000_NS6detail17trampoline_kernelINS0_14default_configENS1_29reduce_by_key_config_selectorIddN6thrust23THRUST_200600_302600_NS4plusIdEEEEZZNS1_33reduce_by_key_impl_wrapped_configILNS1_25lookback_scan_determinismE0ES3_S9_NS6_6detail15normal_iteratorINS6_10device_ptrIdEEEESG_SG_SG_PmS8_22is_equal_div_10_reduceIdEEE10hipError_tPvRmT2_T3_mT4_T5_T6_T7_T8_P12ihipStream_tbENKUlT_T0_E_clISt17integral_constantIbLb1EES10_IbLb0EEEEDaSW_SX_EUlSW_E_NS1_11comp_targetILNS1_3genE3ELNS1_11target_archE908ELNS1_3gpuE7ELNS1_3repE0EEENS1_30default_config_static_selectorELNS0_4arch9wavefront6targetE1EEEvT1_,@function
_ZN7rocprim17ROCPRIM_400000_NS6detail17trampoline_kernelINS0_14default_configENS1_29reduce_by_key_config_selectorIddN6thrust23THRUST_200600_302600_NS4plusIdEEEEZZNS1_33reduce_by_key_impl_wrapped_configILNS1_25lookback_scan_determinismE0ES3_S9_NS6_6detail15normal_iteratorINS6_10device_ptrIdEEEESG_SG_SG_PmS8_22is_equal_div_10_reduceIdEEE10hipError_tPvRmT2_T3_mT4_T5_T6_T7_T8_P12ihipStream_tbENKUlT_T0_E_clISt17integral_constantIbLb1EES10_IbLb0EEEEDaSW_SX_EUlSW_E_NS1_11comp_targetILNS1_3genE3ELNS1_11target_archE908ELNS1_3gpuE7ELNS1_3repE0EEENS1_30default_config_static_selectorELNS0_4arch9wavefront6targetE1EEEvT1_: ; @_ZN7rocprim17ROCPRIM_400000_NS6detail17trampoline_kernelINS0_14default_configENS1_29reduce_by_key_config_selectorIddN6thrust23THRUST_200600_302600_NS4plusIdEEEEZZNS1_33reduce_by_key_impl_wrapped_configILNS1_25lookback_scan_determinismE0ES3_S9_NS6_6detail15normal_iteratorINS6_10device_ptrIdEEEESG_SG_SG_PmS8_22is_equal_div_10_reduceIdEEE10hipError_tPvRmT2_T3_mT4_T5_T6_T7_T8_P12ihipStream_tbENKUlT_T0_E_clISt17integral_constantIbLb1EES10_IbLb0EEEEDaSW_SX_EUlSW_E_NS1_11comp_targetILNS1_3genE3ELNS1_11target_archE908ELNS1_3gpuE7ELNS1_3repE0EEENS1_30default_config_static_selectorELNS0_4arch9wavefront6targetE1EEEvT1_
; %bb.0:
	.section	.rodata,"a",@progbits
	.p2align	6, 0x0
	.amdhsa_kernel _ZN7rocprim17ROCPRIM_400000_NS6detail17trampoline_kernelINS0_14default_configENS1_29reduce_by_key_config_selectorIddN6thrust23THRUST_200600_302600_NS4plusIdEEEEZZNS1_33reduce_by_key_impl_wrapped_configILNS1_25lookback_scan_determinismE0ES3_S9_NS6_6detail15normal_iteratorINS6_10device_ptrIdEEEESG_SG_SG_PmS8_22is_equal_div_10_reduceIdEEE10hipError_tPvRmT2_T3_mT4_T5_T6_T7_T8_P12ihipStream_tbENKUlT_T0_E_clISt17integral_constantIbLb1EES10_IbLb0EEEEDaSW_SX_EUlSW_E_NS1_11comp_targetILNS1_3genE3ELNS1_11target_archE908ELNS1_3gpuE7ELNS1_3repE0EEENS1_30default_config_static_selectorELNS0_4arch9wavefront6targetE1EEEvT1_
		.amdhsa_group_segment_fixed_size 0
		.amdhsa_private_segment_fixed_size 0
		.amdhsa_kernarg_size 136
		.amdhsa_user_sgpr_count 6
		.amdhsa_user_sgpr_private_segment_buffer 1
		.amdhsa_user_sgpr_dispatch_ptr 0
		.amdhsa_user_sgpr_queue_ptr 0
		.amdhsa_user_sgpr_kernarg_segment_ptr 1
		.amdhsa_user_sgpr_dispatch_id 0
		.amdhsa_user_sgpr_flat_scratch_init 0
		.amdhsa_user_sgpr_kernarg_preload_length 0
		.amdhsa_user_sgpr_kernarg_preload_offset 0
		.amdhsa_user_sgpr_private_segment_size 0
		.amdhsa_uses_dynamic_stack 0
		.amdhsa_system_sgpr_private_segment_wavefront_offset 0
		.amdhsa_system_sgpr_workgroup_id_x 1
		.amdhsa_system_sgpr_workgroup_id_y 0
		.amdhsa_system_sgpr_workgroup_id_z 0
		.amdhsa_system_sgpr_workgroup_info 0
		.amdhsa_system_vgpr_workitem_id 0
		.amdhsa_next_free_vgpr 1
		.amdhsa_next_free_sgpr 0
		.amdhsa_accum_offset 4
		.amdhsa_reserve_vcc 0
		.amdhsa_reserve_flat_scratch 0
		.amdhsa_float_round_mode_32 0
		.amdhsa_float_round_mode_16_64 0
		.amdhsa_float_denorm_mode_32 3
		.amdhsa_float_denorm_mode_16_64 3
		.amdhsa_dx10_clamp 1
		.amdhsa_ieee_mode 1
		.amdhsa_fp16_overflow 0
		.amdhsa_tg_split 0
		.amdhsa_exception_fp_ieee_invalid_op 0
		.amdhsa_exception_fp_denorm_src 0
		.amdhsa_exception_fp_ieee_div_zero 0
		.amdhsa_exception_fp_ieee_overflow 0
		.amdhsa_exception_fp_ieee_underflow 0
		.amdhsa_exception_fp_ieee_inexact 0
		.amdhsa_exception_int_div_zero 0
	.end_amdhsa_kernel
	.section	.text._ZN7rocprim17ROCPRIM_400000_NS6detail17trampoline_kernelINS0_14default_configENS1_29reduce_by_key_config_selectorIddN6thrust23THRUST_200600_302600_NS4plusIdEEEEZZNS1_33reduce_by_key_impl_wrapped_configILNS1_25lookback_scan_determinismE0ES3_S9_NS6_6detail15normal_iteratorINS6_10device_ptrIdEEEESG_SG_SG_PmS8_22is_equal_div_10_reduceIdEEE10hipError_tPvRmT2_T3_mT4_T5_T6_T7_T8_P12ihipStream_tbENKUlT_T0_E_clISt17integral_constantIbLb1EES10_IbLb0EEEEDaSW_SX_EUlSW_E_NS1_11comp_targetILNS1_3genE3ELNS1_11target_archE908ELNS1_3gpuE7ELNS1_3repE0EEENS1_30default_config_static_selectorELNS0_4arch9wavefront6targetE1EEEvT1_,"axG",@progbits,_ZN7rocprim17ROCPRIM_400000_NS6detail17trampoline_kernelINS0_14default_configENS1_29reduce_by_key_config_selectorIddN6thrust23THRUST_200600_302600_NS4plusIdEEEEZZNS1_33reduce_by_key_impl_wrapped_configILNS1_25lookback_scan_determinismE0ES3_S9_NS6_6detail15normal_iteratorINS6_10device_ptrIdEEEESG_SG_SG_PmS8_22is_equal_div_10_reduceIdEEE10hipError_tPvRmT2_T3_mT4_T5_T6_T7_T8_P12ihipStream_tbENKUlT_T0_E_clISt17integral_constantIbLb1EES10_IbLb0EEEEDaSW_SX_EUlSW_E_NS1_11comp_targetILNS1_3genE3ELNS1_11target_archE908ELNS1_3gpuE7ELNS1_3repE0EEENS1_30default_config_static_selectorELNS0_4arch9wavefront6targetE1EEEvT1_,comdat
.Lfunc_end72:
	.size	_ZN7rocprim17ROCPRIM_400000_NS6detail17trampoline_kernelINS0_14default_configENS1_29reduce_by_key_config_selectorIddN6thrust23THRUST_200600_302600_NS4plusIdEEEEZZNS1_33reduce_by_key_impl_wrapped_configILNS1_25lookback_scan_determinismE0ES3_S9_NS6_6detail15normal_iteratorINS6_10device_ptrIdEEEESG_SG_SG_PmS8_22is_equal_div_10_reduceIdEEE10hipError_tPvRmT2_T3_mT4_T5_T6_T7_T8_P12ihipStream_tbENKUlT_T0_E_clISt17integral_constantIbLb1EES10_IbLb0EEEEDaSW_SX_EUlSW_E_NS1_11comp_targetILNS1_3genE3ELNS1_11target_archE908ELNS1_3gpuE7ELNS1_3repE0EEENS1_30default_config_static_selectorELNS0_4arch9wavefront6targetE1EEEvT1_, .Lfunc_end72-_ZN7rocprim17ROCPRIM_400000_NS6detail17trampoline_kernelINS0_14default_configENS1_29reduce_by_key_config_selectorIddN6thrust23THRUST_200600_302600_NS4plusIdEEEEZZNS1_33reduce_by_key_impl_wrapped_configILNS1_25lookback_scan_determinismE0ES3_S9_NS6_6detail15normal_iteratorINS6_10device_ptrIdEEEESG_SG_SG_PmS8_22is_equal_div_10_reduceIdEEE10hipError_tPvRmT2_T3_mT4_T5_T6_T7_T8_P12ihipStream_tbENKUlT_T0_E_clISt17integral_constantIbLb1EES10_IbLb0EEEEDaSW_SX_EUlSW_E_NS1_11comp_targetILNS1_3genE3ELNS1_11target_archE908ELNS1_3gpuE7ELNS1_3repE0EEENS1_30default_config_static_selectorELNS0_4arch9wavefront6targetE1EEEvT1_
                                        ; -- End function
	.section	.AMDGPU.csdata,"",@progbits
; Kernel info:
; codeLenInByte = 0
; NumSgprs: 4
; NumVgprs: 0
; NumAgprs: 0
; TotalNumVgprs: 0
; ScratchSize: 0
; MemoryBound: 0
; FloatMode: 240
; IeeeMode: 1
; LDSByteSize: 0 bytes/workgroup (compile time only)
; SGPRBlocks: 0
; VGPRBlocks: 0
; NumSGPRsForWavesPerEU: 4
; NumVGPRsForWavesPerEU: 1
; AccumOffset: 4
; Occupancy: 8
; WaveLimiterHint : 0
; COMPUTE_PGM_RSRC2:SCRATCH_EN: 0
; COMPUTE_PGM_RSRC2:USER_SGPR: 6
; COMPUTE_PGM_RSRC2:TRAP_HANDLER: 0
; COMPUTE_PGM_RSRC2:TGID_X_EN: 1
; COMPUTE_PGM_RSRC2:TGID_Y_EN: 0
; COMPUTE_PGM_RSRC2:TGID_Z_EN: 0
; COMPUTE_PGM_RSRC2:TIDIG_COMP_CNT: 0
; COMPUTE_PGM_RSRC3_GFX90A:ACCUM_OFFSET: 0
; COMPUTE_PGM_RSRC3_GFX90A:TG_SPLIT: 0
	.section	.text._ZN7rocprim17ROCPRIM_400000_NS6detail17trampoline_kernelINS0_14default_configENS1_29reduce_by_key_config_selectorIddN6thrust23THRUST_200600_302600_NS4plusIdEEEEZZNS1_33reduce_by_key_impl_wrapped_configILNS1_25lookback_scan_determinismE0ES3_S9_NS6_6detail15normal_iteratorINS6_10device_ptrIdEEEESG_SG_SG_PmS8_22is_equal_div_10_reduceIdEEE10hipError_tPvRmT2_T3_mT4_T5_T6_T7_T8_P12ihipStream_tbENKUlT_T0_E_clISt17integral_constantIbLb1EES10_IbLb0EEEEDaSW_SX_EUlSW_E_NS1_11comp_targetILNS1_3genE2ELNS1_11target_archE906ELNS1_3gpuE6ELNS1_3repE0EEENS1_30default_config_static_selectorELNS0_4arch9wavefront6targetE1EEEvT1_,"axG",@progbits,_ZN7rocprim17ROCPRIM_400000_NS6detail17trampoline_kernelINS0_14default_configENS1_29reduce_by_key_config_selectorIddN6thrust23THRUST_200600_302600_NS4plusIdEEEEZZNS1_33reduce_by_key_impl_wrapped_configILNS1_25lookback_scan_determinismE0ES3_S9_NS6_6detail15normal_iteratorINS6_10device_ptrIdEEEESG_SG_SG_PmS8_22is_equal_div_10_reduceIdEEE10hipError_tPvRmT2_T3_mT4_T5_T6_T7_T8_P12ihipStream_tbENKUlT_T0_E_clISt17integral_constantIbLb1EES10_IbLb0EEEEDaSW_SX_EUlSW_E_NS1_11comp_targetILNS1_3genE2ELNS1_11target_archE906ELNS1_3gpuE6ELNS1_3repE0EEENS1_30default_config_static_selectorELNS0_4arch9wavefront6targetE1EEEvT1_,comdat
	.protected	_ZN7rocprim17ROCPRIM_400000_NS6detail17trampoline_kernelINS0_14default_configENS1_29reduce_by_key_config_selectorIddN6thrust23THRUST_200600_302600_NS4plusIdEEEEZZNS1_33reduce_by_key_impl_wrapped_configILNS1_25lookback_scan_determinismE0ES3_S9_NS6_6detail15normal_iteratorINS6_10device_ptrIdEEEESG_SG_SG_PmS8_22is_equal_div_10_reduceIdEEE10hipError_tPvRmT2_T3_mT4_T5_T6_T7_T8_P12ihipStream_tbENKUlT_T0_E_clISt17integral_constantIbLb1EES10_IbLb0EEEEDaSW_SX_EUlSW_E_NS1_11comp_targetILNS1_3genE2ELNS1_11target_archE906ELNS1_3gpuE6ELNS1_3repE0EEENS1_30default_config_static_selectorELNS0_4arch9wavefront6targetE1EEEvT1_ ; -- Begin function _ZN7rocprim17ROCPRIM_400000_NS6detail17trampoline_kernelINS0_14default_configENS1_29reduce_by_key_config_selectorIddN6thrust23THRUST_200600_302600_NS4plusIdEEEEZZNS1_33reduce_by_key_impl_wrapped_configILNS1_25lookback_scan_determinismE0ES3_S9_NS6_6detail15normal_iteratorINS6_10device_ptrIdEEEESG_SG_SG_PmS8_22is_equal_div_10_reduceIdEEE10hipError_tPvRmT2_T3_mT4_T5_T6_T7_T8_P12ihipStream_tbENKUlT_T0_E_clISt17integral_constantIbLb1EES10_IbLb0EEEEDaSW_SX_EUlSW_E_NS1_11comp_targetILNS1_3genE2ELNS1_11target_archE906ELNS1_3gpuE6ELNS1_3repE0EEENS1_30default_config_static_selectorELNS0_4arch9wavefront6targetE1EEEvT1_
	.globl	_ZN7rocprim17ROCPRIM_400000_NS6detail17trampoline_kernelINS0_14default_configENS1_29reduce_by_key_config_selectorIddN6thrust23THRUST_200600_302600_NS4plusIdEEEEZZNS1_33reduce_by_key_impl_wrapped_configILNS1_25lookback_scan_determinismE0ES3_S9_NS6_6detail15normal_iteratorINS6_10device_ptrIdEEEESG_SG_SG_PmS8_22is_equal_div_10_reduceIdEEE10hipError_tPvRmT2_T3_mT4_T5_T6_T7_T8_P12ihipStream_tbENKUlT_T0_E_clISt17integral_constantIbLb1EES10_IbLb0EEEEDaSW_SX_EUlSW_E_NS1_11comp_targetILNS1_3genE2ELNS1_11target_archE906ELNS1_3gpuE6ELNS1_3repE0EEENS1_30default_config_static_selectorELNS0_4arch9wavefront6targetE1EEEvT1_
	.p2align	8
	.type	_ZN7rocprim17ROCPRIM_400000_NS6detail17trampoline_kernelINS0_14default_configENS1_29reduce_by_key_config_selectorIddN6thrust23THRUST_200600_302600_NS4plusIdEEEEZZNS1_33reduce_by_key_impl_wrapped_configILNS1_25lookback_scan_determinismE0ES3_S9_NS6_6detail15normal_iteratorINS6_10device_ptrIdEEEESG_SG_SG_PmS8_22is_equal_div_10_reduceIdEEE10hipError_tPvRmT2_T3_mT4_T5_T6_T7_T8_P12ihipStream_tbENKUlT_T0_E_clISt17integral_constantIbLb1EES10_IbLb0EEEEDaSW_SX_EUlSW_E_NS1_11comp_targetILNS1_3genE2ELNS1_11target_archE906ELNS1_3gpuE6ELNS1_3repE0EEENS1_30default_config_static_selectorELNS0_4arch9wavefront6targetE1EEEvT1_,@function
_ZN7rocprim17ROCPRIM_400000_NS6detail17trampoline_kernelINS0_14default_configENS1_29reduce_by_key_config_selectorIddN6thrust23THRUST_200600_302600_NS4plusIdEEEEZZNS1_33reduce_by_key_impl_wrapped_configILNS1_25lookback_scan_determinismE0ES3_S9_NS6_6detail15normal_iteratorINS6_10device_ptrIdEEEESG_SG_SG_PmS8_22is_equal_div_10_reduceIdEEE10hipError_tPvRmT2_T3_mT4_T5_T6_T7_T8_P12ihipStream_tbENKUlT_T0_E_clISt17integral_constantIbLb1EES10_IbLb0EEEEDaSW_SX_EUlSW_E_NS1_11comp_targetILNS1_3genE2ELNS1_11target_archE906ELNS1_3gpuE6ELNS1_3repE0EEENS1_30default_config_static_selectorELNS0_4arch9wavefront6targetE1EEEvT1_: ; @_ZN7rocprim17ROCPRIM_400000_NS6detail17trampoline_kernelINS0_14default_configENS1_29reduce_by_key_config_selectorIddN6thrust23THRUST_200600_302600_NS4plusIdEEEEZZNS1_33reduce_by_key_impl_wrapped_configILNS1_25lookback_scan_determinismE0ES3_S9_NS6_6detail15normal_iteratorINS6_10device_ptrIdEEEESG_SG_SG_PmS8_22is_equal_div_10_reduceIdEEE10hipError_tPvRmT2_T3_mT4_T5_T6_T7_T8_P12ihipStream_tbENKUlT_T0_E_clISt17integral_constantIbLb1EES10_IbLb0EEEEDaSW_SX_EUlSW_E_NS1_11comp_targetILNS1_3genE2ELNS1_11target_archE906ELNS1_3gpuE6ELNS1_3repE0EEENS1_30default_config_static_selectorELNS0_4arch9wavefront6targetE1EEEvT1_
; %bb.0:
	.section	.rodata,"a",@progbits
	.p2align	6, 0x0
	.amdhsa_kernel _ZN7rocprim17ROCPRIM_400000_NS6detail17trampoline_kernelINS0_14default_configENS1_29reduce_by_key_config_selectorIddN6thrust23THRUST_200600_302600_NS4plusIdEEEEZZNS1_33reduce_by_key_impl_wrapped_configILNS1_25lookback_scan_determinismE0ES3_S9_NS6_6detail15normal_iteratorINS6_10device_ptrIdEEEESG_SG_SG_PmS8_22is_equal_div_10_reduceIdEEE10hipError_tPvRmT2_T3_mT4_T5_T6_T7_T8_P12ihipStream_tbENKUlT_T0_E_clISt17integral_constantIbLb1EES10_IbLb0EEEEDaSW_SX_EUlSW_E_NS1_11comp_targetILNS1_3genE2ELNS1_11target_archE906ELNS1_3gpuE6ELNS1_3repE0EEENS1_30default_config_static_selectorELNS0_4arch9wavefront6targetE1EEEvT1_
		.amdhsa_group_segment_fixed_size 0
		.amdhsa_private_segment_fixed_size 0
		.amdhsa_kernarg_size 136
		.amdhsa_user_sgpr_count 6
		.amdhsa_user_sgpr_private_segment_buffer 1
		.amdhsa_user_sgpr_dispatch_ptr 0
		.amdhsa_user_sgpr_queue_ptr 0
		.amdhsa_user_sgpr_kernarg_segment_ptr 1
		.amdhsa_user_sgpr_dispatch_id 0
		.amdhsa_user_sgpr_flat_scratch_init 0
		.amdhsa_user_sgpr_kernarg_preload_length 0
		.amdhsa_user_sgpr_kernarg_preload_offset 0
		.amdhsa_user_sgpr_private_segment_size 0
		.amdhsa_uses_dynamic_stack 0
		.amdhsa_system_sgpr_private_segment_wavefront_offset 0
		.amdhsa_system_sgpr_workgroup_id_x 1
		.amdhsa_system_sgpr_workgroup_id_y 0
		.amdhsa_system_sgpr_workgroup_id_z 0
		.amdhsa_system_sgpr_workgroup_info 0
		.amdhsa_system_vgpr_workitem_id 0
		.amdhsa_next_free_vgpr 1
		.amdhsa_next_free_sgpr 0
		.amdhsa_accum_offset 4
		.amdhsa_reserve_vcc 0
		.amdhsa_reserve_flat_scratch 0
		.amdhsa_float_round_mode_32 0
		.amdhsa_float_round_mode_16_64 0
		.amdhsa_float_denorm_mode_32 3
		.amdhsa_float_denorm_mode_16_64 3
		.amdhsa_dx10_clamp 1
		.amdhsa_ieee_mode 1
		.amdhsa_fp16_overflow 0
		.amdhsa_tg_split 0
		.amdhsa_exception_fp_ieee_invalid_op 0
		.amdhsa_exception_fp_denorm_src 0
		.amdhsa_exception_fp_ieee_div_zero 0
		.amdhsa_exception_fp_ieee_overflow 0
		.amdhsa_exception_fp_ieee_underflow 0
		.amdhsa_exception_fp_ieee_inexact 0
		.amdhsa_exception_int_div_zero 0
	.end_amdhsa_kernel
	.section	.text._ZN7rocprim17ROCPRIM_400000_NS6detail17trampoline_kernelINS0_14default_configENS1_29reduce_by_key_config_selectorIddN6thrust23THRUST_200600_302600_NS4plusIdEEEEZZNS1_33reduce_by_key_impl_wrapped_configILNS1_25lookback_scan_determinismE0ES3_S9_NS6_6detail15normal_iteratorINS6_10device_ptrIdEEEESG_SG_SG_PmS8_22is_equal_div_10_reduceIdEEE10hipError_tPvRmT2_T3_mT4_T5_T6_T7_T8_P12ihipStream_tbENKUlT_T0_E_clISt17integral_constantIbLb1EES10_IbLb0EEEEDaSW_SX_EUlSW_E_NS1_11comp_targetILNS1_3genE2ELNS1_11target_archE906ELNS1_3gpuE6ELNS1_3repE0EEENS1_30default_config_static_selectorELNS0_4arch9wavefront6targetE1EEEvT1_,"axG",@progbits,_ZN7rocprim17ROCPRIM_400000_NS6detail17trampoline_kernelINS0_14default_configENS1_29reduce_by_key_config_selectorIddN6thrust23THRUST_200600_302600_NS4plusIdEEEEZZNS1_33reduce_by_key_impl_wrapped_configILNS1_25lookback_scan_determinismE0ES3_S9_NS6_6detail15normal_iteratorINS6_10device_ptrIdEEEESG_SG_SG_PmS8_22is_equal_div_10_reduceIdEEE10hipError_tPvRmT2_T3_mT4_T5_T6_T7_T8_P12ihipStream_tbENKUlT_T0_E_clISt17integral_constantIbLb1EES10_IbLb0EEEEDaSW_SX_EUlSW_E_NS1_11comp_targetILNS1_3genE2ELNS1_11target_archE906ELNS1_3gpuE6ELNS1_3repE0EEENS1_30default_config_static_selectorELNS0_4arch9wavefront6targetE1EEEvT1_,comdat
.Lfunc_end73:
	.size	_ZN7rocprim17ROCPRIM_400000_NS6detail17trampoline_kernelINS0_14default_configENS1_29reduce_by_key_config_selectorIddN6thrust23THRUST_200600_302600_NS4plusIdEEEEZZNS1_33reduce_by_key_impl_wrapped_configILNS1_25lookback_scan_determinismE0ES3_S9_NS6_6detail15normal_iteratorINS6_10device_ptrIdEEEESG_SG_SG_PmS8_22is_equal_div_10_reduceIdEEE10hipError_tPvRmT2_T3_mT4_T5_T6_T7_T8_P12ihipStream_tbENKUlT_T0_E_clISt17integral_constantIbLb1EES10_IbLb0EEEEDaSW_SX_EUlSW_E_NS1_11comp_targetILNS1_3genE2ELNS1_11target_archE906ELNS1_3gpuE6ELNS1_3repE0EEENS1_30default_config_static_selectorELNS0_4arch9wavefront6targetE1EEEvT1_, .Lfunc_end73-_ZN7rocprim17ROCPRIM_400000_NS6detail17trampoline_kernelINS0_14default_configENS1_29reduce_by_key_config_selectorIddN6thrust23THRUST_200600_302600_NS4plusIdEEEEZZNS1_33reduce_by_key_impl_wrapped_configILNS1_25lookback_scan_determinismE0ES3_S9_NS6_6detail15normal_iteratorINS6_10device_ptrIdEEEESG_SG_SG_PmS8_22is_equal_div_10_reduceIdEEE10hipError_tPvRmT2_T3_mT4_T5_T6_T7_T8_P12ihipStream_tbENKUlT_T0_E_clISt17integral_constantIbLb1EES10_IbLb0EEEEDaSW_SX_EUlSW_E_NS1_11comp_targetILNS1_3genE2ELNS1_11target_archE906ELNS1_3gpuE6ELNS1_3repE0EEENS1_30default_config_static_selectorELNS0_4arch9wavefront6targetE1EEEvT1_
                                        ; -- End function
	.section	.AMDGPU.csdata,"",@progbits
; Kernel info:
; codeLenInByte = 0
; NumSgprs: 4
; NumVgprs: 0
; NumAgprs: 0
; TotalNumVgprs: 0
; ScratchSize: 0
; MemoryBound: 0
; FloatMode: 240
; IeeeMode: 1
; LDSByteSize: 0 bytes/workgroup (compile time only)
; SGPRBlocks: 0
; VGPRBlocks: 0
; NumSGPRsForWavesPerEU: 4
; NumVGPRsForWavesPerEU: 1
; AccumOffset: 4
; Occupancy: 8
; WaveLimiterHint : 0
; COMPUTE_PGM_RSRC2:SCRATCH_EN: 0
; COMPUTE_PGM_RSRC2:USER_SGPR: 6
; COMPUTE_PGM_RSRC2:TRAP_HANDLER: 0
; COMPUTE_PGM_RSRC2:TGID_X_EN: 1
; COMPUTE_PGM_RSRC2:TGID_Y_EN: 0
; COMPUTE_PGM_RSRC2:TGID_Z_EN: 0
; COMPUTE_PGM_RSRC2:TIDIG_COMP_CNT: 0
; COMPUTE_PGM_RSRC3_GFX90A:ACCUM_OFFSET: 0
; COMPUTE_PGM_RSRC3_GFX90A:TG_SPLIT: 0
	.section	.text._ZN7rocprim17ROCPRIM_400000_NS6detail17trampoline_kernelINS0_14default_configENS1_29reduce_by_key_config_selectorIddN6thrust23THRUST_200600_302600_NS4plusIdEEEEZZNS1_33reduce_by_key_impl_wrapped_configILNS1_25lookback_scan_determinismE0ES3_S9_NS6_6detail15normal_iteratorINS6_10device_ptrIdEEEESG_SG_SG_PmS8_22is_equal_div_10_reduceIdEEE10hipError_tPvRmT2_T3_mT4_T5_T6_T7_T8_P12ihipStream_tbENKUlT_T0_E_clISt17integral_constantIbLb1EES10_IbLb0EEEEDaSW_SX_EUlSW_E_NS1_11comp_targetILNS1_3genE10ELNS1_11target_archE1201ELNS1_3gpuE5ELNS1_3repE0EEENS1_30default_config_static_selectorELNS0_4arch9wavefront6targetE1EEEvT1_,"axG",@progbits,_ZN7rocprim17ROCPRIM_400000_NS6detail17trampoline_kernelINS0_14default_configENS1_29reduce_by_key_config_selectorIddN6thrust23THRUST_200600_302600_NS4plusIdEEEEZZNS1_33reduce_by_key_impl_wrapped_configILNS1_25lookback_scan_determinismE0ES3_S9_NS6_6detail15normal_iteratorINS6_10device_ptrIdEEEESG_SG_SG_PmS8_22is_equal_div_10_reduceIdEEE10hipError_tPvRmT2_T3_mT4_T5_T6_T7_T8_P12ihipStream_tbENKUlT_T0_E_clISt17integral_constantIbLb1EES10_IbLb0EEEEDaSW_SX_EUlSW_E_NS1_11comp_targetILNS1_3genE10ELNS1_11target_archE1201ELNS1_3gpuE5ELNS1_3repE0EEENS1_30default_config_static_selectorELNS0_4arch9wavefront6targetE1EEEvT1_,comdat
	.protected	_ZN7rocprim17ROCPRIM_400000_NS6detail17trampoline_kernelINS0_14default_configENS1_29reduce_by_key_config_selectorIddN6thrust23THRUST_200600_302600_NS4plusIdEEEEZZNS1_33reduce_by_key_impl_wrapped_configILNS1_25lookback_scan_determinismE0ES3_S9_NS6_6detail15normal_iteratorINS6_10device_ptrIdEEEESG_SG_SG_PmS8_22is_equal_div_10_reduceIdEEE10hipError_tPvRmT2_T3_mT4_T5_T6_T7_T8_P12ihipStream_tbENKUlT_T0_E_clISt17integral_constantIbLb1EES10_IbLb0EEEEDaSW_SX_EUlSW_E_NS1_11comp_targetILNS1_3genE10ELNS1_11target_archE1201ELNS1_3gpuE5ELNS1_3repE0EEENS1_30default_config_static_selectorELNS0_4arch9wavefront6targetE1EEEvT1_ ; -- Begin function _ZN7rocprim17ROCPRIM_400000_NS6detail17trampoline_kernelINS0_14default_configENS1_29reduce_by_key_config_selectorIddN6thrust23THRUST_200600_302600_NS4plusIdEEEEZZNS1_33reduce_by_key_impl_wrapped_configILNS1_25lookback_scan_determinismE0ES3_S9_NS6_6detail15normal_iteratorINS6_10device_ptrIdEEEESG_SG_SG_PmS8_22is_equal_div_10_reduceIdEEE10hipError_tPvRmT2_T3_mT4_T5_T6_T7_T8_P12ihipStream_tbENKUlT_T0_E_clISt17integral_constantIbLb1EES10_IbLb0EEEEDaSW_SX_EUlSW_E_NS1_11comp_targetILNS1_3genE10ELNS1_11target_archE1201ELNS1_3gpuE5ELNS1_3repE0EEENS1_30default_config_static_selectorELNS0_4arch9wavefront6targetE1EEEvT1_
	.globl	_ZN7rocprim17ROCPRIM_400000_NS6detail17trampoline_kernelINS0_14default_configENS1_29reduce_by_key_config_selectorIddN6thrust23THRUST_200600_302600_NS4plusIdEEEEZZNS1_33reduce_by_key_impl_wrapped_configILNS1_25lookback_scan_determinismE0ES3_S9_NS6_6detail15normal_iteratorINS6_10device_ptrIdEEEESG_SG_SG_PmS8_22is_equal_div_10_reduceIdEEE10hipError_tPvRmT2_T3_mT4_T5_T6_T7_T8_P12ihipStream_tbENKUlT_T0_E_clISt17integral_constantIbLb1EES10_IbLb0EEEEDaSW_SX_EUlSW_E_NS1_11comp_targetILNS1_3genE10ELNS1_11target_archE1201ELNS1_3gpuE5ELNS1_3repE0EEENS1_30default_config_static_selectorELNS0_4arch9wavefront6targetE1EEEvT1_
	.p2align	8
	.type	_ZN7rocprim17ROCPRIM_400000_NS6detail17trampoline_kernelINS0_14default_configENS1_29reduce_by_key_config_selectorIddN6thrust23THRUST_200600_302600_NS4plusIdEEEEZZNS1_33reduce_by_key_impl_wrapped_configILNS1_25lookback_scan_determinismE0ES3_S9_NS6_6detail15normal_iteratorINS6_10device_ptrIdEEEESG_SG_SG_PmS8_22is_equal_div_10_reduceIdEEE10hipError_tPvRmT2_T3_mT4_T5_T6_T7_T8_P12ihipStream_tbENKUlT_T0_E_clISt17integral_constantIbLb1EES10_IbLb0EEEEDaSW_SX_EUlSW_E_NS1_11comp_targetILNS1_3genE10ELNS1_11target_archE1201ELNS1_3gpuE5ELNS1_3repE0EEENS1_30default_config_static_selectorELNS0_4arch9wavefront6targetE1EEEvT1_,@function
_ZN7rocprim17ROCPRIM_400000_NS6detail17trampoline_kernelINS0_14default_configENS1_29reduce_by_key_config_selectorIddN6thrust23THRUST_200600_302600_NS4plusIdEEEEZZNS1_33reduce_by_key_impl_wrapped_configILNS1_25lookback_scan_determinismE0ES3_S9_NS6_6detail15normal_iteratorINS6_10device_ptrIdEEEESG_SG_SG_PmS8_22is_equal_div_10_reduceIdEEE10hipError_tPvRmT2_T3_mT4_T5_T6_T7_T8_P12ihipStream_tbENKUlT_T0_E_clISt17integral_constantIbLb1EES10_IbLb0EEEEDaSW_SX_EUlSW_E_NS1_11comp_targetILNS1_3genE10ELNS1_11target_archE1201ELNS1_3gpuE5ELNS1_3repE0EEENS1_30default_config_static_selectorELNS0_4arch9wavefront6targetE1EEEvT1_: ; @_ZN7rocprim17ROCPRIM_400000_NS6detail17trampoline_kernelINS0_14default_configENS1_29reduce_by_key_config_selectorIddN6thrust23THRUST_200600_302600_NS4plusIdEEEEZZNS1_33reduce_by_key_impl_wrapped_configILNS1_25lookback_scan_determinismE0ES3_S9_NS6_6detail15normal_iteratorINS6_10device_ptrIdEEEESG_SG_SG_PmS8_22is_equal_div_10_reduceIdEEE10hipError_tPvRmT2_T3_mT4_T5_T6_T7_T8_P12ihipStream_tbENKUlT_T0_E_clISt17integral_constantIbLb1EES10_IbLb0EEEEDaSW_SX_EUlSW_E_NS1_11comp_targetILNS1_3genE10ELNS1_11target_archE1201ELNS1_3gpuE5ELNS1_3repE0EEENS1_30default_config_static_selectorELNS0_4arch9wavefront6targetE1EEEvT1_
; %bb.0:
	.section	.rodata,"a",@progbits
	.p2align	6, 0x0
	.amdhsa_kernel _ZN7rocprim17ROCPRIM_400000_NS6detail17trampoline_kernelINS0_14default_configENS1_29reduce_by_key_config_selectorIddN6thrust23THRUST_200600_302600_NS4plusIdEEEEZZNS1_33reduce_by_key_impl_wrapped_configILNS1_25lookback_scan_determinismE0ES3_S9_NS6_6detail15normal_iteratorINS6_10device_ptrIdEEEESG_SG_SG_PmS8_22is_equal_div_10_reduceIdEEE10hipError_tPvRmT2_T3_mT4_T5_T6_T7_T8_P12ihipStream_tbENKUlT_T0_E_clISt17integral_constantIbLb1EES10_IbLb0EEEEDaSW_SX_EUlSW_E_NS1_11comp_targetILNS1_3genE10ELNS1_11target_archE1201ELNS1_3gpuE5ELNS1_3repE0EEENS1_30default_config_static_selectorELNS0_4arch9wavefront6targetE1EEEvT1_
		.amdhsa_group_segment_fixed_size 0
		.amdhsa_private_segment_fixed_size 0
		.amdhsa_kernarg_size 136
		.amdhsa_user_sgpr_count 6
		.amdhsa_user_sgpr_private_segment_buffer 1
		.amdhsa_user_sgpr_dispatch_ptr 0
		.amdhsa_user_sgpr_queue_ptr 0
		.amdhsa_user_sgpr_kernarg_segment_ptr 1
		.amdhsa_user_sgpr_dispatch_id 0
		.amdhsa_user_sgpr_flat_scratch_init 0
		.amdhsa_user_sgpr_kernarg_preload_length 0
		.amdhsa_user_sgpr_kernarg_preload_offset 0
		.amdhsa_user_sgpr_private_segment_size 0
		.amdhsa_uses_dynamic_stack 0
		.amdhsa_system_sgpr_private_segment_wavefront_offset 0
		.amdhsa_system_sgpr_workgroup_id_x 1
		.amdhsa_system_sgpr_workgroup_id_y 0
		.amdhsa_system_sgpr_workgroup_id_z 0
		.amdhsa_system_sgpr_workgroup_info 0
		.amdhsa_system_vgpr_workitem_id 0
		.amdhsa_next_free_vgpr 1
		.amdhsa_next_free_sgpr 0
		.amdhsa_accum_offset 4
		.amdhsa_reserve_vcc 0
		.amdhsa_reserve_flat_scratch 0
		.amdhsa_float_round_mode_32 0
		.amdhsa_float_round_mode_16_64 0
		.amdhsa_float_denorm_mode_32 3
		.amdhsa_float_denorm_mode_16_64 3
		.amdhsa_dx10_clamp 1
		.amdhsa_ieee_mode 1
		.amdhsa_fp16_overflow 0
		.amdhsa_tg_split 0
		.amdhsa_exception_fp_ieee_invalid_op 0
		.amdhsa_exception_fp_denorm_src 0
		.amdhsa_exception_fp_ieee_div_zero 0
		.amdhsa_exception_fp_ieee_overflow 0
		.amdhsa_exception_fp_ieee_underflow 0
		.amdhsa_exception_fp_ieee_inexact 0
		.amdhsa_exception_int_div_zero 0
	.end_amdhsa_kernel
	.section	.text._ZN7rocprim17ROCPRIM_400000_NS6detail17trampoline_kernelINS0_14default_configENS1_29reduce_by_key_config_selectorIddN6thrust23THRUST_200600_302600_NS4plusIdEEEEZZNS1_33reduce_by_key_impl_wrapped_configILNS1_25lookback_scan_determinismE0ES3_S9_NS6_6detail15normal_iteratorINS6_10device_ptrIdEEEESG_SG_SG_PmS8_22is_equal_div_10_reduceIdEEE10hipError_tPvRmT2_T3_mT4_T5_T6_T7_T8_P12ihipStream_tbENKUlT_T0_E_clISt17integral_constantIbLb1EES10_IbLb0EEEEDaSW_SX_EUlSW_E_NS1_11comp_targetILNS1_3genE10ELNS1_11target_archE1201ELNS1_3gpuE5ELNS1_3repE0EEENS1_30default_config_static_selectorELNS0_4arch9wavefront6targetE1EEEvT1_,"axG",@progbits,_ZN7rocprim17ROCPRIM_400000_NS6detail17trampoline_kernelINS0_14default_configENS1_29reduce_by_key_config_selectorIddN6thrust23THRUST_200600_302600_NS4plusIdEEEEZZNS1_33reduce_by_key_impl_wrapped_configILNS1_25lookback_scan_determinismE0ES3_S9_NS6_6detail15normal_iteratorINS6_10device_ptrIdEEEESG_SG_SG_PmS8_22is_equal_div_10_reduceIdEEE10hipError_tPvRmT2_T3_mT4_T5_T6_T7_T8_P12ihipStream_tbENKUlT_T0_E_clISt17integral_constantIbLb1EES10_IbLb0EEEEDaSW_SX_EUlSW_E_NS1_11comp_targetILNS1_3genE10ELNS1_11target_archE1201ELNS1_3gpuE5ELNS1_3repE0EEENS1_30default_config_static_selectorELNS0_4arch9wavefront6targetE1EEEvT1_,comdat
.Lfunc_end74:
	.size	_ZN7rocprim17ROCPRIM_400000_NS6detail17trampoline_kernelINS0_14default_configENS1_29reduce_by_key_config_selectorIddN6thrust23THRUST_200600_302600_NS4plusIdEEEEZZNS1_33reduce_by_key_impl_wrapped_configILNS1_25lookback_scan_determinismE0ES3_S9_NS6_6detail15normal_iteratorINS6_10device_ptrIdEEEESG_SG_SG_PmS8_22is_equal_div_10_reduceIdEEE10hipError_tPvRmT2_T3_mT4_T5_T6_T7_T8_P12ihipStream_tbENKUlT_T0_E_clISt17integral_constantIbLb1EES10_IbLb0EEEEDaSW_SX_EUlSW_E_NS1_11comp_targetILNS1_3genE10ELNS1_11target_archE1201ELNS1_3gpuE5ELNS1_3repE0EEENS1_30default_config_static_selectorELNS0_4arch9wavefront6targetE1EEEvT1_, .Lfunc_end74-_ZN7rocprim17ROCPRIM_400000_NS6detail17trampoline_kernelINS0_14default_configENS1_29reduce_by_key_config_selectorIddN6thrust23THRUST_200600_302600_NS4plusIdEEEEZZNS1_33reduce_by_key_impl_wrapped_configILNS1_25lookback_scan_determinismE0ES3_S9_NS6_6detail15normal_iteratorINS6_10device_ptrIdEEEESG_SG_SG_PmS8_22is_equal_div_10_reduceIdEEE10hipError_tPvRmT2_T3_mT4_T5_T6_T7_T8_P12ihipStream_tbENKUlT_T0_E_clISt17integral_constantIbLb1EES10_IbLb0EEEEDaSW_SX_EUlSW_E_NS1_11comp_targetILNS1_3genE10ELNS1_11target_archE1201ELNS1_3gpuE5ELNS1_3repE0EEENS1_30default_config_static_selectorELNS0_4arch9wavefront6targetE1EEEvT1_
                                        ; -- End function
	.section	.AMDGPU.csdata,"",@progbits
; Kernel info:
; codeLenInByte = 0
; NumSgprs: 4
; NumVgprs: 0
; NumAgprs: 0
; TotalNumVgprs: 0
; ScratchSize: 0
; MemoryBound: 0
; FloatMode: 240
; IeeeMode: 1
; LDSByteSize: 0 bytes/workgroup (compile time only)
; SGPRBlocks: 0
; VGPRBlocks: 0
; NumSGPRsForWavesPerEU: 4
; NumVGPRsForWavesPerEU: 1
; AccumOffset: 4
; Occupancy: 8
; WaveLimiterHint : 0
; COMPUTE_PGM_RSRC2:SCRATCH_EN: 0
; COMPUTE_PGM_RSRC2:USER_SGPR: 6
; COMPUTE_PGM_RSRC2:TRAP_HANDLER: 0
; COMPUTE_PGM_RSRC2:TGID_X_EN: 1
; COMPUTE_PGM_RSRC2:TGID_Y_EN: 0
; COMPUTE_PGM_RSRC2:TGID_Z_EN: 0
; COMPUTE_PGM_RSRC2:TIDIG_COMP_CNT: 0
; COMPUTE_PGM_RSRC3_GFX90A:ACCUM_OFFSET: 0
; COMPUTE_PGM_RSRC3_GFX90A:TG_SPLIT: 0
	.section	.text._ZN7rocprim17ROCPRIM_400000_NS6detail17trampoline_kernelINS0_14default_configENS1_29reduce_by_key_config_selectorIddN6thrust23THRUST_200600_302600_NS4plusIdEEEEZZNS1_33reduce_by_key_impl_wrapped_configILNS1_25lookback_scan_determinismE0ES3_S9_NS6_6detail15normal_iteratorINS6_10device_ptrIdEEEESG_SG_SG_PmS8_22is_equal_div_10_reduceIdEEE10hipError_tPvRmT2_T3_mT4_T5_T6_T7_T8_P12ihipStream_tbENKUlT_T0_E_clISt17integral_constantIbLb1EES10_IbLb0EEEEDaSW_SX_EUlSW_E_NS1_11comp_targetILNS1_3genE10ELNS1_11target_archE1200ELNS1_3gpuE4ELNS1_3repE0EEENS1_30default_config_static_selectorELNS0_4arch9wavefront6targetE1EEEvT1_,"axG",@progbits,_ZN7rocprim17ROCPRIM_400000_NS6detail17trampoline_kernelINS0_14default_configENS1_29reduce_by_key_config_selectorIddN6thrust23THRUST_200600_302600_NS4plusIdEEEEZZNS1_33reduce_by_key_impl_wrapped_configILNS1_25lookback_scan_determinismE0ES3_S9_NS6_6detail15normal_iteratorINS6_10device_ptrIdEEEESG_SG_SG_PmS8_22is_equal_div_10_reduceIdEEE10hipError_tPvRmT2_T3_mT4_T5_T6_T7_T8_P12ihipStream_tbENKUlT_T0_E_clISt17integral_constantIbLb1EES10_IbLb0EEEEDaSW_SX_EUlSW_E_NS1_11comp_targetILNS1_3genE10ELNS1_11target_archE1200ELNS1_3gpuE4ELNS1_3repE0EEENS1_30default_config_static_selectorELNS0_4arch9wavefront6targetE1EEEvT1_,comdat
	.protected	_ZN7rocprim17ROCPRIM_400000_NS6detail17trampoline_kernelINS0_14default_configENS1_29reduce_by_key_config_selectorIddN6thrust23THRUST_200600_302600_NS4plusIdEEEEZZNS1_33reduce_by_key_impl_wrapped_configILNS1_25lookback_scan_determinismE0ES3_S9_NS6_6detail15normal_iteratorINS6_10device_ptrIdEEEESG_SG_SG_PmS8_22is_equal_div_10_reduceIdEEE10hipError_tPvRmT2_T3_mT4_T5_T6_T7_T8_P12ihipStream_tbENKUlT_T0_E_clISt17integral_constantIbLb1EES10_IbLb0EEEEDaSW_SX_EUlSW_E_NS1_11comp_targetILNS1_3genE10ELNS1_11target_archE1200ELNS1_3gpuE4ELNS1_3repE0EEENS1_30default_config_static_selectorELNS0_4arch9wavefront6targetE1EEEvT1_ ; -- Begin function _ZN7rocprim17ROCPRIM_400000_NS6detail17trampoline_kernelINS0_14default_configENS1_29reduce_by_key_config_selectorIddN6thrust23THRUST_200600_302600_NS4plusIdEEEEZZNS1_33reduce_by_key_impl_wrapped_configILNS1_25lookback_scan_determinismE0ES3_S9_NS6_6detail15normal_iteratorINS6_10device_ptrIdEEEESG_SG_SG_PmS8_22is_equal_div_10_reduceIdEEE10hipError_tPvRmT2_T3_mT4_T5_T6_T7_T8_P12ihipStream_tbENKUlT_T0_E_clISt17integral_constantIbLb1EES10_IbLb0EEEEDaSW_SX_EUlSW_E_NS1_11comp_targetILNS1_3genE10ELNS1_11target_archE1200ELNS1_3gpuE4ELNS1_3repE0EEENS1_30default_config_static_selectorELNS0_4arch9wavefront6targetE1EEEvT1_
	.globl	_ZN7rocprim17ROCPRIM_400000_NS6detail17trampoline_kernelINS0_14default_configENS1_29reduce_by_key_config_selectorIddN6thrust23THRUST_200600_302600_NS4plusIdEEEEZZNS1_33reduce_by_key_impl_wrapped_configILNS1_25lookback_scan_determinismE0ES3_S9_NS6_6detail15normal_iteratorINS6_10device_ptrIdEEEESG_SG_SG_PmS8_22is_equal_div_10_reduceIdEEE10hipError_tPvRmT2_T3_mT4_T5_T6_T7_T8_P12ihipStream_tbENKUlT_T0_E_clISt17integral_constantIbLb1EES10_IbLb0EEEEDaSW_SX_EUlSW_E_NS1_11comp_targetILNS1_3genE10ELNS1_11target_archE1200ELNS1_3gpuE4ELNS1_3repE0EEENS1_30default_config_static_selectorELNS0_4arch9wavefront6targetE1EEEvT1_
	.p2align	8
	.type	_ZN7rocprim17ROCPRIM_400000_NS6detail17trampoline_kernelINS0_14default_configENS1_29reduce_by_key_config_selectorIddN6thrust23THRUST_200600_302600_NS4plusIdEEEEZZNS1_33reduce_by_key_impl_wrapped_configILNS1_25lookback_scan_determinismE0ES3_S9_NS6_6detail15normal_iteratorINS6_10device_ptrIdEEEESG_SG_SG_PmS8_22is_equal_div_10_reduceIdEEE10hipError_tPvRmT2_T3_mT4_T5_T6_T7_T8_P12ihipStream_tbENKUlT_T0_E_clISt17integral_constantIbLb1EES10_IbLb0EEEEDaSW_SX_EUlSW_E_NS1_11comp_targetILNS1_3genE10ELNS1_11target_archE1200ELNS1_3gpuE4ELNS1_3repE0EEENS1_30default_config_static_selectorELNS0_4arch9wavefront6targetE1EEEvT1_,@function
_ZN7rocprim17ROCPRIM_400000_NS6detail17trampoline_kernelINS0_14default_configENS1_29reduce_by_key_config_selectorIddN6thrust23THRUST_200600_302600_NS4plusIdEEEEZZNS1_33reduce_by_key_impl_wrapped_configILNS1_25lookback_scan_determinismE0ES3_S9_NS6_6detail15normal_iteratorINS6_10device_ptrIdEEEESG_SG_SG_PmS8_22is_equal_div_10_reduceIdEEE10hipError_tPvRmT2_T3_mT4_T5_T6_T7_T8_P12ihipStream_tbENKUlT_T0_E_clISt17integral_constantIbLb1EES10_IbLb0EEEEDaSW_SX_EUlSW_E_NS1_11comp_targetILNS1_3genE10ELNS1_11target_archE1200ELNS1_3gpuE4ELNS1_3repE0EEENS1_30default_config_static_selectorELNS0_4arch9wavefront6targetE1EEEvT1_: ; @_ZN7rocprim17ROCPRIM_400000_NS6detail17trampoline_kernelINS0_14default_configENS1_29reduce_by_key_config_selectorIddN6thrust23THRUST_200600_302600_NS4plusIdEEEEZZNS1_33reduce_by_key_impl_wrapped_configILNS1_25lookback_scan_determinismE0ES3_S9_NS6_6detail15normal_iteratorINS6_10device_ptrIdEEEESG_SG_SG_PmS8_22is_equal_div_10_reduceIdEEE10hipError_tPvRmT2_T3_mT4_T5_T6_T7_T8_P12ihipStream_tbENKUlT_T0_E_clISt17integral_constantIbLb1EES10_IbLb0EEEEDaSW_SX_EUlSW_E_NS1_11comp_targetILNS1_3genE10ELNS1_11target_archE1200ELNS1_3gpuE4ELNS1_3repE0EEENS1_30default_config_static_selectorELNS0_4arch9wavefront6targetE1EEEvT1_
; %bb.0:
	.section	.rodata,"a",@progbits
	.p2align	6, 0x0
	.amdhsa_kernel _ZN7rocprim17ROCPRIM_400000_NS6detail17trampoline_kernelINS0_14default_configENS1_29reduce_by_key_config_selectorIddN6thrust23THRUST_200600_302600_NS4plusIdEEEEZZNS1_33reduce_by_key_impl_wrapped_configILNS1_25lookback_scan_determinismE0ES3_S9_NS6_6detail15normal_iteratorINS6_10device_ptrIdEEEESG_SG_SG_PmS8_22is_equal_div_10_reduceIdEEE10hipError_tPvRmT2_T3_mT4_T5_T6_T7_T8_P12ihipStream_tbENKUlT_T0_E_clISt17integral_constantIbLb1EES10_IbLb0EEEEDaSW_SX_EUlSW_E_NS1_11comp_targetILNS1_3genE10ELNS1_11target_archE1200ELNS1_3gpuE4ELNS1_3repE0EEENS1_30default_config_static_selectorELNS0_4arch9wavefront6targetE1EEEvT1_
		.amdhsa_group_segment_fixed_size 0
		.amdhsa_private_segment_fixed_size 0
		.amdhsa_kernarg_size 136
		.amdhsa_user_sgpr_count 6
		.amdhsa_user_sgpr_private_segment_buffer 1
		.amdhsa_user_sgpr_dispatch_ptr 0
		.amdhsa_user_sgpr_queue_ptr 0
		.amdhsa_user_sgpr_kernarg_segment_ptr 1
		.amdhsa_user_sgpr_dispatch_id 0
		.amdhsa_user_sgpr_flat_scratch_init 0
		.amdhsa_user_sgpr_kernarg_preload_length 0
		.amdhsa_user_sgpr_kernarg_preload_offset 0
		.amdhsa_user_sgpr_private_segment_size 0
		.amdhsa_uses_dynamic_stack 0
		.amdhsa_system_sgpr_private_segment_wavefront_offset 0
		.amdhsa_system_sgpr_workgroup_id_x 1
		.amdhsa_system_sgpr_workgroup_id_y 0
		.amdhsa_system_sgpr_workgroup_id_z 0
		.amdhsa_system_sgpr_workgroup_info 0
		.amdhsa_system_vgpr_workitem_id 0
		.amdhsa_next_free_vgpr 1
		.amdhsa_next_free_sgpr 0
		.amdhsa_accum_offset 4
		.amdhsa_reserve_vcc 0
		.amdhsa_reserve_flat_scratch 0
		.amdhsa_float_round_mode_32 0
		.amdhsa_float_round_mode_16_64 0
		.amdhsa_float_denorm_mode_32 3
		.amdhsa_float_denorm_mode_16_64 3
		.amdhsa_dx10_clamp 1
		.amdhsa_ieee_mode 1
		.amdhsa_fp16_overflow 0
		.amdhsa_tg_split 0
		.amdhsa_exception_fp_ieee_invalid_op 0
		.amdhsa_exception_fp_denorm_src 0
		.amdhsa_exception_fp_ieee_div_zero 0
		.amdhsa_exception_fp_ieee_overflow 0
		.amdhsa_exception_fp_ieee_underflow 0
		.amdhsa_exception_fp_ieee_inexact 0
		.amdhsa_exception_int_div_zero 0
	.end_amdhsa_kernel
	.section	.text._ZN7rocprim17ROCPRIM_400000_NS6detail17trampoline_kernelINS0_14default_configENS1_29reduce_by_key_config_selectorIddN6thrust23THRUST_200600_302600_NS4plusIdEEEEZZNS1_33reduce_by_key_impl_wrapped_configILNS1_25lookback_scan_determinismE0ES3_S9_NS6_6detail15normal_iteratorINS6_10device_ptrIdEEEESG_SG_SG_PmS8_22is_equal_div_10_reduceIdEEE10hipError_tPvRmT2_T3_mT4_T5_T6_T7_T8_P12ihipStream_tbENKUlT_T0_E_clISt17integral_constantIbLb1EES10_IbLb0EEEEDaSW_SX_EUlSW_E_NS1_11comp_targetILNS1_3genE10ELNS1_11target_archE1200ELNS1_3gpuE4ELNS1_3repE0EEENS1_30default_config_static_selectorELNS0_4arch9wavefront6targetE1EEEvT1_,"axG",@progbits,_ZN7rocprim17ROCPRIM_400000_NS6detail17trampoline_kernelINS0_14default_configENS1_29reduce_by_key_config_selectorIddN6thrust23THRUST_200600_302600_NS4plusIdEEEEZZNS1_33reduce_by_key_impl_wrapped_configILNS1_25lookback_scan_determinismE0ES3_S9_NS6_6detail15normal_iteratorINS6_10device_ptrIdEEEESG_SG_SG_PmS8_22is_equal_div_10_reduceIdEEE10hipError_tPvRmT2_T3_mT4_T5_T6_T7_T8_P12ihipStream_tbENKUlT_T0_E_clISt17integral_constantIbLb1EES10_IbLb0EEEEDaSW_SX_EUlSW_E_NS1_11comp_targetILNS1_3genE10ELNS1_11target_archE1200ELNS1_3gpuE4ELNS1_3repE0EEENS1_30default_config_static_selectorELNS0_4arch9wavefront6targetE1EEEvT1_,comdat
.Lfunc_end75:
	.size	_ZN7rocprim17ROCPRIM_400000_NS6detail17trampoline_kernelINS0_14default_configENS1_29reduce_by_key_config_selectorIddN6thrust23THRUST_200600_302600_NS4plusIdEEEEZZNS1_33reduce_by_key_impl_wrapped_configILNS1_25lookback_scan_determinismE0ES3_S9_NS6_6detail15normal_iteratorINS6_10device_ptrIdEEEESG_SG_SG_PmS8_22is_equal_div_10_reduceIdEEE10hipError_tPvRmT2_T3_mT4_T5_T6_T7_T8_P12ihipStream_tbENKUlT_T0_E_clISt17integral_constantIbLb1EES10_IbLb0EEEEDaSW_SX_EUlSW_E_NS1_11comp_targetILNS1_3genE10ELNS1_11target_archE1200ELNS1_3gpuE4ELNS1_3repE0EEENS1_30default_config_static_selectorELNS0_4arch9wavefront6targetE1EEEvT1_, .Lfunc_end75-_ZN7rocprim17ROCPRIM_400000_NS6detail17trampoline_kernelINS0_14default_configENS1_29reduce_by_key_config_selectorIddN6thrust23THRUST_200600_302600_NS4plusIdEEEEZZNS1_33reduce_by_key_impl_wrapped_configILNS1_25lookback_scan_determinismE0ES3_S9_NS6_6detail15normal_iteratorINS6_10device_ptrIdEEEESG_SG_SG_PmS8_22is_equal_div_10_reduceIdEEE10hipError_tPvRmT2_T3_mT4_T5_T6_T7_T8_P12ihipStream_tbENKUlT_T0_E_clISt17integral_constantIbLb1EES10_IbLb0EEEEDaSW_SX_EUlSW_E_NS1_11comp_targetILNS1_3genE10ELNS1_11target_archE1200ELNS1_3gpuE4ELNS1_3repE0EEENS1_30default_config_static_selectorELNS0_4arch9wavefront6targetE1EEEvT1_
                                        ; -- End function
	.section	.AMDGPU.csdata,"",@progbits
; Kernel info:
; codeLenInByte = 0
; NumSgprs: 4
; NumVgprs: 0
; NumAgprs: 0
; TotalNumVgprs: 0
; ScratchSize: 0
; MemoryBound: 0
; FloatMode: 240
; IeeeMode: 1
; LDSByteSize: 0 bytes/workgroup (compile time only)
; SGPRBlocks: 0
; VGPRBlocks: 0
; NumSGPRsForWavesPerEU: 4
; NumVGPRsForWavesPerEU: 1
; AccumOffset: 4
; Occupancy: 8
; WaveLimiterHint : 0
; COMPUTE_PGM_RSRC2:SCRATCH_EN: 0
; COMPUTE_PGM_RSRC2:USER_SGPR: 6
; COMPUTE_PGM_RSRC2:TRAP_HANDLER: 0
; COMPUTE_PGM_RSRC2:TGID_X_EN: 1
; COMPUTE_PGM_RSRC2:TGID_Y_EN: 0
; COMPUTE_PGM_RSRC2:TGID_Z_EN: 0
; COMPUTE_PGM_RSRC2:TIDIG_COMP_CNT: 0
; COMPUTE_PGM_RSRC3_GFX90A:ACCUM_OFFSET: 0
; COMPUTE_PGM_RSRC3_GFX90A:TG_SPLIT: 0
	.section	.text._ZN7rocprim17ROCPRIM_400000_NS6detail17trampoline_kernelINS0_14default_configENS1_29reduce_by_key_config_selectorIddN6thrust23THRUST_200600_302600_NS4plusIdEEEEZZNS1_33reduce_by_key_impl_wrapped_configILNS1_25lookback_scan_determinismE0ES3_S9_NS6_6detail15normal_iteratorINS6_10device_ptrIdEEEESG_SG_SG_PmS8_22is_equal_div_10_reduceIdEEE10hipError_tPvRmT2_T3_mT4_T5_T6_T7_T8_P12ihipStream_tbENKUlT_T0_E_clISt17integral_constantIbLb1EES10_IbLb0EEEEDaSW_SX_EUlSW_E_NS1_11comp_targetILNS1_3genE9ELNS1_11target_archE1100ELNS1_3gpuE3ELNS1_3repE0EEENS1_30default_config_static_selectorELNS0_4arch9wavefront6targetE1EEEvT1_,"axG",@progbits,_ZN7rocprim17ROCPRIM_400000_NS6detail17trampoline_kernelINS0_14default_configENS1_29reduce_by_key_config_selectorIddN6thrust23THRUST_200600_302600_NS4plusIdEEEEZZNS1_33reduce_by_key_impl_wrapped_configILNS1_25lookback_scan_determinismE0ES3_S9_NS6_6detail15normal_iteratorINS6_10device_ptrIdEEEESG_SG_SG_PmS8_22is_equal_div_10_reduceIdEEE10hipError_tPvRmT2_T3_mT4_T5_T6_T7_T8_P12ihipStream_tbENKUlT_T0_E_clISt17integral_constantIbLb1EES10_IbLb0EEEEDaSW_SX_EUlSW_E_NS1_11comp_targetILNS1_3genE9ELNS1_11target_archE1100ELNS1_3gpuE3ELNS1_3repE0EEENS1_30default_config_static_selectorELNS0_4arch9wavefront6targetE1EEEvT1_,comdat
	.protected	_ZN7rocprim17ROCPRIM_400000_NS6detail17trampoline_kernelINS0_14default_configENS1_29reduce_by_key_config_selectorIddN6thrust23THRUST_200600_302600_NS4plusIdEEEEZZNS1_33reduce_by_key_impl_wrapped_configILNS1_25lookback_scan_determinismE0ES3_S9_NS6_6detail15normal_iteratorINS6_10device_ptrIdEEEESG_SG_SG_PmS8_22is_equal_div_10_reduceIdEEE10hipError_tPvRmT2_T3_mT4_T5_T6_T7_T8_P12ihipStream_tbENKUlT_T0_E_clISt17integral_constantIbLb1EES10_IbLb0EEEEDaSW_SX_EUlSW_E_NS1_11comp_targetILNS1_3genE9ELNS1_11target_archE1100ELNS1_3gpuE3ELNS1_3repE0EEENS1_30default_config_static_selectorELNS0_4arch9wavefront6targetE1EEEvT1_ ; -- Begin function _ZN7rocprim17ROCPRIM_400000_NS6detail17trampoline_kernelINS0_14default_configENS1_29reduce_by_key_config_selectorIddN6thrust23THRUST_200600_302600_NS4plusIdEEEEZZNS1_33reduce_by_key_impl_wrapped_configILNS1_25lookback_scan_determinismE0ES3_S9_NS6_6detail15normal_iteratorINS6_10device_ptrIdEEEESG_SG_SG_PmS8_22is_equal_div_10_reduceIdEEE10hipError_tPvRmT2_T3_mT4_T5_T6_T7_T8_P12ihipStream_tbENKUlT_T0_E_clISt17integral_constantIbLb1EES10_IbLb0EEEEDaSW_SX_EUlSW_E_NS1_11comp_targetILNS1_3genE9ELNS1_11target_archE1100ELNS1_3gpuE3ELNS1_3repE0EEENS1_30default_config_static_selectorELNS0_4arch9wavefront6targetE1EEEvT1_
	.globl	_ZN7rocprim17ROCPRIM_400000_NS6detail17trampoline_kernelINS0_14default_configENS1_29reduce_by_key_config_selectorIddN6thrust23THRUST_200600_302600_NS4plusIdEEEEZZNS1_33reduce_by_key_impl_wrapped_configILNS1_25lookback_scan_determinismE0ES3_S9_NS6_6detail15normal_iteratorINS6_10device_ptrIdEEEESG_SG_SG_PmS8_22is_equal_div_10_reduceIdEEE10hipError_tPvRmT2_T3_mT4_T5_T6_T7_T8_P12ihipStream_tbENKUlT_T0_E_clISt17integral_constantIbLb1EES10_IbLb0EEEEDaSW_SX_EUlSW_E_NS1_11comp_targetILNS1_3genE9ELNS1_11target_archE1100ELNS1_3gpuE3ELNS1_3repE0EEENS1_30default_config_static_selectorELNS0_4arch9wavefront6targetE1EEEvT1_
	.p2align	8
	.type	_ZN7rocprim17ROCPRIM_400000_NS6detail17trampoline_kernelINS0_14default_configENS1_29reduce_by_key_config_selectorIddN6thrust23THRUST_200600_302600_NS4plusIdEEEEZZNS1_33reduce_by_key_impl_wrapped_configILNS1_25lookback_scan_determinismE0ES3_S9_NS6_6detail15normal_iteratorINS6_10device_ptrIdEEEESG_SG_SG_PmS8_22is_equal_div_10_reduceIdEEE10hipError_tPvRmT2_T3_mT4_T5_T6_T7_T8_P12ihipStream_tbENKUlT_T0_E_clISt17integral_constantIbLb1EES10_IbLb0EEEEDaSW_SX_EUlSW_E_NS1_11comp_targetILNS1_3genE9ELNS1_11target_archE1100ELNS1_3gpuE3ELNS1_3repE0EEENS1_30default_config_static_selectorELNS0_4arch9wavefront6targetE1EEEvT1_,@function
_ZN7rocprim17ROCPRIM_400000_NS6detail17trampoline_kernelINS0_14default_configENS1_29reduce_by_key_config_selectorIddN6thrust23THRUST_200600_302600_NS4plusIdEEEEZZNS1_33reduce_by_key_impl_wrapped_configILNS1_25lookback_scan_determinismE0ES3_S9_NS6_6detail15normal_iteratorINS6_10device_ptrIdEEEESG_SG_SG_PmS8_22is_equal_div_10_reduceIdEEE10hipError_tPvRmT2_T3_mT4_T5_T6_T7_T8_P12ihipStream_tbENKUlT_T0_E_clISt17integral_constantIbLb1EES10_IbLb0EEEEDaSW_SX_EUlSW_E_NS1_11comp_targetILNS1_3genE9ELNS1_11target_archE1100ELNS1_3gpuE3ELNS1_3repE0EEENS1_30default_config_static_selectorELNS0_4arch9wavefront6targetE1EEEvT1_: ; @_ZN7rocprim17ROCPRIM_400000_NS6detail17trampoline_kernelINS0_14default_configENS1_29reduce_by_key_config_selectorIddN6thrust23THRUST_200600_302600_NS4plusIdEEEEZZNS1_33reduce_by_key_impl_wrapped_configILNS1_25lookback_scan_determinismE0ES3_S9_NS6_6detail15normal_iteratorINS6_10device_ptrIdEEEESG_SG_SG_PmS8_22is_equal_div_10_reduceIdEEE10hipError_tPvRmT2_T3_mT4_T5_T6_T7_T8_P12ihipStream_tbENKUlT_T0_E_clISt17integral_constantIbLb1EES10_IbLb0EEEEDaSW_SX_EUlSW_E_NS1_11comp_targetILNS1_3genE9ELNS1_11target_archE1100ELNS1_3gpuE3ELNS1_3repE0EEENS1_30default_config_static_selectorELNS0_4arch9wavefront6targetE1EEEvT1_
; %bb.0:
	.section	.rodata,"a",@progbits
	.p2align	6, 0x0
	.amdhsa_kernel _ZN7rocprim17ROCPRIM_400000_NS6detail17trampoline_kernelINS0_14default_configENS1_29reduce_by_key_config_selectorIddN6thrust23THRUST_200600_302600_NS4plusIdEEEEZZNS1_33reduce_by_key_impl_wrapped_configILNS1_25lookback_scan_determinismE0ES3_S9_NS6_6detail15normal_iteratorINS6_10device_ptrIdEEEESG_SG_SG_PmS8_22is_equal_div_10_reduceIdEEE10hipError_tPvRmT2_T3_mT4_T5_T6_T7_T8_P12ihipStream_tbENKUlT_T0_E_clISt17integral_constantIbLb1EES10_IbLb0EEEEDaSW_SX_EUlSW_E_NS1_11comp_targetILNS1_3genE9ELNS1_11target_archE1100ELNS1_3gpuE3ELNS1_3repE0EEENS1_30default_config_static_selectorELNS0_4arch9wavefront6targetE1EEEvT1_
		.amdhsa_group_segment_fixed_size 0
		.amdhsa_private_segment_fixed_size 0
		.amdhsa_kernarg_size 136
		.amdhsa_user_sgpr_count 6
		.amdhsa_user_sgpr_private_segment_buffer 1
		.amdhsa_user_sgpr_dispatch_ptr 0
		.amdhsa_user_sgpr_queue_ptr 0
		.amdhsa_user_sgpr_kernarg_segment_ptr 1
		.amdhsa_user_sgpr_dispatch_id 0
		.amdhsa_user_sgpr_flat_scratch_init 0
		.amdhsa_user_sgpr_kernarg_preload_length 0
		.amdhsa_user_sgpr_kernarg_preload_offset 0
		.amdhsa_user_sgpr_private_segment_size 0
		.amdhsa_uses_dynamic_stack 0
		.amdhsa_system_sgpr_private_segment_wavefront_offset 0
		.amdhsa_system_sgpr_workgroup_id_x 1
		.amdhsa_system_sgpr_workgroup_id_y 0
		.amdhsa_system_sgpr_workgroup_id_z 0
		.amdhsa_system_sgpr_workgroup_info 0
		.amdhsa_system_vgpr_workitem_id 0
		.amdhsa_next_free_vgpr 1
		.amdhsa_next_free_sgpr 0
		.amdhsa_accum_offset 4
		.amdhsa_reserve_vcc 0
		.amdhsa_reserve_flat_scratch 0
		.amdhsa_float_round_mode_32 0
		.amdhsa_float_round_mode_16_64 0
		.amdhsa_float_denorm_mode_32 3
		.amdhsa_float_denorm_mode_16_64 3
		.amdhsa_dx10_clamp 1
		.amdhsa_ieee_mode 1
		.amdhsa_fp16_overflow 0
		.amdhsa_tg_split 0
		.amdhsa_exception_fp_ieee_invalid_op 0
		.amdhsa_exception_fp_denorm_src 0
		.amdhsa_exception_fp_ieee_div_zero 0
		.amdhsa_exception_fp_ieee_overflow 0
		.amdhsa_exception_fp_ieee_underflow 0
		.amdhsa_exception_fp_ieee_inexact 0
		.amdhsa_exception_int_div_zero 0
	.end_amdhsa_kernel
	.section	.text._ZN7rocprim17ROCPRIM_400000_NS6detail17trampoline_kernelINS0_14default_configENS1_29reduce_by_key_config_selectorIddN6thrust23THRUST_200600_302600_NS4plusIdEEEEZZNS1_33reduce_by_key_impl_wrapped_configILNS1_25lookback_scan_determinismE0ES3_S9_NS6_6detail15normal_iteratorINS6_10device_ptrIdEEEESG_SG_SG_PmS8_22is_equal_div_10_reduceIdEEE10hipError_tPvRmT2_T3_mT4_T5_T6_T7_T8_P12ihipStream_tbENKUlT_T0_E_clISt17integral_constantIbLb1EES10_IbLb0EEEEDaSW_SX_EUlSW_E_NS1_11comp_targetILNS1_3genE9ELNS1_11target_archE1100ELNS1_3gpuE3ELNS1_3repE0EEENS1_30default_config_static_selectorELNS0_4arch9wavefront6targetE1EEEvT1_,"axG",@progbits,_ZN7rocprim17ROCPRIM_400000_NS6detail17trampoline_kernelINS0_14default_configENS1_29reduce_by_key_config_selectorIddN6thrust23THRUST_200600_302600_NS4plusIdEEEEZZNS1_33reduce_by_key_impl_wrapped_configILNS1_25lookback_scan_determinismE0ES3_S9_NS6_6detail15normal_iteratorINS6_10device_ptrIdEEEESG_SG_SG_PmS8_22is_equal_div_10_reduceIdEEE10hipError_tPvRmT2_T3_mT4_T5_T6_T7_T8_P12ihipStream_tbENKUlT_T0_E_clISt17integral_constantIbLb1EES10_IbLb0EEEEDaSW_SX_EUlSW_E_NS1_11comp_targetILNS1_3genE9ELNS1_11target_archE1100ELNS1_3gpuE3ELNS1_3repE0EEENS1_30default_config_static_selectorELNS0_4arch9wavefront6targetE1EEEvT1_,comdat
.Lfunc_end76:
	.size	_ZN7rocprim17ROCPRIM_400000_NS6detail17trampoline_kernelINS0_14default_configENS1_29reduce_by_key_config_selectorIddN6thrust23THRUST_200600_302600_NS4plusIdEEEEZZNS1_33reduce_by_key_impl_wrapped_configILNS1_25lookback_scan_determinismE0ES3_S9_NS6_6detail15normal_iteratorINS6_10device_ptrIdEEEESG_SG_SG_PmS8_22is_equal_div_10_reduceIdEEE10hipError_tPvRmT2_T3_mT4_T5_T6_T7_T8_P12ihipStream_tbENKUlT_T0_E_clISt17integral_constantIbLb1EES10_IbLb0EEEEDaSW_SX_EUlSW_E_NS1_11comp_targetILNS1_3genE9ELNS1_11target_archE1100ELNS1_3gpuE3ELNS1_3repE0EEENS1_30default_config_static_selectorELNS0_4arch9wavefront6targetE1EEEvT1_, .Lfunc_end76-_ZN7rocprim17ROCPRIM_400000_NS6detail17trampoline_kernelINS0_14default_configENS1_29reduce_by_key_config_selectorIddN6thrust23THRUST_200600_302600_NS4plusIdEEEEZZNS1_33reduce_by_key_impl_wrapped_configILNS1_25lookback_scan_determinismE0ES3_S9_NS6_6detail15normal_iteratorINS6_10device_ptrIdEEEESG_SG_SG_PmS8_22is_equal_div_10_reduceIdEEE10hipError_tPvRmT2_T3_mT4_T5_T6_T7_T8_P12ihipStream_tbENKUlT_T0_E_clISt17integral_constantIbLb1EES10_IbLb0EEEEDaSW_SX_EUlSW_E_NS1_11comp_targetILNS1_3genE9ELNS1_11target_archE1100ELNS1_3gpuE3ELNS1_3repE0EEENS1_30default_config_static_selectorELNS0_4arch9wavefront6targetE1EEEvT1_
                                        ; -- End function
	.section	.AMDGPU.csdata,"",@progbits
; Kernel info:
; codeLenInByte = 0
; NumSgprs: 4
; NumVgprs: 0
; NumAgprs: 0
; TotalNumVgprs: 0
; ScratchSize: 0
; MemoryBound: 0
; FloatMode: 240
; IeeeMode: 1
; LDSByteSize: 0 bytes/workgroup (compile time only)
; SGPRBlocks: 0
; VGPRBlocks: 0
; NumSGPRsForWavesPerEU: 4
; NumVGPRsForWavesPerEU: 1
; AccumOffset: 4
; Occupancy: 8
; WaveLimiterHint : 0
; COMPUTE_PGM_RSRC2:SCRATCH_EN: 0
; COMPUTE_PGM_RSRC2:USER_SGPR: 6
; COMPUTE_PGM_RSRC2:TRAP_HANDLER: 0
; COMPUTE_PGM_RSRC2:TGID_X_EN: 1
; COMPUTE_PGM_RSRC2:TGID_Y_EN: 0
; COMPUTE_PGM_RSRC2:TGID_Z_EN: 0
; COMPUTE_PGM_RSRC2:TIDIG_COMP_CNT: 0
; COMPUTE_PGM_RSRC3_GFX90A:ACCUM_OFFSET: 0
; COMPUTE_PGM_RSRC3_GFX90A:TG_SPLIT: 0
	.section	.text._ZN7rocprim17ROCPRIM_400000_NS6detail17trampoline_kernelINS0_14default_configENS1_29reduce_by_key_config_selectorIddN6thrust23THRUST_200600_302600_NS4plusIdEEEEZZNS1_33reduce_by_key_impl_wrapped_configILNS1_25lookback_scan_determinismE0ES3_S9_NS6_6detail15normal_iteratorINS6_10device_ptrIdEEEESG_SG_SG_PmS8_22is_equal_div_10_reduceIdEEE10hipError_tPvRmT2_T3_mT4_T5_T6_T7_T8_P12ihipStream_tbENKUlT_T0_E_clISt17integral_constantIbLb1EES10_IbLb0EEEEDaSW_SX_EUlSW_E_NS1_11comp_targetILNS1_3genE8ELNS1_11target_archE1030ELNS1_3gpuE2ELNS1_3repE0EEENS1_30default_config_static_selectorELNS0_4arch9wavefront6targetE1EEEvT1_,"axG",@progbits,_ZN7rocprim17ROCPRIM_400000_NS6detail17trampoline_kernelINS0_14default_configENS1_29reduce_by_key_config_selectorIddN6thrust23THRUST_200600_302600_NS4plusIdEEEEZZNS1_33reduce_by_key_impl_wrapped_configILNS1_25lookback_scan_determinismE0ES3_S9_NS6_6detail15normal_iteratorINS6_10device_ptrIdEEEESG_SG_SG_PmS8_22is_equal_div_10_reduceIdEEE10hipError_tPvRmT2_T3_mT4_T5_T6_T7_T8_P12ihipStream_tbENKUlT_T0_E_clISt17integral_constantIbLb1EES10_IbLb0EEEEDaSW_SX_EUlSW_E_NS1_11comp_targetILNS1_3genE8ELNS1_11target_archE1030ELNS1_3gpuE2ELNS1_3repE0EEENS1_30default_config_static_selectorELNS0_4arch9wavefront6targetE1EEEvT1_,comdat
	.protected	_ZN7rocprim17ROCPRIM_400000_NS6detail17trampoline_kernelINS0_14default_configENS1_29reduce_by_key_config_selectorIddN6thrust23THRUST_200600_302600_NS4plusIdEEEEZZNS1_33reduce_by_key_impl_wrapped_configILNS1_25lookback_scan_determinismE0ES3_S9_NS6_6detail15normal_iteratorINS6_10device_ptrIdEEEESG_SG_SG_PmS8_22is_equal_div_10_reduceIdEEE10hipError_tPvRmT2_T3_mT4_T5_T6_T7_T8_P12ihipStream_tbENKUlT_T0_E_clISt17integral_constantIbLb1EES10_IbLb0EEEEDaSW_SX_EUlSW_E_NS1_11comp_targetILNS1_3genE8ELNS1_11target_archE1030ELNS1_3gpuE2ELNS1_3repE0EEENS1_30default_config_static_selectorELNS0_4arch9wavefront6targetE1EEEvT1_ ; -- Begin function _ZN7rocprim17ROCPRIM_400000_NS6detail17trampoline_kernelINS0_14default_configENS1_29reduce_by_key_config_selectorIddN6thrust23THRUST_200600_302600_NS4plusIdEEEEZZNS1_33reduce_by_key_impl_wrapped_configILNS1_25lookback_scan_determinismE0ES3_S9_NS6_6detail15normal_iteratorINS6_10device_ptrIdEEEESG_SG_SG_PmS8_22is_equal_div_10_reduceIdEEE10hipError_tPvRmT2_T3_mT4_T5_T6_T7_T8_P12ihipStream_tbENKUlT_T0_E_clISt17integral_constantIbLb1EES10_IbLb0EEEEDaSW_SX_EUlSW_E_NS1_11comp_targetILNS1_3genE8ELNS1_11target_archE1030ELNS1_3gpuE2ELNS1_3repE0EEENS1_30default_config_static_selectorELNS0_4arch9wavefront6targetE1EEEvT1_
	.globl	_ZN7rocprim17ROCPRIM_400000_NS6detail17trampoline_kernelINS0_14default_configENS1_29reduce_by_key_config_selectorIddN6thrust23THRUST_200600_302600_NS4plusIdEEEEZZNS1_33reduce_by_key_impl_wrapped_configILNS1_25lookback_scan_determinismE0ES3_S9_NS6_6detail15normal_iteratorINS6_10device_ptrIdEEEESG_SG_SG_PmS8_22is_equal_div_10_reduceIdEEE10hipError_tPvRmT2_T3_mT4_T5_T6_T7_T8_P12ihipStream_tbENKUlT_T0_E_clISt17integral_constantIbLb1EES10_IbLb0EEEEDaSW_SX_EUlSW_E_NS1_11comp_targetILNS1_3genE8ELNS1_11target_archE1030ELNS1_3gpuE2ELNS1_3repE0EEENS1_30default_config_static_selectorELNS0_4arch9wavefront6targetE1EEEvT1_
	.p2align	8
	.type	_ZN7rocprim17ROCPRIM_400000_NS6detail17trampoline_kernelINS0_14default_configENS1_29reduce_by_key_config_selectorIddN6thrust23THRUST_200600_302600_NS4plusIdEEEEZZNS1_33reduce_by_key_impl_wrapped_configILNS1_25lookback_scan_determinismE0ES3_S9_NS6_6detail15normal_iteratorINS6_10device_ptrIdEEEESG_SG_SG_PmS8_22is_equal_div_10_reduceIdEEE10hipError_tPvRmT2_T3_mT4_T5_T6_T7_T8_P12ihipStream_tbENKUlT_T0_E_clISt17integral_constantIbLb1EES10_IbLb0EEEEDaSW_SX_EUlSW_E_NS1_11comp_targetILNS1_3genE8ELNS1_11target_archE1030ELNS1_3gpuE2ELNS1_3repE0EEENS1_30default_config_static_selectorELNS0_4arch9wavefront6targetE1EEEvT1_,@function
_ZN7rocprim17ROCPRIM_400000_NS6detail17trampoline_kernelINS0_14default_configENS1_29reduce_by_key_config_selectorIddN6thrust23THRUST_200600_302600_NS4plusIdEEEEZZNS1_33reduce_by_key_impl_wrapped_configILNS1_25lookback_scan_determinismE0ES3_S9_NS6_6detail15normal_iteratorINS6_10device_ptrIdEEEESG_SG_SG_PmS8_22is_equal_div_10_reduceIdEEE10hipError_tPvRmT2_T3_mT4_T5_T6_T7_T8_P12ihipStream_tbENKUlT_T0_E_clISt17integral_constantIbLb1EES10_IbLb0EEEEDaSW_SX_EUlSW_E_NS1_11comp_targetILNS1_3genE8ELNS1_11target_archE1030ELNS1_3gpuE2ELNS1_3repE0EEENS1_30default_config_static_selectorELNS0_4arch9wavefront6targetE1EEEvT1_: ; @_ZN7rocprim17ROCPRIM_400000_NS6detail17trampoline_kernelINS0_14default_configENS1_29reduce_by_key_config_selectorIddN6thrust23THRUST_200600_302600_NS4plusIdEEEEZZNS1_33reduce_by_key_impl_wrapped_configILNS1_25lookback_scan_determinismE0ES3_S9_NS6_6detail15normal_iteratorINS6_10device_ptrIdEEEESG_SG_SG_PmS8_22is_equal_div_10_reduceIdEEE10hipError_tPvRmT2_T3_mT4_T5_T6_T7_T8_P12ihipStream_tbENKUlT_T0_E_clISt17integral_constantIbLb1EES10_IbLb0EEEEDaSW_SX_EUlSW_E_NS1_11comp_targetILNS1_3genE8ELNS1_11target_archE1030ELNS1_3gpuE2ELNS1_3repE0EEENS1_30default_config_static_selectorELNS0_4arch9wavefront6targetE1EEEvT1_
; %bb.0:
	.section	.rodata,"a",@progbits
	.p2align	6, 0x0
	.amdhsa_kernel _ZN7rocprim17ROCPRIM_400000_NS6detail17trampoline_kernelINS0_14default_configENS1_29reduce_by_key_config_selectorIddN6thrust23THRUST_200600_302600_NS4plusIdEEEEZZNS1_33reduce_by_key_impl_wrapped_configILNS1_25lookback_scan_determinismE0ES3_S9_NS6_6detail15normal_iteratorINS6_10device_ptrIdEEEESG_SG_SG_PmS8_22is_equal_div_10_reduceIdEEE10hipError_tPvRmT2_T3_mT4_T5_T6_T7_T8_P12ihipStream_tbENKUlT_T0_E_clISt17integral_constantIbLb1EES10_IbLb0EEEEDaSW_SX_EUlSW_E_NS1_11comp_targetILNS1_3genE8ELNS1_11target_archE1030ELNS1_3gpuE2ELNS1_3repE0EEENS1_30default_config_static_selectorELNS0_4arch9wavefront6targetE1EEEvT1_
		.amdhsa_group_segment_fixed_size 0
		.amdhsa_private_segment_fixed_size 0
		.amdhsa_kernarg_size 136
		.amdhsa_user_sgpr_count 6
		.amdhsa_user_sgpr_private_segment_buffer 1
		.amdhsa_user_sgpr_dispatch_ptr 0
		.amdhsa_user_sgpr_queue_ptr 0
		.amdhsa_user_sgpr_kernarg_segment_ptr 1
		.amdhsa_user_sgpr_dispatch_id 0
		.amdhsa_user_sgpr_flat_scratch_init 0
		.amdhsa_user_sgpr_kernarg_preload_length 0
		.amdhsa_user_sgpr_kernarg_preload_offset 0
		.amdhsa_user_sgpr_private_segment_size 0
		.amdhsa_uses_dynamic_stack 0
		.amdhsa_system_sgpr_private_segment_wavefront_offset 0
		.amdhsa_system_sgpr_workgroup_id_x 1
		.amdhsa_system_sgpr_workgroup_id_y 0
		.amdhsa_system_sgpr_workgroup_id_z 0
		.amdhsa_system_sgpr_workgroup_info 0
		.amdhsa_system_vgpr_workitem_id 0
		.amdhsa_next_free_vgpr 1
		.amdhsa_next_free_sgpr 0
		.amdhsa_accum_offset 4
		.amdhsa_reserve_vcc 0
		.amdhsa_reserve_flat_scratch 0
		.amdhsa_float_round_mode_32 0
		.amdhsa_float_round_mode_16_64 0
		.amdhsa_float_denorm_mode_32 3
		.amdhsa_float_denorm_mode_16_64 3
		.amdhsa_dx10_clamp 1
		.amdhsa_ieee_mode 1
		.amdhsa_fp16_overflow 0
		.amdhsa_tg_split 0
		.amdhsa_exception_fp_ieee_invalid_op 0
		.amdhsa_exception_fp_denorm_src 0
		.amdhsa_exception_fp_ieee_div_zero 0
		.amdhsa_exception_fp_ieee_overflow 0
		.amdhsa_exception_fp_ieee_underflow 0
		.amdhsa_exception_fp_ieee_inexact 0
		.amdhsa_exception_int_div_zero 0
	.end_amdhsa_kernel
	.section	.text._ZN7rocprim17ROCPRIM_400000_NS6detail17trampoline_kernelINS0_14default_configENS1_29reduce_by_key_config_selectorIddN6thrust23THRUST_200600_302600_NS4plusIdEEEEZZNS1_33reduce_by_key_impl_wrapped_configILNS1_25lookback_scan_determinismE0ES3_S9_NS6_6detail15normal_iteratorINS6_10device_ptrIdEEEESG_SG_SG_PmS8_22is_equal_div_10_reduceIdEEE10hipError_tPvRmT2_T3_mT4_T5_T6_T7_T8_P12ihipStream_tbENKUlT_T0_E_clISt17integral_constantIbLb1EES10_IbLb0EEEEDaSW_SX_EUlSW_E_NS1_11comp_targetILNS1_3genE8ELNS1_11target_archE1030ELNS1_3gpuE2ELNS1_3repE0EEENS1_30default_config_static_selectorELNS0_4arch9wavefront6targetE1EEEvT1_,"axG",@progbits,_ZN7rocprim17ROCPRIM_400000_NS6detail17trampoline_kernelINS0_14default_configENS1_29reduce_by_key_config_selectorIddN6thrust23THRUST_200600_302600_NS4plusIdEEEEZZNS1_33reduce_by_key_impl_wrapped_configILNS1_25lookback_scan_determinismE0ES3_S9_NS6_6detail15normal_iteratorINS6_10device_ptrIdEEEESG_SG_SG_PmS8_22is_equal_div_10_reduceIdEEE10hipError_tPvRmT2_T3_mT4_T5_T6_T7_T8_P12ihipStream_tbENKUlT_T0_E_clISt17integral_constantIbLb1EES10_IbLb0EEEEDaSW_SX_EUlSW_E_NS1_11comp_targetILNS1_3genE8ELNS1_11target_archE1030ELNS1_3gpuE2ELNS1_3repE0EEENS1_30default_config_static_selectorELNS0_4arch9wavefront6targetE1EEEvT1_,comdat
.Lfunc_end77:
	.size	_ZN7rocprim17ROCPRIM_400000_NS6detail17trampoline_kernelINS0_14default_configENS1_29reduce_by_key_config_selectorIddN6thrust23THRUST_200600_302600_NS4plusIdEEEEZZNS1_33reduce_by_key_impl_wrapped_configILNS1_25lookback_scan_determinismE0ES3_S9_NS6_6detail15normal_iteratorINS6_10device_ptrIdEEEESG_SG_SG_PmS8_22is_equal_div_10_reduceIdEEE10hipError_tPvRmT2_T3_mT4_T5_T6_T7_T8_P12ihipStream_tbENKUlT_T0_E_clISt17integral_constantIbLb1EES10_IbLb0EEEEDaSW_SX_EUlSW_E_NS1_11comp_targetILNS1_3genE8ELNS1_11target_archE1030ELNS1_3gpuE2ELNS1_3repE0EEENS1_30default_config_static_selectorELNS0_4arch9wavefront6targetE1EEEvT1_, .Lfunc_end77-_ZN7rocprim17ROCPRIM_400000_NS6detail17trampoline_kernelINS0_14default_configENS1_29reduce_by_key_config_selectorIddN6thrust23THRUST_200600_302600_NS4plusIdEEEEZZNS1_33reduce_by_key_impl_wrapped_configILNS1_25lookback_scan_determinismE0ES3_S9_NS6_6detail15normal_iteratorINS6_10device_ptrIdEEEESG_SG_SG_PmS8_22is_equal_div_10_reduceIdEEE10hipError_tPvRmT2_T3_mT4_T5_T6_T7_T8_P12ihipStream_tbENKUlT_T0_E_clISt17integral_constantIbLb1EES10_IbLb0EEEEDaSW_SX_EUlSW_E_NS1_11comp_targetILNS1_3genE8ELNS1_11target_archE1030ELNS1_3gpuE2ELNS1_3repE0EEENS1_30default_config_static_selectorELNS0_4arch9wavefront6targetE1EEEvT1_
                                        ; -- End function
	.section	.AMDGPU.csdata,"",@progbits
; Kernel info:
; codeLenInByte = 0
; NumSgprs: 4
; NumVgprs: 0
; NumAgprs: 0
; TotalNumVgprs: 0
; ScratchSize: 0
; MemoryBound: 0
; FloatMode: 240
; IeeeMode: 1
; LDSByteSize: 0 bytes/workgroup (compile time only)
; SGPRBlocks: 0
; VGPRBlocks: 0
; NumSGPRsForWavesPerEU: 4
; NumVGPRsForWavesPerEU: 1
; AccumOffset: 4
; Occupancy: 8
; WaveLimiterHint : 0
; COMPUTE_PGM_RSRC2:SCRATCH_EN: 0
; COMPUTE_PGM_RSRC2:USER_SGPR: 6
; COMPUTE_PGM_RSRC2:TRAP_HANDLER: 0
; COMPUTE_PGM_RSRC2:TGID_X_EN: 1
; COMPUTE_PGM_RSRC2:TGID_Y_EN: 0
; COMPUTE_PGM_RSRC2:TGID_Z_EN: 0
; COMPUTE_PGM_RSRC2:TIDIG_COMP_CNT: 0
; COMPUTE_PGM_RSRC3_GFX90A:ACCUM_OFFSET: 0
; COMPUTE_PGM_RSRC3_GFX90A:TG_SPLIT: 0
	.section	.text._ZN7rocprim17ROCPRIM_400000_NS6detail17trampoline_kernelINS0_14default_configENS1_29reduce_by_key_config_selectorIddN6thrust23THRUST_200600_302600_NS4plusIdEEEEZZNS1_33reduce_by_key_impl_wrapped_configILNS1_25lookback_scan_determinismE0ES3_S9_NS6_6detail15normal_iteratorINS6_10device_ptrIdEEEESG_SG_SG_PmS8_22is_equal_div_10_reduceIdEEE10hipError_tPvRmT2_T3_mT4_T5_T6_T7_T8_P12ihipStream_tbENKUlT_T0_E_clISt17integral_constantIbLb0EES10_IbLb1EEEEDaSW_SX_EUlSW_E_NS1_11comp_targetILNS1_3genE0ELNS1_11target_archE4294967295ELNS1_3gpuE0ELNS1_3repE0EEENS1_30default_config_static_selectorELNS0_4arch9wavefront6targetE1EEEvT1_,"axG",@progbits,_ZN7rocprim17ROCPRIM_400000_NS6detail17trampoline_kernelINS0_14default_configENS1_29reduce_by_key_config_selectorIddN6thrust23THRUST_200600_302600_NS4plusIdEEEEZZNS1_33reduce_by_key_impl_wrapped_configILNS1_25lookback_scan_determinismE0ES3_S9_NS6_6detail15normal_iteratorINS6_10device_ptrIdEEEESG_SG_SG_PmS8_22is_equal_div_10_reduceIdEEE10hipError_tPvRmT2_T3_mT4_T5_T6_T7_T8_P12ihipStream_tbENKUlT_T0_E_clISt17integral_constantIbLb0EES10_IbLb1EEEEDaSW_SX_EUlSW_E_NS1_11comp_targetILNS1_3genE0ELNS1_11target_archE4294967295ELNS1_3gpuE0ELNS1_3repE0EEENS1_30default_config_static_selectorELNS0_4arch9wavefront6targetE1EEEvT1_,comdat
	.protected	_ZN7rocprim17ROCPRIM_400000_NS6detail17trampoline_kernelINS0_14default_configENS1_29reduce_by_key_config_selectorIddN6thrust23THRUST_200600_302600_NS4plusIdEEEEZZNS1_33reduce_by_key_impl_wrapped_configILNS1_25lookback_scan_determinismE0ES3_S9_NS6_6detail15normal_iteratorINS6_10device_ptrIdEEEESG_SG_SG_PmS8_22is_equal_div_10_reduceIdEEE10hipError_tPvRmT2_T3_mT4_T5_T6_T7_T8_P12ihipStream_tbENKUlT_T0_E_clISt17integral_constantIbLb0EES10_IbLb1EEEEDaSW_SX_EUlSW_E_NS1_11comp_targetILNS1_3genE0ELNS1_11target_archE4294967295ELNS1_3gpuE0ELNS1_3repE0EEENS1_30default_config_static_selectorELNS0_4arch9wavefront6targetE1EEEvT1_ ; -- Begin function _ZN7rocprim17ROCPRIM_400000_NS6detail17trampoline_kernelINS0_14default_configENS1_29reduce_by_key_config_selectorIddN6thrust23THRUST_200600_302600_NS4plusIdEEEEZZNS1_33reduce_by_key_impl_wrapped_configILNS1_25lookback_scan_determinismE0ES3_S9_NS6_6detail15normal_iteratorINS6_10device_ptrIdEEEESG_SG_SG_PmS8_22is_equal_div_10_reduceIdEEE10hipError_tPvRmT2_T3_mT4_T5_T6_T7_T8_P12ihipStream_tbENKUlT_T0_E_clISt17integral_constantIbLb0EES10_IbLb1EEEEDaSW_SX_EUlSW_E_NS1_11comp_targetILNS1_3genE0ELNS1_11target_archE4294967295ELNS1_3gpuE0ELNS1_3repE0EEENS1_30default_config_static_selectorELNS0_4arch9wavefront6targetE1EEEvT1_
	.globl	_ZN7rocprim17ROCPRIM_400000_NS6detail17trampoline_kernelINS0_14default_configENS1_29reduce_by_key_config_selectorIddN6thrust23THRUST_200600_302600_NS4plusIdEEEEZZNS1_33reduce_by_key_impl_wrapped_configILNS1_25lookback_scan_determinismE0ES3_S9_NS6_6detail15normal_iteratorINS6_10device_ptrIdEEEESG_SG_SG_PmS8_22is_equal_div_10_reduceIdEEE10hipError_tPvRmT2_T3_mT4_T5_T6_T7_T8_P12ihipStream_tbENKUlT_T0_E_clISt17integral_constantIbLb0EES10_IbLb1EEEEDaSW_SX_EUlSW_E_NS1_11comp_targetILNS1_3genE0ELNS1_11target_archE4294967295ELNS1_3gpuE0ELNS1_3repE0EEENS1_30default_config_static_selectorELNS0_4arch9wavefront6targetE1EEEvT1_
	.p2align	8
	.type	_ZN7rocprim17ROCPRIM_400000_NS6detail17trampoline_kernelINS0_14default_configENS1_29reduce_by_key_config_selectorIddN6thrust23THRUST_200600_302600_NS4plusIdEEEEZZNS1_33reduce_by_key_impl_wrapped_configILNS1_25lookback_scan_determinismE0ES3_S9_NS6_6detail15normal_iteratorINS6_10device_ptrIdEEEESG_SG_SG_PmS8_22is_equal_div_10_reduceIdEEE10hipError_tPvRmT2_T3_mT4_T5_T6_T7_T8_P12ihipStream_tbENKUlT_T0_E_clISt17integral_constantIbLb0EES10_IbLb1EEEEDaSW_SX_EUlSW_E_NS1_11comp_targetILNS1_3genE0ELNS1_11target_archE4294967295ELNS1_3gpuE0ELNS1_3repE0EEENS1_30default_config_static_selectorELNS0_4arch9wavefront6targetE1EEEvT1_,@function
_ZN7rocprim17ROCPRIM_400000_NS6detail17trampoline_kernelINS0_14default_configENS1_29reduce_by_key_config_selectorIddN6thrust23THRUST_200600_302600_NS4plusIdEEEEZZNS1_33reduce_by_key_impl_wrapped_configILNS1_25lookback_scan_determinismE0ES3_S9_NS6_6detail15normal_iteratorINS6_10device_ptrIdEEEESG_SG_SG_PmS8_22is_equal_div_10_reduceIdEEE10hipError_tPvRmT2_T3_mT4_T5_T6_T7_T8_P12ihipStream_tbENKUlT_T0_E_clISt17integral_constantIbLb0EES10_IbLb1EEEEDaSW_SX_EUlSW_E_NS1_11comp_targetILNS1_3genE0ELNS1_11target_archE4294967295ELNS1_3gpuE0ELNS1_3repE0EEENS1_30default_config_static_selectorELNS0_4arch9wavefront6targetE1EEEvT1_: ; @_ZN7rocprim17ROCPRIM_400000_NS6detail17trampoline_kernelINS0_14default_configENS1_29reduce_by_key_config_selectorIddN6thrust23THRUST_200600_302600_NS4plusIdEEEEZZNS1_33reduce_by_key_impl_wrapped_configILNS1_25lookback_scan_determinismE0ES3_S9_NS6_6detail15normal_iteratorINS6_10device_ptrIdEEEESG_SG_SG_PmS8_22is_equal_div_10_reduceIdEEE10hipError_tPvRmT2_T3_mT4_T5_T6_T7_T8_P12ihipStream_tbENKUlT_T0_E_clISt17integral_constantIbLb0EES10_IbLb1EEEEDaSW_SX_EUlSW_E_NS1_11comp_targetILNS1_3genE0ELNS1_11target_archE4294967295ELNS1_3gpuE0ELNS1_3repE0EEENS1_30default_config_static_selectorELNS0_4arch9wavefront6targetE1EEEvT1_
; %bb.0:
	.section	.rodata,"a",@progbits
	.p2align	6, 0x0
	.amdhsa_kernel _ZN7rocprim17ROCPRIM_400000_NS6detail17trampoline_kernelINS0_14default_configENS1_29reduce_by_key_config_selectorIddN6thrust23THRUST_200600_302600_NS4plusIdEEEEZZNS1_33reduce_by_key_impl_wrapped_configILNS1_25lookback_scan_determinismE0ES3_S9_NS6_6detail15normal_iteratorINS6_10device_ptrIdEEEESG_SG_SG_PmS8_22is_equal_div_10_reduceIdEEE10hipError_tPvRmT2_T3_mT4_T5_T6_T7_T8_P12ihipStream_tbENKUlT_T0_E_clISt17integral_constantIbLb0EES10_IbLb1EEEEDaSW_SX_EUlSW_E_NS1_11comp_targetILNS1_3genE0ELNS1_11target_archE4294967295ELNS1_3gpuE0ELNS1_3repE0EEENS1_30default_config_static_selectorELNS0_4arch9wavefront6targetE1EEEvT1_
		.amdhsa_group_segment_fixed_size 0
		.amdhsa_private_segment_fixed_size 0
		.amdhsa_kernarg_size 136
		.amdhsa_user_sgpr_count 6
		.amdhsa_user_sgpr_private_segment_buffer 1
		.amdhsa_user_sgpr_dispatch_ptr 0
		.amdhsa_user_sgpr_queue_ptr 0
		.amdhsa_user_sgpr_kernarg_segment_ptr 1
		.amdhsa_user_sgpr_dispatch_id 0
		.amdhsa_user_sgpr_flat_scratch_init 0
		.amdhsa_user_sgpr_kernarg_preload_length 0
		.amdhsa_user_sgpr_kernarg_preload_offset 0
		.amdhsa_user_sgpr_private_segment_size 0
		.amdhsa_uses_dynamic_stack 0
		.amdhsa_system_sgpr_private_segment_wavefront_offset 0
		.amdhsa_system_sgpr_workgroup_id_x 1
		.amdhsa_system_sgpr_workgroup_id_y 0
		.amdhsa_system_sgpr_workgroup_id_z 0
		.amdhsa_system_sgpr_workgroup_info 0
		.amdhsa_system_vgpr_workitem_id 0
		.amdhsa_next_free_vgpr 1
		.amdhsa_next_free_sgpr 0
		.amdhsa_accum_offset 4
		.amdhsa_reserve_vcc 0
		.amdhsa_reserve_flat_scratch 0
		.amdhsa_float_round_mode_32 0
		.amdhsa_float_round_mode_16_64 0
		.amdhsa_float_denorm_mode_32 3
		.amdhsa_float_denorm_mode_16_64 3
		.amdhsa_dx10_clamp 1
		.amdhsa_ieee_mode 1
		.amdhsa_fp16_overflow 0
		.amdhsa_tg_split 0
		.amdhsa_exception_fp_ieee_invalid_op 0
		.amdhsa_exception_fp_denorm_src 0
		.amdhsa_exception_fp_ieee_div_zero 0
		.amdhsa_exception_fp_ieee_overflow 0
		.amdhsa_exception_fp_ieee_underflow 0
		.amdhsa_exception_fp_ieee_inexact 0
		.amdhsa_exception_int_div_zero 0
	.end_amdhsa_kernel
	.section	.text._ZN7rocprim17ROCPRIM_400000_NS6detail17trampoline_kernelINS0_14default_configENS1_29reduce_by_key_config_selectorIddN6thrust23THRUST_200600_302600_NS4plusIdEEEEZZNS1_33reduce_by_key_impl_wrapped_configILNS1_25lookback_scan_determinismE0ES3_S9_NS6_6detail15normal_iteratorINS6_10device_ptrIdEEEESG_SG_SG_PmS8_22is_equal_div_10_reduceIdEEE10hipError_tPvRmT2_T3_mT4_T5_T6_T7_T8_P12ihipStream_tbENKUlT_T0_E_clISt17integral_constantIbLb0EES10_IbLb1EEEEDaSW_SX_EUlSW_E_NS1_11comp_targetILNS1_3genE0ELNS1_11target_archE4294967295ELNS1_3gpuE0ELNS1_3repE0EEENS1_30default_config_static_selectorELNS0_4arch9wavefront6targetE1EEEvT1_,"axG",@progbits,_ZN7rocprim17ROCPRIM_400000_NS6detail17trampoline_kernelINS0_14default_configENS1_29reduce_by_key_config_selectorIddN6thrust23THRUST_200600_302600_NS4plusIdEEEEZZNS1_33reduce_by_key_impl_wrapped_configILNS1_25lookback_scan_determinismE0ES3_S9_NS6_6detail15normal_iteratorINS6_10device_ptrIdEEEESG_SG_SG_PmS8_22is_equal_div_10_reduceIdEEE10hipError_tPvRmT2_T3_mT4_T5_T6_T7_T8_P12ihipStream_tbENKUlT_T0_E_clISt17integral_constantIbLb0EES10_IbLb1EEEEDaSW_SX_EUlSW_E_NS1_11comp_targetILNS1_3genE0ELNS1_11target_archE4294967295ELNS1_3gpuE0ELNS1_3repE0EEENS1_30default_config_static_selectorELNS0_4arch9wavefront6targetE1EEEvT1_,comdat
.Lfunc_end78:
	.size	_ZN7rocprim17ROCPRIM_400000_NS6detail17trampoline_kernelINS0_14default_configENS1_29reduce_by_key_config_selectorIddN6thrust23THRUST_200600_302600_NS4plusIdEEEEZZNS1_33reduce_by_key_impl_wrapped_configILNS1_25lookback_scan_determinismE0ES3_S9_NS6_6detail15normal_iteratorINS6_10device_ptrIdEEEESG_SG_SG_PmS8_22is_equal_div_10_reduceIdEEE10hipError_tPvRmT2_T3_mT4_T5_T6_T7_T8_P12ihipStream_tbENKUlT_T0_E_clISt17integral_constantIbLb0EES10_IbLb1EEEEDaSW_SX_EUlSW_E_NS1_11comp_targetILNS1_3genE0ELNS1_11target_archE4294967295ELNS1_3gpuE0ELNS1_3repE0EEENS1_30default_config_static_selectorELNS0_4arch9wavefront6targetE1EEEvT1_, .Lfunc_end78-_ZN7rocprim17ROCPRIM_400000_NS6detail17trampoline_kernelINS0_14default_configENS1_29reduce_by_key_config_selectorIddN6thrust23THRUST_200600_302600_NS4plusIdEEEEZZNS1_33reduce_by_key_impl_wrapped_configILNS1_25lookback_scan_determinismE0ES3_S9_NS6_6detail15normal_iteratorINS6_10device_ptrIdEEEESG_SG_SG_PmS8_22is_equal_div_10_reduceIdEEE10hipError_tPvRmT2_T3_mT4_T5_T6_T7_T8_P12ihipStream_tbENKUlT_T0_E_clISt17integral_constantIbLb0EES10_IbLb1EEEEDaSW_SX_EUlSW_E_NS1_11comp_targetILNS1_3genE0ELNS1_11target_archE4294967295ELNS1_3gpuE0ELNS1_3repE0EEENS1_30default_config_static_selectorELNS0_4arch9wavefront6targetE1EEEvT1_
                                        ; -- End function
	.section	.AMDGPU.csdata,"",@progbits
; Kernel info:
; codeLenInByte = 0
; NumSgprs: 4
; NumVgprs: 0
; NumAgprs: 0
; TotalNumVgprs: 0
; ScratchSize: 0
; MemoryBound: 0
; FloatMode: 240
; IeeeMode: 1
; LDSByteSize: 0 bytes/workgroup (compile time only)
; SGPRBlocks: 0
; VGPRBlocks: 0
; NumSGPRsForWavesPerEU: 4
; NumVGPRsForWavesPerEU: 1
; AccumOffset: 4
; Occupancy: 8
; WaveLimiterHint : 0
; COMPUTE_PGM_RSRC2:SCRATCH_EN: 0
; COMPUTE_PGM_RSRC2:USER_SGPR: 6
; COMPUTE_PGM_RSRC2:TRAP_HANDLER: 0
; COMPUTE_PGM_RSRC2:TGID_X_EN: 1
; COMPUTE_PGM_RSRC2:TGID_Y_EN: 0
; COMPUTE_PGM_RSRC2:TGID_Z_EN: 0
; COMPUTE_PGM_RSRC2:TIDIG_COMP_CNT: 0
; COMPUTE_PGM_RSRC3_GFX90A:ACCUM_OFFSET: 0
; COMPUTE_PGM_RSRC3_GFX90A:TG_SPLIT: 0
	.section	.text._ZN7rocprim17ROCPRIM_400000_NS6detail17trampoline_kernelINS0_14default_configENS1_29reduce_by_key_config_selectorIddN6thrust23THRUST_200600_302600_NS4plusIdEEEEZZNS1_33reduce_by_key_impl_wrapped_configILNS1_25lookback_scan_determinismE0ES3_S9_NS6_6detail15normal_iteratorINS6_10device_ptrIdEEEESG_SG_SG_PmS8_22is_equal_div_10_reduceIdEEE10hipError_tPvRmT2_T3_mT4_T5_T6_T7_T8_P12ihipStream_tbENKUlT_T0_E_clISt17integral_constantIbLb0EES10_IbLb1EEEEDaSW_SX_EUlSW_E_NS1_11comp_targetILNS1_3genE5ELNS1_11target_archE942ELNS1_3gpuE9ELNS1_3repE0EEENS1_30default_config_static_selectorELNS0_4arch9wavefront6targetE1EEEvT1_,"axG",@progbits,_ZN7rocprim17ROCPRIM_400000_NS6detail17trampoline_kernelINS0_14default_configENS1_29reduce_by_key_config_selectorIddN6thrust23THRUST_200600_302600_NS4plusIdEEEEZZNS1_33reduce_by_key_impl_wrapped_configILNS1_25lookback_scan_determinismE0ES3_S9_NS6_6detail15normal_iteratorINS6_10device_ptrIdEEEESG_SG_SG_PmS8_22is_equal_div_10_reduceIdEEE10hipError_tPvRmT2_T3_mT4_T5_T6_T7_T8_P12ihipStream_tbENKUlT_T0_E_clISt17integral_constantIbLb0EES10_IbLb1EEEEDaSW_SX_EUlSW_E_NS1_11comp_targetILNS1_3genE5ELNS1_11target_archE942ELNS1_3gpuE9ELNS1_3repE0EEENS1_30default_config_static_selectorELNS0_4arch9wavefront6targetE1EEEvT1_,comdat
	.protected	_ZN7rocprim17ROCPRIM_400000_NS6detail17trampoline_kernelINS0_14default_configENS1_29reduce_by_key_config_selectorIddN6thrust23THRUST_200600_302600_NS4plusIdEEEEZZNS1_33reduce_by_key_impl_wrapped_configILNS1_25lookback_scan_determinismE0ES3_S9_NS6_6detail15normal_iteratorINS6_10device_ptrIdEEEESG_SG_SG_PmS8_22is_equal_div_10_reduceIdEEE10hipError_tPvRmT2_T3_mT4_T5_T6_T7_T8_P12ihipStream_tbENKUlT_T0_E_clISt17integral_constantIbLb0EES10_IbLb1EEEEDaSW_SX_EUlSW_E_NS1_11comp_targetILNS1_3genE5ELNS1_11target_archE942ELNS1_3gpuE9ELNS1_3repE0EEENS1_30default_config_static_selectorELNS0_4arch9wavefront6targetE1EEEvT1_ ; -- Begin function _ZN7rocprim17ROCPRIM_400000_NS6detail17trampoline_kernelINS0_14default_configENS1_29reduce_by_key_config_selectorIddN6thrust23THRUST_200600_302600_NS4plusIdEEEEZZNS1_33reduce_by_key_impl_wrapped_configILNS1_25lookback_scan_determinismE0ES3_S9_NS6_6detail15normal_iteratorINS6_10device_ptrIdEEEESG_SG_SG_PmS8_22is_equal_div_10_reduceIdEEE10hipError_tPvRmT2_T3_mT4_T5_T6_T7_T8_P12ihipStream_tbENKUlT_T0_E_clISt17integral_constantIbLb0EES10_IbLb1EEEEDaSW_SX_EUlSW_E_NS1_11comp_targetILNS1_3genE5ELNS1_11target_archE942ELNS1_3gpuE9ELNS1_3repE0EEENS1_30default_config_static_selectorELNS0_4arch9wavefront6targetE1EEEvT1_
	.globl	_ZN7rocprim17ROCPRIM_400000_NS6detail17trampoline_kernelINS0_14default_configENS1_29reduce_by_key_config_selectorIddN6thrust23THRUST_200600_302600_NS4plusIdEEEEZZNS1_33reduce_by_key_impl_wrapped_configILNS1_25lookback_scan_determinismE0ES3_S9_NS6_6detail15normal_iteratorINS6_10device_ptrIdEEEESG_SG_SG_PmS8_22is_equal_div_10_reduceIdEEE10hipError_tPvRmT2_T3_mT4_T5_T6_T7_T8_P12ihipStream_tbENKUlT_T0_E_clISt17integral_constantIbLb0EES10_IbLb1EEEEDaSW_SX_EUlSW_E_NS1_11comp_targetILNS1_3genE5ELNS1_11target_archE942ELNS1_3gpuE9ELNS1_3repE0EEENS1_30default_config_static_selectorELNS0_4arch9wavefront6targetE1EEEvT1_
	.p2align	8
	.type	_ZN7rocprim17ROCPRIM_400000_NS6detail17trampoline_kernelINS0_14default_configENS1_29reduce_by_key_config_selectorIddN6thrust23THRUST_200600_302600_NS4plusIdEEEEZZNS1_33reduce_by_key_impl_wrapped_configILNS1_25lookback_scan_determinismE0ES3_S9_NS6_6detail15normal_iteratorINS6_10device_ptrIdEEEESG_SG_SG_PmS8_22is_equal_div_10_reduceIdEEE10hipError_tPvRmT2_T3_mT4_T5_T6_T7_T8_P12ihipStream_tbENKUlT_T0_E_clISt17integral_constantIbLb0EES10_IbLb1EEEEDaSW_SX_EUlSW_E_NS1_11comp_targetILNS1_3genE5ELNS1_11target_archE942ELNS1_3gpuE9ELNS1_3repE0EEENS1_30default_config_static_selectorELNS0_4arch9wavefront6targetE1EEEvT1_,@function
_ZN7rocprim17ROCPRIM_400000_NS6detail17trampoline_kernelINS0_14default_configENS1_29reduce_by_key_config_selectorIddN6thrust23THRUST_200600_302600_NS4plusIdEEEEZZNS1_33reduce_by_key_impl_wrapped_configILNS1_25lookback_scan_determinismE0ES3_S9_NS6_6detail15normal_iteratorINS6_10device_ptrIdEEEESG_SG_SG_PmS8_22is_equal_div_10_reduceIdEEE10hipError_tPvRmT2_T3_mT4_T5_T6_T7_T8_P12ihipStream_tbENKUlT_T0_E_clISt17integral_constantIbLb0EES10_IbLb1EEEEDaSW_SX_EUlSW_E_NS1_11comp_targetILNS1_3genE5ELNS1_11target_archE942ELNS1_3gpuE9ELNS1_3repE0EEENS1_30default_config_static_selectorELNS0_4arch9wavefront6targetE1EEEvT1_: ; @_ZN7rocprim17ROCPRIM_400000_NS6detail17trampoline_kernelINS0_14default_configENS1_29reduce_by_key_config_selectorIddN6thrust23THRUST_200600_302600_NS4plusIdEEEEZZNS1_33reduce_by_key_impl_wrapped_configILNS1_25lookback_scan_determinismE0ES3_S9_NS6_6detail15normal_iteratorINS6_10device_ptrIdEEEESG_SG_SG_PmS8_22is_equal_div_10_reduceIdEEE10hipError_tPvRmT2_T3_mT4_T5_T6_T7_T8_P12ihipStream_tbENKUlT_T0_E_clISt17integral_constantIbLb0EES10_IbLb1EEEEDaSW_SX_EUlSW_E_NS1_11comp_targetILNS1_3genE5ELNS1_11target_archE942ELNS1_3gpuE9ELNS1_3repE0EEENS1_30default_config_static_selectorELNS0_4arch9wavefront6targetE1EEEvT1_
; %bb.0:
	.section	.rodata,"a",@progbits
	.p2align	6, 0x0
	.amdhsa_kernel _ZN7rocprim17ROCPRIM_400000_NS6detail17trampoline_kernelINS0_14default_configENS1_29reduce_by_key_config_selectorIddN6thrust23THRUST_200600_302600_NS4plusIdEEEEZZNS1_33reduce_by_key_impl_wrapped_configILNS1_25lookback_scan_determinismE0ES3_S9_NS6_6detail15normal_iteratorINS6_10device_ptrIdEEEESG_SG_SG_PmS8_22is_equal_div_10_reduceIdEEE10hipError_tPvRmT2_T3_mT4_T5_T6_T7_T8_P12ihipStream_tbENKUlT_T0_E_clISt17integral_constantIbLb0EES10_IbLb1EEEEDaSW_SX_EUlSW_E_NS1_11comp_targetILNS1_3genE5ELNS1_11target_archE942ELNS1_3gpuE9ELNS1_3repE0EEENS1_30default_config_static_selectorELNS0_4arch9wavefront6targetE1EEEvT1_
		.amdhsa_group_segment_fixed_size 0
		.amdhsa_private_segment_fixed_size 0
		.amdhsa_kernarg_size 136
		.amdhsa_user_sgpr_count 6
		.amdhsa_user_sgpr_private_segment_buffer 1
		.amdhsa_user_sgpr_dispatch_ptr 0
		.amdhsa_user_sgpr_queue_ptr 0
		.amdhsa_user_sgpr_kernarg_segment_ptr 1
		.amdhsa_user_sgpr_dispatch_id 0
		.amdhsa_user_sgpr_flat_scratch_init 0
		.amdhsa_user_sgpr_kernarg_preload_length 0
		.amdhsa_user_sgpr_kernarg_preload_offset 0
		.amdhsa_user_sgpr_private_segment_size 0
		.amdhsa_uses_dynamic_stack 0
		.amdhsa_system_sgpr_private_segment_wavefront_offset 0
		.amdhsa_system_sgpr_workgroup_id_x 1
		.amdhsa_system_sgpr_workgroup_id_y 0
		.amdhsa_system_sgpr_workgroup_id_z 0
		.amdhsa_system_sgpr_workgroup_info 0
		.amdhsa_system_vgpr_workitem_id 0
		.amdhsa_next_free_vgpr 1
		.amdhsa_next_free_sgpr 0
		.amdhsa_accum_offset 4
		.amdhsa_reserve_vcc 0
		.amdhsa_reserve_flat_scratch 0
		.amdhsa_float_round_mode_32 0
		.amdhsa_float_round_mode_16_64 0
		.amdhsa_float_denorm_mode_32 3
		.amdhsa_float_denorm_mode_16_64 3
		.amdhsa_dx10_clamp 1
		.amdhsa_ieee_mode 1
		.amdhsa_fp16_overflow 0
		.amdhsa_tg_split 0
		.amdhsa_exception_fp_ieee_invalid_op 0
		.amdhsa_exception_fp_denorm_src 0
		.amdhsa_exception_fp_ieee_div_zero 0
		.amdhsa_exception_fp_ieee_overflow 0
		.amdhsa_exception_fp_ieee_underflow 0
		.amdhsa_exception_fp_ieee_inexact 0
		.amdhsa_exception_int_div_zero 0
	.end_amdhsa_kernel
	.section	.text._ZN7rocprim17ROCPRIM_400000_NS6detail17trampoline_kernelINS0_14default_configENS1_29reduce_by_key_config_selectorIddN6thrust23THRUST_200600_302600_NS4plusIdEEEEZZNS1_33reduce_by_key_impl_wrapped_configILNS1_25lookback_scan_determinismE0ES3_S9_NS6_6detail15normal_iteratorINS6_10device_ptrIdEEEESG_SG_SG_PmS8_22is_equal_div_10_reduceIdEEE10hipError_tPvRmT2_T3_mT4_T5_T6_T7_T8_P12ihipStream_tbENKUlT_T0_E_clISt17integral_constantIbLb0EES10_IbLb1EEEEDaSW_SX_EUlSW_E_NS1_11comp_targetILNS1_3genE5ELNS1_11target_archE942ELNS1_3gpuE9ELNS1_3repE0EEENS1_30default_config_static_selectorELNS0_4arch9wavefront6targetE1EEEvT1_,"axG",@progbits,_ZN7rocprim17ROCPRIM_400000_NS6detail17trampoline_kernelINS0_14default_configENS1_29reduce_by_key_config_selectorIddN6thrust23THRUST_200600_302600_NS4plusIdEEEEZZNS1_33reduce_by_key_impl_wrapped_configILNS1_25lookback_scan_determinismE0ES3_S9_NS6_6detail15normal_iteratorINS6_10device_ptrIdEEEESG_SG_SG_PmS8_22is_equal_div_10_reduceIdEEE10hipError_tPvRmT2_T3_mT4_T5_T6_T7_T8_P12ihipStream_tbENKUlT_T0_E_clISt17integral_constantIbLb0EES10_IbLb1EEEEDaSW_SX_EUlSW_E_NS1_11comp_targetILNS1_3genE5ELNS1_11target_archE942ELNS1_3gpuE9ELNS1_3repE0EEENS1_30default_config_static_selectorELNS0_4arch9wavefront6targetE1EEEvT1_,comdat
.Lfunc_end79:
	.size	_ZN7rocprim17ROCPRIM_400000_NS6detail17trampoline_kernelINS0_14default_configENS1_29reduce_by_key_config_selectorIddN6thrust23THRUST_200600_302600_NS4plusIdEEEEZZNS1_33reduce_by_key_impl_wrapped_configILNS1_25lookback_scan_determinismE0ES3_S9_NS6_6detail15normal_iteratorINS6_10device_ptrIdEEEESG_SG_SG_PmS8_22is_equal_div_10_reduceIdEEE10hipError_tPvRmT2_T3_mT4_T5_T6_T7_T8_P12ihipStream_tbENKUlT_T0_E_clISt17integral_constantIbLb0EES10_IbLb1EEEEDaSW_SX_EUlSW_E_NS1_11comp_targetILNS1_3genE5ELNS1_11target_archE942ELNS1_3gpuE9ELNS1_3repE0EEENS1_30default_config_static_selectorELNS0_4arch9wavefront6targetE1EEEvT1_, .Lfunc_end79-_ZN7rocprim17ROCPRIM_400000_NS6detail17trampoline_kernelINS0_14default_configENS1_29reduce_by_key_config_selectorIddN6thrust23THRUST_200600_302600_NS4plusIdEEEEZZNS1_33reduce_by_key_impl_wrapped_configILNS1_25lookback_scan_determinismE0ES3_S9_NS6_6detail15normal_iteratorINS6_10device_ptrIdEEEESG_SG_SG_PmS8_22is_equal_div_10_reduceIdEEE10hipError_tPvRmT2_T3_mT4_T5_T6_T7_T8_P12ihipStream_tbENKUlT_T0_E_clISt17integral_constantIbLb0EES10_IbLb1EEEEDaSW_SX_EUlSW_E_NS1_11comp_targetILNS1_3genE5ELNS1_11target_archE942ELNS1_3gpuE9ELNS1_3repE0EEENS1_30default_config_static_selectorELNS0_4arch9wavefront6targetE1EEEvT1_
                                        ; -- End function
	.section	.AMDGPU.csdata,"",@progbits
; Kernel info:
; codeLenInByte = 0
; NumSgprs: 4
; NumVgprs: 0
; NumAgprs: 0
; TotalNumVgprs: 0
; ScratchSize: 0
; MemoryBound: 0
; FloatMode: 240
; IeeeMode: 1
; LDSByteSize: 0 bytes/workgroup (compile time only)
; SGPRBlocks: 0
; VGPRBlocks: 0
; NumSGPRsForWavesPerEU: 4
; NumVGPRsForWavesPerEU: 1
; AccumOffset: 4
; Occupancy: 8
; WaveLimiterHint : 0
; COMPUTE_PGM_RSRC2:SCRATCH_EN: 0
; COMPUTE_PGM_RSRC2:USER_SGPR: 6
; COMPUTE_PGM_RSRC2:TRAP_HANDLER: 0
; COMPUTE_PGM_RSRC2:TGID_X_EN: 1
; COMPUTE_PGM_RSRC2:TGID_Y_EN: 0
; COMPUTE_PGM_RSRC2:TGID_Z_EN: 0
; COMPUTE_PGM_RSRC2:TIDIG_COMP_CNT: 0
; COMPUTE_PGM_RSRC3_GFX90A:ACCUM_OFFSET: 0
; COMPUTE_PGM_RSRC3_GFX90A:TG_SPLIT: 0
	.section	.text._ZN7rocprim17ROCPRIM_400000_NS6detail17trampoline_kernelINS0_14default_configENS1_29reduce_by_key_config_selectorIddN6thrust23THRUST_200600_302600_NS4plusIdEEEEZZNS1_33reduce_by_key_impl_wrapped_configILNS1_25lookback_scan_determinismE0ES3_S9_NS6_6detail15normal_iteratorINS6_10device_ptrIdEEEESG_SG_SG_PmS8_22is_equal_div_10_reduceIdEEE10hipError_tPvRmT2_T3_mT4_T5_T6_T7_T8_P12ihipStream_tbENKUlT_T0_E_clISt17integral_constantIbLb0EES10_IbLb1EEEEDaSW_SX_EUlSW_E_NS1_11comp_targetILNS1_3genE4ELNS1_11target_archE910ELNS1_3gpuE8ELNS1_3repE0EEENS1_30default_config_static_selectorELNS0_4arch9wavefront6targetE1EEEvT1_,"axG",@progbits,_ZN7rocprim17ROCPRIM_400000_NS6detail17trampoline_kernelINS0_14default_configENS1_29reduce_by_key_config_selectorIddN6thrust23THRUST_200600_302600_NS4plusIdEEEEZZNS1_33reduce_by_key_impl_wrapped_configILNS1_25lookback_scan_determinismE0ES3_S9_NS6_6detail15normal_iteratorINS6_10device_ptrIdEEEESG_SG_SG_PmS8_22is_equal_div_10_reduceIdEEE10hipError_tPvRmT2_T3_mT4_T5_T6_T7_T8_P12ihipStream_tbENKUlT_T0_E_clISt17integral_constantIbLb0EES10_IbLb1EEEEDaSW_SX_EUlSW_E_NS1_11comp_targetILNS1_3genE4ELNS1_11target_archE910ELNS1_3gpuE8ELNS1_3repE0EEENS1_30default_config_static_selectorELNS0_4arch9wavefront6targetE1EEEvT1_,comdat
	.protected	_ZN7rocprim17ROCPRIM_400000_NS6detail17trampoline_kernelINS0_14default_configENS1_29reduce_by_key_config_selectorIddN6thrust23THRUST_200600_302600_NS4plusIdEEEEZZNS1_33reduce_by_key_impl_wrapped_configILNS1_25lookback_scan_determinismE0ES3_S9_NS6_6detail15normal_iteratorINS6_10device_ptrIdEEEESG_SG_SG_PmS8_22is_equal_div_10_reduceIdEEE10hipError_tPvRmT2_T3_mT4_T5_T6_T7_T8_P12ihipStream_tbENKUlT_T0_E_clISt17integral_constantIbLb0EES10_IbLb1EEEEDaSW_SX_EUlSW_E_NS1_11comp_targetILNS1_3genE4ELNS1_11target_archE910ELNS1_3gpuE8ELNS1_3repE0EEENS1_30default_config_static_selectorELNS0_4arch9wavefront6targetE1EEEvT1_ ; -- Begin function _ZN7rocprim17ROCPRIM_400000_NS6detail17trampoline_kernelINS0_14default_configENS1_29reduce_by_key_config_selectorIddN6thrust23THRUST_200600_302600_NS4plusIdEEEEZZNS1_33reduce_by_key_impl_wrapped_configILNS1_25lookback_scan_determinismE0ES3_S9_NS6_6detail15normal_iteratorINS6_10device_ptrIdEEEESG_SG_SG_PmS8_22is_equal_div_10_reduceIdEEE10hipError_tPvRmT2_T3_mT4_T5_T6_T7_T8_P12ihipStream_tbENKUlT_T0_E_clISt17integral_constantIbLb0EES10_IbLb1EEEEDaSW_SX_EUlSW_E_NS1_11comp_targetILNS1_3genE4ELNS1_11target_archE910ELNS1_3gpuE8ELNS1_3repE0EEENS1_30default_config_static_selectorELNS0_4arch9wavefront6targetE1EEEvT1_
	.globl	_ZN7rocprim17ROCPRIM_400000_NS6detail17trampoline_kernelINS0_14default_configENS1_29reduce_by_key_config_selectorIddN6thrust23THRUST_200600_302600_NS4plusIdEEEEZZNS1_33reduce_by_key_impl_wrapped_configILNS1_25lookback_scan_determinismE0ES3_S9_NS6_6detail15normal_iteratorINS6_10device_ptrIdEEEESG_SG_SG_PmS8_22is_equal_div_10_reduceIdEEE10hipError_tPvRmT2_T3_mT4_T5_T6_T7_T8_P12ihipStream_tbENKUlT_T0_E_clISt17integral_constantIbLb0EES10_IbLb1EEEEDaSW_SX_EUlSW_E_NS1_11comp_targetILNS1_3genE4ELNS1_11target_archE910ELNS1_3gpuE8ELNS1_3repE0EEENS1_30default_config_static_selectorELNS0_4arch9wavefront6targetE1EEEvT1_
	.p2align	8
	.type	_ZN7rocprim17ROCPRIM_400000_NS6detail17trampoline_kernelINS0_14default_configENS1_29reduce_by_key_config_selectorIddN6thrust23THRUST_200600_302600_NS4plusIdEEEEZZNS1_33reduce_by_key_impl_wrapped_configILNS1_25lookback_scan_determinismE0ES3_S9_NS6_6detail15normal_iteratorINS6_10device_ptrIdEEEESG_SG_SG_PmS8_22is_equal_div_10_reduceIdEEE10hipError_tPvRmT2_T3_mT4_T5_T6_T7_T8_P12ihipStream_tbENKUlT_T0_E_clISt17integral_constantIbLb0EES10_IbLb1EEEEDaSW_SX_EUlSW_E_NS1_11comp_targetILNS1_3genE4ELNS1_11target_archE910ELNS1_3gpuE8ELNS1_3repE0EEENS1_30default_config_static_selectorELNS0_4arch9wavefront6targetE1EEEvT1_,@function
_ZN7rocprim17ROCPRIM_400000_NS6detail17trampoline_kernelINS0_14default_configENS1_29reduce_by_key_config_selectorIddN6thrust23THRUST_200600_302600_NS4plusIdEEEEZZNS1_33reduce_by_key_impl_wrapped_configILNS1_25lookback_scan_determinismE0ES3_S9_NS6_6detail15normal_iteratorINS6_10device_ptrIdEEEESG_SG_SG_PmS8_22is_equal_div_10_reduceIdEEE10hipError_tPvRmT2_T3_mT4_T5_T6_T7_T8_P12ihipStream_tbENKUlT_T0_E_clISt17integral_constantIbLb0EES10_IbLb1EEEEDaSW_SX_EUlSW_E_NS1_11comp_targetILNS1_3genE4ELNS1_11target_archE910ELNS1_3gpuE8ELNS1_3repE0EEENS1_30default_config_static_selectorELNS0_4arch9wavefront6targetE1EEEvT1_: ; @_ZN7rocprim17ROCPRIM_400000_NS6detail17trampoline_kernelINS0_14default_configENS1_29reduce_by_key_config_selectorIddN6thrust23THRUST_200600_302600_NS4plusIdEEEEZZNS1_33reduce_by_key_impl_wrapped_configILNS1_25lookback_scan_determinismE0ES3_S9_NS6_6detail15normal_iteratorINS6_10device_ptrIdEEEESG_SG_SG_PmS8_22is_equal_div_10_reduceIdEEE10hipError_tPvRmT2_T3_mT4_T5_T6_T7_T8_P12ihipStream_tbENKUlT_T0_E_clISt17integral_constantIbLb0EES10_IbLb1EEEEDaSW_SX_EUlSW_E_NS1_11comp_targetILNS1_3genE4ELNS1_11target_archE910ELNS1_3gpuE8ELNS1_3repE0EEENS1_30default_config_static_selectorELNS0_4arch9wavefront6targetE1EEEvT1_
; %bb.0:
	s_load_dwordx8 s[52:59], s[4:5], 0x0
	s_load_dwordx4 s[60:63], s[4:5], 0x20
	s_load_dwordx2 s[64:65], s[4:5], 0x78
	v_cmp_ne_u32_e64 s[2:3], 0, v0
	v_cmp_eq_u32_e64 s[0:1], 0, v0
	s_and_saveexec_b64 s[6:7], s[0:1]
	s_cbranch_execz .LBB80_4
; %bb.1:
	s_mov_b64 s[10:11], exec
	v_mbcnt_lo_u32_b32 v1, s10, 0
	v_mbcnt_hi_u32_b32 v1, s11, v1
	v_cmp_eq_u32_e32 vcc, 0, v1
                                        ; implicit-def: $vgpr2
	s_and_saveexec_b64 s[8:9], vcc
	s_cbranch_execz .LBB80_3
; %bb.2:
	s_load_dwordx2 s[12:13], s[4:5], 0x80
	s_bcnt1_i32_b64 s10, s[10:11]
	v_mov_b32_e32 v2, 0
	v_mov_b32_e32 v3, s10
	s_waitcnt lgkmcnt(0)
	global_atomic_add v2, v2, v3, s[12:13] glc
.LBB80_3:
	s_or_b64 exec, exec, s[8:9]
	s_waitcnt vmcnt(0)
	v_readfirstlane_b32 s8, v2
	v_add_u32_e32 v1, s8, v1
	v_mov_b32_e32 v2, 0
	ds_write_b32 v2, v1
.LBB80_4:
	s_or_b64 exec, exec, s[6:7]
	s_load_dwordx16 s[36:51], s[4:5], 0x38
	v_mov_b32_e32 v3, 0
	s_waitcnt lgkmcnt(0)
	s_lshl_b64 s[4:5], s[54:55], 3
	s_barrier
	ds_read_b32 v1, v3
	s_add_u32 s6, s52, s4
	s_addc_u32 s7, s53, s5
	s_add_u32 s4, s56, s4
	s_mul_i32 s8, s44, s43
	s_mul_hi_u32 s9, s44, s42
	s_addc_u32 s5, s57, s5
	s_add_i32 s8, s9, s8
	s_mul_i32 s9, s45, s42
	s_add_i32 s8, s8, s9
	s_mul_i32 s9, s44, s42
	s_waitcnt lgkmcnt(0)
	v_readfirstlane_b32 s56, v1
	s_movk_i32 s10, 0xf00
	v_mul_lo_u32 v2, v1, s10
	s_add_u32 s52, s9, s56
	v_lshlrev_b64 v[2:3], 3, v[2:3]
	s_addc_u32 s53, s8, 0
	v_mov_b32_e32 v1, s7
	v_add_co_u32_e32 v74, vcc, s6, v2
	s_add_u32 s6, s46, -1
	v_addc_co_u32_e32 v77, vcc, v1, v3, vcc
	s_addc_u32 s7, s47, -1
	v_mov_b32_e32 v4, s5
	v_add_co_u32_e32 v1, vcc, s4, v2
	s_cmp_eq_u64 s[52:53], s[6:7]
	v_addc_co_u32_e32 v62, vcc, v4, v3, vcc
	s_cselect_b64 s[44:45], -1, 0
	s_cmp_lg_u64 s[52:53], s[6:7]
	s_mov_b64 s[4:5], -1
	s_cselect_b64 s[54:55], -1, 0
	s_mul_i32 s33, s6, 0xfffff100
	s_and_b64 vcc, exec, s[44:45]
	v_mul_u32_u24_e32 v76, 15, v0
	s_barrier
	s_cbranch_vccnz .LBB80_6
; %bb.5:
	v_lshlrev_b32_e32 v68, 3, v0
	v_add_co_u32_e32 v2, vcc, v74, v68
	v_addc_co_u32_e32 v3, vcc, 0, v77, vcc
	v_add_co_u32_e32 v4, vcc, 0x1000, v2
	v_addc_co_u32_e32 v5, vcc, 0, v3, vcc
	flat_load_dwordx2 v[6:7], v[2:3]
	flat_load_dwordx2 v[8:9], v[2:3] offset:2048
	flat_load_dwordx2 v[10:11], v[4:5]
	flat_load_dwordx2 v[12:13], v[4:5] offset:2048
	v_add_co_u32_e32 v4, vcc, 0x2000, v2
	v_addc_co_u32_e32 v5, vcc, 0, v3, vcc
	v_add_co_u32_e32 v14, vcc, 0x3000, v2
	v_addc_co_u32_e32 v15, vcc, 0, v3, vcc
	flat_load_dwordx2 v[16:17], v[4:5]
	flat_load_dwordx2 v[18:19], v[4:5] offset:2048
	flat_load_dwordx2 v[20:21], v[14:15]
	flat_load_dwordx2 v[22:23], v[14:15] offset:2048
	;; [unrolled: 8-line block ×3, first 2 shown]
	v_add_co_u32_e32 v4, vcc, 0x6000, v2
	v_addc_co_u32_e32 v5, vcc, 0, v3, vcc
	v_add_co_u32_e32 v2, vcc, 0x7000, v2
	v_addc_co_u32_e32 v3, vcc, 0, v3, vcc
	flat_load_dwordx2 v[14:15], v[4:5]
	flat_load_dwordx2 v[32:33], v[4:5] offset:2048
	flat_load_dwordx2 v[34:35], v[2:3]
	v_add_co_u32_e32 v36, vcc, v1, v68
	s_movk_i32 s4, 0x1000
	v_addc_co_u32_e32 v37, vcc, 0, v62, vcc
	s_movk_i32 s11, 0x70
	s_movk_i32 s5, 0x2000
	v_mad_u32_u24 v63, v0, s11, v68
	s_movk_i32 s6, 0x3000
	s_movk_i32 s7, 0x4000
	;; [unrolled: 1-line block ×5, first 2 shown]
	s_waitcnt vmcnt(0) lgkmcnt(0)
	ds_write2st64_b64 v68, v[6:7], v[8:9] offset1:4
	ds_write2st64_b64 v68, v[10:11], v[12:13] offset0:8 offset1:12
	ds_write2st64_b64 v68, v[16:17], v[18:19] offset0:16 offset1:20
	;; [unrolled: 1-line block ×6, first 2 shown]
	ds_write_b64 v68, v[34:35] offset:28672
	v_add_co_u32_e32 v30, vcc, s4, v36
	v_addc_co_u32_e32 v31, vcc, 0, v37, vcc
	s_waitcnt lgkmcnt(0)
	s_barrier
	ds_read2_b64 v[26:29], v63 offset1:1
	ds_read2_b64 v[22:25], v63 offset0:2 offset1:3
	ds_read2_b64 v[18:21], v63 offset0:4 offset1:5
	ds_read2_b64 v[14:17], v63 offset0:6 offset1:7
	ds_read2_b64 v[10:13], v63 offset0:8 offset1:9
	ds_read2_b64 v[6:9], v63 offset0:10 offset1:11
	ds_read2_b64 v[2:5], v63 offset0:12 offset1:13
	ds_read_b64 v[58:59], v63 offset:112
	s_waitcnt lgkmcnt(0)
	s_barrier
	flat_load_dwordx2 v[32:33], v[36:37]
	flat_load_dwordx2 v[34:35], v[36:37] offset:2048
	flat_load_dwordx2 v[38:39], v[30:31]
	flat_load_dwordx2 v[40:41], v[30:31] offset:2048
	v_add_co_u32_e32 v30, vcc, s5, v36
	v_addc_co_u32_e32 v31, vcc, 0, v37, vcc
	v_add_co_u32_e32 v42, vcc, s6, v36
	v_addc_co_u32_e32 v43, vcc, 0, v37, vcc
	flat_load_dwordx2 v[44:45], v[30:31]
	flat_load_dwordx2 v[46:47], v[30:31] offset:2048
	flat_load_dwordx2 v[48:49], v[42:43]
	flat_load_dwordx2 v[50:51], v[42:43] offset:2048
	v_add_co_u32_e32 v30, vcc, s7, v36
	v_addc_co_u32_e32 v31, vcc, 0, v37, vcc
	v_add_co_u32_e32 v42, vcc, s8, v36
	v_addc_co_u32_e32 v43, vcc, 0, v37, vcc
	;; [unrolled: 8-line block ×3, first 2 shown]
	flat_load_dwordx2 v[42:43], v[30:31]
	flat_load_dwordx2 v[64:65], v[30:31] offset:2048
	flat_load_dwordx2 v[66:67], v[36:37]
	v_mul_u32_u24_e32 v30, 15, v0
	s_waitcnt vmcnt(0) lgkmcnt(0)
	ds_write2st64_b64 v68, v[32:33], v[34:35] offset1:4
	ds_write2st64_b64 v68, v[38:39], v[40:41] offset0:8 offset1:12
	ds_write2st64_b64 v68, v[44:45], v[46:47] offset0:16 offset1:20
	;; [unrolled: 1-line block ×6, first 2 shown]
	ds_write_b64 v68, v[66:67] offset:28672
	s_waitcnt lgkmcnt(0)
	s_barrier
	s_add_i32 s33, s33, s48
	s_cbranch_execz .LBB80_7
	s_branch .LBB80_54
.LBB80_6:
                                        ; implicit-def: $vgpr2_vgpr3_vgpr4_vgpr5
                                        ; implicit-def: $vgpr6_vgpr7_vgpr8_vgpr9
                                        ; implicit-def: $vgpr10_vgpr11_vgpr12_vgpr13
                                        ; implicit-def: $vgpr14_vgpr15_vgpr16_vgpr17
                                        ; implicit-def: $vgpr18_vgpr19_vgpr20_vgpr21
                                        ; implicit-def: $vgpr22_vgpr23_vgpr24_vgpr25
                                        ; implicit-def: $vgpr26_vgpr27_vgpr28_vgpr29
                                        ; implicit-def: $vgpr30
                                        ; implicit-def: $vgpr63
                                        ; implicit-def: $vgpr58_vgpr59
	s_andn2_b64 vcc, exec, s[4:5]
	s_add_i32 s33, s33, s48
	s_cbranch_vccnz .LBB80_54
.LBB80_7:
	v_cmp_gt_u32_e32 vcc, s33, v0
                                        ; implicit-def: $vgpr2_vgpr3
	s_and_saveexec_b64 s[6:7], vcc
	s_cbranch_execz .LBB80_9
; %bb.8:
	v_lshlrev_b32_e32 v2, 3, v0
	v_add_co_u32_e64 v2, s[4:5], v74, v2
	v_addc_co_u32_e64 v3, s[4:5], 0, v77, s[4:5]
	flat_load_dwordx2 v[2:3], v[2:3]
.LBB80_9:
	s_or_b64 exec, exec, s[6:7]
	v_or_b32_e32 v4, 0x100, v0
	v_cmp_gt_u32_e64 s[4:5], s33, v4
                                        ; implicit-def: $vgpr4_vgpr5
	s_and_saveexec_b64 s[8:9], s[4:5]
	s_cbranch_execz .LBB80_11
; %bb.10:
	v_lshlrev_b32_e32 v4, 3, v0
	v_add_co_u32_e64 v4, s[6:7], v74, v4
	v_addc_co_u32_e64 v5, s[6:7], 0, v77, s[6:7]
	flat_load_dwordx2 v[4:5], v[4:5] offset:2048
.LBB80_11:
	s_or_b64 exec, exec, s[8:9]
	v_or_b32_e32 v6, 0x200, v0
	v_cmp_gt_u32_e64 s[6:7], s33, v6
	v_lshlrev_b32_e32 v36, 3, v6
                                        ; implicit-def: $vgpr6_vgpr7
	s_and_saveexec_b64 s[10:11], s[6:7]
	s_cbranch_execz .LBB80_13
; %bb.12:
	v_add_co_u32_e64 v6, s[8:9], v74, v36
	v_addc_co_u32_e64 v7, s[8:9], 0, v77, s[8:9]
	flat_load_dwordx2 v[6:7], v[6:7]
.LBB80_13:
	s_or_b64 exec, exec, s[10:11]
	v_or_b32_e32 v8, 0x300, v0
	v_cmp_gt_u32_e64 s[8:9], s33, v8
	v_lshlrev_b32_e32 v38, 3, v8
                                        ; implicit-def: $vgpr8_vgpr9
	s_and_saveexec_b64 s[12:13], s[8:9]
	s_cbranch_execz .LBB80_15
; %bb.14:
	v_add_co_u32_e64 v8, s[10:11], v74, v38
	v_addc_co_u32_e64 v9, s[10:11], 0, v77, s[10:11]
	flat_load_dwordx2 v[8:9], v[8:9]
.LBB80_15:
	s_or_b64 exec, exec, s[12:13]
	v_or_b32_e32 v10, 0x400, v0
	v_cmp_gt_u32_e64 s[10:11], s33, v10
	v_lshlrev_b32_e32 v40, 3, v10
                                        ; implicit-def: $vgpr10_vgpr11
	s_and_saveexec_b64 s[14:15], s[10:11]
	s_cbranch_execz .LBB80_17
; %bb.16:
	v_add_co_u32_e64 v10, s[12:13], v74, v40
	v_addc_co_u32_e64 v11, s[12:13], 0, v77, s[12:13]
	flat_load_dwordx2 v[10:11], v[10:11]
.LBB80_17:
	s_or_b64 exec, exec, s[14:15]
	v_or_b32_e32 v12, 0x500, v0
	v_cmp_gt_u32_e64 s[12:13], s33, v12
	v_lshlrev_b32_e32 v42, 3, v12
                                        ; implicit-def: $vgpr12_vgpr13
	s_and_saveexec_b64 s[16:17], s[12:13]
	s_cbranch_execz .LBB80_19
; %bb.18:
	v_add_co_u32_e64 v12, s[14:15], v74, v42
	v_addc_co_u32_e64 v13, s[14:15], 0, v77, s[14:15]
	flat_load_dwordx2 v[12:13], v[12:13]
.LBB80_19:
	s_or_b64 exec, exec, s[16:17]
	v_or_b32_e32 v14, 0x600, v0
	v_cmp_gt_u32_e64 s[14:15], s33, v14
	v_lshlrev_b32_e32 v44, 3, v14
                                        ; implicit-def: $vgpr14_vgpr15
	s_and_saveexec_b64 s[18:19], s[14:15]
	s_cbranch_execz .LBB80_21
; %bb.20:
	v_add_co_u32_e64 v14, s[16:17], v74, v44
	v_addc_co_u32_e64 v15, s[16:17], 0, v77, s[16:17]
	flat_load_dwordx2 v[14:15], v[14:15]
.LBB80_21:
	s_or_b64 exec, exec, s[18:19]
	v_or_b32_e32 v16, 0x700, v0
	v_cmp_gt_u32_e64 s[16:17], s33, v16
	v_lshlrev_b32_e32 v46, 3, v16
                                        ; implicit-def: $vgpr16_vgpr17
	s_and_saveexec_b64 s[20:21], s[16:17]
	s_cbranch_execz .LBB80_23
; %bb.22:
	v_add_co_u32_e64 v16, s[18:19], v74, v46
	v_addc_co_u32_e64 v17, s[18:19], 0, v77, s[18:19]
	flat_load_dwordx2 v[16:17], v[16:17]
.LBB80_23:
	s_or_b64 exec, exec, s[20:21]
	v_or_b32_e32 v18, 0x800, v0
	v_cmp_gt_u32_e64 s[18:19], s33, v18
	v_lshlrev_b32_e32 v48, 3, v18
                                        ; implicit-def: $vgpr18_vgpr19
	s_and_saveexec_b64 s[22:23], s[18:19]
	s_cbranch_execz .LBB80_25
; %bb.24:
	v_add_co_u32_e64 v18, s[20:21], v74, v48
	v_addc_co_u32_e64 v19, s[20:21], 0, v77, s[20:21]
	flat_load_dwordx2 v[18:19], v[18:19]
.LBB80_25:
	s_or_b64 exec, exec, s[22:23]
	v_or_b32_e32 v20, 0x900, v0
	v_cmp_gt_u32_e64 s[20:21], s33, v20
	v_lshlrev_b32_e32 v50, 3, v20
                                        ; implicit-def: $vgpr20_vgpr21
	s_and_saveexec_b64 s[24:25], s[20:21]
	s_cbranch_execz .LBB80_27
; %bb.26:
	v_add_co_u32_e64 v20, s[22:23], v74, v50
	v_addc_co_u32_e64 v21, s[22:23], 0, v77, s[22:23]
	flat_load_dwordx2 v[20:21], v[20:21]
.LBB80_27:
	s_or_b64 exec, exec, s[24:25]
	v_or_b32_e32 v22, 0xa00, v0
	v_cmp_gt_u32_e64 s[22:23], s33, v22
	v_lshlrev_b32_e32 v52, 3, v22
                                        ; implicit-def: $vgpr22_vgpr23
	s_and_saveexec_b64 s[26:27], s[22:23]
	s_cbranch_execz .LBB80_29
; %bb.28:
	v_add_co_u32_e64 v22, s[24:25], v74, v52
	v_addc_co_u32_e64 v23, s[24:25], 0, v77, s[24:25]
	flat_load_dwordx2 v[22:23], v[22:23]
.LBB80_29:
	s_or_b64 exec, exec, s[26:27]
	v_or_b32_e32 v24, 0xb00, v0
	v_cmp_gt_u32_e64 s[24:25], s33, v24
	v_lshlrev_b32_e32 v54, 3, v24
                                        ; implicit-def: $vgpr24_vgpr25
	s_and_saveexec_b64 s[28:29], s[24:25]
	s_cbranch_execz .LBB80_31
; %bb.30:
	v_add_co_u32_e64 v24, s[26:27], v74, v54
	v_addc_co_u32_e64 v25, s[26:27], 0, v77, s[26:27]
	flat_load_dwordx2 v[24:25], v[24:25]
.LBB80_31:
	s_or_b64 exec, exec, s[28:29]
	v_or_b32_e32 v26, 0xc00, v0
	v_cmp_gt_u32_e64 s[26:27], s33, v26
	v_lshlrev_b32_e32 v56, 3, v26
                                        ; implicit-def: $vgpr26_vgpr27
	s_and_saveexec_b64 s[30:31], s[26:27]
	s_cbranch_execz .LBB80_33
; %bb.32:
	v_add_co_u32_e64 v26, s[28:29], v74, v56
	v_addc_co_u32_e64 v27, s[28:29], 0, v77, s[28:29]
	flat_load_dwordx2 v[26:27], v[26:27]
.LBB80_33:
	s_or_b64 exec, exec, s[30:31]
	v_or_b32_e32 v28, 0xd00, v0
	v_cmp_gt_u32_e64 s[28:29], s33, v28
	v_lshlrev_b32_e32 v60, 3, v28
                                        ; implicit-def: $vgpr28_vgpr29
	s_and_saveexec_b64 s[34:35], s[28:29]
	s_cbranch_execz .LBB80_35
; %bb.34:
	v_add_co_u32_e64 v28, s[30:31], v74, v60
	v_addc_co_u32_e64 v29, s[30:31], 0, v77, s[30:31]
	flat_load_dwordx2 v[28:29], v[28:29]
.LBB80_35:
	s_or_b64 exec, exec, s[34:35]
	v_or_b32_e32 v30, 0xe00, v0
	v_cmp_gt_u32_e64 s[30:31], s33, v30
	v_lshlrev_b32_e32 v64, 3, v30
                                        ; implicit-def: $vgpr30_vgpr31
	s_and_saveexec_b64 s[46:47], s[30:31]
	s_cbranch_execz .LBB80_37
; %bb.36:
	v_add_co_u32_e64 v30, s[34:35], v74, v64
	v_addc_co_u32_e64 v31, s[34:35], 0, v77, s[34:35]
	flat_load_dwordx2 v[30:31], v[30:31]
.LBB80_37:
	s_or_b64 exec, exec, s[46:47]
	v_lshlrev_b32_e32 v65, 3, v0
	s_movk_i32 s34, 0x70
	v_mad_u32_u24 v63, v0, s34, v65
	s_waitcnt vmcnt(0) lgkmcnt(0)
	ds_write2st64_b64 v65, v[2:3], v[4:5] offset1:4
	ds_write2st64_b64 v65, v[6:7], v[8:9] offset0:8 offset1:12
	ds_write2st64_b64 v65, v[10:11], v[12:13] offset0:16 offset1:20
	;; [unrolled: 1-line block ×6, first 2 shown]
	ds_write_b64 v65, v[30:31] offset:28672
	s_waitcnt lgkmcnt(0)
	s_barrier
	ds_read2_b64 v[26:29], v63 offset1:1
	ds_read2_b64 v[22:25], v63 offset0:2 offset1:3
	ds_read2_b64 v[18:21], v63 offset0:4 offset1:5
	;; [unrolled: 1-line block ×6, first 2 shown]
	ds_read_b64 v[58:59], v63 offset:112
	s_waitcnt lgkmcnt(0)
	s_barrier
	s_waitcnt lgkmcnt(0)
                                        ; implicit-def: $vgpr30_vgpr31
	s_and_saveexec_b64 s[34:35], vcc
	s_cbranch_execnz .LBB80_61
; %bb.38:
	s_or_b64 exec, exec, s[34:35]
                                        ; implicit-def: $vgpr32_vgpr33
	s_and_saveexec_b64 s[34:35], s[4:5]
	s_cbranch_execnz .LBB80_62
.LBB80_39:
	s_or_b64 exec, exec, s[34:35]
                                        ; implicit-def: $vgpr34_vgpr35
	s_and_saveexec_b64 s[4:5], s[6:7]
	s_cbranch_execnz .LBB80_63
.LBB80_40:
	s_or_b64 exec, exec, s[4:5]
                                        ; implicit-def: $vgpr36_vgpr37
	s_and_saveexec_b64 s[4:5], s[8:9]
	s_cbranch_execnz .LBB80_64
.LBB80_41:
	s_or_b64 exec, exec, s[4:5]
                                        ; implicit-def: $vgpr38_vgpr39
	s_and_saveexec_b64 s[4:5], s[10:11]
	s_cbranch_execnz .LBB80_65
.LBB80_42:
	s_or_b64 exec, exec, s[4:5]
                                        ; implicit-def: $vgpr40_vgpr41
	s_and_saveexec_b64 s[4:5], s[12:13]
	s_cbranch_execnz .LBB80_66
.LBB80_43:
	s_or_b64 exec, exec, s[4:5]
                                        ; implicit-def: $vgpr42_vgpr43
	s_and_saveexec_b64 s[4:5], s[14:15]
	s_cbranch_execnz .LBB80_67
.LBB80_44:
	s_or_b64 exec, exec, s[4:5]
                                        ; implicit-def: $vgpr44_vgpr45
	s_and_saveexec_b64 s[4:5], s[16:17]
	s_cbranch_execnz .LBB80_68
.LBB80_45:
	s_or_b64 exec, exec, s[4:5]
                                        ; implicit-def: $vgpr46_vgpr47
	s_and_saveexec_b64 s[4:5], s[18:19]
	s_cbranch_execnz .LBB80_69
.LBB80_46:
	s_or_b64 exec, exec, s[4:5]
                                        ; implicit-def: $vgpr48_vgpr49
	s_and_saveexec_b64 s[4:5], s[20:21]
	s_cbranch_execnz .LBB80_70
.LBB80_47:
	s_or_b64 exec, exec, s[4:5]
                                        ; implicit-def: $vgpr50_vgpr51
	s_and_saveexec_b64 s[4:5], s[22:23]
	s_cbranch_execnz .LBB80_71
.LBB80_48:
	s_or_b64 exec, exec, s[4:5]
                                        ; implicit-def: $vgpr52_vgpr53
	s_and_saveexec_b64 s[4:5], s[24:25]
	s_cbranch_execnz .LBB80_72
.LBB80_49:
	s_or_b64 exec, exec, s[4:5]
                                        ; implicit-def: $vgpr54_vgpr55
	s_and_saveexec_b64 s[4:5], s[26:27]
	s_cbranch_execnz .LBB80_73
.LBB80_50:
	s_or_b64 exec, exec, s[4:5]
                                        ; implicit-def: $vgpr56_vgpr57
	s_and_saveexec_b64 s[4:5], s[28:29]
	s_cbranch_execnz .LBB80_74
.LBB80_51:
	s_or_b64 exec, exec, s[4:5]
                                        ; implicit-def: $vgpr60_vgpr61
	s_and_saveexec_b64 s[4:5], s[30:31]
	s_cbranch_execz .LBB80_53
.LBB80_52:
	v_add_co_u32_e32 v60, vcc, v1, v64
	v_addc_co_u32_e32 v61, vcc, 0, v62, vcc
	flat_load_dwordx2 v[60:61], v[60:61]
.LBB80_53:
	s_or_b64 exec, exec, s[4:5]
	s_waitcnt vmcnt(0) lgkmcnt(0)
	ds_write2st64_b64 v65, v[30:31], v[32:33] offset1:4
	ds_write2st64_b64 v65, v[34:35], v[36:37] offset0:8 offset1:12
	ds_write2st64_b64 v65, v[38:39], v[40:41] offset0:16 offset1:20
	;; [unrolled: 1-line block ×6, first 2 shown]
	ds_write_b64 v65, v[60:61] offset:28672
	v_mov_b32_e32 v30, v76
	s_waitcnt lgkmcnt(0)
	s_barrier
.LBB80_54:
	v_lshlrev_b32_e32 v1, 3, v30
	ds_read2_b64 v[50:53], v63 offset1:2
	ds_read2_b64 v[42:45], v63 offset0:4 offset1:6
	ds_read2_b64 v[54:57], v1 offset0:1 offset1:3
	;; [unrolled: 1-line block ×6, first 2 shown]
	ds_read_b64 v[72:73], v1 offset:104
	s_cmp_eq_u64 s[52:53], 0
	s_cselect_b64 s[46:47], -1, 0
	s_cmp_lg_u64 s[52:53], 0
	s_mov_b64 s[4:5], 0
	s_cselect_b64 s[30:31], -1, 0
	s_and_b64 vcc, exec, s[54:55]
	s_waitcnt lgkmcnt(0)
	s_barrier
	s_cbranch_vccz .LBB80_60
; %bb.55:
	s_and_b64 vcc, exec, s[30:31]
	s_cbranch_vccz .LBB80_75
; %bb.56:
	v_add_co_u32_e32 v60, vcc, -8, v74
	v_addc_co_u32_e32 v61, vcc, -1, v77, vcc
	flat_load_dwordx2 v[64:65], v[60:61]
	v_cvt_i32_f64_e32 v60, v[4:5]
	s_mov_b32 s54, 0x66666667
	v_mul_hi_i32 v60, v60, s54
	v_lshrrev_b32_e32 v61, 31, v60
	v_ashrrev_i32_e32 v60, 2, v60
	v_add_u32_e32 v60, v60, v61
	v_cvt_i32_f64_e32 v61, v[58:59]
	v_mul_hi_i32 v61, v61, s54
	v_lshrrev_b32_e32 v62, 31, v61
	v_ashrrev_i32_e32 v61, 2, v61
	v_add_u32_e32 v61, v61, v62
	v_cmp_ne_u32_e32 vcc, v60, v61
	v_cvt_i32_f64_e32 v61, v[2:3]
	v_mul_hi_i32 v61, v61, s54
	v_lshrrev_b32_e32 v62, 31, v61
	v_ashrrev_i32_e32 v61, 2, v61
	v_add_u32_e32 v61, v61, v62
	v_cmp_ne_u32_e64 s[4:5], v61, v60
	v_cvt_i32_f64_e32 v60, v[8:9]
	v_mul_hi_i32 v60, v60, s54
	v_lshrrev_b32_e32 v62, 31, v60
	v_ashrrev_i32_e32 v60, 2, v60
	v_add_u32_e32 v60, v60, v62
	v_cmp_ne_u32_e64 s[6:7], v60, v61
	;; [unrolled: 6-line block ×11, first 2 shown]
	v_cvt_i32_f64_e32 v60, v[28:29]
	v_mul_hi_i32 v60, v60, s54
	v_lshrrev_b32_e32 v62, 31, v60
	v_ashrrev_i32_e32 v60, 2, v60
	v_add_u32_e32 v62, v60, v62
	v_cvt_i32_f64_e32 v60, v[26:27]
	v_mul_hi_i32 v60, v60, s54
	v_cmp_ne_u32_e64 s[26:27], v62, v61
	v_lshrrev_b32_e32 v61, 31, v60
	v_ashrrev_i32_e32 v60, 2, v60
	v_add_u32_e32 v60, v60, v61
	v_lshlrev_b32_e32 v1, 3, v0
	v_cmp_ne_u32_e64 s[28:29], v60, v62
	ds_write_b64 v1, v[58:59]
	s_waitcnt lgkmcnt(0)
	s_barrier
	s_and_saveexec_b64 s[34:35], s[2:3]
	s_cbranch_execz .LBB80_58
; %bb.57:
	v_add_u32_e32 v1, -8, v1
	s_waitcnt vmcnt(0)
	ds_read_b64 v[64:65], v1
.LBB80_58:
	s_or_b64 exec, exec, s[34:35]
	s_waitcnt vmcnt(0) lgkmcnt(0)
	v_cvt_i32_f64_e32 v64, v[64:65]
	v_mul_hi_i32 v64, v64, s54
	v_lshrrev_b32_e32 v65, 31, v64
	v_ashrrev_i32_e32 v64, 2, v64
	v_add_u32_e32 v64, v64, v65
	v_cndmask_b32_e64 v1, 0, 1, vcc
	v_cndmask_b32_e64 v79, 0, 1, s[4:5]
	v_cndmask_b32_e64 v112, 0, 1, s[6:7]
	;; [unrolled: 1-line block ×13, first 2 shown]
	v_cmp_ne_u32_e64 s[8:9], v64, v60
	s_mov_b64 s[4:5], -1
.LBB80_59:
                                        ; implicit-def: $sgpr10
	s_branch .LBB80_79
.LBB80_60:
                                        ; implicit-def: $sgpr8_sgpr9
                                        ; implicit-def: $vgpr1
                                        ; implicit-def: $vgpr79
                                        ; implicit-def: $vgpr112
                                        ; implicit-def: $vgpr61
                                        ; implicit-def: $vgpr113
                                        ; implicit-def: $vgpr63
                                        ; implicit-def: $vgpr62
                                        ; implicit-def: $vgpr67
                                        ; implicit-def: $vgpr66
                                        ; implicit-def: $vgpr69
                                        ; implicit-def: $vgpr68
                                        ; implicit-def: $vgpr71
                                        ; implicit-def: $vgpr70
                                        ; implicit-def: $vgpr75
                                        ; implicit-def: $vgpr65
                                        ; implicit-def: $sgpr10
	s_cbranch_execnz .LBB80_80
	s_branch .LBB80_115
.LBB80_61:
	v_add_co_u32_e32 v30, vcc, v1, v65
	v_addc_co_u32_e32 v31, vcc, 0, v62, vcc
	flat_load_dwordx2 v[30:31], v[30:31]
	s_or_b64 exec, exec, s[34:35]
                                        ; implicit-def: $vgpr32_vgpr33
	s_and_saveexec_b64 s[34:35], s[4:5]
	s_cbranch_execz .LBB80_39
.LBB80_62:
	v_add_co_u32_e32 v32, vcc, v1, v65
	v_addc_co_u32_e32 v33, vcc, 0, v62, vcc
	flat_load_dwordx2 v[32:33], v[32:33] offset:2048
	s_or_b64 exec, exec, s[34:35]
                                        ; implicit-def: $vgpr34_vgpr35
	s_and_saveexec_b64 s[4:5], s[6:7]
	s_cbranch_execz .LBB80_40
.LBB80_63:
	v_add_co_u32_e32 v34, vcc, v1, v36
	v_addc_co_u32_e32 v35, vcc, 0, v62, vcc
	flat_load_dwordx2 v[34:35], v[34:35]
	s_or_b64 exec, exec, s[4:5]
                                        ; implicit-def: $vgpr36_vgpr37
	s_and_saveexec_b64 s[4:5], s[8:9]
	s_cbranch_execz .LBB80_41
.LBB80_64:
	v_add_co_u32_e32 v36, vcc, v1, v38
	v_addc_co_u32_e32 v37, vcc, 0, v62, vcc
	flat_load_dwordx2 v[36:37], v[36:37]
	s_or_b64 exec, exec, s[4:5]
                                        ; implicit-def: $vgpr38_vgpr39
	s_and_saveexec_b64 s[4:5], s[10:11]
	s_cbranch_execz .LBB80_42
.LBB80_65:
	v_add_co_u32_e32 v38, vcc, v1, v40
	v_addc_co_u32_e32 v39, vcc, 0, v62, vcc
	flat_load_dwordx2 v[38:39], v[38:39]
	s_or_b64 exec, exec, s[4:5]
                                        ; implicit-def: $vgpr40_vgpr41
	s_and_saveexec_b64 s[4:5], s[12:13]
	s_cbranch_execz .LBB80_43
.LBB80_66:
	v_add_co_u32_e32 v40, vcc, v1, v42
	v_addc_co_u32_e32 v41, vcc, 0, v62, vcc
	flat_load_dwordx2 v[40:41], v[40:41]
	s_or_b64 exec, exec, s[4:5]
                                        ; implicit-def: $vgpr42_vgpr43
	s_and_saveexec_b64 s[4:5], s[14:15]
	s_cbranch_execz .LBB80_44
.LBB80_67:
	v_add_co_u32_e32 v42, vcc, v1, v44
	v_addc_co_u32_e32 v43, vcc, 0, v62, vcc
	flat_load_dwordx2 v[42:43], v[42:43]
	s_or_b64 exec, exec, s[4:5]
                                        ; implicit-def: $vgpr44_vgpr45
	s_and_saveexec_b64 s[4:5], s[16:17]
	s_cbranch_execz .LBB80_45
.LBB80_68:
	v_add_co_u32_e32 v44, vcc, v1, v46
	v_addc_co_u32_e32 v45, vcc, 0, v62, vcc
	flat_load_dwordx2 v[44:45], v[44:45]
	s_or_b64 exec, exec, s[4:5]
                                        ; implicit-def: $vgpr46_vgpr47
	s_and_saveexec_b64 s[4:5], s[18:19]
	s_cbranch_execz .LBB80_46
.LBB80_69:
	v_add_co_u32_e32 v46, vcc, v1, v48
	v_addc_co_u32_e32 v47, vcc, 0, v62, vcc
	flat_load_dwordx2 v[46:47], v[46:47]
	s_or_b64 exec, exec, s[4:5]
                                        ; implicit-def: $vgpr48_vgpr49
	s_and_saveexec_b64 s[4:5], s[20:21]
	s_cbranch_execz .LBB80_47
.LBB80_70:
	v_add_co_u32_e32 v48, vcc, v1, v50
	v_addc_co_u32_e32 v49, vcc, 0, v62, vcc
	flat_load_dwordx2 v[48:49], v[48:49]
	s_or_b64 exec, exec, s[4:5]
                                        ; implicit-def: $vgpr50_vgpr51
	s_and_saveexec_b64 s[4:5], s[22:23]
	s_cbranch_execz .LBB80_48
.LBB80_71:
	v_add_co_u32_e32 v50, vcc, v1, v52
	v_addc_co_u32_e32 v51, vcc, 0, v62, vcc
	flat_load_dwordx2 v[50:51], v[50:51]
	s_or_b64 exec, exec, s[4:5]
                                        ; implicit-def: $vgpr52_vgpr53
	s_and_saveexec_b64 s[4:5], s[24:25]
	s_cbranch_execz .LBB80_49
.LBB80_72:
	v_add_co_u32_e32 v52, vcc, v1, v54
	v_addc_co_u32_e32 v53, vcc, 0, v62, vcc
	flat_load_dwordx2 v[52:53], v[52:53]
	s_or_b64 exec, exec, s[4:5]
                                        ; implicit-def: $vgpr54_vgpr55
	s_and_saveexec_b64 s[4:5], s[26:27]
	s_cbranch_execz .LBB80_50
.LBB80_73:
	v_add_co_u32_e32 v54, vcc, v1, v56
	v_addc_co_u32_e32 v55, vcc, 0, v62, vcc
	flat_load_dwordx2 v[54:55], v[54:55]
	s_or_b64 exec, exec, s[4:5]
                                        ; implicit-def: $vgpr56_vgpr57
	s_and_saveexec_b64 s[4:5], s[28:29]
	s_cbranch_execz .LBB80_51
.LBB80_74:
	v_add_co_u32_e32 v56, vcc, v1, v60
	v_addc_co_u32_e32 v57, vcc, 0, v62, vcc
	flat_load_dwordx2 v[56:57], v[56:57]
	s_or_b64 exec, exec, s[4:5]
                                        ; implicit-def: $vgpr60_vgpr61
	s_and_saveexec_b64 s[4:5], s[30:31]
	s_cbranch_execnz .LBB80_52
	s_branch .LBB80_53
.LBB80_75:
                                        ; implicit-def: $sgpr8_sgpr9
                                        ; implicit-def: $vgpr1
                                        ; implicit-def: $vgpr79
                                        ; implicit-def: $vgpr112
                                        ; implicit-def: $vgpr61
                                        ; implicit-def: $vgpr113
                                        ; implicit-def: $vgpr63
                                        ; implicit-def: $vgpr62
                                        ; implicit-def: $vgpr67
                                        ; implicit-def: $vgpr66
                                        ; implicit-def: $vgpr69
                                        ; implicit-def: $vgpr68
                                        ; implicit-def: $vgpr71
                                        ; implicit-def: $vgpr70
                                        ; implicit-def: $vgpr75
	s_cbranch_execz .LBB80_59
; %bb.76:
	v_cvt_i32_f64_e32 v1, v[4:5]
	s_mov_b32 s10, 0x66666667
	v_mul_hi_i32 v1, v1, s10
	v_lshrrev_b32_e32 v61, 31, v1
	v_ashrrev_i32_e32 v1, 2, v1
	v_add_u32_e32 v61, v1, v61
	v_cvt_i32_f64_e32 v1, v[58:59]
	v_mul_hi_i32 v1, v1, s10
	v_lshrrev_b32_e32 v62, 31, v1
	v_ashrrev_i32_e32 v1, 2, v1
	v_add_u32_e32 v1, v1, v62
	v_cvt_i32_f64_e32 v62, v[2:3]
	v_mul_hi_i32 v62, v62, s10
	v_lshrrev_b32_e32 v63, 31, v62
	v_ashrrev_i32_e32 v62, 2, v62
	v_cmp_ne_u32_e32 vcc, v61, v1
	v_add_u32_e32 v62, v62, v63
	v_cndmask_b32_e64 v1, 0, 1, vcc
	v_cmp_ne_u32_e32 vcc, v62, v61
	v_cvt_i32_f64_e32 v61, v[8:9]
	v_mul_hi_i32 v61, v61, s10
	v_lshrrev_b32_e32 v63, 31, v61
	v_ashrrev_i32_e32 v61, 2, v61
	v_add_u32_e32 v61, v61, v63
	v_cndmask_b32_e64 v79, 0, 1, vcc
	v_cmp_ne_u32_e32 vcc, v61, v62
	v_cvt_i32_f64_e32 v62, v[6:7]
	v_mul_hi_i32 v62, v62, s10
	v_lshrrev_b32_e32 v63, 31, v62
	v_ashrrev_i32_e32 v62, 2, v62
	v_add_u32_e32 v62, v62, v63
	v_cvt_i32_f64_e32 v63, v[12:13]
	v_mul_hi_i32 v63, v63, s10
	v_lshrrev_b32_e32 v64, 31, v63
	v_ashrrev_i32_e32 v63, 2, v63
	v_cndmask_b32_e64 v112, 0, 1, vcc
	v_cmp_ne_u32_e32 vcc, v62, v61
	v_add_u32_e32 v63, v63, v64
	v_cndmask_b32_e64 v61, 0, 1, vcc
	v_cmp_ne_u32_e32 vcc, v63, v62
	v_cvt_i32_f64_e32 v62, v[10:11]
	v_mul_hi_i32 v62, v62, s10
	v_lshrrev_b32_e32 v64, 31, v62
	v_ashrrev_i32_e32 v62, 2, v62
	v_add_u32_e32 v62, v62, v64
	v_cvt_i32_f64_e32 v64, v[16:17]
	v_mul_hi_i32 v64, v64, s10
	v_lshrrev_b32_e32 v65, 31, v64
	v_ashrrev_i32_e32 v64, 2, v64
	v_add_u32_e32 v64, v64, v65
	v_cvt_i32_f64_e32 v65, v[14:15]
	v_mul_hi_i32 v65, v65, s10
	v_cndmask_b32_e64 v113, 0, 1, vcc
	v_cmp_ne_u32_e32 vcc, v62, v63
	v_lshrrev_b32_e32 v66, 31, v65
	v_ashrrev_i32_e32 v65, 2, v65
	v_cndmask_b32_e64 v63, 0, 1, vcc
	v_cmp_ne_u32_e32 vcc, v64, v62
	v_add_u32_e32 v65, v65, v66
	v_cndmask_b32_e64 v62, 0, 1, vcc
	v_cmp_ne_u32_e32 vcc, v65, v64
	v_cvt_i32_f64_e32 v64, v[20:21]
	v_mul_hi_i32 v64, v64, s10
	v_lshrrev_b32_e32 v66, 31, v64
	v_ashrrev_i32_e32 v64, 2, v64
	v_add_u32_e32 v64, v64, v66
	v_cndmask_b32_e64 v67, 0, 1, vcc
	v_cmp_ne_u32_e32 vcc, v64, v65
	v_cvt_i32_f64_e32 v65, v[18:19]
	v_mul_hi_i32 v65, v65, s10
	v_lshrrev_b32_e32 v68, 31, v65
	v_ashrrev_i32_e32 v65, 2, v65
	;; [unrolled: 7-line block ×5, first 2 shown]
	v_add_u32_e32 v75, v64, v70
	v_cvt_i32_f64_e32 v64, v[26:27]
	v_mul_hi_i32 v64, v64, s10
	v_cndmask_b32_e64 v71, 0, 1, vcc
	v_cmp_ne_u32_e32 vcc, v75, v65
	v_lshrrev_b32_e32 v65, 31, v64
	v_ashrrev_i32_e32 v64, 2, v64
	v_add_u32_e32 v64, v64, v65
	v_cndmask_b32_e64 v70, 0, 1, vcc
	v_cmp_ne_u32_e32 vcc, v64, v75
	v_lshlrev_b32_e32 v60, 3, v0
	v_cndmask_b32_e64 v75, 0, 1, vcc
	ds_write_b64 v60, v[58:59]
	s_waitcnt lgkmcnt(0)
	s_barrier
	s_waitcnt lgkmcnt(0)
                                        ; implicit-def: $sgpr8_sgpr9
	s_and_saveexec_b64 s[6:7], s[2:3]
	s_xor_b64 s[6:7], exec, s[6:7]
	s_cbranch_execz .LBB80_78
; %bb.77:
	v_add_u32_e32 v60, -8, v60
	ds_read_b64 v[80:81], v60
	s_or_b64 s[4:5], s[4:5], exec
	s_waitcnt lgkmcnt(0)
	v_cvt_i32_f64_e32 v60, v[80:81]
	v_mul_hi_i32 v60, v60, s10
	v_lshrrev_b32_e32 v65, 31, v60
	v_ashrrev_i32_e32 v60, 2, v60
	v_add_u32_e32 v60, v60, v65
	v_cmp_ne_u32_e32 vcc, v60, v64
	s_and_b64 s[8:9], vcc, exec
.LBB80_78:
	s_or_b64 exec, exec, s[6:7]
	s_mov_b32 s10, 1
.LBB80_79:
	v_mov_b32_e32 v65, v79
	s_branch .LBB80_115
.LBB80_80:
	s_mul_hi_u32 s7, s52, 0xfffff100
	s_mul_i32 s6, s53, 0xfffff100
	s_sub_i32 s7, s7, s52
	s_add_i32 s7, s7, s6
	s_mul_i32 s6, s52, 0xfffff100
	s_add_u32 s6, s6, s48
	s_addc_u32 s7, s7, s49
	s_and_b64 vcc, exec, s[30:31]
	v_mad_u32_u24 v64, v0, 15, 14
	s_cbranch_vccz .LBB80_252
; %bb.81:
	v_add_co_u32_e32 v60, vcc, -8, v74
	v_addc_co_u32_e32 v61, vcc, -1, v77, vcc
	flat_load_dwordx2 v[80:81], v[60:61]
	v_mov_b32_e32 v79, 0
	v_mov_b32_e32 v65, v79
	v_lshlrev_b32_e32 v77, 3, v0
	v_cmp_gt_u64_e32 vcc, s[6:7], v[64:65]
	v_mov_b32_e32 v1, 0
	ds_write_b64 v77, v[58:59]
	s_and_saveexec_b64 s[4:5], vcc
	s_cbranch_execz .LBB80_83
; %bb.82:
	v_cvt_i32_f64_e32 v60, v[4:5]
	s_mov_b32 s8, 0x66666667
	v_cvt_i32_f64_e32 v1, v[58:59]
	v_mul_hi_i32 v60, v60, s8
	v_lshrrev_b32_e32 v61, 31, v60
	v_ashrrev_i32_e32 v60, 2, v60
	v_mul_hi_i32 v1, v1, s8
	v_add_u32_e32 v60, v60, v61
	v_lshrrev_b32_e32 v61, 31, v1
	v_ashrrev_i32_e32 v1, 2, v1
	v_add_u32_e32 v1, v1, v61
	v_cmp_ne_u32_e32 vcc, v60, v1
	v_cndmask_b32_e64 v1, 0, 1, vcc
.LBB80_83:
	s_or_b64 exec, exec, s[4:5]
	v_add_u32_e32 v78, 13, v76
	v_cmp_gt_u64_e32 vcc, s[6:7], v[78:79]
	s_and_saveexec_b64 s[4:5], vcc
	s_cbranch_execz .LBB80_85
; %bb.84:
	v_cvt_i32_f64_e32 v61, v[2:3]
	s_mov_b32 s8, 0x66666667
	v_cvt_i32_f64_e32 v60, v[4:5]
	v_mul_hi_i32 v61, v61, s8
	v_lshrrev_b32_e32 v62, 31, v61
	v_ashrrev_i32_e32 v61, 2, v61
	v_mul_hi_i32 v60, v60, s8
	v_add_u32_e32 v61, v61, v62
	v_lshrrev_b32_e32 v62, 31, v60
	v_ashrrev_i32_e32 v60, 2, v60
	v_add_u32_e32 v60, v60, v62
	v_cmp_ne_u32_e32 vcc, v61, v60
	v_cndmask_b32_e64 v79, 0, 1, vcc
.LBB80_85:
	s_or_b64 exec, exec, s[4:5]
	v_add_u32_e32 v60, 12, v76
	v_mov_b32_e32 v61, 0
	v_cmp_gt_u64_e32 vcc, s[6:7], v[60:61]
	v_mov_b32_e32 v112, 0
	s_and_saveexec_b64 s[4:5], vcc
	s_cbranch_execz .LBB80_87
; %bb.86:
	v_cvt_i32_f64_e32 v62, v[8:9]
	s_mov_b32 s8, 0x66666667
	v_cvt_i32_f64_e32 v60, v[2:3]
	v_mul_hi_i32 v62, v62, s8
	v_lshrrev_b32_e32 v63, 31, v62
	v_ashrrev_i32_e32 v62, 2, v62
	v_mul_hi_i32 v60, v60, s8
	v_add_u32_e32 v62, v62, v63
	v_lshrrev_b32_e32 v63, 31, v60
	v_ashrrev_i32_e32 v60, 2, v60
	v_add_u32_e32 v60, v60, v63
	v_cmp_ne_u32_e32 vcc, v62, v60
	v_cndmask_b32_e64 v112, 0, 1, vcc
.LBB80_87:
	s_or_b64 exec, exec, s[4:5]
	v_add_u32_e32 v60, 11, v76
	v_cmp_gt_u64_e32 vcc, s[6:7], v[60:61]
	s_and_saveexec_b64 s[4:5], vcc
	s_cbranch_execz .LBB80_89
; %bb.88:
	v_cvt_i32_f64_e32 v61, v[6:7]
	s_mov_b32 s8, 0x66666667
	v_cvt_i32_f64_e32 v60, v[8:9]
	v_mul_hi_i32 v61, v61, s8
	v_lshrrev_b32_e32 v62, 31, v61
	v_ashrrev_i32_e32 v61, 2, v61
	v_mul_hi_i32 v60, v60, s8
	v_add_u32_e32 v61, v61, v62
	v_lshrrev_b32_e32 v62, 31, v60
	v_ashrrev_i32_e32 v60, 2, v60
	v_add_u32_e32 v60, v60, v62
	v_cmp_ne_u32_e32 vcc, v61, v60
	v_cndmask_b32_e64 v61, 0, 1, vcc
.LBB80_89:
	s_or_b64 exec, exec, s[4:5]
	v_add_u32_e32 v62, 10, v76
	v_mov_b32_e32 v63, 0
	v_cmp_gt_u64_e32 vcc, s[6:7], v[62:63]
	v_mov_b32_e32 v113, 0
	;; [unrolled: 42-line block ×6, first 2 shown]
	s_and_saveexec_b64 s[4:5], vcc
	s_cbranch_execz .LBB80_107
; %bb.106:
	v_cvt_i32_f64_e32 v65, v[28:29]
	s_mov_b32 s8, 0x66666667
	v_cvt_i32_f64_e32 v60, v[22:23]
	v_mul_hi_i32 v65, v65, s8
	v_lshrrev_b32_e32 v70, 31, v65
	v_ashrrev_i32_e32 v65, 2, v65
	v_mul_hi_i32 v60, v60, s8
	v_add_u32_e32 v65, v65, v70
	v_lshrrev_b32_e32 v70, 31, v60
	v_ashrrev_i32_e32 v60, 2, v60
	v_add_u32_e32 v60, v60, v70
	v_cmp_ne_u32_e32 vcc, v65, v60
	v_cndmask_b32_e64 v70, 0, 1, vcc
.LBB80_107:
	s_or_b64 exec, exec, s[4:5]
	v_add_u32_e32 v74, 1, v76
	v_cmp_gt_u64_e32 vcc, s[6:7], v[74:75]
	s_and_saveexec_b64 s[4:5], vcc
	s_cbranch_execz .LBB80_109
; %bb.108:
	v_cvt_i32_f64_e32 v65, v[26:27]
	s_mov_b32 s8, 0x66666667
	v_cvt_i32_f64_e32 v60, v[28:29]
	v_mul_hi_i32 v65, v65, s8
	v_lshrrev_b32_e32 v74, 31, v65
	v_ashrrev_i32_e32 v65, 2, v65
	v_mul_hi_i32 v60, v60, s8
	v_add_u32_e32 v65, v65, v74
	v_lshrrev_b32_e32 v74, 31, v60
	v_ashrrev_i32_e32 v60, 2, v60
	v_add_u32_e32 v60, v60, v74
	v_cmp_ne_u32_e32 vcc, v65, v60
	v_cndmask_b32_e64 v75, 0, 1, vcc
.LBB80_109:
	s_or_b64 exec, exec, s[4:5]
	s_waitcnt lgkmcnt(0)
	s_barrier
	s_and_saveexec_b64 s[4:5], s[2:3]
	s_cbranch_execz .LBB80_111
; %bb.110:
	v_add_u32_e32 v60, -8, v77
	s_waitcnt vmcnt(0)
	ds_read_b64 v[80:81], v60
.LBB80_111:
	s_or_b64 exec, exec, s[4:5]
	v_mov_b32_e32 v77, 0
	v_cmp_gt_u64_e32 vcc, s[6:7], v[76:77]
	s_mov_b64 s[10:11], 0
	s_mov_b64 s[8:9], 0
	s_and_saveexec_b64 s[4:5], vcc
	s_cbranch_execz .LBB80_113
; %bb.112:
	s_waitcnt vmcnt(0) lgkmcnt(0)
	v_cvt_i32_f64_e32 v65, v[80:81]
	s_mov_b32 s8, 0x66666667
	v_cvt_i32_f64_e32 v60, v[26:27]
	v_mul_hi_i32 v65, v65, s8
	v_lshrrev_b32_e32 v74, 31, v65
	v_ashrrev_i32_e32 v65, 2, v65
	v_mul_hi_i32 v60, v60, s8
	v_add_u32_e32 v65, v65, v74
	v_lshrrev_b32_e32 v74, 31, v60
	v_ashrrev_i32_e32 v60, 2, v60
	v_add_u32_e32 v60, v60, v74
	v_cmp_ne_u32_e32 vcc, v65, v60
	s_and_b64 s[8:9], vcc, exec
.LBB80_113:
	s_or_b64 exec, exec, s[4:5]
	s_mov_b64 s[4:5], -1
	s_and_b64 vcc, exec, s[10:11]
	s_cbranch_vccnz .LBB80_253
.LBB80_114:
                                        ; implicit-def: $vgpr65
                                        ; implicit-def: $sgpr10
.LBB80_115:
	v_mov_b32_e32 v64, s10
	s_and_saveexec_b64 s[2:3], s[4:5]
.LBB80_116:
	v_cndmask_b32_e64 v64, 0, 1, s[8:9]
	v_mov_b32_e32 v65, v79
.LBB80_117:
	s_or_b64 exec, exec, s[2:3]
	s_cmp_eq_u64 s[42:43], 0
	v_add3_u32 v60, v75, v64, v70
	s_cselect_b64 s[30:31], -1, 0
	s_cmp_lg_u32 s56, 0
	v_add_f64 v[110:111], v[50:51], v[54:55]
	v_cmp_eq_u32_e64 s[26:27], 0, v75
	v_cmp_eq_u32_e64 s[24:25], 0, v70
	;; [unrolled: 1-line block ×3, first 2 shown]
	v_add3_u32 v115, v60, v71, v68
	v_cmp_eq_u32_e64 s[20:21], 0, v68
	v_cmp_eq_u32_e64 s[18:19], 0, v69
	;; [unrolled: 1-line block ×10, first 2 shown]
	v_cmp_eq_u32_e32 vcc, 0, v1
	v_mbcnt_lo_u32_b32 v114, -1, 0
	s_cbranch_scc0 .LBB80_184
; %bb.118:
	v_cndmask_b32_e64 v77, v55, v111, s[26:27]
	v_cndmask_b32_e64 v76, v54, v110, s[26:27]
	v_add_f64 v[76:77], v[52:53], v[76:77]
	v_cndmask_b32_e64 v77, v53, v77, s[24:25]
	v_cndmask_b32_e64 v76, v52, v76, s[24:25]
	v_add_f64 v[76:77], v[56:57], v[76:77]
	;; [unrolled: 3-line block ×11, first 2 shown]
	v_add3_u32 v60, v115, v69, v66
	v_cndmask_b32_e64 v77, v31, v77, s[4:5]
	v_cndmask_b32_e64 v76, v30, v76, s[4:5]
	v_add3_u32 v60, v60, v67, v62
	v_add_f64 v[76:77], v[72:73], v[76:77]
	v_add3_u32 v60, v60, v63, v113
	v_cndmask_b32_e64 v77, v73, v77, s[2:3]
	v_cndmask_b32_e64 v76, v72, v76, s[2:3]
	v_add3_u32 v60, v60, v61, v112
	v_add_f64 v[76:77], v[32:33], v[76:77]
	v_mbcnt_hi_u32_b32 v88, -1, v114
	v_add3_u32 v74, v60, v65, v1
	v_cndmask_b32_e32 v79, v33, v77, vcc
	v_cndmask_b32_e32 v78, v32, v76, vcc
	v_and_b32_e32 v60, 15, v88
	s_waitcnt vmcnt(0) lgkmcnt(0)
	v_mov_b32_dpp v80, v74 row_shr:1 row_mask:0xf bank_mask:0xf
	v_mov_b32_dpp v76, v78 row_shr:1 row_mask:0xf bank_mask:0xf
	;; [unrolled: 1-line block ×3, first 2 shown]
	v_cmp_ne_u32_e32 vcc, 0, v60
	s_and_saveexec_b64 s[28:29], vcc
; %bb.119:
	v_add_u32_e32 v80, v80, v74
	v_add_f64 v[76:77], v[78:79], v[76:77]
	v_cmp_eq_u32_e32 vcc, 0, v74
	v_cndmask_b32_e32 v79, v79, v77, vcc
	v_cndmask_b32_e32 v78, v78, v76, vcc
	v_mov_b32_e32 v74, v80
; %bb.120:
	s_or_b64 exec, exec, s[28:29]
	s_nop 0
	v_mov_b32_dpp v80, v74 row_shr:2 row_mask:0xf bank_mask:0xf
	v_mov_b32_dpp v76, v78 row_shr:2 row_mask:0xf bank_mask:0xf
	v_mov_b32_dpp v77, v79 row_shr:2 row_mask:0xf bank_mask:0xf
	v_cmp_lt_u32_e32 vcc, 1, v60
	s_and_saveexec_b64 s[28:29], vcc
; %bb.121:
	v_add_u32_e32 v80, v80, v74
	v_add_f64 v[76:77], v[78:79], v[76:77]
	v_cmp_eq_u32_e32 vcc, 0, v74
	v_cndmask_b32_e32 v79, v79, v77, vcc
	v_cndmask_b32_e32 v78, v78, v76, vcc
	v_mov_b32_e32 v74, v80
; %bb.122:
	s_or_b64 exec, exec, s[28:29]
	s_nop 0
	v_mov_b32_dpp v80, v74 row_shr:4 row_mask:0xf bank_mask:0xf
	v_mov_b32_dpp v76, v78 row_shr:4 row_mask:0xf bank_mask:0xf
	v_mov_b32_dpp v77, v79 row_shr:4 row_mask:0xf bank_mask:0xf
	v_cmp_lt_u32_e32 vcc, 3, v60
	;; [unrolled: 15-line block ×3, first 2 shown]
	s_and_saveexec_b64 s[28:29], vcc
; %bb.125:
	v_add_u32_e32 v60, v80, v74
	v_add_f64 v[76:77], v[78:79], v[76:77]
	v_cmp_eq_u32_e32 vcc, 0, v74
	v_cndmask_b32_e32 v79, v79, v77, vcc
	v_cndmask_b32_e32 v78, v78, v76, vcc
	v_mov_b32_e32 v74, v60
; %bb.126:
	s_or_b64 exec, exec, s[28:29]
	v_and_b32_e32 v80, 16, v88
	v_mov_b32_dpp v60, v74 row_bcast:15 row_mask:0xf bank_mask:0xf
	v_mov_b32_dpp v76, v78 row_bcast:15 row_mask:0xf bank_mask:0xf
	;; [unrolled: 1-line block ×3, first 2 shown]
	v_cmp_ne_u32_e32 vcc, 0, v80
	s_and_saveexec_b64 s[28:29], vcc
; %bb.127:
	v_add_u32_e32 v60, v60, v74
	v_add_f64 v[76:77], v[78:79], v[76:77]
	v_cmp_eq_u32_e32 vcc, 0, v74
	v_cndmask_b32_e32 v79, v79, v77, vcc
	v_cndmask_b32_e32 v78, v78, v76, vcc
	v_mov_b32_e32 v74, v60
; %bb.128:
	s_or_b64 exec, exec, s[28:29]
	s_nop 0
	v_mov_b32_dpp v60, v74 row_bcast:31 row_mask:0xf bank_mask:0xf
	v_mov_b32_dpp v76, v78 row_bcast:31 row_mask:0xf bank_mask:0xf
	;; [unrolled: 1-line block ×3, first 2 shown]
	v_cmp_lt_u32_e32 vcc, 31, v88
	s_and_saveexec_b64 s[28:29], vcc
; %bb.129:
	v_add_u32_e32 v60, v60, v74
	v_add_f64 v[76:77], v[78:79], v[76:77]
	v_cmp_eq_u32_e32 vcc, 0, v74
	v_cndmask_b32_e32 v79, v79, v77, vcc
	v_cndmask_b32_e32 v78, v78, v76, vcc
	v_mov_b32_e32 v74, v60
; %bb.130:
	s_or_b64 exec, exec, s[28:29]
	v_lshrrev_b32_e32 v60, 6, v0
	v_or_b32_e32 v76, 63, v0
	v_cmp_eq_u32_e32 vcc, v76, v0
	v_lshlrev_b32_e32 v82, 4, v60
	s_and_saveexec_b64 s[28:29], vcc
	s_cbranch_execz .LBB80_132
; %bb.131:
	ds_write_b32 v82, v74 offset:4128
	ds_write_b64 v82, v[78:79] offset:4136
.LBB80_132:
	s_or_b64 exec, exec, s[28:29]
	v_cmp_gt_u32_e32 vcc, 4, v0
	s_waitcnt lgkmcnt(0)
	s_barrier
	s_and_saveexec_b64 s[28:29], vcc
	s_cbranch_execz .LBB80_138
; %bb.133:
	v_lshlrev_b32_e32 v60, 4, v0
	ds_read_b32 v83, v60 offset:4128
	ds_read_b64 v[76:77], v60 offset:4136
	v_and_b32_e32 v84, 3, v88
	v_cmp_ne_u32_e32 vcc, 0, v84
	s_waitcnt lgkmcnt(1)
	v_mov_b32_dpp v85, v83 row_shr:1 row_mask:0xf bank_mask:0xf
	s_waitcnt lgkmcnt(0)
	v_mov_b32_dpp v80, v76 row_shr:1 row_mask:0xf bank_mask:0xf
	v_mov_b32_dpp v81, v77 row_shr:1 row_mask:0xf bank_mask:0xf
	s_and_saveexec_b64 s[34:35], vcc
; %bb.134:
	v_add_u32_e32 v85, v85, v83
	v_add_f64 v[80:81], v[76:77], v[80:81]
	v_cmp_eq_u32_e32 vcc, 0, v83
	v_cndmask_b32_e32 v77, v77, v81, vcc
	v_cndmask_b32_e32 v76, v76, v80, vcc
	v_mov_b32_e32 v83, v85
; %bb.135:
	s_or_b64 exec, exec, s[34:35]
	s_nop 0
	v_mov_b32_dpp v85, v83 row_shr:2 row_mask:0xf bank_mask:0xf
	v_mov_b32_dpp v80, v76 row_shr:2 row_mask:0xf bank_mask:0xf
	;; [unrolled: 1-line block ×3, first 2 shown]
	v_cmp_lt_u32_e32 vcc, 1, v84
	s_and_saveexec_b64 s[34:35], vcc
; %bb.136:
	v_add_u32_e32 v84, v85, v83
	v_add_f64 v[80:81], v[76:77], v[80:81]
	v_cmp_eq_u32_e32 vcc, 0, v83
	v_cndmask_b32_e32 v77, v77, v81, vcc
	v_cndmask_b32_e32 v76, v76, v80, vcc
	v_mov_b32_e32 v83, v84
; %bb.137:
	s_or_b64 exec, exec, s[34:35]
	ds_write_b32 v60, v83 offset:4128
	ds_write_b64 v60, v[76:77] offset:4136
.LBB80_138:
	s_or_b64 exec, exec, s[28:29]
	v_cmp_gt_u32_e32 vcc, 64, v0
	v_cmp_lt_u32_e64 s[28:29], 63, v0
	v_pk_mov_b32 v[76:77], 0, 0
	v_mov_b32_e32 v60, 0
	s_waitcnt lgkmcnt(0)
	s_barrier
	s_and_saveexec_b64 s[34:35], s[28:29]
	s_cbranch_execz .LBB80_140
; %bb.139:
	ds_read_b32 v60, v82 offset:4112
	ds_read_b64 v[76:77], v82 offset:4120
	v_cmp_eq_u32_e64 s[28:29], 0, v74
	s_waitcnt lgkmcnt(1)
	v_add_u32_e32 v82, v60, v74
	s_waitcnt lgkmcnt(0)
	v_add_f64 v[80:81], v[78:79], v[76:77]
	v_cndmask_b32_e64 v79, v79, v81, s[28:29]
	v_cndmask_b32_e64 v78, v78, v80, s[28:29]
	v_mov_b32_e32 v74, v82
.LBB80_140:
	s_or_b64 exec, exec, s[34:35]
	v_add_u32_e32 v80, -1, v88
	v_and_b32_e32 v81, 64, v88
	v_cmp_lt_i32_e64 s[28:29], v80, v81
	v_cndmask_b32_e64 v80, v80, v88, s[28:29]
	v_lshlrev_b32_e32 v80, 2, v80
	ds_bpermute_b32 v74, v80, v74
	ds_bpermute_b32 v90, v80, v78
	;; [unrolled: 1-line block ×3, first 2 shown]
	v_cmp_eq_u32_e64 s[28:29], 0, v88
	s_and_saveexec_b64 s[34:35], vcc
	s_cbranch_execz .LBB80_183
; %bb.141:
	v_mov_b32_e32 v83, 0
	ds_read_b32 v92, v83 offset:4176
	ds_read_b64 v[78:79], v83 offset:4184
	s_and_saveexec_b64 s[42:43], s[28:29]
	s_cbranch_execz .LBB80_143
; %bb.142:
	s_add_i32 s48, s56, 64
	s_mov_b32 s49, 0
	s_lshl_b64 s[52:53], s[48:49], 4
	s_add_u32 s52, s36, s52
	s_addc_u32 s53, s37, s53
	v_mov_b32_e32 v80, s48
	v_mov_b32_e32 v81, 1
	s_waitcnt lgkmcnt(1)
	global_store_dword v83, v92, s[52:53]
	s_waitcnt lgkmcnt(0)
	global_store_dwordx2 v83, v[78:79], s[52:53] offset:8
	s_waitcnt vmcnt(0)
	buffer_wbinvl1_vol
	global_store_byte v80, v81, s[40:41]
.LBB80_143:
	s_or_b64 exec, exec, s[42:43]
	v_xad_u32 v80, v88, -1, s56
	v_add_u32_e32 v82, 64, v80
	global_load_ubyte v93, v82, s[40:41] glc
	s_waitcnt vmcnt(0)
	v_cmp_eq_u16_e32 vcc, 0, v93
	s_and_saveexec_b64 s[42:43], vcc
	s_cbranch_execz .LBB80_147
; %bb.144:
	v_mov_b32_e32 v81, s41
	v_add_co_u32_e32 v84, vcc, s40, v82
	v_addc_co_u32_e32 v85, vcc, 0, v81, vcc
	s_mov_b64 s[48:49], 0
.LBB80_145:                             ; =>This Inner Loop Header: Depth=1
	global_load_ubyte v93, v[84:85], off glc
	s_waitcnt vmcnt(0)
	v_cmp_ne_u16_e32 vcc, 0, v93
	s_or_b64 s[48:49], vcc, s[48:49]
	s_andn2_b64 exec, exec, s[48:49]
	s_cbranch_execnz .LBB80_145
; %bb.146:
	s_or_b64 exec, exec, s[48:49]
.LBB80_147:
	s_or_b64 exec, exec, s[42:43]
	v_mov_b32_e32 v81, s39
	v_mov_b32_e32 v84, s37
	v_cmp_eq_u16_e32 vcc, 1, v93
	v_cndmask_b32_e32 v81, v81, v84, vcc
	v_mov_b32_e32 v84, s38
	v_mov_b32_e32 v85, s36
	v_cndmask_b32_e32 v84, v84, v85, vcc
	v_lshlrev_b64 v[82:83], 4, v[82:83]
	v_add_co_u32_e32 v82, vcc, v84, v82
	v_addc_co_u32_e32 v83, vcc, v81, v83, vcc
	s_waitcnt lgkmcnt(0)
	buffer_wbinvl1_vol
	global_load_dword v89, v[82:83], off
	global_load_dwordx2 v[86:87], v[82:83], off offset:8
	v_cmp_eq_u16_e32 vcc, 2, v93
	v_lshlrev_b64 v[82:83], v88, -1
	v_and_b32_e32 v94, 63, v88
	v_and_b32_e32 v81, vcc_hi, v83
	v_and_b32_e32 v97, vcc_lo, v82
	v_cmp_ne_u32_e32 vcc, 63, v94
	v_addc_co_u32_e32 v84, vcc, 0, v88, vcc
	v_lshlrev_b32_e32 v95, 2, v84
	v_or_b32_e32 v81, 0x80000000, v81
	v_ffbl_b32_e32 v81, v81
	v_add_u32_e32 v81, 32, v81
	v_ffbl_b32_e32 v97, v97
	v_min_u32_e32 v81, v97, v81
	v_cmp_lt_u32_e32 vcc, v94, v81
	s_waitcnt vmcnt(1)
	ds_bpermute_b32 v96, v95, v89
	s_waitcnt vmcnt(0)
	ds_bpermute_b32 v84, v95, v86
	ds_bpermute_b32 v85, v95, v87
	s_and_saveexec_b64 s[42:43], vcc
	s_cbranch_execz .LBB80_149
; %bb.148:
	s_waitcnt lgkmcnt(2)
	v_add_u32_e32 v96, v96, v89
	s_waitcnt lgkmcnt(0)
	v_add_f64 v[84:85], v[86:87], v[84:85]
	v_cmp_eq_u32_e32 vcc, 0, v89
	v_cndmask_b32_e32 v87, v87, v85, vcc
	v_cndmask_b32_e32 v86, v86, v84, vcc
	v_mov_b32_e32 v89, v96
.LBB80_149:
	s_or_b64 exec, exec, s[42:43]
	v_cmp_gt_u32_e32 vcc, 62, v94
	s_waitcnt lgkmcnt(1)
	v_cndmask_b32_e64 v84, 0, 1, vcc
	v_lshlrev_b32_e32 v84, 1, v84
	v_add_lshl_u32 v96, v84, v88, 2
	ds_bpermute_b32 v98, v96, v89
	ds_bpermute_b32 v84, v96, v86
	s_waitcnt lgkmcnt(2)
	ds_bpermute_b32 v85, v96, v87
	v_add_u32_e32 v97, 2, v94
	v_cmp_le_u32_e32 vcc, v97, v81
	s_and_saveexec_b64 s[42:43], vcc
	s_cbranch_execz .LBB80_151
; %bb.150:
	s_waitcnt lgkmcnt(2)
	v_add_u32_e32 v98, v98, v89
	s_waitcnt lgkmcnt(0)
	v_add_f64 v[84:85], v[86:87], v[84:85]
	v_cmp_eq_u32_e32 vcc, 0, v89
	v_cndmask_b32_e32 v87, v87, v85, vcc
	v_cndmask_b32_e32 v86, v86, v84, vcc
	v_mov_b32_e32 v89, v98
.LBB80_151:
	s_or_b64 exec, exec, s[42:43]
	v_cmp_gt_u32_e32 vcc, 60, v94
	s_waitcnt lgkmcnt(1)
	v_cndmask_b32_e64 v84, 0, 1, vcc
	v_lshlrev_b32_e32 v84, 2, v84
	v_add_lshl_u32 v98, v84, v88, 2
	ds_bpermute_b32 v100, v98, v89
	ds_bpermute_b32 v84, v98, v86
	s_waitcnt lgkmcnt(2)
	ds_bpermute_b32 v85, v98, v87
	v_add_u32_e32 v99, 4, v94
	v_cmp_le_u32_e32 vcc, v99, v81
	;; [unrolled: 24-line block ×5, first 2 shown]
	s_and_saveexec_b64 s[42:43], vcc
	s_cbranch_execz .LBB80_159
; %bb.158:
	s_waitcnt lgkmcnt(2)
	v_add_u32_e32 v81, v88, v89
	s_waitcnt lgkmcnt(0)
	v_add_f64 v[84:85], v[86:87], v[84:85]
	v_cmp_eq_u32_e32 vcc, 0, v89
	v_cndmask_b32_e32 v87, v87, v85, vcc
	v_cndmask_b32_e32 v86, v86, v84, vcc
	v_mov_b32_e32 v89, v81
.LBB80_159:
	s_or_b64 exec, exec, s[42:43]
	v_mov_b32_e32 v81, 0
	v_mov_b32_e32 v107, 2
	s_branch .LBB80_161
.LBB80_160:                             ;   in Loop: Header=BB80_161 Depth=1
	s_or_b64 exec, exec, s[42:43]
	v_add_f64 v[86:87], v[84:85], v[86:87]
	v_cmp_eq_u32_e32 vcc, 0, v106
	v_subrev_u32_e32 v80, 64, v80
	s_waitcnt lgkmcnt(0)
	v_add_u32_e32 v89, v108, v106
	v_cndmask_b32_e32 v87, v85, v87, vcc
	v_cndmask_b32_e32 v86, v84, v86, vcc
.LBB80_161:                             ; =>This Loop Header: Depth=1
                                        ;     Child Loop BB80_164 Depth 2
	v_cmp_ne_u16_sdwa s[42:43], v93, v107 src0_sel:BYTE_0 src1_sel:DWORD
	s_waitcnt lgkmcnt(0)
	v_pk_mov_b32 v[84:85], v[86:87], v[86:87] op_sel:[0,1]
	v_cndmask_b32_e64 v86, 0, 1, s[42:43]
	;;#ASMSTART
	;;#ASMEND
	v_cmp_ne_u32_e32 vcc, 0, v86
	s_cmp_lg_u64 vcc, exec
	v_mov_b32_e32 v106, v89
	s_cbranch_scc1 .LBB80_178
; %bb.162:                              ;   in Loop: Header=BB80_161 Depth=1
	global_load_ubyte v93, v80, s[40:41] glc
	s_waitcnt vmcnt(0)
	v_cmp_eq_u16_e32 vcc, 0, v93
	s_and_saveexec_b64 s[42:43], vcc
	s_cbranch_execz .LBB80_166
; %bb.163:                              ;   in Loop: Header=BB80_161 Depth=1
	v_mov_b32_e32 v87, s41
	v_add_co_u32_e32 v86, vcc, s40, v80
	v_addc_co_u32_e32 v87, vcc, 0, v87, vcc
	s_mov_b64 s[48:49], 0
.LBB80_164:                             ;   Parent Loop BB80_161 Depth=1
                                        ; =>  This Inner Loop Header: Depth=2
	global_load_ubyte v93, v[86:87], off glc
	s_waitcnt vmcnt(0)
	v_cmp_ne_u16_e32 vcc, 0, v93
	s_or_b64 s[48:49], vcc, s[48:49]
	s_andn2_b64 exec, exec, s[48:49]
	s_cbranch_execnz .LBB80_164
; %bb.165:                              ;   in Loop: Header=BB80_161 Depth=1
	s_or_b64 exec, exec, s[48:49]
.LBB80_166:                             ;   in Loop: Header=BB80_161 Depth=1
	s_or_b64 exec, exec, s[42:43]
	v_mov_b32_e32 v86, s39
	v_mov_b32_e32 v87, s37
	v_cmp_eq_u16_e32 vcc, 1, v93
	v_cndmask_b32_e32 v88, v86, v87, vcc
	v_mov_b32_e32 v86, s38
	v_mov_b32_e32 v87, s36
	v_cndmask_b32_e32 v89, v86, v87, vcc
	v_lshlrev_b64 v[86:87], 4, v[80:81]
	v_add_co_u32_e32 v86, vcc, v89, v86
	v_addc_co_u32_e32 v87, vcc, v88, v87, vcc
	buffer_wbinvl1_vol
	global_load_dword v108, v[86:87], off
	s_nop 0
	global_load_dwordx2 v[86:87], v[86:87], off offset:8
	v_cmp_eq_u16_e32 vcc, 2, v93
	v_and_b32_e32 v88, vcc_hi, v83
	v_or_b32_e32 v88, 0x80000000, v88
	v_ffbl_b32_e32 v117, v88
	v_and_b32_e32 v109, vcc_lo, v82
	v_add_u32_e32 v117, 32, v117
	v_ffbl_b32_e32 v109, v109
	v_min_u32_e32 v109, v109, v117
	v_cmp_lt_u32_e32 vcc, v94, v109
	s_waitcnt vmcnt(1)
	ds_bpermute_b32 v116, v95, v108
	s_waitcnt vmcnt(0)
	ds_bpermute_b32 v88, v95, v86
	ds_bpermute_b32 v89, v95, v87
	s_and_saveexec_b64 s[42:43], vcc
	s_cbranch_execz .LBB80_168
; %bb.167:                              ;   in Loop: Header=BB80_161 Depth=1
	s_waitcnt lgkmcnt(2)
	v_add_u32_e32 v116, v116, v108
	s_waitcnt lgkmcnt(0)
	v_add_f64 v[88:89], v[86:87], v[88:89]
	v_cmp_eq_u32_e32 vcc, 0, v108
	v_cndmask_b32_e32 v87, v87, v89, vcc
	v_cndmask_b32_e32 v86, v86, v88, vcc
	v_mov_b32_e32 v108, v116
.LBB80_168:                             ;   in Loop: Header=BB80_161 Depth=1
	s_or_b64 exec, exec, s[42:43]
	s_waitcnt lgkmcnt(2)
	ds_bpermute_b32 v116, v96, v108
	s_waitcnt lgkmcnt(2)
	ds_bpermute_b32 v88, v96, v86
	s_waitcnt lgkmcnt(2)
	ds_bpermute_b32 v89, v96, v87
	v_cmp_le_u32_e32 vcc, v97, v109
	s_and_saveexec_b64 s[42:43], vcc
	s_cbranch_execz .LBB80_170
; %bb.169:                              ;   in Loop: Header=BB80_161 Depth=1
	s_waitcnt lgkmcnt(2)
	v_add_u32_e32 v116, v116, v108
	s_waitcnt lgkmcnt(0)
	v_add_f64 v[88:89], v[86:87], v[88:89]
	v_cmp_eq_u32_e32 vcc, 0, v108
	v_cndmask_b32_e32 v87, v87, v89, vcc
	v_cndmask_b32_e32 v86, v86, v88, vcc
	v_mov_b32_e32 v108, v116
.LBB80_170:                             ;   in Loop: Header=BB80_161 Depth=1
	s_or_b64 exec, exec, s[42:43]
	s_waitcnt lgkmcnt(2)
	ds_bpermute_b32 v116, v98, v108
	s_waitcnt lgkmcnt(2)
	ds_bpermute_b32 v88, v98, v86
	s_waitcnt lgkmcnt(2)
	ds_bpermute_b32 v89, v98, v87
	v_cmp_le_u32_e32 vcc, v99, v109
	;; [unrolled: 20-line block ×5, first 2 shown]
	s_and_saveexec_b64 s[42:43], vcc
	s_cbranch_execz .LBB80_160
; %bb.177:                              ;   in Loop: Header=BB80_161 Depth=1
	s_waitcnt lgkmcnt(2)
	v_add_u32_e32 v109, v116, v108
	s_waitcnt lgkmcnt(0)
	v_add_f64 v[88:89], v[86:87], v[88:89]
	v_cmp_eq_u32_e32 vcc, 0, v108
	v_cndmask_b32_e32 v87, v87, v89, vcc
	v_cndmask_b32_e32 v86, v86, v88, vcc
	v_mov_b32_e32 v108, v109
	s_branch .LBB80_160
.LBB80_178:                             ;   in Loop: Header=BB80_161 Depth=1
                                        ; implicit-def: $vgpr86_vgpr87
                                        ; implicit-def: $vgpr89
                                        ; implicit-def: $vgpr93
	s_cbranch_execz .LBB80_161
; %bb.179:
	s_and_saveexec_b64 s[36:37], s[28:29]
	s_cbranch_execz .LBB80_181
; %bb.180:
	s_mov_b32 s43, 0
	s_add_i32 s42, s56, 64
	s_lshl_b64 s[48:49], s[42:43], 4
	v_add_f64 v[80:81], v[78:79], v[84:85]
	v_cmp_eq_u32_e32 vcc, 0, v92
	s_add_u32 s48, s38, s48
	v_add_u32_e32 v82, v106, v92
	v_cndmask_b32_e32 v81, v79, v81, vcc
	v_cndmask_b32_e32 v80, v78, v80, vcc
	s_addc_u32 s49, s39, s49
	v_mov_b32_e32 v83, 0
	global_store_dword v83, v82, s[48:49]
	global_store_dwordx2 v83, v[80:81], s[48:49] offset:8
	v_mov_b32_e32 v80, s42
	v_mov_b32_e32 v81, 2
	s_waitcnt vmcnt(0)
	buffer_wbinvl1_vol
	global_store_byte v80, v81, s[40:41]
	ds_write_b32 v83, v92 offset:4096
	ds_write_b64 v83, v[78:79] offset:4104
	ds_write_b32 v83, v106 offset:4112
	ds_write_b64 v83, v[84:85] offset:4120
.LBB80_181:
	s_or_b64 exec, exec, s[36:37]
	s_and_b64 exec, exec, s[0:1]
	s_cbranch_execz .LBB80_183
; %bb.182:
	v_mov_b32_e32 v78, 0
	ds_write_b32 v78, v106 offset:4176
	ds_write_b64 v78, v[84:85] offset:4184
.LBB80_183:
	s_or_b64 exec, exec, s[34:35]
	v_mov_b32_e32 v82, 0
	s_waitcnt lgkmcnt(0)
	s_barrier
	ds_read_b64 v[78:79], v82 offset:4184
	ds_read_b32 v83, v82 offset:4176
	v_cndmask_b32_e64 v77, v91, v77, s[28:29]
	v_cndmask_b32_e64 v76, v90, v76, s[28:29]
	;; [unrolled: 1-line block ×3, first 2 shown]
	s_waitcnt lgkmcnt(1)
	v_add_f64 v[80:81], v[76:77], v[78:79]
	v_cmp_eq_u32_e32 vcc, 0, v60
	v_cndmask_b32_e32 v76, v76, v80, vcc
	v_cndmask_b32_e32 v77, v77, v81, vcc
	v_cndmask_b32_e64 v109, v77, v79, s[0:1]
	v_cndmask_b32_e64 v108, v76, v78, s[0:1]
	v_add_f64 v[76:77], v[50:51], v[108:109]
	v_cmp_eq_u32_e32 vcc, 0, v64
	v_cndmask_b32_e32 v107, v51, v77, vcc
	v_cndmask_b32_e32 v106, v50, v76, vcc
	v_add_f64 v[76:77], v[54:55], v[106:107]
	v_cndmask_b32_e64 v105, v55, v77, s[26:27]
	v_cndmask_b32_e64 v104, v54, v76, s[26:27]
	v_add_f64 v[76:77], v[52:53], v[104:105]
	v_cndmask_b32_e64 v103, v53, v77, s[24:25]
	v_cndmask_b32_e64 v102, v52, v76, s[24:25]
	;; [unrolled: 3-line block ×10, first 2 shown]
	v_cndmask_b32_e64 v86, v40, v76, s[8:9]
	s_waitcnt lgkmcnt(0)
	v_add_u32_e32 v74, v83, v60
	v_add_f64 v[76:77], v[36:37], v[86:87]
	s_barrier
	ds_read_b32 v60, v82 offset:4096
	ds_read_b64 v[116:117], v82 offset:4104
	ds_read_b32 v78, v82 offset:4112
	ds_read_b64 v[118:119], v82 offset:4120
	v_cndmask_b32_e64 v85, v37, v77, s[6:7]
	v_cndmask_b32_e64 v84, v36, v76, s[6:7]
	v_add_f64 v[76:77], v[30:31], v[84:85]
	v_cndmask_b32_e64 v83, v31, v77, s[4:5]
	v_cndmask_b32_e64 v82, v30, v76, s[4:5]
	v_add_f64 v[76:77], v[72:73], v[82:83]
	v_cndmask_b32_e64 v81, v73, v77, s[2:3]
	v_cndmask_b32_e64 v80, v72, v76, s[2:3]
	s_waitcnt lgkmcnt(0)
	v_add_f64 v[76:77], v[118:119], v[116:117]
	v_cmp_eq_u32_e32 vcc, 0, v60
	v_cndmask_b32_e32 v77, v117, v77, vcc
	v_cndmask_b32_e32 v76, v116, v76, vcc
	s_branch .LBB80_212
.LBB80_184:
                                        ; implicit-def: $vgpr60
                                        ; implicit-def: $vgpr76_vgpr77
                                        ; implicit-def: $vgpr78
                                        ; implicit-def: $vgpr108_vgpr109
                                        ; implicit-def: $vgpr106_vgpr107
                                        ; implicit-def: $vgpr104_vgpr105
                                        ; implicit-def: $vgpr102_vgpr103
                                        ; implicit-def: $vgpr100_vgpr101
                                        ; implicit-def: $vgpr98_vgpr99
                                        ; implicit-def: $vgpr96_vgpr97
                                        ; implicit-def: $vgpr94_vgpr95
                                        ; implicit-def: $vgpr92_vgpr93
                                        ; implicit-def: $vgpr90_vgpr91
                                        ; implicit-def: $vgpr88_vgpr89
                                        ; implicit-def: $vgpr86_vgpr87
                                        ; implicit-def: $vgpr84_vgpr85
                                        ; implicit-def: $vgpr82_vgpr83
                                        ; implicit-def: $vgpr80_vgpr81
                                        ; implicit-def: $vgpr74
	s_cbranch_execz .LBB80_212
; %bb.185:
	s_and_b64 s[2:3], s[30:31], exec
	s_cselect_b32 s3, 0, s65
	s_cselect_b32 s2, 0, s64
	s_cmp_eq_u64 s[2:3], 0
	v_pk_mov_b32 v[78:79], v[50:51], v[50:51] op_sel:[0,1]
	s_cbranch_scc1 .LBB80_187
; %bb.186:
	v_mov_b32_e32 v60, 0
	global_load_dwordx2 v[78:79], v60, s[2:3]
.LBB80_187:
	v_cmp_eq_u32_e32 vcc, 0, v75
	v_cndmask_b32_e32 v77, v55, v111, vcc
	v_cndmask_b32_e32 v76, v54, v110, vcc
	v_add_f64 v[76:77], v[52:53], v[76:77]
	v_cmp_eq_u32_e64 s[2:3], 0, v70
	v_cndmask_b32_e64 v77, v53, v77, s[2:3]
	v_cndmask_b32_e64 v76, v52, v76, s[2:3]
	v_add_f64 v[76:77], v[56:57], v[76:77]
	v_cmp_eq_u32_e64 s[4:5], 0, v71
	v_cndmask_b32_e64 v77, v57, v77, s[4:5]
	v_cndmask_b32_e64 v76, v56, v76, s[4:5]
	;; [unrolled: 4-line block ×10, first 2 shown]
	v_add3_u32 v60, v115, v69, v66
	v_add_f64 v[76:77], v[30:31], v[76:77]
	v_cmp_eq_u32_e64 s[18:19], 0, v112
	v_add3_u32 v60, v60, v67, v62
	v_cndmask_b32_e64 v77, v31, v77, s[18:19]
	v_cndmask_b32_e64 v76, v30, v76, s[18:19]
	v_add3_u32 v60, v60, v63, v113
	v_add_f64 v[76:77], v[72:73], v[76:77]
	v_cmp_eq_u32_e64 s[22:23], 0, v65
	v_add3_u32 v60, v60, v61, v112
	v_cndmask_b32_e64 v77, v73, v77, s[22:23]
	v_cndmask_b32_e64 v76, v72, v76, s[22:23]
	v_add3_u32 v74, v60, v65, v1
	v_add_f64 v[76:77], v[32:33], v[76:77]
	v_cmp_eq_u32_e64 s[26:27], 0, v1
	v_mbcnt_hi_u32_b32 v60, -1, v114
	v_cndmask_b32_e64 v33, v33, v77, s[26:27]
	v_cndmask_b32_e64 v32, v32, v76, s[26:27]
	s_waitcnt vmcnt(0) lgkmcnt(0)
	v_and_b32_e32 v80, 15, v60
	v_mov_b32_dpp v81, v74 row_shr:1 row_mask:0xf bank_mask:0xf
	v_mov_b32_dpp v76, v32 row_shr:1 row_mask:0xf bank_mask:0xf
	;; [unrolled: 1-line block ×3, first 2 shown]
	v_cmp_ne_u32_e64 s[26:27], 0, v80
	s_and_saveexec_b64 s[28:29], s[26:27]
; %bb.188:
	v_add_u32_e32 v81, v81, v74
	v_add_f64 v[76:77], v[32:33], v[76:77]
	v_cmp_eq_u32_e64 s[26:27], 0, v74
	v_cndmask_b32_e64 v33, v33, v77, s[26:27]
	v_cndmask_b32_e64 v32, v32, v76, s[26:27]
	v_mov_b32_e32 v74, v81
; %bb.189:
	s_or_b64 exec, exec, s[28:29]
	s_nop 0
	v_mov_b32_dpp v81, v74 row_shr:2 row_mask:0xf bank_mask:0xf
	v_mov_b32_dpp v76, v32 row_shr:2 row_mask:0xf bank_mask:0xf
	v_mov_b32_dpp v77, v33 row_shr:2 row_mask:0xf bank_mask:0xf
	v_cmp_lt_u32_e64 s[26:27], 1, v80
	s_and_saveexec_b64 s[28:29], s[26:27]
; %bb.190:
	v_add_u32_e32 v81, v81, v74
	v_add_f64 v[76:77], v[32:33], v[76:77]
	v_cmp_eq_u32_e64 s[26:27], 0, v74
	v_cndmask_b32_e64 v33, v33, v77, s[26:27]
	v_cndmask_b32_e64 v32, v32, v76, s[26:27]
	v_mov_b32_e32 v74, v81
; %bb.191:
	s_or_b64 exec, exec, s[28:29]
	s_nop 0
	v_mov_b32_dpp v81, v74 row_shr:4 row_mask:0xf bank_mask:0xf
	v_mov_b32_dpp v76, v32 row_shr:4 row_mask:0xf bank_mask:0xf
	v_mov_b32_dpp v77, v33 row_shr:4 row_mask:0xf bank_mask:0xf
	v_cmp_lt_u32_e64 s[26:27], 3, v80
	;; [unrolled: 15-line block ×3, first 2 shown]
	s_and_saveexec_b64 s[28:29], s[26:27]
; %bb.194:
	v_add_u32_e32 v80, v81, v74
	v_add_f64 v[76:77], v[32:33], v[76:77]
	v_cmp_eq_u32_e64 s[26:27], 0, v74
	v_cndmask_b32_e64 v33, v33, v77, s[26:27]
	v_cndmask_b32_e64 v32, v32, v76, s[26:27]
	v_mov_b32_e32 v74, v80
; %bb.195:
	s_or_b64 exec, exec, s[28:29]
	v_and_b32_e32 v81, 16, v60
	v_mov_b32_dpp v80, v74 row_bcast:15 row_mask:0xf bank_mask:0xf
	v_mov_b32_dpp v76, v32 row_bcast:15 row_mask:0xf bank_mask:0xf
	v_mov_b32_dpp v77, v33 row_bcast:15 row_mask:0xf bank_mask:0xf
	v_cmp_ne_u32_e64 s[26:27], 0, v81
	s_and_saveexec_b64 s[28:29], s[26:27]
; %bb.196:
	v_add_u32_e32 v80, v80, v74
	v_add_f64 v[76:77], v[32:33], v[76:77]
	v_cmp_eq_u32_e64 s[26:27], 0, v74
	v_cndmask_b32_e64 v33, v33, v77, s[26:27]
	v_cndmask_b32_e64 v32, v32, v76, s[26:27]
	v_mov_b32_e32 v74, v80
; %bb.197:
	s_or_b64 exec, exec, s[28:29]
	s_nop 0
	v_mov_b32_dpp v80, v74 row_bcast:31 row_mask:0xf bank_mask:0xf
	v_mov_b32_dpp v76, v32 row_bcast:31 row_mask:0xf bank_mask:0xf
	v_mov_b32_dpp v77, v33 row_bcast:31 row_mask:0xf bank_mask:0xf
	v_cmp_lt_u32_e64 s[26:27], 31, v60
	s_and_saveexec_b64 s[28:29], s[26:27]
; %bb.198:
	v_add_u32_e32 v80, v80, v74
	v_add_f64 v[76:77], v[32:33], v[76:77]
	v_cmp_eq_u32_e64 s[26:27], 0, v74
	v_cndmask_b32_e64 v33, v33, v77, s[26:27]
	v_cndmask_b32_e64 v32, v32, v76, s[26:27]
	v_mov_b32_e32 v74, v80
; %bb.199:
	s_or_b64 exec, exec, s[28:29]
	v_lshrrev_b32_e32 v76, 6, v0
	v_or_b32_e32 v77, 63, v0
	v_cmp_eq_u32_e64 s[26:27], v77, v0
	v_lshlrev_b32_e32 v82, 4, v76
	s_and_saveexec_b64 s[28:29], s[26:27]
	s_cbranch_execz .LBB80_201
; %bb.200:
	ds_write_b32 v82, v74 offset:4128
	ds_write_b64 v82, v[32:33] offset:4136
.LBB80_201:
	s_or_b64 exec, exec, s[28:29]
	v_cmp_gt_u32_e64 s[26:27], 4, v0
	s_waitcnt lgkmcnt(0)
	s_barrier
	s_and_saveexec_b64 s[28:29], s[26:27]
	s_cbranch_execz .LBB80_207
; %bb.202:
	v_lshlrev_b32_e32 v83, 4, v0
	ds_read_b32 v84, v83 offset:4128
	ds_read_b64 v[76:77], v83 offset:4136
	v_and_b32_e32 v85, 3, v60
	v_cmp_ne_u32_e64 s[26:27], 0, v85
	s_waitcnt lgkmcnt(1)
	v_mov_b32_dpp v86, v84 row_shr:1 row_mask:0xf bank_mask:0xf
	s_waitcnt lgkmcnt(0)
	v_mov_b32_dpp v80, v76 row_shr:1 row_mask:0xf bank_mask:0xf
	v_mov_b32_dpp v81, v77 row_shr:1 row_mask:0xf bank_mask:0xf
	s_and_saveexec_b64 s[34:35], s[26:27]
; %bb.203:
	v_add_u32_e32 v86, v86, v84
	v_add_f64 v[80:81], v[76:77], v[80:81]
	v_cmp_eq_u32_e64 s[26:27], 0, v84
	v_cndmask_b32_e64 v77, v77, v81, s[26:27]
	v_cndmask_b32_e64 v76, v76, v80, s[26:27]
	v_mov_b32_e32 v84, v86
; %bb.204:
	s_or_b64 exec, exec, s[34:35]
	s_nop 0
	v_mov_b32_dpp v86, v84 row_shr:2 row_mask:0xf bank_mask:0xf
	v_mov_b32_dpp v80, v76 row_shr:2 row_mask:0xf bank_mask:0xf
	;; [unrolled: 1-line block ×3, first 2 shown]
	v_cmp_lt_u32_e64 s[26:27], 1, v85
	s_and_saveexec_b64 s[34:35], s[26:27]
; %bb.205:
	v_add_u32_e32 v85, v86, v84
	v_add_f64 v[80:81], v[76:77], v[80:81]
	v_cmp_eq_u32_e64 s[26:27], 0, v84
	v_cndmask_b32_e64 v77, v77, v81, s[26:27]
	v_cndmask_b32_e64 v76, v76, v80, s[26:27]
	v_mov_b32_e32 v84, v85
; %bb.206:
	s_or_b64 exec, exec, s[34:35]
	ds_write_b32 v83, v84 offset:4128
	ds_write_b64 v83, v[76:77] offset:4136
.LBB80_207:
	s_or_b64 exec, exec, s[28:29]
	v_cmp_lt_u32_e64 s[26:27], 63, v0
	v_mov_b32_e32 v80, 0
	v_mov_b32_e32 v81, 0
	v_pk_mov_b32 v[76:77], v[78:79], v[78:79] op_sel:[0,1]
	s_waitcnt lgkmcnt(0)
	s_barrier
	s_and_saveexec_b64 s[28:29], s[26:27]
	s_cbranch_execz .LBB80_209
; %bb.208:
	ds_read_b64 v[76:77], v82 offset:4120
	ds_read_b32 v81, v82 offset:4112
	s_waitcnt lgkmcnt(1)
	v_add_f64 v[82:83], v[78:79], v[76:77]
	s_waitcnt lgkmcnt(0)
	v_cmp_eq_u32_e64 s[26:27], 0, v81
	v_cndmask_b32_e64 v77, v77, v83, s[26:27]
	v_cndmask_b32_e64 v76, v76, v82, s[26:27]
.LBB80_209:
	s_or_b64 exec, exec, s[28:29]
	v_add_f64 v[82:83], v[32:33], v[76:77]
	v_cmp_eq_u32_e64 s[26:27], 0, v74
	v_add_u32_e32 v84, v81, v74
	v_cndmask_b32_e64 v32, v32, v82, s[26:27]
	v_add_u32_e32 v74, -1, v60
	v_and_b32_e32 v82, 64, v60
	v_cndmask_b32_e64 v33, v33, v83, s[26:27]
	v_cmp_lt_i32_e64 s[26:27], v74, v82
	v_cndmask_b32_e64 v74, v74, v60, s[26:27]
	v_lshlrev_b32_e32 v74, 2, v74
	ds_bpermute_b32 v33, v74, v33
	ds_bpermute_b32 v32, v74, v32
	;; [unrolled: 1-line block ×3, first 2 shown]
	v_cmp_eq_u32_e64 s[26:27], 0, v60
	s_waitcnt lgkmcnt(2)
	v_cndmask_b32_e64 v109, v33, v77, s[26:27]
	s_waitcnt lgkmcnt(1)
	v_cndmask_b32_e64 v108, v32, v76, s[26:27]
	v_cndmask_b32_e64 v33, v109, v79, s[0:1]
	v_cndmask_b32_e64 v32, v108, v78, s[0:1]
	s_waitcnt lgkmcnt(0)
	v_cndmask_b32_e64 v74, v82, v81, s[26:27]
	v_add_f64 v[32:33], v[50:51], v[32:33]
	v_cmp_eq_u32_e64 s[26:27], 0, v64
	v_cndmask_b32_e64 v107, v51, v33, s[26:27]
	v_cndmask_b32_e64 v106, v50, v32, s[26:27]
	v_add_f64 v[32:33], v[54:55], v[106:107]
	v_cndmask_b32_e32 v105, v55, v33, vcc
	v_cndmask_b32_e32 v104, v54, v32, vcc
	v_add_f64 v[32:33], v[52:53], v[104:105]
	v_cndmask_b32_e64 v103, v53, v33, s[2:3]
	v_cndmask_b32_e64 v102, v52, v32, s[2:3]
	v_add_f64 v[32:33], v[56:57], v[102:103]
	v_cndmask_b32_e64 v101, v57, v33, s[4:5]
	v_cndmask_b32_e64 v100, v56, v32, s[4:5]
	;; [unrolled: 3-line block ×9, first 2 shown]
	v_add_f64 v[32:33], v[36:37], v[86:87]
	ds_read_b32 v60, v80 offset:4176
	ds_read_b64 v[34:35], v80 offset:4184
	v_cndmask_b32_e64 v85, v37, v33, s[24:25]
	v_cndmask_b32_e64 v84, v36, v32, s[24:25]
	v_add_f64 v[32:33], v[30:31], v[84:85]
	v_cndmask_b32_e64 v83, v31, v33, s[18:19]
	v_cndmask_b32_e64 v82, v30, v32, s[18:19]
	v_add_f64 v[30:31], v[72:73], v[82:83]
	v_cndmask_b32_e64 v81, v73, v31, s[22:23]
	v_cndmask_b32_e64 v80, v72, v30, s[22:23]
	s_waitcnt lgkmcnt(0)
	v_add_f64 v[30:31], v[78:79], v[34:35]
	v_cmp_eq_u32_e32 vcc, 0, v60
	v_cndmask_b32_e32 v77, v35, v31, vcc
	v_cndmask_b32_e32 v76, v34, v30, vcc
	s_and_saveexec_b64 s[2:3], s[0:1]
	s_cbranch_execz .LBB80_211
; %bb.210:
	v_mov_b32_e32 v74, 0
	v_mov_b32_e32 v30, 2
	v_pk_mov_b32 v[108:109], v[78:79], v[78:79] op_sel:[0,1]
	global_store_dword v74, v60, s[38:39] offset:1024
	global_store_dwordx2 v74, v[76:77], s[38:39] offset:1032
	s_waitcnt vmcnt(0)
	buffer_wbinvl1_vol
	global_store_byte v74, v30, s[40:41] offset:64
.LBB80_211:
	s_or_b64 exec, exec, s[2:3]
	v_mov_b32_e32 v78, 0
.LBB80_212:
	s_and_b64 s[2:3], s[30:31], exec
	s_cselect_b32 s3, 0, s51
	s_cselect_b32 s2, 0, s50
	s_cmp_eq_u64 s[2:3], 0
	v_pk_mov_b32 v[30:31], 0, 0
	s_waitcnt lgkmcnt(0)
	s_barrier
	s_cbranch_scc1 .LBB80_214
; %bb.213:
	v_mov_b32_e32 v30, 0
	global_load_dwordx2 v[30:31], v30, s[2:3]
.LBB80_214:
	s_waitcnt vmcnt(0)
	v_lshlrev_b64 v[32:33], 3, v[30:31]
	v_mov_b32_e32 v34, s59
	v_add_co_u32_e32 v50, vcc, s58, v32
	v_mov_b32_e32 v79, 0
	v_addc_co_u32_e32 v51, vcc, v34, v33, vcc
	v_lshlrev_b64 v[34:35], 3, v[78:79]
	v_add_co_u32_e32 v50, vcc, v50, v34
	v_addc_co_u32_e32 v51, vcc, v51, v35, vcc
	v_cmp_eq_u32_e32 vcc, 0, v64
	v_cndmask_b32_e64 v52, 1, 2, vcc
	v_cmp_eq_u32_e32 vcc, 0, v75
	v_cndmask_b32_e64 v53, 1, 2, vcc
	v_cmp_eq_u32_e32 vcc, 0, v70
	v_and_b32_e32 v52, v53, v52
	v_cndmask_b32_e64 v53, 1, 2, vcc
	v_cmp_eq_u32_e32 vcc, 0, v71
	v_add_u32_e32 v49, v74, v64
	v_and_b32_e32 v52, v52, v53
	v_cndmask_b32_e64 v53, 1, 2, vcc
	v_cmp_eq_u32_e32 vcc, 0, v68
	v_add_u32_e32 v48, v49, v75
	;; [unrolled: 4-line block ×12, first 2 shown]
	v_and_b32_e32 v52, v52, v53
	v_cndmask_b32_e64 v53, 1, 2, vcc
	s_movk_i32 s34, 0x100
	v_add_u32_e32 v37, v38, v112
	v_and_b32_e32 v52, v52, v53
	v_cmp_gt_u32_e32 vcc, s34, v60
	v_add_u32_e32 v36, v37, v65
	v_cmp_ne_u32_e64 s[30:31], 0, v64
	v_cmp_ne_u32_e64 s[28:29], 0, v75
	;; [unrolled: 1-line block ×15, first 2 shown]
	s_mov_b64 s[36:37], -1
	v_cmp_gt_i16_e64 s[34:35], 2, v52
	s_cbranch_vccz .LBB80_221
; %bb.215:
	s_and_saveexec_b64 s[36:37], s[34:35]
	s_cbranch_execz .LBB80_220
; %bb.216:
	v_cmp_ne_u16_e32 vcc, 1, v52
	s_mov_b64 s[38:39], 0
	s_and_saveexec_b64 s[34:35], vcc
	s_xor_b64 s[34:35], exec, s[34:35]
	s_cbranch_execnz .LBB80_286
; %bb.217:
	s_andn2_saveexec_b64 s[34:35], s[34:35]
	s_cbranch_execnz .LBB80_302
.LBB80_218:
	s_or_b64 exec, exec, s[34:35]
	s_and_b64 exec, exec, s[38:39]
	s_cbranch_execz .LBB80_220
.LBB80_219:
	v_sub_u32_e32 v54, v36, v78
	v_mov_b32_e32 v55, 0
	v_lshlrev_b64 v[54:55], 3, v[54:55]
	v_add_co_u32_e32 v54, vcc, v50, v54
	v_addc_co_u32_e32 v55, vcc, v51, v55, vcc
	global_store_dwordx2 v[54:55], v[58:59], off
.LBB80_220:
	s_or_b64 exec, exec, s[36:37]
	s_mov_b64 s[36:37], 0
.LBB80_221:
	s_and_b64 vcc, exec, s[36:37]
	s_cbranch_vccz .LBB80_231
; %bb.222:
	v_cmp_gt_i16_e32 vcc, 2, v52
	s_and_saveexec_b64 s[34:35], vcc
	s_cbranch_execz .LBB80_227
; %bb.223:
	v_cmp_ne_u16_e32 vcc, 1, v52
	s_mov_b64 s[38:39], 0
	s_and_saveexec_b64 s[36:37], vcc
	s_xor_b64 s[36:37], exec, s[36:37]
	s_cbranch_execnz .LBB80_303
; %bb.224:
	s_andn2_saveexec_b64 s[2:3], s[36:37]
	s_cbranch_execnz .LBB80_319
.LBB80_225:
	s_or_b64 exec, exec, s[2:3]
	s_and_b64 exec, exec, s[38:39]
	s_cbranch_execz .LBB80_227
.LBB80_226:
	v_sub_u32_e32 v2, v36, v78
	v_lshlrev_b32_e32 v2, 3, v2
	ds_write_b64 v2, v[58:59]
.LBB80_227:
	s_or_b64 exec, exec, s[34:35]
	v_cmp_lt_u32_e32 vcc, v0, v60
	s_waitcnt lgkmcnt(0)
	s_barrier
	s_and_saveexec_b64 s[2:3], vcc
	s_cbranch_execz .LBB80_230
; %bb.228:
	v_lshlrev_b32_e32 v4, 3, v0
	s_mov_b64 s[4:5], 0
	v_mov_b32_e32 v3, 0
	v_mov_b32_e32 v2, v0
.LBB80_229:                             ; =>This Inner Loop Header: Depth=1
	v_lshlrev_b64 v[6:7], 3, v[2:3]
	ds_read_b64 v[8:9], v4
	v_add_co_u32_e32 v6, vcc, v50, v6
	v_add_u32_e32 v2, 0x100, v2
	v_addc_co_u32_e32 v7, vcc, v51, v7, vcc
	v_cmp_ge_u32_e32 vcc, v2, v60
	v_add_u32_e32 v4, 0x800, v4
	s_or_b64 s[4:5], vcc, s[4:5]
	s_waitcnt lgkmcnt(0)
	global_store_dwordx2 v[6:7], v[8:9], off
	s_andn2_b64 exec, exec, s[4:5]
	s_cbranch_execnz .LBB80_229
.LBB80_230:
	s_or_b64 exec, exec, s[2:3]
.LBB80_231:
	s_cmpk_lg_i32 s33, 0xf00
	s_cselect_b64 s[2:3], -1, 0
	v_cndmask_b32_e64 v2, 0, 1, s[46:47]
	s_and_b64 s[2:3], s[2:3], s[44:45]
	v_sub_u32_e32 v3, v60, v2
	v_cndmask_b32_e64 v4, 0, 1, s[2:3]
	s_and_b64 s[0:1], s[0:1], s[46:47]
	v_add_u32_e32 v4, v3, v4
	v_cndmask_b32_e64 v3, v64, 0, s[0:1]
	s_mul_hi_u32 s0, s33, 0x88888889
	s_lshr_b32 s0, s0, 3
	v_mad_i32_i24 v5, v0, -15, s33
	v_cmp_eq_u32_e32 vcc, s0, v0
	v_cmp_ne_u32_e64 s[0:1], 0, v5
	v_cndmask_b32_e64 v6, 1, v3, s[0:1]
	v_cmp_ne_u32_e64 s[0:1], 1, v5
	v_cndmask_b32_e64 v7, 1, v75, s[0:1]
	;; [unrolled: 2-line block ×15, first 2 shown]
	s_and_b64 vcc, vcc, s[44:45]
	v_cndmask_b32_e32 v20, v1, v5, vcc
	v_cndmask_b32_e32 v19, v65, v19, vcc
	;; [unrolled: 1-line block ×15, first 2 shown]
	v_mov_b32_e32 v1, s61
	v_add_co_u32_e32 v5, vcc, s60, v32
	v_addc_co_u32_e32 v6, vcc, v1, v33, vcc
	v_add_co_u32_e32 v1, vcc, v5, v34
	v_addc_co_u32_e32 v5, vcc, v6, v35, vcc
	v_lshlrev_b32_e32 v6, 3, v2
	v_add_co_u32_e32 v6, vcc, v6, v1
	v_addc_co_u32_e32 v7, vcc, 0, v5, vcc
	v_add_co_u32_e32 v6, vcc, -8, v6
	v_addc_co_u32_e32 v7, vcc, -1, v7, vcc
	v_cmp_eq_u32_e32 vcc, 0, v3
	v_cmp_ne_u32_e64 s[28:29], 0, v3
	v_cndmask_b32_e64 v3, 1, 2, vcc
	v_cmp_eq_u32_e32 vcc, 0, v21
	v_cmp_ne_u32_e64 s[26:27], 0, v21
	v_cndmask_b32_e64 v21, 1, 2, vcc
	v_cmp_eq_u32_e32 vcc, 0, v8
	v_and_b32_e32 v3, v21, v3
	v_cmp_ne_u32_e64 s[24:25], 0, v8
	v_cndmask_b32_e64 v8, 1, 2, vcc
	v_cmp_eq_u32_e32 vcc, 0, v9
	v_and_b32_e32 v3, v3, v8
	v_cndmask_b32_e64 v8, 1, 2, vcc
	v_cmp_eq_u32_e32 vcc, 0, v10
	v_and_b32_e32 v3, v3, v8
	;; [unrolled: 3-line block ×12, first 2 shown]
	v_cndmask_b32_e64 v8, 1, 2, vcc
	s_movk_i32 s30, 0x100
	v_and_b32_e32 v3, v3, v8
	v_cmp_gt_u32_e32 vcc, s30, v4
	v_add_u32_e32 v2, v78, v2
	v_cmp_ne_u32_e64 s[22:23], 0, v9
	v_cmp_ne_u32_e64 s[20:21], 0, v10
	;; [unrolled: 1-line block ×12, first 2 shown]
	s_mov_b64 s[34:35], -1
	v_cmp_gt_i16_e64 s[30:31], 2, v3
	s_barrier
	s_cbranch_vccz .LBB80_238
; %bb.232:
	s_and_saveexec_b64 s[34:35], s[30:31]
	s_cbranch_execz .LBB80_237
; %bb.233:
	v_cmp_ne_u16_e32 vcc, 1, v3
	s_mov_b64 s[36:37], 0
	s_and_saveexec_b64 s[30:31], vcc
	s_xor_b64 s[30:31], exec, s[30:31]
	s_cbranch_execnz .LBB80_320
; %bb.234:
	s_andn2_saveexec_b64 s[30:31], s[30:31]
	s_cbranch_execnz .LBB80_336
.LBB80_235:
	s_or_b64 exec, exec, s[30:31]
	s_and_b64 exec, exec, s[36:37]
	s_cbranch_execz .LBB80_237
.LBB80_236:
	v_sub_u32_e32 v8, v36, v2
	v_mov_b32_e32 v9, 0
	v_lshlrev_b64 v[8:9], 3, v[8:9]
	v_add_co_u32_e32 v8, vcc, v6, v8
	v_addc_co_u32_e32 v9, vcc, v7, v9, vcc
	global_store_dwordx2 v[8:9], v[80:81], off
.LBB80_237:
	s_or_b64 exec, exec, s[34:35]
	s_mov_b64 s[34:35], 0
.LBB80_238:
	s_and_b64 vcc, exec, s[34:35]
	s_cbranch_vccz .LBB80_248
; %bb.239:
	v_cmp_gt_i16_e32 vcc, 2, v3
	s_and_saveexec_b64 s[30:31], vcc
	s_cbranch_execz .LBB80_244
; %bb.240:
	v_cmp_ne_u16_e32 vcc, 1, v3
	s_mov_b64 s[36:37], 0
	s_and_saveexec_b64 s[34:35], vcc
	s_xor_b64 s[34:35], exec, s[34:35]
	s_cbranch_execnz .LBB80_337
; %bb.241:
	s_andn2_saveexec_b64 s[0:1], s[34:35]
	s_cbranch_execnz .LBB80_353
.LBB80_242:
	s_or_b64 exec, exec, s[0:1]
	s_and_b64 exec, exec, s[36:37]
	s_cbranch_execz .LBB80_244
.LBB80_243:
	v_sub_u32_e32 v2, v36, v2
	v_lshlrev_b32_e32 v2, 3, v2
	ds_write_b64 v2, v[80:81]
.LBB80_244:
	s_or_b64 exec, exec, s[30:31]
	v_cmp_lt_u32_e32 vcc, v0, v4
	s_waitcnt lgkmcnt(0)
	s_barrier
	s_and_saveexec_b64 s[0:1], vcc
	s_cbranch_execz .LBB80_247
; %bb.245:
	v_lshlrev_b32_e32 v8, 3, v0
	s_mov_b64 s[2:3], 0
	v_mov_b32_e32 v3, 0
	v_mov_b32_e32 v2, v0
.LBB80_246:                             ; =>This Inner Loop Header: Depth=1
	v_lshlrev_b64 v[10:11], 3, v[2:3]
	ds_read_b64 v[12:13], v8
	v_add_co_u32_e32 v10, vcc, v6, v10
	v_add_u32_e32 v2, 0x100, v2
	v_addc_co_u32_e32 v11, vcc, v7, v11, vcc
	v_cmp_ge_u32_e32 vcc, v2, v4
	v_add_u32_e32 v8, 0x800, v8
	s_or_b64 s[2:3], vcc, s[2:3]
	s_waitcnt lgkmcnt(0)
	global_store_dwordx2 v[10:11], v[12:13], off
	s_andn2_b64 exec, exec, s[2:3]
	s_cbranch_execnz .LBB80_246
.LBB80_247:
	s_or_b64 exec, exec, s[0:1]
.LBB80_248:
	s_movk_i32 s0, 0xff
	v_cmp_eq_u32_e32 vcc, s0, v0
	s_and_b64 s[0:1], vcc, s[44:45]
	s_and_saveexec_b64 s[2:3], s[0:1]
	s_cbranch_execz .LBB80_251
; %bb.249:
	v_add_co_u32_e32 v0, vcc, v60, v78
	v_addc_co_u32_e64 v3, s[0:1], 0, 0, vcc
	v_add_co_u32_e32 v2, vcc, v0, v30
	v_mov_b32_e32 v61, 0
	v_addc_co_u32_e32 v3, vcc, v3, v31, vcc
	s_cmpk_lg_i32 s33, 0xf00
	global_store_dwordx2 v61, v[2:3], s[62:63]
	s_cbranch_scc1 .LBB80_251
; %bb.250:
	v_lshlrev_b64 v[2:3], 3, v[60:61]
	v_add_co_u32_e32 v0, vcc, v1, v2
	v_addc_co_u32_e32 v1, vcc, v5, v3, vcc
	global_store_dwordx2 v[0:1], v[76:77], off offset:-8
.LBB80_251:
	s_endpgm
.LBB80_252:
                                        ; implicit-def: $sgpr8_sgpr9
                                        ; implicit-def: $vgpr1
                                        ; implicit-def: $vgpr79
                                        ; implicit-def: $vgpr112
                                        ; implicit-def: $vgpr61
                                        ; implicit-def: $vgpr113
                                        ; implicit-def: $vgpr63
                                        ; implicit-def: $vgpr62
                                        ; implicit-def: $vgpr67
                                        ; implicit-def: $vgpr66
                                        ; implicit-def: $vgpr69
                                        ; implicit-def: $vgpr68
                                        ; implicit-def: $vgpr71
                                        ; implicit-def: $vgpr70
                                        ; implicit-def: $vgpr75
	s_cbranch_execz .LBB80_114
.LBB80_253:
	v_mov_b32_e32 v65, 0
	v_lshlrev_b32_e32 v78, 3, v0
	v_cmp_gt_u64_e32 vcc, s[6:7], v[64:65]
	v_mov_b32_e32 v1, 0
	ds_write_b64 v78, v[58:59]
	s_and_saveexec_b64 s[8:9], vcc
	s_cbranch_execz .LBB80_255
; %bb.254:
	v_cvt_i32_f64_e32 v60, v[4:5]
	s_mov_b32 s10, 0x66666667
	v_cvt_i32_f64_e32 v1, v[58:59]
	v_mul_hi_i32 v60, v60, s10
	v_lshrrev_b32_e32 v61, 31, v60
	v_ashrrev_i32_e32 v60, 2, v60
	v_mul_hi_i32 v1, v1, s10
	v_add_u32_e32 v60, v60, v61
	v_lshrrev_b32_e32 v61, 31, v1
	v_ashrrev_i32_e32 v1, 2, v1
	v_add_u32_e32 v1, v1, v61
	v_cmp_ne_u32_e32 vcc, v60, v1
	v_cndmask_b32_e64 v1, 0, 1, vcc
.LBB80_255:
	s_or_b64 exec, exec, s[8:9]
	v_add_u32_e32 v64, 13, v76
	v_cmp_gt_u64_e32 vcc, s[6:7], v[64:65]
	s_and_saveexec_b64 s[8:9], vcc
	s_cbranch_execz .LBB80_257
; %bb.256:
	v_cvt_i32_f64_e32 v61, v[2:3]
	s_mov_b32 s10, 0x66666667
	v_cvt_i32_f64_e32 v60, v[4:5]
	v_mul_hi_i32 v61, v61, s10
	v_lshrrev_b32_e32 v62, 31, v61
	v_ashrrev_i32_e32 v61, 2, v61
	v_mul_hi_i32 v60, v60, s10
	v_add_u32_e32 v61, v61, v62
	v_lshrrev_b32_e32 v62, 31, v60
	v_ashrrev_i32_e32 v60, 2, v60
	v_add_u32_e32 v60, v60, v62
	v_cmp_ne_u32_e32 vcc, v61, v60
	v_cndmask_b32_e64 v65, 0, 1, vcc
.LBB80_257:
	s_or_b64 exec, exec, s[8:9]
	v_add_u32_e32 v60, 12, v76
	v_mov_b32_e32 v61, 0
	v_cmp_gt_u64_e32 vcc, s[6:7], v[60:61]
	v_mov_b32_e32 v112, 0
	s_and_saveexec_b64 s[8:9], vcc
	s_cbranch_execz .LBB80_259
; %bb.258:
	v_cvt_i32_f64_e32 v62, v[8:9]
	s_mov_b32 s10, 0x66666667
	v_cvt_i32_f64_e32 v60, v[2:3]
	v_mul_hi_i32 v62, v62, s10
	v_lshrrev_b32_e32 v63, 31, v62
	v_ashrrev_i32_e32 v62, 2, v62
	v_mul_hi_i32 v60, v60, s10
	v_add_u32_e32 v62, v62, v63
	v_lshrrev_b32_e32 v63, 31, v60
	v_ashrrev_i32_e32 v60, 2, v60
	v_add_u32_e32 v60, v60, v63
	v_cmp_ne_u32_e32 vcc, v62, v60
	v_cndmask_b32_e64 v112, 0, 1, vcc
.LBB80_259:
	s_or_b64 exec, exec, s[8:9]
	v_add_u32_e32 v60, 11, v76
	v_cmp_gt_u64_e32 vcc, s[6:7], v[60:61]
	s_and_saveexec_b64 s[8:9], vcc
	s_cbranch_execz .LBB80_261
; %bb.260:
	v_cvt_i32_f64_e32 v61, v[6:7]
	s_mov_b32 s10, 0x66666667
	v_cvt_i32_f64_e32 v60, v[8:9]
	v_mul_hi_i32 v61, v61, s10
	v_lshrrev_b32_e32 v62, 31, v61
	v_ashrrev_i32_e32 v61, 2, v61
	v_mul_hi_i32 v60, v60, s10
	v_add_u32_e32 v61, v61, v62
	v_lshrrev_b32_e32 v62, 31, v60
	v_ashrrev_i32_e32 v60, 2, v60
	v_add_u32_e32 v60, v60, v62
	v_cmp_ne_u32_e32 vcc, v61, v60
	v_cndmask_b32_e64 v61, 0, 1, vcc
.LBB80_261:
	s_or_b64 exec, exec, s[8:9]
	v_add_u32_e32 v62, 10, v76
	v_mov_b32_e32 v63, 0
	v_cmp_gt_u64_e32 vcc, s[6:7], v[62:63]
	v_mov_b32_e32 v113, 0
	;; [unrolled: 42-line block ×6, first 2 shown]
	s_and_saveexec_b64 s[8:9], vcc
	s_cbranch_execz .LBB80_279
; %bb.278:
	v_cvt_i32_f64_e32 v64, v[28:29]
	s_mov_b32 s10, 0x66666667
	v_cvt_i32_f64_e32 v60, v[22:23]
	v_mul_hi_i32 v64, v64, s10
	v_lshrrev_b32_e32 v70, 31, v64
	v_ashrrev_i32_e32 v64, 2, v64
	v_mul_hi_i32 v60, v60, s10
	v_add_u32_e32 v64, v64, v70
	v_lshrrev_b32_e32 v70, 31, v60
	v_ashrrev_i32_e32 v60, 2, v60
	v_add_u32_e32 v60, v60, v70
	v_cmp_ne_u32_e32 vcc, v64, v60
	v_cndmask_b32_e64 v70, 0, 1, vcc
.LBB80_279:
	s_or_b64 exec, exec, s[8:9]
	v_add_u32_e32 v74, 1, v76
	v_cmp_gt_u64_e32 vcc, s[6:7], v[74:75]
	s_and_saveexec_b64 s[8:9], vcc
	s_cbranch_execz .LBB80_281
; %bb.280:
	v_cvt_i32_f64_e32 v64, v[26:27]
	s_mov_b32 s10, 0x66666667
	v_cvt_i32_f64_e32 v60, v[28:29]
	v_mul_hi_i32 v64, v64, s10
	v_lshrrev_b32_e32 v74, 31, v64
	v_ashrrev_i32_e32 v64, 2, v64
	v_mul_hi_i32 v60, v60, s10
	v_add_u32_e32 v64, v64, v74
	v_lshrrev_b32_e32 v74, 31, v60
	v_ashrrev_i32_e32 v60, 2, v60
	v_add_u32_e32 v60, v60, v74
	v_cmp_ne_u32_e32 vcc, v64, v60
	v_cndmask_b32_e64 v75, 0, 1, vcc
.LBB80_281:
	s_or_b64 exec, exec, s[8:9]
	s_waitcnt lgkmcnt(0)
	s_barrier
	s_waitcnt lgkmcnt(0)
                                        ; implicit-def: $sgpr8_sgpr9
	s_and_saveexec_b64 s[10:11], s[2:3]
	s_cbranch_execz .LBB80_285
; %bb.282:
	v_mov_b32_e32 v77, 0
	v_cmp_gt_u64_e32 vcc, s[6:7], v[76:77]
	s_mov_b64 s[6:7], 0
	s_and_saveexec_b64 s[2:3], vcc
	s_cbranch_execz .LBB80_284
; %bb.283:
	v_add_u32_e32 v60, -8, v78
	ds_read_b64 v[76:77], v60
	s_mov_b32 s6, 0x66666667
	v_cvt_i32_f64_e32 v60, v[26:27]
	v_mul_hi_i32 v60, v60, s6
	s_waitcnt lgkmcnt(0)
	v_cvt_i32_f64_e32 v64, v[76:77]
	v_mul_hi_i32 v64, v64, s6
	v_lshrrev_b32_e32 v74, 31, v64
	v_ashrrev_i32_e32 v64, 2, v64
	v_add_u32_e32 v64, v64, v74
	v_lshrrev_b32_e32 v74, 31, v60
	v_ashrrev_i32_e32 v60, 2, v60
	v_add_u32_e32 v60, v60, v74
	v_cmp_ne_u32_e32 vcc, v64, v60
	s_and_b64 s[6:7], vcc, exec
.LBB80_284:
	s_or_b64 exec, exec, s[2:3]
	s_and_b64 s[8:9], s[6:7], exec
	s_or_b64 s[4:5], s[4:5], exec
.LBB80_285:
	s_or_b64 exec, exec, s[10:11]
	s_mov_b32 s10, 1
	v_mov_b32_e32 v79, v65
	v_mov_b32_e32 v64, s10
	s_and_saveexec_b64 s[2:3], s[4:5]
	s_cbranch_execnz .LBB80_116
	s_branch .LBB80_117
.LBB80_286:
	s_and_saveexec_b64 s[38:39], s[30:31]
	s_cbranch_execnz .LBB80_354
; %bb.287:
	s_or_b64 exec, exec, s[38:39]
	s_and_saveexec_b64 s[38:39], s[28:29]
	s_cbranch_execnz .LBB80_355
.LBB80_288:
	s_or_b64 exec, exec, s[38:39]
	s_and_saveexec_b64 s[38:39], s[26:27]
	s_cbranch_execnz .LBB80_356
.LBB80_289:
	s_or_b64 exec, exec, s[38:39]
	s_and_saveexec_b64 s[38:39], s[24:25]
	s_cbranch_execnz .LBB80_357
.LBB80_290:
	s_or_b64 exec, exec, s[38:39]
	s_and_saveexec_b64 s[38:39], s[22:23]
	s_cbranch_execnz .LBB80_358
.LBB80_291:
	s_or_b64 exec, exec, s[38:39]
	s_and_saveexec_b64 s[38:39], s[20:21]
	s_cbranch_execnz .LBB80_359
.LBB80_292:
	s_or_b64 exec, exec, s[38:39]
	s_and_saveexec_b64 s[38:39], s[18:19]
	s_cbranch_execnz .LBB80_360
.LBB80_293:
	s_or_b64 exec, exec, s[38:39]
	s_and_saveexec_b64 s[38:39], s[16:17]
	s_cbranch_execnz .LBB80_361
.LBB80_294:
	s_or_b64 exec, exec, s[38:39]
	s_and_saveexec_b64 s[38:39], s[14:15]
	s_cbranch_execnz .LBB80_362
.LBB80_295:
	s_or_b64 exec, exec, s[38:39]
	s_and_saveexec_b64 s[38:39], s[12:13]
	s_cbranch_execnz .LBB80_363
.LBB80_296:
	s_or_b64 exec, exec, s[38:39]
	s_and_saveexec_b64 s[38:39], s[10:11]
	s_cbranch_execnz .LBB80_364
.LBB80_297:
	s_or_b64 exec, exec, s[38:39]
	s_and_saveexec_b64 s[38:39], s[8:9]
	s_cbranch_execnz .LBB80_365
.LBB80_298:
	s_or_b64 exec, exec, s[38:39]
	s_and_saveexec_b64 s[38:39], s[6:7]
	s_cbranch_execnz .LBB80_366
.LBB80_299:
	s_or_b64 exec, exec, s[38:39]
	s_and_saveexec_b64 s[38:39], s[4:5]
	s_cbranch_execz .LBB80_301
.LBB80_300:
	v_sub_u32_e32 v54, v37, v78
	v_mov_b32_e32 v55, 0
	v_lshlrev_b64 v[54:55], 3, v[54:55]
	v_add_co_u32_e32 v54, vcc, v50, v54
	v_addc_co_u32_e32 v55, vcc, v51, v55, vcc
	global_store_dwordx2 v[54:55], v[4:5], off
.LBB80_301:
	s_or_b64 exec, exec, s[38:39]
	s_and_b64 s[38:39], s[2:3], exec
	s_andn2_saveexec_b64 s[34:35], s[34:35]
	s_cbranch_execz .LBB80_218
.LBB80_302:
	v_sub_u32_e32 v54, v74, v78
	v_mov_b32_e32 v55, 0
	v_lshlrev_b64 v[56:57], 3, v[54:55]
	v_add_co_u32_e32 v56, vcc, v50, v56
	v_addc_co_u32_e32 v57, vcc, v51, v57, vcc
	v_sub_u32_e32 v54, v49, v78
	global_store_dwordx2 v[56:57], v[26:27], off
	v_lshlrev_b64 v[56:57], 3, v[54:55]
	v_add_co_u32_e32 v56, vcc, v50, v56
	v_addc_co_u32_e32 v57, vcc, v51, v57, vcc
	v_sub_u32_e32 v54, v48, v78
	global_store_dwordx2 v[56:57], v[28:29], off
	;; [unrolled: 5-line block ×12, first 2 shown]
	v_lshlrev_b64 v[56:57], 3, v[54:55]
	v_add_co_u32_e32 v56, vcc, v50, v56
	v_sub_u32_e32 v54, v37, v78
	v_addc_co_u32_e32 v57, vcc, v51, v57, vcc
	v_lshlrev_b64 v[54:55], 3, v[54:55]
	v_add_co_u32_e32 v54, vcc, v50, v54
	v_addc_co_u32_e32 v55, vcc, v51, v55, vcc
	s_or_b64 s[38:39], s[38:39], exec
	global_store_dwordx2 v[56:57], v[2:3], off
	global_store_dwordx2 v[54:55], v[4:5], off
	s_or_b64 exec, exec, s[34:35]
	s_and_b64 exec, exec, s[38:39]
	s_cbranch_execnz .LBB80_219
	s_branch .LBB80_220
.LBB80_303:
	s_and_saveexec_b64 s[38:39], s[30:31]
	s_cbranch_execnz .LBB80_367
; %bb.304:
	s_or_b64 exec, exec, s[38:39]
	s_and_saveexec_b64 s[30:31], s[28:29]
	s_cbranch_execnz .LBB80_368
.LBB80_305:
	s_or_b64 exec, exec, s[30:31]
	s_and_saveexec_b64 s[28:29], s[26:27]
	s_cbranch_execnz .LBB80_369
.LBB80_306:
	s_or_b64 exec, exec, s[28:29]
	s_and_saveexec_b64 s[26:27], s[24:25]
	s_cbranch_execnz .LBB80_370
.LBB80_307:
	s_or_b64 exec, exec, s[26:27]
	s_and_saveexec_b64 s[24:25], s[22:23]
	s_cbranch_execnz .LBB80_371
.LBB80_308:
	s_or_b64 exec, exec, s[24:25]
	s_and_saveexec_b64 s[22:23], s[20:21]
	s_cbranch_execnz .LBB80_372
.LBB80_309:
	s_or_b64 exec, exec, s[22:23]
	s_and_saveexec_b64 s[20:21], s[18:19]
	s_cbranch_execnz .LBB80_373
.LBB80_310:
	s_or_b64 exec, exec, s[20:21]
	s_and_saveexec_b64 s[18:19], s[16:17]
	s_cbranch_execnz .LBB80_374
.LBB80_311:
	s_or_b64 exec, exec, s[18:19]
	s_and_saveexec_b64 s[16:17], s[14:15]
	s_cbranch_execnz .LBB80_375
.LBB80_312:
	s_or_b64 exec, exec, s[16:17]
	s_and_saveexec_b64 s[14:15], s[12:13]
	s_cbranch_execnz .LBB80_376
.LBB80_313:
	s_or_b64 exec, exec, s[14:15]
	s_and_saveexec_b64 s[12:13], s[10:11]
	s_cbranch_execnz .LBB80_377
.LBB80_314:
	s_or_b64 exec, exec, s[12:13]
	s_and_saveexec_b64 s[10:11], s[8:9]
	s_cbranch_execnz .LBB80_378
.LBB80_315:
	s_or_b64 exec, exec, s[10:11]
	s_and_saveexec_b64 s[8:9], s[6:7]
	s_cbranch_execnz .LBB80_379
.LBB80_316:
	s_or_b64 exec, exec, s[8:9]
	s_and_saveexec_b64 s[6:7], s[4:5]
	s_cbranch_execz .LBB80_318
.LBB80_317:
	v_sub_u32_e32 v2, v37, v78
	v_lshlrev_b32_e32 v2, 3, v2
	ds_write_b64 v2, v[4:5]
.LBB80_318:
	s_or_b64 exec, exec, s[6:7]
	s_and_b64 s[38:39], s[2:3], exec
                                        ; implicit-def: $vgpr26_vgpr27_vgpr28_vgpr29
                                        ; implicit-def: $vgpr22_vgpr23_vgpr24_vgpr25
                                        ; implicit-def: $vgpr18_vgpr19_vgpr20_vgpr21
                                        ; implicit-def: $vgpr14_vgpr15_vgpr16_vgpr17
                                        ; implicit-def: $vgpr10_vgpr11_vgpr12_vgpr13
                                        ; implicit-def: $vgpr6_vgpr7_vgpr8_vgpr9
                                        ; implicit-def: $vgpr2_vgpr3_vgpr4_vgpr5
	s_andn2_saveexec_b64 s[2:3], s[36:37]
	s_cbranch_execz .LBB80_225
.LBB80_319:
	v_sub_u32_e32 v52, v74, v78
	v_lshlrev_b32_e32 v52, 3, v52
	ds_write_b64 v52, v[26:27]
	v_sub_u32_e32 v26, v49, v78
	v_lshlrev_b32_e32 v26, 3, v26
	ds_write_b64 v26, v[28:29]
	;; [unrolled: 3-line block ×13, first 2 shown]
	v_sub_u32_e32 v2, v37, v78
	v_lshlrev_b32_e32 v2, 3, v2
	s_or_b64 s[38:39], s[38:39], exec
	ds_write_b64 v2, v[4:5]
	s_or_b64 exec, exec, s[2:3]
	s_and_b64 exec, exec, s[38:39]
	s_cbranch_execnz .LBB80_226
	s_branch .LBB80_227
.LBB80_320:
	s_and_saveexec_b64 s[36:37], s[28:29]
	s_cbranch_execnz .LBB80_380
; %bb.321:
	s_or_b64 exec, exec, s[36:37]
	s_and_saveexec_b64 s[36:37], s[26:27]
	s_cbranch_execnz .LBB80_381
.LBB80_322:
	s_or_b64 exec, exec, s[36:37]
	s_and_saveexec_b64 s[36:37], s[24:25]
	s_cbranch_execnz .LBB80_382
.LBB80_323:
	s_or_b64 exec, exec, s[36:37]
	s_and_saveexec_b64 s[36:37], s[22:23]
	s_cbranch_execnz .LBB80_383
.LBB80_324:
	s_or_b64 exec, exec, s[36:37]
	s_and_saveexec_b64 s[36:37], s[20:21]
	s_cbranch_execnz .LBB80_384
.LBB80_325:
	s_or_b64 exec, exec, s[36:37]
	s_and_saveexec_b64 s[36:37], s[18:19]
	s_cbranch_execnz .LBB80_385
.LBB80_326:
	s_or_b64 exec, exec, s[36:37]
	s_and_saveexec_b64 s[36:37], s[16:17]
	s_cbranch_execnz .LBB80_386
.LBB80_327:
	s_or_b64 exec, exec, s[36:37]
	s_and_saveexec_b64 s[36:37], s[14:15]
	s_cbranch_execnz .LBB80_387
.LBB80_328:
	s_or_b64 exec, exec, s[36:37]
	s_and_saveexec_b64 s[36:37], s[12:13]
	s_cbranch_execnz .LBB80_388
.LBB80_329:
	s_or_b64 exec, exec, s[36:37]
	s_and_saveexec_b64 s[36:37], s[10:11]
	s_cbranch_execnz .LBB80_389
.LBB80_330:
	s_or_b64 exec, exec, s[36:37]
	s_and_saveexec_b64 s[36:37], s[8:9]
	s_cbranch_execnz .LBB80_390
.LBB80_331:
	s_or_b64 exec, exec, s[36:37]
	s_and_saveexec_b64 s[36:37], s[6:7]
	s_cbranch_execnz .LBB80_391
.LBB80_332:
	s_or_b64 exec, exec, s[36:37]
	s_and_saveexec_b64 s[36:37], s[4:5]
	s_cbranch_execnz .LBB80_392
.LBB80_333:
	s_or_b64 exec, exec, s[36:37]
	s_and_saveexec_b64 s[36:37], s[2:3]
	s_cbranch_execz .LBB80_335
.LBB80_334:
	v_sub_u32_e32 v8, v37, v2
	v_mov_b32_e32 v9, 0
	v_lshlrev_b64 v[8:9], 3, v[8:9]
	v_add_co_u32_e32 v8, vcc, v6, v8
	v_addc_co_u32_e32 v9, vcc, v7, v9, vcc
	global_store_dwordx2 v[8:9], v[82:83], off
.LBB80_335:
	s_or_b64 exec, exec, s[36:37]
	s_and_b64 s[36:37], s[0:1], exec
	s_andn2_saveexec_b64 s[30:31], s[30:31]
	s_cbranch_execz .LBB80_235
.LBB80_336:
	v_sub_u32_e32 v8, v74, v2
	v_mov_b32_e32 v9, 0
	v_lshlrev_b64 v[10:11], 3, v[8:9]
	v_add_co_u32_e32 v10, vcc, v6, v10
	v_addc_co_u32_e32 v11, vcc, v7, v11, vcc
	v_sub_u32_e32 v8, v49, v2
	global_store_dwordx2 v[10:11], v[108:109], off
	v_lshlrev_b64 v[10:11], 3, v[8:9]
	v_add_co_u32_e32 v10, vcc, v6, v10
	v_addc_co_u32_e32 v11, vcc, v7, v11, vcc
	v_sub_u32_e32 v8, v48, v2
	global_store_dwordx2 v[10:11], v[106:107], off
	;; [unrolled: 5-line block ×12, first 2 shown]
	v_lshlrev_b64 v[10:11], 3, v[8:9]
	v_add_co_u32_e32 v10, vcc, v6, v10
	v_sub_u32_e32 v8, v37, v2
	v_addc_co_u32_e32 v11, vcc, v7, v11, vcc
	v_lshlrev_b64 v[8:9], 3, v[8:9]
	v_add_co_u32_e32 v8, vcc, v6, v8
	v_addc_co_u32_e32 v9, vcc, v7, v9, vcc
	s_or_b64 s[36:37], s[36:37], exec
	global_store_dwordx2 v[10:11], v[84:85], off
	global_store_dwordx2 v[8:9], v[82:83], off
	s_or_b64 exec, exec, s[30:31]
	s_and_b64 exec, exec, s[36:37]
	s_cbranch_execnz .LBB80_236
	s_branch .LBB80_237
.LBB80_337:
	s_and_saveexec_b64 s[36:37], s[28:29]
	s_cbranch_execnz .LBB80_393
; %bb.338:
	s_or_b64 exec, exec, s[36:37]
	s_and_saveexec_b64 s[28:29], s[26:27]
	s_cbranch_execnz .LBB80_394
.LBB80_339:
	s_or_b64 exec, exec, s[28:29]
	s_and_saveexec_b64 s[26:27], s[24:25]
	s_cbranch_execnz .LBB80_395
.LBB80_340:
	s_or_b64 exec, exec, s[26:27]
	s_and_saveexec_b64 s[24:25], s[22:23]
	s_cbranch_execnz .LBB80_396
.LBB80_341:
	s_or_b64 exec, exec, s[24:25]
	s_and_saveexec_b64 s[22:23], s[20:21]
	s_cbranch_execnz .LBB80_397
.LBB80_342:
	s_or_b64 exec, exec, s[22:23]
	s_and_saveexec_b64 s[20:21], s[18:19]
	s_cbranch_execnz .LBB80_398
.LBB80_343:
	s_or_b64 exec, exec, s[20:21]
	s_and_saveexec_b64 s[18:19], s[16:17]
	s_cbranch_execnz .LBB80_399
.LBB80_344:
	s_or_b64 exec, exec, s[18:19]
	s_and_saveexec_b64 s[16:17], s[14:15]
	s_cbranch_execnz .LBB80_400
.LBB80_345:
	s_or_b64 exec, exec, s[16:17]
	s_and_saveexec_b64 s[14:15], s[12:13]
	s_cbranch_execnz .LBB80_401
.LBB80_346:
	s_or_b64 exec, exec, s[14:15]
	s_and_saveexec_b64 s[12:13], s[10:11]
	s_cbranch_execnz .LBB80_402
.LBB80_347:
	s_or_b64 exec, exec, s[12:13]
	s_and_saveexec_b64 s[10:11], s[8:9]
	s_cbranch_execnz .LBB80_403
.LBB80_348:
	s_or_b64 exec, exec, s[10:11]
	s_and_saveexec_b64 s[8:9], s[6:7]
	s_cbranch_execnz .LBB80_404
.LBB80_349:
	s_or_b64 exec, exec, s[8:9]
	s_and_saveexec_b64 s[6:7], s[4:5]
	s_cbranch_execnz .LBB80_405
.LBB80_350:
	s_or_b64 exec, exec, s[6:7]
	s_and_saveexec_b64 s[4:5], s[2:3]
	s_cbranch_execz .LBB80_352
.LBB80_351:
	v_sub_u32_e32 v3, v37, v2
	v_lshlrev_b32_e32 v3, 3, v3
	ds_write_b64 v3, v[82:83]
.LBB80_352:
	s_or_b64 exec, exec, s[4:5]
	s_and_b64 s[36:37], s[0:1], exec
                                        ; implicit-def: $vgpr108_vgpr109
                                        ; implicit-def: $vgpr106_vgpr107
                                        ; implicit-def: $vgpr104_vgpr105
                                        ; implicit-def: $vgpr102_vgpr103
                                        ; implicit-def: $vgpr100_vgpr101
                                        ; implicit-def: $vgpr98_vgpr99
                                        ; implicit-def: $vgpr96_vgpr97
                                        ; implicit-def: $vgpr94_vgpr95
                                        ; implicit-def: $vgpr92_vgpr93
                                        ; implicit-def: $vgpr90_vgpr91
                                        ; implicit-def: $vgpr88_vgpr89
                                        ; implicit-def: $vgpr86_vgpr87
                                        ; implicit-def: $vgpr84_vgpr85
                                        ; implicit-def: $vgpr82_vgpr83
                                        ; implicit-def: $vgpr74
                                        ; implicit-def: $vgpr49
                                        ; implicit-def: $vgpr48
                                        ; implicit-def: $vgpr47
                                        ; implicit-def: $vgpr46
                                        ; implicit-def: $vgpr45
                                        ; implicit-def: $vgpr44
                                        ; implicit-def: $vgpr43
                                        ; implicit-def: $vgpr42
                                        ; implicit-def: $vgpr41
                                        ; implicit-def: $vgpr40
                                        ; implicit-def: $vgpr39
                                        ; implicit-def: $vgpr38
                                        ; implicit-def: $vgpr37
	s_andn2_saveexec_b64 s[0:1], s[34:35]
	s_cbranch_execz .LBB80_242
.LBB80_353:
	v_sub_u32_e32 v3, v74, v2
	v_lshlrev_b32_e32 v3, 3, v3
	ds_write_b64 v3, v[108:109]
	v_sub_u32_e32 v3, v49, v2
	v_lshlrev_b32_e32 v3, 3, v3
	ds_write_b64 v3, v[106:107]
	;; [unrolled: 3-line block ×13, first 2 shown]
	v_sub_u32_e32 v3, v37, v2
	v_lshlrev_b32_e32 v3, 3, v3
	s_or_b64 s[36:37], s[36:37], exec
	ds_write_b64 v3, v[82:83]
	s_or_b64 exec, exec, s[0:1]
	s_and_b64 exec, exec, s[36:37]
	s_cbranch_execnz .LBB80_243
	s_branch .LBB80_244
.LBB80_354:
	v_sub_u32_e32 v54, v74, v78
	v_mov_b32_e32 v55, 0
	v_lshlrev_b64 v[54:55], 3, v[54:55]
	v_add_co_u32_e32 v54, vcc, v50, v54
	v_addc_co_u32_e32 v55, vcc, v51, v55, vcc
	global_store_dwordx2 v[54:55], v[26:27], off
	s_or_b64 exec, exec, s[38:39]
	s_and_saveexec_b64 s[38:39], s[28:29]
	s_cbranch_execz .LBB80_288
.LBB80_355:
	v_sub_u32_e32 v54, v49, v78
	v_mov_b32_e32 v55, 0
	v_lshlrev_b64 v[54:55], 3, v[54:55]
	v_add_co_u32_e32 v54, vcc, v50, v54
	v_addc_co_u32_e32 v55, vcc, v51, v55, vcc
	global_store_dwordx2 v[54:55], v[28:29], off
	s_or_b64 exec, exec, s[38:39]
	s_and_saveexec_b64 s[38:39], s[26:27]
	s_cbranch_execz .LBB80_289
.LBB80_356:
	v_sub_u32_e32 v54, v48, v78
	v_mov_b32_e32 v55, 0
	v_lshlrev_b64 v[54:55], 3, v[54:55]
	v_add_co_u32_e32 v54, vcc, v50, v54
	v_addc_co_u32_e32 v55, vcc, v51, v55, vcc
	global_store_dwordx2 v[54:55], v[22:23], off
	s_or_b64 exec, exec, s[38:39]
	s_and_saveexec_b64 s[38:39], s[24:25]
	s_cbranch_execz .LBB80_290
.LBB80_357:
	v_sub_u32_e32 v54, v47, v78
	v_mov_b32_e32 v55, 0
	v_lshlrev_b64 v[54:55], 3, v[54:55]
	v_add_co_u32_e32 v54, vcc, v50, v54
	v_addc_co_u32_e32 v55, vcc, v51, v55, vcc
	global_store_dwordx2 v[54:55], v[24:25], off
	s_or_b64 exec, exec, s[38:39]
	s_and_saveexec_b64 s[38:39], s[22:23]
	s_cbranch_execz .LBB80_291
.LBB80_358:
	v_sub_u32_e32 v54, v46, v78
	v_mov_b32_e32 v55, 0
	v_lshlrev_b64 v[54:55], 3, v[54:55]
	v_add_co_u32_e32 v54, vcc, v50, v54
	v_addc_co_u32_e32 v55, vcc, v51, v55, vcc
	global_store_dwordx2 v[54:55], v[18:19], off
	s_or_b64 exec, exec, s[38:39]
	s_and_saveexec_b64 s[38:39], s[20:21]
	s_cbranch_execz .LBB80_292
.LBB80_359:
	v_sub_u32_e32 v54, v45, v78
	v_mov_b32_e32 v55, 0
	v_lshlrev_b64 v[54:55], 3, v[54:55]
	v_add_co_u32_e32 v54, vcc, v50, v54
	v_addc_co_u32_e32 v55, vcc, v51, v55, vcc
	global_store_dwordx2 v[54:55], v[20:21], off
	s_or_b64 exec, exec, s[38:39]
	s_and_saveexec_b64 s[38:39], s[18:19]
	s_cbranch_execz .LBB80_293
.LBB80_360:
	v_sub_u32_e32 v54, v44, v78
	v_mov_b32_e32 v55, 0
	v_lshlrev_b64 v[54:55], 3, v[54:55]
	v_add_co_u32_e32 v54, vcc, v50, v54
	v_addc_co_u32_e32 v55, vcc, v51, v55, vcc
	global_store_dwordx2 v[54:55], v[14:15], off
	s_or_b64 exec, exec, s[38:39]
	s_and_saveexec_b64 s[38:39], s[16:17]
	s_cbranch_execz .LBB80_294
.LBB80_361:
	v_sub_u32_e32 v54, v43, v78
	v_mov_b32_e32 v55, 0
	v_lshlrev_b64 v[54:55], 3, v[54:55]
	v_add_co_u32_e32 v54, vcc, v50, v54
	v_addc_co_u32_e32 v55, vcc, v51, v55, vcc
	global_store_dwordx2 v[54:55], v[16:17], off
	s_or_b64 exec, exec, s[38:39]
	s_and_saveexec_b64 s[38:39], s[14:15]
	s_cbranch_execz .LBB80_295
.LBB80_362:
	v_sub_u32_e32 v54, v42, v78
	v_mov_b32_e32 v55, 0
	v_lshlrev_b64 v[54:55], 3, v[54:55]
	v_add_co_u32_e32 v54, vcc, v50, v54
	v_addc_co_u32_e32 v55, vcc, v51, v55, vcc
	global_store_dwordx2 v[54:55], v[10:11], off
	s_or_b64 exec, exec, s[38:39]
	s_and_saveexec_b64 s[38:39], s[12:13]
	s_cbranch_execz .LBB80_296
.LBB80_363:
	v_sub_u32_e32 v54, v41, v78
	v_mov_b32_e32 v55, 0
	v_lshlrev_b64 v[54:55], 3, v[54:55]
	v_add_co_u32_e32 v54, vcc, v50, v54
	v_addc_co_u32_e32 v55, vcc, v51, v55, vcc
	global_store_dwordx2 v[54:55], v[12:13], off
	s_or_b64 exec, exec, s[38:39]
	s_and_saveexec_b64 s[38:39], s[10:11]
	s_cbranch_execz .LBB80_297
.LBB80_364:
	v_sub_u32_e32 v54, v40, v78
	v_mov_b32_e32 v55, 0
	v_lshlrev_b64 v[54:55], 3, v[54:55]
	v_add_co_u32_e32 v54, vcc, v50, v54
	v_addc_co_u32_e32 v55, vcc, v51, v55, vcc
	global_store_dwordx2 v[54:55], v[6:7], off
	s_or_b64 exec, exec, s[38:39]
	s_and_saveexec_b64 s[38:39], s[8:9]
	s_cbranch_execz .LBB80_298
.LBB80_365:
	v_sub_u32_e32 v54, v39, v78
	v_mov_b32_e32 v55, 0
	v_lshlrev_b64 v[54:55], 3, v[54:55]
	v_add_co_u32_e32 v54, vcc, v50, v54
	v_addc_co_u32_e32 v55, vcc, v51, v55, vcc
	global_store_dwordx2 v[54:55], v[8:9], off
	s_or_b64 exec, exec, s[38:39]
	s_and_saveexec_b64 s[38:39], s[6:7]
	s_cbranch_execz .LBB80_299
.LBB80_366:
	v_sub_u32_e32 v54, v38, v78
	v_mov_b32_e32 v55, 0
	v_lshlrev_b64 v[54:55], 3, v[54:55]
	v_add_co_u32_e32 v54, vcc, v50, v54
	v_addc_co_u32_e32 v55, vcc, v51, v55, vcc
	global_store_dwordx2 v[54:55], v[2:3], off
	s_or_b64 exec, exec, s[38:39]
	s_and_saveexec_b64 s[38:39], s[4:5]
	s_cbranch_execnz .LBB80_300
	s_branch .LBB80_301
.LBB80_367:
	v_sub_u32_e32 v52, v74, v78
	v_lshlrev_b32_e32 v52, 3, v52
	ds_write_b64 v52, v[26:27]
	s_or_b64 exec, exec, s[38:39]
	s_and_saveexec_b64 s[30:31], s[28:29]
	s_cbranch_execz .LBB80_305
.LBB80_368:
	v_sub_u32_e32 v26, v49, v78
	v_lshlrev_b32_e32 v26, 3, v26
	ds_write_b64 v26, v[28:29]
	s_or_b64 exec, exec, s[30:31]
	s_and_saveexec_b64 s[28:29], s[26:27]
	s_cbranch_execz .LBB80_306
.LBB80_369:
	v_sub_u32_e32 v26, v48, v78
	v_lshlrev_b32_e32 v26, 3, v26
	ds_write_b64 v26, v[22:23]
	s_or_b64 exec, exec, s[28:29]
	s_and_saveexec_b64 s[26:27], s[24:25]
	s_cbranch_execz .LBB80_307
.LBB80_370:
	v_sub_u32_e32 v22, v47, v78
	v_lshlrev_b32_e32 v22, 3, v22
	ds_write_b64 v22, v[24:25]
	s_or_b64 exec, exec, s[26:27]
	s_and_saveexec_b64 s[24:25], s[22:23]
	s_cbranch_execz .LBB80_308
.LBB80_371:
	v_sub_u32_e32 v22, v46, v78
	v_lshlrev_b32_e32 v22, 3, v22
	ds_write_b64 v22, v[18:19]
	s_or_b64 exec, exec, s[24:25]
	s_and_saveexec_b64 s[22:23], s[20:21]
	s_cbranch_execz .LBB80_309
.LBB80_372:
	v_sub_u32_e32 v18, v45, v78
	v_lshlrev_b32_e32 v18, 3, v18
	ds_write_b64 v18, v[20:21]
	s_or_b64 exec, exec, s[22:23]
	s_and_saveexec_b64 s[20:21], s[18:19]
	s_cbranch_execz .LBB80_310
.LBB80_373:
	v_sub_u32_e32 v18, v44, v78
	v_lshlrev_b32_e32 v18, 3, v18
	ds_write_b64 v18, v[14:15]
	s_or_b64 exec, exec, s[20:21]
	s_and_saveexec_b64 s[18:19], s[16:17]
	s_cbranch_execz .LBB80_311
.LBB80_374:
	v_sub_u32_e32 v14, v43, v78
	v_lshlrev_b32_e32 v14, 3, v14
	ds_write_b64 v14, v[16:17]
	s_or_b64 exec, exec, s[18:19]
	s_and_saveexec_b64 s[16:17], s[14:15]
	s_cbranch_execz .LBB80_312
.LBB80_375:
	v_sub_u32_e32 v14, v42, v78
	v_lshlrev_b32_e32 v14, 3, v14
	ds_write_b64 v14, v[10:11]
	s_or_b64 exec, exec, s[16:17]
	s_and_saveexec_b64 s[14:15], s[12:13]
	s_cbranch_execz .LBB80_313
.LBB80_376:
	v_sub_u32_e32 v10, v41, v78
	v_lshlrev_b32_e32 v10, 3, v10
	ds_write_b64 v10, v[12:13]
	s_or_b64 exec, exec, s[14:15]
	s_and_saveexec_b64 s[12:13], s[10:11]
	s_cbranch_execz .LBB80_314
.LBB80_377:
	v_sub_u32_e32 v10, v40, v78
	v_lshlrev_b32_e32 v10, 3, v10
	ds_write_b64 v10, v[6:7]
	s_or_b64 exec, exec, s[12:13]
	s_and_saveexec_b64 s[10:11], s[8:9]
	s_cbranch_execz .LBB80_315
.LBB80_378:
	v_sub_u32_e32 v6, v39, v78
	v_lshlrev_b32_e32 v6, 3, v6
	ds_write_b64 v6, v[8:9]
	s_or_b64 exec, exec, s[10:11]
	s_and_saveexec_b64 s[8:9], s[6:7]
	s_cbranch_execz .LBB80_316
.LBB80_379:
	v_sub_u32_e32 v6, v38, v78
	v_lshlrev_b32_e32 v6, 3, v6
	ds_write_b64 v6, v[2:3]
	s_or_b64 exec, exec, s[8:9]
	s_and_saveexec_b64 s[6:7], s[4:5]
	s_cbranch_execnz .LBB80_317
	s_branch .LBB80_318
.LBB80_380:
	v_sub_u32_e32 v8, v74, v2
	v_mov_b32_e32 v9, 0
	v_lshlrev_b64 v[8:9], 3, v[8:9]
	v_add_co_u32_e32 v8, vcc, v6, v8
	v_addc_co_u32_e32 v9, vcc, v7, v9, vcc
	global_store_dwordx2 v[8:9], v[108:109], off
	s_or_b64 exec, exec, s[36:37]
	s_and_saveexec_b64 s[36:37], s[26:27]
	s_cbranch_execz .LBB80_322
.LBB80_381:
	v_sub_u32_e32 v8, v49, v2
	v_mov_b32_e32 v9, 0
	v_lshlrev_b64 v[8:9], 3, v[8:9]
	v_add_co_u32_e32 v8, vcc, v6, v8
	v_addc_co_u32_e32 v9, vcc, v7, v9, vcc
	global_store_dwordx2 v[8:9], v[106:107], off
	s_or_b64 exec, exec, s[36:37]
	s_and_saveexec_b64 s[36:37], s[24:25]
	s_cbranch_execz .LBB80_323
.LBB80_382:
	v_sub_u32_e32 v8, v48, v2
	v_mov_b32_e32 v9, 0
	v_lshlrev_b64 v[8:9], 3, v[8:9]
	v_add_co_u32_e32 v8, vcc, v6, v8
	v_addc_co_u32_e32 v9, vcc, v7, v9, vcc
	global_store_dwordx2 v[8:9], v[104:105], off
	s_or_b64 exec, exec, s[36:37]
	s_and_saveexec_b64 s[36:37], s[22:23]
	s_cbranch_execz .LBB80_324
.LBB80_383:
	v_sub_u32_e32 v8, v47, v2
	v_mov_b32_e32 v9, 0
	v_lshlrev_b64 v[8:9], 3, v[8:9]
	v_add_co_u32_e32 v8, vcc, v6, v8
	v_addc_co_u32_e32 v9, vcc, v7, v9, vcc
	global_store_dwordx2 v[8:9], v[102:103], off
	s_or_b64 exec, exec, s[36:37]
	s_and_saveexec_b64 s[36:37], s[20:21]
	s_cbranch_execz .LBB80_325
.LBB80_384:
	v_sub_u32_e32 v8, v46, v2
	v_mov_b32_e32 v9, 0
	v_lshlrev_b64 v[8:9], 3, v[8:9]
	v_add_co_u32_e32 v8, vcc, v6, v8
	v_addc_co_u32_e32 v9, vcc, v7, v9, vcc
	global_store_dwordx2 v[8:9], v[100:101], off
	s_or_b64 exec, exec, s[36:37]
	s_and_saveexec_b64 s[36:37], s[18:19]
	s_cbranch_execz .LBB80_326
.LBB80_385:
	v_sub_u32_e32 v8, v45, v2
	v_mov_b32_e32 v9, 0
	v_lshlrev_b64 v[8:9], 3, v[8:9]
	v_add_co_u32_e32 v8, vcc, v6, v8
	v_addc_co_u32_e32 v9, vcc, v7, v9, vcc
	global_store_dwordx2 v[8:9], v[98:99], off
	s_or_b64 exec, exec, s[36:37]
	s_and_saveexec_b64 s[36:37], s[16:17]
	s_cbranch_execz .LBB80_327
.LBB80_386:
	v_sub_u32_e32 v8, v44, v2
	v_mov_b32_e32 v9, 0
	v_lshlrev_b64 v[8:9], 3, v[8:9]
	v_add_co_u32_e32 v8, vcc, v6, v8
	v_addc_co_u32_e32 v9, vcc, v7, v9, vcc
	global_store_dwordx2 v[8:9], v[96:97], off
	s_or_b64 exec, exec, s[36:37]
	s_and_saveexec_b64 s[36:37], s[14:15]
	s_cbranch_execz .LBB80_328
.LBB80_387:
	v_sub_u32_e32 v8, v43, v2
	v_mov_b32_e32 v9, 0
	v_lshlrev_b64 v[8:9], 3, v[8:9]
	v_add_co_u32_e32 v8, vcc, v6, v8
	v_addc_co_u32_e32 v9, vcc, v7, v9, vcc
	global_store_dwordx2 v[8:9], v[94:95], off
	s_or_b64 exec, exec, s[36:37]
	s_and_saveexec_b64 s[36:37], s[12:13]
	s_cbranch_execz .LBB80_329
.LBB80_388:
	v_sub_u32_e32 v8, v42, v2
	v_mov_b32_e32 v9, 0
	v_lshlrev_b64 v[8:9], 3, v[8:9]
	v_add_co_u32_e32 v8, vcc, v6, v8
	v_addc_co_u32_e32 v9, vcc, v7, v9, vcc
	global_store_dwordx2 v[8:9], v[92:93], off
	s_or_b64 exec, exec, s[36:37]
	s_and_saveexec_b64 s[36:37], s[10:11]
	s_cbranch_execz .LBB80_330
.LBB80_389:
	v_sub_u32_e32 v8, v41, v2
	v_mov_b32_e32 v9, 0
	v_lshlrev_b64 v[8:9], 3, v[8:9]
	v_add_co_u32_e32 v8, vcc, v6, v8
	v_addc_co_u32_e32 v9, vcc, v7, v9, vcc
	global_store_dwordx2 v[8:9], v[90:91], off
	s_or_b64 exec, exec, s[36:37]
	s_and_saveexec_b64 s[36:37], s[8:9]
	s_cbranch_execz .LBB80_331
.LBB80_390:
	v_sub_u32_e32 v8, v40, v2
	v_mov_b32_e32 v9, 0
	v_lshlrev_b64 v[8:9], 3, v[8:9]
	v_add_co_u32_e32 v8, vcc, v6, v8
	v_addc_co_u32_e32 v9, vcc, v7, v9, vcc
	global_store_dwordx2 v[8:9], v[88:89], off
	s_or_b64 exec, exec, s[36:37]
	s_and_saveexec_b64 s[36:37], s[6:7]
	s_cbranch_execz .LBB80_332
.LBB80_391:
	v_sub_u32_e32 v8, v39, v2
	v_mov_b32_e32 v9, 0
	v_lshlrev_b64 v[8:9], 3, v[8:9]
	v_add_co_u32_e32 v8, vcc, v6, v8
	v_addc_co_u32_e32 v9, vcc, v7, v9, vcc
	global_store_dwordx2 v[8:9], v[86:87], off
	s_or_b64 exec, exec, s[36:37]
	s_and_saveexec_b64 s[36:37], s[4:5]
	s_cbranch_execz .LBB80_333
.LBB80_392:
	v_sub_u32_e32 v8, v38, v2
	v_mov_b32_e32 v9, 0
	v_lshlrev_b64 v[8:9], 3, v[8:9]
	v_add_co_u32_e32 v8, vcc, v6, v8
	v_addc_co_u32_e32 v9, vcc, v7, v9, vcc
	global_store_dwordx2 v[8:9], v[84:85], off
	s_or_b64 exec, exec, s[36:37]
	s_and_saveexec_b64 s[36:37], s[2:3]
	s_cbranch_execnz .LBB80_334
	s_branch .LBB80_335
.LBB80_393:
	v_sub_u32_e32 v3, v74, v2
	v_lshlrev_b32_e32 v3, 3, v3
	ds_write_b64 v3, v[108:109]
	s_or_b64 exec, exec, s[36:37]
	s_and_saveexec_b64 s[28:29], s[26:27]
	s_cbranch_execz .LBB80_339
.LBB80_394:
	v_sub_u32_e32 v3, v49, v2
	v_lshlrev_b32_e32 v3, 3, v3
	ds_write_b64 v3, v[106:107]
	s_or_b64 exec, exec, s[28:29]
	s_and_saveexec_b64 s[26:27], s[24:25]
	s_cbranch_execz .LBB80_340
.LBB80_395:
	v_sub_u32_e32 v3, v48, v2
	v_lshlrev_b32_e32 v3, 3, v3
	ds_write_b64 v3, v[104:105]
	s_or_b64 exec, exec, s[26:27]
	s_and_saveexec_b64 s[24:25], s[22:23]
	s_cbranch_execz .LBB80_341
.LBB80_396:
	v_sub_u32_e32 v3, v47, v2
	v_lshlrev_b32_e32 v3, 3, v3
	ds_write_b64 v3, v[102:103]
	s_or_b64 exec, exec, s[24:25]
	s_and_saveexec_b64 s[22:23], s[20:21]
	s_cbranch_execz .LBB80_342
.LBB80_397:
	v_sub_u32_e32 v3, v46, v2
	v_lshlrev_b32_e32 v3, 3, v3
	ds_write_b64 v3, v[100:101]
	s_or_b64 exec, exec, s[22:23]
	s_and_saveexec_b64 s[20:21], s[18:19]
	s_cbranch_execz .LBB80_343
.LBB80_398:
	v_sub_u32_e32 v3, v45, v2
	v_lshlrev_b32_e32 v3, 3, v3
	ds_write_b64 v3, v[98:99]
	s_or_b64 exec, exec, s[20:21]
	s_and_saveexec_b64 s[18:19], s[16:17]
	s_cbranch_execz .LBB80_344
.LBB80_399:
	v_sub_u32_e32 v3, v44, v2
	v_lshlrev_b32_e32 v3, 3, v3
	ds_write_b64 v3, v[96:97]
	s_or_b64 exec, exec, s[18:19]
	s_and_saveexec_b64 s[16:17], s[14:15]
	s_cbranch_execz .LBB80_345
.LBB80_400:
	v_sub_u32_e32 v3, v43, v2
	v_lshlrev_b32_e32 v3, 3, v3
	ds_write_b64 v3, v[94:95]
	s_or_b64 exec, exec, s[16:17]
	s_and_saveexec_b64 s[14:15], s[12:13]
	s_cbranch_execz .LBB80_346
.LBB80_401:
	v_sub_u32_e32 v3, v42, v2
	v_lshlrev_b32_e32 v3, 3, v3
	ds_write_b64 v3, v[92:93]
	s_or_b64 exec, exec, s[14:15]
	s_and_saveexec_b64 s[12:13], s[10:11]
	s_cbranch_execz .LBB80_347
.LBB80_402:
	v_sub_u32_e32 v3, v41, v2
	v_lshlrev_b32_e32 v3, 3, v3
	ds_write_b64 v3, v[90:91]
	s_or_b64 exec, exec, s[12:13]
	s_and_saveexec_b64 s[10:11], s[8:9]
	s_cbranch_execz .LBB80_348
.LBB80_403:
	v_sub_u32_e32 v3, v40, v2
	v_lshlrev_b32_e32 v3, 3, v3
	ds_write_b64 v3, v[88:89]
	s_or_b64 exec, exec, s[10:11]
	s_and_saveexec_b64 s[8:9], s[6:7]
	s_cbranch_execz .LBB80_349
.LBB80_404:
	v_sub_u32_e32 v3, v39, v2
	v_lshlrev_b32_e32 v3, 3, v3
	ds_write_b64 v3, v[86:87]
	s_or_b64 exec, exec, s[8:9]
	s_and_saveexec_b64 s[6:7], s[4:5]
	s_cbranch_execz .LBB80_350
.LBB80_405:
	v_sub_u32_e32 v3, v38, v2
	v_lshlrev_b32_e32 v3, 3, v3
	ds_write_b64 v3, v[84:85]
	s_or_b64 exec, exec, s[6:7]
	s_and_saveexec_b64 s[4:5], s[2:3]
	s_cbranch_execnz .LBB80_351
	s_branch .LBB80_352
	.section	.rodata,"a",@progbits
	.p2align	6, 0x0
	.amdhsa_kernel _ZN7rocprim17ROCPRIM_400000_NS6detail17trampoline_kernelINS0_14default_configENS1_29reduce_by_key_config_selectorIddN6thrust23THRUST_200600_302600_NS4plusIdEEEEZZNS1_33reduce_by_key_impl_wrapped_configILNS1_25lookback_scan_determinismE0ES3_S9_NS6_6detail15normal_iteratorINS6_10device_ptrIdEEEESG_SG_SG_PmS8_22is_equal_div_10_reduceIdEEE10hipError_tPvRmT2_T3_mT4_T5_T6_T7_T8_P12ihipStream_tbENKUlT_T0_E_clISt17integral_constantIbLb0EES10_IbLb1EEEEDaSW_SX_EUlSW_E_NS1_11comp_targetILNS1_3genE4ELNS1_11target_archE910ELNS1_3gpuE8ELNS1_3repE0EEENS1_30default_config_static_selectorELNS0_4arch9wavefront6targetE1EEEvT1_
		.amdhsa_group_segment_fixed_size 30720
		.amdhsa_private_segment_fixed_size 0
		.amdhsa_kernarg_size 136
		.amdhsa_user_sgpr_count 6
		.amdhsa_user_sgpr_private_segment_buffer 1
		.amdhsa_user_sgpr_dispatch_ptr 0
		.amdhsa_user_sgpr_queue_ptr 0
		.amdhsa_user_sgpr_kernarg_segment_ptr 1
		.amdhsa_user_sgpr_dispatch_id 0
		.amdhsa_user_sgpr_flat_scratch_init 0
		.amdhsa_user_sgpr_kernarg_preload_length 0
		.amdhsa_user_sgpr_kernarg_preload_offset 0
		.amdhsa_user_sgpr_private_segment_size 0
		.amdhsa_uses_dynamic_stack 0
		.amdhsa_system_sgpr_private_segment_wavefront_offset 0
		.amdhsa_system_sgpr_workgroup_id_x 1
		.amdhsa_system_sgpr_workgroup_id_y 0
		.amdhsa_system_sgpr_workgroup_id_z 0
		.amdhsa_system_sgpr_workgroup_info 0
		.amdhsa_system_vgpr_workitem_id 0
		.amdhsa_next_free_vgpr 120
		.amdhsa_next_free_sgpr 66
		.amdhsa_accum_offset 120
		.amdhsa_reserve_vcc 1
		.amdhsa_reserve_flat_scratch 0
		.amdhsa_float_round_mode_32 0
		.amdhsa_float_round_mode_16_64 0
		.amdhsa_float_denorm_mode_32 3
		.amdhsa_float_denorm_mode_16_64 3
		.amdhsa_dx10_clamp 1
		.amdhsa_ieee_mode 1
		.amdhsa_fp16_overflow 0
		.amdhsa_tg_split 0
		.amdhsa_exception_fp_ieee_invalid_op 0
		.amdhsa_exception_fp_denorm_src 0
		.amdhsa_exception_fp_ieee_div_zero 0
		.amdhsa_exception_fp_ieee_overflow 0
		.amdhsa_exception_fp_ieee_underflow 0
		.amdhsa_exception_fp_ieee_inexact 0
		.amdhsa_exception_int_div_zero 0
	.end_amdhsa_kernel
	.section	.text._ZN7rocprim17ROCPRIM_400000_NS6detail17trampoline_kernelINS0_14default_configENS1_29reduce_by_key_config_selectorIddN6thrust23THRUST_200600_302600_NS4plusIdEEEEZZNS1_33reduce_by_key_impl_wrapped_configILNS1_25lookback_scan_determinismE0ES3_S9_NS6_6detail15normal_iteratorINS6_10device_ptrIdEEEESG_SG_SG_PmS8_22is_equal_div_10_reduceIdEEE10hipError_tPvRmT2_T3_mT4_T5_T6_T7_T8_P12ihipStream_tbENKUlT_T0_E_clISt17integral_constantIbLb0EES10_IbLb1EEEEDaSW_SX_EUlSW_E_NS1_11comp_targetILNS1_3genE4ELNS1_11target_archE910ELNS1_3gpuE8ELNS1_3repE0EEENS1_30default_config_static_selectorELNS0_4arch9wavefront6targetE1EEEvT1_,"axG",@progbits,_ZN7rocprim17ROCPRIM_400000_NS6detail17trampoline_kernelINS0_14default_configENS1_29reduce_by_key_config_selectorIddN6thrust23THRUST_200600_302600_NS4plusIdEEEEZZNS1_33reduce_by_key_impl_wrapped_configILNS1_25lookback_scan_determinismE0ES3_S9_NS6_6detail15normal_iteratorINS6_10device_ptrIdEEEESG_SG_SG_PmS8_22is_equal_div_10_reduceIdEEE10hipError_tPvRmT2_T3_mT4_T5_T6_T7_T8_P12ihipStream_tbENKUlT_T0_E_clISt17integral_constantIbLb0EES10_IbLb1EEEEDaSW_SX_EUlSW_E_NS1_11comp_targetILNS1_3genE4ELNS1_11target_archE910ELNS1_3gpuE8ELNS1_3repE0EEENS1_30default_config_static_selectorELNS0_4arch9wavefront6targetE1EEEvT1_,comdat
.Lfunc_end80:
	.size	_ZN7rocprim17ROCPRIM_400000_NS6detail17trampoline_kernelINS0_14default_configENS1_29reduce_by_key_config_selectorIddN6thrust23THRUST_200600_302600_NS4plusIdEEEEZZNS1_33reduce_by_key_impl_wrapped_configILNS1_25lookback_scan_determinismE0ES3_S9_NS6_6detail15normal_iteratorINS6_10device_ptrIdEEEESG_SG_SG_PmS8_22is_equal_div_10_reduceIdEEE10hipError_tPvRmT2_T3_mT4_T5_T6_T7_T8_P12ihipStream_tbENKUlT_T0_E_clISt17integral_constantIbLb0EES10_IbLb1EEEEDaSW_SX_EUlSW_E_NS1_11comp_targetILNS1_3genE4ELNS1_11target_archE910ELNS1_3gpuE8ELNS1_3repE0EEENS1_30default_config_static_selectorELNS0_4arch9wavefront6targetE1EEEvT1_, .Lfunc_end80-_ZN7rocprim17ROCPRIM_400000_NS6detail17trampoline_kernelINS0_14default_configENS1_29reduce_by_key_config_selectorIddN6thrust23THRUST_200600_302600_NS4plusIdEEEEZZNS1_33reduce_by_key_impl_wrapped_configILNS1_25lookback_scan_determinismE0ES3_S9_NS6_6detail15normal_iteratorINS6_10device_ptrIdEEEESG_SG_SG_PmS8_22is_equal_div_10_reduceIdEEE10hipError_tPvRmT2_T3_mT4_T5_T6_T7_T8_P12ihipStream_tbENKUlT_T0_E_clISt17integral_constantIbLb0EES10_IbLb1EEEEDaSW_SX_EUlSW_E_NS1_11comp_targetILNS1_3genE4ELNS1_11target_archE910ELNS1_3gpuE8ELNS1_3repE0EEENS1_30default_config_static_selectorELNS0_4arch9wavefront6targetE1EEEvT1_
                                        ; -- End function
	.section	.AMDGPU.csdata,"",@progbits
; Kernel info:
; codeLenInByte = 18956
; NumSgprs: 70
; NumVgprs: 120
; NumAgprs: 0
; TotalNumVgprs: 120
; ScratchSize: 0
; MemoryBound: 0
; FloatMode: 240
; IeeeMode: 1
; LDSByteSize: 30720 bytes/workgroup (compile time only)
; SGPRBlocks: 8
; VGPRBlocks: 14
; NumSGPRsForWavesPerEU: 70
; NumVGPRsForWavesPerEU: 120
; AccumOffset: 120
; Occupancy: 2
; WaveLimiterHint : 1
; COMPUTE_PGM_RSRC2:SCRATCH_EN: 0
; COMPUTE_PGM_RSRC2:USER_SGPR: 6
; COMPUTE_PGM_RSRC2:TRAP_HANDLER: 0
; COMPUTE_PGM_RSRC2:TGID_X_EN: 1
; COMPUTE_PGM_RSRC2:TGID_Y_EN: 0
; COMPUTE_PGM_RSRC2:TGID_Z_EN: 0
; COMPUTE_PGM_RSRC2:TIDIG_COMP_CNT: 0
; COMPUTE_PGM_RSRC3_GFX90A:ACCUM_OFFSET: 29
; COMPUTE_PGM_RSRC3_GFX90A:TG_SPLIT: 0
	.section	.text._ZN7rocprim17ROCPRIM_400000_NS6detail17trampoline_kernelINS0_14default_configENS1_29reduce_by_key_config_selectorIddN6thrust23THRUST_200600_302600_NS4plusIdEEEEZZNS1_33reduce_by_key_impl_wrapped_configILNS1_25lookback_scan_determinismE0ES3_S9_NS6_6detail15normal_iteratorINS6_10device_ptrIdEEEESG_SG_SG_PmS8_22is_equal_div_10_reduceIdEEE10hipError_tPvRmT2_T3_mT4_T5_T6_T7_T8_P12ihipStream_tbENKUlT_T0_E_clISt17integral_constantIbLb0EES10_IbLb1EEEEDaSW_SX_EUlSW_E_NS1_11comp_targetILNS1_3genE3ELNS1_11target_archE908ELNS1_3gpuE7ELNS1_3repE0EEENS1_30default_config_static_selectorELNS0_4arch9wavefront6targetE1EEEvT1_,"axG",@progbits,_ZN7rocprim17ROCPRIM_400000_NS6detail17trampoline_kernelINS0_14default_configENS1_29reduce_by_key_config_selectorIddN6thrust23THRUST_200600_302600_NS4plusIdEEEEZZNS1_33reduce_by_key_impl_wrapped_configILNS1_25lookback_scan_determinismE0ES3_S9_NS6_6detail15normal_iteratorINS6_10device_ptrIdEEEESG_SG_SG_PmS8_22is_equal_div_10_reduceIdEEE10hipError_tPvRmT2_T3_mT4_T5_T6_T7_T8_P12ihipStream_tbENKUlT_T0_E_clISt17integral_constantIbLb0EES10_IbLb1EEEEDaSW_SX_EUlSW_E_NS1_11comp_targetILNS1_3genE3ELNS1_11target_archE908ELNS1_3gpuE7ELNS1_3repE0EEENS1_30default_config_static_selectorELNS0_4arch9wavefront6targetE1EEEvT1_,comdat
	.protected	_ZN7rocprim17ROCPRIM_400000_NS6detail17trampoline_kernelINS0_14default_configENS1_29reduce_by_key_config_selectorIddN6thrust23THRUST_200600_302600_NS4plusIdEEEEZZNS1_33reduce_by_key_impl_wrapped_configILNS1_25lookback_scan_determinismE0ES3_S9_NS6_6detail15normal_iteratorINS6_10device_ptrIdEEEESG_SG_SG_PmS8_22is_equal_div_10_reduceIdEEE10hipError_tPvRmT2_T3_mT4_T5_T6_T7_T8_P12ihipStream_tbENKUlT_T0_E_clISt17integral_constantIbLb0EES10_IbLb1EEEEDaSW_SX_EUlSW_E_NS1_11comp_targetILNS1_3genE3ELNS1_11target_archE908ELNS1_3gpuE7ELNS1_3repE0EEENS1_30default_config_static_selectorELNS0_4arch9wavefront6targetE1EEEvT1_ ; -- Begin function _ZN7rocprim17ROCPRIM_400000_NS6detail17trampoline_kernelINS0_14default_configENS1_29reduce_by_key_config_selectorIddN6thrust23THRUST_200600_302600_NS4plusIdEEEEZZNS1_33reduce_by_key_impl_wrapped_configILNS1_25lookback_scan_determinismE0ES3_S9_NS6_6detail15normal_iteratorINS6_10device_ptrIdEEEESG_SG_SG_PmS8_22is_equal_div_10_reduceIdEEE10hipError_tPvRmT2_T3_mT4_T5_T6_T7_T8_P12ihipStream_tbENKUlT_T0_E_clISt17integral_constantIbLb0EES10_IbLb1EEEEDaSW_SX_EUlSW_E_NS1_11comp_targetILNS1_3genE3ELNS1_11target_archE908ELNS1_3gpuE7ELNS1_3repE0EEENS1_30default_config_static_selectorELNS0_4arch9wavefront6targetE1EEEvT1_
	.globl	_ZN7rocprim17ROCPRIM_400000_NS6detail17trampoline_kernelINS0_14default_configENS1_29reduce_by_key_config_selectorIddN6thrust23THRUST_200600_302600_NS4plusIdEEEEZZNS1_33reduce_by_key_impl_wrapped_configILNS1_25lookback_scan_determinismE0ES3_S9_NS6_6detail15normal_iteratorINS6_10device_ptrIdEEEESG_SG_SG_PmS8_22is_equal_div_10_reduceIdEEE10hipError_tPvRmT2_T3_mT4_T5_T6_T7_T8_P12ihipStream_tbENKUlT_T0_E_clISt17integral_constantIbLb0EES10_IbLb1EEEEDaSW_SX_EUlSW_E_NS1_11comp_targetILNS1_3genE3ELNS1_11target_archE908ELNS1_3gpuE7ELNS1_3repE0EEENS1_30default_config_static_selectorELNS0_4arch9wavefront6targetE1EEEvT1_
	.p2align	8
	.type	_ZN7rocprim17ROCPRIM_400000_NS6detail17trampoline_kernelINS0_14default_configENS1_29reduce_by_key_config_selectorIddN6thrust23THRUST_200600_302600_NS4plusIdEEEEZZNS1_33reduce_by_key_impl_wrapped_configILNS1_25lookback_scan_determinismE0ES3_S9_NS6_6detail15normal_iteratorINS6_10device_ptrIdEEEESG_SG_SG_PmS8_22is_equal_div_10_reduceIdEEE10hipError_tPvRmT2_T3_mT4_T5_T6_T7_T8_P12ihipStream_tbENKUlT_T0_E_clISt17integral_constantIbLb0EES10_IbLb1EEEEDaSW_SX_EUlSW_E_NS1_11comp_targetILNS1_3genE3ELNS1_11target_archE908ELNS1_3gpuE7ELNS1_3repE0EEENS1_30default_config_static_selectorELNS0_4arch9wavefront6targetE1EEEvT1_,@function
_ZN7rocprim17ROCPRIM_400000_NS6detail17trampoline_kernelINS0_14default_configENS1_29reduce_by_key_config_selectorIddN6thrust23THRUST_200600_302600_NS4plusIdEEEEZZNS1_33reduce_by_key_impl_wrapped_configILNS1_25lookback_scan_determinismE0ES3_S9_NS6_6detail15normal_iteratorINS6_10device_ptrIdEEEESG_SG_SG_PmS8_22is_equal_div_10_reduceIdEEE10hipError_tPvRmT2_T3_mT4_T5_T6_T7_T8_P12ihipStream_tbENKUlT_T0_E_clISt17integral_constantIbLb0EES10_IbLb1EEEEDaSW_SX_EUlSW_E_NS1_11comp_targetILNS1_3genE3ELNS1_11target_archE908ELNS1_3gpuE7ELNS1_3repE0EEENS1_30default_config_static_selectorELNS0_4arch9wavefront6targetE1EEEvT1_: ; @_ZN7rocprim17ROCPRIM_400000_NS6detail17trampoline_kernelINS0_14default_configENS1_29reduce_by_key_config_selectorIddN6thrust23THRUST_200600_302600_NS4plusIdEEEEZZNS1_33reduce_by_key_impl_wrapped_configILNS1_25lookback_scan_determinismE0ES3_S9_NS6_6detail15normal_iteratorINS6_10device_ptrIdEEEESG_SG_SG_PmS8_22is_equal_div_10_reduceIdEEE10hipError_tPvRmT2_T3_mT4_T5_T6_T7_T8_P12ihipStream_tbENKUlT_T0_E_clISt17integral_constantIbLb0EES10_IbLb1EEEEDaSW_SX_EUlSW_E_NS1_11comp_targetILNS1_3genE3ELNS1_11target_archE908ELNS1_3gpuE7ELNS1_3repE0EEENS1_30default_config_static_selectorELNS0_4arch9wavefront6targetE1EEEvT1_
; %bb.0:
	.section	.rodata,"a",@progbits
	.p2align	6, 0x0
	.amdhsa_kernel _ZN7rocprim17ROCPRIM_400000_NS6detail17trampoline_kernelINS0_14default_configENS1_29reduce_by_key_config_selectorIddN6thrust23THRUST_200600_302600_NS4plusIdEEEEZZNS1_33reduce_by_key_impl_wrapped_configILNS1_25lookback_scan_determinismE0ES3_S9_NS6_6detail15normal_iteratorINS6_10device_ptrIdEEEESG_SG_SG_PmS8_22is_equal_div_10_reduceIdEEE10hipError_tPvRmT2_T3_mT4_T5_T6_T7_T8_P12ihipStream_tbENKUlT_T0_E_clISt17integral_constantIbLb0EES10_IbLb1EEEEDaSW_SX_EUlSW_E_NS1_11comp_targetILNS1_3genE3ELNS1_11target_archE908ELNS1_3gpuE7ELNS1_3repE0EEENS1_30default_config_static_selectorELNS0_4arch9wavefront6targetE1EEEvT1_
		.amdhsa_group_segment_fixed_size 0
		.amdhsa_private_segment_fixed_size 0
		.amdhsa_kernarg_size 136
		.amdhsa_user_sgpr_count 6
		.amdhsa_user_sgpr_private_segment_buffer 1
		.amdhsa_user_sgpr_dispatch_ptr 0
		.amdhsa_user_sgpr_queue_ptr 0
		.amdhsa_user_sgpr_kernarg_segment_ptr 1
		.amdhsa_user_sgpr_dispatch_id 0
		.amdhsa_user_sgpr_flat_scratch_init 0
		.amdhsa_user_sgpr_kernarg_preload_length 0
		.amdhsa_user_sgpr_kernarg_preload_offset 0
		.amdhsa_user_sgpr_private_segment_size 0
		.amdhsa_uses_dynamic_stack 0
		.amdhsa_system_sgpr_private_segment_wavefront_offset 0
		.amdhsa_system_sgpr_workgroup_id_x 1
		.amdhsa_system_sgpr_workgroup_id_y 0
		.amdhsa_system_sgpr_workgroup_id_z 0
		.amdhsa_system_sgpr_workgroup_info 0
		.amdhsa_system_vgpr_workitem_id 0
		.amdhsa_next_free_vgpr 1
		.amdhsa_next_free_sgpr 0
		.amdhsa_accum_offset 4
		.amdhsa_reserve_vcc 0
		.amdhsa_reserve_flat_scratch 0
		.amdhsa_float_round_mode_32 0
		.amdhsa_float_round_mode_16_64 0
		.amdhsa_float_denorm_mode_32 3
		.amdhsa_float_denorm_mode_16_64 3
		.amdhsa_dx10_clamp 1
		.amdhsa_ieee_mode 1
		.amdhsa_fp16_overflow 0
		.amdhsa_tg_split 0
		.amdhsa_exception_fp_ieee_invalid_op 0
		.amdhsa_exception_fp_denorm_src 0
		.amdhsa_exception_fp_ieee_div_zero 0
		.amdhsa_exception_fp_ieee_overflow 0
		.amdhsa_exception_fp_ieee_underflow 0
		.amdhsa_exception_fp_ieee_inexact 0
		.amdhsa_exception_int_div_zero 0
	.end_amdhsa_kernel
	.section	.text._ZN7rocprim17ROCPRIM_400000_NS6detail17trampoline_kernelINS0_14default_configENS1_29reduce_by_key_config_selectorIddN6thrust23THRUST_200600_302600_NS4plusIdEEEEZZNS1_33reduce_by_key_impl_wrapped_configILNS1_25lookback_scan_determinismE0ES3_S9_NS6_6detail15normal_iteratorINS6_10device_ptrIdEEEESG_SG_SG_PmS8_22is_equal_div_10_reduceIdEEE10hipError_tPvRmT2_T3_mT4_T5_T6_T7_T8_P12ihipStream_tbENKUlT_T0_E_clISt17integral_constantIbLb0EES10_IbLb1EEEEDaSW_SX_EUlSW_E_NS1_11comp_targetILNS1_3genE3ELNS1_11target_archE908ELNS1_3gpuE7ELNS1_3repE0EEENS1_30default_config_static_selectorELNS0_4arch9wavefront6targetE1EEEvT1_,"axG",@progbits,_ZN7rocprim17ROCPRIM_400000_NS6detail17trampoline_kernelINS0_14default_configENS1_29reduce_by_key_config_selectorIddN6thrust23THRUST_200600_302600_NS4plusIdEEEEZZNS1_33reduce_by_key_impl_wrapped_configILNS1_25lookback_scan_determinismE0ES3_S9_NS6_6detail15normal_iteratorINS6_10device_ptrIdEEEESG_SG_SG_PmS8_22is_equal_div_10_reduceIdEEE10hipError_tPvRmT2_T3_mT4_T5_T6_T7_T8_P12ihipStream_tbENKUlT_T0_E_clISt17integral_constantIbLb0EES10_IbLb1EEEEDaSW_SX_EUlSW_E_NS1_11comp_targetILNS1_3genE3ELNS1_11target_archE908ELNS1_3gpuE7ELNS1_3repE0EEENS1_30default_config_static_selectorELNS0_4arch9wavefront6targetE1EEEvT1_,comdat
.Lfunc_end81:
	.size	_ZN7rocprim17ROCPRIM_400000_NS6detail17trampoline_kernelINS0_14default_configENS1_29reduce_by_key_config_selectorIddN6thrust23THRUST_200600_302600_NS4plusIdEEEEZZNS1_33reduce_by_key_impl_wrapped_configILNS1_25lookback_scan_determinismE0ES3_S9_NS6_6detail15normal_iteratorINS6_10device_ptrIdEEEESG_SG_SG_PmS8_22is_equal_div_10_reduceIdEEE10hipError_tPvRmT2_T3_mT4_T5_T6_T7_T8_P12ihipStream_tbENKUlT_T0_E_clISt17integral_constantIbLb0EES10_IbLb1EEEEDaSW_SX_EUlSW_E_NS1_11comp_targetILNS1_3genE3ELNS1_11target_archE908ELNS1_3gpuE7ELNS1_3repE0EEENS1_30default_config_static_selectorELNS0_4arch9wavefront6targetE1EEEvT1_, .Lfunc_end81-_ZN7rocprim17ROCPRIM_400000_NS6detail17trampoline_kernelINS0_14default_configENS1_29reduce_by_key_config_selectorIddN6thrust23THRUST_200600_302600_NS4plusIdEEEEZZNS1_33reduce_by_key_impl_wrapped_configILNS1_25lookback_scan_determinismE0ES3_S9_NS6_6detail15normal_iteratorINS6_10device_ptrIdEEEESG_SG_SG_PmS8_22is_equal_div_10_reduceIdEEE10hipError_tPvRmT2_T3_mT4_T5_T6_T7_T8_P12ihipStream_tbENKUlT_T0_E_clISt17integral_constantIbLb0EES10_IbLb1EEEEDaSW_SX_EUlSW_E_NS1_11comp_targetILNS1_3genE3ELNS1_11target_archE908ELNS1_3gpuE7ELNS1_3repE0EEENS1_30default_config_static_selectorELNS0_4arch9wavefront6targetE1EEEvT1_
                                        ; -- End function
	.section	.AMDGPU.csdata,"",@progbits
; Kernel info:
; codeLenInByte = 0
; NumSgprs: 4
; NumVgprs: 0
; NumAgprs: 0
; TotalNumVgprs: 0
; ScratchSize: 0
; MemoryBound: 0
; FloatMode: 240
; IeeeMode: 1
; LDSByteSize: 0 bytes/workgroup (compile time only)
; SGPRBlocks: 0
; VGPRBlocks: 0
; NumSGPRsForWavesPerEU: 4
; NumVGPRsForWavesPerEU: 1
; AccumOffset: 4
; Occupancy: 8
; WaveLimiterHint : 0
; COMPUTE_PGM_RSRC2:SCRATCH_EN: 0
; COMPUTE_PGM_RSRC2:USER_SGPR: 6
; COMPUTE_PGM_RSRC2:TRAP_HANDLER: 0
; COMPUTE_PGM_RSRC2:TGID_X_EN: 1
; COMPUTE_PGM_RSRC2:TGID_Y_EN: 0
; COMPUTE_PGM_RSRC2:TGID_Z_EN: 0
; COMPUTE_PGM_RSRC2:TIDIG_COMP_CNT: 0
; COMPUTE_PGM_RSRC3_GFX90A:ACCUM_OFFSET: 0
; COMPUTE_PGM_RSRC3_GFX90A:TG_SPLIT: 0
	.section	.text._ZN7rocprim17ROCPRIM_400000_NS6detail17trampoline_kernelINS0_14default_configENS1_29reduce_by_key_config_selectorIddN6thrust23THRUST_200600_302600_NS4plusIdEEEEZZNS1_33reduce_by_key_impl_wrapped_configILNS1_25lookback_scan_determinismE0ES3_S9_NS6_6detail15normal_iteratorINS6_10device_ptrIdEEEESG_SG_SG_PmS8_22is_equal_div_10_reduceIdEEE10hipError_tPvRmT2_T3_mT4_T5_T6_T7_T8_P12ihipStream_tbENKUlT_T0_E_clISt17integral_constantIbLb0EES10_IbLb1EEEEDaSW_SX_EUlSW_E_NS1_11comp_targetILNS1_3genE2ELNS1_11target_archE906ELNS1_3gpuE6ELNS1_3repE0EEENS1_30default_config_static_selectorELNS0_4arch9wavefront6targetE1EEEvT1_,"axG",@progbits,_ZN7rocprim17ROCPRIM_400000_NS6detail17trampoline_kernelINS0_14default_configENS1_29reduce_by_key_config_selectorIddN6thrust23THRUST_200600_302600_NS4plusIdEEEEZZNS1_33reduce_by_key_impl_wrapped_configILNS1_25lookback_scan_determinismE0ES3_S9_NS6_6detail15normal_iteratorINS6_10device_ptrIdEEEESG_SG_SG_PmS8_22is_equal_div_10_reduceIdEEE10hipError_tPvRmT2_T3_mT4_T5_T6_T7_T8_P12ihipStream_tbENKUlT_T0_E_clISt17integral_constantIbLb0EES10_IbLb1EEEEDaSW_SX_EUlSW_E_NS1_11comp_targetILNS1_3genE2ELNS1_11target_archE906ELNS1_3gpuE6ELNS1_3repE0EEENS1_30default_config_static_selectorELNS0_4arch9wavefront6targetE1EEEvT1_,comdat
	.protected	_ZN7rocprim17ROCPRIM_400000_NS6detail17trampoline_kernelINS0_14default_configENS1_29reduce_by_key_config_selectorIddN6thrust23THRUST_200600_302600_NS4plusIdEEEEZZNS1_33reduce_by_key_impl_wrapped_configILNS1_25lookback_scan_determinismE0ES3_S9_NS6_6detail15normal_iteratorINS6_10device_ptrIdEEEESG_SG_SG_PmS8_22is_equal_div_10_reduceIdEEE10hipError_tPvRmT2_T3_mT4_T5_T6_T7_T8_P12ihipStream_tbENKUlT_T0_E_clISt17integral_constantIbLb0EES10_IbLb1EEEEDaSW_SX_EUlSW_E_NS1_11comp_targetILNS1_3genE2ELNS1_11target_archE906ELNS1_3gpuE6ELNS1_3repE0EEENS1_30default_config_static_selectorELNS0_4arch9wavefront6targetE1EEEvT1_ ; -- Begin function _ZN7rocprim17ROCPRIM_400000_NS6detail17trampoline_kernelINS0_14default_configENS1_29reduce_by_key_config_selectorIddN6thrust23THRUST_200600_302600_NS4plusIdEEEEZZNS1_33reduce_by_key_impl_wrapped_configILNS1_25lookback_scan_determinismE0ES3_S9_NS6_6detail15normal_iteratorINS6_10device_ptrIdEEEESG_SG_SG_PmS8_22is_equal_div_10_reduceIdEEE10hipError_tPvRmT2_T3_mT4_T5_T6_T7_T8_P12ihipStream_tbENKUlT_T0_E_clISt17integral_constantIbLb0EES10_IbLb1EEEEDaSW_SX_EUlSW_E_NS1_11comp_targetILNS1_3genE2ELNS1_11target_archE906ELNS1_3gpuE6ELNS1_3repE0EEENS1_30default_config_static_selectorELNS0_4arch9wavefront6targetE1EEEvT1_
	.globl	_ZN7rocprim17ROCPRIM_400000_NS6detail17trampoline_kernelINS0_14default_configENS1_29reduce_by_key_config_selectorIddN6thrust23THRUST_200600_302600_NS4plusIdEEEEZZNS1_33reduce_by_key_impl_wrapped_configILNS1_25lookback_scan_determinismE0ES3_S9_NS6_6detail15normal_iteratorINS6_10device_ptrIdEEEESG_SG_SG_PmS8_22is_equal_div_10_reduceIdEEE10hipError_tPvRmT2_T3_mT4_T5_T6_T7_T8_P12ihipStream_tbENKUlT_T0_E_clISt17integral_constantIbLb0EES10_IbLb1EEEEDaSW_SX_EUlSW_E_NS1_11comp_targetILNS1_3genE2ELNS1_11target_archE906ELNS1_3gpuE6ELNS1_3repE0EEENS1_30default_config_static_selectorELNS0_4arch9wavefront6targetE1EEEvT1_
	.p2align	8
	.type	_ZN7rocprim17ROCPRIM_400000_NS6detail17trampoline_kernelINS0_14default_configENS1_29reduce_by_key_config_selectorIddN6thrust23THRUST_200600_302600_NS4plusIdEEEEZZNS1_33reduce_by_key_impl_wrapped_configILNS1_25lookback_scan_determinismE0ES3_S9_NS6_6detail15normal_iteratorINS6_10device_ptrIdEEEESG_SG_SG_PmS8_22is_equal_div_10_reduceIdEEE10hipError_tPvRmT2_T3_mT4_T5_T6_T7_T8_P12ihipStream_tbENKUlT_T0_E_clISt17integral_constantIbLb0EES10_IbLb1EEEEDaSW_SX_EUlSW_E_NS1_11comp_targetILNS1_3genE2ELNS1_11target_archE906ELNS1_3gpuE6ELNS1_3repE0EEENS1_30default_config_static_selectorELNS0_4arch9wavefront6targetE1EEEvT1_,@function
_ZN7rocprim17ROCPRIM_400000_NS6detail17trampoline_kernelINS0_14default_configENS1_29reduce_by_key_config_selectorIddN6thrust23THRUST_200600_302600_NS4plusIdEEEEZZNS1_33reduce_by_key_impl_wrapped_configILNS1_25lookback_scan_determinismE0ES3_S9_NS6_6detail15normal_iteratorINS6_10device_ptrIdEEEESG_SG_SG_PmS8_22is_equal_div_10_reduceIdEEE10hipError_tPvRmT2_T3_mT4_T5_T6_T7_T8_P12ihipStream_tbENKUlT_T0_E_clISt17integral_constantIbLb0EES10_IbLb1EEEEDaSW_SX_EUlSW_E_NS1_11comp_targetILNS1_3genE2ELNS1_11target_archE906ELNS1_3gpuE6ELNS1_3repE0EEENS1_30default_config_static_selectorELNS0_4arch9wavefront6targetE1EEEvT1_: ; @_ZN7rocprim17ROCPRIM_400000_NS6detail17trampoline_kernelINS0_14default_configENS1_29reduce_by_key_config_selectorIddN6thrust23THRUST_200600_302600_NS4plusIdEEEEZZNS1_33reduce_by_key_impl_wrapped_configILNS1_25lookback_scan_determinismE0ES3_S9_NS6_6detail15normal_iteratorINS6_10device_ptrIdEEEESG_SG_SG_PmS8_22is_equal_div_10_reduceIdEEE10hipError_tPvRmT2_T3_mT4_T5_T6_T7_T8_P12ihipStream_tbENKUlT_T0_E_clISt17integral_constantIbLb0EES10_IbLb1EEEEDaSW_SX_EUlSW_E_NS1_11comp_targetILNS1_3genE2ELNS1_11target_archE906ELNS1_3gpuE6ELNS1_3repE0EEENS1_30default_config_static_selectorELNS0_4arch9wavefront6targetE1EEEvT1_
; %bb.0:
	.section	.rodata,"a",@progbits
	.p2align	6, 0x0
	.amdhsa_kernel _ZN7rocprim17ROCPRIM_400000_NS6detail17trampoline_kernelINS0_14default_configENS1_29reduce_by_key_config_selectorIddN6thrust23THRUST_200600_302600_NS4plusIdEEEEZZNS1_33reduce_by_key_impl_wrapped_configILNS1_25lookback_scan_determinismE0ES3_S9_NS6_6detail15normal_iteratorINS6_10device_ptrIdEEEESG_SG_SG_PmS8_22is_equal_div_10_reduceIdEEE10hipError_tPvRmT2_T3_mT4_T5_T6_T7_T8_P12ihipStream_tbENKUlT_T0_E_clISt17integral_constantIbLb0EES10_IbLb1EEEEDaSW_SX_EUlSW_E_NS1_11comp_targetILNS1_3genE2ELNS1_11target_archE906ELNS1_3gpuE6ELNS1_3repE0EEENS1_30default_config_static_selectorELNS0_4arch9wavefront6targetE1EEEvT1_
		.amdhsa_group_segment_fixed_size 0
		.amdhsa_private_segment_fixed_size 0
		.amdhsa_kernarg_size 136
		.amdhsa_user_sgpr_count 6
		.amdhsa_user_sgpr_private_segment_buffer 1
		.amdhsa_user_sgpr_dispatch_ptr 0
		.amdhsa_user_sgpr_queue_ptr 0
		.amdhsa_user_sgpr_kernarg_segment_ptr 1
		.amdhsa_user_sgpr_dispatch_id 0
		.amdhsa_user_sgpr_flat_scratch_init 0
		.amdhsa_user_sgpr_kernarg_preload_length 0
		.amdhsa_user_sgpr_kernarg_preload_offset 0
		.amdhsa_user_sgpr_private_segment_size 0
		.amdhsa_uses_dynamic_stack 0
		.amdhsa_system_sgpr_private_segment_wavefront_offset 0
		.amdhsa_system_sgpr_workgroup_id_x 1
		.amdhsa_system_sgpr_workgroup_id_y 0
		.amdhsa_system_sgpr_workgroup_id_z 0
		.amdhsa_system_sgpr_workgroup_info 0
		.amdhsa_system_vgpr_workitem_id 0
		.amdhsa_next_free_vgpr 1
		.amdhsa_next_free_sgpr 0
		.amdhsa_accum_offset 4
		.amdhsa_reserve_vcc 0
		.amdhsa_reserve_flat_scratch 0
		.amdhsa_float_round_mode_32 0
		.amdhsa_float_round_mode_16_64 0
		.amdhsa_float_denorm_mode_32 3
		.amdhsa_float_denorm_mode_16_64 3
		.amdhsa_dx10_clamp 1
		.amdhsa_ieee_mode 1
		.amdhsa_fp16_overflow 0
		.amdhsa_tg_split 0
		.amdhsa_exception_fp_ieee_invalid_op 0
		.amdhsa_exception_fp_denorm_src 0
		.amdhsa_exception_fp_ieee_div_zero 0
		.amdhsa_exception_fp_ieee_overflow 0
		.amdhsa_exception_fp_ieee_underflow 0
		.amdhsa_exception_fp_ieee_inexact 0
		.amdhsa_exception_int_div_zero 0
	.end_amdhsa_kernel
	.section	.text._ZN7rocprim17ROCPRIM_400000_NS6detail17trampoline_kernelINS0_14default_configENS1_29reduce_by_key_config_selectorIddN6thrust23THRUST_200600_302600_NS4plusIdEEEEZZNS1_33reduce_by_key_impl_wrapped_configILNS1_25lookback_scan_determinismE0ES3_S9_NS6_6detail15normal_iteratorINS6_10device_ptrIdEEEESG_SG_SG_PmS8_22is_equal_div_10_reduceIdEEE10hipError_tPvRmT2_T3_mT4_T5_T6_T7_T8_P12ihipStream_tbENKUlT_T0_E_clISt17integral_constantIbLb0EES10_IbLb1EEEEDaSW_SX_EUlSW_E_NS1_11comp_targetILNS1_3genE2ELNS1_11target_archE906ELNS1_3gpuE6ELNS1_3repE0EEENS1_30default_config_static_selectorELNS0_4arch9wavefront6targetE1EEEvT1_,"axG",@progbits,_ZN7rocprim17ROCPRIM_400000_NS6detail17trampoline_kernelINS0_14default_configENS1_29reduce_by_key_config_selectorIddN6thrust23THRUST_200600_302600_NS4plusIdEEEEZZNS1_33reduce_by_key_impl_wrapped_configILNS1_25lookback_scan_determinismE0ES3_S9_NS6_6detail15normal_iteratorINS6_10device_ptrIdEEEESG_SG_SG_PmS8_22is_equal_div_10_reduceIdEEE10hipError_tPvRmT2_T3_mT4_T5_T6_T7_T8_P12ihipStream_tbENKUlT_T0_E_clISt17integral_constantIbLb0EES10_IbLb1EEEEDaSW_SX_EUlSW_E_NS1_11comp_targetILNS1_3genE2ELNS1_11target_archE906ELNS1_3gpuE6ELNS1_3repE0EEENS1_30default_config_static_selectorELNS0_4arch9wavefront6targetE1EEEvT1_,comdat
.Lfunc_end82:
	.size	_ZN7rocprim17ROCPRIM_400000_NS6detail17trampoline_kernelINS0_14default_configENS1_29reduce_by_key_config_selectorIddN6thrust23THRUST_200600_302600_NS4plusIdEEEEZZNS1_33reduce_by_key_impl_wrapped_configILNS1_25lookback_scan_determinismE0ES3_S9_NS6_6detail15normal_iteratorINS6_10device_ptrIdEEEESG_SG_SG_PmS8_22is_equal_div_10_reduceIdEEE10hipError_tPvRmT2_T3_mT4_T5_T6_T7_T8_P12ihipStream_tbENKUlT_T0_E_clISt17integral_constantIbLb0EES10_IbLb1EEEEDaSW_SX_EUlSW_E_NS1_11comp_targetILNS1_3genE2ELNS1_11target_archE906ELNS1_3gpuE6ELNS1_3repE0EEENS1_30default_config_static_selectorELNS0_4arch9wavefront6targetE1EEEvT1_, .Lfunc_end82-_ZN7rocprim17ROCPRIM_400000_NS6detail17trampoline_kernelINS0_14default_configENS1_29reduce_by_key_config_selectorIddN6thrust23THRUST_200600_302600_NS4plusIdEEEEZZNS1_33reduce_by_key_impl_wrapped_configILNS1_25lookback_scan_determinismE0ES3_S9_NS6_6detail15normal_iteratorINS6_10device_ptrIdEEEESG_SG_SG_PmS8_22is_equal_div_10_reduceIdEEE10hipError_tPvRmT2_T3_mT4_T5_T6_T7_T8_P12ihipStream_tbENKUlT_T0_E_clISt17integral_constantIbLb0EES10_IbLb1EEEEDaSW_SX_EUlSW_E_NS1_11comp_targetILNS1_3genE2ELNS1_11target_archE906ELNS1_3gpuE6ELNS1_3repE0EEENS1_30default_config_static_selectorELNS0_4arch9wavefront6targetE1EEEvT1_
                                        ; -- End function
	.section	.AMDGPU.csdata,"",@progbits
; Kernel info:
; codeLenInByte = 0
; NumSgprs: 4
; NumVgprs: 0
; NumAgprs: 0
; TotalNumVgprs: 0
; ScratchSize: 0
; MemoryBound: 0
; FloatMode: 240
; IeeeMode: 1
; LDSByteSize: 0 bytes/workgroup (compile time only)
; SGPRBlocks: 0
; VGPRBlocks: 0
; NumSGPRsForWavesPerEU: 4
; NumVGPRsForWavesPerEU: 1
; AccumOffset: 4
; Occupancy: 8
; WaveLimiterHint : 0
; COMPUTE_PGM_RSRC2:SCRATCH_EN: 0
; COMPUTE_PGM_RSRC2:USER_SGPR: 6
; COMPUTE_PGM_RSRC2:TRAP_HANDLER: 0
; COMPUTE_PGM_RSRC2:TGID_X_EN: 1
; COMPUTE_PGM_RSRC2:TGID_Y_EN: 0
; COMPUTE_PGM_RSRC2:TGID_Z_EN: 0
; COMPUTE_PGM_RSRC2:TIDIG_COMP_CNT: 0
; COMPUTE_PGM_RSRC3_GFX90A:ACCUM_OFFSET: 0
; COMPUTE_PGM_RSRC3_GFX90A:TG_SPLIT: 0
	.section	.text._ZN7rocprim17ROCPRIM_400000_NS6detail17trampoline_kernelINS0_14default_configENS1_29reduce_by_key_config_selectorIddN6thrust23THRUST_200600_302600_NS4plusIdEEEEZZNS1_33reduce_by_key_impl_wrapped_configILNS1_25lookback_scan_determinismE0ES3_S9_NS6_6detail15normal_iteratorINS6_10device_ptrIdEEEESG_SG_SG_PmS8_22is_equal_div_10_reduceIdEEE10hipError_tPvRmT2_T3_mT4_T5_T6_T7_T8_P12ihipStream_tbENKUlT_T0_E_clISt17integral_constantIbLb0EES10_IbLb1EEEEDaSW_SX_EUlSW_E_NS1_11comp_targetILNS1_3genE10ELNS1_11target_archE1201ELNS1_3gpuE5ELNS1_3repE0EEENS1_30default_config_static_selectorELNS0_4arch9wavefront6targetE1EEEvT1_,"axG",@progbits,_ZN7rocprim17ROCPRIM_400000_NS6detail17trampoline_kernelINS0_14default_configENS1_29reduce_by_key_config_selectorIddN6thrust23THRUST_200600_302600_NS4plusIdEEEEZZNS1_33reduce_by_key_impl_wrapped_configILNS1_25lookback_scan_determinismE0ES3_S9_NS6_6detail15normal_iteratorINS6_10device_ptrIdEEEESG_SG_SG_PmS8_22is_equal_div_10_reduceIdEEE10hipError_tPvRmT2_T3_mT4_T5_T6_T7_T8_P12ihipStream_tbENKUlT_T0_E_clISt17integral_constantIbLb0EES10_IbLb1EEEEDaSW_SX_EUlSW_E_NS1_11comp_targetILNS1_3genE10ELNS1_11target_archE1201ELNS1_3gpuE5ELNS1_3repE0EEENS1_30default_config_static_selectorELNS0_4arch9wavefront6targetE1EEEvT1_,comdat
	.protected	_ZN7rocprim17ROCPRIM_400000_NS6detail17trampoline_kernelINS0_14default_configENS1_29reduce_by_key_config_selectorIddN6thrust23THRUST_200600_302600_NS4plusIdEEEEZZNS1_33reduce_by_key_impl_wrapped_configILNS1_25lookback_scan_determinismE0ES3_S9_NS6_6detail15normal_iteratorINS6_10device_ptrIdEEEESG_SG_SG_PmS8_22is_equal_div_10_reduceIdEEE10hipError_tPvRmT2_T3_mT4_T5_T6_T7_T8_P12ihipStream_tbENKUlT_T0_E_clISt17integral_constantIbLb0EES10_IbLb1EEEEDaSW_SX_EUlSW_E_NS1_11comp_targetILNS1_3genE10ELNS1_11target_archE1201ELNS1_3gpuE5ELNS1_3repE0EEENS1_30default_config_static_selectorELNS0_4arch9wavefront6targetE1EEEvT1_ ; -- Begin function _ZN7rocprim17ROCPRIM_400000_NS6detail17trampoline_kernelINS0_14default_configENS1_29reduce_by_key_config_selectorIddN6thrust23THRUST_200600_302600_NS4plusIdEEEEZZNS1_33reduce_by_key_impl_wrapped_configILNS1_25lookback_scan_determinismE0ES3_S9_NS6_6detail15normal_iteratorINS6_10device_ptrIdEEEESG_SG_SG_PmS8_22is_equal_div_10_reduceIdEEE10hipError_tPvRmT2_T3_mT4_T5_T6_T7_T8_P12ihipStream_tbENKUlT_T0_E_clISt17integral_constantIbLb0EES10_IbLb1EEEEDaSW_SX_EUlSW_E_NS1_11comp_targetILNS1_3genE10ELNS1_11target_archE1201ELNS1_3gpuE5ELNS1_3repE0EEENS1_30default_config_static_selectorELNS0_4arch9wavefront6targetE1EEEvT1_
	.globl	_ZN7rocprim17ROCPRIM_400000_NS6detail17trampoline_kernelINS0_14default_configENS1_29reduce_by_key_config_selectorIddN6thrust23THRUST_200600_302600_NS4plusIdEEEEZZNS1_33reduce_by_key_impl_wrapped_configILNS1_25lookback_scan_determinismE0ES3_S9_NS6_6detail15normal_iteratorINS6_10device_ptrIdEEEESG_SG_SG_PmS8_22is_equal_div_10_reduceIdEEE10hipError_tPvRmT2_T3_mT4_T5_T6_T7_T8_P12ihipStream_tbENKUlT_T0_E_clISt17integral_constantIbLb0EES10_IbLb1EEEEDaSW_SX_EUlSW_E_NS1_11comp_targetILNS1_3genE10ELNS1_11target_archE1201ELNS1_3gpuE5ELNS1_3repE0EEENS1_30default_config_static_selectorELNS0_4arch9wavefront6targetE1EEEvT1_
	.p2align	8
	.type	_ZN7rocprim17ROCPRIM_400000_NS6detail17trampoline_kernelINS0_14default_configENS1_29reduce_by_key_config_selectorIddN6thrust23THRUST_200600_302600_NS4plusIdEEEEZZNS1_33reduce_by_key_impl_wrapped_configILNS1_25lookback_scan_determinismE0ES3_S9_NS6_6detail15normal_iteratorINS6_10device_ptrIdEEEESG_SG_SG_PmS8_22is_equal_div_10_reduceIdEEE10hipError_tPvRmT2_T3_mT4_T5_T6_T7_T8_P12ihipStream_tbENKUlT_T0_E_clISt17integral_constantIbLb0EES10_IbLb1EEEEDaSW_SX_EUlSW_E_NS1_11comp_targetILNS1_3genE10ELNS1_11target_archE1201ELNS1_3gpuE5ELNS1_3repE0EEENS1_30default_config_static_selectorELNS0_4arch9wavefront6targetE1EEEvT1_,@function
_ZN7rocprim17ROCPRIM_400000_NS6detail17trampoline_kernelINS0_14default_configENS1_29reduce_by_key_config_selectorIddN6thrust23THRUST_200600_302600_NS4plusIdEEEEZZNS1_33reduce_by_key_impl_wrapped_configILNS1_25lookback_scan_determinismE0ES3_S9_NS6_6detail15normal_iteratorINS6_10device_ptrIdEEEESG_SG_SG_PmS8_22is_equal_div_10_reduceIdEEE10hipError_tPvRmT2_T3_mT4_T5_T6_T7_T8_P12ihipStream_tbENKUlT_T0_E_clISt17integral_constantIbLb0EES10_IbLb1EEEEDaSW_SX_EUlSW_E_NS1_11comp_targetILNS1_3genE10ELNS1_11target_archE1201ELNS1_3gpuE5ELNS1_3repE0EEENS1_30default_config_static_selectorELNS0_4arch9wavefront6targetE1EEEvT1_: ; @_ZN7rocprim17ROCPRIM_400000_NS6detail17trampoline_kernelINS0_14default_configENS1_29reduce_by_key_config_selectorIddN6thrust23THRUST_200600_302600_NS4plusIdEEEEZZNS1_33reduce_by_key_impl_wrapped_configILNS1_25lookback_scan_determinismE0ES3_S9_NS6_6detail15normal_iteratorINS6_10device_ptrIdEEEESG_SG_SG_PmS8_22is_equal_div_10_reduceIdEEE10hipError_tPvRmT2_T3_mT4_T5_T6_T7_T8_P12ihipStream_tbENKUlT_T0_E_clISt17integral_constantIbLb0EES10_IbLb1EEEEDaSW_SX_EUlSW_E_NS1_11comp_targetILNS1_3genE10ELNS1_11target_archE1201ELNS1_3gpuE5ELNS1_3repE0EEENS1_30default_config_static_selectorELNS0_4arch9wavefront6targetE1EEEvT1_
; %bb.0:
	.section	.rodata,"a",@progbits
	.p2align	6, 0x0
	.amdhsa_kernel _ZN7rocprim17ROCPRIM_400000_NS6detail17trampoline_kernelINS0_14default_configENS1_29reduce_by_key_config_selectorIddN6thrust23THRUST_200600_302600_NS4plusIdEEEEZZNS1_33reduce_by_key_impl_wrapped_configILNS1_25lookback_scan_determinismE0ES3_S9_NS6_6detail15normal_iteratorINS6_10device_ptrIdEEEESG_SG_SG_PmS8_22is_equal_div_10_reduceIdEEE10hipError_tPvRmT2_T3_mT4_T5_T6_T7_T8_P12ihipStream_tbENKUlT_T0_E_clISt17integral_constantIbLb0EES10_IbLb1EEEEDaSW_SX_EUlSW_E_NS1_11comp_targetILNS1_3genE10ELNS1_11target_archE1201ELNS1_3gpuE5ELNS1_3repE0EEENS1_30default_config_static_selectorELNS0_4arch9wavefront6targetE1EEEvT1_
		.amdhsa_group_segment_fixed_size 0
		.amdhsa_private_segment_fixed_size 0
		.amdhsa_kernarg_size 136
		.amdhsa_user_sgpr_count 6
		.amdhsa_user_sgpr_private_segment_buffer 1
		.amdhsa_user_sgpr_dispatch_ptr 0
		.amdhsa_user_sgpr_queue_ptr 0
		.amdhsa_user_sgpr_kernarg_segment_ptr 1
		.amdhsa_user_sgpr_dispatch_id 0
		.amdhsa_user_sgpr_flat_scratch_init 0
		.amdhsa_user_sgpr_kernarg_preload_length 0
		.amdhsa_user_sgpr_kernarg_preload_offset 0
		.amdhsa_user_sgpr_private_segment_size 0
		.amdhsa_uses_dynamic_stack 0
		.amdhsa_system_sgpr_private_segment_wavefront_offset 0
		.amdhsa_system_sgpr_workgroup_id_x 1
		.amdhsa_system_sgpr_workgroup_id_y 0
		.amdhsa_system_sgpr_workgroup_id_z 0
		.amdhsa_system_sgpr_workgroup_info 0
		.amdhsa_system_vgpr_workitem_id 0
		.amdhsa_next_free_vgpr 1
		.amdhsa_next_free_sgpr 0
		.amdhsa_accum_offset 4
		.amdhsa_reserve_vcc 0
		.amdhsa_reserve_flat_scratch 0
		.amdhsa_float_round_mode_32 0
		.amdhsa_float_round_mode_16_64 0
		.amdhsa_float_denorm_mode_32 3
		.amdhsa_float_denorm_mode_16_64 3
		.amdhsa_dx10_clamp 1
		.amdhsa_ieee_mode 1
		.amdhsa_fp16_overflow 0
		.amdhsa_tg_split 0
		.amdhsa_exception_fp_ieee_invalid_op 0
		.amdhsa_exception_fp_denorm_src 0
		.amdhsa_exception_fp_ieee_div_zero 0
		.amdhsa_exception_fp_ieee_overflow 0
		.amdhsa_exception_fp_ieee_underflow 0
		.amdhsa_exception_fp_ieee_inexact 0
		.amdhsa_exception_int_div_zero 0
	.end_amdhsa_kernel
	.section	.text._ZN7rocprim17ROCPRIM_400000_NS6detail17trampoline_kernelINS0_14default_configENS1_29reduce_by_key_config_selectorIddN6thrust23THRUST_200600_302600_NS4plusIdEEEEZZNS1_33reduce_by_key_impl_wrapped_configILNS1_25lookback_scan_determinismE0ES3_S9_NS6_6detail15normal_iteratorINS6_10device_ptrIdEEEESG_SG_SG_PmS8_22is_equal_div_10_reduceIdEEE10hipError_tPvRmT2_T3_mT4_T5_T6_T7_T8_P12ihipStream_tbENKUlT_T0_E_clISt17integral_constantIbLb0EES10_IbLb1EEEEDaSW_SX_EUlSW_E_NS1_11comp_targetILNS1_3genE10ELNS1_11target_archE1201ELNS1_3gpuE5ELNS1_3repE0EEENS1_30default_config_static_selectorELNS0_4arch9wavefront6targetE1EEEvT1_,"axG",@progbits,_ZN7rocprim17ROCPRIM_400000_NS6detail17trampoline_kernelINS0_14default_configENS1_29reduce_by_key_config_selectorIddN6thrust23THRUST_200600_302600_NS4plusIdEEEEZZNS1_33reduce_by_key_impl_wrapped_configILNS1_25lookback_scan_determinismE0ES3_S9_NS6_6detail15normal_iteratorINS6_10device_ptrIdEEEESG_SG_SG_PmS8_22is_equal_div_10_reduceIdEEE10hipError_tPvRmT2_T3_mT4_T5_T6_T7_T8_P12ihipStream_tbENKUlT_T0_E_clISt17integral_constantIbLb0EES10_IbLb1EEEEDaSW_SX_EUlSW_E_NS1_11comp_targetILNS1_3genE10ELNS1_11target_archE1201ELNS1_3gpuE5ELNS1_3repE0EEENS1_30default_config_static_selectorELNS0_4arch9wavefront6targetE1EEEvT1_,comdat
.Lfunc_end83:
	.size	_ZN7rocprim17ROCPRIM_400000_NS6detail17trampoline_kernelINS0_14default_configENS1_29reduce_by_key_config_selectorIddN6thrust23THRUST_200600_302600_NS4plusIdEEEEZZNS1_33reduce_by_key_impl_wrapped_configILNS1_25lookback_scan_determinismE0ES3_S9_NS6_6detail15normal_iteratorINS6_10device_ptrIdEEEESG_SG_SG_PmS8_22is_equal_div_10_reduceIdEEE10hipError_tPvRmT2_T3_mT4_T5_T6_T7_T8_P12ihipStream_tbENKUlT_T0_E_clISt17integral_constantIbLb0EES10_IbLb1EEEEDaSW_SX_EUlSW_E_NS1_11comp_targetILNS1_3genE10ELNS1_11target_archE1201ELNS1_3gpuE5ELNS1_3repE0EEENS1_30default_config_static_selectorELNS0_4arch9wavefront6targetE1EEEvT1_, .Lfunc_end83-_ZN7rocprim17ROCPRIM_400000_NS6detail17trampoline_kernelINS0_14default_configENS1_29reduce_by_key_config_selectorIddN6thrust23THRUST_200600_302600_NS4plusIdEEEEZZNS1_33reduce_by_key_impl_wrapped_configILNS1_25lookback_scan_determinismE0ES3_S9_NS6_6detail15normal_iteratorINS6_10device_ptrIdEEEESG_SG_SG_PmS8_22is_equal_div_10_reduceIdEEE10hipError_tPvRmT2_T3_mT4_T5_T6_T7_T8_P12ihipStream_tbENKUlT_T0_E_clISt17integral_constantIbLb0EES10_IbLb1EEEEDaSW_SX_EUlSW_E_NS1_11comp_targetILNS1_3genE10ELNS1_11target_archE1201ELNS1_3gpuE5ELNS1_3repE0EEENS1_30default_config_static_selectorELNS0_4arch9wavefront6targetE1EEEvT1_
                                        ; -- End function
	.section	.AMDGPU.csdata,"",@progbits
; Kernel info:
; codeLenInByte = 0
; NumSgprs: 4
; NumVgprs: 0
; NumAgprs: 0
; TotalNumVgprs: 0
; ScratchSize: 0
; MemoryBound: 0
; FloatMode: 240
; IeeeMode: 1
; LDSByteSize: 0 bytes/workgroup (compile time only)
; SGPRBlocks: 0
; VGPRBlocks: 0
; NumSGPRsForWavesPerEU: 4
; NumVGPRsForWavesPerEU: 1
; AccumOffset: 4
; Occupancy: 8
; WaveLimiterHint : 0
; COMPUTE_PGM_RSRC2:SCRATCH_EN: 0
; COMPUTE_PGM_RSRC2:USER_SGPR: 6
; COMPUTE_PGM_RSRC2:TRAP_HANDLER: 0
; COMPUTE_PGM_RSRC2:TGID_X_EN: 1
; COMPUTE_PGM_RSRC2:TGID_Y_EN: 0
; COMPUTE_PGM_RSRC2:TGID_Z_EN: 0
; COMPUTE_PGM_RSRC2:TIDIG_COMP_CNT: 0
; COMPUTE_PGM_RSRC3_GFX90A:ACCUM_OFFSET: 0
; COMPUTE_PGM_RSRC3_GFX90A:TG_SPLIT: 0
	.section	.text._ZN7rocprim17ROCPRIM_400000_NS6detail17trampoline_kernelINS0_14default_configENS1_29reduce_by_key_config_selectorIddN6thrust23THRUST_200600_302600_NS4plusIdEEEEZZNS1_33reduce_by_key_impl_wrapped_configILNS1_25lookback_scan_determinismE0ES3_S9_NS6_6detail15normal_iteratorINS6_10device_ptrIdEEEESG_SG_SG_PmS8_22is_equal_div_10_reduceIdEEE10hipError_tPvRmT2_T3_mT4_T5_T6_T7_T8_P12ihipStream_tbENKUlT_T0_E_clISt17integral_constantIbLb0EES10_IbLb1EEEEDaSW_SX_EUlSW_E_NS1_11comp_targetILNS1_3genE10ELNS1_11target_archE1200ELNS1_3gpuE4ELNS1_3repE0EEENS1_30default_config_static_selectorELNS0_4arch9wavefront6targetE1EEEvT1_,"axG",@progbits,_ZN7rocprim17ROCPRIM_400000_NS6detail17trampoline_kernelINS0_14default_configENS1_29reduce_by_key_config_selectorIddN6thrust23THRUST_200600_302600_NS4plusIdEEEEZZNS1_33reduce_by_key_impl_wrapped_configILNS1_25lookback_scan_determinismE0ES3_S9_NS6_6detail15normal_iteratorINS6_10device_ptrIdEEEESG_SG_SG_PmS8_22is_equal_div_10_reduceIdEEE10hipError_tPvRmT2_T3_mT4_T5_T6_T7_T8_P12ihipStream_tbENKUlT_T0_E_clISt17integral_constantIbLb0EES10_IbLb1EEEEDaSW_SX_EUlSW_E_NS1_11comp_targetILNS1_3genE10ELNS1_11target_archE1200ELNS1_3gpuE4ELNS1_3repE0EEENS1_30default_config_static_selectorELNS0_4arch9wavefront6targetE1EEEvT1_,comdat
	.protected	_ZN7rocprim17ROCPRIM_400000_NS6detail17trampoline_kernelINS0_14default_configENS1_29reduce_by_key_config_selectorIddN6thrust23THRUST_200600_302600_NS4plusIdEEEEZZNS1_33reduce_by_key_impl_wrapped_configILNS1_25lookback_scan_determinismE0ES3_S9_NS6_6detail15normal_iteratorINS6_10device_ptrIdEEEESG_SG_SG_PmS8_22is_equal_div_10_reduceIdEEE10hipError_tPvRmT2_T3_mT4_T5_T6_T7_T8_P12ihipStream_tbENKUlT_T0_E_clISt17integral_constantIbLb0EES10_IbLb1EEEEDaSW_SX_EUlSW_E_NS1_11comp_targetILNS1_3genE10ELNS1_11target_archE1200ELNS1_3gpuE4ELNS1_3repE0EEENS1_30default_config_static_selectorELNS0_4arch9wavefront6targetE1EEEvT1_ ; -- Begin function _ZN7rocprim17ROCPRIM_400000_NS6detail17trampoline_kernelINS0_14default_configENS1_29reduce_by_key_config_selectorIddN6thrust23THRUST_200600_302600_NS4plusIdEEEEZZNS1_33reduce_by_key_impl_wrapped_configILNS1_25lookback_scan_determinismE0ES3_S9_NS6_6detail15normal_iteratorINS6_10device_ptrIdEEEESG_SG_SG_PmS8_22is_equal_div_10_reduceIdEEE10hipError_tPvRmT2_T3_mT4_T5_T6_T7_T8_P12ihipStream_tbENKUlT_T0_E_clISt17integral_constantIbLb0EES10_IbLb1EEEEDaSW_SX_EUlSW_E_NS1_11comp_targetILNS1_3genE10ELNS1_11target_archE1200ELNS1_3gpuE4ELNS1_3repE0EEENS1_30default_config_static_selectorELNS0_4arch9wavefront6targetE1EEEvT1_
	.globl	_ZN7rocprim17ROCPRIM_400000_NS6detail17trampoline_kernelINS0_14default_configENS1_29reduce_by_key_config_selectorIddN6thrust23THRUST_200600_302600_NS4plusIdEEEEZZNS1_33reduce_by_key_impl_wrapped_configILNS1_25lookback_scan_determinismE0ES3_S9_NS6_6detail15normal_iteratorINS6_10device_ptrIdEEEESG_SG_SG_PmS8_22is_equal_div_10_reduceIdEEE10hipError_tPvRmT2_T3_mT4_T5_T6_T7_T8_P12ihipStream_tbENKUlT_T0_E_clISt17integral_constantIbLb0EES10_IbLb1EEEEDaSW_SX_EUlSW_E_NS1_11comp_targetILNS1_3genE10ELNS1_11target_archE1200ELNS1_3gpuE4ELNS1_3repE0EEENS1_30default_config_static_selectorELNS0_4arch9wavefront6targetE1EEEvT1_
	.p2align	8
	.type	_ZN7rocprim17ROCPRIM_400000_NS6detail17trampoline_kernelINS0_14default_configENS1_29reduce_by_key_config_selectorIddN6thrust23THRUST_200600_302600_NS4plusIdEEEEZZNS1_33reduce_by_key_impl_wrapped_configILNS1_25lookback_scan_determinismE0ES3_S9_NS6_6detail15normal_iteratorINS6_10device_ptrIdEEEESG_SG_SG_PmS8_22is_equal_div_10_reduceIdEEE10hipError_tPvRmT2_T3_mT4_T5_T6_T7_T8_P12ihipStream_tbENKUlT_T0_E_clISt17integral_constantIbLb0EES10_IbLb1EEEEDaSW_SX_EUlSW_E_NS1_11comp_targetILNS1_3genE10ELNS1_11target_archE1200ELNS1_3gpuE4ELNS1_3repE0EEENS1_30default_config_static_selectorELNS0_4arch9wavefront6targetE1EEEvT1_,@function
_ZN7rocprim17ROCPRIM_400000_NS6detail17trampoline_kernelINS0_14default_configENS1_29reduce_by_key_config_selectorIddN6thrust23THRUST_200600_302600_NS4plusIdEEEEZZNS1_33reduce_by_key_impl_wrapped_configILNS1_25lookback_scan_determinismE0ES3_S9_NS6_6detail15normal_iteratorINS6_10device_ptrIdEEEESG_SG_SG_PmS8_22is_equal_div_10_reduceIdEEE10hipError_tPvRmT2_T3_mT4_T5_T6_T7_T8_P12ihipStream_tbENKUlT_T0_E_clISt17integral_constantIbLb0EES10_IbLb1EEEEDaSW_SX_EUlSW_E_NS1_11comp_targetILNS1_3genE10ELNS1_11target_archE1200ELNS1_3gpuE4ELNS1_3repE0EEENS1_30default_config_static_selectorELNS0_4arch9wavefront6targetE1EEEvT1_: ; @_ZN7rocprim17ROCPRIM_400000_NS6detail17trampoline_kernelINS0_14default_configENS1_29reduce_by_key_config_selectorIddN6thrust23THRUST_200600_302600_NS4plusIdEEEEZZNS1_33reduce_by_key_impl_wrapped_configILNS1_25lookback_scan_determinismE0ES3_S9_NS6_6detail15normal_iteratorINS6_10device_ptrIdEEEESG_SG_SG_PmS8_22is_equal_div_10_reduceIdEEE10hipError_tPvRmT2_T3_mT4_T5_T6_T7_T8_P12ihipStream_tbENKUlT_T0_E_clISt17integral_constantIbLb0EES10_IbLb1EEEEDaSW_SX_EUlSW_E_NS1_11comp_targetILNS1_3genE10ELNS1_11target_archE1200ELNS1_3gpuE4ELNS1_3repE0EEENS1_30default_config_static_selectorELNS0_4arch9wavefront6targetE1EEEvT1_
; %bb.0:
	.section	.rodata,"a",@progbits
	.p2align	6, 0x0
	.amdhsa_kernel _ZN7rocprim17ROCPRIM_400000_NS6detail17trampoline_kernelINS0_14default_configENS1_29reduce_by_key_config_selectorIddN6thrust23THRUST_200600_302600_NS4plusIdEEEEZZNS1_33reduce_by_key_impl_wrapped_configILNS1_25lookback_scan_determinismE0ES3_S9_NS6_6detail15normal_iteratorINS6_10device_ptrIdEEEESG_SG_SG_PmS8_22is_equal_div_10_reduceIdEEE10hipError_tPvRmT2_T3_mT4_T5_T6_T7_T8_P12ihipStream_tbENKUlT_T0_E_clISt17integral_constantIbLb0EES10_IbLb1EEEEDaSW_SX_EUlSW_E_NS1_11comp_targetILNS1_3genE10ELNS1_11target_archE1200ELNS1_3gpuE4ELNS1_3repE0EEENS1_30default_config_static_selectorELNS0_4arch9wavefront6targetE1EEEvT1_
		.amdhsa_group_segment_fixed_size 0
		.amdhsa_private_segment_fixed_size 0
		.amdhsa_kernarg_size 136
		.amdhsa_user_sgpr_count 6
		.amdhsa_user_sgpr_private_segment_buffer 1
		.amdhsa_user_sgpr_dispatch_ptr 0
		.amdhsa_user_sgpr_queue_ptr 0
		.amdhsa_user_sgpr_kernarg_segment_ptr 1
		.amdhsa_user_sgpr_dispatch_id 0
		.amdhsa_user_sgpr_flat_scratch_init 0
		.amdhsa_user_sgpr_kernarg_preload_length 0
		.amdhsa_user_sgpr_kernarg_preload_offset 0
		.amdhsa_user_sgpr_private_segment_size 0
		.amdhsa_uses_dynamic_stack 0
		.amdhsa_system_sgpr_private_segment_wavefront_offset 0
		.amdhsa_system_sgpr_workgroup_id_x 1
		.amdhsa_system_sgpr_workgroup_id_y 0
		.amdhsa_system_sgpr_workgroup_id_z 0
		.amdhsa_system_sgpr_workgroup_info 0
		.amdhsa_system_vgpr_workitem_id 0
		.amdhsa_next_free_vgpr 1
		.amdhsa_next_free_sgpr 0
		.amdhsa_accum_offset 4
		.amdhsa_reserve_vcc 0
		.amdhsa_reserve_flat_scratch 0
		.amdhsa_float_round_mode_32 0
		.amdhsa_float_round_mode_16_64 0
		.amdhsa_float_denorm_mode_32 3
		.amdhsa_float_denorm_mode_16_64 3
		.amdhsa_dx10_clamp 1
		.amdhsa_ieee_mode 1
		.amdhsa_fp16_overflow 0
		.amdhsa_tg_split 0
		.amdhsa_exception_fp_ieee_invalid_op 0
		.amdhsa_exception_fp_denorm_src 0
		.amdhsa_exception_fp_ieee_div_zero 0
		.amdhsa_exception_fp_ieee_overflow 0
		.amdhsa_exception_fp_ieee_underflow 0
		.amdhsa_exception_fp_ieee_inexact 0
		.amdhsa_exception_int_div_zero 0
	.end_amdhsa_kernel
	.section	.text._ZN7rocprim17ROCPRIM_400000_NS6detail17trampoline_kernelINS0_14default_configENS1_29reduce_by_key_config_selectorIddN6thrust23THRUST_200600_302600_NS4plusIdEEEEZZNS1_33reduce_by_key_impl_wrapped_configILNS1_25lookback_scan_determinismE0ES3_S9_NS6_6detail15normal_iteratorINS6_10device_ptrIdEEEESG_SG_SG_PmS8_22is_equal_div_10_reduceIdEEE10hipError_tPvRmT2_T3_mT4_T5_T6_T7_T8_P12ihipStream_tbENKUlT_T0_E_clISt17integral_constantIbLb0EES10_IbLb1EEEEDaSW_SX_EUlSW_E_NS1_11comp_targetILNS1_3genE10ELNS1_11target_archE1200ELNS1_3gpuE4ELNS1_3repE0EEENS1_30default_config_static_selectorELNS0_4arch9wavefront6targetE1EEEvT1_,"axG",@progbits,_ZN7rocprim17ROCPRIM_400000_NS6detail17trampoline_kernelINS0_14default_configENS1_29reduce_by_key_config_selectorIddN6thrust23THRUST_200600_302600_NS4plusIdEEEEZZNS1_33reduce_by_key_impl_wrapped_configILNS1_25lookback_scan_determinismE0ES3_S9_NS6_6detail15normal_iteratorINS6_10device_ptrIdEEEESG_SG_SG_PmS8_22is_equal_div_10_reduceIdEEE10hipError_tPvRmT2_T3_mT4_T5_T6_T7_T8_P12ihipStream_tbENKUlT_T0_E_clISt17integral_constantIbLb0EES10_IbLb1EEEEDaSW_SX_EUlSW_E_NS1_11comp_targetILNS1_3genE10ELNS1_11target_archE1200ELNS1_3gpuE4ELNS1_3repE0EEENS1_30default_config_static_selectorELNS0_4arch9wavefront6targetE1EEEvT1_,comdat
.Lfunc_end84:
	.size	_ZN7rocprim17ROCPRIM_400000_NS6detail17trampoline_kernelINS0_14default_configENS1_29reduce_by_key_config_selectorIddN6thrust23THRUST_200600_302600_NS4plusIdEEEEZZNS1_33reduce_by_key_impl_wrapped_configILNS1_25lookback_scan_determinismE0ES3_S9_NS6_6detail15normal_iteratorINS6_10device_ptrIdEEEESG_SG_SG_PmS8_22is_equal_div_10_reduceIdEEE10hipError_tPvRmT2_T3_mT4_T5_T6_T7_T8_P12ihipStream_tbENKUlT_T0_E_clISt17integral_constantIbLb0EES10_IbLb1EEEEDaSW_SX_EUlSW_E_NS1_11comp_targetILNS1_3genE10ELNS1_11target_archE1200ELNS1_3gpuE4ELNS1_3repE0EEENS1_30default_config_static_selectorELNS0_4arch9wavefront6targetE1EEEvT1_, .Lfunc_end84-_ZN7rocprim17ROCPRIM_400000_NS6detail17trampoline_kernelINS0_14default_configENS1_29reduce_by_key_config_selectorIddN6thrust23THRUST_200600_302600_NS4plusIdEEEEZZNS1_33reduce_by_key_impl_wrapped_configILNS1_25lookback_scan_determinismE0ES3_S9_NS6_6detail15normal_iteratorINS6_10device_ptrIdEEEESG_SG_SG_PmS8_22is_equal_div_10_reduceIdEEE10hipError_tPvRmT2_T3_mT4_T5_T6_T7_T8_P12ihipStream_tbENKUlT_T0_E_clISt17integral_constantIbLb0EES10_IbLb1EEEEDaSW_SX_EUlSW_E_NS1_11comp_targetILNS1_3genE10ELNS1_11target_archE1200ELNS1_3gpuE4ELNS1_3repE0EEENS1_30default_config_static_selectorELNS0_4arch9wavefront6targetE1EEEvT1_
                                        ; -- End function
	.section	.AMDGPU.csdata,"",@progbits
; Kernel info:
; codeLenInByte = 0
; NumSgprs: 4
; NumVgprs: 0
; NumAgprs: 0
; TotalNumVgprs: 0
; ScratchSize: 0
; MemoryBound: 0
; FloatMode: 240
; IeeeMode: 1
; LDSByteSize: 0 bytes/workgroup (compile time only)
; SGPRBlocks: 0
; VGPRBlocks: 0
; NumSGPRsForWavesPerEU: 4
; NumVGPRsForWavesPerEU: 1
; AccumOffset: 4
; Occupancy: 8
; WaveLimiterHint : 0
; COMPUTE_PGM_RSRC2:SCRATCH_EN: 0
; COMPUTE_PGM_RSRC2:USER_SGPR: 6
; COMPUTE_PGM_RSRC2:TRAP_HANDLER: 0
; COMPUTE_PGM_RSRC2:TGID_X_EN: 1
; COMPUTE_PGM_RSRC2:TGID_Y_EN: 0
; COMPUTE_PGM_RSRC2:TGID_Z_EN: 0
; COMPUTE_PGM_RSRC2:TIDIG_COMP_CNT: 0
; COMPUTE_PGM_RSRC3_GFX90A:ACCUM_OFFSET: 0
; COMPUTE_PGM_RSRC3_GFX90A:TG_SPLIT: 0
	.section	.text._ZN7rocprim17ROCPRIM_400000_NS6detail17trampoline_kernelINS0_14default_configENS1_29reduce_by_key_config_selectorIddN6thrust23THRUST_200600_302600_NS4plusIdEEEEZZNS1_33reduce_by_key_impl_wrapped_configILNS1_25lookback_scan_determinismE0ES3_S9_NS6_6detail15normal_iteratorINS6_10device_ptrIdEEEESG_SG_SG_PmS8_22is_equal_div_10_reduceIdEEE10hipError_tPvRmT2_T3_mT4_T5_T6_T7_T8_P12ihipStream_tbENKUlT_T0_E_clISt17integral_constantIbLb0EES10_IbLb1EEEEDaSW_SX_EUlSW_E_NS1_11comp_targetILNS1_3genE9ELNS1_11target_archE1100ELNS1_3gpuE3ELNS1_3repE0EEENS1_30default_config_static_selectorELNS0_4arch9wavefront6targetE1EEEvT1_,"axG",@progbits,_ZN7rocprim17ROCPRIM_400000_NS6detail17trampoline_kernelINS0_14default_configENS1_29reduce_by_key_config_selectorIddN6thrust23THRUST_200600_302600_NS4plusIdEEEEZZNS1_33reduce_by_key_impl_wrapped_configILNS1_25lookback_scan_determinismE0ES3_S9_NS6_6detail15normal_iteratorINS6_10device_ptrIdEEEESG_SG_SG_PmS8_22is_equal_div_10_reduceIdEEE10hipError_tPvRmT2_T3_mT4_T5_T6_T7_T8_P12ihipStream_tbENKUlT_T0_E_clISt17integral_constantIbLb0EES10_IbLb1EEEEDaSW_SX_EUlSW_E_NS1_11comp_targetILNS1_3genE9ELNS1_11target_archE1100ELNS1_3gpuE3ELNS1_3repE0EEENS1_30default_config_static_selectorELNS0_4arch9wavefront6targetE1EEEvT1_,comdat
	.protected	_ZN7rocprim17ROCPRIM_400000_NS6detail17trampoline_kernelINS0_14default_configENS1_29reduce_by_key_config_selectorIddN6thrust23THRUST_200600_302600_NS4plusIdEEEEZZNS1_33reduce_by_key_impl_wrapped_configILNS1_25lookback_scan_determinismE0ES3_S9_NS6_6detail15normal_iteratorINS6_10device_ptrIdEEEESG_SG_SG_PmS8_22is_equal_div_10_reduceIdEEE10hipError_tPvRmT2_T3_mT4_T5_T6_T7_T8_P12ihipStream_tbENKUlT_T0_E_clISt17integral_constantIbLb0EES10_IbLb1EEEEDaSW_SX_EUlSW_E_NS1_11comp_targetILNS1_3genE9ELNS1_11target_archE1100ELNS1_3gpuE3ELNS1_3repE0EEENS1_30default_config_static_selectorELNS0_4arch9wavefront6targetE1EEEvT1_ ; -- Begin function _ZN7rocprim17ROCPRIM_400000_NS6detail17trampoline_kernelINS0_14default_configENS1_29reduce_by_key_config_selectorIddN6thrust23THRUST_200600_302600_NS4plusIdEEEEZZNS1_33reduce_by_key_impl_wrapped_configILNS1_25lookback_scan_determinismE0ES3_S9_NS6_6detail15normal_iteratorINS6_10device_ptrIdEEEESG_SG_SG_PmS8_22is_equal_div_10_reduceIdEEE10hipError_tPvRmT2_T3_mT4_T5_T6_T7_T8_P12ihipStream_tbENKUlT_T0_E_clISt17integral_constantIbLb0EES10_IbLb1EEEEDaSW_SX_EUlSW_E_NS1_11comp_targetILNS1_3genE9ELNS1_11target_archE1100ELNS1_3gpuE3ELNS1_3repE0EEENS1_30default_config_static_selectorELNS0_4arch9wavefront6targetE1EEEvT1_
	.globl	_ZN7rocprim17ROCPRIM_400000_NS6detail17trampoline_kernelINS0_14default_configENS1_29reduce_by_key_config_selectorIddN6thrust23THRUST_200600_302600_NS4plusIdEEEEZZNS1_33reduce_by_key_impl_wrapped_configILNS1_25lookback_scan_determinismE0ES3_S9_NS6_6detail15normal_iteratorINS6_10device_ptrIdEEEESG_SG_SG_PmS8_22is_equal_div_10_reduceIdEEE10hipError_tPvRmT2_T3_mT4_T5_T6_T7_T8_P12ihipStream_tbENKUlT_T0_E_clISt17integral_constantIbLb0EES10_IbLb1EEEEDaSW_SX_EUlSW_E_NS1_11comp_targetILNS1_3genE9ELNS1_11target_archE1100ELNS1_3gpuE3ELNS1_3repE0EEENS1_30default_config_static_selectorELNS0_4arch9wavefront6targetE1EEEvT1_
	.p2align	8
	.type	_ZN7rocprim17ROCPRIM_400000_NS6detail17trampoline_kernelINS0_14default_configENS1_29reduce_by_key_config_selectorIddN6thrust23THRUST_200600_302600_NS4plusIdEEEEZZNS1_33reduce_by_key_impl_wrapped_configILNS1_25lookback_scan_determinismE0ES3_S9_NS6_6detail15normal_iteratorINS6_10device_ptrIdEEEESG_SG_SG_PmS8_22is_equal_div_10_reduceIdEEE10hipError_tPvRmT2_T3_mT4_T5_T6_T7_T8_P12ihipStream_tbENKUlT_T0_E_clISt17integral_constantIbLb0EES10_IbLb1EEEEDaSW_SX_EUlSW_E_NS1_11comp_targetILNS1_3genE9ELNS1_11target_archE1100ELNS1_3gpuE3ELNS1_3repE0EEENS1_30default_config_static_selectorELNS0_4arch9wavefront6targetE1EEEvT1_,@function
_ZN7rocprim17ROCPRIM_400000_NS6detail17trampoline_kernelINS0_14default_configENS1_29reduce_by_key_config_selectorIddN6thrust23THRUST_200600_302600_NS4plusIdEEEEZZNS1_33reduce_by_key_impl_wrapped_configILNS1_25lookback_scan_determinismE0ES3_S9_NS6_6detail15normal_iteratorINS6_10device_ptrIdEEEESG_SG_SG_PmS8_22is_equal_div_10_reduceIdEEE10hipError_tPvRmT2_T3_mT4_T5_T6_T7_T8_P12ihipStream_tbENKUlT_T0_E_clISt17integral_constantIbLb0EES10_IbLb1EEEEDaSW_SX_EUlSW_E_NS1_11comp_targetILNS1_3genE9ELNS1_11target_archE1100ELNS1_3gpuE3ELNS1_3repE0EEENS1_30default_config_static_selectorELNS0_4arch9wavefront6targetE1EEEvT1_: ; @_ZN7rocprim17ROCPRIM_400000_NS6detail17trampoline_kernelINS0_14default_configENS1_29reduce_by_key_config_selectorIddN6thrust23THRUST_200600_302600_NS4plusIdEEEEZZNS1_33reduce_by_key_impl_wrapped_configILNS1_25lookback_scan_determinismE0ES3_S9_NS6_6detail15normal_iteratorINS6_10device_ptrIdEEEESG_SG_SG_PmS8_22is_equal_div_10_reduceIdEEE10hipError_tPvRmT2_T3_mT4_T5_T6_T7_T8_P12ihipStream_tbENKUlT_T0_E_clISt17integral_constantIbLb0EES10_IbLb1EEEEDaSW_SX_EUlSW_E_NS1_11comp_targetILNS1_3genE9ELNS1_11target_archE1100ELNS1_3gpuE3ELNS1_3repE0EEENS1_30default_config_static_selectorELNS0_4arch9wavefront6targetE1EEEvT1_
; %bb.0:
	.section	.rodata,"a",@progbits
	.p2align	6, 0x0
	.amdhsa_kernel _ZN7rocprim17ROCPRIM_400000_NS6detail17trampoline_kernelINS0_14default_configENS1_29reduce_by_key_config_selectorIddN6thrust23THRUST_200600_302600_NS4plusIdEEEEZZNS1_33reduce_by_key_impl_wrapped_configILNS1_25lookback_scan_determinismE0ES3_S9_NS6_6detail15normal_iteratorINS6_10device_ptrIdEEEESG_SG_SG_PmS8_22is_equal_div_10_reduceIdEEE10hipError_tPvRmT2_T3_mT4_T5_T6_T7_T8_P12ihipStream_tbENKUlT_T0_E_clISt17integral_constantIbLb0EES10_IbLb1EEEEDaSW_SX_EUlSW_E_NS1_11comp_targetILNS1_3genE9ELNS1_11target_archE1100ELNS1_3gpuE3ELNS1_3repE0EEENS1_30default_config_static_selectorELNS0_4arch9wavefront6targetE1EEEvT1_
		.amdhsa_group_segment_fixed_size 0
		.amdhsa_private_segment_fixed_size 0
		.amdhsa_kernarg_size 136
		.amdhsa_user_sgpr_count 6
		.amdhsa_user_sgpr_private_segment_buffer 1
		.amdhsa_user_sgpr_dispatch_ptr 0
		.amdhsa_user_sgpr_queue_ptr 0
		.amdhsa_user_sgpr_kernarg_segment_ptr 1
		.amdhsa_user_sgpr_dispatch_id 0
		.amdhsa_user_sgpr_flat_scratch_init 0
		.amdhsa_user_sgpr_kernarg_preload_length 0
		.amdhsa_user_sgpr_kernarg_preload_offset 0
		.amdhsa_user_sgpr_private_segment_size 0
		.amdhsa_uses_dynamic_stack 0
		.amdhsa_system_sgpr_private_segment_wavefront_offset 0
		.amdhsa_system_sgpr_workgroup_id_x 1
		.amdhsa_system_sgpr_workgroup_id_y 0
		.amdhsa_system_sgpr_workgroup_id_z 0
		.amdhsa_system_sgpr_workgroup_info 0
		.amdhsa_system_vgpr_workitem_id 0
		.amdhsa_next_free_vgpr 1
		.amdhsa_next_free_sgpr 0
		.amdhsa_accum_offset 4
		.amdhsa_reserve_vcc 0
		.amdhsa_reserve_flat_scratch 0
		.amdhsa_float_round_mode_32 0
		.amdhsa_float_round_mode_16_64 0
		.amdhsa_float_denorm_mode_32 3
		.amdhsa_float_denorm_mode_16_64 3
		.amdhsa_dx10_clamp 1
		.amdhsa_ieee_mode 1
		.amdhsa_fp16_overflow 0
		.amdhsa_tg_split 0
		.amdhsa_exception_fp_ieee_invalid_op 0
		.amdhsa_exception_fp_denorm_src 0
		.amdhsa_exception_fp_ieee_div_zero 0
		.amdhsa_exception_fp_ieee_overflow 0
		.amdhsa_exception_fp_ieee_underflow 0
		.amdhsa_exception_fp_ieee_inexact 0
		.amdhsa_exception_int_div_zero 0
	.end_amdhsa_kernel
	.section	.text._ZN7rocprim17ROCPRIM_400000_NS6detail17trampoline_kernelINS0_14default_configENS1_29reduce_by_key_config_selectorIddN6thrust23THRUST_200600_302600_NS4plusIdEEEEZZNS1_33reduce_by_key_impl_wrapped_configILNS1_25lookback_scan_determinismE0ES3_S9_NS6_6detail15normal_iteratorINS6_10device_ptrIdEEEESG_SG_SG_PmS8_22is_equal_div_10_reduceIdEEE10hipError_tPvRmT2_T3_mT4_T5_T6_T7_T8_P12ihipStream_tbENKUlT_T0_E_clISt17integral_constantIbLb0EES10_IbLb1EEEEDaSW_SX_EUlSW_E_NS1_11comp_targetILNS1_3genE9ELNS1_11target_archE1100ELNS1_3gpuE3ELNS1_3repE0EEENS1_30default_config_static_selectorELNS0_4arch9wavefront6targetE1EEEvT1_,"axG",@progbits,_ZN7rocprim17ROCPRIM_400000_NS6detail17trampoline_kernelINS0_14default_configENS1_29reduce_by_key_config_selectorIddN6thrust23THRUST_200600_302600_NS4plusIdEEEEZZNS1_33reduce_by_key_impl_wrapped_configILNS1_25lookback_scan_determinismE0ES3_S9_NS6_6detail15normal_iteratorINS6_10device_ptrIdEEEESG_SG_SG_PmS8_22is_equal_div_10_reduceIdEEE10hipError_tPvRmT2_T3_mT4_T5_T6_T7_T8_P12ihipStream_tbENKUlT_T0_E_clISt17integral_constantIbLb0EES10_IbLb1EEEEDaSW_SX_EUlSW_E_NS1_11comp_targetILNS1_3genE9ELNS1_11target_archE1100ELNS1_3gpuE3ELNS1_3repE0EEENS1_30default_config_static_selectorELNS0_4arch9wavefront6targetE1EEEvT1_,comdat
.Lfunc_end85:
	.size	_ZN7rocprim17ROCPRIM_400000_NS6detail17trampoline_kernelINS0_14default_configENS1_29reduce_by_key_config_selectorIddN6thrust23THRUST_200600_302600_NS4plusIdEEEEZZNS1_33reduce_by_key_impl_wrapped_configILNS1_25lookback_scan_determinismE0ES3_S9_NS6_6detail15normal_iteratorINS6_10device_ptrIdEEEESG_SG_SG_PmS8_22is_equal_div_10_reduceIdEEE10hipError_tPvRmT2_T3_mT4_T5_T6_T7_T8_P12ihipStream_tbENKUlT_T0_E_clISt17integral_constantIbLb0EES10_IbLb1EEEEDaSW_SX_EUlSW_E_NS1_11comp_targetILNS1_3genE9ELNS1_11target_archE1100ELNS1_3gpuE3ELNS1_3repE0EEENS1_30default_config_static_selectorELNS0_4arch9wavefront6targetE1EEEvT1_, .Lfunc_end85-_ZN7rocprim17ROCPRIM_400000_NS6detail17trampoline_kernelINS0_14default_configENS1_29reduce_by_key_config_selectorIddN6thrust23THRUST_200600_302600_NS4plusIdEEEEZZNS1_33reduce_by_key_impl_wrapped_configILNS1_25lookback_scan_determinismE0ES3_S9_NS6_6detail15normal_iteratorINS6_10device_ptrIdEEEESG_SG_SG_PmS8_22is_equal_div_10_reduceIdEEE10hipError_tPvRmT2_T3_mT4_T5_T6_T7_T8_P12ihipStream_tbENKUlT_T0_E_clISt17integral_constantIbLb0EES10_IbLb1EEEEDaSW_SX_EUlSW_E_NS1_11comp_targetILNS1_3genE9ELNS1_11target_archE1100ELNS1_3gpuE3ELNS1_3repE0EEENS1_30default_config_static_selectorELNS0_4arch9wavefront6targetE1EEEvT1_
                                        ; -- End function
	.section	.AMDGPU.csdata,"",@progbits
; Kernel info:
; codeLenInByte = 0
; NumSgprs: 4
; NumVgprs: 0
; NumAgprs: 0
; TotalNumVgprs: 0
; ScratchSize: 0
; MemoryBound: 0
; FloatMode: 240
; IeeeMode: 1
; LDSByteSize: 0 bytes/workgroup (compile time only)
; SGPRBlocks: 0
; VGPRBlocks: 0
; NumSGPRsForWavesPerEU: 4
; NumVGPRsForWavesPerEU: 1
; AccumOffset: 4
; Occupancy: 8
; WaveLimiterHint : 0
; COMPUTE_PGM_RSRC2:SCRATCH_EN: 0
; COMPUTE_PGM_RSRC2:USER_SGPR: 6
; COMPUTE_PGM_RSRC2:TRAP_HANDLER: 0
; COMPUTE_PGM_RSRC2:TGID_X_EN: 1
; COMPUTE_PGM_RSRC2:TGID_Y_EN: 0
; COMPUTE_PGM_RSRC2:TGID_Z_EN: 0
; COMPUTE_PGM_RSRC2:TIDIG_COMP_CNT: 0
; COMPUTE_PGM_RSRC3_GFX90A:ACCUM_OFFSET: 0
; COMPUTE_PGM_RSRC3_GFX90A:TG_SPLIT: 0
	.section	.text._ZN7rocprim17ROCPRIM_400000_NS6detail17trampoline_kernelINS0_14default_configENS1_29reduce_by_key_config_selectorIddN6thrust23THRUST_200600_302600_NS4plusIdEEEEZZNS1_33reduce_by_key_impl_wrapped_configILNS1_25lookback_scan_determinismE0ES3_S9_NS6_6detail15normal_iteratorINS6_10device_ptrIdEEEESG_SG_SG_PmS8_22is_equal_div_10_reduceIdEEE10hipError_tPvRmT2_T3_mT4_T5_T6_T7_T8_P12ihipStream_tbENKUlT_T0_E_clISt17integral_constantIbLb0EES10_IbLb1EEEEDaSW_SX_EUlSW_E_NS1_11comp_targetILNS1_3genE8ELNS1_11target_archE1030ELNS1_3gpuE2ELNS1_3repE0EEENS1_30default_config_static_selectorELNS0_4arch9wavefront6targetE1EEEvT1_,"axG",@progbits,_ZN7rocprim17ROCPRIM_400000_NS6detail17trampoline_kernelINS0_14default_configENS1_29reduce_by_key_config_selectorIddN6thrust23THRUST_200600_302600_NS4plusIdEEEEZZNS1_33reduce_by_key_impl_wrapped_configILNS1_25lookback_scan_determinismE0ES3_S9_NS6_6detail15normal_iteratorINS6_10device_ptrIdEEEESG_SG_SG_PmS8_22is_equal_div_10_reduceIdEEE10hipError_tPvRmT2_T3_mT4_T5_T6_T7_T8_P12ihipStream_tbENKUlT_T0_E_clISt17integral_constantIbLb0EES10_IbLb1EEEEDaSW_SX_EUlSW_E_NS1_11comp_targetILNS1_3genE8ELNS1_11target_archE1030ELNS1_3gpuE2ELNS1_3repE0EEENS1_30default_config_static_selectorELNS0_4arch9wavefront6targetE1EEEvT1_,comdat
	.protected	_ZN7rocprim17ROCPRIM_400000_NS6detail17trampoline_kernelINS0_14default_configENS1_29reduce_by_key_config_selectorIddN6thrust23THRUST_200600_302600_NS4plusIdEEEEZZNS1_33reduce_by_key_impl_wrapped_configILNS1_25lookback_scan_determinismE0ES3_S9_NS6_6detail15normal_iteratorINS6_10device_ptrIdEEEESG_SG_SG_PmS8_22is_equal_div_10_reduceIdEEE10hipError_tPvRmT2_T3_mT4_T5_T6_T7_T8_P12ihipStream_tbENKUlT_T0_E_clISt17integral_constantIbLb0EES10_IbLb1EEEEDaSW_SX_EUlSW_E_NS1_11comp_targetILNS1_3genE8ELNS1_11target_archE1030ELNS1_3gpuE2ELNS1_3repE0EEENS1_30default_config_static_selectorELNS0_4arch9wavefront6targetE1EEEvT1_ ; -- Begin function _ZN7rocprim17ROCPRIM_400000_NS6detail17trampoline_kernelINS0_14default_configENS1_29reduce_by_key_config_selectorIddN6thrust23THRUST_200600_302600_NS4plusIdEEEEZZNS1_33reduce_by_key_impl_wrapped_configILNS1_25lookback_scan_determinismE0ES3_S9_NS6_6detail15normal_iteratorINS6_10device_ptrIdEEEESG_SG_SG_PmS8_22is_equal_div_10_reduceIdEEE10hipError_tPvRmT2_T3_mT4_T5_T6_T7_T8_P12ihipStream_tbENKUlT_T0_E_clISt17integral_constantIbLb0EES10_IbLb1EEEEDaSW_SX_EUlSW_E_NS1_11comp_targetILNS1_3genE8ELNS1_11target_archE1030ELNS1_3gpuE2ELNS1_3repE0EEENS1_30default_config_static_selectorELNS0_4arch9wavefront6targetE1EEEvT1_
	.globl	_ZN7rocprim17ROCPRIM_400000_NS6detail17trampoline_kernelINS0_14default_configENS1_29reduce_by_key_config_selectorIddN6thrust23THRUST_200600_302600_NS4plusIdEEEEZZNS1_33reduce_by_key_impl_wrapped_configILNS1_25lookback_scan_determinismE0ES3_S9_NS6_6detail15normal_iteratorINS6_10device_ptrIdEEEESG_SG_SG_PmS8_22is_equal_div_10_reduceIdEEE10hipError_tPvRmT2_T3_mT4_T5_T6_T7_T8_P12ihipStream_tbENKUlT_T0_E_clISt17integral_constantIbLb0EES10_IbLb1EEEEDaSW_SX_EUlSW_E_NS1_11comp_targetILNS1_3genE8ELNS1_11target_archE1030ELNS1_3gpuE2ELNS1_3repE0EEENS1_30default_config_static_selectorELNS0_4arch9wavefront6targetE1EEEvT1_
	.p2align	8
	.type	_ZN7rocprim17ROCPRIM_400000_NS6detail17trampoline_kernelINS0_14default_configENS1_29reduce_by_key_config_selectorIddN6thrust23THRUST_200600_302600_NS4plusIdEEEEZZNS1_33reduce_by_key_impl_wrapped_configILNS1_25lookback_scan_determinismE0ES3_S9_NS6_6detail15normal_iteratorINS6_10device_ptrIdEEEESG_SG_SG_PmS8_22is_equal_div_10_reduceIdEEE10hipError_tPvRmT2_T3_mT4_T5_T6_T7_T8_P12ihipStream_tbENKUlT_T0_E_clISt17integral_constantIbLb0EES10_IbLb1EEEEDaSW_SX_EUlSW_E_NS1_11comp_targetILNS1_3genE8ELNS1_11target_archE1030ELNS1_3gpuE2ELNS1_3repE0EEENS1_30default_config_static_selectorELNS0_4arch9wavefront6targetE1EEEvT1_,@function
_ZN7rocprim17ROCPRIM_400000_NS6detail17trampoline_kernelINS0_14default_configENS1_29reduce_by_key_config_selectorIddN6thrust23THRUST_200600_302600_NS4plusIdEEEEZZNS1_33reduce_by_key_impl_wrapped_configILNS1_25lookback_scan_determinismE0ES3_S9_NS6_6detail15normal_iteratorINS6_10device_ptrIdEEEESG_SG_SG_PmS8_22is_equal_div_10_reduceIdEEE10hipError_tPvRmT2_T3_mT4_T5_T6_T7_T8_P12ihipStream_tbENKUlT_T0_E_clISt17integral_constantIbLb0EES10_IbLb1EEEEDaSW_SX_EUlSW_E_NS1_11comp_targetILNS1_3genE8ELNS1_11target_archE1030ELNS1_3gpuE2ELNS1_3repE0EEENS1_30default_config_static_selectorELNS0_4arch9wavefront6targetE1EEEvT1_: ; @_ZN7rocprim17ROCPRIM_400000_NS6detail17trampoline_kernelINS0_14default_configENS1_29reduce_by_key_config_selectorIddN6thrust23THRUST_200600_302600_NS4plusIdEEEEZZNS1_33reduce_by_key_impl_wrapped_configILNS1_25lookback_scan_determinismE0ES3_S9_NS6_6detail15normal_iteratorINS6_10device_ptrIdEEEESG_SG_SG_PmS8_22is_equal_div_10_reduceIdEEE10hipError_tPvRmT2_T3_mT4_T5_T6_T7_T8_P12ihipStream_tbENKUlT_T0_E_clISt17integral_constantIbLb0EES10_IbLb1EEEEDaSW_SX_EUlSW_E_NS1_11comp_targetILNS1_3genE8ELNS1_11target_archE1030ELNS1_3gpuE2ELNS1_3repE0EEENS1_30default_config_static_selectorELNS0_4arch9wavefront6targetE1EEEvT1_
; %bb.0:
	.section	.rodata,"a",@progbits
	.p2align	6, 0x0
	.amdhsa_kernel _ZN7rocprim17ROCPRIM_400000_NS6detail17trampoline_kernelINS0_14default_configENS1_29reduce_by_key_config_selectorIddN6thrust23THRUST_200600_302600_NS4plusIdEEEEZZNS1_33reduce_by_key_impl_wrapped_configILNS1_25lookback_scan_determinismE0ES3_S9_NS6_6detail15normal_iteratorINS6_10device_ptrIdEEEESG_SG_SG_PmS8_22is_equal_div_10_reduceIdEEE10hipError_tPvRmT2_T3_mT4_T5_T6_T7_T8_P12ihipStream_tbENKUlT_T0_E_clISt17integral_constantIbLb0EES10_IbLb1EEEEDaSW_SX_EUlSW_E_NS1_11comp_targetILNS1_3genE8ELNS1_11target_archE1030ELNS1_3gpuE2ELNS1_3repE0EEENS1_30default_config_static_selectorELNS0_4arch9wavefront6targetE1EEEvT1_
		.amdhsa_group_segment_fixed_size 0
		.amdhsa_private_segment_fixed_size 0
		.amdhsa_kernarg_size 136
		.amdhsa_user_sgpr_count 6
		.amdhsa_user_sgpr_private_segment_buffer 1
		.amdhsa_user_sgpr_dispatch_ptr 0
		.amdhsa_user_sgpr_queue_ptr 0
		.amdhsa_user_sgpr_kernarg_segment_ptr 1
		.amdhsa_user_sgpr_dispatch_id 0
		.amdhsa_user_sgpr_flat_scratch_init 0
		.amdhsa_user_sgpr_kernarg_preload_length 0
		.amdhsa_user_sgpr_kernarg_preload_offset 0
		.amdhsa_user_sgpr_private_segment_size 0
		.amdhsa_uses_dynamic_stack 0
		.amdhsa_system_sgpr_private_segment_wavefront_offset 0
		.amdhsa_system_sgpr_workgroup_id_x 1
		.amdhsa_system_sgpr_workgroup_id_y 0
		.amdhsa_system_sgpr_workgroup_id_z 0
		.amdhsa_system_sgpr_workgroup_info 0
		.amdhsa_system_vgpr_workitem_id 0
		.amdhsa_next_free_vgpr 1
		.amdhsa_next_free_sgpr 0
		.amdhsa_accum_offset 4
		.amdhsa_reserve_vcc 0
		.amdhsa_reserve_flat_scratch 0
		.amdhsa_float_round_mode_32 0
		.amdhsa_float_round_mode_16_64 0
		.amdhsa_float_denorm_mode_32 3
		.amdhsa_float_denorm_mode_16_64 3
		.amdhsa_dx10_clamp 1
		.amdhsa_ieee_mode 1
		.amdhsa_fp16_overflow 0
		.amdhsa_tg_split 0
		.amdhsa_exception_fp_ieee_invalid_op 0
		.amdhsa_exception_fp_denorm_src 0
		.amdhsa_exception_fp_ieee_div_zero 0
		.amdhsa_exception_fp_ieee_overflow 0
		.amdhsa_exception_fp_ieee_underflow 0
		.amdhsa_exception_fp_ieee_inexact 0
		.amdhsa_exception_int_div_zero 0
	.end_amdhsa_kernel
	.section	.text._ZN7rocprim17ROCPRIM_400000_NS6detail17trampoline_kernelINS0_14default_configENS1_29reduce_by_key_config_selectorIddN6thrust23THRUST_200600_302600_NS4plusIdEEEEZZNS1_33reduce_by_key_impl_wrapped_configILNS1_25lookback_scan_determinismE0ES3_S9_NS6_6detail15normal_iteratorINS6_10device_ptrIdEEEESG_SG_SG_PmS8_22is_equal_div_10_reduceIdEEE10hipError_tPvRmT2_T3_mT4_T5_T6_T7_T8_P12ihipStream_tbENKUlT_T0_E_clISt17integral_constantIbLb0EES10_IbLb1EEEEDaSW_SX_EUlSW_E_NS1_11comp_targetILNS1_3genE8ELNS1_11target_archE1030ELNS1_3gpuE2ELNS1_3repE0EEENS1_30default_config_static_selectorELNS0_4arch9wavefront6targetE1EEEvT1_,"axG",@progbits,_ZN7rocprim17ROCPRIM_400000_NS6detail17trampoline_kernelINS0_14default_configENS1_29reduce_by_key_config_selectorIddN6thrust23THRUST_200600_302600_NS4plusIdEEEEZZNS1_33reduce_by_key_impl_wrapped_configILNS1_25lookback_scan_determinismE0ES3_S9_NS6_6detail15normal_iteratorINS6_10device_ptrIdEEEESG_SG_SG_PmS8_22is_equal_div_10_reduceIdEEE10hipError_tPvRmT2_T3_mT4_T5_T6_T7_T8_P12ihipStream_tbENKUlT_T0_E_clISt17integral_constantIbLb0EES10_IbLb1EEEEDaSW_SX_EUlSW_E_NS1_11comp_targetILNS1_3genE8ELNS1_11target_archE1030ELNS1_3gpuE2ELNS1_3repE0EEENS1_30default_config_static_selectorELNS0_4arch9wavefront6targetE1EEEvT1_,comdat
.Lfunc_end86:
	.size	_ZN7rocprim17ROCPRIM_400000_NS6detail17trampoline_kernelINS0_14default_configENS1_29reduce_by_key_config_selectorIddN6thrust23THRUST_200600_302600_NS4plusIdEEEEZZNS1_33reduce_by_key_impl_wrapped_configILNS1_25lookback_scan_determinismE0ES3_S9_NS6_6detail15normal_iteratorINS6_10device_ptrIdEEEESG_SG_SG_PmS8_22is_equal_div_10_reduceIdEEE10hipError_tPvRmT2_T3_mT4_T5_T6_T7_T8_P12ihipStream_tbENKUlT_T0_E_clISt17integral_constantIbLb0EES10_IbLb1EEEEDaSW_SX_EUlSW_E_NS1_11comp_targetILNS1_3genE8ELNS1_11target_archE1030ELNS1_3gpuE2ELNS1_3repE0EEENS1_30default_config_static_selectorELNS0_4arch9wavefront6targetE1EEEvT1_, .Lfunc_end86-_ZN7rocprim17ROCPRIM_400000_NS6detail17trampoline_kernelINS0_14default_configENS1_29reduce_by_key_config_selectorIddN6thrust23THRUST_200600_302600_NS4plusIdEEEEZZNS1_33reduce_by_key_impl_wrapped_configILNS1_25lookback_scan_determinismE0ES3_S9_NS6_6detail15normal_iteratorINS6_10device_ptrIdEEEESG_SG_SG_PmS8_22is_equal_div_10_reduceIdEEE10hipError_tPvRmT2_T3_mT4_T5_T6_T7_T8_P12ihipStream_tbENKUlT_T0_E_clISt17integral_constantIbLb0EES10_IbLb1EEEEDaSW_SX_EUlSW_E_NS1_11comp_targetILNS1_3genE8ELNS1_11target_archE1030ELNS1_3gpuE2ELNS1_3repE0EEENS1_30default_config_static_selectorELNS0_4arch9wavefront6targetE1EEEvT1_
                                        ; -- End function
	.section	.AMDGPU.csdata,"",@progbits
; Kernel info:
; codeLenInByte = 0
; NumSgprs: 4
; NumVgprs: 0
; NumAgprs: 0
; TotalNumVgprs: 0
; ScratchSize: 0
; MemoryBound: 0
; FloatMode: 240
; IeeeMode: 1
; LDSByteSize: 0 bytes/workgroup (compile time only)
; SGPRBlocks: 0
; VGPRBlocks: 0
; NumSGPRsForWavesPerEU: 4
; NumVGPRsForWavesPerEU: 1
; AccumOffset: 4
; Occupancy: 8
; WaveLimiterHint : 0
; COMPUTE_PGM_RSRC2:SCRATCH_EN: 0
; COMPUTE_PGM_RSRC2:USER_SGPR: 6
; COMPUTE_PGM_RSRC2:TRAP_HANDLER: 0
; COMPUTE_PGM_RSRC2:TGID_X_EN: 1
; COMPUTE_PGM_RSRC2:TGID_Y_EN: 0
; COMPUTE_PGM_RSRC2:TGID_Z_EN: 0
; COMPUTE_PGM_RSRC2:TIDIG_COMP_CNT: 0
; COMPUTE_PGM_RSRC3_GFX90A:ACCUM_OFFSET: 0
; COMPUTE_PGM_RSRC3_GFX90A:TG_SPLIT: 0
	.section	.text._ZN6thrust23THRUST_200600_302600_NS11hip_rocprim14__parallel_for6kernelILj256ENS1_20__uninitialized_fill7functorINS0_10device_ptrIfEEfEEmLj1EEEvT0_T1_SA_,"axG",@progbits,_ZN6thrust23THRUST_200600_302600_NS11hip_rocprim14__parallel_for6kernelILj256ENS1_20__uninitialized_fill7functorINS0_10device_ptrIfEEfEEmLj1EEEvT0_T1_SA_,comdat
	.protected	_ZN6thrust23THRUST_200600_302600_NS11hip_rocprim14__parallel_for6kernelILj256ENS1_20__uninitialized_fill7functorINS0_10device_ptrIfEEfEEmLj1EEEvT0_T1_SA_ ; -- Begin function _ZN6thrust23THRUST_200600_302600_NS11hip_rocprim14__parallel_for6kernelILj256ENS1_20__uninitialized_fill7functorINS0_10device_ptrIfEEfEEmLj1EEEvT0_T1_SA_
	.globl	_ZN6thrust23THRUST_200600_302600_NS11hip_rocprim14__parallel_for6kernelILj256ENS1_20__uninitialized_fill7functorINS0_10device_ptrIfEEfEEmLj1EEEvT0_T1_SA_
	.p2align	8
	.type	_ZN6thrust23THRUST_200600_302600_NS11hip_rocprim14__parallel_for6kernelILj256ENS1_20__uninitialized_fill7functorINS0_10device_ptrIfEEfEEmLj1EEEvT0_T1_SA_,@function
_ZN6thrust23THRUST_200600_302600_NS11hip_rocprim14__parallel_for6kernelILj256ENS1_20__uninitialized_fill7functorINS0_10device_ptrIfEEfEEmLj1EEEvT0_T1_SA_: ; @_ZN6thrust23THRUST_200600_302600_NS11hip_rocprim14__parallel_for6kernelILj256ENS1_20__uninitialized_fill7functorINS0_10device_ptrIfEEfEEmLj1EEEvT0_T1_SA_
; %bb.0:
	s_load_dwordx4 s[8:11], s[4:5], 0x10
	s_lshl_b32 s0, s6, 8
	v_mov_b32_e32 v2, 0x100
	v_mov_b32_e32 v3, 0
	s_waitcnt lgkmcnt(0)
	s_add_u32 s0, s0, s10
	s_addc_u32 s1, 0, s11
	s_sub_u32 s2, s8, s0
	s_subb_u32 s3, s9, s1
	v_cmp_lt_u64_e32 vcc, s[2:3], v[2:3]
	s_cbranch_vccz .LBB87_2
; %bb.1:
	v_cmp_gt_u32_e32 vcc, s2, v0
	s_and_b64 s[2:3], vcc, exec
	s_cbranch_execz .LBB87_3
	s_branch .LBB87_4
.LBB87_2:
	s_mov_b64 s[2:3], 0
.LBB87_3:
	s_or_b64 s[2:3], s[2:3], exec
.LBB87_4:
	s_and_saveexec_b64 s[6:7], s[2:3]
	s_cbranch_execnz .LBB87_6
; %bb.5:
	s_endpgm
.LBB87_6:
	s_load_dwordx2 s[2:3], s[4:5], 0x0
	s_load_dword s6, s[4:5], 0x8
	s_lshl_b64 s[0:1], s[0:1], 2
	v_mov_b32_e32 v1, 0
	v_lshlrev_b64 v[0:1], 2, v[0:1]
	s_waitcnt lgkmcnt(0)
	s_add_u32 s0, s2, s0
	s_addc_u32 s1, s3, s1
	v_mov_b32_e32 v2, s1
	v_add_co_u32_e32 v0, vcc, s0, v0
	v_addc_co_u32_e32 v1, vcc, v2, v1, vcc
	v_mov_b32_e32 v2, s6
	flat_store_dword v[0:1], v2
	s_endpgm
	.section	.rodata,"a",@progbits
	.p2align	6, 0x0
	.amdhsa_kernel _ZN6thrust23THRUST_200600_302600_NS11hip_rocprim14__parallel_for6kernelILj256ENS1_20__uninitialized_fill7functorINS0_10device_ptrIfEEfEEmLj1EEEvT0_T1_SA_
		.amdhsa_group_segment_fixed_size 0
		.amdhsa_private_segment_fixed_size 0
		.amdhsa_kernarg_size 32
		.amdhsa_user_sgpr_count 6
		.amdhsa_user_sgpr_private_segment_buffer 1
		.amdhsa_user_sgpr_dispatch_ptr 0
		.amdhsa_user_sgpr_queue_ptr 0
		.amdhsa_user_sgpr_kernarg_segment_ptr 1
		.amdhsa_user_sgpr_dispatch_id 0
		.amdhsa_user_sgpr_flat_scratch_init 0
		.amdhsa_user_sgpr_kernarg_preload_length 0
		.amdhsa_user_sgpr_kernarg_preload_offset 0
		.amdhsa_user_sgpr_private_segment_size 0
		.amdhsa_uses_dynamic_stack 0
		.amdhsa_system_sgpr_private_segment_wavefront_offset 0
		.amdhsa_system_sgpr_workgroup_id_x 1
		.amdhsa_system_sgpr_workgroup_id_y 0
		.amdhsa_system_sgpr_workgroup_id_z 0
		.amdhsa_system_sgpr_workgroup_info 0
		.amdhsa_system_vgpr_workitem_id 0
		.amdhsa_next_free_vgpr 4
		.amdhsa_next_free_sgpr 12
		.amdhsa_accum_offset 4
		.amdhsa_reserve_vcc 1
		.amdhsa_reserve_flat_scratch 0
		.amdhsa_float_round_mode_32 0
		.amdhsa_float_round_mode_16_64 0
		.amdhsa_float_denorm_mode_32 3
		.amdhsa_float_denorm_mode_16_64 3
		.amdhsa_dx10_clamp 1
		.amdhsa_ieee_mode 1
		.amdhsa_fp16_overflow 0
		.amdhsa_tg_split 0
		.amdhsa_exception_fp_ieee_invalid_op 0
		.amdhsa_exception_fp_denorm_src 0
		.amdhsa_exception_fp_ieee_div_zero 0
		.amdhsa_exception_fp_ieee_overflow 0
		.amdhsa_exception_fp_ieee_underflow 0
		.amdhsa_exception_fp_ieee_inexact 0
		.amdhsa_exception_int_div_zero 0
	.end_amdhsa_kernel
	.section	.text._ZN6thrust23THRUST_200600_302600_NS11hip_rocprim14__parallel_for6kernelILj256ENS1_20__uninitialized_fill7functorINS0_10device_ptrIfEEfEEmLj1EEEvT0_T1_SA_,"axG",@progbits,_ZN6thrust23THRUST_200600_302600_NS11hip_rocprim14__parallel_for6kernelILj256ENS1_20__uninitialized_fill7functorINS0_10device_ptrIfEEfEEmLj1EEEvT0_T1_SA_,comdat
.Lfunc_end87:
	.size	_ZN6thrust23THRUST_200600_302600_NS11hip_rocprim14__parallel_for6kernelILj256ENS1_20__uninitialized_fill7functorINS0_10device_ptrIfEEfEEmLj1EEEvT0_T1_SA_, .Lfunc_end87-_ZN6thrust23THRUST_200600_302600_NS11hip_rocprim14__parallel_for6kernelILj256ENS1_20__uninitialized_fill7functorINS0_10device_ptrIfEEfEEmLj1EEEvT0_T1_SA_
                                        ; -- End function
	.section	.AMDGPU.csdata,"",@progbits
; Kernel info:
; codeLenInByte = 160
; NumSgprs: 16
; NumVgprs: 4
; NumAgprs: 0
; TotalNumVgprs: 4
; ScratchSize: 0
; MemoryBound: 0
; FloatMode: 240
; IeeeMode: 1
; LDSByteSize: 0 bytes/workgroup (compile time only)
; SGPRBlocks: 1
; VGPRBlocks: 0
; NumSGPRsForWavesPerEU: 16
; NumVGPRsForWavesPerEU: 4
; AccumOffset: 4
; Occupancy: 8
; WaveLimiterHint : 0
; COMPUTE_PGM_RSRC2:SCRATCH_EN: 0
; COMPUTE_PGM_RSRC2:USER_SGPR: 6
; COMPUTE_PGM_RSRC2:TRAP_HANDLER: 0
; COMPUTE_PGM_RSRC2:TGID_X_EN: 1
; COMPUTE_PGM_RSRC2:TGID_Y_EN: 0
; COMPUTE_PGM_RSRC2:TGID_Z_EN: 0
; COMPUTE_PGM_RSRC2:TIDIG_COMP_CNT: 0
; COMPUTE_PGM_RSRC3_GFX90A:ACCUM_OFFSET: 0
; COMPUTE_PGM_RSRC3_GFX90A:TG_SPLIT: 0
	.section	.text._ZN7rocprim17ROCPRIM_400000_NS6detail25reduce_by_key_init_kernelINS1_19lookback_scan_stateINS0_5tupleIJjfEEELb0ELb1EEEfNS1_16block_id_wrapperIjLb0EEEEEvT_jbjPmPT0_T1_,"axG",@progbits,_ZN7rocprim17ROCPRIM_400000_NS6detail25reduce_by_key_init_kernelINS1_19lookback_scan_stateINS0_5tupleIJjfEEELb0ELb1EEEfNS1_16block_id_wrapperIjLb0EEEEEvT_jbjPmPT0_T1_,comdat
	.protected	_ZN7rocprim17ROCPRIM_400000_NS6detail25reduce_by_key_init_kernelINS1_19lookback_scan_stateINS0_5tupleIJjfEEELb0ELb1EEEfNS1_16block_id_wrapperIjLb0EEEEEvT_jbjPmPT0_T1_ ; -- Begin function _ZN7rocprim17ROCPRIM_400000_NS6detail25reduce_by_key_init_kernelINS1_19lookback_scan_stateINS0_5tupleIJjfEEELb0ELb1EEEfNS1_16block_id_wrapperIjLb0EEEEEvT_jbjPmPT0_T1_
	.globl	_ZN7rocprim17ROCPRIM_400000_NS6detail25reduce_by_key_init_kernelINS1_19lookback_scan_stateINS0_5tupleIJjfEEELb0ELb1EEEfNS1_16block_id_wrapperIjLb0EEEEEvT_jbjPmPT0_T1_
	.p2align	8
	.type	_ZN7rocprim17ROCPRIM_400000_NS6detail25reduce_by_key_init_kernelINS1_19lookback_scan_stateINS0_5tupleIJjfEEELb0ELb1EEEfNS1_16block_id_wrapperIjLb0EEEEEvT_jbjPmPT0_T1_,@function
_ZN7rocprim17ROCPRIM_400000_NS6detail25reduce_by_key_init_kernelINS1_19lookback_scan_stateINS0_5tupleIJjfEEELb0ELb1EEEfNS1_16block_id_wrapperIjLb0EEEEEvT_jbjPmPT0_T1_: ; @_ZN7rocprim17ROCPRIM_400000_NS6detail25reduce_by_key_init_kernelINS1_19lookback_scan_stateINS0_5tupleIJjfEEELb0ELb1EEEfNS1_16block_id_wrapperIjLb0EEEEEvT_jbjPmPT0_T1_
; %bb.0:
	s_load_dwordx8 s[8:15], s[4:5], 0x8
	s_load_dword s2, s[4:5], 0x3c
	s_load_dwordx2 s[0:1], s[4:5], 0x0
	s_waitcnt lgkmcnt(0)
	s_and_b32 s3, s9, 1
	s_and_b32 s2, s2, 0xffff
	s_mul_i32 s6, s6, s2
	s_cmp_eq_u32 s3, 0
	v_add_u32_e32 v0, s6, v0
	s_mov_b64 s[2:3], -1
	s_cbranch_scc1 .LBB88_5
; %bb.1:
	s_andn2_b64 vcc, exec, s[2:3]
	s_cbranch_vccz .LBB88_12
.LBB88_2:
	v_cmp_gt_u32_e32 vcc, s8, v0
	s_and_saveexec_b64 s[2:3], vcc
	s_cbranch_execnz .LBB88_15
.LBB88_3:
	s_or_b64 exec, exec, s[2:3]
	v_cmp_gt_u32_e32 vcc, 64, v0
	s_and_saveexec_b64 s[2:3], vcc
	s_cbranch_execnz .LBB88_16
.LBB88_4:
	s_endpgm
.LBB88_5:
	s_cmp_lt_u32 s10, s8
	s_cselect_b32 s2, s10, 0
	v_cmp_eq_u32_e32 vcc, s2, v0
	s_and_saveexec_b64 s[2:3], vcc
	s_cbranch_execz .LBB88_11
; %bb.6:
	s_add_i32 s4, s10, 64
	s_mov_b32 s5, 0
	s_lshl_b64 s[4:5], s[4:5], 4
	s_add_u32 s6, s0, s4
	s_addc_u32 s7, s1, s5
	v_pk_mov_b32 v[2:3], s[6:7], s[6:7] op_sel:[0,1]
	v_mov_b32_e32 v13, 0
	;;#ASMSTART
	global_load_dwordx4 v[2:5], v[2:3] off glc	
s_waitcnt vmcnt(0)
	;;#ASMEND
	v_and_b32_e32 v12, 0xff, v4
	v_lshrrev_b64 v[10:11], 8, v[2:3]
	v_lshrrev_b64 v[8:9], 16, v[2:3]
	;; [unrolled: 1-line block ×3, first 2 shown]
	s_mov_b64 s[10:11], 0
	v_cmp_eq_u64_e32 vcc, 0, v[12:13]
	s_and_saveexec_b64 s[4:5], vcc
	s_cbranch_execz .LBB88_10
; %bb.7:
	v_pk_mov_b32 v[6:7], s[6:7], s[6:7] op_sel:[0,1]
.LBB88_8:                               ; =>This Inner Loop Header: Depth=1
	;;#ASMSTART
	global_load_dwordx4 v[2:5], v[6:7] off glc	
s_waitcnt vmcnt(0)
	;;#ASMEND
	v_and_b32_e32 v12, 0xff, v4
	v_cmp_ne_u64_e32 vcc, 0, v[12:13]
	s_or_b64 s[10:11], vcc, s[10:11]
	s_andn2_b64 exec, exec, s[10:11]
	s_cbranch_execnz .LBB88_8
; %bb.9:
	s_or_b64 exec, exec, s[10:11]
	v_lshrrev_b64 v[6:7], 24, v[2:3]
	v_lshrrev_b64 v[8:9], 16, v[2:3]
	;; [unrolled: 1-line block ×3, first 2 shown]
.LBB88_10:
	s_or_b64 exec, exec, s[4:5]
	v_mov_b32_e32 v1, 0
	global_load_dwordx2 v[4:5], v1, s[12:13]
	v_lshlrev_b32_e32 v7, 16, v8
	v_lshlrev_b32_e32 v8, 8, v10
	s_mov_b32 s4, 0xc0c0500
	s_mov_b32 s5, 0xff0000
	v_perm_b32 v2, v8, v2, s4
	v_and_or_b32 v2, v7, s5, v2
	v_lshlrev_b32_e32 v6, 24, v6
	s_waitcnt vmcnt(0)
	v_add_co_u32_e32 v2, vcc, v2, v4
	v_addc_co_u32_e32 v5, vcc, 0, v5, vcc
	v_add_co_u32_e32 v4, vcc, v2, v6
	v_addc_co_u32_e32 v5, vcc, 0, v5, vcc
	global_store_dwordx2 v1, v[4:5], s[12:13]
	global_store_dword v1, v3, s[14:15]
.LBB88_11:
	s_or_b64 exec, exec, s[2:3]
	s_cbranch_execnz .LBB88_2
.LBB88_12:
	s_cmp_lg_u64 s[12:13], 0
	s_cselect_b64 s[2:3], -1, 0
	v_cmp_eq_u32_e32 vcc, 0, v0
	s_and_b64 s[4:5], s[2:3], vcc
	s_and_saveexec_b64 s[2:3], s[4:5]
	s_cbranch_execz .LBB88_14
; %bb.13:
	v_mov_b32_e32 v2, 0
	v_mov_b32_e32 v3, v2
	global_store_dwordx2 v2, v[2:3], s[12:13]
.LBB88_14:
	s_or_b64 exec, exec, s[2:3]
	v_cmp_gt_u32_e32 vcc, s8, v0
	s_and_saveexec_b64 s[2:3], vcc
	s_cbranch_execz .LBB88_3
.LBB88_15:
	v_add_u32_e32 v2, 64, v0
	v_mov_b32_e32 v3, 0
	v_lshlrev_b64 v[4:5], 4, v[2:3]
	v_mov_b32_e32 v1, s1
	v_add_co_u32_e32 v6, vcc, s0, v4
	v_addc_co_u32_e32 v7, vcc, v1, v5, vcc
	v_mov_b32_e32 v2, v3
	v_mov_b32_e32 v4, v3
	;; [unrolled: 1-line block ×3, first 2 shown]
	global_store_dwordx4 v[6:7], v[2:5], off
	s_or_b64 exec, exec, s[2:3]
	v_cmp_gt_u32_e32 vcc, 64, v0
	s_and_saveexec_b64 s[2:3], vcc
	s_cbranch_execz .LBB88_4
.LBB88_16:
	v_mov_b32_e32 v1, 0
	v_lshlrev_b64 v[2:3], 4, v[0:1]
	v_mov_b32_e32 v0, s1
	v_add_co_u32_e32 v4, vcc, s0, v2
	v_addc_co_u32_e32 v5, vcc, v0, v3, vcc
	v_mov_b32_e32 v2, 0xff
	v_mov_b32_e32 v0, v1
	;; [unrolled: 1-line block ×3, first 2 shown]
	global_store_dwordx4 v[4:5], v[0:3], off
	s_endpgm
	.section	.rodata,"a",@progbits
	.p2align	6, 0x0
	.amdhsa_kernel _ZN7rocprim17ROCPRIM_400000_NS6detail25reduce_by_key_init_kernelINS1_19lookback_scan_stateINS0_5tupleIJjfEEELb0ELb1EEEfNS1_16block_id_wrapperIjLb0EEEEEvT_jbjPmPT0_T1_
		.amdhsa_group_segment_fixed_size 0
		.amdhsa_private_segment_fixed_size 0
		.amdhsa_kernarg_size 304
		.amdhsa_user_sgpr_count 6
		.amdhsa_user_sgpr_private_segment_buffer 1
		.amdhsa_user_sgpr_dispatch_ptr 0
		.amdhsa_user_sgpr_queue_ptr 0
		.amdhsa_user_sgpr_kernarg_segment_ptr 1
		.amdhsa_user_sgpr_dispatch_id 0
		.amdhsa_user_sgpr_flat_scratch_init 0
		.amdhsa_user_sgpr_kernarg_preload_length 0
		.amdhsa_user_sgpr_kernarg_preload_offset 0
		.amdhsa_user_sgpr_private_segment_size 0
		.amdhsa_uses_dynamic_stack 0
		.amdhsa_system_sgpr_private_segment_wavefront_offset 0
		.amdhsa_system_sgpr_workgroup_id_x 1
		.amdhsa_system_sgpr_workgroup_id_y 0
		.amdhsa_system_sgpr_workgroup_id_z 0
		.amdhsa_system_sgpr_workgroup_info 0
		.amdhsa_system_vgpr_workitem_id 0
		.amdhsa_next_free_vgpr 14
		.amdhsa_next_free_sgpr 16
		.amdhsa_accum_offset 16
		.amdhsa_reserve_vcc 1
		.amdhsa_reserve_flat_scratch 0
		.amdhsa_float_round_mode_32 0
		.amdhsa_float_round_mode_16_64 0
		.amdhsa_float_denorm_mode_32 3
		.amdhsa_float_denorm_mode_16_64 3
		.amdhsa_dx10_clamp 1
		.amdhsa_ieee_mode 1
		.amdhsa_fp16_overflow 0
		.amdhsa_tg_split 0
		.amdhsa_exception_fp_ieee_invalid_op 0
		.amdhsa_exception_fp_denorm_src 0
		.amdhsa_exception_fp_ieee_div_zero 0
		.amdhsa_exception_fp_ieee_overflow 0
		.amdhsa_exception_fp_ieee_underflow 0
		.amdhsa_exception_fp_ieee_inexact 0
		.amdhsa_exception_int_div_zero 0
	.end_amdhsa_kernel
	.section	.text._ZN7rocprim17ROCPRIM_400000_NS6detail25reduce_by_key_init_kernelINS1_19lookback_scan_stateINS0_5tupleIJjfEEELb0ELb1EEEfNS1_16block_id_wrapperIjLb0EEEEEvT_jbjPmPT0_T1_,"axG",@progbits,_ZN7rocprim17ROCPRIM_400000_NS6detail25reduce_by_key_init_kernelINS1_19lookback_scan_stateINS0_5tupleIJjfEEELb0ELb1EEEfNS1_16block_id_wrapperIjLb0EEEEEvT_jbjPmPT0_T1_,comdat
.Lfunc_end88:
	.size	_ZN7rocprim17ROCPRIM_400000_NS6detail25reduce_by_key_init_kernelINS1_19lookback_scan_stateINS0_5tupleIJjfEEELb0ELb1EEEfNS1_16block_id_wrapperIjLb0EEEEEvT_jbjPmPT0_T1_, .Lfunc_end88-_ZN7rocprim17ROCPRIM_400000_NS6detail25reduce_by_key_init_kernelINS1_19lookback_scan_stateINS0_5tupleIJjfEEELb0ELb1EEEfNS1_16block_id_wrapperIjLb0EEEEEvT_jbjPmPT0_T1_
                                        ; -- End function
	.section	.AMDGPU.csdata,"",@progbits
; Kernel info:
; codeLenInByte = 568
; NumSgprs: 20
; NumVgprs: 14
; NumAgprs: 0
; TotalNumVgprs: 14
; ScratchSize: 0
; MemoryBound: 0
; FloatMode: 240
; IeeeMode: 1
; LDSByteSize: 0 bytes/workgroup (compile time only)
; SGPRBlocks: 2
; VGPRBlocks: 1
; NumSGPRsForWavesPerEU: 20
; NumVGPRsForWavesPerEU: 14
; AccumOffset: 16
; Occupancy: 8
; WaveLimiterHint : 0
; COMPUTE_PGM_RSRC2:SCRATCH_EN: 0
; COMPUTE_PGM_RSRC2:USER_SGPR: 6
; COMPUTE_PGM_RSRC2:TRAP_HANDLER: 0
; COMPUTE_PGM_RSRC2:TGID_X_EN: 1
; COMPUTE_PGM_RSRC2:TGID_Y_EN: 0
; COMPUTE_PGM_RSRC2:TGID_Z_EN: 0
; COMPUTE_PGM_RSRC2:TIDIG_COMP_CNT: 0
; COMPUTE_PGM_RSRC3_GFX90A:ACCUM_OFFSET: 3
; COMPUTE_PGM_RSRC3_GFX90A:TG_SPLIT: 0
	.section	.text._ZN7rocprim17ROCPRIM_400000_NS6detail17trampoline_kernelINS0_14default_configENS1_29reduce_by_key_config_selectorIffN6thrust23THRUST_200600_302600_NS4plusIfEEEEZZNS1_33reduce_by_key_impl_wrapped_configILNS1_25lookback_scan_determinismE1ES3_S9_NS6_6detail15normal_iteratorINS6_10device_ptrIfEEEESG_SG_SG_PmS8_NS6_8equal_toIfEEEE10hipError_tPvRmT2_T3_mT4_T5_T6_T7_T8_P12ihipStream_tbENKUlT_T0_E_clISt17integral_constantIbLb0EES11_EEDaSW_SX_EUlSW_E_NS1_11comp_targetILNS1_3genE0ELNS1_11target_archE4294967295ELNS1_3gpuE0ELNS1_3repE0EEENS1_30default_config_static_selectorELNS0_4arch9wavefront6targetE1EEEvT1_,"axG",@progbits,_ZN7rocprim17ROCPRIM_400000_NS6detail17trampoline_kernelINS0_14default_configENS1_29reduce_by_key_config_selectorIffN6thrust23THRUST_200600_302600_NS4plusIfEEEEZZNS1_33reduce_by_key_impl_wrapped_configILNS1_25lookback_scan_determinismE1ES3_S9_NS6_6detail15normal_iteratorINS6_10device_ptrIfEEEESG_SG_SG_PmS8_NS6_8equal_toIfEEEE10hipError_tPvRmT2_T3_mT4_T5_T6_T7_T8_P12ihipStream_tbENKUlT_T0_E_clISt17integral_constantIbLb0EES11_EEDaSW_SX_EUlSW_E_NS1_11comp_targetILNS1_3genE0ELNS1_11target_archE4294967295ELNS1_3gpuE0ELNS1_3repE0EEENS1_30default_config_static_selectorELNS0_4arch9wavefront6targetE1EEEvT1_,comdat
	.protected	_ZN7rocprim17ROCPRIM_400000_NS6detail17trampoline_kernelINS0_14default_configENS1_29reduce_by_key_config_selectorIffN6thrust23THRUST_200600_302600_NS4plusIfEEEEZZNS1_33reduce_by_key_impl_wrapped_configILNS1_25lookback_scan_determinismE1ES3_S9_NS6_6detail15normal_iteratorINS6_10device_ptrIfEEEESG_SG_SG_PmS8_NS6_8equal_toIfEEEE10hipError_tPvRmT2_T3_mT4_T5_T6_T7_T8_P12ihipStream_tbENKUlT_T0_E_clISt17integral_constantIbLb0EES11_EEDaSW_SX_EUlSW_E_NS1_11comp_targetILNS1_3genE0ELNS1_11target_archE4294967295ELNS1_3gpuE0ELNS1_3repE0EEENS1_30default_config_static_selectorELNS0_4arch9wavefront6targetE1EEEvT1_ ; -- Begin function _ZN7rocprim17ROCPRIM_400000_NS6detail17trampoline_kernelINS0_14default_configENS1_29reduce_by_key_config_selectorIffN6thrust23THRUST_200600_302600_NS4plusIfEEEEZZNS1_33reduce_by_key_impl_wrapped_configILNS1_25lookback_scan_determinismE1ES3_S9_NS6_6detail15normal_iteratorINS6_10device_ptrIfEEEESG_SG_SG_PmS8_NS6_8equal_toIfEEEE10hipError_tPvRmT2_T3_mT4_T5_T6_T7_T8_P12ihipStream_tbENKUlT_T0_E_clISt17integral_constantIbLb0EES11_EEDaSW_SX_EUlSW_E_NS1_11comp_targetILNS1_3genE0ELNS1_11target_archE4294967295ELNS1_3gpuE0ELNS1_3repE0EEENS1_30default_config_static_selectorELNS0_4arch9wavefront6targetE1EEEvT1_
	.globl	_ZN7rocprim17ROCPRIM_400000_NS6detail17trampoline_kernelINS0_14default_configENS1_29reduce_by_key_config_selectorIffN6thrust23THRUST_200600_302600_NS4plusIfEEEEZZNS1_33reduce_by_key_impl_wrapped_configILNS1_25lookback_scan_determinismE1ES3_S9_NS6_6detail15normal_iteratorINS6_10device_ptrIfEEEESG_SG_SG_PmS8_NS6_8equal_toIfEEEE10hipError_tPvRmT2_T3_mT4_T5_T6_T7_T8_P12ihipStream_tbENKUlT_T0_E_clISt17integral_constantIbLb0EES11_EEDaSW_SX_EUlSW_E_NS1_11comp_targetILNS1_3genE0ELNS1_11target_archE4294967295ELNS1_3gpuE0ELNS1_3repE0EEENS1_30default_config_static_selectorELNS0_4arch9wavefront6targetE1EEEvT1_
	.p2align	8
	.type	_ZN7rocprim17ROCPRIM_400000_NS6detail17trampoline_kernelINS0_14default_configENS1_29reduce_by_key_config_selectorIffN6thrust23THRUST_200600_302600_NS4plusIfEEEEZZNS1_33reduce_by_key_impl_wrapped_configILNS1_25lookback_scan_determinismE1ES3_S9_NS6_6detail15normal_iteratorINS6_10device_ptrIfEEEESG_SG_SG_PmS8_NS6_8equal_toIfEEEE10hipError_tPvRmT2_T3_mT4_T5_T6_T7_T8_P12ihipStream_tbENKUlT_T0_E_clISt17integral_constantIbLb0EES11_EEDaSW_SX_EUlSW_E_NS1_11comp_targetILNS1_3genE0ELNS1_11target_archE4294967295ELNS1_3gpuE0ELNS1_3repE0EEENS1_30default_config_static_selectorELNS0_4arch9wavefront6targetE1EEEvT1_,@function
_ZN7rocprim17ROCPRIM_400000_NS6detail17trampoline_kernelINS0_14default_configENS1_29reduce_by_key_config_selectorIffN6thrust23THRUST_200600_302600_NS4plusIfEEEEZZNS1_33reduce_by_key_impl_wrapped_configILNS1_25lookback_scan_determinismE1ES3_S9_NS6_6detail15normal_iteratorINS6_10device_ptrIfEEEESG_SG_SG_PmS8_NS6_8equal_toIfEEEE10hipError_tPvRmT2_T3_mT4_T5_T6_T7_T8_P12ihipStream_tbENKUlT_T0_E_clISt17integral_constantIbLb0EES11_EEDaSW_SX_EUlSW_E_NS1_11comp_targetILNS1_3genE0ELNS1_11target_archE4294967295ELNS1_3gpuE0ELNS1_3repE0EEENS1_30default_config_static_selectorELNS0_4arch9wavefront6targetE1EEEvT1_: ; @_ZN7rocprim17ROCPRIM_400000_NS6detail17trampoline_kernelINS0_14default_configENS1_29reduce_by_key_config_selectorIffN6thrust23THRUST_200600_302600_NS4plusIfEEEEZZNS1_33reduce_by_key_impl_wrapped_configILNS1_25lookback_scan_determinismE1ES3_S9_NS6_6detail15normal_iteratorINS6_10device_ptrIfEEEESG_SG_SG_PmS8_NS6_8equal_toIfEEEE10hipError_tPvRmT2_T3_mT4_T5_T6_T7_T8_P12ihipStream_tbENKUlT_T0_E_clISt17integral_constantIbLb0EES11_EEDaSW_SX_EUlSW_E_NS1_11comp_targetILNS1_3genE0ELNS1_11target_archE4294967295ELNS1_3gpuE0ELNS1_3repE0EEENS1_30default_config_static_selectorELNS0_4arch9wavefront6targetE1EEEvT1_
; %bb.0:
	.section	.rodata,"a",@progbits
	.p2align	6, 0x0
	.amdhsa_kernel _ZN7rocprim17ROCPRIM_400000_NS6detail17trampoline_kernelINS0_14default_configENS1_29reduce_by_key_config_selectorIffN6thrust23THRUST_200600_302600_NS4plusIfEEEEZZNS1_33reduce_by_key_impl_wrapped_configILNS1_25lookback_scan_determinismE1ES3_S9_NS6_6detail15normal_iteratorINS6_10device_ptrIfEEEESG_SG_SG_PmS8_NS6_8equal_toIfEEEE10hipError_tPvRmT2_T3_mT4_T5_T6_T7_T8_P12ihipStream_tbENKUlT_T0_E_clISt17integral_constantIbLb0EES11_EEDaSW_SX_EUlSW_E_NS1_11comp_targetILNS1_3genE0ELNS1_11target_archE4294967295ELNS1_3gpuE0ELNS1_3repE0EEENS1_30default_config_static_selectorELNS0_4arch9wavefront6targetE1EEEvT1_
		.amdhsa_group_segment_fixed_size 0
		.amdhsa_private_segment_fixed_size 0
		.amdhsa_kernarg_size 120
		.amdhsa_user_sgpr_count 6
		.amdhsa_user_sgpr_private_segment_buffer 1
		.amdhsa_user_sgpr_dispatch_ptr 0
		.amdhsa_user_sgpr_queue_ptr 0
		.amdhsa_user_sgpr_kernarg_segment_ptr 1
		.amdhsa_user_sgpr_dispatch_id 0
		.amdhsa_user_sgpr_flat_scratch_init 0
		.amdhsa_user_sgpr_kernarg_preload_length 0
		.amdhsa_user_sgpr_kernarg_preload_offset 0
		.amdhsa_user_sgpr_private_segment_size 0
		.amdhsa_uses_dynamic_stack 0
		.amdhsa_system_sgpr_private_segment_wavefront_offset 0
		.amdhsa_system_sgpr_workgroup_id_x 1
		.amdhsa_system_sgpr_workgroup_id_y 0
		.amdhsa_system_sgpr_workgroup_id_z 0
		.amdhsa_system_sgpr_workgroup_info 0
		.amdhsa_system_vgpr_workitem_id 0
		.amdhsa_next_free_vgpr 1
		.amdhsa_next_free_sgpr 0
		.amdhsa_accum_offset 4
		.amdhsa_reserve_vcc 0
		.amdhsa_reserve_flat_scratch 0
		.amdhsa_float_round_mode_32 0
		.amdhsa_float_round_mode_16_64 0
		.amdhsa_float_denorm_mode_32 3
		.amdhsa_float_denorm_mode_16_64 3
		.amdhsa_dx10_clamp 1
		.amdhsa_ieee_mode 1
		.amdhsa_fp16_overflow 0
		.amdhsa_tg_split 0
		.amdhsa_exception_fp_ieee_invalid_op 0
		.amdhsa_exception_fp_denorm_src 0
		.amdhsa_exception_fp_ieee_div_zero 0
		.amdhsa_exception_fp_ieee_overflow 0
		.amdhsa_exception_fp_ieee_underflow 0
		.amdhsa_exception_fp_ieee_inexact 0
		.amdhsa_exception_int_div_zero 0
	.end_amdhsa_kernel
	.section	.text._ZN7rocprim17ROCPRIM_400000_NS6detail17trampoline_kernelINS0_14default_configENS1_29reduce_by_key_config_selectorIffN6thrust23THRUST_200600_302600_NS4plusIfEEEEZZNS1_33reduce_by_key_impl_wrapped_configILNS1_25lookback_scan_determinismE1ES3_S9_NS6_6detail15normal_iteratorINS6_10device_ptrIfEEEESG_SG_SG_PmS8_NS6_8equal_toIfEEEE10hipError_tPvRmT2_T3_mT4_T5_T6_T7_T8_P12ihipStream_tbENKUlT_T0_E_clISt17integral_constantIbLb0EES11_EEDaSW_SX_EUlSW_E_NS1_11comp_targetILNS1_3genE0ELNS1_11target_archE4294967295ELNS1_3gpuE0ELNS1_3repE0EEENS1_30default_config_static_selectorELNS0_4arch9wavefront6targetE1EEEvT1_,"axG",@progbits,_ZN7rocprim17ROCPRIM_400000_NS6detail17trampoline_kernelINS0_14default_configENS1_29reduce_by_key_config_selectorIffN6thrust23THRUST_200600_302600_NS4plusIfEEEEZZNS1_33reduce_by_key_impl_wrapped_configILNS1_25lookback_scan_determinismE1ES3_S9_NS6_6detail15normal_iteratorINS6_10device_ptrIfEEEESG_SG_SG_PmS8_NS6_8equal_toIfEEEE10hipError_tPvRmT2_T3_mT4_T5_T6_T7_T8_P12ihipStream_tbENKUlT_T0_E_clISt17integral_constantIbLb0EES11_EEDaSW_SX_EUlSW_E_NS1_11comp_targetILNS1_3genE0ELNS1_11target_archE4294967295ELNS1_3gpuE0ELNS1_3repE0EEENS1_30default_config_static_selectorELNS0_4arch9wavefront6targetE1EEEvT1_,comdat
.Lfunc_end89:
	.size	_ZN7rocprim17ROCPRIM_400000_NS6detail17trampoline_kernelINS0_14default_configENS1_29reduce_by_key_config_selectorIffN6thrust23THRUST_200600_302600_NS4plusIfEEEEZZNS1_33reduce_by_key_impl_wrapped_configILNS1_25lookback_scan_determinismE1ES3_S9_NS6_6detail15normal_iteratorINS6_10device_ptrIfEEEESG_SG_SG_PmS8_NS6_8equal_toIfEEEE10hipError_tPvRmT2_T3_mT4_T5_T6_T7_T8_P12ihipStream_tbENKUlT_T0_E_clISt17integral_constantIbLb0EES11_EEDaSW_SX_EUlSW_E_NS1_11comp_targetILNS1_3genE0ELNS1_11target_archE4294967295ELNS1_3gpuE0ELNS1_3repE0EEENS1_30default_config_static_selectorELNS0_4arch9wavefront6targetE1EEEvT1_, .Lfunc_end89-_ZN7rocprim17ROCPRIM_400000_NS6detail17trampoline_kernelINS0_14default_configENS1_29reduce_by_key_config_selectorIffN6thrust23THRUST_200600_302600_NS4plusIfEEEEZZNS1_33reduce_by_key_impl_wrapped_configILNS1_25lookback_scan_determinismE1ES3_S9_NS6_6detail15normal_iteratorINS6_10device_ptrIfEEEESG_SG_SG_PmS8_NS6_8equal_toIfEEEE10hipError_tPvRmT2_T3_mT4_T5_T6_T7_T8_P12ihipStream_tbENKUlT_T0_E_clISt17integral_constantIbLb0EES11_EEDaSW_SX_EUlSW_E_NS1_11comp_targetILNS1_3genE0ELNS1_11target_archE4294967295ELNS1_3gpuE0ELNS1_3repE0EEENS1_30default_config_static_selectorELNS0_4arch9wavefront6targetE1EEEvT1_
                                        ; -- End function
	.section	.AMDGPU.csdata,"",@progbits
; Kernel info:
; codeLenInByte = 0
; NumSgprs: 4
; NumVgprs: 0
; NumAgprs: 0
; TotalNumVgprs: 0
; ScratchSize: 0
; MemoryBound: 0
; FloatMode: 240
; IeeeMode: 1
; LDSByteSize: 0 bytes/workgroup (compile time only)
; SGPRBlocks: 0
; VGPRBlocks: 0
; NumSGPRsForWavesPerEU: 4
; NumVGPRsForWavesPerEU: 1
; AccumOffset: 4
; Occupancy: 8
; WaveLimiterHint : 0
; COMPUTE_PGM_RSRC2:SCRATCH_EN: 0
; COMPUTE_PGM_RSRC2:USER_SGPR: 6
; COMPUTE_PGM_RSRC2:TRAP_HANDLER: 0
; COMPUTE_PGM_RSRC2:TGID_X_EN: 1
; COMPUTE_PGM_RSRC2:TGID_Y_EN: 0
; COMPUTE_PGM_RSRC2:TGID_Z_EN: 0
; COMPUTE_PGM_RSRC2:TIDIG_COMP_CNT: 0
; COMPUTE_PGM_RSRC3_GFX90A:ACCUM_OFFSET: 0
; COMPUTE_PGM_RSRC3_GFX90A:TG_SPLIT: 0
	.section	.text._ZN7rocprim17ROCPRIM_400000_NS6detail17trampoline_kernelINS0_14default_configENS1_29reduce_by_key_config_selectorIffN6thrust23THRUST_200600_302600_NS4plusIfEEEEZZNS1_33reduce_by_key_impl_wrapped_configILNS1_25lookback_scan_determinismE1ES3_S9_NS6_6detail15normal_iteratorINS6_10device_ptrIfEEEESG_SG_SG_PmS8_NS6_8equal_toIfEEEE10hipError_tPvRmT2_T3_mT4_T5_T6_T7_T8_P12ihipStream_tbENKUlT_T0_E_clISt17integral_constantIbLb0EES11_EEDaSW_SX_EUlSW_E_NS1_11comp_targetILNS1_3genE5ELNS1_11target_archE942ELNS1_3gpuE9ELNS1_3repE0EEENS1_30default_config_static_selectorELNS0_4arch9wavefront6targetE1EEEvT1_,"axG",@progbits,_ZN7rocprim17ROCPRIM_400000_NS6detail17trampoline_kernelINS0_14default_configENS1_29reduce_by_key_config_selectorIffN6thrust23THRUST_200600_302600_NS4plusIfEEEEZZNS1_33reduce_by_key_impl_wrapped_configILNS1_25lookback_scan_determinismE1ES3_S9_NS6_6detail15normal_iteratorINS6_10device_ptrIfEEEESG_SG_SG_PmS8_NS6_8equal_toIfEEEE10hipError_tPvRmT2_T3_mT4_T5_T6_T7_T8_P12ihipStream_tbENKUlT_T0_E_clISt17integral_constantIbLb0EES11_EEDaSW_SX_EUlSW_E_NS1_11comp_targetILNS1_3genE5ELNS1_11target_archE942ELNS1_3gpuE9ELNS1_3repE0EEENS1_30default_config_static_selectorELNS0_4arch9wavefront6targetE1EEEvT1_,comdat
	.protected	_ZN7rocprim17ROCPRIM_400000_NS6detail17trampoline_kernelINS0_14default_configENS1_29reduce_by_key_config_selectorIffN6thrust23THRUST_200600_302600_NS4plusIfEEEEZZNS1_33reduce_by_key_impl_wrapped_configILNS1_25lookback_scan_determinismE1ES3_S9_NS6_6detail15normal_iteratorINS6_10device_ptrIfEEEESG_SG_SG_PmS8_NS6_8equal_toIfEEEE10hipError_tPvRmT2_T3_mT4_T5_T6_T7_T8_P12ihipStream_tbENKUlT_T0_E_clISt17integral_constantIbLb0EES11_EEDaSW_SX_EUlSW_E_NS1_11comp_targetILNS1_3genE5ELNS1_11target_archE942ELNS1_3gpuE9ELNS1_3repE0EEENS1_30default_config_static_selectorELNS0_4arch9wavefront6targetE1EEEvT1_ ; -- Begin function _ZN7rocprim17ROCPRIM_400000_NS6detail17trampoline_kernelINS0_14default_configENS1_29reduce_by_key_config_selectorIffN6thrust23THRUST_200600_302600_NS4plusIfEEEEZZNS1_33reduce_by_key_impl_wrapped_configILNS1_25lookback_scan_determinismE1ES3_S9_NS6_6detail15normal_iteratorINS6_10device_ptrIfEEEESG_SG_SG_PmS8_NS6_8equal_toIfEEEE10hipError_tPvRmT2_T3_mT4_T5_T6_T7_T8_P12ihipStream_tbENKUlT_T0_E_clISt17integral_constantIbLb0EES11_EEDaSW_SX_EUlSW_E_NS1_11comp_targetILNS1_3genE5ELNS1_11target_archE942ELNS1_3gpuE9ELNS1_3repE0EEENS1_30default_config_static_selectorELNS0_4arch9wavefront6targetE1EEEvT1_
	.globl	_ZN7rocprim17ROCPRIM_400000_NS6detail17trampoline_kernelINS0_14default_configENS1_29reduce_by_key_config_selectorIffN6thrust23THRUST_200600_302600_NS4plusIfEEEEZZNS1_33reduce_by_key_impl_wrapped_configILNS1_25lookback_scan_determinismE1ES3_S9_NS6_6detail15normal_iteratorINS6_10device_ptrIfEEEESG_SG_SG_PmS8_NS6_8equal_toIfEEEE10hipError_tPvRmT2_T3_mT4_T5_T6_T7_T8_P12ihipStream_tbENKUlT_T0_E_clISt17integral_constantIbLb0EES11_EEDaSW_SX_EUlSW_E_NS1_11comp_targetILNS1_3genE5ELNS1_11target_archE942ELNS1_3gpuE9ELNS1_3repE0EEENS1_30default_config_static_selectorELNS0_4arch9wavefront6targetE1EEEvT1_
	.p2align	8
	.type	_ZN7rocprim17ROCPRIM_400000_NS6detail17trampoline_kernelINS0_14default_configENS1_29reduce_by_key_config_selectorIffN6thrust23THRUST_200600_302600_NS4plusIfEEEEZZNS1_33reduce_by_key_impl_wrapped_configILNS1_25lookback_scan_determinismE1ES3_S9_NS6_6detail15normal_iteratorINS6_10device_ptrIfEEEESG_SG_SG_PmS8_NS6_8equal_toIfEEEE10hipError_tPvRmT2_T3_mT4_T5_T6_T7_T8_P12ihipStream_tbENKUlT_T0_E_clISt17integral_constantIbLb0EES11_EEDaSW_SX_EUlSW_E_NS1_11comp_targetILNS1_3genE5ELNS1_11target_archE942ELNS1_3gpuE9ELNS1_3repE0EEENS1_30default_config_static_selectorELNS0_4arch9wavefront6targetE1EEEvT1_,@function
_ZN7rocprim17ROCPRIM_400000_NS6detail17trampoline_kernelINS0_14default_configENS1_29reduce_by_key_config_selectorIffN6thrust23THRUST_200600_302600_NS4plusIfEEEEZZNS1_33reduce_by_key_impl_wrapped_configILNS1_25lookback_scan_determinismE1ES3_S9_NS6_6detail15normal_iteratorINS6_10device_ptrIfEEEESG_SG_SG_PmS8_NS6_8equal_toIfEEEE10hipError_tPvRmT2_T3_mT4_T5_T6_T7_T8_P12ihipStream_tbENKUlT_T0_E_clISt17integral_constantIbLb0EES11_EEDaSW_SX_EUlSW_E_NS1_11comp_targetILNS1_3genE5ELNS1_11target_archE942ELNS1_3gpuE9ELNS1_3repE0EEENS1_30default_config_static_selectorELNS0_4arch9wavefront6targetE1EEEvT1_: ; @_ZN7rocprim17ROCPRIM_400000_NS6detail17trampoline_kernelINS0_14default_configENS1_29reduce_by_key_config_selectorIffN6thrust23THRUST_200600_302600_NS4plusIfEEEEZZNS1_33reduce_by_key_impl_wrapped_configILNS1_25lookback_scan_determinismE1ES3_S9_NS6_6detail15normal_iteratorINS6_10device_ptrIfEEEESG_SG_SG_PmS8_NS6_8equal_toIfEEEE10hipError_tPvRmT2_T3_mT4_T5_T6_T7_T8_P12ihipStream_tbENKUlT_T0_E_clISt17integral_constantIbLb0EES11_EEDaSW_SX_EUlSW_E_NS1_11comp_targetILNS1_3genE5ELNS1_11target_archE942ELNS1_3gpuE9ELNS1_3repE0EEENS1_30default_config_static_selectorELNS0_4arch9wavefront6targetE1EEEvT1_
; %bb.0:
	.section	.rodata,"a",@progbits
	.p2align	6, 0x0
	.amdhsa_kernel _ZN7rocprim17ROCPRIM_400000_NS6detail17trampoline_kernelINS0_14default_configENS1_29reduce_by_key_config_selectorIffN6thrust23THRUST_200600_302600_NS4plusIfEEEEZZNS1_33reduce_by_key_impl_wrapped_configILNS1_25lookback_scan_determinismE1ES3_S9_NS6_6detail15normal_iteratorINS6_10device_ptrIfEEEESG_SG_SG_PmS8_NS6_8equal_toIfEEEE10hipError_tPvRmT2_T3_mT4_T5_T6_T7_T8_P12ihipStream_tbENKUlT_T0_E_clISt17integral_constantIbLb0EES11_EEDaSW_SX_EUlSW_E_NS1_11comp_targetILNS1_3genE5ELNS1_11target_archE942ELNS1_3gpuE9ELNS1_3repE0EEENS1_30default_config_static_selectorELNS0_4arch9wavefront6targetE1EEEvT1_
		.amdhsa_group_segment_fixed_size 0
		.amdhsa_private_segment_fixed_size 0
		.amdhsa_kernarg_size 120
		.amdhsa_user_sgpr_count 6
		.amdhsa_user_sgpr_private_segment_buffer 1
		.amdhsa_user_sgpr_dispatch_ptr 0
		.amdhsa_user_sgpr_queue_ptr 0
		.amdhsa_user_sgpr_kernarg_segment_ptr 1
		.amdhsa_user_sgpr_dispatch_id 0
		.amdhsa_user_sgpr_flat_scratch_init 0
		.amdhsa_user_sgpr_kernarg_preload_length 0
		.amdhsa_user_sgpr_kernarg_preload_offset 0
		.amdhsa_user_sgpr_private_segment_size 0
		.amdhsa_uses_dynamic_stack 0
		.amdhsa_system_sgpr_private_segment_wavefront_offset 0
		.amdhsa_system_sgpr_workgroup_id_x 1
		.amdhsa_system_sgpr_workgroup_id_y 0
		.amdhsa_system_sgpr_workgroup_id_z 0
		.amdhsa_system_sgpr_workgroup_info 0
		.amdhsa_system_vgpr_workitem_id 0
		.amdhsa_next_free_vgpr 1
		.amdhsa_next_free_sgpr 0
		.amdhsa_accum_offset 4
		.amdhsa_reserve_vcc 0
		.amdhsa_reserve_flat_scratch 0
		.amdhsa_float_round_mode_32 0
		.amdhsa_float_round_mode_16_64 0
		.amdhsa_float_denorm_mode_32 3
		.amdhsa_float_denorm_mode_16_64 3
		.amdhsa_dx10_clamp 1
		.amdhsa_ieee_mode 1
		.amdhsa_fp16_overflow 0
		.amdhsa_tg_split 0
		.amdhsa_exception_fp_ieee_invalid_op 0
		.amdhsa_exception_fp_denorm_src 0
		.amdhsa_exception_fp_ieee_div_zero 0
		.amdhsa_exception_fp_ieee_overflow 0
		.amdhsa_exception_fp_ieee_underflow 0
		.amdhsa_exception_fp_ieee_inexact 0
		.amdhsa_exception_int_div_zero 0
	.end_amdhsa_kernel
	.section	.text._ZN7rocprim17ROCPRIM_400000_NS6detail17trampoline_kernelINS0_14default_configENS1_29reduce_by_key_config_selectorIffN6thrust23THRUST_200600_302600_NS4plusIfEEEEZZNS1_33reduce_by_key_impl_wrapped_configILNS1_25lookback_scan_determinismE1ES3_S9_NS6_6detail15normal_iteratorINS6_10device_ptrIfEEEESG_SG_SG_PmS8_NS6_8equal_toIfEEEE10hipError_tPvRmT2_T3_mT4_T5_T6_T7_T8_P12ihipStream_tbENKUlT_T0_E_clISt17integral_constantIbLb0EES11_EEDaSW_SX_EUlSW_E_NS1_11comp_targetILNS1_3genE5ELNS1_11target_archE942ELNS1_3gpuE9ELNS1_3repE0EEENS1_30default_config_static_selectorELNS0_4arch9wavefront6targetE1EEEvT1_,"axG",@progbits,_ZN7rocprim17ROCPRIM_400000_NS6detail17trampoline_kernelINS0_14default_configENS1_29reduce_by_key_config_selectorIffN6thrust23THRUST_200600_302600_NS4plusIfEEEEZZNS1_33reduce_by_key_impl_wrapped_configILNS1_25lookback_scan_determinismE1ES3_S9_NS6_6detail15normal_iteratorINS6_10device_ptrIfEEEESG_SG_SG_PmS8_NS6_8equal_toIfEEEE10hipError_tPvRmT2_T3_mT4_T5_T6_T7_T8_P12ihipStream_tbENKUlT_T0_E_clISt17integral_constantIbLb0EES11_EEDaSW_SX_EUlSW_E_NS1_11comp_targetILNS1_3genE5ELNS1_11target_archE942ELNS1_3gpuE9ELNS1_3repE0EEENS1_30default_config_static_selectorELNS0_4arch9wavefront6targetE1EEEvT1_,comdat
.Lfunc_end90:
	.size	_ZN7rocprim17ROCPRIM_400000_NS6detail17trampoline_kernelINS0_14default_configENS1_29reduce_by_key_config_selectorIffN6thrust23THRUST_200600_302600_NS4plusIfEEEEZZNS1_33reduce_by_key_impl_wrapped_configILNS1_25lookback_scan_determinismE1ES3_S9_NS6_6detail15normal_iteratorINS6_10device_ptrIfEEEESG_SG_SG_PmS8_NS6_8equal_toIfEEEE10hipError_tPvRmT2_T3_mT4_T5_T6_T7_T8_P12ihipStream_tbENKUlT_T0_E_clISt17integral_constantIbLb0EES11_EEDaSW_SX_EUlSW_E_NS1_11comp_targetILNS1_3genE5ELNS1_11target_archE942ELNS1_3gpuE9ELNS1_3repE0EEENS1_30default_config_static_selectorELNS0_4arch9wavefront6targetE1EEEvT1_, .Lfunc_end90-_ZN7rocprim17ROCPRIM_400000_NS6detail17trampoline_kernelINS0_14default_configENS1_29reduce_by_key_config_selectorIffN6thrust23THRUST_200600_302600_NS4plusIfEEEEZZNS1_33reduce_by_key_impl_wrapped_configILNS1_25lookback_scan_determinismE1ES3_S9_NS6_6detail15normal_iteratorINS6_10device_ptrIfEEEESG_SG_SG_PmS8_NS6_8equal_toIfEEEE10hipError_tPvRmT2_T3_mT4_T5_T6_T7_T8_P12ihipStream_tbENKUlT_T0_E_clISt17integral_constantIbLb0EES11_EEDaSW_SX_EUlSW_E_NS1_11comp_targetILNS1_3genE5ELNS1_11target_archE942ELNS1_3gpuE9ELNS1_3repE0EEENS1_30default_config_static_selectorELNS0_4arch9wavefront6targetE1EEEvT1_
                                        ; -- End function
	.section	.AMDGPU.csdata,"",@progbits
; Kernel info:
; codeLenInByte = 0
; NumSgprs: 4
; NumVgprs: 0
; NumAgprs: 0
; TotalNumVgprs: 0
; ScratchSize: 0
; MemoryBound: 0
; FloatMode: 240
; IeeeMode: 1
; LDSByteSize: 0 bytes/workgroup (compile time only)
; SGPRBlocks: 0
; VGPRBlocks: 0
; NumSGPRsForWavesPerEU: 4
; NumVGPRsForWavesPerEU: 1
; AccumOffset: 4
; Occupancy: 8
; WaveLimiterHint : 0
; COMPUTE_PGM_RSRC2:SCRATCH_EN: 0
; COMPUTE_PGM_RSRC2:USER_SGPR: 6
; COMPUTE_PGM_RSRC2:TRAP_HANDLER: 0
; COMPUTE_PGM_RSRC2:TGID_X_EN: 1
; COMPUTE_PGM_RSRC2:TGID_Y_EN: 0
; COMPUTE_PGM_RSRC2:TGID_Z_EN: 0
; COMPUTE_PGM_RSRC2:TIDIG_COMP_CNT: 0
; COMPUTE_PGM_RSRC3_GFX90A:ACCUM_OFFSET: 0
; COMPUTE_PGM_RSRC3_GFX90A:TG_SPLIT: 0
	.section	.text._ZN7rocprim17ROCPRIM_400000_NS6detail17trampoline_kernelINS0_14default_configENS1_29reduce_by_key_config_selectorIffN6thrust23THRUST_200600_302600_NS4plusIfEEEEZZNS1_33reduce_by_key_impl_wrapped_configILNS1_25lookback_scan_determinismE1ES3_S9_NS6_6detail15normal_iteratorINS6_10device_ptrIfEEEESG_SG_SG_PmS8_NS6_8equal_toIfEEEE10hipError_tPvRmT2_T3_mT4_T5_T6_T7_T8_P12ihipStream_tbENKUlT_T0_E_clISt17integral_constantIbLb0EES11_EEDaSW_SX_EUlSW_E_NS1_11comp_targetILNS1_3genE4ELNS1_11target_archE910ELNS1_3gpuE8ELNS1_3repE0EEENS1_30default_config_static_selectorELNS0_4arch9wavefront6targetE1EEEvT1_,"axG",@progbits,_ZN7rocprim17ROCPRIM_400000_NS6detail17trampoline_kernelINS0_14default_configENS1_29reduce_by_key_config_selectorIffN6thrust23THRUST_200600_302600_NS4plusIfEEEEZZNS1_33reduce_by_key_impl_wrapped_configILNS1_25lookback_scan_determinismE1ES3_S9_NS6_6detail15normal_iteratorINS6_10device_ptrIfEEEESG_SG_SG_PmS8_NS6_8equal_toIfEEEE10hipError_tPvRmT2_T3_mT4_T5_T6_T7_T8_P12ihipStream_tbENKUlT_T0_E_clISt17integral_constantIbLb0EES11_EEDaSW_SX_EUlSW_E_NS1_11comp_targetILNS1_3genE4ELNS1_11target_archE910ELNS1_3gpuE8ELNS1_3repE0EEENS1_30default_config_static_selectorELNS0_4arch9wavefront6targetE1EEEvT1_,comdat
	.protected	_ZN7rocprim17ROCPRIM_400000_NS6detail17trampoline_kernelINS0_14default_configENS1_29reduce_by_key_config_selectorIffN6thrust23THRUST_200600_302600_NS4plusIfEEEEZZNS1_33reduce_by_key_impl_wrapped_configILNS1_25lookback_scan_determinismE1ES3_S9_NS6_6detail15normal_iteratorINS6_10device_ptrIfEEEESG_SG_SG_PmS8_NS6_8equal_toIfEEEE10hipError_tPvRmT2_T3_mT4_T5_T6_T7_T8_P12ihipStream_tbENKUlT_T0_E_clISt17integral_constantIbLb0EES11_EEDaSW_SX_EUlSW_E_NS1_11comp_targetILNS1_3genE4ELNS1_11target_archE910ELNS1_3gpuE8ELNS1_3repE0EEENS1_30default_config_static_selectorELNS0_4arch9wavefront6targetE1EEEvT1_ ; -- Begin function _ZN7rocprim17ROCPRIM_400000_NS6detail17trampoline_kernelINS0_14default_configENS1_29reduce_by_key_config_selectorIffN6thrust23THRUST_200600_302600_NS4plusIfEEEEZZNS1_33reduce_by_key_impl_wrapped_configILNS1_25lookback_scan_determinismE1ES3_S9_NS6_6detail15normal_iteratorINS6_10device_ptrIfEEEESG_SG_SG_PmS8_NS6_8equal_toIfEEEE10hipError_tPvRmT2_T3_mT4_T5_T6_T7_T8_P12ihipStream_tbENKUlT_T0_E_clISt17integral_constantIbLb0EES11_EEDaSW_SX_EUlSW_E_NS1_11comp_targetILNS1_3genE4ELNS1_11target_archE910ELNS1_3gpuE8ELNS1_3repE0EEENS1_30default_config_static_selectorELNS0_4arch9wavefront6targetE1EEEvT1_
	.globl	_ZN7rocprim17ROCPRIM_400000_NS6detail17trampoline_kernelINS0_14default_configENS1_29reduce_by_key_config_selectorIffN6thrust23THRUST_200600_302600_NS4plusIfEEEEZZNS1_33reduce_by_key_impl_wrapped_configILNS1_25lookback_scan_determinismE1ES3_S9_NS6_6detail15normal_iteratorINS6_10device_ptrIfEEEESG_SG_SG_PmS8_NS6_8equal_toIfEEEE10hipError_tPvRmT2_T3_mT4_T5_T6_T7_T8_P12ihipStream_tbENKUlT_T0_E_clISt17integral_constantIbLb0EES11_EEDaSW_SX_EUlSW_E_NS1_11comp_targetILNS1_3genE4ELNS1_11target_archE910ELNS1_3gpuE8ELNS1_3repE0EEENS1_30default_config_static_selectorELNS0_4arch9wavefront6targetE1EEEvT1_
	.p2align	8
	.type	_ZN7rocprim17ROCPRIM_400000_NS6detail17trampoline_kernelINS0_14default_configENS1_29reduce_by_key_config_selectorIffN6thrust23THRUST_200600_302600_NS4plusIfEEEEZZNS1_33reduce_by_key_impl_wrapped_configILNS1_25lookback_scan_determinismE1ES3_S9_NS6_6detail15normal_iteratorINS6_10device_ptrIfEEEESG_SG_SG_PmS8_NS6_8equal_toIfEEEE10hipError_tPvRmT2_T3_mT4_T5_T6_T7_T8_P12ihipStream_tbENKUlT_T0_E_clISt17integral_constantIbLb0EES11_EEDaSW_SX_EUlSW_E_NS1_11comp_targetILNS1_3genE4ELNS1_11target_archE910ELNS1_3gpuE8ELNS1_3repE0EEENS1_30default_config_static_selectorELNS0_4arch9wavefront6targetE1EEEvT1_,@function
_ZN7rocprim17ROCPRIM_400000_NS6detail17trampoline_kernelINS0_14default_configENS1_29reduce_by_key_config_selectorIffN6thrust23THRUST_200600_302600_NS4plusIfEEEEZZNS1_33reduce_by_key_impl_wrapped_configILNS1_25lookback_scan_determinismE1ES3_S9_NS6_6detail15normal_iteratorINS6_10device_ptrIfEEEESG_SG_SG_PmS8_NS6_8equal_toIfEEEE10hipError_tPvRmT2_T3_mT4_T5_T6_T7_T8_P12ihipStream_tbENKUlT_T0_E_clISt17integral_constantIbLb0EES11_EEDaSW_SX_EUlSW_E_NS1_11comp_targetILNS1_3genE4ELNS1_11target_archE910ELNS1_3gpuE8ELNS1_3repE0EEENS1_30default_config_static_selectorELNS0_4arch9wavefront6targetE1EEEvT1_: ; @_ZN7rocprim17ROCPRIM_400000_NS6detail17trampoline_kernelINS0_14default_configENS1_29reduce_by_key_config_selectorIffN6thrust23THRUST_200600_302600_NS4plusIfEEEEZZNS1_33reduce_by_key_impl_wrapped_configILNS1_25lookback_scan_determinismE1ES3_S9_NS6_6detail15normal_iteratorINS6_10device_ptrIfEEEESG_SG_SG_PmS8_NS6_8equal_toIfEEEE10hipError_tPvRmT2_T3_mT4_T5_T6_T7_T8_P12ihipStream_tbENKUlT_T0_E_clISt17integral_constantIbLb0EES11_EEDaSW_SX_EUlSW_E_NS1_11comp_targetILNS1_3genE4ELNS1_11target_archE910ELNS1_3gpuE8ELNS1_3repE0EEENS1_30default_config_static_selectorELNS0_4arch9wavefront6targetE1EEEvT1_
; %bb.0:
	s_add_u32 flat_scratch_lo, s6, s9
	s_addc_u32 flat_scratch_hi, s7, 0
	s_add_u32 s0, s0, s9
	s_load_dwordx8 s[36:43], s[4:5], 0x0
	s_load_dwordx4 s[52:55], s[4:5], 0x20
	s_load_dwordx8 s[44:51], s[4:5], 0x38
	s_load_dwordx2 s[60:61], s[4:5], 0x68
	s_load_dwordx4 s[56:59], s[4:5], 0x58
	s_addc_u32 s1, s1, 0
	s_waitcnt lgkmcnt(0)
	s_lshl_b64 s[4:5], s[38:39], 2
	s_add_u32 s6, s36, s4
	s_addc_u32 s7, s37, s5
	s_add_u32 s10, s40, s4
	s_addc_u32 s11, s41, s5
	s_mul_i32 s4, s48, s47
	s_mul_hi_u32 s5, s48, s46
	s_add_i32 s4, s5, s4
	s_mul_i32 s5, s49, s46
	s_add_i32 s12, s4, s5
	s_mul_i32 s4, s8, 0xf00
	s_mov_b32 s5, 0
	s_lshl_b64 s[4:5], s[4:5], 2
	s_add_u32 s9, s6, s4
	s_addc_u32 s62, s7, s5
	s_add_u32 s63, s10, s4
	s_mul_i32 s13, s48, s46
	s_addc_u32 s64, s11, s5
	s_add_u32 s48, s13, s8
	s_addc_u32 s49, s12, 0
	s_add_u32 s6, s50, -1
	s_addc_u32 s7, s51, -1
	s_cmp_eq_u64 s[48:49], s[6:7]
	s_cselect_b64 s[38:39], -1, 0
	s_cmp_lg_u64 s[48:49], s[6:7]
	s_mov_b64 s[4:5], -1
	s_cselect_b64 s[50:51], -1, 0
	s_mul_i32 s33, s6, 0xfffff100
	s_and_b64 vcc, exec, s[38:39]
	s_cbranch_vccnz .LBB91_2
; %bb.1:
	v_lshlrev_b32_e32 v11, 2, v0
	v_mov_b32_e32 v1, s62
	v_add_co_u32_e32 v2, vcc, s9, v11
	v_addc_co_u32_e32 v3, vcc, 0, v1, vcc
	v_add_co_u32_e32 v4, vcc, 0x1000, v2
	v_addc_co_u32_e32 v5, vcc, 0, v3, vcc
	flat_load_dword v1, v[2:3]
	flat_load_dword v12, v[2:3] offset:1024
	flat_load_dword v13, v[2:3] offset:2048
	;; [unrolled: 1-line block ×3, first 2 shown]
	flat_load_dword v15, v[4:5]
	flat_load_dword v16, v[4:5] offset:1024
	flat_load_dword v17, v[4:5] offset:2048
	;; [unrolled: 1-line block ×3, first 2 shown]
	v_add_co_u32_e32 v4, vcc, 0x2000, v2
	v_addc_co_u32_e32 v5, vcc, 0, v3, vcc
	v_add_co_u32_e32 v2, vcc, 0x3000, v2
	v_addc_co_u32_e32 v3, vcc, 0, v3, vcc
	flat_load_dword v19, v[4:5]
	flat_load_dword v20, v[4:5] offset:1024
	flat_load_dword v21, v[4:5] offset:2048
	;; [unrolled: 1-line block ×3, first 2 shown]
	flat_load_dword v23, v[2:3]
	flat_load_dword v24, v[2:3] offset:1024
	flat_load_dword v25, v[2:3] offset:2048
	v_mov_b32_e32 v3, s64
	v_add_co_u32_e32 v2, vcc, s63, v11
	s_movk_i32 s4, 0x1000
	v_addc_co_u32_e32 v3, vcc, 0, v3, vcc
	v_add_co_u32_e32 v4, vcc, s4, v2
	s_movk_i32 s5, 0x2000
	v_addc_co_u32_e32 v5, vcc, 0, v3, vcc
	;; [unrolled: 3-line block ×3, first 2 shown]
	v_mad_u32_u24 v10, v0, 56, v11
	v_add_co_u32_e32 v8, vcc, s6, v2
	v_addc_co_u32_e32 v9, vcc, 0, v3, vcc
	s_waitcnt vmcnt(0) lgkmcnt(0)
	ds_write2st64_b32 v11, v1, v12 offset1:4
	ds_write2st64_b32 v11, v13, v14 offset0:8 offset1:12
	ds_write2st64_b32 v11, v15, v16 offset0:16 offset1:20
	;; [unrolled: 1-line block ×6, first 2 shown]
	ds_write_b32 v11, v25 offset:14336
	s_waitcnt lgkmcnt(0)
	s_barrier
	ds_read2_b32 v[24:25], v10 offset1:1
	ds_read2_b32 v[22:23], v10 offset0:2 offset1:3
	ds_read2_b32 v[20:21], v10 offset0:4 offset1:5
	;; [unrolled: 1-line block ×6, first 2 shown]
	ds_read_b32 v1, v10 offset:56
	s_waitcnt lgkmcnt(0)
	s_barrier
	flat_load_dword v26, v[2:3]
	flat_load_dword v27, v[2:3] offset:1024
	flat_load_dword v28, v[2:3] offset:2048
	flat_load_dword v29, v[2:3] offset:3072
	flat_load_dword v30, v[4:5]
	flat_load_dword v31, v[4:5] offset:1024
	flat_load_dword v32, v[4:5] offset:2048
	flat_load_dword v33, v[4:5] offset:3072
	;; [unrolled: 4-line block ×3, first 2 shown]
	flat_load_dword v38, v[8:9]
	flat_load_dword v39, v[8:9] offset:1024
	flat_load_dword v40, v[8:9] offset:2048
	v_mov_b32_e32 v8, v24
	v_mov_b32_e32 v9, v22
	;; [unrolled: 1-line block ×7, first 2 shown]
	s_waitcnt vmcnt(0) lgkmcnt(0)
	ds_write2st64_b32 v11, v26, v27 offset1:4
	ds_write2st64_b32 v11, v28, v29 offset0:8 offset1:12
	ds_write2st64_b32 v11, v30, v31 offset0:16 offset1:20
	;; [unrolled: 1-line block ×6, first 2 shown]
	ds_write_b32 v11, v40 offset:14336
	s_waitcnt lgkmcnt(0)
	s_barrier
	s_add_i32 s33, s33, s56
	s_cbranch_execz .LBB91_3
	s_branch .LBB91_50
.LBB91_2:
                                        ; implicit-def: $vgpr1
                                        ; implicit-def: $vgpr12
                                        ; implicit-def: $vgpr14
                                        ; implicit-def: $vgpr16
                                        ; implicit-def: $vgpr18
                                        ; implicit-def: $vgpr20
                                        ; implicit-def: $vgpr22
                                        ; implicit-def: $vgpr24
                                        ; implicit-def: $vgpr10
                                        ; implicit-def: $vgpr2_vgpr3
                                        ; implicit-def: $vgpr4_vgpr5
                                        ; implicit-def: $vgpr8_vgpr9
                                        ; implicit-def: $vgpr6_vgpr7
	s_andn2_b64 vcc, exec, s[4:5]
	s_add_i32 s33, s33, s56
	s_cbranch_vccnz .LBB91_50
.LBB91_3:
	v_cmp_gt_u32_e32 vcc, s33, v0
                                        ; implicit-def: $vgpr1
	s_and_saveexec_b64 s[6:7], vcc
	s_cbranch_execz .LBB91_5
; %bb.4:
	v_lshlrev_b32_e32 v1, 2, v0
	v_mov_b32_e32 v3, s62
	v_add_co_u32_e64 v2, s[4:5], s9, v1
	v_addc_co_u32_e64 v3, s[4:5], 0, v3, s[4:5]
	flat_load_dword v1, v[2:3]
.LBB91_5:
	s_or_b64 exec, exec, s[6:7]
	v_or_b32_e32 v2, 0x100, v0
	v_cmp_gt_u32_e64 s[4:5], s33, v2
                                        ; implicit-def: $vgpr10
	s_and_saveexec_b64 s[10:11], s[4:5]
	s_cbranch_execz .LBB91_7
; %bb.6:
	v_lshlrev_b32_e32 v2, 2, v0
	v_mov_b32_e32 v3, s62
	v_add_co_u32_e64 v2, s[6:7], s9, v2
	v_addc_co_u32_e64 v3, s[6:7], 0, v3, s[6:7]
	flat_load_dword v10, v[2:3] offset:1024
.LBB91_7:
	s_or_b64 exec, exec, s[10:11]
	v_or_b32_e32 v2, 0x200, v0
	v_cmp_gt_u32_e64 s[6:7], s33, v2
                                        ; implicit-def: $vgpr12
	s_and_saveexec_b64 s[12:13], s[6:7]
	s_cbranch_execz .LBB91_9
; %bb.8:
	v_lshlrev_b32_e32 v2, 2, v0
	v_mov_b32_e32 v3, s62
	v_add_co_u32_e64 v2, s[10:11], s9, v2
	v_addc_co_u32_e64 v3, s[10:11], 0, v3, s[10:11]
	flat_load_dword v12, v[2:3] offset:2048
.LBB91_9:
	s_or_b64 exec, exec, s[12:13]
	v_or_b32_e32 v2, 0x300, v0
	v_cmp_gt_u32_e64 s[34:35], s33, v2
                                        ; implicit-def: $vgpr13
	s_and_saveexec_b64 s[12:13], s[34:35]
	s_cbranch_execz .LBB91_11
; %bb.10:
	v_lshlrev_b32_e32 v2, 2, v0
	v_mov_b32_e32 v3, s62
	v_add_co_u32_e64 v2, s[10:11], s9, v2
	v_addc_co_u32_e64 v3, s[10:11], 0, v3, s[10:11]
	flat_load_dword v13, v[2:3] offset:3072
.LBB91_11:
	s_or_b64 exec, exec, s[12:13]
	v_or_b32_e32 v2, 0x400, v0
	v_cmp_gt_u32_e64 s[10:11], s33, v2
                                        ; implicit-def: $vgpr14
	s_and_saveexec_b64 s[14:15], s[10:11]
	s_cbranch_execz .LBB91_13
; %bb.12:
	v_lshlrev_b32_e32 v3, 2, v2
	v_mov_b32_e32 v5, s62
	v_add_co_u32_e64 v4, s[12:13], s9, v3
	v_addc_co_u32_e64 v5, s[12:13], 0, v5, s[12:13]
	flat_load_dword v14, v[4:5]
.LBB91_13:
	s_or_b64 exec, exec, s[14:15]
	v_or_b32_e32 v3, 0x500, v0
	v_cmp_gt_u32_e64 s[12:13], s33, v3
                                        ; implicit-def: $vgpr15
	s_and_saveexec_b64 s[16:17], s[12:13]
	s_cbranch_execz .LBB91_15
; %bb.14:
	v_lshlrev_b32_e32 v4, 2, v3
	v_mov_b32_e32 v5, s62
	v_add_co_u32_e64 v4, s[14:15], s9, v4
	v_addc_co_u32_e64 v5, s[14:15], 0, v5, s[14:15]
	flat_load_dword v15, v[4:5]
.LBB91_15:
	s_or_b64 exec, exec, s[16:17]
	v_or_b32_e32 v4, 0x600, v0
	v_cmp_gt_u32_e64 s[14:15], s33, v4
                                        ; implicit-def: $vgpr16
	s_and_saveexec_b64 s[18:19], s[14:15]
	s_cbranch_execz .LBB91_17
; %bb.16:
	v_lshlrev_b32_e32 v5, 2, v4
	v_mov_b32_e32 v7, s62
	v_add_co_u32_e64 v6, s[16:17], s9, v5
	v_addc_co_u32_e64 v7, s[16:17], 0, v7, s[16:17]
	flat_load_dword v16, v[6:7]
.LBB91_17:
	s_or_b64 exec, exec, s[18:19]
	v_or_b32_e32 v5, 0x700, v0
	v_cmp_gt_u32_e64 s[16:17], s33, v5
                                        ; implicit-def: $vgpr17
	s_and_saveexec_b64 s[20:21], s[16:17]
	s_cbranch_execz .LBB91_19
; %bb.18:
	v_lshlrev_b32_e32 v6, 2, v5
	v_mov_b32_e32 v7, s62
	v_add_co_u32_e64 v6, s[18:19], s9, v6
	v_addc_co_u32_e64 v7, s[18:19], 0, v7, s[18:19]
	flat_load_dword v17, v[6:7]
.LBB91_19:
	s_or_b64 exec, exec, s[20:21]
	v_or_b32_e32 v6, 0x800, v0
	v_cmp_gt_u32_e64 s[18:19], s33, v6
                                        ; implicit-def: $vgpr18
	s_and_saveexec_b64 s[22:23], s[18:19]
	s_cbranch_execz .LBB91_21
; %bb.20:
	v_lshlrev_b32_e32 v7, 2, v6
	v_mov_b32_e32 v9, s62
	v_add_co_u32_e64 v8, s[20:21], s9, v7
	v_addc_co_u32_e64 v9, s[20:21], 0, v9, s[20:21]
	flat_load_dword v18, v[8:9]
.LBB91_21:
	s_or_b64 exec, exec, s[22:23]
	v_or_b32_e32 v8, 0x900, v0
	v_cmp_gt_u32_e64 s[20:21], s33, v8
                                        ; implicit-def: $vgpr19
	s_and_saveexec_b64 s[24:25], s[20:21]
	s_cbranch_execz .LBB91_23
; %bb.22:
	v_lshlrev_b32_e32 v7, 2, v8
	v_mov_b32_e32 v9, s62
	v_add_co_u32_e64 v20, s[22:23], s9, v7
	v_addc_co_u32_e64 v21, s[22:23], 0, v9, s[22:23]
	flat_load_dword v19, v[20:21]
.LBB91_23:
	s_or_b64 exec, exec, s[24:25]
	v_or_b32_e32 v9, 0xa00, v0
	v_cmp_gt_u32_e64 s[22:23], s33, v9
                                        ; implicit-def: $vgpr20
	s_and_saveexec_b64 s[26:27], s[22:23]
	s_cbranch_execz .LBB91_25
; %bb.24:
	v_lshlrev_b32_e32 v7, 2, v9
	v_mov_b32_e32 v11, s62
	v_add_co_u32_e64 v20, s[24:25], s9, v7
	v_addc_co_u32_e64 v21, s[24:25], 0, v11, s[24:25]
	flat_load_dword v20, v[20:21]
.LBB91_25:
	s_or_b64 exec, exec, s[26:27]
	v_or_b32_e32 v11, 0xb00, v0
	v_cmp_gt_u32_e64 s[24:25], s33, v11
                                        ; implicit-def: $vgpr21
	s_and_saveexec_b64 s[28:29], s[24:25]
	s_cbranch_execz .LBB91_27
; %bb.26:
	v_lshlrev_b32_e32 v7, 2, v11
	v_mov_b32_e32 v21, s62
	v_add_co_u32_e64 v22, s[26:27], s9, v7
	v_addc_co_u32_e64 v23, s[26:27], 0, v21, s[26:27]
	flat_load_dword v21, v[22:23]
.LBB91_27:
	s_or_b64 exec, exec, s[28:29]
	v_or_b32_e32 v26, 0xc00, v0
	v_cmp_gt_u32_e64 s[26:27], s33, v26
                                        ; implicit-def: $vgpr22
	s_and_saveexec_b64 s[30:31], s[26:27]
	s_cbranch_execz .LBB91_29
; %bb.28:
	v_lshlrev_b32_e32 v7, 2, v26
	v_mov_b32_e32 v23, s62
	v_add_co_u32_e64 v22, s[28:29], s9, v7
	v_addc_co_u32_e64 v23, s[28:29], 0, v23, s[28:29]
	flat_load_dword v22, v[22:23]
.LBB91_29:
	s_or_b64 exec, exec, s[30:31]
	v_or_b32_e32 v27, 0xd00, v0
	v_cmp_gt_u32_e64 s[28:29], s33, v27
                                        ; implicit-def: $vgpr23
	s_and_saveexec_b64 s[36:37], s[28:29]
	s_cbranch_execz .LBB91_31
; %bb.30:
	v_lshlrev_b32_e32 v7, 2, v27
	v_mov_b32_e32 v23, s62
	v_add_co_u32_e64 v24, s[30:31], s9, v7
	v_addc_co_u32_e64 v25, s[30:31], 0, v23, s[30:31]
	flat_load_dword v23, v[24:25]
.LBB91_31:
	s_or_b64 exec, exec, s[36:37]
	v_or_b32_e32 v28, 0xe00, v0
	v_cmp_gt_u32_e64 s[30:31], s33, v28
                                        ; implicit-def: $vgpr24
	s_and_saveexec_b64 s[40:41], s[30:31]
	s_cbranch_execz .LBB91_33
; %bb.32:
	v_lshlrev_b32_e32 v7, 2, v28
	v_mov_b32_e32 v25, s62
	v_add_co_u32_e64 v24, s[36:37], s9, v7
	v_addc_co_u32_e64 v25, s[36:37], 0, v25, s[36:37]
	flat_load_dword v24, v[24:25]
.LBB91_33:
	s_or_b64 exec, exec, s[40:41]
	v_lshlrev_b32_e32 v7, 2, v0
	s_waitcnt vmcnt(0) lgkmcnt(0)
	ds_write2st64_b32 v7, v1, v10 offset1:4
	ds_write2st64_b32 v7, v12, v13 offset0:8 offset1:12
	ds_write2st64_b32 v7, v14, v15 offset0:16 offset1:20
	;; [unrolled: 1-line block ×6, first 2 shown]
	ds_write_b32 v7, v24 offset:14336
	v_mad_u32_u24 v10, v0, 56, v7
	s_waitcnt lgkmcnt(0)
	s_barrier
	ds_read2_b32 v[24:25], v10 offset1:1
	ds_read2_b32 v[22:23], v10 offset0:2 offset1:3
	ds_read2_b32 v[20:21], v10 offset0:4 offset1:5
	;; [unrolled: 1-line block ×6, first 2 shown]
	ds_read_b32 v1, v10 offset:56
	s_waitcnt lgkmcnt(0)
	s_barrier
	s_waitcnt lgkmcnt(0)
                                        ; implicit-def: $vgpr29
	s_and_saveexec_b64 s[36:37], vcc
	s_cbranch_execz .LBB91_56
; %bb.34:
	v_mov_b32_e32 v29, s64
	v_add_co_u32_e32 v30, vcc, s63, v7
	v_addc_co_u32_e32 v31, vcc, 0, v29, vcc
	flat_load_dword v29, v[30:31]
	s_or_b64 exec, exec, s[36:37]
                                        ; implicit-def: $vgpr30
	s_and_saveexec_b64 s[36:37], s[4:5]
	s_cbranch_execnz .LBB91_57
.LBB91_35:
	s_or_b64 exec, exec, s[36:37]
                                        ; implicit-def: $vgpr31
	s_and_saveexec_b64 s[4:5], s[6:7]
	s_cbranch_execz .LBB91_58
.LBB91_36:
	v_mov_b32_e32 v31, s64
	v_add_co_u32_e32 v32, vcc, s63, v7
	v_addc_co_u32_e32 v33, vcc, 0, v31, vcc
	flat_load_dword v31, v[32:33] offset:2048
	s_or_b64 exec, exec, s[4:5]
                                        ; implicit-def: $vgpr32
	s_and_saveexec_b64 s[4:5], s[34:35]
	s_cbranch_execnz .LBB91_59
.LBB91_37:
	s_or_b64 exec, exec, s[4:5]
                                        ; implicit-def: $vgpr33
	s_and_saveexec_b64 s[4:5], s[10:11]
	s_cbranch_execz .LBB91_60
.LBB91_38:
	v_lshlrev_b32_e32 v2, 2, v2
	v_mov_b32_e32 v33, s64
	v_add_co_u32_e32 v34, vcc, s63, v2
	v_addc_co_u32_e32 v35, vcc, 0, v33, vcc
	flat_load_dword v33, v[34:35]
	s_or_b64 exec, exec, s[4:5]
                                        ; implicit-def: $vgpr2
	s_and_saveexec_b64 s[4:5], s[12:13]
	s_cbranch_execnz .LBB91_61
.LBB91_39:
	s_or_b64 exec, exec, s[4:5]
                                        ; implicit-def: $vgpr3
	s_and_saveexec_b64 s[4:5], s[14:15]
	s_cbranch_execz .LBB91_62
.LBB91_40:
	v_lshlrev_b32_e32 v3, 2, v4
	v_mov_b32_e32 v4, s64
	v_add_co_u32_e32 v34, vcc, s63, v3
	v_addc_co_u32_e32 v35, vcc, 0, v4, vcc
	flat_load_dword v3, v[34:35]
	s_or_b64 exec, exec, s[4:5]
                                        ; implicit-def: $vgpr4
	s_and_saveexec_b64 s[4:5], s[16:17]
	s_cbranch_execnz .LBB91_63
.LBB91_41:
	s_or_b64 exec, exec, s[4:5]
                                        ; implicit-def: $vgpr5
	s_and_saveexec_b64 s[4:5], s[18:19]
	s_cbranch_execz .LBB91_64
.LBB91_42:
	v_lshlrev_b32_e32 v5, 2, v6
	v_mov_b32_e32 v6, s64
	v_add_co_u32_e32 v34, vcc, s63, v5
	v_addc_co_u32_e32 v35, vcc, 0, v6, vcc
	flat_load_dword v5, v[34:35]
	s_or_b64 exec, exec, s[4:5]
                                        ; implicit-def: $vgpr6
	s_and_saveexec_b64 s[4:5], s[20:21]
	s_cbranch_execnz .LBB91_65
.LBB91_43:
	s_or_b64 exec, exec, s[4:5]
                                        ; implicit-def: $vgpr8
	s_and_saveexec_b64 s[4:5], s[22:23]
	s_cbranch_execz .LBB91_66
.LBB91_44:
	v_lshlrev_b32_e32 v8, 2, v9
	v_mov_b32_e32 v9, s64
	v_add_co_u32_e32 v8, vcc, s63, v8
	v_addc_co_u32_e32 v9, vcc, 0, v9, vcc
	flat_load_dword v8, v[8:9]
	s_or_b64 exec, exec, s[4:5]
                                        ; implicit-def: $vgpr9
	s_and_saveexec_b64 s[4:5], s[24:25]
	s_cbranch_execnz .LBB91_67
.LBB91_45:
	s_or_b64 exec, exec, s[4:5]
                                        ; implicit-def: $vgpr11
	s_and_saveexec_b64 s[4:5], s[26:27]
	s_cbranch_execz .LBB91_68
.LBB91_46:
	v_lshlrev_b32_e32 v11, 2, v26
	v_mov_b32_e32 v26, s64
	v_add_co_u32_e32 v34, vcc, s63, v11
	v_addc_co_u32_e32 v35, vcc, 0, v26, vcc
	flat_load_dword v11, v[34:35]
	s_or_b64 exec, exec, s[4:5]
                                        ; implicit-def: $vgpr26
	s_and_saveexec_b64 s[4:5], s[28:29]
	s_cbranch_execnz .LBB91_69
.LBB91_47:
	s_or_b64 exec, exec, s[4:5]
                                        ; implicit-def: $vgpr27
	s_and_saveexec_b64 s[4:5], s[30:31]
	s_cbranch_execz .LBB91_49
.LBB91_48:
	v_lshlrev_b32_e32 v27, 2, v28
	v_mov_b32_e32 v28, s64
	v_add_co_u32_e32 v34, vcc, s63, v27
	v_addc_co_u32_e32 v35, vcc, 0, v28, vcc
	flat_load_dword v27, v[34:35]
.LBB91_49:
	s_or_b64 exec, exec, s[4:5]
	s_waitcnt vmcnt(0) lgkmcnt(0)
	ds_write2st64_b32 v7, v29, v30 offset1:4
	ds_write2st64_b32 v7, v31, v32 offset0:8 offset1:12
	ds_write2st64_b32 v7, v33, v2 offset0:16 offset1:20
	;; [unrolled: 1-line block ×6, first 2 shown]
	ds_write_b32 v7, v27 offset:14336
	v_mov_b32_e32 v8, v24
	v_mov_b32_e32 v9, v22
	;; [unrolled: 1-line block ×7, first 2 shown]
	s_waitcnt lgkmcnt(0)
	s_barrier
.LBB91_50:
	ds_read2_b32 v[38:39], v10 offset1:1
	ds_read2_b32 v[36:37], v10 offset0:2 offset1:3
	ds_read2_b32 v[34:35], v10 offset0:4 offset1:5
	;; [unrolled: 1-line block ×6, first 2 shown]
	ds_read_b32 v59, v10 offset:56
	s_cmp_eq_u64 s[48:49], 0
	s_cselect_b64 s[40:41], -1, 0
	s_cmp_lg_u64 s[48:49], 0
	s_mov_b64 s[6:7], 0
	s_cselect_b64 s[10:11], -1, 0
	s_and_b64 vcc, exec, s[50:51]
	s_waitcnt lgkmcnt(0)
	s_barrier
	s_cbranch_vccz .LBB91_70
; %bb.51:
	s_and_b64 vcc, exec, s[10:11]
	s_cbranch_vccz .LBB91_104
; %bb.52:
	v_mov_b32_e32 v7, s62
	v_add_co_u32_e64 v10, vcc, -4, s9
	v_addc_co_u32_e32 v11, vcc, -1, v7, vcc
	flat_load_dword v7, v[10:11]
	v_lshlrev_b32_e32 v10, 2, v0
	v_cmp_ne_u32_e32 vcc, 0, v0
	ds_write_b32 v10, v1
	s_waitcnt lgkmcnt(0)
	s_barrier
	s_and_saveexec_b64 s[4:5], vcc
	s_cbranch_execz .LBB91_54
; %bb.53:
	s_waitcnt vmcnt(0)
	v_add_u32_e32 v7, -4, v10
	ds_read_b32 v7, v7
.LBB91_54:
	s_or_b64 exec, exec, s[4:5]
	v_cmp_neq_f32_e32 vcc, v8, v25
	v_cndmask_b32_e64 v57, 0, 1, vcc
	v_cmp_neq_f32_e32 vcc, v9, v25
	v_cndmask_b32_e64 v56, 0, 1, vcc
	;; [unrolled: 2-line block ×14, first 2 shown]
	s_waitcnt vmcnt(0) lgkmcnt(0)
	v_cmp_neq_f32_e64 s[4:5], v7, v24
	s_mov_b64 s[6:7], -1
.LBB91_55:
                                        ; implicit-def: $sgpr14
	s_branch .LBB91_71
.LBB91_56:
	s_or_b64 exec, exec, s[36:37]
                                        ; implicit-def: $vgpr30
	s_and_saveexec_b64 s[36:37], s[4:5]
	s_cbranch_execz .LBB91_35
.LBB91_57:
	v_mov_b32_e32 v31, s64
	v_add_co_u32_e32 v30, vcc, s63, v7
	v_addc_co_u32_e32 v31, vcc, 0, v31, vcc
	flat_load_dword v30, v[30:31] offset:1024
	s_or_b64 exec, exec, s[36:37]
                                        ; implicit-def: $vgpr31
	s_and_saveexec_b64 s[4:5], s[6:7]
	s_cbranch_execnz .LBB91_36
.LBB91_58:
	s_or_b64 exec, exec, s[4:5]
                                        ; implicit-def: $vgpr32
	s_and_saveexec_b64 s[4:5], s[34:35]
	s_cbranch_execz .LBB91_37
.LBB91_59:
	v_mov_b32_e32 v33, s64
	v_add_co_u32_e32 v32, vcc, s63, v7
	v_addc_co_u32_e32 v33, vcc, 0, v33, vcc
	flat_load_dword v32, v[32:33] offset:3072
	s_or_b64 exec, exec, s[4:5]
                                        ; implicit-def: $vgpr33
	s_and_saveexec_b64 s[4:5], s[10:11]
	s_cbranch_execnz .LBB91_38
.LBB91_60:
	s_or_b64 exec, exec, s[4:5]
                                        ; implicit-def: $vgpr2
	s_and_saveexec_b64 s[4:5], s[12:13]
	s_cbranch_execz .LBB91_39
.LBB91_61:
	v_lshlrev_b32_e32 v2, 2, v3
	v_mov_b32_e32 v3, s64
	v_add_co_u32_e32 v2, vcc, s63, v2
	v_addc_co_u32_e32 v3, vcc, 0, v3, vcc
	flat_load_dword v2, v[2:3]
	s_or_b64 exec, exec, s[4:5]
                                        ; implicit-def: $vgpr3
	s_and_saveexec_b64 s[4:5], s[14:15]
	s_cbranch_execnz .LBB91_40
.LBB91_62:
	s_or_b64 exec, exec, s[4:5]
                                        ; implicit-def: $vgpr4
	s_and_saveexec_b64 s[4:5], s[16:17]
	s_cbranch_execz .LBB91_41
.LBB91_63:
	v_lshlrev_b32_e32 v4, 2, v5
	v_mov_b32_e32 v5, s64
	v_add_co_u32_e32 v4, vcc, s63, v4
	v_addc_co_u32_e32 v5, vcc, 0, v5, vcc
	flat_load_dword v4, v[4:5]
	s_or_b64 exec, exec, s[4:5]
                                        ; implicit-def: $vgpr5
	s_and_saveexec_b64 s[4:5], s[18:19]
	s_cbranch_execnz .LBB91_42
.LBB91_64:
	s_or_b64 exec, exec, s[4:5]
                                        ; implicit-def: $vgpr6
	s_and_saveexec_b64 s[4:5], s[20:21]
	s_cbranch_execz .LBB91_43
.LBB91_65:
	v_lshlrev_b32_e32 v6, 2, v8
	v_mov_b32_e32 v8, s64
	v_add_co_u32_e32 v34, vcc, s63, v6
	v_addc_co_u32_e32 v35, vcc, 0, v8, vcc
	flat_load_dword v6, v[34:35]
	s_or_b64 exec, exec, s[4:5]
                                        ; implicit-def: $vgpr8
	s_and_saveexec_b64 s[4:5], s[22:23]
	s_cbranch_execnz .LBB91_44
.LBB91_66:
	s_or_b64 exec, exec, s[4:5]
                                        ; implicit-def: $vgpr9
	s_and_saveexec_b64 s[4:5], s[24:25]
	s_cbranch_execz .LBB91_45
.LBB91_67:
	v_lshlrev_b32_e32 v9, 2, v11
	v_mov_b32_e32 v11, s64
	v_add_co_u32_e32 v34, vcc, s63, v9
	v_addc_co_u32_e32 v35, vcc, 0, v11, vcc
	flat_load_dword v9, v[34:35]
	s_or_b64 exec, exec, s[4:5]
                                        ; implicit-def: $vgpr11
	s_and_saveexec_b64 s[4:5], s[26:27]
	s_cbranch_execnz .LBB91_46
.LBB91_68:
	s_or_b64 exec, exec, s[4:5]
                                        ; implicit-def: $vgpr26
	s_and_saveexec_b64 s[4:5], s[28:29]
	s_cbranch_execz .LBB91_47
.LBB91_69:
	v_lshlrev_b32_e32 v26, 2, v27
	v_mov_b32_e32 v27, s64
	v_add_co_u32_e32 v26, vcc, s63, v26
	v_addc_co_u32_e32 v27, vcc, 0, v27, vcc
	flat_load_dword v26, v[26:27]
	s_or_b64 exec, exec, s[4:5]
                                        ; implicit-def: $vgpr27
	s_and_saveexec_b64 s[4:5], s[30:31]
	s_cbranch_execnz .LBB91_48
	s_branch .LBB91_49
.LBB91_70:
                                        ; implicit-def: $sgpr4_sgpr5
                                        ; implicit-def: $vgpr44
                                        ; implicit-def: $vgpr45
                                        ; implicit-def: $vgpr46
                                        ; implicit-def: $vgpr47
                                        ; implicit-def: $vgpr48
                                        ; implicit-def: $vgpr49
                                        ; implicit-def: $vgpr50
                                        ; implicit-def: $vgpr51
                                        ; implicit-def: $vgpr52
                                        ; implicit-def: $vgpr53
                                        ; implicit-def: $vgpr54
                                        ; implicit-def: $vgpr55
                                        ; implicit-def: $vgpr56
                                        ; implicit-def: $vgpr57
                                        ; implicit-def: $sgpr14
	s_cbranch_execnz .LBB91_108
.LBB91_71:
	v_mov_b32_e32 v58, s14
	s_and_saveexec_b64 s[10:11], s[6:7]
.LBB91_72:
	v_cndmask_b32_e64 v58, 0, 1, s[4:5]
.LBB91_73:
	s_or_b64 exec, exec, s[10:11]
	s_cmp_eq_u64 s[46:47], 0
	v_add3_u32 v2, v57, v58, v56
	s_mov_b64 s[48:49], 0
	s_cselect_b64 s[46:47], -1, 0
	s_cmp_lg_u32 s8, 0
	v_add_f32_e32 v78, v38, v39
	v_cmp_eq_u32_e64 s[28:29], 0, v57
	v_cmp_eq_u32_e64 s[26:27], 0, v56
	;; [unrolled: 1-line block ×3, first 2 shown]
	v_add3_u32 v77, v2, v55, v54
	v_cmp_eq_u32_e64 s[24:25], 0, v54
	v_cmp_eq_u32_e64 s[20:21], 0, v53
	;; [unrolled: 1-line block ×10, first 2 shown]
	v_cmp_eq_u32_e32 vcc, 0, v44
	v_mbcnt_lo_u32_b32 v76, -1, 0
	v_lshrrev_b32_e32 v74, 6, v0
	v_or_b32_e32 v75, 63, v0
	s_cbranch_scc0 .LBB91_102
; %bb.74:
	v_cndmask_b32_e64 v2, v39, v78, s[28:29]
	v_add_f32_e32 v2, v36, v2
	v_cndmask_b32_e64 v2, v36, v2, s[26:27]
	v_add_f32_e32 v2, v37, v2
	;; [unrolled: 2-line block ×11, first 2 shown]
	v_cndmask_b32_e64 v2, v26, v2, s[6:7]
	v_add3_u32 v3, v77, v53, v52
	v_add_f32_e32 v2, v27, v2
	v_add3_u32 v3, v3, v51, v50
	v_cndmask_b32_e64 v2, v27, v2, s[4:5]
	v_add3_u32 v3, v3, v49, v48
	v_add_f32_e32 v2, v59, v2
	v_add3_u32 v3, v3, v47, v46
	v_cndmask_b32_e32 v2, v59, v2, vcc
	v_add3_u32 v3, v3, v45, v44
	v_mbcnt_hi_u32_b32 v8, -1, v76
	v_mov_b32_dpp v6, v2 row_shr:1 row_mask:0xf bank_mask:0xf
	v_and_b32_e32 v4, 15, v8
	v_add_f32_e32 v6, v2, v6
	v_cmp_eq_u32_e32 vcc, 0, v3
	v_mov_b32_dpp v5, v3 row_shr:1 row_mask:0xf bank_mask:0xf
	v_cndmask_b32_e32 v6, v2, v6, vcc
	v_cmp_eq_u32_e32 vcc, 0, v4
	v_cndmask_b32_e64 v5, v5, 0, vcc
	v_cndmask_b32_e32 v2, v6, v2, vcc
	v_add_u32_e32 v3, v5, v3
	v_cmp_eq_u32_e32 vcc, 0, v3
	v_mov_b32_dpp v6, v2 row_shr:2 row_mask:0xf bank_mask:0xf
	v_add_f32_e32 v6, v2, v6
	v_mov_b32_dpp v5, v3 row_shr:2 row_mask:0xf bank_mask:0xf
	v_cndmask_b32_e32 v6, v2, v6, vcc
	v_cmp_lt_u32_e32 vcc, 1, v4
	v_cndmask_b32_e32 v2, v2, v6, vcc
	v_cndmask_b32_e32 v5, 0, v5, vcc
	v_add_u32_e32 v3, v3, v5
	v_mov_b32_dpp v6, v2 row_shr:4 row_mask:0xf bank_mask:0xf
	v_add_f32_e32 v6, v2, v6
	v_cmp_eq_u32_e32 vcc, 0, v3
	v_mov_b32_dpp v5, v3 row_shr:4 row_mask:0xf bank_mask:0xf
	v_cndmask_b32_e32 v6, v2, v6, vcc
	v_cmp_lt_u32_e32 vcc, 3, v4
	v_cndmask_b32_e32 v2, v2, v6, vcc
	v_cndmask_b32_e32 v5, 0, v5, vcc
	v_add_u32_e32 v3, v5, v3
	v_mov_b32_dpp v6, v2 row_shr:8 row_mask:0xf bank_mask:0xf
	v_add_f32_e32 v6, v2, v6
	v_cmp_eq_u32_e32 vcc, 0, v3
	v_mov_b32_dpp v5, v3 row_shr:8 row_mask:0xf bank_mask:0xf
	v_cndmask_b32_e32 v6, v2, v6, vcc
	v_cmp_lt_u32_e32 vcc, 7, v4
	v_cndmask_b32_e32 v2, v2, v6, vcc
	v_cndmask_b32_e32 v4, 0, v5, vcc
	v_add_u32_e32 v3, v4, v3
	v_mov_b32_dpp v5, v2 row_bcast:15 row_mask:0xf bank_mask:0xf
	v_bfe_i32 v6, v8, 4, 1
	v_mov_b32_dpp v4, v3 row_bcast:15 row_mask:0xf bank_mask:0xf
	v_and_b32_e32 v7, 16, v8
	v_add_f32_e32 v5, v2, v5
	v_cmp_eq_u32_e32 vcc, 0, v3
	v_cndmask_b32_e32 v5, v2, v5, vcc
	v_and_b32_e32 v4, v6, v4
	v_cmp_eq_u32_e32 vcc, 0, v7
	v_add_u32_e32 v4, v4, v3
	v_cndmask_b32_e32 v3, v5, v2, vcc
	v_cmp_eq_u32_e32 vcc, 0, v4
	v_mov_b32_dpp v2, v4 row_bcast:31 row_mask:0xf bank_mask:0xf
	v_mov_b32_dpp v5, v3 row_bcast:31 row_mask:0xf bank_mask:0xf
	v_add_f32_e32 v5, v3, v5
	v_cndmask_b32_e32 v5, v3, v5, vcc
	v_cmp_lt_u32_e32 vcc, 31, v8
	v_cndmask_b32_e32 v2, 0, v2, vcc
	v_add_u32_e32 v2, v2, v4
	v_cmp_eq_u32_e64 s[30:31], v75, v0
	v_cndmask_b32_e32 v4, v3, v5, vcc
	s_and_saveexec_b64 s[36:37], s[30:31]
	s_cbranch_execz .LBB91_76
; %bb.75:
	v_lshlrev_b32_e32 v6, 3, v74
	v_cndmask_b32_e32 v3, v3, v5, vcc
	ds_write_b64 v6, v[2:3] offset:2064
.LBB91_76:
	s_or_b64 exec, exec, s[36:37]
	v_cmp_gt_u32_e32 vcc, 4, v0
	s_waitcnt lgkmcnt(0)
	s_barrier
	s_and_saveexec_b64 s[36:37], vcc
	s_cbranch_execz .LBB91_78
; %bb.77:
	v_lshlrev_b32_e32 v3, 3, v0
	ds_read_b64 v[6:7], v3 offset:2064
	v_and_b32_e32 v5, 3, v8
	v_cmp_lt_u32_e64 s[30:31], 1, v5
	s_waitcnt lgkmcnt(0)
	v_mov_b32_dpp v10, v7 row_shr:1 row_mask:0xf bank_mask:0xf
	v_add_f32_e32 v10, v7, v10
	v_cmp_eq_u32_e32 vcc, 0, v6
	v_mov_b32_dpp v9, v6 row_shr:1 row_mask:0xf bank_mask:0xf
	v_cndmask_b32_e32 v10, v7, v10, vcc
	v_cmp_eq_u32_e32 vcc, 0, v5
	v_cndmask_b32_e64 v9, v9, 0, vcc
	v_add_u32_e32 v6, v9, v6
	v_cndmask_b32_e32 v7, v10, v7, vcc
	v_cmp_eq_u32_e32 vcc, 0, v6
	v_mov_b32_dpp v9, v6 row_shr:2 row_mask:0xf bank_mask:0xf
	v_mov_b32_dpp v10, v7 row_shr:2 row_mask:0xf bank_mask:0xf
	v_add_f32_e32 v10, v7, v10
	v_cndmask_b32_e64 v5, 0, v9, s[30:31]
	s_and_b64 vcc, s[30:31], vcc
	v_add_u32_e32 v6, v5, v6
	v_cndmask_b32_e32 v7, v7, v10, vcc
	ds_write_b64 v3, v[6:7] offset:2064
.LBB91_78:
	s_or_b64 exec, exec, s[36:37]
	v_cmp_gt_u32_e32 vcc, 64, v0
	v_cmp_lt_u32_e64 s[30:31], 63, v0
	v_mov_b32_e32 v40, 0
	v_mov_b32_e32 v41, 0
	s_waitcnt lgkmcnt(0)
	s_barrier
	s_and_saveexec_b64 s[36:37], s[30:31]
	s_cbranch_execz .LBB91_80
; %bb.79:
	v_lshlrev_b32_e32 v3, 3, v74
	ds_read_b64 v[40:41], v3 offset:2056
	v_cmp_eq_u32_e64 s[30:31], 0, v2
	s_waitcnt lgkmcnt(0)
	v_add_u32_e32 v3, v40, v2
	v_add_f32_e32 v5, v4, v41
	v_cndmask_b32_e64 v4, v4, v5, s[30:31]
	v_mov_b32_e32 v2, v3
.LBB91_80:
	s_or_b64 exec, exec, s[36:37]
	v_add_u32_e32 v3, -1, v8
	v_and_b32_e32 v5, 64, v8
	v_cmp_lt_i32_e64 s[30:31], v3, v5
	v_cndmask_b32_e64 v3, v3, v8, s[30:31]
	v_lshlrev_b32_e32 v3, 2, v3
	ds_bpermute_b32 v79, v3, v2
	ds_bpermute_b32 v80, v3, v4
	v_cmp_eq_u32_e64 s[30:31], 0, v8
	s_mov_b64 s[56:57], -1
	s_mov_b64 s[36:37], 0
	s_and_saveexec_b64 s[50:51], vcc
                                        ; implicit-def: $vgpr3_vgpr4_vgpr5
	s_cbranch_execz .LBB91_136
; %bb.81:
	v_mov_b32_e32 v7, 0
	ds_read_b64 v[2:3], v7 offset:2088
	s_waitcnt lgkmcnt(0)
	v_readfirstlane_b32 s9, v3
	s_and_saveexec_b64 s[36:37], s[30:31]
	s_cbranch_execz .LBB91_83
; %bb.82:
	s_add_i32 s56, s8, 64
	s_mov_b32 s57, 0
	s_lshl_b64 s[62:63], s[56:57], 4
	s_add_u32 s62, s44, s62
	s_addc_u32 s63, s45, s63
	s_and_b32 s65, s9, 0xff000000
	s_mov_b32 s64, s57
	s_and_b32 s67, s9, 0xff0000
	s_mov_b32 s66, s57
	s_or_b64 s[64:65], s[66:67], s[64:65]
	s_and_b32 s67, s9, 0xff00
	s_or_b64 s[64:65], s[64:65], s[66:67]
	s_and_b32 s67, s9, 0xff
	s_or_b64 s[56:57], s[64:65], s[66:67]
	v_mov_b32_e32 v5, s57
	v_mov_b32_e32 v6, 1
	;; [unrolled: 1-line block ×3, first 2 shown]
	v_pk_mov_b32 v[10:11], s[62:63], s[62:63] op_sel:[0,1]
	;;#ASMSTART
	global_store_dwordx4 v[10:11], v[4:7] off	
s_waitcnt vmcnt(0)
	;;#ASMEND
.LBB91_83:
	s_or_b64 exec, exec, s[36:37]
	v_xad_u32 v42, v8, -1, s8
	v_add_u32_e32 v6, 64, v42
	v_lshlrev_b64 v[4:5], 4, v[6:7]
	buffer_store_dword v7, off, s[0:3], 0
	buffer_store_dword v7, off, s[0:3], 0 offset:4
	buffer_store_dword v7, off, s[0:3], 0 offset:8
	;; [unrolled: 1-line block ×7, first 2 shown]
	v_mov_b32_e32 v6, s45
	v_add_co_u32_e32 v4, vcc, s44, v4
	s_mov_b32 s36, 0x70605
	v_addc_co_u32_e32 v5, vcc, v6, v5, vcc
	;;#ASMSTART
	global_load_dwordx4 v[8:11], v[4:5] off glc	
s_waitcnt vmcnt(0)
	;;#ASMEND
	v_perm_b32 v6, v9, v10, s36
	s_mov_b32 s36, 0x1000706
	v_perm_b32 v43, v9, v10, s36
	s_mov_b32 s36, 0x2010007
	v_perm_b32 v60, v9, v10, s36
	v_lshlrev_b32_e32 v6, 8, v6
	s_mov_b32 s36, 0xc0c0500
	v_alignbit_b32 v11, v9, v8, 8
	v_alignbit_b32 v62, v9, v8, 16
	;; [unrolled: 1-line block ×3, first 2 shown]
	v_perm_b32 v6, v6, v9, s36
	v_lshlrev_b32_e32 v9, 16, v43
	v_and_b32_e32 v9, 0xff0000, v9
	v_lshlrev_b32_e32 v43, 24, v60
	v_or3_b32 v9, v6, v9, v43
	v_cmp_eq_u16_sdwa s[56:57], v10, v7 src0_sel:BYTE_0 src1_sel:DWORD
	s_and_saveexec_b64 s[36:37], s[56:57]
	s_cbranch_execz .LBB91_87
; %bb.84:
	s_mov_b64 s[56:57], 0
	v_mov_b32_e32 v6, 0
.LBB91_85:                              ; =>This Inner Loop Header: Depth=1
	;;#ASMSTART
	global_load_dwordx4 v[8:11], v[4:5] off glc	
s_waitcnt vmcnt(0)
	;;#ASMEND
	v_cmp_ne_u16_sdwa s[62:63], v10, v6 src0_sel:BYTE_0 src1_sel:DWORD
	s_or_b64 s[56:57], s[62:63], s[56:57]
	s_andn2_b64 exec, exec, s[56:57]
	s_cbranch_execnz .LBB91_85
; %bb.86:
	s_or_b64 exec, exec, s[56:57]
	s_mov_b32 s56, 0x70605
	v_perm_b32 v4, v9, v10, s56
	s_mov_b32 s56, 0x1000706
	v_perm_b32 v5, v9, v10, s56
	;; [unrolled: 2-line block ×3, first 2 shown]
	v_lshlrev_b32_e32 v4, 8, v4
	s_mov_b32 s56, 0xc0c0500
	v_lshlrev_b32_e32 v5, 16, v5
	v_perm_b32 v4, v4, v9, s56
	v_lshlrev_b32_e32 v6, 24, v6
	v_and_b32_e32 v5, 0xff0000, v5
	v_alignbit_b32 v11, v9, v8, 8
	v_alignbit_b32 v62, v9, v8, 16
	;; [unrolled: 1-line block ×3, first 2 shown]
	v_or3_b32 v9, v4, v5, v6
.LBB91_87:
	s_or_b64 exec, exec, s[36:37]
	s_mov_b32 s62, 0
	s_mov_b32 s65, 0x4020c0c
	s_movk_i32 s66, 0xff
	v_mov_b32_e32 v61, 0
	v_mov_b32_e32 v5, 0
	s_mov_b32 s67, 0x70605
	s_mov_b32 s68, 0x1000706
	s_mov_b32 s69, 0x2010007
	s_mov_b32 s70, 0xc0c0500
	v_mov_b32_e32 v63, 2
	s_branch .LBB91_89
.LBB91_88:                              ;   in Loop: Header=BB91_89 Depth=1
	s_or_b64 exec, exec, s[56:57]
	s_add_i32 s62, s64, 1
	v_subrev_u32_e32 v42, 64, v4
	s_cbranch_execz .LBB91_95
.LBB91_89:                              ; =>This Loop Header: Depth=1
                                        ;     Child Loop BB91_92 Depth 2
	v_mov_b32_e32 v6, v10
	v_cmp_ne_u16_sdwa s[36:37], v6, v63 src0_sel:BYTE_0 src1_sel:DWORD
	v_cmp_ne_u16_sdwa s[56:57], v6, s66 src0_sel:BYTE_0 src1_sel:DWORD
	s_and_b64 s[56:57], s[36:37], s[56:57]
	v_lshlrev_b32_e32 v10, 8, v11
	v_cndmask_b32_e64 v11, 0, 1, s[56:57]
	;;#ASMSTART
	;;#ASMEND
	v_cmp_ne_u32_e32 vcc, 0, v11
	s_cmp_eq_u64 vcc, exec
	s_cselect_b64 s[56:57], -1, 0
	s_cmp_lt_u32 s62, 4
	s_mov_b32 s64, s62
	v_mov_b32_e32 v7, v9
	v_lshlrev_b32_e32 v9, 16, v62
	s_cselect_b64 s[62:63], -1, 0
	v_perm_b32 v9, v64, v9, s65
	v_and_b32_e32 v10, 0xff00, v10
	v_and_b32_e32 v8, 0xff, v8
	s_and_b64 s[56:57], s[56:57], s[62:63]
	v_mov_b32_e32 v4, v42
	s_andn2_b64 vcc, exec, s[56:57]
	v_or3_b32 v60, v9, v10, v8
	s_cbranch_vccnz .LBB91_94
; %bb.90:                               ;   in Loop: Header=BB91_89 Depth=1
	s_lshl_b32 s56, s64, 3
	v_add_u32_e32 v8, s56, v61
	buffer_store_dword v60, v8, s[0:3], 0 offen
	buffer_store_dword v7, v8, s[0:3], 0 offen offset:4
	v_lshlrev_b64 v[8:9], 4, v[4:5]
	v_mov_b32_e32 v10, s45
	v_add_co_u32_e32 v42, vcc, s44, v8
	v_addc_co_u32_e32 v43, vcc, v10, v9, vcc
	;;#ASMSTART
	global_load_dwordx4 v[8:11], v[42:43] off glc	
s_waitcnt vmcnt(0)
	;;#ASMEND
	v_perm_b32 v65, v9, v10, s67
	v_perm_b32 v66, v9, v10, s68
	v_lshlrev_b32_e32 v65, 8, v65
	v_alignbit_b32 v11, v9, v8, 8
	v_alignbit_b32 v62, v9, v8, 16
	v_alignbit_b32 v64, v9, v8, 24
	v_perm_b32 v67, v9, v10, s69
	v_perm_b32 v9, v65, v9, s70
	v_lshlrev_b32_e32 v65, 16, v66
	v_and_b32_e32 v65, 0xff0000, v65
	v_lshlrev_b32_e32 v66, 24, v67
	v_or3_b32 v9, v9, v65, v66
	v_cmp_eq_u16_sdwa s[62:63], v10, v5 src0_sel:BYTE_0 src1_sel:DWORD
	s_and_saveexec_b64 s[56:57], s[62:63]
	s_cbranch_execz .LBB91_88
; %bb.91:                               ;   in Loop: Header=BB91_89 Depth=1
	s_mov_b64 s[62:63], 0
.LBB91_92:                              ;   Parent Loop BB91_89 Depth=1
                                        ; =>  This Inner Loop Header: Depth=2
	;;#ASMSTART
	global_load_dwordx4 v[8:11], v[42:43] off glc	
s_waitcnt vmcnt(0)
	;;#ASMEND
	v_cmp_ne_u16_sdwa s[72:73], v10, v5 src0_sel:BYTE_0 src1_sel:DWORD
	s_or_b64 s[62:63], s[72:73], s[62:63]
	s_andn2_b64 exec, exec, s[62:63]
	s_cbranch_execnz .LBB91_92
; %bb.93:                               ;   in Loop: Header=BB91_89 Depth=1
	s_or_b64 exec, exec, s[62:63]
	v_perm_b32 v42, v9, v10, s67
	v_perm_b32 v43, v9, v10, s68
	v_lshlrev_b32_e32 v42, 8, v42
	v_alignbit_b32 v11, v9, v8, 8
	v_alignbit_b32 v62, v9, v8, 16
	v_alignbit_b32 v64, v9, v8, 24
	v_perm_b32 v65, v9, v10, s69
	v_perm_b32 v9, v42, v9, s70
	v_lshlrev_b32_e32 v42, 16, v43
	v_lshlrev_b32_e32 v43, 24, v65
	v_and_b32_e32 v42, 0xff0000, v42
	v_or3_b32 v9, v9, v42, v43
	s_branch .LBB91_88
.LBB91_94:
                                        ; implicit-def: $vgpr42
                                        ; implicit-def: $sgpr62
                                        ; implicit-def: $vgpr10
                                        ; implicit-def: $vgpr9
                                        ; implicit-def: $vgpr11
                                        ; implicit-def: $vgpr62
                                        ; implicit-def: $vgpr64
.LBB91_95:
	v_cndmask_b32_e64 v5, 0, 1, s[36:37]
	;;#ASMSTART
	;;#ASMEND
	v_cmp_ne_u32_e32 vcc, 0, v5
	s_cmp_lg_u64 vcc, exec
	s_cbranch_scc1 .LBB91_117
; %bb.96:
	s_movk_i32 s36, 0xff
	v_cmp_eq_u16_sdwa s[36:37], v6, s36 src0_sel:BYTE_0 src1_sel:DWORD
	v_cndmask_b32_e64 v5, 0, 1, s[36:37]
	;;#ASMSTART
	;;#ASMEND
	v_cmp_ne_u32_e32 vcc, 0, v5
	s_cmp_eq_u64 vcc, exec
	v_add_u32_e32 v5, 64, v4
	s_cselect_b64 vcc, -1, 0
	v_cndmask_b32_e32 v4, v4, v5, vcc
	v_add_u32_e32 v8, 64, v4
	v_mov_b32_e32 v9, 0
	v_lshlrev_b64 v[4:5], 4, v[8:9]
	v_mov_b32_e32 v6, s45
	v_add_co_u32_e64 v10, s[36:37], s44, v4
	v_addc_co_u32_e64 v11, s[36:37], v6, v5, s[36:37]
	s_mov_b32 s62, 0x70605
	s_mov_b32 s63, 0x1000706
	;; [unrolled: 1-line block ×4, first 2 shown]
	v_mov_b32_e32 v8, 2
	s_branch .LBB91_98
.LBB91_97:                              ;   in Loop: Header=BB91_98 Depth=1
	s_or_b64 exec, exec, s[36:37]
	v_cmp_ne_u16_sdwa s[36:37], v6, v8 src0_sel:BYTE_0 src1_sel:DWORD
	v_cndmask_b32_e64 v5, 0, 1, s[36:37]
	;;#ASMSTART
	;;#ASMEND
	v_cmp_ne_u32_e64 s[36:37], 0, v5
	s_cmp_eq_u64 s[36:37], exec
	s_cbranch_scc0 .LBB91_116
.LBB91_98:                              ; =>This Loop Header: Depth=1
                                        ;     Child Loop BB91_100 Depth 2
	;;#ASMSTART
	global_load_dwordx4 v[4:7], v[10:11] off glc	
s_waitcnt vmcnt(0)
	;;#ASMEND
	v_perm_b32 v7, v5, v6, s62
	v_perm_b32 v61, v5, v6, s63
	v_lshlrev_b32_e32 v7, 8, v7
	v_alignbit_b32 v42, v5, v4, 8
	v_alignbit_b32 v60, v5, v4, 16
	;; [unrolled: 1-line block ×3, first 2 shown]
	v_perm_b32 v62, v5, v6, s65
	v_perm_b32 v5, v7, v5, s66
	v_lshlrev_b32_e32 v7, 16, v61
	v_and_b32_e32 v7, 0xff0000, v7
	v_lshlrev_b32_e32 v61, 24, v62
	v_or3_b32 v7, v5, v7, v61
	v_cmp_eq_u16_sdwa s[56:57], v6, v9 src0_sel:BYTE_0 src1_sel:DWORD
	s_and_saveexec_b64 s[36:37], s[56:57]
	s_cbranch_execz .LBB91_97
; %bb.99:                               ;   in Loop: Header=BB91_98 Depth=1
	s_mov_b64 s[56:57], 0
.LBB91_100:                             ;   Parent Loop BB91_98 Depth=1
                                        ; =>  This Inner Loop Header: Depth=2
	;;#ASMSTART
	global_load_dwordx4 v[4:7], v[10:11] off glc	
s_waitcnt vmcnt(0)
	;;#ASMEND
	v_cmp_ne_u16_sdwa s[68:69], v6, v9 src0_sel:BYTE_0 src1_sel:DWORD
	s_or_b64 s[56:57], s[68:69], s[56:57]
	s_andn2_b64 exec, exec, s[56:57]
	s_cbranch_execnz .LBB91_100
; %bb.101:                              ;   in Loop: Header=BB91_98 Depth=1
	s_or_b64 exec, exec, s[56:57]
	v_perm_b32 v7, v5, v6, s62
	v_perm_b32 v61, v5, v6, s63
	v_lshlrev_b32_e32 v7, 8, v7
	v_alignbit_b32 v42, v5, v4, 8
	v_alignbit_b32 v60, v5, v4, 16
	;; [unrolled: 1-line block ×3, first 2 shown]
	v_perm_b32 v62, v5, v6, s65
	v_perm_b32 v5, v7, v5, s66
	v_lshlrev_b32_e32 v7, 16, v61
	v_lshlrev_b32_e32 v61, 24, v62
	v_and_b32_e32 v7, 0xff0000, v7
	v_or3_b32 v7, v5, v7, v61
	s_branch .LBB91_97
.LBB91_102:
                                        ; implicit-def: $vgpr2
                                        ; implicit-def: $vgpr42
                                        ; implicit-def: $vgpr6
                                        ; implicit-def: $vgpr62
                                        ; implicit-def: $vgpr43
                                        ; implicit-def: $vgpr60
                                        ; implicit-def: $vgpr61
                                        ; implicit-def: $vgpr63
                                        ; implicit-def: $vgpr64
                                        ; implicit-def: $vgpr65
                                        ; implicit-def: $vgpr66
                                        ; implicit-def: $vgpr67
                                        ; implicit-def: $vgpr68
                                        ; implicit-def: $vgpr69
                                        ; implicit-def: $vgpr70
                                        ; implicit-def: $vgpr71
                                        ; implicit-def: $vgpr72
                                        ; implicit-def: $vgpr73
	s_cbranch_execnz .LBB91_141
.LBB91_103:
	s_and_saveexec_b64 s[4:5], s[48:49]
	s_cbranch_execnz .LBB91_152
	s_branch .LBB91_335
.LBB91_104:
                                        ; implicit-def: $sgpr4_sgpr5
                                        ; implicit-def: $vgpr44
                                        ; implicit-def: $vgpr45
                                        ; implicit-def: $vgpr46
                                        ; implicit-def: $vgpr47
                                        ; implicit-def: $vgpr48
                                        ; implicit-def: $vgpr49
                                        ; implicit-def: $vgpr50
                                        ; implicit-def: $vgpr51
                                        ; implicit-def: $vgpr52
                                        ; implicit-def: $vgpr53
                                        ; implicit-def: $vgpr54
                                        ; implicit-def: $vgpr55
                                        ; implicit-def: $vgpr56
                                        ; implicit-def: $vgpr57
	s_cbranch_execz .LBB91_55
; %bb.105:
	v_cmp_neq_f32_e32 vcc, v25, v8
	v_cndmask_b32_e64 v57, 0, 1, vcc
	v_cmp_neq_f32_e32 vcc, v25, v9
	v_cndmask_b32_e64 v56, 0, 1, vcc
	;; [unrolled: 2-line block ×13, first 2 shown]
	v_cmp_neq_f32_e32 vcc, v13, v1
	v_lshlrev_b32_e32 v7, 2, v0
	v_cndmask_b32_e64 v44, 0, 1, vcc
	v_cmp_ne_u32_e32 vcc, 0, v0
	ds_write_b32 v7, v1
	s_waitcnt lgkmcnt(0)
	s_barrier
	s_waitcnt lgkmcnt(0)
                                        ; implicit-def: $sgpr4_sgpr5
	s_and_saveexec_b64 s[12:13], vcc
	s_xor_b64 s[12:13], exec, s[12:13]
	s_cbranch_execz .LBB91_107
; %bb.106:
	v_add_u32_e32 v2, -4, v7
	ds_read_b32 v2, v2
	s_or_b64 s[6:7], s[6:7], exec
	s_waitcnt lgkmcnt(0)
	v_cmp_neq_f32_e32 vcc, v2, v24
	s_and_b64 s[4:5], vcc, exec
.LBB91_107:
	s_or_b64 exec, exec, s[12:13]
	s_mov_b32 s14, 1
	s_branch .LBB91_71
.LBB91_108:
	s_mul_hi_u32 s5, s48, 0xfffff100
	s_mul_i32 s4, s49, 0xfffff100
	s_sub_i32 s5, s5, s48
	s_add_i32 s5, s5, s4
	s_mul_i32 s4, s48, 0xfffff100
	s_add_u32 s12, s4, s56
	s_addc_u32 s13, s5, s57
	s_and_b64 vcc, exec, s[10:11]
	s_cbranch_vccz .LBB91_113
; %bb.109:
	v_mov_b32_e32 v3, s62
	v_add_co_u32_e64 v2, vcc, -4, s9
	v_addc_co_u32_e32 v3, vcc, -1, v3, vcc
	flat_load_dword v6, v[2:3]
	v_mad_u32_u24 v4, v0, 15, 14
	v_mov_b32_e32 v5, 0
	v_cmp_gt_u64_e32 vcc, s[12:13], v[4:5]
	v_cmp_neq_f32_e64 s[4:5], v13, v1
	v_mad_u32_u24 v4, v0, 15, 13
	s_and_b64 s[6:7], vcc, s[4:5]
	v_cmp_gt_u64_e32 vcc, s[12:13], v[4:5]
	v_cmp_neq_f32_e64 s[4:5], v12, v13
	v_mad_u32_u24 v4, v0, 15, 12
	s_and_b64 s[10:11], vcc, s[4:5]
	;; [unrolled: 4-line block ×13, first 2 shown]
	v_cmp_gt_u64_e32 vcc, s[12:13], v[4:5]
	v_cmp_neq_f32_e64 s[4:5], v24, v25
	v_lshlrev_b32_e32 v3, 2, v0
	v_mul_u32_u24_e32 v2, 15, v0
	s_and_b64 s[4:5], vcc, s[4:5]
	v_cmp_ne_u32_e32 vcc, 0, v0
	ds_write_b32 v3, v1
	s_waitcnt lgkmcnt(0)
	s_barrier
	s_and_saveexec_b64 s[48:49], vcc
	s_cbranch_execz .LBB91_111
; %bb.110:
	v_add_u32_e32 v3, -4, v3
	s_waitcnt vmcnt(0)
	ds_read_b32 v6, v3
.LBB91_111:
	s_or_b64 exec, exec, s[48:49]
	v_mov_b32_e32 v3, v5
	v_cndmask_b32_e64 v57, 0, 1, s[4:5]
	v_cmp_gt_u64_e32 vcc, s[12:13], v[2:3]
	s_waitcnt vmcnt(0) lgkmcnt(0)
	v_cmp_neq_f32_e64 s[4:5], v6, v24
	v_cndmask_b32_e64 v44, 0, 1, s[6:7]
	v_cndmask_b32_e64 v45, 0, 1, s[10:11]
	;; [unrolled: 1-line block ×13, first 2 shown]
	s_and_b64 s[4:5], vcc, s[4:5]
	s_mov_b64 s[6:7], -1
.LBB91_112:
                                        ; implicit-def: $sgpr14
	v_mov_b32_e32 v58, s14
	s_and_saveexec_b64 s[10:11], s[6:7]
	s_cbranch_execnz .LBB91_72
	s_branch .LBB91_73
.LBB91_113:
                                        ; implicit-def: $sgpr4_sgpr5
                                        ; implicit-def: $vgpr44
                                        ; implicit-def: $vgpr45
                                        ; implicit-def: $vgpr46
                                        ; implicit-def: $vgpr47
                                        ; implicit-def: $vgpr48
                                        ; implicit-def: $vgpr49
                                        ; implicit-def: $vgpr50
                                        ; implicit-def: $vgpr51
                                        ; implicit-def: $vgpr52
                                        ; implicit-def: $vgpr53
                                        ; implicit-def: $vgpr54
                                        ; implicit-def: $vgpr55
                                        ; implicit-def: $vgpr56
                                        ; implicit-def: $vgpr57
	s_cbranch_execz .LBB91_112
; %bb.114:
	v_mad_u32_u24 v2, v0, 15, 14
	v_mov_b32_e32 v3, 0
	v_cmp_gt_u64_e32 vcc, s[12:13], v[2:3]
	v_cmp_neq_f32_e64 s[4:5], v13, v1
	s_and_b64 s[4:5], vcc, s[4:5]
	v_mad_u32_u24 v2, v0, 15, 13
	v_cndmask_b32_e64 v44, 0, 1, s[4:5]
	v_cmp_gt_u64_e32 vcc, s[12:13], v[2:3]
	v_cmp_neq_f32_e64 s[4:5], v12, v13
	s_and_b64 s[4:5], vcc, s[4:5]
	v_mad_u32_u24 v2, v0, 15, 12
	v_cndmask_b32_e64 v45, 0, 1, s[4:5]
	;; [unrolled: 5-line block ×13, first 2 shown]
	v_cmp_gt_u64_e32 vcc, s[12:13], v[2:3]
	v_cmp_neq_f32_e64 s[4:5], v24, v25
	s_and_b64 s[4:5], vcc, s[4:5]
	v_lshlrev_b32_e32 v4, 2, v0
	s_mov_b32 s14, 1
	v_cndmask_b32_e64 v57, 0, 1, s[4:5]
	v_cmp_ne_u32_e32 vcc, 0, v0
	ds_write_b32 v4, v1
	s_waitcnt lgkmcnt(0)
	s_barrier
	s_waitcnt lgkmcnt(0)
                                        ; implicit-def: $sgpr4_sgpr5
	s_and_saveexec_b64 s[10:11], vcc
	s_cbranch_execz .LBB91_122
; %bb.115:
	v_add_u32_e32 v2, -4, v4
	ds_read_b32 v4, v2
	v_mul_u32_u24_e32 v2, 15, v0
	v_cmp_gt_u64_e32 vcc, s[12:13], v[2:3]
	s_or_b64 s[6:7], s[6:7], exec
	s_waitcnt lgkmcnt(0)
	v_cmp_neq_f32_e64 s[4:5], v4, v24
	s_and_b64 s[4:5], vcc, s[4:5]
	s_and_b64 s[4:5], s[4:5], exec
	s_or_b64 exec, exec, s[10:11]
	v_mov_b32_e32 v58, s14
	s_and_saveexec_b64 s[10:11], s[6:7]
	s_cbranch_execz .LBB91_73
	s_branch .LBB91_72
.LBB91_116:
	v_cndmask_b32_e64 v5, 0, 1, vcc
	v_readfirstlane_b32 s36, v5
	s_sub_i32 s64, s64, s36
	v_lshlrev_b32_e32 v5, 16, v60
	s_mov_b32 s36, 0x4020c0c
	v_lshlrev_b32_e32 v8, 8, v42
	v_perm_b32 v5, v43, v5, s36
	v_and_b32_e32 v8, 0xff00, v8
	v_and_b32_e32 v4, 0xff, v4
	v_or3_b32 v60, v5, v8, v4
.LBB91_117:
	v_mov_b32_e32 v4, 2
	v_cmp_eq_u16_sdwa vcc, v6, v4 src0_sel:BYTE_0 src1_sel:DWORD
	s_cbranch_vccz .LBB91_123
; %bb.118:
	s_ff1_i32_b64 s36, vcc
	s_cmp_eq_u32 s36, 0
	s_cbranch_scc1 .LBB91_124
; %bb.119:
	v_cmp_eq_u32_e32 vcc, 0, v60
	v_mov_b32_e32 v9, v7
	v_mov_b32_e32 v8, v60
.LBB91_120:                             ; =>This Inner Loop Header: Depth=1
	s_nop 1
	v_mov_b32_dpp v4, v8 wave_rol:1 row_mask:0xf bank_mask:0xf
	v_mov_b32_dpp v5, v9 wave_rol:1 row_mask:0xf bank_mask:0xf
	v_add_u32_e32 v8, v4, v60
	v_add_f32_e32 v4, v7, v5
	s_add_i32 s36, s36, -1
	s_cmp_lg_u32 s36, 0
	v_cndmask_b32_e32 v9, v7, v4, vcc
	s_cbranch_scc1 .LBB91_120
; %bb.121:
	s_cmp_lt_i32 s64, 1
	s_cbranch_scc0 .LBB91_125
	s_branch .LBB91_130
.LBB91_122:
	s_or_b64 exec, exec, s[10:11]
	v_mov_b32_e32 v58, s14
	s_and_saveexec_b64 s[10:11], s[6:7]
	s_cbranch_execnz .LBB91_72
	s_branch .LBB91_73
.LBB91_123:
	s_mov_b64 s[8:9], 0
	s_mov_b64 s[36:37], -1
	s_branch .LBB91_135
.LBB91_124:
	v_mov_b32_e32 v9, v7
	v_mov_b32_e32 v8, v60
	s_cmp_lt_i32 s64, 1
	s_cbranch_scc1 .LBB91_130
.LBB91_125:
	v_mov_b32_e32 v4, 0
.LBB91_126:                             ; =>This Loop Header: Depth=1
                                        ;     Child Loop BB91_127 Depth 2
	s_add_i32 s36, s64, -1
	s_lshl_b32 s37, s36, 3
	v_add_u32_e32 v6, s37, v4
	buffer_load_dword v5, v6, s[0:3], 0 offen
	s_nop 0
	buffer_load_dword v6, v6, s[0:3], 0 offen offset:4
	s_mov_b32 s37, 64
	s_waitcnt vmcnt(1)
	v_cmp_eq_u32_e32 vcc, 0, v5
.LBB91_127:                             ;   Parent Loop BB91_126 Depth=1
                                        ; =>  This Inner Loop Header: Depth=2
	v_mov_b32_dpp v7, v8 wave_rol:1 row_mask:0xf bank_mask:0xf
	v_mov_b32_dpp v8, v9 wave_rol:1 row_mask:0xf bank_mask:0xf
	s_waitcnt vmcnt(0)
	v_add_f32_e32 v8, v6, v8
	v_cndmask_b32_e32 v8, v6, v8, vcc
	v_add_u32_e32 v7, v7, v5
	s_add_i32 s37, s37, -16
	v_mov_b32_dpp v8, v8 wave_rol:1 row_mask:0xf bank_mask:0xf
	v_add_f32_e32 v8, v6, v8
	v_cndmask_b32_e32 v8, v6, v8, vcc
	v_mov_b32_dpp v7, v7 wave_rol:1 row_mask:0xf bank_mask:0xf
	v_add_u32_e32 v7, v7, v5
	v_mov_b32_dpp v8, v8 wave_rol:1 row_mask:0xf bank_mask:0xf
	v_add_f32_e32 v8, v6, v8
	v_cndmask_b32_e32 v8, v6, v8, vcc
	v_mov_b32_dpp v7, v7 wave_rol:1 row_mask:0xf bank_mask:0xf
	v_add_u32_e32 v7, v7, v5
	;; [unrolled: 5-line block ×12, first 2 shown]
	v_mov_b32_dpp v8, v8 wave_rol:1 row_mask:0xf bank_mask:0xf
	v_add_f32_e32 v8, v6, v8
	v_mov_b32_dpp v7, v7 wave_rol:1 row_mask:0xf bank_mask:0xf
	v_cndmask_b32_e32 v8, v6, v8, vcc
	v_add_u32_e32 v7, v7, v5
	s_cmp_lg_u32 s37, 0
	v_mov_b32_dpp v8, v8 wave_rol:1 row_mask:0xf bank_mask:0xf
	v_mov_b32_dpp v7, v7 wave_rol:1 row_mask:0xf bank_mask:0xf
	v_add_f32_e32 v8, v6, v8
	v_add_u32_e32 v7, v7, v5
	v_cndmask_b32_e32 v8, v6, v8, vcc
	s_nop 0
	v_mov_b32_dpp v7, v7 wave_rol:1 row_mask:0xf bank_mask:0xf
	v_mov_b32_dpp v9, v8 wave_rol:1 row_mask:0xf bank_mask:0xf
	v_add_u32_e32 v8, v7, v5
	v_add_f32_e32 v7, v6, v9
	v_cndmask_b32_e32 v9, v6, v7, vcc
	s_cbranch_scc1 .LBB91_127
; %bb.128:                              ;   in Loop: Header=BB91_126 Depth=1
	s_cmp_gt_i32 s64, 1
	s_cbranch_scc0 .LBB91_130
; %bb.129:                              ;   in Loop: Header=BB91_126 Depth=1
	s_mov_b32 s64, s36
	s_branch .LBB91_126
.LBB91_130:
	v_readfirstlane_b32 s56, v8
	v_readfirstlane_b32 s57, v9
	s_and_saveexec_b64 s[36:37], s[30:31]
	s_cbranch_execz .LBB91_132
; %bb.131:
	v_mov_b32_e32 v5, s57
	v_add_f32_e32 v4, s9, v5
	v_mov_b32_e32 v7, s9
	v_cmp_eq_u32_e32 vcc, 0, v2
	s_mov_b32 s63, 0
	v_cndmask_b32_e32 v4, v7, v4, vcc
	s_add_i32 s62, s8, 64
	s_lshl_b64 s[8:9], s[62:63], 4
	v_and_b32_e32 v7, 0xff000000, v4
	v_and_b32_e32 v8, 0xff0000, v4
	s_add_u32 s8, s44, s8
	v_or_b32_e32 v7, v8, v7
	v_and_b32_e32 v8, 0xff00, v4
	s_addc_u32 s9, s45, s9
	v_or_b32_e32 v7, v7, v8
	v_add_u32_e32 v6, s56, v2
	v_mov_b32_e32 v9, 0
	v_or_b32_sdwa v7, v7, v4 dst_sel:DWORD dst_unused:UNUSED_PAD src0_sel:DWORD src1_sel:BYTE_0
	v_mov_b32_e32 v8, 2
	v_pk_mov_b32 v[10:11], s[8:9], s[8:9] op_sel:[0,1]
	;;#ASMSTART
	global_store_dwordx4 v[10:11], v[6:9] off	
s_waitcnt vmcnt(0)
	;;#ASMEND
	v_mov_b32_e32 v4, s56
	ds_write_b128 v9, v[2:5] offset:2048
.LBB91_132:
	s_or_b64 exec, exec, s[36:37]
	v_cmp_eq_u32_e32 vcc, 0, v0
	s_and_saveexec_b64 s[8:9], vcc
	s_cbranch_execz .LBB91_134
; %bb.133:
	v_mov_b32_e32 v2, s56
	v_mov_b32_e32 v3, s57
	;; [unrolled: 1-line block ×3, first 2 shown]
	ds_write_b64 v4, v[2:3] offset:2088
.LBB91_134:
	s_or_b64 exec, exec, s[8:9]
	s_mov_b64 s[8:9], -1
	s_mov_b64 s[36:37], 0
.LBB91_135:
	s_and_b64 s[36:37], s[36:37], exec
	s_orn2_b64 s[56:57], s[8:9], exec
.LBB91_136:
	s_or_b64 exec, exec, s[50:51]
                                        ; implicit-def: $vgpr2
                                        ; implicit-def: $vgpr42
                                        ; implicit-def: $vgpr6
                                        ; implicit-def: $vgpr62
                                        ; implicit-def: $vgpr43
                                        ; implicit-def: $vgpr60
                                        ; implicit-def: $vgpr61
                                        ; implicit-def: $vgpr63
                                        ; implicit-def: $vgpr64
                                        ; implicit-def: $vgpr65
                                        ; implicit-def: $vgpr66
                                        ; implicit-def: $vgpr67
                                        ; implicit-def: $vgpr68
                                        ; implicit-def: $vgpr69
                                        ; implicit-def: $vgpr70
                                        ; implicit-def: $vgpr71
                                        ; implicit-def: $vgpr72
                                        ; implicit-def: $vgpr73
	s_and_saveexec_b64 s[8:9], s[56:57]
	s_cbranch_execz .LBB91_139
; %bb.137:
	v_mov_b32_e32 v4, 0
	s_waitcnt lgkmcnt(0)
	s_barrier
	ds_read_b64 v[2:3], v4 offset:2088
	v_cndmask_b32_e64 v5, v80, v41, s[30:31]
	v_cndmask_b32_e64 v6, v79, v40, s[30:31]
	v_cmp_eq_u32_e32 vcc, 0, v6
	s_waitcnt lgkmcnt(0)
	v_add_f32_e32 v7, v5, v3
	v_cndmask_b32_e32 v5, v5, v7, vcc
	v_cmp_eq_u32_e32 vcc, 0, v0
	v_cndmask_b32_e32 v73, v5, v3, vcc
	v_cndmask_b32_e64 v3, v6, 0, vcc
	v_add_u32_e32 v7, v2, v3
	v_add_f32_e32 v2, v38, v73
	v_cmp_eq_u32_e32 vcc, 0, v58
	v_cndmask_b32_e32 v72, v38, v2, vcc
	v_add_f32_e32 v2, v39, v72
	v_cndmask_b32_e64 v71, v39, v2, s[28:29]
	v_add_f32_e32 v2, v36, v71
	v_cndmask_b32_e64 v70, v36, v2, s[26:27]
	;; [unrolled: 2-line block ×11, first 2 shown]
	s_barrier
	ds_read_b128 v[2:5], v4 offset:2048
	v_add_f32_e32 v6, v26, v60
	v_cndmask_b32_e64 v43, v26, v6, s[6:7]
	v_add_f32_e32 v6, v27, v43
	s_mov_b64 s[48:49], exec
	s_waitcnt lgkmcnt(0)
	v_add_f32_e32 v5, v5, v3
	v_cmp_eq_u32_e32 vcc, 0, v2
	v_cndmask_b32_e64 v62, v27, v6, s[4:5]
	v_cndmask_b32_e32 v42, v3, v5, vcc
	v_mov_b32_e32 v6, v4
	v_mov_b32_e32 v5, v7
	s_or_b64 exec, exec, s[8:9]
	s_and_saveexec_b64 s[4:5], s[36:37]
	s_xor_b64 s[4:5], exec, s[4:5]
	s_cbranch_execz .LBB91_140
.LBB91_138:
	s_trap 2
	; divergent unreachable
                                        ; implicit-def: $vgpr62
                                        ; implicit-def: $vgpr43
                                        ; implicit-def: $vgpr60
                                        ; implicit-def: $vgpr61
                                        ; implicit-def: $vgpr63
                                        ; implicit-def: $vgpr64
                                        ; implicit-def: $vgpr65
                                        ; implicit-def: $vgpr66
                                        ; implicit-def: $vgpr67
                                        ; implicit-def: $vgpr68
                                        ; implicit-def: $vgpr69
                                        ; implicit-def: $vgpr70
                                        ; implicit-def: $vgpr71
                                        ; implicit-def: $vgpr72
                                        ; implicit-def: $vgpr73
	s_branch .LBB91_140
.LBB91_139:
	s_or_b64 exec, exec, s[8:9]
	s_and_saveexec_b64 s[4:5], s[36:37]
	s_xor_b64 s[4:5], exec, s[4:5]
	s_cbranch_execnz .LBB91_138
.LBB91_140:
	s_or_b64 exec, exec, s[4:5]
	s_branch .LBB91_103
.LBB91_141:
	s_and_b64 s[4:5], s[46:47], exec
	s_cselect_b32 s5, 0, s61
	s_cselect_b32 s4, 0, s60
	s_cmp_eq_u64 s[4:5], 0
	v_mov_b32_e32 v6, v38
	s_cbranch_scc1 .LBB91_143
; %bb.142:
	v_mov_b32_e32 v2, 0
	global_load_dword v6, v2, s[4:5]
.LBB91_143:
	v_cmp_eq_u32_e64 s[4:5], 0, v57
	v_cndmask_b32_e64 v2, v39, v78, s[4:5]
	v_add_f32_e32 v2, v36, v2
	v_cmp_eq_u32_e64 s[6:7], 0, v56
	v_cndmask_b32_e64 v2, v36, v2, s[6:7]
	v_add_f32_e32 v2, v37, v2
	;; [unrolled: 3-line block ×11, first 2 shown]
	v_cmp_eq_u32_e64 s[26:27], 0, v46
	v_cndmask_b32_e64 v2, v26, v2, s[26:27]
	v_add3_u32 v3, v77, v53, v52
	v_add_f32_e32 v2, v27, v2
	v_cmp_eq_u32_e32 vcc, 0, v45
	v_add3_u32 v3, v3, v51, v50
	v_cndmask_b32_e32 v2, v27, v2, vcc
	v_add3_u32 v3, v3, v49, v48
	v_add_f32_e32 v2, v59, v2
	v_cmp_eq_u32_e64 s[28:29], 0, v44
	v_add3_u32 v3, v3, v47, v46
	v_cndmask_b32_e64 v2, v59, v2, s[28:29]
	v_add3_u32 v3, v3, v45, v44
	v_mbcnt_hi_u32_b32 v7, -1, v76
	v_mov_b32_dpp v8, v2 row_shr:1 row_mask:0xf bank_mask:0xf
	v_and_b32_e32 v4, 15, v7
	v_add_f32_e32 v8, v2, v8
	v_cmp_eq_u32_e64 s[28:29], 0, v3
	v_mov_b32_dpp v5, v3 row_shr:1 row_mask:0xf bank_mask:0xf
	v_cndmask_b32_e64 v8, v2, v8, s[28:29]
	v_cmp_eq_u32_e64 s[28:29], 0, v4
	v_cndmask_b32_e64 v5, v5, 0, s[28:29]
	v_cndmask_b32_e64 v2, v8, v2, s[28:29]
	v_add_u32_e32 v3, v5, v3
	v_cmp_eq_u32_e64 s[28:29], 0, v3
	v_mov_b32_dpp v8, v2 row_shr:2 row_mask:0xf bank_mask:0xf
	v_add_f32_e32 v8, v2, v8
	v_mov_b32_dpp v5, v3 row_shr:2 row_mask:0xf bank_mask:0xf
	v_cndmask_b32_e64 v8, v2, v8, s[28:29]
	v_cmp_lt_u32_e64 s[28:29], 1, v4
	v_cndmask_b32_e64 v2, v2, v8, s[28:29]
	v_cndmask_b32_e64 v5, 0, v5, s[28:29]
	v_add_u32_e32 v3, v3, v5
	v_mov_b32_dpp v8, v2 row_shr:4 row_mask:0xf bank_mask:0xf
	v_add_f32_e32 v8, v2, v8
	v_cmp_eq_u32_e64 s[28:29], 0, v3
	v_mov_b32_dpp v5, v3 row_shr:4 row_mask:0xf bank_mask:0xf
	v_cndmask_b32_e64 v8, v2, v8, s[28:29]
	v_cmp_lt_u32_e64 s[28:29], 3, v4
	v_cndmask_b32_e64 v2, v2, v8, s[28:29]
	v_cndmask_b32_e64 v5, 0, v5, s[28:29]
	v_add_u32_e32 v3, v5, v3
	v_mov_b32_dpp v8, v2 row_shr:8 row_mask:0xf bank_mask:0xf
	v_add_f32_e32 v8, v2, v8
	v_cmp_eq_u32_e64 s[28:29], 0, v3
	v_mov_b32_dpp v5, v3 row_shr:8 row_mask:0xf bank_mask:0xf
	v_cndmask_b32_e64 v8, v2, v8, s[28:29]
	v_cmp_lt_u32_e64 s[28:29], 7, v4
	v_cndmask_b32_e64 v2, v2, v8, s[28:29]
	v_cndmask_b32_e64 v4, 0, v5, s[28:29]
	v_add_u32_e32 v3, v4, v3
	v_mov_b32_dpp v5, v2 row_bcast:15 row_mask:0xf bank_mask:0xf
	v_bfe_i32 v8, v7, 4, 1
	v_mov_b32_dpp v4, v3 row_bcast:15 row_mask:0xf bank_mask:0xf
	v_and_b32_e32 v9, 16, v7
	v_add_f32_e32 v5, v2, v5
	v_cmp_eq_u32_e64 s[28:29], 0, v3
	v_cndmask_b32_e64 v5, v2, v5, s[28:29]
	v_and_b32_e32 v4, v8, v4
	v_cmp_eq_u32_e64 s[28:29], 0, v9
	v_add_u32_e32 v3, v4, v3
	v_cndmask_b32_e64 v4, v5, v2, s[28:29]
	v_cmp_eq_u32_e64 s[28:29], 0, v3
	v_mov_b32_dpp v2, v3 row_bcast:31 row_mask:0xf bank_mask:0xf
	v_mov_b32_dpp v5, v4 row_bcast:31 row_mask:0xf bank_mask:0xf
	v_add_f32_e32 v5, v4, v5
	v_cndmask_b32_e64 v5, v4, v5, s[28:29]
	v_cmp_lt_u32_e64 s[28:29], 31, v7
	v_cndmask_b32_e64 v2, 0, v2, s[28:29]
	v_add_u32_e32 v2, v2, v3
	v_cmp_eq_u32_e64 s[30:31], v75, v0
	v_cndmask_b32_e64 v3, v4, v5, s[28:29]
	s_and_saveexec_b64 s[28:29], s[30:31]
	s_cbranch_execz .LBB91_145
; %bb.144:
	v_lshlrev_b32_e32 v4, 3, v74
	ds_write_b64 v4, v[2:3] offset:2064
.LBB91_145:
	s_or_b64 exec, exec, s[28:29]
	v_cmp_gt_u32_e64 s[28:29], 4, v0
	s_waitcnt lgkmcnt(0)
	s_barrier
	s_and_saveexec_b64 s[34:35], s[28:29]
	s_cbranch_execz .LBB91_147
; %bb.146:
	v_lshlrev_b32_e32 v8, 3, v0
	ds_read_b64 v[4:5], v8 offset:2064
	v_and_b32_e32 v9, 3, v7
	v_cmp_lt_u32_e64 s[30:31], 1, v9
	s_waitcnt lgkmcnt(0)
	v_mov_b32_dpp v11, v5 row_shr:1 row_mask:0xf bank_mask:0xf
	v_add_f32_e32 v11, v5, v11
	v_cmp_eq_u32_e64 s[28:29], 0, v4
	v_mov_b32_dpp v10, v4 row_shr:1 row_mask:0xf bank_mask:0xf
	v_cndmask_b32_e64 v11, v5, v11, s[28:29]
	v_cmp_eq_u32_e64 s[28:29], 0, v9
	v_cndmask_b32_e64 v10, v10, 0, s[28:29]
	v_add_u32_e32 v4, v10, v4
	v_cndmask_b32_e64 v5, v11, v5, s[28:29]
	v_cmp_eq_u32_e64 s[28:29], 0, v4
	v_mov_b32_dpp v10, v4 row_shr:2 row_mask:0xf bank_mask:0xf
	v_mov_b32_dpp v11, v5 row_shr:2 row_mask:0xf bank_mask:0xf
	v_add_f32_e32 v11, v5, v11
	v_cndmask_b32_e64 v9, 0, v10, s[30:31]
	s_and_b64 s[28:29], s[30:31], s[28:29]
	v_add_u32_e32 v4, v9, v4
	v_cndmask_b32_e64 v5, v5, v11, s[28:29]
	ds_write_b64 v8, v[4:5] offset:2064
.LBB91_147:
	s_or_b64 exec, exec, s[34:35]
	v_cmp_lt_u32_e64 s[28:29], 63, v0
	v_mov_b32_e32 v8, 0
	v_mov_b32_e32 v4, 0
	s_waitcnt vmcnt(0)
	v_mov_b32_e32 v9, v6
	s_waitcnt lgkmcnt(0)
	s_barrier
	s_and_saveexec_b64 s[30:31], s[28:29]
	s_cbranch_execz .LBB91_149
; %bb.148:
	v_lshlrev_b32_e32 v4, 3, v74
	ds_read_b64 v[4:5], v4 offset:2056
	s_waitcnt lgkmcnt(0)
	v_add_f32_e32 v9, v6, v5
	v_cmp_eq_u32_e64 s[28:29], 0, v4
	v_cndmask_b32_e64 v9, v5, v9, s[28:29]
.LBB91_149:
	s_or_b64 exec, exec, s[30:31]
	v_add_f32_e32 v10, v3, v9
	v_cmp_eq_u32_e64 s[28:29], 0, v2
	v_add_u32_e32 v5, v4, v2
	v_cndmask_b32_e64 v2, v3, v10, s[28:29]
	v_add_u32_e32 v3, -1, v7
	v_and_b32_e32 v10, 64, v7
	v_cmp_lt_i32_e64 s[28:29], v3, v10
	v_cndmask_b32_e64 v3, v3, v7, s[28:29]
	v_lshlrev_b32_e32 v3, 2, v3
	ds_bpermute_b32 v5, v3, v5
	ds_bpermute_b32 v2, v3, v2
	v_cmp_eq_u32_e64 s[28:29], 0, v7
	v_cmp_eq_u32_e64 s[30:31], 0, v58
	s_waitcnt lgkmcnt(1)
	v_cndmask_b32_e64 v5, v5, v4, s[28:29]
	s_waitcnt lgkmcnt(0)
	v_cndmask_b32_e64 v73, v2, v9, s[28:29]
	v_cmp_eq_u32_e64 s[28:29], 0, v0
	v_cndmask_b32_e64 v2, v73, v6, s[28:29]
	v_add_f32_e32 v2, v38, v2
	v_cndmask_b32_e64 v72, v38, v2, s[30:31]
	v_add_f32_e32 v2, v39, v72
	;; [unrolled: 2-line block ×11, first 2 shown]
	v_cndmask_b32_e64 v61, v28, v2, s[24:25]
	ds_read_b64 v[2:3], v8 offset:2088
	v_add_f32_e32 v4, v29, v61
	v_cndmask_b32_e64 v60, v29, v4, s[22:23]
	v_add_f32_e32 v4, v26, v60
	v_cndmask_b32_e64 v43, v26, v4, s[26:27]
	s_waitcnt lgkmcnt(0)
	v_add_f32_e32 v4, v6, v3
	v_cmp_eq_u32_e64 s[4:5], 0, v2
	v_add_f32_e32 v7, v27, v43
	v_cndmask_b32_e64 v42, v3, v4, s[4:5]
	s_and_saveexec_b64 s[4:5], s[28:29]
	s_cbranch_execz .LBB91_151
; %bb.150:
	s_add_u32 s6, s44, 0x400
	v_and_b32_e32 v3, 0xff000000, v42
	v_and_b32_e32 v4, 0xff0000, v42
	s_addc_u32 s7, s45, 0
	v_or_b32_e32 v3, v4, v3
	v_and_b32_e32 v4, 0xff00, v42
	v_and_b32_e32 v8, 0xff, v42
	v_mov_b32_e32 v5, 0
	v_or3_b32 v3, v3, v4, v8
	v_mov_b32_e32 v4, 2
	v_pk_mov_b32 v[8:9], s[6:7], s[6:7] op_sel:[0,1]
	;;#ASMSTART
	global_store_dwordx4 v[8:9], v[2:5] off	
s_waitcnt vmcnt(0)
	;;#ASMEND
	v_mov_b32_e32 v73, v6
.LBB91_151:
	s_or_b64 exec, exec, s[4:5]
	v_cndmask_b32_e32 v62, v27, v7, vcc
	s_mov_b64 s[48:49], -1
	v_mov_b32_e32 v6, 0
	s_and_saveexec_b64 s[4:5], s[48:49]
	s_cbranch_execz .LBB91_335
.LBB91_152:
	s_and_b64 s[4:5], s[46:47], exec
	s_cselect_b32 s5, 0, s59
	s_cselect_b32 s4, 0, s58
	s_cmp_eq_u64 s[4:5], 0
	v_pk_mov_b32 v[8:9], 0, 0
	s_waitcnt lgkmcnt(0)
	s_barrier
	s_cbranch_scc1 .LBB91_154
; %bb.153:
	v_mov_b32_e32 v3, 0
	global_load_dwordx2 v[8:9], v3, s[4:5]
.LBB91_154:
	s_waitcnt vmcnt(0)
	v_lshlrev_b64 v[10:11], 2, v[8:9]
	v_mov_b32_e32 v7, s43
	v_add_co_u32_e32 v40, vcc, s42, v10
	v_addc_co_u32_e32 v41, vcc, v7, v11, vcc
	v_mov_b32_e32 v7, 0
	v_lshlrev_b64 v[26:27], 2, v[6:7]
	v_add_co_u32_e32 v7, vcc, v40, v26
	v_addc_co_u32_e32 v40, vcc, v41, v27, vcc
	v_cmp_eq_u32_e32 vcc, 0, v58
	v_cndmask_b32_e64 v41, 1, 2, vcc
	v_cmp_eq_u32_e32 vcc, 0, v57
	v_cndmask_b32_e64 v59, 1, 2, vcc
	v_cmp_eq_u32_e32 vcc, 0, v56
	v_add_u32_e32 v39, v5, v58
	v_and_b32_e32 v41, v59, v41
	v_cndmask_b32_e64 v59, 1, 2, vcc
	v_cmp_eq_u32_e32 vcc, 0, v55
	v_add_u32_e32 v38, v39, v57
	v_and_b32_e32 v41, v41, v59
	;; [unrolled: 4-line block ×12, first 2 shown]
	v_cndmask_b32_e64 v59, 1, 2, vcc
	v_cmp_eq_u32_e32 vcc, 0, v44
	s_movk_i32 s36, 0x100
	v_add_u32_e32 v4, v28, v46
	v_and_b32_e32 v41, v41, v59
	v_cndmask_b32_e64 v59, 1, 2, vcc
	v_cmp_gt_u32_e32 vcc, s36, v2
	v_add_u32_e32 v3, v4, v45
	v_cmp_ne_u32_e64 s[34:35], 0, v58
	v_cmp_ne_u32_e64 s[30:31], 0, v57
	;; [unrolled: 1-line block ×15, first 2 shown]
	v_and_b32_e32 v41, v41, v59
	s_mov_b64 s[36:37], -1
	s_cbranch_vccz .LBB91_191
; %bb.155:
	v_cmp_gt_i16_e32 vcc, 2, v41
	s_and_saveexec_b64 s[36:37], vcc
	s_cbranch_execz .LBB91_190
; %bb.156:
	v_cmp_ne_u16_e32 vcc, 1, v41
	s_mov_b64 s[44:45], 0
	s_and_saveexec_b64 s[42:43], vcc
	s_xor_b64 s[42:43], exec, s[42:43]
	s_cbranch_execz .LBB91_171
; %bb.157:
	s_and_saveexec_b64 s[44:45], s[34:35]
	s_cbranch_execz .LBB91_173
; %bb.158:
	v_sub_u32_e32 v74, v5, v6
	v_mov_b32_e32 v75, 0
	v_lshlrev_b64 v[74:75], 2, v[74:75]
	v_add_co_u32_e32 v74, vcc, v7, v74
	v_addc_co_u32_e32 v75, vcc, v40, v75, vcc
	global_store_dword v[74:75], v24, off
	s_or_b64 exec, exec, s[44:45]
	s_and_saveexec_b64 s[44:45], s[30:31]
	s_cbranch_execnz .LBB91_174
.LBB91_159:
	s_or_b64 exec, exec, s[44:45]
	s_and_saveexec_b64 s[44:45], s[28:29]
	s_cbranch_execz .LBB91_175
.LBB91_160:
	v_sub_u32_e32 v74, v38, v6
	v_mov_b32_e32 v75, 0
	v_lshlrev_b64 v[74:75], 2, v[74:75]
	v_add_co_u32_e32 v74, vcc, v7, v74
	v_addc_co_u32_e32 v75, vcc, v40, v75, vcc
	global_store_dword v[74:75], v22, off
	s_or_b64 exec, exec, s[44:45]
	s_and_saveexec_b64 s[44:45], s[26:27]
	s_cbranch_execnz .LBB91_176
.LBB91_161:
	s_or_b64 exec, exec, s[44:45]
	s_and_saveexec_b64 s[44:45], s[24:25]
	s_cbranch_execz .LBB91_177
.LBB91_162:
	v_sub_u32_e32 v74, v36, v6
	v_mov_b32_e32 v75, 0
	v_lshlrev_b64 v[74:75], 2, v[74:75]
	v_add_co_u32_e32 v74, vcc, v7, v74
	v_addc_co_u32_e32 v75, vcc, v40, v75, vcc
	global_store_dword v[74:75], v20, off
	s_or_b64 exec, exec, s[44:45]
	s_and_saveexec_b64 s[44:45], s[22:23]
	s_cbranch_execnz .LBB91_178
.LBB91_163:
	s_or_b64 exec, exec, s[44:45]
	s_and_saveexec_b64 s[44:45], s[20:21]
	s_cbranch_execz .LBB91_179
.LBB91_164:
	v_sub_u32_e32 v74, v34, v6
	v_mov_b32_e32 v75, 0
	v_lshlrev_b64 v[74:75], 2, v[74:75]
	v_add_co_u32_e32 v74, vcc, v7, v74
	v_addc_co_u32_e32 v75, vcc, v40, v75, vcc
	global_store_dword v[74:75], v18, off
	s_or_b64 exec, exec, s[44:45]
	s_and_saveexec_b64 s[44:45], s[18:19]
	s_cbranch_execnz .LBB91_180
.LBB91_165:
	s_or_b64 exec, exec, s[44:45]
	s_and_saveexec_b64 s[44:45], s[16:17]
	s_cbranch_execz .LBB91_181
.LBB91_166:
	v_sub_u32_e32 v74, v32, v6
	v_mov_b32_e32 v75, 0
	v_lshlrev_b64 v[74:75], 2, v[74:75]
	v_add_co_u32_e32 v74, vcc, v7, v74
	v_addc_co_u32_e32 v75, vcc, v40, v75, vcc
	global_store_dword v[74:75], v16, off
	s_or_b64 exec, exec, s[44:45]
	s_and_saveexec_b64 s[44:45], s[14:15]
	s_cbranch_execnz .LBB91_182
.LBB91_167:
	s_or_b64 exec, exec, s[44:45]
	s_and_saveexec_b64 s[44:45], s[12:13]
	s_cbranch_execz .LBB91_183
.LBB91_168:
	v_sub_u32_e32 v74, v30, v6
	v_mov_b32_e32 v75, 0
	v_lshlrev_b64 v[74:75], 2, v[74:75]
	v_add_co_u32_e32 v74, vcc, v7, v74
	v_addc_co_u32_e32 v75, vcc, v40, v75, vcc
	global_store_dword v[74:75], v14, off
	s_or_b64 exec, exec, s[44:45]
	s_and_saveexec_b64 s[44:45], s[10:11]
	s_cbranch_execnz .LBB91_184
.LBB91_169:
	s_or_b64 exec, exec, s[44:45]
	s_and_saveexec_b64 s[44:45], s[8:9]
	s_cbranch_execz .LBB91_185
.LBB91_170:
	v_sub_u32_e32 v74, v28, v6
	v_mov_b32_e32 v75, 0
	v_lshlrev_b64 v[74:75], 2, v[74:75]
	v_add_co_u32_e32 v74, vcc, v7, v74
	v_addc_co_u32_e32 v75, vcc, v40, v75, vcc
	global_store_dword v[74:75], v12, off
	s_or_b64 exec, exec, s[44:45]
	s_and_saveexec_b64 s[44:45], s[6:7]
	s_cbranch_execnz .LBB91_186
	s_branch .LBB91_187
.LBB91_171:
	s_andn2_saveexec_b64 s[42:43], s[42:43]
	s_cbranch_execz .LBB91_188
.LBB91_172:
	v_sub_u32_e32 v74, v5, v6
	v_mov_b32_e32 v75, 0
	v_lshlrev_b64 v[76:77], 2, v[74:75]
	v_add_co_u32_e32 v76, vcc, v7, v76
	v_addc_co_u32_e32 v77, vcc, v40, v77, vcc
	v_sub_u32_e32 v74, v39, v6
	global_store_dword v[76:77], v24, off
	v_lshlrev_b64 v[76:77], 2, v[74:75]
	v_add_co_u32_e32 v76, vcc, v7, v76
	v_addc_co_u32_e32 v77, vcc, v40, v77, vcc
	v_sub_u32_e32 v74, v38, v6
	global_store_dword v[76:77], v25, off
	;; [unrolled: 5-line block ×12, first 2 shown]
	v_lshlrev_b64 v[76:77], 2, v[74:75]
	v_add_co_u32_e32 v76, vcc, v7, v76
	v_sub_u32_e32 v74, v4, v6
	v_addc_co_u32_e32 v77, vcc, v40, v77, vcc
	v_lshlrev_b64 v[74:75], 2, v[74:75]
	v_add_co_u32_e32 v74, vcc, v7, v74
	v_addc_co_u32_e32 v75, vcc, v40, v75, vcc
	s_or_b64 s[44:45], s[44:45], exec
	global_store_dword v[76:77], v12, off
	global_store_dword v[74:75], v13, off
	s_or_b64 exec, exec, s[42:43]
	s_and_b64 exec, exec, s[44:45]
	s_cbranch_execnz .LBB91_189
	s_branch .LBB91_190
.LBB91_173:
	s_or_b64 exec, exec, s[44:45]
	s_and_saveexec_b64 s[44:45], s[30:31]
	s_cbranch_execz .LBB91_159
.LBB91_174:
	v_sub_u32_e32 v74, v39, v6
	v_mov_b32_e32 v75, 0
	v_lshlrev_b64 v[74:75], 2, v[74:75]
	v_add_co_u32_e32 v74, vcc, v7, v74
	v_addc_co_u32_e32 v75, vcc, v40, v75, vcc
	global_store_dword v[74:75], v25, off
	s_or_b64 exec, exec, s[44:45]
	s_and_saveexec_b64 s[44:45], s[28:29]
	s_cbranch_execnz .LBB91_160
.LBB91_175:
	s_or_b64 exec, exec, s[44:45]
	s_and_saveexec_b64 s[44:45], s[26:27]
	s_cbranch_execz .LBB91_161
.LBB91_176:
	v_sub_u32_e32 v74, v37, v6
	v_mov_b32_e32 v75, 0
	v_lshlrev_b64 v[74:75], 2, v[74:75]
	v_add_co_u32_e32 v74, vcc, v7, v74
	v_addc_co_u32_e32 v75, vcc, v40, v75, vcc
	global_store_dword v[74:75], v23, off
	s_or_b64 exec, exec, s[44:45]
	s_and_saveexec_b64 s[44:45], s[24:25]
	s_cbranch_execnz .LBB91_162
.LBB91_177:
	s_or_b64 exec, exec, s[44:45]
	s_and_saveexec_b64 s[44:45], s[22:23]
	s_cbranch_execz .LBB91_163
.LBB91_178:
	v_sub_u32_e32 v74, v35, v6
	v_mov_b32_e32 v75, 0
	v_lshlrev_b64 v[74:75], 2, v[74:75]
	v_add_co_u32_e32 v74, vcc, v7, v74
	v_addc_co_u32_e32 v75, vcc, v40, v75, vcc
	global_store_dword v[74:75], v21, off
	s_or_b64 exec, exec, s[44:45]
	s_and_saveexec_b64 s[44:45], s[20:21]
	s_cbranch_execnz .LBB91_164
.LBB91_179:
	s_or_b64 exec, exec, s[44:45]
	s_and_saveexec_b64 s[44:45], s[18:19]
	s_cbranch_execz .LBB91_165
.LBB91_180:
	v_sub_u32_e32 v74, v33, v6
	v_mov_b32_e32 v75, 0
	v_lshlrev_b64 v[74:75], 2, v[74:75]
	v_add_co_u32_e32 v74, vcc, v7, v74
	v_addc_co_u32_e32 v75, vcc, v40, v75, vcc
	global_store_dword v[74:75], v19, off
	s_or_b64 exec, exec, s[44:45]
	s_and_saveexec_b64 s[44:45], s[16:17]
	s_cbranch_execnz .LBB91_166
.LBB91_181:
	s_or_b64 exec, exec, s[44:45]
	s_and_saveexec_b64 s[44:45], s[14:15]
	s_cbranch_execz .LBB91_167
.LBB91_182:
	v_sub_u32_e32 v74, v31, v6
	v_mov_b32_e32 v75, 0
	v_lshlrev_b64 v[74:75], 2, v[74:75]
	v_add_co_u32_e32 v74, vcc, v7, v74
	v_addc_co_u32_e32 v75, vcc, v40, v75, vcc
	global_store_dword v[74:75], v17, off
	s_or_b64 exec, exec, s[44:45]
	s_and_saveexec_b64 s[44:45], s[12:13]
	s_cbranch_execnz .LBB91_168
.LBB91_183:
	s_or_b64 exec, exec, s[44:45]
	s_and_saveexec_b64 s[44:45], s[10:11]
	s_cbranch_execz .LBB91_169
.LBB91_184:
	v_sub_u32_e32 v74, v29, v6
	v_mov_b32_e32 v75, 0
	v_lshlrev_b64 v[74:75], 2, v[74:75]
	v_add_co_u32_e32 v74, vcc, v7, v74
	v_addc_co_u32_e32 v75, vcc, v40, v75, vcc
	global_store_dword v[74:75], v15, off
	s_or_b64 exec, exec, s[44:45]
	s_and_saveexec_b64 s[44:45], s[8:9]
	s_cbranch_execnz .LBB91_170
.LBB91_185:
	s_or_b64 exec, exec, s[44:45]
	s_and_saveexec_b64 s[44:45], s[6:7]
	s_cbranch_execz .LBB91_187
.LBB91_186:
	v_sub_u32_e32 v74, v4, v6
	v_mov_b32_e32 v75, 0
	v_lshlrev_b64 v[74:75], 2, v[74:75]
	v_add_co_u32_e32 v74, vcc, v7, v74
	v_addc_co_u32_e32 v75, vcc, v40, v75, vcc
	global_store_dword v[74:75], v13, off
.LBB91_187:
	s_or_b64 exec, exec, s[44:45]
	s_and_b64 s[44:45], s[4:5], exec
	s_andn2_saveexec_b64 s[42:43], s[42:43]
	s_cbranch_execnz .LBB91_172
.LBB91_188:
	s_or_b64 exec, exec, s[42:43]
	s_and_b64 exec, exec, s[44:45]
	s_cbranch_execz .LBB91_190
.LBB91_189:
	v_sub_u32_e32 v74, v3, v6
	v_mov_b32_e32 v75, 0
	v_lshlrev_b64 v[74:75], 2, v[74:75]
	v_add_co_u32_e32 v74, vcc, v7, v74
	v_addc_co_u32_e32 v75, vcc, v40, v75, vcc
	global_store_dword v[74:75], v1, off
.LBB91_190:
	s_or_b64 exec, exec, s[36:37]
	s_mov_b64 s[36:37], 0
.LBB91_191:
	s_and_b64 vcc, exec, s[36:37]
	s_cbranch_vccz .LBB91_243
; %bb.192:
	v_cmp_gt_i16_e32 vcc, 2, v41
	s_and_saveexec_b64 s[36:37], vcc
	s_cbranch_execz .LBB91_227
; %bb.193:
	v_cmp_ne_u16_e32 vcc, 1, v41
	s_mov_b64 s[44:45], 0
	s_and_saveexec_b64 s[42:43], vcc
	s_xor_b64 s[42:43], exec, s[42:43]
	s_cbranch_execz .LBB91_208
; %bb.194:
	s_and_saveexec_b64 s[44:45], s[34:35]
	s_cbranch_execz .LBB91_210
; %bb.195:
	v_sub_u32_e32 v41, v5, v6
	v_lshlrev_b32_e32 v41, 2, v41
	ds_write_b32 v41, v24
	s_or_b64 exec, exec, s[44:45]
	s_and_saveexec_b64 s[34:35], s[30:31]
	s_cbranch_execnz .LBB91_211
.LBB91_196:
	s_or_b64 exec, exec, s[34:35]
	s_and_saveexec_b64 s[30:31], s[28:29]
	s_cbranch_execz .LBB91_212
.LBB91_197:
	v_sub_u32_e32 v24, v38, v6
	v_lshlrev_b32_e32 v24, 2, v24
	ds_write_b32 v24, v22
	s_or_b64 exec, exec, s[30:31]
	s_and_saveexec_b64 s[28:29], s[26:27]
	s_cbranch_execnz .LBB91_213
.LBB91_198:
	s_or_b64 exec, exec, s[28:29]
	s_and_saveexec_b64 s[26:27], s[24:25]
	s_cbranch_execz .LBB91_214
.LBB91_199:
	v_sub_u32_e32 v22, v36, v6
	v_lshlrev_b32_e32 v22, 2, v22
	ds_write_b32 v22, v20
	s_or_b64 exec, exec, s[26:27]
	s_and_saveexec_b64 s[24:25], s[22:23]
	s_cbranch_execnz .LBB91_215
.LBB91_200:
	s_or_b64 exec, exec, s[24:25]
	s_and_saveexec_b64 s[22:23], s[20:21]
	s_cbranch_execz .LBB91_216
.LBB91_201:
	v_sub_u32_e32 v20, v34, v6
	v_lshlrev_b32_e32 v20, 2, v20
	ds_write_b32 v20, v18
	s_or_b64 exec, exec, s[22:23]
	s_and_saveexec_b64 s[20:21], s[18:19]
	s_cbranch_execnz .LBB91_217
.LBB91_202:
	s_or_b64 exec, exec, s[20:21]
	s_and_saveexec_b64 s[18:19], s[16:17]
	s_cbranch_execz .LBB91_218
.LBB91_203:
	v_sub_u32_e32 v18, v32, v6
	v_lshlrev_b32_e32 v18, 2, v18
	ds_write_b32 v18, v16
	s_or_b64 exec, exec, s[18:19]
	s_and_saveexec_b64 s[16:17], s[14:15]
	s_cbranch_execnz .LBB91_219
.LBB91_204:
	s_or_b64 exec, exec, s[16:17]
	s_and_saveexec_b64 s[14:15], s[12:13]
	s_cbranch_execz .LBB91_220
.LBB91_205:
	v_sub_u32_e32 v16, v30, v6
	v_lshlrev_b32_e32 v16, 2, v16
	ds_write_b32 v16, v14
	s_or_b64 exec, exec, s[14:15]
	s_and_saveexec_b64 s[12:13], s[10:11]
	s_cbranch_execnz .LBB91_221
.LBB91_206:
	s_or_b64 exec, exec, s[12:13]
	s_and_saveexec_b64 s[10:11], s[8:9]
	s_cbranch_execz .LBB91_222
.LBB91_207:
	v_sub_u32_e32 v14, v28, v6
	v_lshlrev_b32_e32 v14, 2, v14
	ds_write_b32 v14, v12
	s_or_b64 exec, exec, s[10:11]
	s_and_saveexec_b64 s[8:9], s[6:7]
	s_cbranch_execnz .LBB91_223
	s_branch .LBB91_224
.LBB91_208:
	s_andn2_saveexec_b64 s[4:5], s[42:43]
	s_cbranch_execz .LBB91_225
.LBB91_209:
	v_sub_u32_e32 v41, v5, v6
	v_lshlrev_b32_e32 v41, 2, v41
	ds_write_b32 v41, v24
	v_sub_u32_e32 v24, v39, v6
	v_lshlrev_b32_e32 v24, 2, v24
	ds_write_b32 v24, v25
	v_sub_u32_e32 v24, v38, v6
	v_lshlrev_b32_e32 v24, 2, v24
	ds_write_b32 v24, v22
	v_sub_u32_e32 v22, v37, v6
	v_lshlrev_b32_e32 v22, 2, v22
	ds_write_b32 v22, v23
	v_sub_u32_e32 v22, v36, v6
	v_lshlrev_b32_e32 v22, 2, v22
	ds_write_b32 v22, v20
	v_sub_u32_e32 v20, v35, v6
	v_lshlrev_b32_e32 v20, 2, v20
	ds_write_b32 v20, v21
	v_sub_u32_e32 v20, v34, v6
	v_lshlrev_b32_e32 v20, 2, v20
	ds_write_b32 v20, v18
	v_sub_u32_e32 v18, v33, v6
	v_lshlrev_b32_e32 v18, 2, v18
	ds_write_b32 v18, v19
	v_sub_u32_e32 v18, v32, v6
	v_lshlrev_b32_e32 v18, 2, v18
	ds_write_b32 v18, v16
	v_sub_u32_e32 v16, v31, v6
	v_lshlrev_b32_e32 v16, 2, v16
	ds_write_b32 v16, v17
	v_sub_u32_e32 v16, v30, v6
	v_lshlrev_b32_e32 v16, 2, v16
	ds_write_b32 v16, v14
	v_sub_u32_e32 v14, v29, v6
	v_lshlrev_b32_e32 v14, 2, v14
	ds_write_b32 v14, v15
	v_sub_u32_e32 v14, v28, v6
	v_lshlrev_b32_e32 v14, 2, v14
	ds_write_b32 v14, v12
	v_sub_u32_e32 v12, v4, v6
	v_lshlrev_b32_e32 v12, 2, v12
	s_or_b64 s[44:45], s[44:45], exec
	ds_write_b32 v12, v13
	s_or_b64 exec, exec, s[4:5]
	s_and_b64 exec, exec, s[44:45]
	s_cbranch_execnz .LBB91_226
	s_branch .LBB91_227
.LBB91_210:
	s_or_b64 exec, exec, s[44:45]
	s_and_saveexec_b64 s[34:35], s[30:31]
	s_cbranch_execz .LBB91_196
.LBB91_211:
	v_sub_u32_e32 v24, v39, v6
	v_lshlrev_b32_e32 v24, 2, v24
	ds_write_b32 v24, v25
	s_or_b64 exec, exec, s[34:35]
	s_and_saveexec_b64 s[30:31], s[28:29]
	s_cbranch_execnz .LBB91_197
.LBB91_212:
	s_or_b64 exec, exec, s[30:31]
	s_and_saveexec_b64 s[28:29], s[26:27]
	s_cbranch_execz .LBB91_198
.LBB91_213:
	v_sub_u32_e32 v22, v37, v6
	v_lshlrev_b32_e32 v22, 2, v22
	ds_write_b32 v22, v23
	s_or_b64 exec, exec, s[28:29]
	s_and_saveexec_b64 s[26:27], s[24:25]
	s_cbranch_execnz .LBB91_199
.LBB91_214:
	s_or_b64 exec, exec, s[26:27]
	s_and_saveexec_b64 s[24:25], s[22:23]
	s_cbranch_execz .LBB91_200
.LBB91_215:
	v_sub_u32_e32 v20, v35, v6
	v_lshlrev_b32_e32 v20, 2, v20
	ds_write_b32 v20, v21
	s_or_b64 exec, exec, s[24:25]
	s_and_saveexec_b64 s[22:23], s[20:21]
	s_cbranch_execnz .LBB91_201
.LBB91_216:
	s_or_b64 exec, exec, s[22:23]
	s_and_saveexec_b64 s[20:21], s[18:19]
	s_cbranch_execz .LBB91_202
.LBB91_217:
	v_sub_u32_e32 v18, v33, v6
	v_lshlrev_b32_e32 v18, 2, v18
	ds_write_b32 v18, v19
	s_or_b64 exec, exec, s[20:21]
	s_and_saveexec_b64 s[18:19], s[16:17]
	s_cbranch_execnz .LBB91_203
.LBB91_218:
	s_or_b64 exec, exec, s[18:19]
	s_and_saveexec_b64 s[16:17], s[14:15]
	s_cbranch_execz .LBB91_204
.LBB91_219:
	v_sub_u32_e32 v16, v31, v6
	v_lshlrev_b32_e32 v16, 2, v16
	ds_write_b32 v16, v17
	s_or_b64 exec, exec, s[16:17]
	s_and_saveexec_b64 s[14:15], s[12:13]
	s_cbranch_execnz .LBB91_205
.LBB91_220:
	s_or_b64 exec, exec, s[14:15]
	s_and_saveexec_b64 s[12:13], s[10:11]
	s_cbranch_execz .LBB91_206
.LBB91_221:
	v_sub_u32_e32 v14, v29, v6
	v_lshlrev_b32_e32 v14, 2, v14
	ds_write_b32 v14, v15
	s_or_b64 exec, exec, s[12:13]
	s_and_saveexec_b64 s[10:11], s[8:9]
	s_cbranch_execnz .LBB91_207
.LBB91_222:
	s_or_b64 exec, exec, s[10:11]
	s_and_saveexec_b64 s[8:9], s[6:7]
	s_cbranch_execz .LBB91_224
.LBB91_223:
	v_sub_u32_e32 v12, v4, v6
	v_lshlrev_b32_e32 v12, 2, v12
	ds_write_b32 v12, v13
.LBB91_224:
	s_or_b64 exec, exec, s[8:9]
	s_and_b64 s[44:45], s[4:5], exec
                                        ; implicit-def: $vgpr12
                                        ; implicit-def: $vgpr14
                                        ; implicit-def: $vgpr16
                                        ; implicit-def: $vgpr18
                                        ; implicit-def: $vgpr20
                                        ; implicit-def: $vgpr22
                                        ; implicit-def: $vgpr24
	s_andn2_saveexec_b64 s[4:5], s[42:43]
	s_cbranch_execnz .LBB91_209
.LBB91_225:
	s_or_b64 exec, exec, s[4:5]
	s_and_b64 exec, exec, s[44:45]
	s_cbranch_execz .LBB91_227
.LBB91_226:
	v_sub_u32_e32 v12, v3, v6
	v_lshlrev_b32_e32 v12, 2, v12
	ds_write_b32 v12, v1
.LBB91_227:
	s_or_b64 exec, exec, s[36:37]
	v_cmp_lt_u32_e32 vcc, v0, v2
	s_waitcnt lgkmcnt(0)
	s_barrier
	s_and_saveexec_b64 s[6:7], vcc
	s_cbranch_execz .LBB91_242
; %bb.228:
	v_xad_u32 v1, v0, -1, v2
	s_movk_i32 s4, 0x1700
	v_cmp_gt_u32_e64 s[8:9], s4, v1
	s_movk_i32 s4, 0x16ff
	v_cmp_lt_u32_e32 vcc, s4, v1
	v_mov_b32_e32 v12, v0
	s_and_saveexec_b64 s[10:11], vcc
	s_cbranch_execz .LBB91_239
; %bb.229:
	v_sub_u32_e32 v12, v0, v2
	v_or_b32_e32 v12, 0xff, v12
	v_cmp_ge_u32_e32 vcc, v12, v0
	s_mov_b64 s[4:5], -1
	v_mov_b32_e32 v12, v0
	s_and_saveexec_b64 s[12:13], vcc
	s_cbranch_execz .LBB91_238
; %bb.230:
	v_lshrrev_b32_e32 v16, 8, v1
	v_add_u32_e32 v12, -1, v16
	v_or_b32_e32 v1, 0x100, v0
	v_lshrrev_b32_e32 v13, 1, v12
	v_add_u32_e32 v17, 1, v13
	v_cmp_lt_u32_e32 vcc, 13, v12
	v_mov_b32_e32 v20, 0
	v_pk_mov_b32 v[12:13], v[0:1], v[0:1] op_sel:[0,1]
	s_and_saveexec_b64 s[14:15], vcc
	s_cbranch_execz .LBB91_234
; %bb.231:
	v_and_b32_e32 v18, -8, v17
	v_lshlrev_b32_e32 v19, 2, v0
	s_mov_b32 s18, 0
	s_mov_b64 s[16:17], 0
	v_mov_b32_e32 v15, 0
	v_pk_mov_b32 v[12:13], v[0:1], v[0:1] op_sel:[0,1]
.LBB91_232:                             ; =>This Inner Loop Header: Depth=1
	v_mov_b32_e32 v14, v12
	v_add_u32_e32 v18, -8, v18
	v_lshlrev_b64 v[98:99], 2, v[14:15]
	v_mov_b32_e32 v14, v13
	ds_read2st64_b32 v[22:23], v19 offset1:4
	s_add_i32 s18, s18, 16
	v_cmp_eq_u32_e32 vcc, 0, v18
	v_lshlrev_b64 v[102:103], 2, v[14:15]
	v_add_u32_e32 v14, 0x200, v12
	s_or_b64 s[16:17], vcc, s[16:17]
	v_add_co_u32_e32 v102, vcc, v7, v102
	v_add_u32_e32 v20, 0x200, v13
	v_mov_b32_e32 v21, v15
	ds_read2st64_b32 v[24:25], v19 offset0:8 offset1:12
	ds_read2st64_b32 v[76:77], v19 offset0:16 offset1:20
	v_add_co_u32_e64 v98, s[4:5], v7, v98
	v_addc_co_u32_e32 v103, vcc, v40, v103, vcc
	v_lshlrev_b64 v[104:105], 2, v[14:15]
	v_lshlrev_b64 v[100:101], 2, v[20:21]
	v_addc_co_u32_e64 v99, s[4:5], v40, v99, s[4:5]
	v_add_u32_e32 v14, 0x400, v12
	v_add_co_u32_e32 v104, vcc, v7, v104
	v_add_u32_e32 v74, 0x400, v13
	v_mov_b32_e32 v75, v15
	ds_read2st64_b32 v[80:81], v19 offset0:24 offset1:28
	v_add_co_u32_e64 v100, s[4:5], v7, v100
	v_addc_co_u32_e32 v105, vcc, v40, v105, vcc
	v_lshlrev_b64 v[106:107], 2, v[14:15]
	ds_read2st64_b32 v[84:85], v19 offset0:32 offset1:36
	ds_read2st64_b32 v[88:89], v19 offset0:40 offset1:44
	;; [unrolled: 1-line block ×4, first 2 shown]
	v_lshlrev_b64 v[74:75], 2, v[74:75]
	v_addc_co_u32_e64 v101, s[4:5], v40, v101, s[4:5]
	v_add_u32_e32 v14, 0x600, v12
	s_waitcnt lgkmcnt(7)
	global_store_dword v[98:99], v22, off
	global_store_dword v[102:103], v23, off
	s_waitcnt lgkmcnt(6)
	global_store_dword v[104:105], v24, off
	global_store_dword v[100:101], v25, off
	v_add_co_u32_e32 v22, vcc, v7, v106
	v_add_u32_e32 v78, 0x600, v13
	v_mov_b32_e32 v79, v15
	v_add_co_u32_e64 v74, s[4:5], v7, v74
	v_addc_co_u32_e32 v23, vcc, v40, v107, vcc
	v_lshlrev_b64 v[24:25], 2, v[14:15]
	v_lshlrev_b64 v[78:79], 2, v[78:79]
	v_addc_co_u32_e64 v75, s[4:5], v40, v75, s[4:5]
	v_add_u32_e32 v14, 0x800, v12
	s_waitcnt lgkmcnt(5)
	global_store_dword v[22:23], v76, off
	global_store_dword v[74:75], v77, off
	v_add_co_u32_e32 v22, vcc, v7, v24
	v_add_u32_e32 v82, 0x800, v13
	v_mov_b32_e32 v83, v15
	v_add_co_u32_e64 v78, s[4:5], v7, v78
	v_addc_co_u32_e32 v23, vcc, v40, v25, vcc
	v_lshlrev_b64 v[24:25], 2, v[14:15]
	v_lshlrev_b64 v[82:83], 2, v[82:83]
	v_addc_co_u32_e64 v79, s[4:5], v40, v79, s[4:5]
	v_add_u32_e32 v14, 0xa00, v12
	;; [unrolled: 12-line block ×4, first 2 shown]
	s_waitcnt lgkmcnt(2)
	global_store_dword v[22:23], v88, off
	global_store_dword v[86:87], v89, off
	v_add_co_u32_e32 v22, vcc, v7, v24
	v_add_u32_e32 v94, 0xe00, v13
	v_mov_b32_e32 v95, v15
	v_add_co_u32_e64 v90, s[4:5], v7, v90
	v_addc_co_u32_e32 v23, vcc, v40, v25, vcc
	v_lshlrev_b64 v[24:25], 2, v[14:15]
	v_lshlrev_b64 v[94:95], 2, v[94:95]
	v_addc_co_u32_e64 v91, s[4:5], v40, v91, s[4:5]
	s_waitcnt lgkmcnt(1)
	global_store_dword v[22:23], v92, off
	global_store_dword v[90:91], v93, off
	v_add_co_u32_e32 v22, vcc, v7, v24
	v_add_u32_e32 v19, 0x4000, v19
	v_add_u32_e32 v13, 0x1000, v13
	v_mov_b32_e32 v20, s18
	v_add_co_u32_e64 v94, s[4:5], v7, v94
	v_add_u32_e32 v12, 0x1000, v12
	v_addc_co_u32_e32 v23, vcc, v40, v25, vcc
	v_addc_co_u32_e64 v95, s[4:5], v40, v95, s[4:5]
	s_waitcnt lgkmcnt(0)
	global_store_dword v[22:23], v96, off
	global_store_dword v[94:95], v97, off
	s_andn2_b64 exec, exec, s[16:17]
	s_cbranch_execnz .LBB91_232
; %bb.233:
	s_or_b64 exec, exec, s[16:17]
.LBB91_234:
	s_or_b64 exec, exec, s[14:15]
	v_and_b32_e32 v1, 7, v17
	v_cmp_ne_u32_e32 vcc, 0, v1
	s_and_saveexec_b64 s[14:15], vcc
	s_cbranch_execz .LBB91_237
; %bb.235:
	v_lshlrev_b32_e32 v14, 2, v0
	v_lshl_or_b32 v17, v20, 10, v14
	s_mov_b64 s[16:17], 0
	v_mov_b32_e32 v15, 0
.LBB91_236:                             ; =>This Inner Loop Header: Depth=1
	ds_read2st64_b32 v[18:19], v17 offset1:4
	v_mov_b32_e32 v14, v12
	v_add_u32_e32 v1, -1, v1
	v_lshlrev_b64 v[20:21], 2, v[14:15]
	v_mov_b32_e32 v14, v13
	v_cmp_eq_u32_e32 vcc, 0, v1
	v_add_co_u32_e64 v20, s[4:5], v7, v20
	v_lshlrev_b64 v[22:23], 2, v[14:15]
	v_add_u32_e32 v12, 0x200, v12
	v_add_u32_e32 v17, 0x800, v17
	;; [unrolled: 1-line block ×3, first 2 shown]
	v_addc_co_u32_e64 v21, s[4:5], v40, v21, s[4:5]
	s_or_b64 s[16:17], vcc, s[16:17]
	v_add_co_u32_e32 v22, vcc, v7, v22
	v_addc_co_u32_e32 v23, vcc, v40, v23, vcc
	s_waitcnt lgkmcnt(0)
	global_store_dword v[20:21], v18, off
	global_store_dword v[22:23], v19, off
	s_andn2_b64 exec, exec, s[16:17]
	s_cbranch_execnz .LBB91_236
.LBB91_237:
	s_or_b64 exec, exec, s[14:15]
	v_add_u32_e32 v1, 1, v16
	v_and_b32_e32 v13, 0x1fffffe, v1
	v_cmp_ne_u32_e32 vcc, v1, v13
	v_lshl_or_b32 v12, v13, 8, v0
	s_orn2_b64 s[4:5], vcc, exec
.LBB91_238:
	s_or_b64 exec, exec, s[12:13]
	s_andn2_b64 s[8:9], s[8:9], exec
	s_and_b64 s[4:5], s[4:5], exec
	s_or_b64 s[8:9], s[8:9], s[4:5]
.LBB91_239:
	s_or_b64 exec, exec, s[10:11]
	s_and_b64 exec, exec, s[8:9]
	s_cbranch_execz .LBB91_242
; %bb.240:
	v_lshlrev_b32_e32 v1, 2, v12
	s_mov_b64 s[4:5], 0
	v_mov_b32_e32 v13, 0
.LBB91_241:                             ; =>This Inner Loop Header: Depth=1
	v_lshlrev_b64 v[14:15], 2, v[12:13]
	ds_read_b32 v16, v1
	v_add_co_u32_e32 v14, vcc, v7, v14
	v_add_u32_e32 v12, 0x100, v12
	v_addc_co_u32_e32 v15, vcc, v40, v15, vcc
	v_cmp_ge_u32_e32 vcc, v12, v2
	v_add_u32_e32 v1, 0x400, v1
	s_or_b64 s[4:5], vcc, s[4:5]
	s_waitcnt lgkmcnt(0)
	global_store_dword v[14:15], v16, off
	s_andn2_b64 exec, exec, s[4:5]
	s_cbranch_execnz .LBB91_241
.LBB91_242:
	s_or_b64 exec, exec, s[6:7]
.LBB91_243:
	s_cmpk_lg_i32 s33, 0xf00
	s_cselect_b64 s[4:5], -1, 0
	s_and_b64 s[4:5], s[38:39], s[4:5]
	v_cmp_eq_u32_e32 vcc, 0, v0
	v_cndmask_b32_e64 v16, 0, 1, s[4:5]
	s_and_b64 s[4:5], vcc, s[40:41]
	v_cndmask_b32_e64 v12, v58, 0, s[4:5]
	s_mul_hi_u32 s4, s33, 0x88888889
	s_lshr_b32 s4, s4, 3
	v_mad_i32_i24 v13, v0, -15, s33
	v_cmp_eq_u32_e32 vcc, s4, v0
	v_cmp_ne_u32_e64 s[4:5], 0, v13
	v_cndmask_b32_e64 v14, 1, v12, s[4:5]
	v_cmp_ne_u32_e64 s[4:5], 1, v13
	v_cndmask_b32_e64 v15, 1, v57, s[4:5]
	;; [unrolled: 2-line block ×15, first 2 shown]
	s_and_b64 vcc, s[38:39], vcc
	v_cndmask_b32_e32 v44, v44, v13, vcc
	v_cndmask_b32_e32 v45, v45, v58, vcc
	;; [unrolled: 1-line block ×15, first 2 shown]
	v_mov_b32_e32 v12, s53
	v_add_co_u32_e32 v10, vcc, s52, v10
	v_addc_co_u32_e32 v11, vcc, v12, v11, vcc
	v_cndmask_b32_e64 v1, 0, 1, s[40:41]
	v_add_co_u32_e32 v12, vcc, v10, v26
	v_addc_co_u32_e32 v13, vcc, v11, v27, vcc
	v_lshlrev_b32_e32 v10, 2, v1
	v_add_co_u32_e32 v10, vcc, v10, v12
	v_addc_co_u32_e32 v11, vcc, 0, v13, vcc
	v_add_co_u32_e32 v14, vcc, -4, v10
	v_addc_co_u32_e32 v15, vcc, -1, v11, vcc
	v_cmp_eq_u32_e32 vcc, 0, v47
	v_cndmask_b32_e64 v11, 1, 2, vcc
	v_cmp_eq_u32_e32 vcc, 0, v46
	v_cndmask_b32_e64 v26, 1, 2, vcc
	v_cmp_eq_u32_e32 vcc, 0, v17
	v_and_b32_e32 v11, v26, v11
	v_cmp_ne_u32_e64 s[28:29], 0, v17
	v_cndmask_b32_e64 v17, 1, 2, vcc
	v_cmp_eq_u32_e32 vcc, 0, v18
	v_and_b32_e32 v11, v11, v17
	v_cndmask_b32_e64 v17, 1, 2, vcc
	v_cmp_eq_u32_e32 vcc, 0, v19
	v_and_b32_e32 v11, v11, v17
	;; [unrolled: 3-line block ×9, first 2 shown]
	v_cndmask_b32_e64 v17, 1, 2, vcc
	v_cmp_eq_u32_e32 vcc, 0, v41
	v_sub_u32_e32 v7, v2, v1
	v_and_b32_e32 v11, v11, v17
	v_cndmask_b32_e64 v17, 1, 2, vcc
	v_cmp_eq_u32_e32 vcc, 0, v45
	v_add_u32_e32 v7, v7, v16
	v_and_b32_e32 v11, v11, v17
	v_cndmask_b32_e64 v17, 1, 2, vcc
	v_cmp_eq_u32_e32 vcc, 0, v44
	s_movk_i32 s36, 0x100
	v_and_b32_e32 v11, v11, v17
	v_cndmask_b32_e64 v17, 1, 2, vcc
	v_cmp_gt_u32_e32 vcc, s36, v7
	v_add_u32_e32 v10, v6, v1
	v_cmp_ne_u32_e64 s[34:35], 0, v47
	v_cmp_ne_u32_e64 s[30:31], 0, v46
	;; [unrolled: 1-line block ×14, first 2 shown]
	v_and_b32_e32 v11, v11, v17
	s_mov_b64 s[36:37], -1
	s_barrier
	s_cbranch_vccz .LBB91_280
; %bb.244:
	v_cmp_gt_i16_e32 vcc, 2, v11
	s_and_saveexec_b64 s[36:37], vcc
	s_cbranch_execz .LBB91_279
; %bb.245:
	v_cmp_ne_u16_e32 vcc, 1, v11
	s_mov_b64 s[42:43], 0
	s_and_saveexec_b64 s[40:41], vcc
	s_xor_b64 s[40:41], exec, s[40:41]
	s_cbranch_execz .LBB91_260
; %bb.246:
	s_and_saveexec_b64 s[42:43], s[34:35]
	s_cbranch_execz .LBB91_262
; %bb.247:
	v_sub_u32_e32 v18, v5, v10
	v_mov_b32_e32 v19, 0
	v_lshlrev_b64 v[18:19], 2, v[18:19]
	v_add_co_u32_e32 v18, vcc, v14, v18
	v_addc_co_u32_e32 v19, vcc, v15, v19, vcc
	global_store_dword v[18:19], v73, off
	s_or_b64 exec, exec, s[42:43]
	s_and_saveexec_b64 s[42:43], s[30:31]
	s_cbranch_execnz .LBB91_263
.LBB91_248:
	s_or_b64 exec, exec, s[42:43]
	s_and_saveexec_b64 s[42:43], s[28:29]
	s_cbranch_execz .LBB91_264
.LBB91_249:
	v_sub_u32_e32 v18, v38, v10
	v_mov_b32_e32 v19, 0
	v_lshlrev_b64 v[18:19], 2, v[18:19]
	v_add_co_u32_e32 v18, vcc, v14, v18
	v_addc_co_u32_e32 v19, vcc, v15, v19, vcc
	global_store_dword v[18:19], v71, off
	s_or_b64 exec, exec, s[42:43]
	s_and_saveexec_b64 s[42:43], s[26:27]
	s_cbranch_execnz .LBB91_265
.LBB91_250:
	s_or_b64 exec, exec, s[42:43]
	s_and_saveexec_b64 s[42:43], s[24:25]
	s_cbranch_execz .LBB91_266
.LBB91_251:
	v_sub_u32_e32 v18, v36, v10
	v_mov_b32_e32 v19, 0
	v_lshlrev_b64 v[18:19], 2, v[18:19]
	v_add_co_u32_e32 v18, vcc, v14, v18
	v_addc_co_u32_e32 v19, vcc, v15, v19, vcc
	global_store_dword v[18:19], v69, off
	s_or_b64 exec, exec, s[42:43]
	s_and_saveexec_b64 s[42:43], s[22:23]
	s_cbranch_execnz .LBB91_267
.LBB91_252:
	s_or_b64 exec, exec, s[42:43]
	s_and_saveexec_b64 s[42:43], s[20:21]
	s_cbranch_execz .LBB91_268
.LBB91_253:
	v_sub_u32_e32 v18, v34, v10
	v_mov_b32_e32 v19, 0
	v_lshlrev_b64 v[18:19], 2, v[18:19]
	v_add_co_u32_e32 v18, vcc, v14, v18
	v_addc_co_u32_e32 v19, vcc, v15, v19, vcc
	global_store_dword v[18:19], v67, off
	s_or_b64 exec, exec, s[42:43]
	s_and_saveexec_b64 s[42:43], s[18:19]
	s_cbranch_execnz .LBB91_269
.LBB91_254:
	s_or_b64 exec, exec, s[42:43]
	s_and_saveexec_b64 s[42:43], s[16:17]
	s_cbranch_execz .LBB91_270
.LBB91_255:
	v_sub_u32_e32 v18, v32, v10
	v_mov_b32_e32 v19, 0
	v_lshlrev_b64 v[18:19], 2, v[18:19]
	v_add_co_u32_e32 v18, vcc, v14, v18
	v_addc_co_u32_e32 v19, vcc, v15, v19, vcc
	global_store_dword v[18:19], v65, off
	s_or_b64 exec, exec, s[42:43]
	s_and_saveexec_b64 s[42:43], s[14:15]
	s_cbranch_execnz .LBB91_271
.LBB91_256:
	s_or_b64 exec, exec, s[42:43]
	s_and_saveexec_b64 s[42:43], s[12:13]
	s_cbranch_execz .LBB91_272
.LBB91_257:
	v_sub_u32_e32 v18, v30, v10
	v_mov_b32_e32 v19, 0
	v_lshlrev_b64 v[18:19], 2, v[18:19]
	v_add_co_u32_e32 v18, vcc, v14, v18
	v_addc_co_u32_e32 v19, vcc, v15, v19, vcc
	global_store_dword v[18:19], v63, off
	s_or_b64 exec, exec, s[42:43]
	s_and_saveexec_b64 s[42:43], s[10:11]
	s_cbranch_execnz .LBB91_273
.LBB91_258:
	s_or_b64 exec, exec, s[42:43]
	s_and_saveexec_b64 s[42:43], s[8:9]
	s_cbranch_execz .LBB91_274
.LBB91_259:
	v_sub_u32_e32 v18, v28, v10
	v_mov_b32_e32 v19, 0
	v_lshlrev_b64 v[18:19], 2, v[18:19]
	v_add_co_u32_e32 v18, vcc, v14, v18
	v_addc_co_u32_e32 v19, vcc, v15, v19, vcc
	global_store_dword v[18:19], v60, off
	s_or_b64 exec, exec, s[42:43]
	s_and_saveexec_b64 s[42:43], s[6:7]
	s_cbranch_execnz .LBB91_275
	s_branch .LBB91_276
.LBB91_260:
	s_andn2_saveexec_b64 s[40:41], s[40:41]
	s_cbranch_execz .LBB91_277
.LBB91_261:
	v_sub_u32_e32 v18, v5, v10
	v_mov_b32_e32 v19, 0
	v_lshlrev_b64 v[20:21], 2, v[18:19]
	v_add_co_u32_e32 v20, vcc, v14, v20
	v_addc_co_u32_e32 v21, vcc, v15, v21, vcc
	v_sub_u32_e32 v18, v39, v10
	global_store_dword v[20:21], v73, off
	v_lshlrev_b64 v[20:21], 2, v[18:19]
	v_add_co_u32_e32 v20, vcc, v14, v20
	v_addc_co_u32_e32 v21, vcc, v15, v21, vcc
	v_sub_u32_e32 v18, v38, v10
	global_store_dword v[20:21], v72, off
	;; [unrolled: 5-line block ×12, first 2 shown]
	v_lshlrev_b64 v[20:21], 2, v[18:19]
	v_add_co_u32_e32 v20, vcc, v14, v20
	v_sub_u32_e32 v18, v4, v10
	v_addc_co_u32_e32 v21, vcc, v15, v21, vcc
	v_lshlrev_b64 v[18:19], 2, v[18:19]
	v_add_co_u32_e32 v18, vcc, v14, v18
	v_addc_co_u32_e32 v19, vcc, v15, v19, vcc
	s_or_b64 s[42:43], s[42:43], exec
	global_store_dword v[20:21], v60, off
	global_store_dword v[18:19], v43, off
	s_or_b64 exec, exec, s[40:41]
	s_and_b64 exec, exec, s[42:43]
	s_cbranch_execnz .LBB91_278
	s_branch .LBB91_279
.LBB91_262:
	s_or_b64 exec, exec, s[42:43]
	s_and_saveexec_b64 s[42:43], s[30:31]
	s_cbranch_execz .LBB91_248
.LBB91_263:
	v_sub_u32_e32 v18, v39, v10
	v_mov_b32_e32 v19, 0
	v_lshlrev_b64 v[18:19], 2, v[18:19]
	v_add_co_u32_e32 v18, vcc, v14, v18
	v_addc_co_u32_e32 v19, vcc, v15, v19, vcc
	global_store_dword v[18:19], v72, off
	s_or_b64 exec, exec, s[42:43]
	s_and_saveexec_b64 s[42:43], s[28:29]
	s_cbranch_execnz .LBB91_249
.LBB91_264:
	s_or_b64 exec, exec, s[42:43]
	s_and_saveexec_b64 s[42:43], s[26:27]
	s_cbranch_execz .LBB91_250
.LBB91_265:
	v_sub_u32_e32 v18, v37, v10
	v_mov_b32_e32 v19, 0
	v_lshlrev_b64 v[18:19], 2, v[18:19]
	v_add_co_u32_e32 v18, vcc, v14, v18
	v_addc_co_u32_e32 v19, vcc, v15, v19, vcc
	global_store_dword v[18:19], v70, off
	s_or_b64 exec, exec, s[42:43]
	s_and_saveexec_b64 s[42:43], s[24:25]
	s_cbranch_execnz .LBB91_251
.LBB91_266:
	s_or_b64 exec, exec, s[42:43]
	s_and_saveexec_b64 s[42:43], s[22:23]
	s_cbranch_execz .LBB91_252
.LBB91_267:
	v_sub_u32_e32 v18, v35, v10
	v_mov_b32_e32 v19, 0
	v_lshlrev_b64 v[18:19], 2, v[18:19]
	v_add_co_u32_e32 v18, vcc, v14, v18
	v_addc_co_u32_e32 v19, vcc, v15, v19, vcc
	global_store_dword v[18:19], v68, off
	s_or_b64 exec, exec, s[42:43]
	s_and_saveexec_b64 s[42:43], s[20:21]
	s_cbranch_execnz .LBB91_253
.LBB91_268:
	s_or_b64 exec, exec, s[42:43]
	s_and_saveexec_b64 s[42:43], s[18:19]
	s_cbranch_execz .LBB91_254
.LBB91_269:
	v_sub_u32_e32 v18, v33, v10
	v_mov_b32_e32 v19, 0
	v_lshlrev_b64 v[18:19], 2, v[18:19]
	v_add_co_u32_e32 v18, vcc, v14, v18
	v_addc_co_u32_e32 v19, vcc, v15, v19, vcc
	global_store_dword v[18:19], v66, off
	s_or_b64 exec, exec, s[42:43]
	s_and_saveexec_b64 s[42:43], s[16:17]
	s_cbranch_execnz .LBB91_255
.LBB91_270:
	s_or_b64 exec, exec, s[42:43]
	s_and_saveexec_b64 s[42:43], s[14:15]
	s_cbranch_execz .LBB91_256
.LBB91_271:
	v_sub_u32_e32 v18, v31, v10
	v_mov_b32_e32 v19, 0
	v_lshlrev_b64 v[18:19], 2, v[18:19]
	v_add_co_u32_e32 v18, vcc, v14, v18
	v_addc_co_u32_e32 v19, vcc, v15, v19, vcc
	global_store_dword v[18:19], v64, off
	s_or_b64 exec, exec, s[42:43]
	s_and_saveexec_b64 s[42:43], s[12:13]
	s_cbranch_execnz .LBB91_257
.LBB91_272:
	s_or_b64 exec, exec, s[42:43]
	s_and_saveexec_b64 s[42:43], s[10:11]
	s_cbranch_execz .LBB91_258
.LBB91_273:
	v_sub_u32_e32 v18, v29, v10
	v_mov_b32_e32 v19, 0
	v_lshlrev_b64 v[18:19], 2, v[18:19]
	v_add_co_u32_e32 v18, vcc, v14, v18
	v_addc_co_u32_e32 v19, vcc, v15, v19, vcc
	global_store_dword v[18:19], v61, off
	s_or_b64 exec, exec, s[42:43]
	s_and_saveexec_b64 s[42:43], s[8:9]
	s_cbranch_execnz .LBB91_259
.LBB91_274:
	s_or_b64 exec, exec, s[42:43]
	s_and_saveexec_b64 s[42:43], s[6:7]
	s_cbranch_execz .LBB91_276
.LBB91_275:
	v_sub_u32_e32 v18, v4, v10
	v_mov_b32_e32 v19, 0
	v_lshlrev_b64 v[18:19], 2, v[18:19]
	v_add_co_u32_e32 v18, vcc, v14, v18
	v_addc_co_u32_e32 v19, vcc, v15, v19, vcc
	global_store_dword v[18:19], v43, off
.LBB91_276:
	s_or_b64 exec, exec, s[42:43]
	s_and_b64 s[42:43], s[4:5], exec
	s_andn2_saveexec_b64 s[40:41], s[40:41]
	s_cbranch_execnz .LBB91_261
.LBB91_277:
	s_or_b64 exec, exec, s[40:41]
	s_and_b64 exec, exec, s[42:43]
	s_cbranch_execz .LBB91_279
.LBB91_278:
	v_sub_u32_e32 v18, v3, v10
	v_mov_b32_e32 v19, 0
	v_lshlrev_b64 v[18:19], 2, v[18:19]
	v_add_co_u32_e32 v18, vcc, v14, v18
	v_addc_co_u32_e32 v19, vcc, v15, v19, vcc
	global_store_dword v[18:19], v62, off
.LBB91_279:
	s_or_b64 exec, exec, s[36:37]
	s_mov_b64 s[36:37], 0
.LBB91_280:
	s_and_b64 vcc, exec, s[36:37]
	s_cbranch_vccz .LBB91_332
; %bb.281:
	v_cmp_gt_i16_e32 vcc, 2, v11
	s_and_saveexec_b64 s[36:37], vcc
	s_cbranch_execz .LBB91_316
; %bb.282:
	v_cmp_ne_u16_e32 vcc, 1, v11
	s_mov_b64 s[42:43], 0
	s_and_saveexec_b64 s[40:41], vcc
	s_xor_b64 s[40:41], exec, s[40:41]
	s_cbranch_execz .LBB91_297
; %bb.283:
	s_and_saveexec_b64 s[42:43], s[34:35]
	s_cbranch_execz .LBB91_299
; %bb.284:
	v_sub_u32_e32 v5, v5, v10
	v_lshlrev_b32_e32 v5, 2, v5
	ds_write_b32 v5, v73
	s_or_b64 exec, exec, s[42:43]
	s_and_saveexec_b64 s[34:35], s[30:31]
	s_cbranch_execnz .LBB91_300
.LBB91_285:
	s_or_b64 exec, exec, s[34:35]
	s_and_saveexec_b64 s[30:31], s[28:29]
	s_cbranch_execz .LBB91_301
.LBB91_286:
	v_sub_u32_e32 v5, v38, v10
	v_lshlrev_b32_e32 v5, 2, v5
	ds_write_b32 v5, v71
	s_or_b64 exec, exec, s[30:31]
	s_and_saveexec_b64 s[28:29], s[26:27]
	s_cbranch_execnz .LBB91_302
.LBB91_287:
	s_or_b64 exec, exec, s[28:29]
	s_and_saveexec_b64 s[26:27], s[24:25]
	s_cbranch_execz .LBB91_303
.LBB91_288:
	v_sub_u32_e32 v5, v36, v10
	v_lshlrev_b32_e32 v5, 2, v5
	ds_write_b32 v5, v69
	s_or_b64 exec, exec, s[26:27]
	s_and_saveexec_b64 s[24:25], s[22:23]
	s_cbranch_execnz .LBB91_304
.LBB91_289:
	s_or_b64 exec, exec, s[24:25]
	s_and_saveexec_b64 s[22:23], s[20:21]
	s_cbranch_execz .LBB91_305
.LBB91_290:
	v_sub_u32_e32 v5, v34, v10
	v_lshlrev_b32_e32 v5, 2, v5
	ds_write_b32 v5, v67
	s_or_b64 exec, exec, s[22:23]
	s_and_saveexec_b64 s[20:21], s[18:19]
	s_cbranch_execnz .LBB91_306
.LBB91_291:
	s_or_b64 exec, exec, s[20:21]
	s_and_saveexec_b64 s[18:19], s[16:17]
	s_cbranch_execz .LBB91_307
.LBB91_292:
	v_sub_u32_e32 v5, v32, v10
	v_lshlrev_b32_e32 v5, 2, v5
	ds_write_b32 v5, v65
	s_or_b64 exec, exec, s[18:19]
	s_and_saveexec_b64 s[16:17], s[14:15]
	s_cbranch_execnz .LBB91_308
.LBB91_293:
	s_or_b64 exec, exec, s[16:17]
	s_and_saveexec_b64 s[14:15], s[12:13]
	s_cbranch_execz .LBB91_309
.LBB91_294:
	v_sub_u32_e32 v5, v30, v10
	v_lshlrev_b32_e32 v5, 2, v5
	ds_write_b32 v5, v63
	s_or_b64 exec, exec, s[14:15]
	s_and_saveexec_b64 s[12:13], s[10:11]
	s_cbranch_execnz .LBB91_310
.LBB91_295:
	s_or_b64 exec, exec, s[12:13]
	s_and_saveexec_b64 s[10:11], s[8:9]
	s_cbranch_execz .LBB91_311
.LBB91_296:
	v_sub_u32_e32 v5, v28, v10
	v_lshlrev_b32_e32 v5, 2, v5
	ds_write_b32 v5, v60
	s_or_b64 exec, exec, s[10:11]
	s_and_saveexec_b64 s[8:9], s[6:7]
	s_cbranch_execnz .LBB91_312
	s_branch .LBB91_313
.LBB91_297:
	s_andn2_saveexec_b64 s[4:5], s[40:41]
	s_cbranch_execz .LBB91_314
.LBB91_298:
	v_sub_u32_e32 v5, v5, v10
	v_lshlrev_b32_e32 v5, 2, v5
	ds_write_b32 v5, v73
	v_sub_u32_e32 v5, v39, v10
	v_lshlrev_b32_e32 v5, 2, v5
	ds_write_b32 v5, v72
	;; [unrolled: 3-line block ×12, first 2 shown]
	v_sub_u32_e32 v5, v28, v10
	v_sub_u32_e32 v4, v4, v10
	v_lshlrev_b32_e32 v5, 2, v5
	v_lshlrev_b32_e32 v4, 2, v4
	s_or_b64 s[42:43], s[42:43], exec
	ds_write_b32 v5, v60
	ds_write_b32 v4, v43
	s_or_b64 exec, exec, s[4:5]
	s_and_b64 exec, exec, s[42:43]
	s_cbranch_execnz .LBB91_315
	s_branch .LBB91_316
.LBB91_299:
	s_or_b64 exec, exec, s[42:43]
	s_and_saveexec_b64 s[34:35], s[30:31]
	s_cbranch_execz .LBB91_285
.LBB91_300:
	v_sub_u32_e32 v5, v39, v10
	v_lshlrev_b32_e32 v5, 2, v5
	ds_write_b32 v5, v72
	s_or_b64 exec, exec, s[34:35]
	s_and_saveexec_b64 s[30:31], s[28:29]
	s_cbranch_execnz .LBB91_286
.LBB91_301:
	s_or_b64 exec, exec, s[30:31]
	s_and_saveexec_b64 s[28:29], s[26:27]
	s_cbranch_execz .LBB91_287
.LBB91_302:
	v_sub_u32_e32 v5, v37, v10
	v_lshlrev_b32_e32 v5, 2, v5
	ds_write_b32 v5, v70
	s_or_b64 exec, exec, s[28:29]
	s_and_saveexec_b64 s[26:27], s[24:25]
	s_cbranch_execnz .LBB91_288
.LBB91_303:
	s_or_b64 exec, exec, s[26:27]
	s_and_saveexec_b64 s[24:25], s[22:23]
	s_cbranch_execz .LBB91_289
.LBB91_304:
	v_sub_u32_e32 v5, v35, v10
	v_lshlrev_b32_e32 v5, 2, v5
	ds_write_b32 v5, v68
	s_or_b64 exec, exec, s[24:25]
	s_and_saveexec_b64 s[22:23], s[20:21]
	s_cbranch_execnz .LBB91_290
.LBB91_305:
	s_or_b64 exec, exec, s[22:23]
	s_and_saveexec_b64 s[20:21], s[18:19]
	s_cbranch_execz .LBB91_291
.LBB91_306:
	v_sub_u32_e32 v5, v33, v10
	v_lshlrev_b32_e32 v5, 2, v5
	ds_write_b32 v5, v66
	s_or_b64 exec, exec, s[20:21]
	s_and_saveexec_b64 s[18:19], s[16:17]
	s_cbranch_execnz .LBB91_292
.LBB91_307:
	s_or_b64 exec, exec, s[18:19]
	s_and_saveexec_b64 s[16:17], s[14:15]
	s_cbranch_execz .LBB91_293
.LBB91_308:
	v_sub_u32_e32 v5, v31, v10
	v_lshlrev_b32_e32 v5, 2, v5
	ds_write_b32 v5, v64
	s_or_b64 exec, exec, s[16:17]
	s_and_saveexec_b64 s[14:15], s[12:13]
	s_cbranch_execnz .LBB91_294
.LBB91_309:
	s_or_b64 exec, exec, s[14:15]
	s_and_saveexec_b64 s[12:13], s[10:11]
	s_cbranch_execz .LBB91_295
.LBB91_310:
	v_sub_u32_e32 v5, v29, v10
	v_lshlrev_b32_e32 v5, 2, v5
	ds_write_b32 v5, v61
	s_or_b64 exec, exec, s[12:13]
	s_and_saveexec_b64 s[10:11], s[8:9]
	s_cbranch_execnz .LBB91_296
.LBB91_311:
	s_or_b64 exec, exec, s[10:11]
	s_and_saveexec_b64 s[8:9], s[6:7]
	s_cbranch_execz .LBB91_313
.LBB91_312:
	v_sub_u32_e32 v4, v4, v10
	v_lshlrev_b32_e32 v4, 2, v4
	ds_write_b32 v4, v43
.LBB91_313:
	s_or_b64 exec, exec, s[8:9]
	s_and_b64 s[42:43], s[4:5], exec
                                        ; implicit-def: $vgpr43
                                        ; implicit-def: $vgpr60
                                        ; implicit-def: $vgpr61
                                        ; implicit-def: $vgpr63
                                        ; implicit-def: $vgpr64
                                        ; implicit-def: $vgpr65
                                        ; implicit-def: $vgpr66
                                        ; implicit-def: $vgpr67
                                        ; implicit-def: $vgpr68
                                        ; implicit-def: $vgpr69
                                        ; implicit-def: $vgpr70
                                        ; implicit-def: $vgpr71
                                        ; implicit-def: $vgpr72
                                        ; implicit-def: $vgpr73
                                        ; implicit-def: $vgpr39
                                        ; implicit-def: $vgpr38
                                        ; implicit-def: $vgpr37
                                        ; implicit-def: $vgpr36
                                        ; implicit-def: $vgpr35
                                        ; implicit-def: $vgpr34
                                        ; implicit-def: $vgpr33
                                        ; implicit-def: $vgpr32
                                        ; implicit-def: $vgpr31
                                        ; implicit-def: $vgpr30
                                        ; implicit-def: $vgpr29
                                        ; implicit-def: $vgpr28
                                        ; implicit-def: $vgpr4
	s_andn2_saveexec_b64 s[4:5], s[40:41]
	s_cbranch_execnz .LBB91_298
.LBB91_314:
	s_or_b64 exec, exec, s[4:5]
	s_and_b64 exec, exec, s[42:43]
	s_cbranch_execz .LBB91_316
.LBB91_315:
	v_sub_u32_e32 v3, v3, v10
	v_lshlrev_b32_e32 v3, 2, v3
	ds_write_b32 v3, v62
.LBB91_316:
	s_or_b64 exec, exec, s[36:37]
	v_cmp_lt_u32_e32 vcc, v0, v7
	s_waitcnt lgkmcnt(0)
	s_barrier
	s_and_saveexec_b64 s[6:7], vcc
	s_cbranch_execz .LBB91_331
; %bb.317:
	v_add_u32_e32 v5, v2, v16
	v_xad_u32 v3, v0, -1, v5
	v_sub_u32_e32 v3, v3, v1
	s_movk_i32 s4, 0x1900
	v_cmp_gt_u32_e64 s[8:9], s4, v3
	s_movk_i32 s4, 0x18ff
	v_cmp_lt_u32_e32 vcc, s4, v3
	v_mov_b32_e32 v4, v0
	s_and_saveexec_b64 s[10:11], vcc
	s_cbranch_execz .LBB91_328
; %bb.318:
	v_sub_u32_e32 v4, v0, v5
	v_add_u32_e32 v1, v4, v1
	v_or_b32_e32 v1, 0xff, v1
	v_cmp_ge_u32_e32 vcc, v1, v0
	s_mov_b64 s[4:5], -1
	v_mov_b32_e32 v4, v0
	s_and_saveexec_b64 s[12:13], vcc
	s_cbranch_execz .LBB91_327
; %bb.319:
	v_lshrrev_b32_e32 v3, 8, v3
	v_add_u32_e32 v4, -1, v3
	v_or_b32_e32 v1, 0x100, v0
	v_lshrrev_b32_e32 v5, 1, v4
	v_add_u32_e32 v17, 1, v5
	v_cmp_lt_u32_e32 vcc, 13, v4
	v_mov_b32_e32 v20, 0
	v_lshlrev_b32_e32 v16, 2, v0
	v_pk_mov_b32 v[4:5], v[0:1], v[0:1] op_sel:[0,1]
	s_and_saveexec_b64 s[14:15], vcc
	s_cbranch_execz .LBB91_323
; %bb.320:
	v_and_b32_e32 v18, -8, v17
	s_mov_b32 s18, 0
	s_mov_b64 s[16:17], 0
	v_mov_b32_e32 v11, 0
	v_mov_b32_e32 v19, v16
	v_pk_mov_b32 v[4:5], v[0:1], v[0:1] op_sel:[0,1]
.LBB91_321:                             ; =>This Inner Loop Header: Depth=1
	v_mov_b32_e32 v10, v4
	v_add_u32_e32 v18, -8, v18
	v_lshlrev_b64 v[52:53], 2, v[10:11]
	v_mov_b32_e32 v10, v5
	ds_read2st64_b32 v[22:23], v19 offset1:4
	s_add_i32 s18, s18, 16
	v_cmp_eq_u32_e32 vcc, 0, v18
	v_lshlrev_b64 v[56:57], 2, v[10:11]
	v_add_u32_e32 v10, 0x200, v4
	s_or_b64 s[16:17], vcc, s[16:17]
	v_add_co_u32_e32 v56, vcc, v14, v56
	v_add_u32_e32 v20, 0x200, v5
	v_mov_b32_e32 v21, v11
	ds_read2st64_b32 v[24:25], v19 offset0:8 offset1:12
	ds_read2st64_b32 v[28:29], v19 offset0:16 offset1:20
	v_add_co_u32_e64 v52, s[4:5], v14, v52
	v_addc_co_u32_e32 v57, vcc, v15, v57, vcc
	v_lshlrev_b64 v[58:59], 2, v[10:11]
	v_lshlrev_b64 v[54:55], 2, v[20:21]
	v_addc_co_u32_e64 v53, s[4:5], v15, v53, s[4:5]
	v_add_u32_e32 v10, 0x400, v4
	v_add_co_u32_e32 v58, vcc, v14, v58
	v_add_u32_e32 v26, 0x400, v5
	v_mov_b32_e32 v27, v11
	ds_read2st64_b32 v[32:33], v19 offset0:24 offset1:28
	v_add_co_u32_e64 v54, s[4:5], v14, v54
	v_addc_co_u32_e32 v59, vcc, v15, v59, vcc
	v_lshlrev_b64 v[60:61], 2, v[10:11]
	ds_read2st64_b32 v[36:37], v19 offset0:32 offset1:36
	ds_read2st64_b32 v[40:41], v19 offset0:40 offset1:44
	;; [unrolled: 1-line block ×4, first 2 shown]
	v_lshlrev_b64 v[26:27], 2, v[26:27]
	v_addc_co_u32_e64 v55, s[4:5], v15, v55, s[4:5]
	v_add_u32_e32 v10, 0x600, v4
	s_waitcnt lgkmcnt(7)
	global_store_dword v[52:53], v22, off
	global_store_dword v[56:57], v23, off
	s_waitcnt lgkmcnt(6)
	global_store_dword v[58:59], v24, off
	global_store_dword v[54:55], v25, off
	v_add_co_u32_e32 v22, vcc, v14, v60
	v_add_u32_e32 v30, 0x600, v5
	v_mov_b32_e32 v31, v11
	v_add_co_u32_e64 v26, s[4:5], v14, v26
	v_addc_co_u32_e32 v23, vcc, v15, v61, vcc
	v_lshlrev_b64 v[24:25], 2, v[10:11]
	v_lshlrev_b64 v[30:31], 2, v[30:31]
	v_addc_co_u32_e64 v27, s[4:5], v15, v27, s[4:5]
	v_add_u32_e32 v10, 0x800, v4
	s_waitcnt lgkmcnt(5)
	global_store_dword v[22:23], v28, off
	global_store_dword v[26:27], v29, off
	v_add_co_u32_e32 v22, vcc, v14, v24
	v_add_u32_e32 v34, 0x800, v5
	v_mov_b32_e32 v35, v11
	v_add_co_u32_e64 v30, s[4:5], v14, v30
	v_addc_co_u32_e32 v23, vcc, v15, v25, vcc
	v_lshlrev_b64 v[24:25], 2, v[10:11]
	v_lshlrev_b64 v[34:35], 2, v[34:35]
	v_addc_co_u32_e64 v31, s[4:5], v15, v31, s[4:5]
	v_add_u32_e32 v10, 0xa00, v4
	;; [unrolled: 12-line block ×4, first 2 shown]
	s_waitcnt lgkmcnt(2)
	global_store_dword v[22:23], v40, off
	global_store_dword v[38:39], v41, off
	v_add_co_u32_e32 v22, vcc, v14, v24
	v_add_u32_e32 v48, 0xe00, v5
	v_mov_b32_e32 v49, v11
	v_add_co_u32_e64 v44, s[4:5], v14, v44
	v_addc_co_u32_e32 v23, vcc, v15, v25, vcc
	v_lshlrev_b64 v[24:25], 2, v[10:11]
	v_lshlrev_b64 v[48:49], 2, v[48:49]
	v_addc_co_u32_e64 v45, s[4:5], v15, v45, s[4:5]
	s_waitcnt lgkmcnt(1)
	global_store_dword v[22:23], v46, off
	global_store_dword v[44:45], v47, off
	v_add_co_u32_e32 v22, vcc, v14, v24
	v_add_u32_e32 v19, 0x4000, v19
	v_add_u32_e32 v5, 0x1000, v5
	v_mov_b32_e32 v20, s18
	v_add_co_u32_e64 v48, s[4:5], v14, v48
	v_add_u32_e32 v4, 0x1000, v4
	v_addc_co_u32_e32 v23, vcc, v15, v25, vcc
	v_addc_co_u32_e64 v49, s[4:5], v15, v49, s[4:5]
	s_waitcnt lgkmcnt(0)
	global_store_dword v[22:23], v50, off
	global_store_dword v[48:49], v51, off
	s_andn2_b64 exec, exec, s[16:17]
	s_cbranch_execnz .LBB91_321
; %bb.322:
	s_or_b64 exec, exec, s[16:17]
.LBB91_323:
	s_or_b64 exec, exec, s[14:15]
	v_and_b32_e32 v1, 7, v17
	v_cmp_ne_u32_e32 vcc, 0, v1
	s_and_saveexec_b64 s[14:15], vcc
	s_cbranch_execz .LBB91_326
; %bb.324:
	v_lshl_or_b32 v16, v20, 10, v16
	s_mov_b64 s[16:17], 0
	v_mov_b32_e32 v11, 0
.LBB91_325:                             ; =>This Inner Loop Header: Depth=1
	ds_read2st64_b32 v[18:19], v16 offset1:4
	v_mov_b32_e32 v10, v4
	v_add_u32_e32 v1, -1, v1
	v_lshlrev_b64 v[20:21], 2, v[10:11]
	v_mov_b32_e32 v10, v5
	v_cmp_eq_u32_e32 vcc, 0, v1
	v_add_co_u32_e64 v20, s[4:5], v14, v20
	v_lshlrev_b64 v[22:23], 2, v[10:11]
	v_add_u32_e32 v4, 0x200, v4
	v_add_u32_e32 v16, 0x800, v16
	;; [unrolled: 1-line block ×3, first 2 shown]
	v_addc_co_u32_e64 v21, s[4:5], v15, v21, s[4:5]
	s_or_b64 s[16:17], vcc, s[16:17]
	v_add_co_u32_e32 v22, vcc, v14, v22
	v_addc_co_u32_e32 v23, vcc, v15, v23, vcc
	s_waitcnt lgkmcnt(0)
	global_store_dword v[20:21], v18, off
	global_store_dword v[22:23], v19, off
	s_andn2_b64 exec, exec, s[16:17]
	s_cbranch_execnz .LBB91_325
.LBB91_326:
	s_or_b64 exec, exec, s[14:15]
	v_add_u32_e32 v1, 1, v3
	v_and_b32_e32 v3, 0x1fffffe, v1
	v_cmp_ne_u32_e32 vcc, v1, v3
	v_lshl_or_b32 v4, v3, 8, v0
	s_orn2_b64 s[4:5], vcc, exec
.LBB91_327:
	s_or_b64 exec, exec, s[12:13]
	s_andn2_b64 s[8:9], s[8:9], exec
	s_and_b64 s[4:5], s[4:5], exec
	s_or_b64 s[8:9], s[8:9], s[4:5]
.LBB91_328:
	s_or_b64 exec, exec, s[10:11]
	s_and_b64 exec, exec, s[8:9]
	s_cbranch_execz .LBB91_331
; %bb.329:
	v_lshlrev_b32_e32 v1, 2, v4
	s_mov_b64 s[4:5], 0
	v_mov_b32_e32 v5, 0
.LBB91_330:                             ; =>This Inner Loop Header: Depth=1
	v_lshlrev_b64 v[10:11], 2, v[4:5]
	ds_read_b32 v3, v1
	v_add_co_u32_e32 v10, vcc, v14, v10
	v_add_u32_e32 v4, 0x100, v4
	v_addc_co_u32_e32 v11, vcc, v15, v11, vcc
	v_cmp_ge_u32_e32 vcc, v4, v7
	v_add_u32_e32 v1, 0x400, v1
	s_or_b64 s[4:5], vcc, s[4:5]
	s_waitcnt lgkmcnt(0)
	global_store_dword v[10:11], v3, off
	s_andn2_b64 exec, exec, s[4:5]
	s_cbranch_execnz .LBB91_330
.LBB91_331:
	s_or_b64 exec, exec, s[6:7]
.LBB91_332:
	s_movk_i32 s4, 0xff
	v_cmp_eq_u32_e32 vcc, s4, v0
	s_and_b64 s[4:5], vcc, s[38:39]
	s_and_b64 exec, exec, s[4:5]
	s_cbranch_execz .LBB91_335
; %bb.333:
	v_add_co_u32_e32 v0, vcc, v2, v6
	v_addc_co_u32_e64 v1, s[4:5], 0, 0, vcc
	v_add_co_u32_e32 v0, vcc, v0, v8
	v_mov_b32_e32 v3, 0
	v_addc_co_u32_e32 v1, vcc, v1, v9, vcc
	s_cmpk_lg_i32 s33, 0xf00
	global_store_dwordx2 v3, v[0:1], s[54:55]
	s_cbranch_scc1 .LBB91_335
; %bb.334:
	v_lshlrev_b64 v[0:1], 2, v[2:3]
	v_add_co_u32_e32 v0, vcc, v12, v0
	v_addc_co_u32_e32 v1, vcc, v13, v1, vcc
	global_store_dword v[0:1], v42, off offset:-4
	s_endpgm
.LBB91_335:
	s_endpgm
	.section	.rodata,"a",@progbits
	.p2align	6, 0x0
	.amdhsa_kernel _ZN7rocprim17ROCPRIM_400000_NS6detail17trampoline_kernelINS0_14default_configENS1_29reduce_by_key_config_selectorIffN6thrust23THRUST_200600_302600_NS4plusIfEEEEZZNS1_33reduce_by_key_impl_wrapped_configILNS1_25lookback_scan_determinismE1ES3_S9_NS6_6detail15normal_iteratorINS6_10device_ptrIfEEEESG_SG_SG_PmS8_NS6_8equal_toIfEEEE10hipError_tPvRmT2_T3_mT4_T5_T6_T7_T8_P12ihipStream_tbENKUlT_T0_E_clISt17integral_constantIbLb0EES11_EEDaSW_SX_EUlSW_E_NS1_11comp_targetILNS1_3genE4ELNS1_11target_archE910ELNS1_3gpuE8ELNS1_3repE0EEENS1_30default_config_static_selectorELNS0_4arch9wavefront6targetE1EEEvT1_
		.amdhsa_group_segment_fixed_size 15360
		.amdhsa_private_segment_fixed_size 48
		.amdhsa_kernarg_size 120
		.amdhsa_user_sgpr_count 8
		.amdhsa_user_sgpr_private_segment_buffer 1
		.amdhsa_user_sgpr_dispatch_ptr 0
		.amdhsa_user_sgpr_queue_ptr 0
		.amdhsa_user_sgpr_kernarg_segment_ptr 1
		.amdhsa_user_sgpr_dispatch_id 0
		.amdhsa_user_sgpr_flat_scratch_init 1
		.amdhsa_user_sgpr_kernarg_preload_length 0
		.amdhsa_user_sgpr_kernarg_preload_offset 0
		.amdhsa_user_sgpr_private_segment_size 0
		.amdhsa_uses_dynamic_stack 0
		.amdhsa_system_sgpr_private_segment_wavefront_offset 1
		.amdhsa_system_sgpr_workgroup_id_x 1
		.amdhsa_system_sgpr_workgroup_id_y 0
		.amdhsa_system_sgpr_workgroup_id_z 0
		.amdhsa_system_sgpr_workgroup_info 0
		.amdhsa_system_vgpr_workitem_id 0
		.amdhsa_next_free_vgpr 108
		.amdhsa_next_free_sgpr 74
		.amdhsa_accum_offset 108
		.amdhsa_reserve_vcc 1
		.amdhsa_reserve_flat_scratch 1
		.amdhsa_float_round_mode_32 0
		.amdhsa_float_round_mode_16_64 0
		.amdhsa_float_denorm_mode_32 3
		.amdhsa_float_denorm_mode_16_64 3
		.amdhsa_dx10_clamp 1
		.amdhsa_ieee_mode 1
		.amdhsa_fp16_overflow 0
		.amdhsa_tg_split 0
		.amdhsa_exception_fp_ieee_invalid_op 0
		.amdhsa_exception_fp_denorm_src 0
		.amdhsa_exception_fp_ieee_div_zero 0
		.amdhsa_exception_fp_ieee_overflow 0
		.amdhsa_exception_fp_ieee_underflow 0
		.amdhsa_exception_fp_ieee_inexact 0
		.amdhsa_exception_int_div_zero 0
	.end_amdhsa_kernel
	.section	.text._ZN7rocprim17ROCPRIM_400000_NS6detail17trampoline_kernelINS0_14default_configENS1_29reduce_by_key_config_selectorIffN6thrust23THRUST_200600_302600_NS4plusIfEEEEZZNS1_33reduce_by_key_impl_wrapped_configILNS1_25lookback_scan_determinismE1ES3_S9_NS6_6detail15normal_iteratorINS6_10device_ptrIfEEEESG_SG_SG_PmS8_NS6_8equal_toIfEEEE10hipError_tPvRmT2_T3_mT4_T5_T6_T7_T8_P12ihipStream_tbENKUlT_T0_E_clISt17integral_constantIbLb0EES11_EEDaSW_SX_EUlSW_E_NS1_11comp_targetILNS1_3genE4ELNS1_11target_archE910ELNS1_3gpuE8ELNS1_3repE0EEENS1_30default_config_static_selectorELNS0_4arch9wavefront6targetE1EEEvT1_,"axG",@progbits,_ZN7rocprim17ROCPRIM_400000_NS6detail17trampoline_kernelINS0_14default_configENS1_29reduce_by_key_config_selectorIffN6thrust23THRUST_200600_302600_NS4plusIfEEEEZZNS1_33reduce_by_key_impl_wrapped_configILNS1_25lookback_scan_determinismE1ES3_S9_NS6_6detail15normal_iteratorINS6_10device_ptrIfEEEESG_SG_SG_PmS8_NS6_8equal_toIfEEEE10hipError_tPvRmT2_T3_mT4_T5_T6_T7_T8_P12ihipStream_tbENKUlT_T0_E_clISt17integral_constantIbLb0EES11_EEDaSW_SX_EUlSW_E_NS1_11comp_targetILNS1_3genE4ELNS1_11target_archE910ELNS1_3gpuE8ELNS1_3repE0EEENS1_30default_config_static_selectorELNS0_4arch9wavefront6targetE1EEEvT1_,comdat
.Lfunc_end91:
	.size	_ZN7rocprim17ROCPRIM_400000_NS6detail17trampoline_kernelINS0_14default_configENS1_29reduce_by_key_config_selectorIffN6thrust23THRUST_200600_302600_NS4plusIfEEEEZZNS1_33reduce_by_key_impl_wrapped_configILNS1_25lookback_scan_determinismE1ES3_S9_NS6_6detail15normal_iteratorINS6_10device_ptrIfEEEESG_SG_SG_PmS8_NS6_8equal_toIfEEEE10hipError_tPvRmT2_T3_mT4_T5_T6_T7_T8_P12ihipStream_tbENKUlT_T0_E_clISt17integral_constantIbLb0EES11_EEDaSW_SX_EUlSW_E_NS1_11comp_targetILNS1_3genE4ELNS1_11target_archE910ELNS1_3gpuE8ELNS1_3repE0EEENS1_30default_config_static_selectorELNS0_4arch9wavefront6targetE1EEEvT1_, .Lfunc_end91-_ZN7rocprim17ROCPRIM_400000_NS6detail17trampoline_kernelINS0_14default_configENS1_29reduce_by_key_config_selectorIffN6thrust23THRUST_200600_302600_NS4plusIfEEEEZZNS1_33reduce_by_key_impl_wrapped_configILNS1_25lookback_scan_determinismE1ES3_S9_NS6_6detail15normal_iteratorINS6_10device_ptrIfEEEESG_SG_SG_PmS8_NS6_8equal_toIfEEEE10hipError_tPvRmT2_T3_mT4_T5_T6_T7_T8_P12ihipStream_tbENKUlT_T0_E_clISt17integral_constantIbLb0EES11_EEDaSW_SX_EUlSW_E_NS1_11comp_targetILNS1_3genE4ELNS1_11target_archE910ELNS1_3gpuE8ELNS1_3repE0EEENS1_30default_config_static_selectorELNS0_4arch9wavefront6targetE1EEEvT1_
                                        ; -- End function
	.section	.AMDGPU.csdata,"",@progbits
; Kernel info:
; codeLenInByte = 17960
; NumSgprs: 80
; NumVgprs: 108
; NumAgprs: 0
; TotalNumVgprs: 108
; ScratchSize: 48
; MemoryBound: 0
; FloatMode: 240
; IeeeMode: 1
; LDSByteSize: 15360 bytes/workgroup (compile time only)
; SGPRBlocks: 9
; VGPRBlocks: 13
; NumSGPRsForWavesPerEU: 80
; NumVGPRsForWavesPerEU: 108
; AccumOffset: 108
; Occupancy: 4
; WaveLimiterHint : 1
; COMPUTE_PGM_RSRC2:SCRATCH_EN: 1
; COMPUTE_PGM_RSRC2:USER_SGPR: 8
; COMPUTE_PGM_RSRC2:TRAP_HANDLER: 0
; COMPUTE_PGM_RSRC2:TGID_X_EN: 1
; COMPUTE_PGM_RSRC2:TGID_Y_EN: 0
; COMPUTE_PGM_RSRC2:TGID_Z_EN: 0
; COMPUTE_PGM_RSRC2:TIDIG_COMP_CNT: 0
; COMPUTE_PGM_RSRC3_GFX90A:ACCUM_OFFSET: 26
; COMPUTE_PGM_RSRC3_GFX90A:TG_SPLIT: 0
	.section	.text._ZN7rocprim17ROCPRIM_400000_NS6detail17trampoline_kernelINS0_14default_configENS1_29reduce_by_key_config_selectorIffN6thrust23THRUST_200600_302600_NS4plusIfEEEEZZNS1_33reduce_by_key_impl_wrapped_configILNS1_25lookback_scan_determinismE1ES3_S9_NS6_6detail15normal_iteratorINS6_10device_ptrIfEEEESG_SG_SG_PmS8_NS6_8equal_toIfEEEE10hipError_tPvRmT2_T3_mT4_T5_T6_T7_T8_P12ihipStream_tbENKUlT_T0_E_clISt17integral_constantIbLb0EES11_EEDaSW_SX_EUlSW_E_NS1_11comp_targetILNS1_3genE3ELNS1_11target_archE908ELNS1_3gpuE7ELNS1_3repE0EEENS1_30default_config_static_selectorELNS0_4arch9wavefront6targetE1EEEvT1_,"axG",@progbits,_ZN7rocprim17ROCPRIM_400000_NS6detail17trampoline_kernelINS0_14default_configENS1_29reduce_by_key_config_selectorIffN6thrust23THRUST_200600_302600_NS4plusIfEEEEZZNS1_33reduce_by_key_impl_wrapped_configILNS1_25lookback_scan_determinismE1ES3_S9_NS6_6detail15normal_iteratorINS6_10device_ptrIfEEEESG_SG_SG_PmS8_NS6_8equal_toIfEEEE10hipError_tPvRmT2_T3_mT4_T5_T6_T7_T8_P12ihipStream_tbENKUlT_T0_E_clISt17integral_constantIbLb0EES11_EEDaSW_SX_EUlSW_E_NS1_11comp_targetILNS1_3genE3ELNS1_11target_archE908ELNS1_3gpuE7ELNS1_3repE0EEENS1_30default_config_static_selectorELNS0_4arch9wavefront6targetE1EEEvT1_,comdat
	.protected	_ZN7rocprim17ROCPRIM_400000_NS6detail17trampoline_kernelINS0_14default_configENS1_29reduce_by_key_config_selectorIffN6thrust23THRUST_200600_302600_NS4plusIfEEEEZZNS1_33reduce_by_key_impl_wrapped_configILNS1_25lookback_scan_determinismE1ES3_S9_NS6_6detail15normal_iteratorINS6_10device_ptrIfEEEESG_SG_SG_PmS8_NS6_8equal_toIfEEEE10hipError_tPvRmT2_T3_mT4_T5_T6_T7_T8_P12ihipStream_tbENKUlT_T0_E_clISt17integral_constantIbLb0EES11_EEDaSW_SX_EUlSW_E_NS1_11comp_targetILNS1_3genE3ELNS1_11target_archE908ELNS1_3gpuE7ELNS1_3repE0EEENS1_30default_config_static_selectorELNS0_4arch9wavefront6targetE1EEEvT1_ ; -- Begin function _ZN7rocprim17ROCPRIM_400000_NS6detail17trampoline_kernelINS0_14default_configENS1_29reduce_by_key_config_selectorIffN6thrust23THRUST_200600_302600_NS4plusIfEEEEZZNS1_33reduce_by_key_impl_wrapped_configILNS1_25lookback_scan_determinismE1ES3_S9_NS6_6detail15normal_iteratorINS6_10device_ptrIfEEEESG_SG_SG_PmS8_NS6_8equal_toIfEEEE10hipError_tPvRmT2_T3_mT4_T5_T6_T7_T8_P12ihipStream_tbENKUlT_T0_E_clISt17integral_constantIbLb0EES11_EEDaSW_SX_EUlSW_E_NS1_11comp_targetILNS1_3genE3ELNS1_11target_archE908ELNS1_3gpuE7ELNS1_3repE0EEENS1_30default_config_static_selectorELNS0_4arch9wavefront6targetE1EEEvT1_
	.globl	_ZN7rocprim17ROCPRIM_400000_NS6detail17trampoline_kernelINS0_14default_configENS1_29reduce_by_key_config_selectorIffN6thrust23THRUST_200600_302600_NS4plusIfEEEEZZNS1_33reduce_by_key_impl_wrapped_configILNS1_25lookback_scan_determinismE1ES3_S9_NS6_6detail15normal_iteratorINS6_10device_ptrIfEEEESG_SG_SG_PmS8_NS6_8equal_toIfEEEE10hipError_tPvRmT2_T3_mT4_T5_T6_T7_T8_P12ihipStream_tbENKUlT_T0_E_clISt17integral_constantIbLb0EES11_EEDaSW_SX_EUlSW_E_NS1_11comp_targetILNS1_3genE3ELNS1_11target_archE908ELNS1_3gpuE7ELNS1_3repE0EEENS1_30default_config_static_selectorELNS0_4arch9wavefront6targetE1EEEvT1_
	.p2align	8
	.type	_ZN7rocprim17ROCPRIM_400000_NS6detail17trampoline_kernelINS0_14default_configENS1_29reduce_by_key_config_selectorIffN6thrust23THRUST_200600_302600_NS4plusIfEEEEZZNS1_33reduce_by_key_impl_wrapped_configILNS1_25lookback_scan_determinismE1ES3_S9_NS6_6detail15normal_iteratorINS6_10device_ptrIfEEEESG_SG_SG_PmS8_NS6_8equal_toIfEEEE10hipError_tPvRmT2_T3_mT4_T5_T6_T7_T8_P12ihipStream_tbENKUlT_T0_E_clISt17integral_constantIbLb0EES11_EEDaSW_SX_EUlSW_E_NS1_11comp_targetILNS1_3genE3ELNS1_11target_archE908ELNS1_3gpuE7ELNS1_3repE0EEENS1_30default_config_static_selectorELNS0_4arch9wavefront6targetE1EEEvT1_,@function
_ZN7rocprim17ROCPRIM_400000_NS6detail17trampoline_kernelINS0_14default_configENS1_29reduce_by_key_config_selectorIffN6thrust23THRUST_200600_302600_NS4plusIfEEEEZZNS1_33reduce_by_key_impl_wrapped_configILNS1_25lookback_scan_determinismE1ES3_S9_NS6_6detail15normal_iteratorINS6_10device_ptrIfEEEESG_SG_SG_PmS8_NS6_8equal_toIfEEEE10hipError_tPvRmT2_T3_mT4_T5_T6_T7_T8_P12ihipStream_tbENKUlT_T0_E_clISt17integral_constantIbLb0EES11_EEDaSW_SX_EUlSW_E_NS1_11comp_targetILNS1_3genE3ELNS1_11target_archE908ELNS1_3gpuE7ELNS1_3repE0EEENS1_30default_config_static_selectorELNS0_4arch9wavefront6targetE1EEEvT1_: ; @_ZN7rocprim17ROCPRIM_400000_NS6detail17trampoline_kernelINS0_14default_configENS1_29reduce_by_key_config_selectorIffN6thrust23THRUST_200600_302600_NS4plusIfEEEEZZNS1_33reduce_by_key_impl_wrapped_configILNS1_25lookback_scan_determinismE1ES3_S9_NS6_6detail15normal_iteratorINS6_10device_ptrIfEEEESG_SG_SG_PmS8_NS6_8equal_toIfEEEE10hipError_tPvRmT2_T3_mT4_T5_T6_T7_T8_P12ihipStream_tbENKUlT_T0_E_clISt17integral_constantIbLb0EES11_EEDaSW_SX_EUlSW_E_NS1_11comp_targetILNS1_3genE3ELNS1_11target_archE908ELNS1_3gpuE7ELNS1_3repE0EEENS1_30default_config_static_selectorELNS0_4arch9wavefront6targetE1EEEvT1_
; %bb.0:
	.section	.rodata,"a",@progbits
	.p2align	6, 0x0
	.amdhsa_kernel _ZN7rocprim17ROCPRIM_400000_NS6detail17trampoline_kernelINS0_14default_configENS1_29reduce_by_key_config_selectorIffN6thrust23THRUST_200600_302600_NS4plusIfEEEEZZNS1_33reduce_by_key_impl_wrapped_configILNS1_25lookback_scan_determinismE1ES3_S9_NS6_6detail15normal_iteratorINS6_10device_ptrIfEEEESG_SG_SG_PmS8_NS6_8equal_toIfEEEE10hipError_tPvRmT2_T3_mT4_T5_T6_T7_T8_P12ihipStream_tbENKUlT_T0_E_clISt17integral_constantIbLb0EES11_EEDaSW_SX_EUlSW_E_NS1_11comp_targetILNS1_3genE3ELNS1_11target_archE908ELNS1_3gpuE7ELNS1_3repE0EEENS1_30default_config_static_selectorELNS0_4arch9wavefront6targetE1EEEvT1_
		.amdhsa_group_segment_fixed_size 0
		.amdhsa_private_segment_fixed_size 0
		.amdhsa_kernarg_size 120
		.amdhsa_user_sgpr_count 6
		.amdhsa_user_sgpr_private_segment_buffer 1
		.amdhsa_user_sgpr_dispatch_ptr 0
		.amdhsa_user_sgpr_queue_ptr 0
		.amdhsa_user_sgpr_kernarg_segment_ptr 1
		.amdhsa_user_sgpr_dispatch_id 0
		.amdhsa_user_sgpr_flat_scratch_init 0
		.amdhsa_user_sgpr_kernarg_preload_length 0
		.amdhsa_user_sgpr_kernarg_preload_offset 0
		.amdhsa_user_sgpr_private_segment_size 0
		.amdhsa_uses_dynamic_stack 0
		.amdhsa_system_sgpr_private_segment_wavefront_offset 0
		.amdhsa_system_sgpr_workgroup_id_x 1
		.amdhsa_system_sgpr_workgroup_id_y 0
		.amdhsa_system_sgpr_workgroup_id_z 0
		.amdhsa_system_sgpr_workgroup_info 0
		.amdhsa_system_vgpr_workitem_id 0
		.amdhsa_next_free_vgpr 1
		.amdhsa_next_free_sgpr 0
		.amdhsa_accum_offset 4
		.amdhsa_reserve_vcc 0
		.amdhsa_reserve_flat_scratch 0
		.amdhsa_float_round_mode_32 0
		.amdhsa_float_round_mode_16_64 0
		.amdhsa_float_denorm_mode_32 3
		.amdhsa_float_denorm_mode_16_64 3
		.amdhsa_dx10_clamp 1
		.amdhsa_ieee_mode 1
		.amdhsa_fp16_overflow 0
		.amdhsa_tg_split 0
		.amdhsa_exception_fp_ieee_invalid_op 0
		.amdhsa_exception_fp_denorm_src 0
		.amdhsa_exception_fp_ieee_div_zero 0
		.amdhsa_exception_fp_ieee_overflow 0
		.amdhsa_exception_fp_ieee_underflow 0
		.amdhsa_exception_fp_ieee_inexact 0
		.amdhsa_exception_int_div_zero 0
	.end_amdhsa_kernel
	.section	.text._ZN7rocprim17ROCPRIM_400000_NS6detail17trampoline_kernelINS0_14default_configENS1_29reduce_by_key_config_selectorIffN6thrust23THRUST_200600_302600_NS4plusIfEEEEZZNS1_33reduce_by_key_impl_wrapped_configILNS1_25lookback_scan_determinismE1ES3_S9_NS6_6detail15normal_iteratorINS6_10device_ptrIfEEEESG_SG_SG_PmS8_NS6_8equal_toIfEEEE10hipError_tPvRmT2_T3_mT4_T5_T6_T7_T8_P12ihipStream_tbENKUlT_T0_E_clISt17integral_constantIbLb0EES11_EEDaSW_SX_EUlSW_E_NS1_11comp_targetILNS1_3genE3ELNS1_11target_archE908ELNS1_3gpuE7ELNS1_3repE0EEENS1_30default_config_static_selectorELNS0_4arch9wavefront6targetE1EEEvT1_,"axG",@progbits,_ZN7rocprim17ROCPRIM_400000_NS6detail17trampoline_kernelINS0_14default_configENS1_29reduce_by_key_config_selectorIffN6thrust23THRUST_200600_302600_NS4plusIfEEEEZZNS1_33reduce_by_key_impl_wrapped_configILNS1_25lookback_scan_determinismE1ES3_S9_NS6_6detail15normal_iteratorINS6_10device_ptrIfEEEESG_SG_SG_PmS8_NS6_8equal_toIfEEEE10hipError_tPvRmT2_T3_mT4_T5_T6_T7_T8_P12ihipStream_tbENKUlT_T0_E_clISt17integral_constantIbLb0EES11_EEDaSW_SX_EUlSW_E_NS1_11comp_targetILNS1_3genE3ELNS1_11target_archE908ELNS1_3gpuE7ELNS1_3repE0EEENS1_30default_config_static_selectorELNS0_4arch9wavefront6targetE1EEEvT1_,comdat
.Lfunc_end92:
	.size	_ZN7rocprim17ROCPRIM_400000_NS6detail17trampoline_kernelINS0_14default_configENS1_29reduce_by_key_config_selectorIffN6thrust23THRUST_200600_302600_NS4plusIfEEEEZZNS1_33reduce_by_key_impl_wrapped_configILNS1_25lookback_scan_determinismE1ES3_S9_NS6_6detail15normal_iteratorINS6_10device_ptrIfEEEESG_SG_SG_PmS8_NS6_8equal_toIfEEEE10hipError_tPvRmT2_T3_mT4_T5_T6_T7_T8_P12ihipStream_tbENKUlT_T0_E_clISt17integral_constantIbLb0EES11_EEDaSW_SX_EUlSW_E_NS1_11comp_targetILNS1_3genE3ELNS1_11target_archE908ELNS1_3gpuE7ELNS1_3repE0EEENS1_30default_config_static_selectorELNS0_4arch9wavefront6targetE1EEEvT1_, .Lfunc_end92-_ZN7rocprim17ROCPRIM_400000_NS6detail17trampoline_kernelINS0_14default_configENS1_29reduce_by_key_config_selectorIffN6thrust23THRUST_200600_302600_NS4plusIfEEEEZZNS1_33reduce_by_key_impl_wrapped_configILNS1_25lookback_scan_determinismE1ES3_S9_NS6_6detail15normal_iteratorINS6_10device_ptrIfEEEESG_SG_SG_PmS8_NS6_8equal_toIfEEEE10hipError_tPvRmT2_T3_mT4_T5_T6_T7_T8_P12ihipStream_tbENKUlT_T0_E_clISt17integral_constantIbLb0EES11_EEDaSW_SX_EUlSW_E_NS1_11comp_targetILNS1_3genE3ELNS1_11target_archE908ELNS1_3gpuE7ELNS1_3repE0EEENS1_30default_config_static_selectorELNS0_4arch9wavefront6targetE1EEEvT1_
                                        ; -- End function
	.section	.AMDGPU.csdata,"",@progbits
; Kernel info:
; codeLenInByte = 0
; NumSgprs: 4
; NumVgprs: 0
; NumAgprs: 0
; TotalNumVgprs: 0
; ScratchSize: 0
; MemoryBound: 0
; FloatMode: 240
; IeeeMode: 1
; LDSByteSize: 0 bytes/workgroup (compile time only)
; SGPRBlocks: 0
; VGPRBlocks: 0
; NumSGPRsForWavesPerEU: 4
; NumVGPRsForWavesPerEU: 1
; AccumOffset: 4
; Occupancy: 8
; WaveLimiterHint : 0
; COMPUTE_PGM_RSRC2:SCRATCH_EN: 0
; COMPUTE_PGM_RSRC2:USER_SGPR: 6
; COMPUTE_PGM_RSRC2:TRAP_HANDLER: 0
; COMPUTE_PGM_RSRC2:TGID_X_EN: 1
; COMPUTE_PGM_RSRC2:TGID_Y_EN: 0
; COMPUTE_PGM_RSRC2:TGID_Z_EN: 0
; COMPUTE_PGM_RSRC2:TIDIG_COMP_CNT: 0
; COMPUTE_PGM_RSRC3_GFX90A:ACCUM_OFFSET: 0
; COMPUTE_PGM_RSRC3_GFX90A:TG_SPLIT: 0
	.section	.text._ZN7rocprim17ROCPRIM_400000_NS6detail17trampoline_kernelINS0_14default_configENS1_29reduce_by_key_config_selectorIffN6thrust23THRUST_200600_302600_NS4plusIfEEEEZZNS1_33reduce_by_key_impl_wrapped_configILNS1_25lookback_scan_determinismE1ES3_S9_NS6_6detail15normal_iteratorINS6_10device_ptrIfEEEESG_SG_SG_PmS8_NS6_8equal_toIfEEEE10hipError_tPvRmT2_T3_mT4_T5_T6_T7_T8_P12ihipStream_tbENKUlT_T0_E_clISt17integral_constantIbLb0EES11_EEDaSW_SX_EUlSW_E_NS1_11comp_targetILNS1_3genE2ELNS1_11target_archE906ELNS1_3gpuE6ELNS1_3repE0EEENS1_30default_config_static_selectorELNS0_4arch9wavefront6targetE1EEEvT1_,"axG",@progbits,_ZN7rocprim17ROCPRIM_400000_NS6detail17trampoline_kernelINS0_14default_configENS1_29reduce_by_key_config_selectorIffN6thrust23THRUST_200600_302600_NS4plusIfEEEEZZNS1_33reduce_by_key_impl_wrapped_configILNS1_25lookback_scan_determinismE1ES3_S9_NS6_6detail15normal_iteratorINS6_10device_ptrIfEEEESG_SG_SG_PmS8_NS6_8equal_toIfEEEE10hipError_tPvRmT2_T3_mT4_T5_T6_T7_T8_P12ihipStream_tbENKUlT_T0_E_clISt17integral_constantIbLb0EES11_EEDaSW_SX_EUlSW_E_NS1_11comp_targetILNS1_3genE2ELNS1_11target_archE906ELNS1_3gpuE6ELNS1_3repE0EEENS1_30default_config_static_selectorELNS0_4arch9wavefront6targetE1EEEvT1_,comdat
	.protected	_ZN7rocprim17ROCPRIM_400000_NS6detail17trampoline_kernelINS0_14default_configENS1_29reduce_by_key_config_selectorIffN6thrust23THRUST_200600_302600_NS4plusIfEEEEZZNS1_33reduce_by_key_impl_wrapped_configILNS1_25lookback_scan_determinismE1ES3_S9_NS6_6detail15normal_iteratorINS6_10device_ptrIfEEEESG_SG_SG_PmS8_NS6_8equal_toIfEEEE10hipError_tPvRmT2_T3_mT4_T5_T6_T7_T8_P12ihipStream_tbENKUlT_T0_E_clISt17integral_constantIbLb0EES11_EEDaSW_SX_EUlSW_E_NS1_11comp_targetILNS1_3genE2ELNS1_11target_archE906ELNS1_3gpuE6ELNS1_3repE0EEENS1_30default_config_static_selectorELNS0_4arch9wavefront6targetE1EEEvT1_ ; -- Begin function _ZN7rocprim17ROCPRIM_400000_NS6detail17trampoline_kernelINS0_14default_configENS1_29reduce_by_key_config_selectorIffN6thrust23THRUST_200600_302600_NS4plusIfEEEEZZNS1_33reduce_by_key_impl_wrapped_configILNS1_25lookback_scan_determinismE1ES3_S9_NS6_6detail15normal_iteratorINS6_10device_ptrIfEEEESG_SG_SG_PmS8_NS6_8equal_toIfEEEE10hipError_tPvRmT2_T3_mT4_T5_T6_T7_T8_P12ihipStream_tbENKUlT_T0_E_clISt17integral_constantIbLb0EES11_EEDaSW_SX_EUlSW_E_NS1_11comp_targetILNS1_3genE2ELNS1_11target_archE906ELNS1_3gpuE6ELNS1_3repE0EEENS1_30default_config_static_selectorELNS0_4arch9wavefront6targetE1EEEvT1_
	.globl	_ZN7rocprim17ROCPRIM_400000_NS6detail17trampoline_kernelINS0_14default_configENS1_29reduce_by_key_config_selectorIffN6thrust23THRUST_200600_302600_NS4plusIfEEEEZZNS1_33reduce_by_key_impl_wrapped_configILNS1_25lookback_scan_determinismE1ES3_S9_NS6_6detail15normal_iteratorINS6_10device_ptrIfEEEESG_SG_SG_PmS8_NS6_8equal_toIfEEEE10hipError_tPvRmT2_T3_mT4_T5_T6_T7_T8_P12ihipStream_tbENKUlT_T0_E_clISt17integral_constantIbLb0EES11_EEDaSW_SX_EUlSW_E_NS1_11comp_targetILNS1_3genE2ELNS1_11target_archE906ELNS1_3gpuE6ELNS1_3repE0EEENS1_30default_config_static_selectorELNS0_4arch9wavefront6targetE1EEEvT1_
	.p2align	8
	.type	_ZN7rocprim17ROCPRIM_400000_NS6detail17trampoline_kernelINS0_14default_configENS1_29reduce_by_key_config_selectorIffN6thrust23THRUST_200600_302600_NS4plusIfEEEEZZNS1_33reduce_by_key_impl_wrapped_configILNS1_25lookback_scan_determinismE1ES3_S9_NS6_6detail15normal_iteratorINS6_10device_ptrIfEEEESG_SG_SG_PmS8_NS6_8equal_toIfEEEE10hipError_tPvRmT2_T3_mT4_T5_T6_T7_T8_P12ihipStream_tbENKUlT_T0_E_clISt17integral_constantIbLb0EES11_EEDaSW_SX_EUlSW_E_NS1_11comp_targetILNS1_3genE2ELNS1_11target_archE906ELNS1_3gpuE6ELNS1_3repE0EEENS1_30default_config_static_selectorELNS0_4arch9wavefront6targetE1EEEvT1_,@function
_ZN7rocprim17ROCPRIM_400000_NS6detail17trampoline_kernelINS0_14default_configENS1_29reduce_by_key_config_selectorIffN6thrust23THRUST_200600_302600_NS4plusIfEEEEZZNS1_33reduce_by_key_impl_wrapped_configILNS1_25lookback_scan_determinismE1ES3_S9_NS6_6detail15normal_iteratorINS6_10device_ptrIfEEEESG_SG_SG_PmS8_NS6_8equal_toIfEEEE10hipError_tPvRmT2_T3_mT4_T5_T6_T7_T8_P12ihipStream_tbENKUlT_T0_E_clISt17integral_constantIbLb0EES11_EEDaSW_SX_EUlSW_E_NS1_11comp_targetILNS1_3genE2ELNS1_11target_archE906ELNS1_3gpuE6ELNS1_3repE0EEENS1_30default_config_static_selectorELNS0_4arch9wavefront6targetE1EEEvT1_: ; @_ZN7rocprim17ROCPRIM_400000_NS6detail17trampoline_kernelINS0_14default_configENS1_29reduce_by_key_config_selectorIffN6thrust23THRUST_200600_302600_NS4plusIfEEEEZZNS1_33reduce_by_key_impl_wrapped_configILNS1_25lookback_scan_determinismE1ES3_S9_NS6_6detail15normal_iteratorINS6_10device_ptrIfEEEESG_SG_SG_PmS8_NS6_8equal_toIfEEEE10hipError_tPvRmT2_T3_mT4_T5_T6_T7_T8_P12ihipStream_tbENKUlT_T0_E_clISt17integral_constantIbLb0EES11_EEDaSW_SX_EUlSW_E_NS1_11comp_targetILNS1_3genE2ELNS1_11target_archE906ELNS1_3gpuE6ELNS1_3repE0EEENS1_30default_config_static_selectorELNS0_4arch9wavefront6targetE1EEEvT1_
; %bb.0:
	.section	.rodata,"a",@progbits
	.p2align	6, 0x0
	.amdhsa_kernel _ZN7rocprim17ROCPRIM_400000_NS6detail17trampoline_kernelINS0_14default_configENS1_29reduce_by_key_config_selectorIffN6thrust23THRUST_200600_302600_NS4plusIfEEEEZZNS1_33reduce_by_key_impl_wrapped_configILNS1_25lookback_scan_determinismE1ES3_S9_NS6_6detail15normal_iteratorINS6_10device_ptrIfEEEESG_SG_SG_PmS8_NS6_8equal_toIfEEEE10hipError_tPvRmT2_T3_mT4_T5_T6_T7_T8_P12ihipStream_tbENKUlT_T0_E_clISt17integral_constantIbLb0EES11_EEDaSW_SX_EUlSW_E_NS1_11comp_targetILNS1_3genE2ELNS1_11target_archE906ELNS1_3gpuE6ELNS1_3repE0EEENS1_30default_config_static_selectorELNS0_4arch9wavefront6targetE1EEEvT1_
		.amdhsa_group_segment_fixed_size 0
		.amdhsa_private_segment_fixed_size 0
		.amdhsa_kernarg_size 120
		.amdhsa_user_sgpr_count 6
		.amdhsa_user_sgpr_private_segment_buffer 1
		.amdhsa_user_sgpr_dispatch_ptr 0
		.amdhsa_user_sgpr_queue_ptr 0
		.amdhsa_user_sgpr_kernarg_segment_ptr 1
		.amdhsa_user_sgpr_dispatch_id 0
		.amdhsa_user_sgpr_flat_scratch_init 0
		.amdhsa_user_sgpr_kernarg_preload_length 0
		.amdhsa_user_sgpr_kernarg_preload_offset 0
		.amdhsa_user_sgpr_private_segment_size 0
		.amdhsa_uses_dynamic_stack 0
		.amdhsa_system_sgpr_private_segment_wavefront_offset 0
		.amdhsa_system_sgpr_workgroup_id_x 1
		.amdhsa_system_sgpr_workgroup_id_y 0
		.amdhsa_system_sgpr_workgroup_id_z 0
		.amdhsa_system_sgpr_workgroup_info 0
		.amdhsa_system_vgpr_workitem_id 0
		.amdhsa_next_free_vgpr 1
		.amdhsa_next_free_sgpr 0
		.amdhsa_accum_offset 4
		.amdhsa_reserve_vcc 0
		.amdhsa_reserve_flat_scratch 0
		.amdhsa_float_round_mode_32 0
		.amdhsa_float_round_mode_16_64 0
		.amdhsa_float_denorm_mode_32 3
		.amdhsa_float_denorm_mode_16_64 3
		.amdhsa_dx10_clamp 1
		.amdhsa_ieee_mode 1
		.amdhsa_fp16_overflow 0
		.amdhsa_tg_split 0
		.amdhsa_exception_fp_ieee_invalid_op 0
		.amdhsa_exception_fp_denorm_src 0
		.amdhsa_exception_fp_ieee_div_zero 0
		.amdhsa_exception_fp_ieee_overflow 0
		.amdhsa_exception_fp_ieee_underflow 0
		.amdhsa_exception_fp_ieee_inexact 0
		.amdhsa_exception_int_div_zero 0
	.end_amdhsa_kernel
	.section	.text._ZN7rocprim17ROCPRIM_400000_NS6detail17trampoline_kernelINS0_14default_configENS1_29reduce_by_key_config_selectorIffN6thrust23THRUST_200600_302600_NS4plusIfEEEEZZNS1_33reduce_by_key_impl_wrapped_configILNS1_25lookback_scan_determinismE1ES3_S9_NS6_6detail15normal_iteratorINS6_10device_ptrIfEEEESG_SG_SG_PmS8_NS6_8equal_toIfEEEE10hipError_tPvRmT2_T3_mT4_T5_T6_T7_T8_P12ihipStream_tbENKUlT_T0_E_clISt17integral_constantIbLb0EES11_EEDaSW_SX_EUlSW_E_NS1_11comp_targetILNS1_3genE2ELNS1_11target_archE906ELNS1_3gpuE6ELNS1_3repE0EEENS1_30default_config_static_selectorELNS0_4arch9wavefront6targetE1EEEvT1_,"axG",@progbits,_ZN7rocprim17ROCPRIM_400000_NS6detail17trampoline_kernelINS0_14default_configENS1_29reduce_by_key_config_selectorIffN6thrust23THRUST_200600_302600_NS4plusIfEEEEZZNS1_33reduce_by_key_impl_wrapped_configILNS1_25lookback_scan_determinismE1ES3_S9_NS6_6detail15normal_iteratorINS6_10device_ptrIfEEEESG_SG_SG_PmS8_NS6_8equal_toIfEEEE10hipError_tPvRmT2_T3_mT4_T5_T6_T7_T8_P12ihipStream_tbENKUlT_T0_E_clISt17integral_constantIbLb0EES11_EEDaSW_SX_EUlSW_E_NS1_11comp_targetILNS1_3genE2ELNS1_11target_archE906ELNS1_3gpuE6ELNS1_3repE0EEENS1_30default_config_static_selectorELNS0_4arch9wavefront6targetE1EEEvT1_,comdat
.Lfunc_end93:
	.size	_ZN7rocprim17ROCPRIM_400000_NS6detail17trampoline_kernelINS0_14default_configENS1_29reduce_by_key_config_selectorIffN6thrust23THRUST_200600_302600_NS4plusIfEEEEZZNS1_33reduce_by_key_impl_wrapped_configILNS1_25lookback_scan_determinismE1ES3_S9_NS6_6detail15normal_iteratorINS6_10device_ptrIfEEEESG_SG_SG_PmS8_NS6_8equal_toIfEEEE10hipError_tPvRmT2_T3_mT4_T5_T6_T7_T8_P12ihipStream_tbENKUlT_T0_E_clISt17integral_constantIbLb0EES11_EEDaSW_SX_EUlSW_E_NS1_11comp_targetILNS1_3genE2ELNS1_11target_archE906ELNS1_3gpuE6ELNS1_3repE0EEENS1_30default_config_static_selectorELNS0_4arch9wavefront6targetE1EEEvT1_, .Lfunc_end93-_ZN7rocprim17ROCPRIM_400000_NS6detail17trampoline_kernelINS0_14default_configENS1_29reduce_by_key_config_selectorIffN6thrust23THRUST_200600_302600_NS4plusIfEEEEZZNS1_33reduce_by_key_impl_wrapped_configILNS1_25lookback_scan_determinismE1ES3_S9_NS6_6detail15normal_iteratorINS6_10device_ptrIfEEEESG_SG_SG_PmS8_NS6_8equal_toIfEEEE10hipError_tPvRmT2_T3_mT4_T5_T6_T7_T8_P12ihipStream_tbENKUlT_T0_E_clISt17integral_constantIbLb0EES11_EEDaSW_SX_EUlSW_E_NS1_11comp_targetILNS1_3genE2ELNS1_11target_archE906ELNS1_3gpuE6ELNS1_3repE0EEENS1_30default_config_static_selectorELNS0_4arch9wavefront6targetE1EEEvT1_
                                        ; -- End function
	.section	.AMDGPU.csdata,"",@progbits
; Kernel info:
; codeLenInByte = 0
; NumSgprs: 4
; NumVgprs: 0
; NumAgprs: 0
; TotalNumVgprs: 0
; ScratchSize: 0
; MemoryBound: 0
; FloatMode: 240
; IeeeMode: 1
; LDSByteSize: 0 bytes/workgroup (compile time only)
; SGPRBlocks: 0
; VGPRBlocks: 0
; NumSGPRsForWavesPerEU: 4
; NumVGPRsForWavesPerEU: 1
; AccumOffset: 4
; Occupancy: 8
; WaveLimiterHint : 0
; COMPUTE_PGM_RSRC2:SCRATCH_EN: 0
; COMPUTE_PGM_RSRC2:USER_SGPR: 6
; COMPUTE_PGM_RSRC2:TRAP_HANDLER: 0
; COMPUTE_PGM_RSRC2:TGID_X_EN: 1
; COMPUTE_PGM_RSRC2:TGID_Y_EN: 0
; COMPUTE_PGM_RSRC2:TGID_Z_EN: 0
; COMPUTE_PGM_RSRC2:TIDIG_COMP_CNT: 0
; COMPUTE_PGM_RSRC3_GFX90A:ACCUM_OFFSET: 0
; COMPUTE_PGM_RSRC3_GFX90A:TG_SPLIT: 0
	.section	.text._ZN7rocprim17ROCPRIM_400000_NS6detail17trampoline_kernelINS0_14default_configENS1_29reduce_by_key_config_selectorIffN6thrust23THRUST_200600_302600_NS4plusIfEEEEZZNS1_33reduce_by_key_impl_wrapped_configILNS1_25lookback_scan_determinismE1ES3_S9_NS6_6detail15normal_iteratorINS6_10device_ptrIfEEEESG_SG_SG_PmS8_NS6_8equal_toIfEEEE10hipError_tPvRmT2_T3_mT4_T5_T6_T7_T8_P12ihipStream_tbENKUlT_T0_E_clISt17integral_constantIbLb0EES11_EEDaSW_SX_EUlSW_E_NS1_11comp_targetILNS1_3genE10ELNS1_11target_archE1201ELNS1_3gpuE5ELNS1_3repE0EEENS1_30default_config_static_selectorELNS0_4arch9wavefront6targetE1EEEvT1_,"axG",@progbits,_ZN7rocprim17ROCPRIM_400000_NS6detail17trampoline_kernelINS0_14default_configENS1_29reduce_by_key_config_selectorIffN6thrust23THRUST_200600_302600_NS4plusIfEEEEZZNS1_33reduce_by_key_impl_wrapped_configILNS1_25lookback_scan_determinismE1ES3_S9_NS6_6detail15normal_iteratorINS6_10device_ptrIfEEEESG_SG_SG_PmS8_NS6_8equal_toIfEEEE10hipError_tPvRmT2_T3_mT4_T5_T6_T7_T8_P12ihipStream_tbENKUlT_T0_E_clISt17integral_constantIbLb0EES11_EEDaSW_SX_EUlSW_E_NS1_11comp_targetILNS1_3genE10ELNS1_11target_archE1201ELNS1_3gpuE5ELNS1_3repE0EEENS1_30default_config_static_selectorELNS0_4arch9wavefront6targetE1EEEvT1_,comdat
	.protected	_ZN7rocprim17ROCPRIM_400000_NS6detail17trampoline_kernelINS0_14default_configENS1_29reduce_by_key_config_selectorIffN6thrust23THRUST_200600_302600_NS4plusIfEEEEZZNS1_33reduce_by_key_impl_wrapped_configILNS1_25lookback_scan_determinismE1ES3_S9_NS6_6detail15normal_iteratorINS6_10device_ptrIfEEEESG_SG_SG_PmS8_NS6_8equal_toIfEEEE10hipError_tPvRmT2_T3_mT4_T5_T6_T7_T8_P12ihipStream_tbENKUlT_T0_E_clISt17integral_constantIbLb0EES11_EEDaSW_SX_EUlSW_E_NS1_11comp_targetILNS1_3genE10ELNS1_11target_archE1201ELNS1_3gpuE5ELNS1_3repE0EEENS1_30default_config_static_selectorELNS0_4arch9wavefront6targetE1EEEvT1_ ; -- Begin function _ZN7rocprim17ROCPRIM_400000_NS6detail17trampoline_kernelINS0_14default_configENS1_29reduce_by_key_config_selectorIffN6thrust23THRUST_200600_302600_NS4plusIfEEEEZZNS1_33reduce_by_key_impl_wrapped_configILNS1_25lookback_scan_determinismE1ES3_S9_NS6_6detail15normal_iteratorINS6_10device_ptrIfEEEESG_SG_SG_PmS8_NS6_8equal_toIfEEEE10hipError_tPvRmT2_T3_mT4_T5_T6_T7_T8_P12ihipStream_tbENKUlT_T0_E_clISt17integral_constantIbLb0EES11_EEDaSW_SX_EUlSW_E_NS1_11comp_targetILNS1_3genE10ELNS1_11target_archE1201ELNS1_3gpuE5ELNS1_3repE0EEENS1_30default_config_static_selectorELNS0_4arch9wavefront6targetE1EEEvT1_
	.globl	_ZN7rocprim17ROCPRIM_400000_NS6detail17trampoline_kernelINS0_14default_configENS1_29reduce_by_key_config_selectorIffN6thrust23THRUST_200600_302600_NS4plusIfEEEEZZNS1_33reduce_by_key_impl_wrapped_configILNS1_25lookback_scan_determinismE1ES3_S9_NS6_6detail15normal_iteratorINS6_10device_ptrIfEEEESG_SG_SG_PmS8_NS6_8equal_toIfEEEE10hipError_tPvRmT2_T3_mT4_T5_T6_T7_T8_P12ihipStream_tbENKUlT_T0_E_clISt17integral_constantIbLb0EES11_EEDaSW_SX_EUlSW_E_NS1_11comp_targetILNS1_3genE10ELNS1_11target_archE1201ELNS1_3gpuE5ELNS1_3repE0EEENS1_30default_config_static_selectorELNS0_4arch9wavefront6targetE1EEEvT1_
	.p2align	8
	.type	_ZN7rocprim17ROCPRIM_400000_NS6detail17trampoline_kernelINS0_14default_configENS1_29reduce_by_key_config_selectorIffN6thrust23THRUST_200600_302600_NS4plusIfEEEEZZNS1_33reduce_by_key_impl_wrapped_configILNS1_25lookback_scan_determinismE1ES3_S9_NS6_6detail15normal_iteratorINS6_10device_ptrIfEEEESG_SG_SG_PmS8_NS6_8equal_toIfEEEE10hipError_tPvRmT2_T3_mT4_T5_T6_T7_T8_P12ihipStream_tbENKUlT_T0_E_clISt17integral_constantIbLb0EES11_EEDaSW_SX_EUlSW_E_NS1_11comp_targetILNS1_3genE10ELNS1_11target_archE1201ELNS1_3gpuE5ELNS1_3repE0EEENS1_30default_config_static_selectorELNS0_4arch9wavefront6targetE1EEEvT1_,@function
_ZN7rocprim17ROCPRIM_400000_NS6detail17trampoline_kernelINS0_14default_configENS1_29reduce_by_key_config_selectorIffN6thrust23THRUST_200600_302600_NS4plusIfEEEEZZNS1_33reduce_by_key_impl_wrapped_configILNS1_25lookback_scan_determinismE1ES3_S9_NS6_6detail15normal_iteratorINS6_10device_ptrIfEEEESG_SG_SG_PmS8_NS6_8equal_toIfEEEE10hipError_tPvRmT2_T3_mT4_T5_T6_T7_T8_P12ihipStream_tbENKUlT_T0_E_clISt17integral_constantIbLb0EES11_EEDaSW_SX_EUlSW_E_NS1_11comp_targetILNS1_3genE10ELNS1_11target_archE1201ELNS1_3gpuE5ELNS1_3repE0EEENS1_30default_config_static_selectorELNS0_4arch9wavefront6targetE1EEEvT1_: ; @_ZN7rocprim17ROCPRIM_400000_NS6detail17trampoline_kernelINS0_14default_configENS1_29reduce_by_key_config_selectorIffN6thrust23THRUST_200600_302600_NS4plusIfEEEEZZNS1_33reduce_by_key_impl_wrapped_configILNS1_25lookback_scan_determinismE1ES3_S9_NS6_6detail15normal_iteratorINS6_10device_ptrIfEEEESG_SG_SG_PmS8_NS6_8equal_toIfEEEE10hipError_tPvRmT2_T3_mT4_T5_T6_T7_T8_P12ihipStream_tbENKUlT_T0_E_clISt17integral_constantIbLb0EES11_EEDaSW_SX_EUlSW_E_NS1_11comp_targetILNS1_3genE10ELNS1_11target_archE1201ELNS1_3gpuE5ELNS1_3repE0EEENS1_30default_config_static_selectorELNS0_4arch9wavefront6targetE1EEEvT1_
; %bb.0:
	.section	.rodata,"a",@progbits
	.p2align	6, 0x0
	.amdhsa_kernel _ZN7rocprim17ROCPRIM_400000_NS6detail17trampoline_kernelINS0_14default_configENS1_29reduce_by_key_config_selectorIffN6thrust23THRUST_200600_302600_NS4plusIfEEEEZZNS1_33reduce_by_key_impl_wrapped_configILNS1_25lookback_scan_determinismE1ES3_S9_NS6_6detail15normal_iteratorINS6_10device_ptrIfEEEESG_SG_SG_PmS8_NS6_8equal_toIfEEEE10hipError_tPvRmT2_T3_mT4_T5_T6_T7_T8_P12ihipStream_tbENKUlT_T0_E_clISt17integral_constantIbLb0EES11_EEDaSW_SX_EUlSW_E_NS1_11comp_targetILNS1_3genE10ELNS1_11target_archE1201ELNS1_3gpuE5ELNS1_3repE0EEENS1_30default_config_static_selectorELNS0_4arch9wavefront6targetE1EEEvT1_
		.amdhsa_group_segment_fixed_size 0
		.amdhsa_private_segment_fixed_size 0
		.amdhsa_kernarg_size 120
		.amdhsa_user_sgpr_count 6
		.amdhsa_user_sgpr_private_segment_buffer 1
		.amdhsa_user_sgpr_dispatch_ptr 0
		.amdhsa_user_sgpr_queue_ptr 0
		.amdhsa_user_sgpr_kernarg_segment_ptr 1
		.amdhsa_user_sgpr_dispatch_id 0
		.amdhsa_user_sgpr_flat_scratch_init 0
		.amdhsa_user_sgpr_kernarg_preload_length 0
		.amdhsa_user_sgpr_kernarg_preload_offset 0
		.amdhsa_user_sgpr_private_segment_size 0
		.amdhsa_uses_dynamic_stack 0
		.amdhsa_system_sgpr_private_segment_wavefront_offset 0
		.amdhsa_system_sgpr_workgroup_id_x 1
		.amdhsa_system_sgpr_workgroup_id_y 0
		.amdhsa_system_sgpr_workgroup_id_z 0
		.amdhsa_system_sgpr_workgroup_info 0
		.amdhsa_system_vgpr_workitem_id 0
		.amdhsa_next_free_vgpr 1
		.amdhsa_next_free_sgpr 0
		.amdhsa_accum_offset 4
		.amdhsa_reserve_vcc 0
		.amdhsa_reserve_flat_scratch 0
		.amdhsa_float_round_mode_32 0
		.amdhsa_float_round_mode_16_64 0
		.amdhsa_float_denorm_mode_32 3
		.amdhsa_float_denorm_mode_16_64 3
		.amdhsa_dx10_clamp 1
		.amdhsa_ieee_mode 1
		.amdhsa_fp16_overflow 0
		.amdhsa_tg_split 0
		.amdhsa_exception_fp_ieee_invalid_op 0
		.amdhsa_exception_fp_denorm_src 0
		.amdhsa_exception_fp_ieee_div_zero 0
		.amdhsa_exception_fp_ieee_overflow 0
		.amdhsa_exception_fp_ieee_underflow 0
		.amdhsa_exception_fp_ieee_inexact 0
		.amdhsa_exception_int_div_zero 0
	.end_amdhsa_kernel
	.section	.text._ZN7rocprim17ROCPRIM_400000_NS6detail17trampoline_kernelINS0_14default_configENS1_29reduce_by_key_config_selectorIffN6thrust23THRUST_200600_302600_NS4plusIfEEEEZZNS1_33reduce_by_key_impl_wrapped_configILNS1_25lookback_scan_determinismE1ES3_S9_NS6_6detail15normal_iteratorINS6_10device_ptrIfEEEESG_SG_SG_PmS8_NS6_8equal_toIfEEEE10hipError_tPvRmT2_T3_mT4_T5_T6_T7_T8_P12ihipStream_tbENKUlT_T0_E_clISt17integral_constantIbLb0EES11_EEDaSW_SX_EUlSW_E_NS1_11comp_targetILNS1_3genE10ELNS1_11target_archE1201ELNS1_3gpuE5ELNS1_3repE0EEENS1_30default_config_static_selectorELNS0_4arch9wavefront6targetE1EEEvT1_,"axG",@progbits,_ZN7rocprim17ROCPRIM_400000_NS6detail17trampoline_kernelINS0_14default_configENS1_29reduce_by_key_config_selectorIffN6thrust23THRUST_200600_302600_NS4plusIfEEEEZZNS1_33reduce_by_key_impl_wrapped_configILNS1_25lookback_scan_determinismE1ES3_S9_NS6_6detail15normal_iteratorINS6_10device_ptrIfEEEESG_SG_SG_PmS8_NS6_8equal_toIfEEEE10hipError_tPvRmT2_T3_mT4_T5_T6_T7_T8_P12ihipStream_tbENKUlT_T0_E_clISt17integral_constantIbLb0EES11_EEDaSW_SX_EUlSW_E_NS1_11comp_targetILNS1_3genE10ELNS1_11target_archE1201ELNS1_3gpuE5ELNS1_3repE0EEENS1_30default_config_static_selectorELNS0_4arch9wavefront6targetE1EEEvT1_,comdat
.Lfunc_end94:
	.size	_ZN7rocprim17ROCPRIM_400000_NS6detail17trampoline_kernelINS0_14default_configENS1_29reduce_by_key_config_selectorIffN6thrust23THRUST_200600_302600_NS4plusIfEEEEZZNS1_33reduce_by_key_impl_wrapped_configILNS1_25lookback_scan_determinismE1ES3_S9_NS6_6detail15normal_iteratorINS6_10device_ptrIfEEEESG_SG_SG_PmS8_NS6_8equal_toIfEEEE10hipError_tPvRmT2_T3_mT4_T5_T6_T7_T8_P12ihipStream_tbENKUlT_T0_E_clISt17integral_constantIbLb0EES11_EEDaSW_SX_EUlSW_E_NS1_11comp_targetILNS1_3genE10ELNS1_11target_archE1201ELNS1_3gpuE5ELNS1_3repE0EEENS1_30default_config_static_selectorELNS0_4arch9wavefront6targetE1EEEvT1_, .Lfunc_end94-_ZN7rocprim17ROCPRIM_400000_NS6detail17trampoline_kernelINS0_14default_configENS1_29reduce_by_key_config_selectorIffN6thrust23THRUST_200600_302600_NS4plusIfEEEEZZNS1_33reduce_by_key_impl_wrapped_configILNS1_25lookback_scan_determinismE1ES3_S9_NS6_6detail15normal_iteratorINS6_10device_ptrIfEEEESG_SG_SG_PmS8_NS6_8equal_toIfEEEE10hipError_tPvRmT2_T3_mT4_T5_T6_T7_T8_P12ihipStream_tbENKUlT_T0_E_clISt17integral_constantIbLb0EES11_EEDaSW_SX_EUlSW_E_NS1_11comp_targetILNS1_3genE10ELNS1_11target_archE1201ELNS1_3gpuE5ELNS1_3repE0EEENS1_30default_config_static_selectorELNS0_4arch9wavefront6targetE1EEEvT1_
                                        ; -- End function
	.section	.AMDGPU.csdata,"",@progbits
; Kernel info:
; codeLenInByte = 0
; NumSgprs: 4
; NumVgprs: 0
; NumAgprs: 0
; TotalNumVgprs: 0
; ScratchSize: 0
; MemoryBound: 0
; FloatMode: 240
; IeeeMode: 1
; LDSByteSize: 0 bytes/workgroup (compile time only)
; SGPRBlocks: 0
; VGPRBlocks: 0
; NumSGPRsForWavesPerEU: 4
; NumVGPRsForWavesPerEU: 1
; AccumOffset: 4
; Occupancy: 8
; WaveLimiterHint : 0
; COMPUTE_PGM_RSRC2:SCRATCH_EN: 0
; COMPUTE_PGM_RSRC2:USER_SGPR: 6
; COMPUTE_PGM_RSRC2:TRAP_HANDLER: 0
; COMPUTE_PGM_RSRC2:TGID_X_EN: 1
; COMPUTE_PGM_RSRC2:TGID_Y_EN: 0
; COMPUTE_PGM_RSRC2:TGID_Z_EN: 0
; COMPUTE_PGM_RSRC2:TIDIG_COMP_CNT: 0
; COMPUTE_PGM_RSRC3_GFX90A:ACCUM_OFFSET: 0
; COMPUTE_PGM_RSRC3_GFX90A:TG_SPLIT: 0
	.section	.text._ZN7rocprim17ROCPRIM_400000_NS6detail17trampoline_kernelINS0_14default_configENS1_29reduce_by_key_config_selectorIffN6thrust23THRUST_200600_302600_NS4plusIfEEEEZZNS1_33reduce_by_key_impl_wrapped_configILNS1_25lookback_scan_determinismE1ES3_S9_NS6_6detail15normal_iteratorINS6_10device_ptrIfEEEESG_SG_SG_PmS8_NS6_8equal_toIfEEEE10hipError_tPvRmT2_T3_mT4_T5_T6_T7_T8_P12ihipStream_tbENKUlT_T0_E_clISt17integral_constantIbLb0EES11_EEDaSW_SX_EUlSW_E_NS1_11comp_targetILNS1_3genE10ELNS1_11target_archE1200ELNS1_3gpuE4ELNS1_3repE0EEENS1_30default_config_static_selectorELNS0_4arch9wavefront6targetE1EEEvT1_,"axG",@progbits,_ZN7rocprim17ROCPRIM_400000_NS6detail17trampoline_kernelINS0_14default_configENS1_29reduce_by_key_config_selectorIffN6thrust23THRUST_200600_302600_NS4plusIfEEEEZZNS1_33reduce_by_key_impl_wrapped_configILNS1_25lookback_scan_determinismE1ES3_S9_NS6_6detail15normal_iteratorINS6_10device_ptrIfEEEESG_SG_SG_PmS8_NS6_8equal_toIfEEEE10hipError_tPvRmT2_T3_mT4_T5_T6_T7_T8_P12ihipStream_tbENKUlT_T0_E_clISt17integral_constantIbLb0EES11_EEDaSW_SX_EUlSW_E_NS1_11comp_targetILNS1_3genE10ELNS1_11target_archE1200ELNS1_3gpuE4ELNS1_3repE0EEENS1_30default_config_static_selectorELNS0_4arch9wavefront6targetE1EEEvT1_,comdat
	.protected	_ZN7rocprim17ROCPRIM_400000_NS6detail17trampoline_kernelINS0_14default_configENS1_29reduce_by_key_config_selectorIffN6thrust23THRUST_200600_302600_NS4plusIfEEEEZZNS1_33reduce_by_key_impl_wrapped_configILNS1_25lookback_scan_determinismE1ES3_S9_NS6_6detail15normal_iteratorINS6_10device_ptrIfEEEESG_SG_SG_PmS8_NS6_8equal_toIfEEEE10hipError_tPvRmT2_T3_mT4_T5_T6_T7_T8_P12ihipStream_tbENKUlT_T0_E_clISt17integral_constantIbLb0EES11_EEDaSW_SX_EUlSW_E_NS1_11comp_targetILNS1_3genE10ELNS1_11target_archE1200ELNS1_3gpuE4ELNS1_3repE0EEENS1_30default_config_static_selectorELNS0_4arch9wavefront6targetE1EEEvT1_ ; -- Begin function _ZN7rocprim17ROCPRIM_400000_NS6detail17trampoline_kernelINS0_14default_configENS1_29reduce_by_key_config_selectorIffN6thrust23THRUST_200600_302600_NS4plusIfEEEEZZNS1_33reduce_by_key_impl_wrapped_configILNS1_25lookback_scan_determinismE1ES3_S9_NS6_6detail15normal_iteratorINS6_10device_ptrIfEEEESG_SG_SG_PmS8_NS6_8equal_toIfEEEE10hipError_tPvRmT2_T3_mT4_T5_T6_T7_T8_P12ihipStream_tbENKUlT_T0_E_clISt17integral_constantIbLb0EES11_EEDaSW_SX_EUlSW_E_NS1_11comp_targetILNS1_3genE10ELNS1_11target_archE1200ELNS1_3gpuE4ELNS1_3repE0EEENS1_30default_config_static_selectorELNS0_4arch9wavefront6targetE1EEEvT1_
	.globl	_ZN7rocprim17ROCPRIM_400000_NS6detail17trampoline_kernelINS0_14default_configENS1_29reduce_by_key_config_selectorIffN6thrust23THRUST_200600_302600_NS4plusIfEEEEZZNS1_33reduce_by_key_impl_wrapped_configILNS1_25lookback_scan_determinismE1ES3_S9_NS6_6detail15normal_iteratorINS6_10device_ptrIfEEEESG_SG_SG_PmS8_NS6_8equal_toIfEEEE10hipError_tPvRmT2_T3_mT4_T5_T6_T7_T8_P12ihipStream_tbENKUlT_T0_E_clISt17integral_constantIbLb0EES11_EEDaSW_SX_EUlSW_E_NS1_11comp_targetILNS1_3genE10ELNS1_11target_archE1200ELNS1_3gpuE4ELNS1_3repE0EEENS1_30default_config_static_selectorELNS0_4arch9wavefront6targetE1EEEvT1_
	.p2align	8
	.type	_ZN7rocprim17ROCPRIM_400000_NS6detail17trampoline_kernelINS0_14default_configENS1_29reduce_by_key_config_selectorIffN6thrust23THRUST_200600_302600_NS4plusIfEEEEZZNS1_33reduce_by_key_impl_wrapped_configILNS1_25lookback_scan_determinismE1ES3_S9_NS6_6detail15normal_iteratorINS6_10device_ptrIfEEEESG_SG_SG_PmS8_NS6_8equal_toIfEEEE10hipError_tPvRmT2_T3_mT4_T5_T6_T7_T8_P12ihipStream_tbENKUlT_T0_E_clISt17integral_constantIbLb0EES11_EEDaSW_SX_EUlSW_E_NS1_11comp_targetILNS1_3genE10ELNS1_11target_archE1200ELNS1_3gpuE4ELNS1_3repE0EEENS1_30default_config_static_selectorELNS0_4arch9wavefront6targetE1EEEvT1_,@function
_ZN7rocprim17ROCPRIM_400000_NS6detail17trampoline_kernelINS0_14default_configENS1_29reduce_by_key_config_selectorIffN6thrust23THRUST_200600_302600_NS4plusIfEEEEZZNS1_33reduce_by_key_impl_wrapped_configILNS1_25lookback_scan_determinismE1ES3_S9_NS6_6detail15normal_iteratorINS6_10device_ptrIfEEEESG_SG_SG_PmS8_NS6_8equal_toIfEEEE10hipError_tPvRmT2_T3_mT4_T5_T6_T7_T8_P12ihipStream_tbENKUlT_T0_E_clISt17integral_constantIbLb0EES11_EEDaSW_SX_EUlSW_E_NS1_11comp_targetILNS1_3genE10ELNS1_11target_archE1200ELNS1_3gpuE4ELNS1_3repE0EEENS1_30default_config_static_selectorELNS0_4arch9wavefront6targetE1EEEvT1_: ; @_ZN7rocprim17ROCPRIM_400000_NS6detail17trampoline_kernelINS0_14default_configENS1_29reduce_by_key_config_selectorIffN6thrust23THRUST_200600_302600_NS4plusIfEEEEZZNS1_33reduce_by_key_impl_wrapped_configILNS1_25lookback_scan_determinismE1ES3_S9_NS6_6detail15normal_iteratorINS6_10device_ptrIfEEEESG_SG_SG_PmS8_NS6_8equal_toIfEEEE10hipError_tPvRmT2_T3_mT4_T5_T6_T7_T8_P12ihipStream_tbENKUlT_T0_E_clISt17integral_constantIbLb0EES11_EEDaSW_SX_EUlSW_E_NS1_11comp_targetILNS1_3genE10ELNS1_11target_archE1200ELNS1_3gpuE4ELNS1_3repE0EEENS1_30default_config_static_selectorELNS0_4arch9wavefront6targetE1EEEvT1_
; %bb.0:
	.section	.rodata,"a",@progbits
	.p2align	6, 0x0
	.amdhsa_kernel _ZN7rocprim17ROCPRIM_400000_NS6detail17trampoline_kernelINS0_14default_configENS1_29reduce_by_key_config_selectorIffN6thrust23THRUST_200600_302600_NS4plusIfEEEEZZNS1_33reduce_by_key_impl_wrapped_configILNS1_25lookback_scan_determinismE1ES3_S9_NS6_6detail15normal_iteratorINS6_10device_ptrIfEEEESG_SG_SG_PmS8_NS6_8equal_toIfEEEE10hipError_tPvRmT2_T3_mT4_T5_T6_T7_T8_P12ihipStream_tbENKUlT_T0_E_clISt17integral_constantIbLb0EES11_EEDaSW_SX_EUlSW_E_NS1_11comp_targetILNS1_3genE10ELNS1_11target_archE1200ELNS1_3gpuE4ELNS1_3repE0EEENS1_30default_config_static_selectorELNS0_4arch9wavefront6targetE1EEEvT1_
		.amdhsa_group_segment_fixed_size 0
		.amdhsa_private_segment_fixed_size 0
		.amdhsa_kernarg_size 120
		.amdhsa_user_sgpr_count 6
		.amdhsa_user_sgpr_private_segment_buffer 1
		.amdhsa_user_sgpr_dispatch_ptr 0
		.amdhsa_user_sgpr_queue_ptr 0
		.amdhsa_user_sgpr_kernarg_segment_ptr 1
		.amdhsa_user_sgpr_dispatch_id 0
		.amdhsa_user_sgpr_flat_scratch_init 0
		.amdhsa_user_sgpr_kernarg_preload_length 0
		.amdhsa_user_sgpr_kernarg_preload_offset 0
		.amdhsa_user_sgpr_private_segment_size 0
		.amdhsa_uses_dynamic_stack 0
		.amdhsa_system_sgpr_private_segment_wavefront_offset 0
		.amdhsa_system_sgpr_workgroup_id_x 1
		.amdhsa_system_sgpr_workgroup_id_y 0
		.amdhsa_system_sgpr_workgroup_id_z 0
		.amdhsa_system_sgpr_workgroup_info 0
		.amdhsa_system_vgpr_workitem_id 0
		.amdhsa_next_free_vgpr 1
		.amdhsa_next_free_sgpr 0
		.amdhsa_accum_offset 4
		.amdhsa_reserve_vcc 0
		.amdhsa_reserve_flat_scratch 0
		.amdhsa_float_round_mode_32 0
		.amdhsa_float_round_mode_16_64 0
		.amdhsa_float_denorm_mode_32 3
		.amdhsa_float_denorm_mode_16_64 3
		.amdhsa_dx10_clamp 1
		.amdhsa_ieee_mode 1
		.amdhsa_fp16_overflow 0
		.amdhsa_tg_split 0
		.amdhsa_exception_fp_ieee_invalid_op 0
		.amdhsa_exception_fp_denorm_src 0
		.amdhsa_exception_fp_ieee_div_zero 0
		.amdhsa_exception_fp_ieee_overflow 0
		.amdhsa_exception_fp_ieee_underflow 0
		.amdhsa_exception_fp_ieee_inexact 0
		.amdhsa_exception_int_div_zero 0
	.end_amdhsa_kernel
	.section	.text._ZN7rocprim17ROCPRIM_400000_NS6detail17trampoline_kernelINS0_14default_configENS1_29reduce_by_key_config_selectorIffN6thrust23THRUST_200600_302600_NS4plusIfEEEEZZNS1_33reduce_by_key_impl_wrapped_configILNS1_25lookback_scan_determinismE1ES3_S9_NS6_6detail15normal_iteratorINS6_10device_ptrIfEEEESG_SG_SG_PmS8_NS6_8equal_toIfEEEE10hipError_tPvRmT2_T3_mT4_T5_T6_T7_T8_P12ihipStream_tbENKUlT_T0_E_clISt17integral_constantIbLb0EES11_EEDaSW_SX_EUlSW_E_NS1_11comp_targetILNS1_3genE10ELNS1_11target_archE1200ELNS1_3gpuE4ELNS1_3repE0EEENS1_30default_config_static_selectorELNS0_4arch9wavefront6targetE1EEEvT1_,"axG",@progbits,_ZN7rocprim17ROCPRIM_400000_NS6detail17trampoline_kernelINS0_14default_configENS1_29reduce_by_key_config_selectorIffN6thrust23THRUST_200600_302600_NS4plusIfEEEEZZNS1_33reduce_by_key_impl_wrapped_configILNS1_25lookback_scan_determinismE1ES3_S9_NS6_6detail15normal_iteratorINS6_10device_ptrIfEEEESG_SG_SG_PmS8_NS6_8equal_toIfEEEE10hipError_tPvRmT2_T3_mT4_T5_T6_T7_T8_P12ihipStream_tbENKUlT_T0_E_clISt17integral_constantIbLb0EES11_EEDaSW_SX_EUlSW_E_NS1_11comp_targetILNS1_3genE10ELNS1_11target_archE1200ELNS1_3gpuE4ELNS1_3repE0EEENS1_30default_config_static_selectorELNS0_4arch9wavefront6targetE1EEEvT1_,comdat
.Lfunc_end95:
	.size	_ZN7rocprim17ROCPRIM_400000_NS6detail17trampoline_kernelINS0_14default_configENS1_29reduce_by_key_config_selectorIffN6thrust23THRUST_200600_302600_NS4plusIfEEEEZZNS1_33reduce_by_key_impl_wrapped_configILNS1_25lookback_scan_determinismE1ES3_S9_NS6_6detail15normal_iteratorINS6_10device_ptrIfEEEESG_SG_SG_PmS8_NS6_8equal_toIfEEEE10hipError_tPvRmT2_T3_mT4_T5_T6_T7_T8_P12ihipStream_tbENKUlT_T0_E_clISt17integral_constantIbLb0EES11_EEDaSW_SX_EUlSW_E_NS1_11comp_targetILNS1_3genE10ELNS1_11target_archE1200ELNS1_3gpuE4ELNS1_3repE0EEENS1_30default_config_static_selectorELNS0_4arch9wavefront6targetE1EEEvT1_, .Lfunc_end95-_ZN7rocprim17ROCPRIM_400000_NS6detail17trampoline_kernelINS0_14default_configENS1_29reduce_by_key_config_selectorIffN6thrust23THRUST_200600_302600_NS4plusIfEEEEZZNS1_33reduce_by_key_impl_wrapped_configILNS1_25lookback_scan_determinismE1ES3_S9_NS6_6detail15normal_iteratorINS6_10device_ptrIfEEEESG_SG_SG_PmS8_NS6_8equal_toIfEEEE10hipError_tPvRmT2_T3_mT4_T5_T6_T7_T8_P12ihipStream_tbENKUlT_T0_E_clISt17integral_constantIbLb0EES11_EEDaSW_SX_EUlSW_E_NS1_11comp_targetILNS1_3genE10ELNS1_11target_archE1200ELNS1_3gpuE4ELNS1_3repE0EEENS1_30default_config_static_selectorELNS0_4arch9wavefront6targetE1EEEvT1_
                                        ; -- End function
	.section	.AMDGPU.csdata,"",@progbits
; Kernel info:
; codeLenInByte = 0
; NumSgprs: 4
; NumVgprs: 0
; NumAgprs: 0
; TotalNumVgprs: 0
; ScratchSize: 0
; MemoryBound: 0
; FloatMode: 240
; IeeeMode: 1
; LDSByteSize: 0 bytes/workgroup (compile time only)
; SGPRBlocks: 0
; VGPRBlocks: 0
; NumSGPRsForWavesPerEU: 4
; NumVGPRsForWavesPerEU: 1
; AccumOffset: 4
; Occupancy: 8
; WaveLimiterHint : 0
; COMPUTE_PGM_RSRC2:SCRATCH_EN: 0
; COMPUTE_PGM_RSRC2:USER_SGPR: 6
; COMPUTE_PGM_RSRC2:TRAP_HANDLER: 0
; COMPUTE_PGM_RSRC2:TGID_X_EN: 1
; COMPUTE_PGM_RSRC2:TGID_Y_EN: 0
; COMPUTE_PGM_RSRC2:TGID_Z_EN: 0
; COMPUTE_PGM_RSRC2:TIDIG_COMP_CNT: 0
; COMPUTE_PGM_RSRC3_GFX90A:ACCUM_OFFSET: 0
; COMPUTE_PGM_RSRC3_GFX90A:TG_SPLIT: 0
	.section	.text._ZN7rocprim17ROCPRIM_400000_NS6detail17trampoline_kernelINS0_14default_configENS1_29reduce_by_key_config_selectorIffN6thrust23THRUST_200600_302600_NS4plusIfEEEEZZNS1_33reduce_by_key_impl_wrapped_configILNS1_25lookback_scan_determinismE1ES3_S9_NS6_6detail15normal_iteratorINS6_10device_ptrIfEEEESG_SG_SG_PmS8_NS6_8equal_toIfEEEE10hipError_tPvRmT2_T3_mT4_T5_T6_T7_T8_P12ihipStream_tbENKUlT_T0_E_clISt17integral_constantIbLb0EES11_EEDaSW_SX_EUlSW_E_NS1_11comp_targetILNS1_3genE9ELNS1_11target_archE1100ELNS1_3gpuE3ELNS1_3repE0EEENS1_30default_config_static_selectorELNS0_4arch9wavefront6targetE1EEEvT1_,"axG",@progbits,_ZN7rocprim17ROCPRIM_400000_NS6detail17trampoline_kernelINS0_14default_configENS1_29reduce_by_key_config_selectorIffN6thrust23THRUST_200600_302600_NS4plusIfEEEEZZNS1_33reduce_by_key_impl_wrapped_configILNS1_25lookback_scan_determinismE1ES3_S9_NS6_6detail15normal_iteratorINS6_10device_ptrIfEEEESG_SG_SG_PmS8_NS6_8equal_toIfEEEE10hipError_tPvRmT2_T3_mT4_T5_T6_T7_T8_P12ihipStream_tbENKUlT_T0_E_clISt17integral_constantIbLb0EES11_EEDaSW_SX_EUlSW_E_NS1_11comp_targetILNS1_3genE9ELNS1_11target_archE1100ELNS1_3gpuE3ELNS1_3repE0EEENS1_30default_config_static_selectorELNS0_4arch9wavefront6targetE1EEEvT1_,comdat
	.protected	_ZN7rocprim17ROCPRIM_400000_NS6detail17trampoline_kernelINS0_14default_configENS1_29reduce_by_key_config_selectorIffN6thrust23THRUST_200600_302600_NS4plusIfEEEEZZNS1_33reduce_by_key_impl_wrapped_configILNS1_25lookback_scan_determinismE1ES3_S9_NS6_6detail15normal_iteratorINS6_10device_ptrIfEEEESG_SG_SG_PmS8_NS6_8equal_toIfEEEE10hipError_tPvRmT2_T3_mT4_T5_T6_T7_T8_P12ihipStream_tbENKUlT_T0_E_clISt17integral_constantIbLb0EES11_EEDaSW_SX_EUlSW_E_NS1_11comp_targetILNS1_3genE9ELNS1_11target_archE1100ELNS1_3gpuE3ELNS1_3repE0EEENS1_30default_config_static_selectorELNS0_4arch9wavefront6targetE1EEEvT1_ ; -- Begin function _ZN7rocprim17ROCPRIM_400000_NS6detail17trampoline_kernelINS0_14default_configENS1_29reduce_by_key_config_selectorIffN6thrust23THRUST_200600_302600_NS4plusIfEEEEZZNS1_33reduce_by_key_impl_wrapped_configILNS1_25lookback_scan_determinismE1ES3_S9_NS6_6detail15normal_iteratorINS6_10device_ptrIfEEEESG_SG_SG_PmS8_NS6_8equal_toIfEEEE10hipError_tPvRmT2_T3_mT4_T5_T6_T7_T8_P12ihipStream_tbENKUlT_T0_E_clISt17integral_constantIbLb0EES11_EEDaSW_SX_EUlSW_E_NS1_11comp_targetILNS1_3genE9ELNS1_11target_archE1100ELNS1_3gpuE3ELNS1_3repE0EEENS1_30default_config_static_selectorELNS0_4arch9wavefront6targetE1EEEvT1_
	.globl	_ZN7rocprim17ROCPRIM_400000_NS6detail17trampoline_kernelINS0_14default_configENS1_29reduce_by_key_config_selectorIffN6thrust23THRUST_200600_302600_NS4plusIfEEEEZZNS1_33reduce_by_key_impl_wrapped_configILNS1_25lookback_scan_determinismE1ES3_S9_NS6_6detail15normal_iteratorINS6_10device_ptrIfEEEESG_SG_SG_PmS8_NS6_8equal_toIfEEEE10hipError_tPvRmT2_T3_mT4_T5_T6_T7_T8_P12ihipStream_tbENKUlT_T0_E_clISt17integral_constantIbLb0EES11_EEDaSW_SX_EUlSW_E_NS1_11comp_targetILNS1_3genE9ELNS1_11target_archE1100ELNS1_3gpuE3ELNS1_3repE0EEENS1_30default_config_static_selectorELNS0_4arch9wavefront6targetE1EEEvT1_
	.p2align	8
	.type	_ZN7rocprim17ROCPRIM_400000_NS6detail17trampoline_kernelINS0_14default_configENS1_29reduce_by_key_config_selectorIffN6thrust23THRUST_200600_302600_NS4plusIfEEEEZZNS1_33reduce_by_key_impl_wrapped_configILNS1_25lookback_scan_determinismE1ES3_S9_NS6_6detail15normal_iteratorINS6_10device_ptrIfEEEESG_SG_SG_PmS8_NS6_8equal_toIfEEEE10hipError_tPvRmT2_T3_mT4_T5_T6_T7_T8_P12ihipStream_tbENKUlT_T0_E_clISt17integral_constantIbLb0EES11_EEDaSW_SX_EUlSW_E_NS1_11comp_targetILNS1_3genE9ELNS1_11target_archE1100ELNS1_3gpuE3ELNS1_3repE0EEENS1_30default_config_static_selectorELNS0_4arch9wavefront6targetE1EEEvT1_,@function
_ZN7rocprim17ROCPRIM_400000_NS6detail17trampoline_kernelINS0_14default_configENS1_29reduce_by_key_config_selectorIffN6thrust23THRUST_200600_302600_NS4plusIfEEEEZZNS1_33reduce_by_key_impl_wrapped_configILNS1_25lookback_scan_determinismE1ES3_S9_NS6_6detail15normal_iteratorINS6_10device_ptrIfEEEESG_SG_SG_PmS8_NS6_8equal_toIfEEEE10hipError_tPvRmT2_T3_mT4_T5_T6_T7_T8_P12ihipStream_tbENKUlT_T0_E_clISt17integral_constantIbLb0EES11_EEDaSW_SX_EUlSW_E_NS1_11comp_targetILNS1_3genE9ELNS1_11target_archE1100ELNS1_3gpuE3ELNS1_3repE0EEENS1_30default_config_static_selectorELNS0_4arch9wavefront6targetE1EEEvT1_: ; @_ZN7rocprim17ROCPRIM_400000_NS6detail17trampoline_kernelINS0_14default_configENS1_29reduce_by_key_config_selectorIffN6thrust23THRUST_200600_302600_NS4plusIfEEEEZZNS1_33reduce_by_key_impl_wrapped_configILNS1_25lookback_scan_determinismE1ES3_S9_NS6_6detail15normal_iteratorINS6_10device_ptrIfEEEESG_SG_SG_PmS8_NS6_8equal_toIfEEEE10hipError_tPvRmT2_T3_mT4_T5_T6_T7_T8_P12ihipStream_tbENKUlT_T0_E_clISt17integral_constantIbLb0EES11_EEDaSW_SX_EUlSW_E_NS1_11comp_targetILNS1_3genE9ELNS1_11target_archE1100ELNS1_3gpuE3ELNS1_3repE0EEENS1_30default_config_static_selectorELNS0_4arch9wavefront6targetE1EEEvT1_
; %bb.0:
	.section	.rodata,"a",@progbits
	.p2align	6, 0x0
	.amdhsa_kernel _ZN7rocprim17ROCPRIM_400000_NS6detail17trampoline_kernelINS0_14default_configENS1_29reduce_by_key_config_selectorIffN6thrust23THRUST_200600_302600_NS4plusIfEEEEZZNS1_33reduce_by_key_impl_wrapped_configILNS1_25lookback_scan_determinismE1ES3_S9_NS6_6detail15normal_iteratorINS6_10device_ptrIfEEEESG_SG_SG_PmS8_NS6_8equal_toIfEEEE10hipError_tPvRmT2_T3_mT4_T5_T6_T7_T8_P12ihipStream_tbENKUlT_T0_E_clISt17integral_constantIbLb0EES11_EEDaSW_SX_EUlSW_E_NS1_11comp_targetILNS1_3genE9ELNS1_11target_archE1100ELNS1_3gpuE3ELNS1_3repE0EEENS1_30default_config_static_selectorELNS0_4arch9wavefront6targetE1EEEvT1_
		.amdhsa_group_segment_fixed_size 0
		.amdhsa_private_segment_fixed_size 0
		.amdhsa_kernarg_size 120
		.amdhsa_user_sgpr_count 6
		.amdhsa_user_sgpr_private_segment_buffer 1
		.amdhsa_user_sgpr_dispatch_ptr 0
		.amdhsa_user_sgpr_queue_ptr 0
		.amdhsa_user_sgpr_kernarg_segment_ptr 1
		.amdhsa_user_sgpr_dispatch_id 0
		.amdhsa_user_sgpr_flat_scratch_init 0
		.amdhsa_user_sgpr_kernarg_preload_length 0
		.amdhsa_user_sgpr_kernarg_preload_offset 0
		.amdhsa_user_sgpr_private_segment_size 0
		.amdhsa_uses_dynamic_stack 0
		.amdhsa_system_sgpr_private_segment_wavefront_offset 0
		.amdhsa_system_sgpr_workgroup_id_x 1
		.amdhsa_system_sgpr_workgroup_id_y 0
		.amdhsa_system_sgpr_workgroup_id_z 0
		.amdhsa_system_sgpr_workgroup_info 0
		.amdhsa_system_vgpr_workitem_id 0
		.amdhsa_next_free_vgpr 1
		.amdhsa_next_free_sgpr 0
		.amdhsa_accum_offset 4
		.amdhsa_reserve_vcc 0
		.amdhsa_reserve_flat_scratch 0
		.amdhsa_float_round_mode_32 0
		.amdhsa_float_round_mode_16_64 0
		.amdhsa_float_denorm_mode_32 3
		.amdhsa_float_denorm_mode_16_64 3
		.amdhsa_dx10_clamp 1
		.amdhsa_ieee_mode 1
		.amdhsa_fp16_overflow 0
		.amdhsa_tg_split 0
		.amdhsa_exception_fp_ieee_invalid_op 0
		.amdhsa_exception_fp_denorm_src 0
		.amdhsa_exception_fp_ieee_div_zero 0
		.amdhsa_exception_fp_ieee_overflow 0
		.amdhsa_exception_fp_ieee_underflow 0
		.amdhsa_exception_fp_ieee_inexact 0
		.amdhsa_exception_int_div_zero 0
	.end_amdhsa_kernel
	.section	.text._ZN7rocprim17ROCPRIM_400000_NS6detail17trampoline_kernelINS0_14default_configENS1_29reduce_by_key_config_selectorIffN6thrust23THRUST_200600_302600_NS4plusIfEEEEZZNS1_33reduce_by_key_impl_wrapped_configILNS1_25lookback_scan_determinismE1ES3_S9_NS6_6detail15normal_iteratorINS6_10device_ptrIfEEEESG_SG_SG_PmS8_NS6_8equal_toIfEEEE10hipError_tPvRmT2_T3_mT4_T5_T6_T7_T8_P12ihipStream_tbENKUlT_T0_E_clISt17integral_constantIbLb0EES11_EEDaSW_SX_EUlSW_E_NS1_11comp_targetILNS1_3genE9ELNS1_11target_archE1100ELNS1_3gpuE3ELNS1_3repE0EEENS1_30default_config_static_selectorELNS0_4arch9wavefront6targetE1EEEvT1_,"axG",@progbits,_ZN7rocprim17ROCPRIM_400000_NS6detail17trampoline_kernelINS0_14default_configENS1_29reduce_by_key_config_selectorIffN6thrust23THRUST_200600_302600_NS4plusIfEEEEZZNS1_33reduce_by_key_impl_wrapped_configILNS1_25lookback_scan_determinismE1ES3_S9_NS6_6detail15normal_iteratorINS6_10device_ptrIfEEEESG_SG_SG_PmS8_NS6_8equal_toIfEEEE10hipError_tPvRmT2_T3_mT4_T5_T6_T7_T8_P12ihipStream_tbENKUlT_T0_E_clISt17integral_constantIbLb0EES11_EEDaSW_SX_EUlSW_E_NS1_11comp_targetILNS1_3genE9ELNS1_11target_archE1100ELNS1_3gpuE3ELNS1_3repE0EEENS1_30default_config_static_selectorELNS0_4arch9wavefront6targetE1EEEvT1_,comdat
.Lfunc_end96:
	.size	_ZN7rocprim17ROCPRIM_400000_NS6detail17trampoline_kernelINS0_14default_configENS1_29reduce_by_key_config_selectorIffN6thrust23THRUST_200600_302600_NS4plusIfEEEEZZNS1_33reduce_by_key_impl_wrapped_configILNS1_25lookback_scan_determinismE1ES3_S9_NS6_6detail15normal_iteratorINS6_10device_ptrIfEEEESG_SG_SG_PmS8_NS6_8equal_toIfEEEE10hipError_tPvRmT2_T3_mT4_T5_T6_T7_T8_P12ihipStream_tbENKUlT_T0_E_clISt17integral_constantIbLb0EES11_EEDaSW_SX_EUlSW_E_NS1_11comp_targetILNS1_3genE9ELNS1_11target_archE1100ELNS1_3gpuE3ELNS1_3repE0EEENS1_30default_config_static_selectorELNS0_4arch9wavefront6targetE1EEEvT1_, .Lfunc_end96-_ZN7rocprim17ROCPRIM_400000_NS6detail17trampoline_kernelINS0_14default_configENS1_29reduce_by_key_config_selectorIffN6thrust23THRUST_200600_302600_NS4plusIfEEEEZZNS1_33reduce_by_key_impl_wrapped_configILNS1_25lookback_scan_determinismE1ES3_S9_NS6_6detail15normal_iteratorINS6_10device_ptrIfEEEESG_SG_SG_PmS8_NS6_8equal_toIfEEEE10hipError_tPvRmT2_T3_mT4_T5_T6_T7_T8_P12ihipStream_tbENKUlT_T0_E_clISt17integral_constantIbLb0EES11_EEDaSW_SX_EUlSW_E_NS1_11comp_targetILNS1_3genE9ELNS1_11target_archE1100ELNS1_3gpuE3ELNS1_3repE0EEENS1_30default_config_static_selectorELNS0_4arch9wavefront6targetE1EEEvT1_
                                        ; -- End function
	.section	.AMDGPU.csdata,"",@progbits
; Kernel info:
; codeLenInByte = 0
; NumSgprs: 4
; NumVgprs: 0
; NumAgprs: 0
; TotalNumVgprs: 0
; ScratchSize: 0
; MemoryBound: 0
; FloatMode: 240
; IeeeMode: 1
; LDSByteSize: 0 bytes/workgroup (compile time only)
; SGPRBlocks: 0
; VGPRBlocks: 0
; NumSGPRsForWavesPerEU: 4
; NumVGPRsForWavesPerEU: 1
; AccumOffset: 4
; Occupancy: 8
; WaveLimiterHint : 0
; COMPUTE_PGM_RSRC2:SCRATCH_EN: 0
; COMPUTE_PGM_RSRC2:USER_SGPR: 6
; COMPUTE_PGM_RSRC2:TRAP_HANDLER: 0
; COMPUTE_PGM_RSRC2:TGID_X_EN: 1
; COMPUTE_PGM_RSRC2:TGID_Y_EN: 0
; COMPUTE_PGM_RSRC2:TGID_Z_EN: 0
; COMPUTE_PGM_RSRC2:TIDIG_COMP_CNT: 0
; COMPUTE_PGM_RSRC3_GFX90A:ACCUM_OFFSET: 0
; COMPUTE_PGM_RSRC3_GFX90A:TG_SPLIT: 0
	.section	.text._ZN7rocprim17ROCPRIM_400000_NS6detail17trampoline_kernelINS0_14default_configENS1_29reduce_by_key_config_selectorIffN6thrust23THRUST_200600_302600_NS4plusIfEEEEZZNS1_33reduce_by_key_impl_wrapped_configILNS1_25lookback_scan_determinismE1ES3_S9_NS6_6detail15normal_iteratorINS6_10device_ptrIfEEEESG_SG_SG_PmS8_NS6_8equal_toIfEEEE10hipError_tPvRmT2_T3_mT4_T5_T6_T7_T8_P12ihipStream_tbENKUlT_T0_E_clISt17integral_constantIbLb0EES11_EEDaSW_SX_EUlSW_E_NS1_11comp_targetILNS1_3genE8ELNS1_11target_archE1030ELNS1_3gpuE2ELNS1_3repE0EEENS1_30default_config_static_selectorELNS0_4arch9wavefront6targetE1EEEvT1_,"axG",@progbits,_ZN7rocprim17ROCPRIM_400000_NS6detail17trampoline_kernelINS0_14default_configENS1_29reduce_by_key_config_selectorIffN6thrust23THRUST_200600_302600_NS4plusIfEEEEZZNS1_33reduce_by_key_impl_wrapped_configILNS1_25lookback_scan_determinismE1ES3_S9_NS6_6detail15normal_iteratorINS6_10device_ptrIfEEEESG_SG_SG_PmS8_NS6_8equal_toIfEEEE10hipError_tPvRmT2_T3_mT4_T5_T6_T7_T8_P12ihipStream_tbENKUlT_T0_E_clISt17integral_constantIbLb0EES11_EEDaSW_SX_EUlSW_E_NS1_11comp_targetILNS1_3genE8ELNS1_11target_archE1030ELNS1_3gpuE2ELNS1_3repE0EEENS1_30default_config_static_selectorELNS0_4arch9wavefront6targetE1EEEvT1_,comdat
	.protected	_ZN7rocprim17ROCPRIM_400000_NS6detail17trampoline_kernelINS0_14default_configENS1_29reduce_by_key_config_selectorIffN6thrust23THRUST_200600_302600_NS4plusIfEEEEZZNS1_33reduce_by_key_impl_wrapped_configILNS1_25lookback_scan_determinismE1ES3_S9_NS6_6detail15normal_iteratorINS6_10device_ptrIfEEEESG_SG_SG_PmS8_NS6_8equal_toIfEEEE10hipError_tPvRmT2_T3_mT4_T5_T6_T7_T8_P12ihipStream_tbENKUlT_T0_E_clISt17integral_constantIbLb0EES11_EEDaSW_SX_EUlSW_E_NS1_11comp_targetILNS1_3genE8ELNS1_11target_archE1030ELNS1_3gpuE2ELNS1_3repE0EEENS1_30default_config_static_selectorELNS0_4arch9wavefront6targetE1EEEvT1_ ; -- Begin function _ZN7rocprim17ROCPRIM_400000_NS6detail17trampoline_kernelINS0_14default_configENS1_29reduce_by_key_config_selectorIffN6thrust23THRUST_200600_302600_NS4plusIfEEEEZZNS1_33reduce_by_key_impl_wrapped_configILNS1_25lookback_scan_determinismE1ES3_S9_NS6_6detail15normal_iteratorINS6_10device_ptrIfEEEESG_SG_SG_PmS8_NS6_8equal_toIfEEEE10hipError_tPvRmT2_T3_mT4_T5_T6_T7_T8_P12ihipStream_tbENKUlT_T0_E_clISt17integral_constantIbLb0EES11_EEDaSW_SX_EUlSW_E_NS1_11comp_targetILNS1_3genE8ELNS1_11target_archE1030ELNS1_3gpuE2ELNS1_3repE0EEENS1_30default_config_static_selectorELNS0_4arch9wavefront6targetE1EEEvT1_
	.globl	_ZN7rocprim17ROCPRIM_400000_NS6detail17trampoline_kernelINS0_14default_configENS1_29reduce_by_key_config_selectorIffN6thrust23THRUST_200600_302600_NS4plusIfEEEEZZNS1_33reduce_by_key_impl_wrapped_configILNS1_25lookback_scan_determinismE1ES3_S9_NS6_6detail15normal_iteratorINS6_10device_ptrIfEEEESG_SG_SG_PmS8_NS6_8equal_toIfEEEE10hipError_tPvRmT2_T3_mT4_T5_T6_T7_T8_P12ihipStream_tbENKUlT_T0_E_clISt17integral_constantIbLb0EES11_EEDaSW_SX_EUlSW_E_NS1_11comp_targetILNS1_3genE8ELNS1_11target_archE1030ELNS1_3gpuE2ELNS1_3repE0EEENS1_30default_config_static_selectorELNS0_4arch9wavefront6targetE1EEEvT1_
	.p2align	8
	.type	_ZN7rocprim17ROCPRIM_400000_NS6detail17trampoline_kernelINS0_14default_configENS1_29reduce_by_key_config_selectorIffN6thrust23THRUST_200600_302600_NS4plusIfEEEEZZNS1_33reduce_by_key_impl_wrapped_configILNS1_25lookback_scan_determinismE1ES3_S9_NS6_6detail15normal_iteratorINS6_10device_ptrIfEEEESG_SG_SG_PmS8_NS6_8equal_toIfEEEE10hipError_tPvRmT2_T3_mT4_T5_T6_T7_T8_P12ihipStream_tbENKUlT_T0_E_clISt17integral_constantIbLb0EES11_EEDaSW_SX_EUlSW_E_NS1_11comp_targetILNS1_3genE8ELNS1_11target_archE1030ELNS1_3gpuE2ELNS1_3repE0EEENS1_30default_config_static_selectorELNS0_4arch9wavefront6targetE1EEEvT1_,@function
_ZN7rocprim17ROCPRIM_400000_NS6detail17trampoline_kernelINS0_14default_configENS1_29reduce_by_key_config_selectorIffN6thrust23THRUST_200600_302600_NS4plusIfEEEEZZNS1_33reduce_by_key_impl_wrapped_configILNS1_25lookback_scan_determinismE1ES3_S9_NS6_6detail15normal_iteratorINS6_10device_ptrIfEEEESG_SG_SG_PmS8_NS6_8equal_toIfEEEE10hipError_tPvRmT2_T3_mT4_T5_T6_T7_T8_P12ihipStream_tbENKUlT_T0_E_clISt17integral_constantIbLb0EES11_EEDaSW_SX_EUlSW_E_NS1_11comp_targetILNS1_3genE8ELNS1_11target_archE1030ELNS1_3gpuE2ELNS1_3repE0EEENS1_30default_config_static_selectorELNS0_4arch9wavefront6targetE1EEEvT1_: ; @_ZN7rocprim17ROCPRIM_400000_NS6detail17trampoline_kernelINS0_14default_configENS1_29reduce_by_key_config_selectorIffN6thrust23THRUST_200600_302600_NS4plusIfEEEEZZNS1_33reduce_by_key_impl_wrapped_configILNS1_25lookback_scan_determinismE1ES3_S9_NS6_6detail15normal_iteratorINS6_10device_ptrIfEEEESG_SG_SG_PmS8_NS6_8equal_toIfEEEE10hipError_tPvRmT2_T3_mT4_T5_T6_T7_T8_P12ihipStream_tbENKUlT_T0_E_clISt17integral_constantIbLb0EES11_EEDaSW_SX_EUlSW_E_NS1_11comp_targetILNS1_3genE8ELNS1_11target_archE1030ELNS1_3gpuE2ELNS1_3repE0EEENS1_30default_config_static_selectorELNS0_4arch9wavefront6targetE1EEEvT1_
; %bb.0:
	.section	.rodata,"a",@progbits
	.p2align	6, 0x0
	.amdhsa_kernel _ZN7rocprim17ROCPRIM_400000_NS6detail17trampoline_kernelINS0_14default_configENS1_29reduce_by_key_config_selectorIffN6thrust23THRUST_200600_302600_NS4plusIfEEEEZZNS1_33reduce_by_key_impl_wrapped_configILNS1_25lookback_scan_determinismE1ES3_S9_NS6_6detail15normal_iteratorINS6_10device_ptrIfEEEESG_SG_SG_PmS8_NS6_8equal_toIfEEEE10hipError_tPvRmT2_T3_mT4_T5_T6_T7_T8_P12ihipStream_tbENKUlT_T0_E_clISt17integral_constantIbLb0EES11_EEDaSW_SX_EUlSW_E_NS1_11comp_targetILNS1_3genE8ELNS1_11target_archE1030ELNS1_3gpuE2ELNS1_3repE0EEENS1_30default_config_static_selectorELNS0_4arch9wavefront6targetE1EEEvT1_
		.amdhsa_group_segment_fixed_size 0
		.amdhsa_private_segment_fixed_size 0
		.amdhsa_kernarg_size 120
		.amdhsa_user_sgpr_count 6
		.amdhsa_user_sgpr_private_segment_buffer 1
		.amdhsa_user_sgpr_dispatch_ptr 0
		.amdhsa_user_sgpr_queue_ptr 0
		.amdhsa_user_sgpr_kernarg_segment_ptr 1
		.amdhsa_user_sgpr_dispatch_id 0
		.amdhsa_user_sgpr_flat_scratch_init 0
		.amdhsa_user_sgpr_kernarg_preload_length 0
		.amdhsa_user_sgpr_kernarg_preload_offset 0
		.amdhsa_user_sgpr_private_segment_size 0
		.amdhsa_uses_dynamic_stack 0
		.amdhsa_system_sgpr_private_segment_wavefront_offset 0
		.amdhsa_system_sgpr_workgroup_id_x 1
		.amdhsa_system_sgpr_workgroup_id_y 0
		.amdhsa_system_sgpr_workgroup_id_z 0
		.amdhsa_system_sgpr_workgroup_info 0
		.amdhsa_system_vgpr_workitem_id 0
		.amdhsa_next_free_vgpr 1
		.amdhsa_next_free_sgpr 0
		.amdhsa_accum_offset 4
		.amdhsa_reserve_vcc 0
		.amdhsa_reserve_flat_scratch 0
		.amdhsa_float_round_mode_32 0
		.amdhsa_float_round_mode_16_64 0
		.amdhsa_float_denorm_mode_32 3
		.amdhsa_float_denorm_mode_16_64 3
		.amdhsa_dx10_clamp 1
		.amdhsa_ieee_mode 1
		.amdhsa_fp16_overflow 0
		.amdhsa_tg_split 0
		.amdhsa_exception_fp_ieee_invalid_op 0
		.amdhsa_exception_fp_denorm_src 0
		.amdhsa_exception_fp_ieee_div_zero 0
		.amdhsa_exception_fp_ieee_overflow 0
		.amdhsa_exception_fp_ieee_underflow 0
		.amdhsa_exception_fp_ieee_inexact 0
		.amdhsa_exception_int_div_zero 0
	.end_amdhsa_kernel
	.section	.text._ZN7rocprim17ROCPRIM_400000_NS6detail17trampoline_kernelINS0_14default_configENS1_29reduce_by_key_config_selectorIffN6thrust23THRUST_200600_302600_NS4plusIfEEEEZZNS1_33reduce_by_key_impl_wrapped_configILNS1_25lookback_scan_determinismE1ES3_S9_NS6_6detail15normal_iteratorINS6_10device_ptrIfEEEESG_SG_SG_PmS8_NS6_8equal_toIfEEEE10hipError_tPvRmT2_T3_mT4_T5_T6_T7_T8_P12ihipStream_tbENKUlT_T0_E_clISt17integral_constantIbLb0EES11_EEDaSW_SX_EUlSW_E_NS1_11comp_targetILNS1_3genE8ELNS1_11target_archE1030ELNS1_3gpuE2ELNS1_3repE0EEENS1_30default_config_static_selectorELNS0_4arch9wavefront6targetE1EEEvT1_,"axG",@progbits,_ZN7rocprim17ROCPRIM_400000_NS6detail17trampoline_kernelINS0_14default_configENS1_29reduce_by_key_config_selectorIffN6thrust23THRUST_200600_302600_NS4plusIfEEEEZZNS1_33reduce_by_key_impl_wrapped_configILNS1_25lookback_scan_determinismE1ES3_S9_NS6_6detail15normal_iteratorINS6_10device_ptrIfEEEESG_SG_SG_PmS8_NS6_8equal_toIfEEEE10hipError_tPvRmT2_T3_mT4_T5_T6_T7_T8_P12ihipStream_tbENKUlT_T0_E_clISt17integral_constantIbLb0EES11_EEDaSW_SX_EUlSW_E_NS1_11comp_targetILNS1_3genE8ELNS1_11target_archE1030ELNS1_3gpuE2ELNS1_3repE0EEENS1_30default_config_static_selectorELNS0_4arch9wavefront6targetE1EEEvT1_,comdat
.Lfunc_end97:
	.size	_ZN7rocprim17ROCPRIM_400000_NS6detail17trampoline_kernelINS0_14default_configENS1_29reduce_by_key_config_selectorIffN6thrust23THRUST_200600_302600_NS4plusIfEEEEZZNS1_33reduce_by_key_impl_wrapped_configILNS1_25lookback_scan_determinismE1ES3_S9_NS6_6detail15normal_iteratorINS6_10device_ptrIfEEEESG_SG_SG_PmS8_NS6_8equal_toIfEEEE10hipError_tPvRmT2_T3_mT4_T5_T6_T7_T8_P12ihipStream_tbENKUlT_T0_E_clISt17integral_constantIbLb0EES11_EEDaSW_SX_EUlSW_E_NS1_11comp_targetILNS1_3genE8ELNS1_11target_archE1030ELNS1_3gpuE2ELNS1_3repE0EEENS1_30default_config_static_selectorELNS0_4arch9wavefront6targetE1EEEvT1_, .Lfunc_end97-_ZN7rocprim17ROCPRIM_400000_NS6detail17trampoline_kernelINS0_14default_configENS1_29reduce_by_key_config_selectorIffN6thrust23THRUST_200600_302600_NS4plusIfEEEEZZNS1_33reduce_by_key_impl_wrapped_configILNS1_25lookback_scan_determinismE1ES3_S9_NS6_6detail15normal_iteratorINS6_10device_ptrIfEEEESG_SG_SG_PmS8_NS6_8equal_toIfEEEE10hipError_tPvRmT2_T3_mT4_T5_T6_T7_T8_P12ihipStream_tbENKUlT_T0_E_clISt17integral_constantIbLb0EES11_EEDaSW_SX_EUlSW_E_NS1_11comp_targetILNS1_3genE8ELNS1_11target_archE1030ELNS1_3gpuE2ELNS1_3repE0EEENS1_30default_config_static_selectorELNS0_4arch9wavefront6targetE1EEEvT1_
                                        ; -- End function
	.section	.AMDGPU.csdata,"",@progbits
; Kernel info:
; codeLenInByte = 0
; NumSgprs: 4
; NumVgprs: 0
; NumAgprs: 0
; TotalNumVgprs: 0
; ScratchSize: 0
; MemoryBound: 0
; FloatMode: 240
; IeeeMode: 1
; LDSByteSize: 0 bytes/workgroup (compile time only)
; SGPRBlocks: 0
; VGPRBlocks: 0
; NumSGPRsForWavesPerEU: 4
; NumVGPRsForWavesPerEU: 1
; AccumOffset: 4
; Occupancy: 8
; WaveLimiterHint : 0
; COMPUTE_PGM_RSRC2:SCRATCH_EN: 0
; COMPUTE_PGM_RSRC2:USER_SGPR: 6
; COMPUTE_PGM_RSRC2:TRAP_HANDLER: 0
; COMPUTE_PGM_RSRC2:TGID_X_EN: 1
; COMPUTE_PGM_RSRC2:TGID_Y_EN: 0
; COMPUTE_PGM_RSRC2:TGID_Z_EN: 0
; COMPUTE_PGM_RSRC2:TIDIG_COMP_CNT: 0
; COMPUTE_PGM_RSRC3_GFX90A:ACCUM_OFFSET: 0
; COMPUTE_PGM_RSRC3_GFX90A:TG_SPLIT: 0
	.section	.text._ZN7rocprim17ROCPRIM_400000_NS6detail25reduce_by_key_init_kernelINS1_19lookback_scan_stateINS0_5tupleIJjfEEELb1ELb1EEEfNS1_16block_id_wrapperIjLb1EEEEEvT_jbjPmPT0_T1_,"axG",@progbits,_ZN7rocprim17ROCPRIM_400000_NS6detail25reduce_by_key_init_kernelINS1_19lookback_scan_stateINS0_5tupleIJjfEEELb1ELb1EEEfNS1_16block_id_wrapperIjLb1EEEEEvT_jbjPmPT0_T1_,comdat
	.protected	_ZN7rocprim17ROCPRIM_400000_NS6detail25reduce_by_key_init_kernelINS1_19lookback_scan_stateINS0_5tupleIJjfEEELb1ELb1EEEfNS1_16block_id_wrapperIjLb1EEEEEvT_jbjPmPT0_T1_ ; -- Begin function _ZN7rocprim17ROCPRIM_400000_NS6detail25reduce_by_key_init_kernelINS1_19lookback_scan_stateINS0_5tupleIJjfEEELb1ELb1EEEfNS1_16block_id_wrapperIjLb1EEEEEvT_jbjPmPT0_T1_
	.globl	_ZN7rocprim17ROCPRIM_400000_NS6detail25reduce_by_key_init_kernelINS1_19lookback_scan_stateINS0_5tupleIJjfEEELb1ELb1EEEfNS1_16block_id_wrapperIjLb1EEEEEvT_jbjPmPT0_T1_
	.p2align	8
	.type	_ZN7rocprim17ROCPRIM_400000_NS6detail25reduce_by_key_init_kernelINS1_19lookback_scan_stateINS0_5tupleIJjfEEELb1ELb1EEEfNS1_16block_id_wrapperIjLb1EEEEEvT_jbjPmPT0_T1_,@function
_ZN7rocprim17ROCPRIM_400000_NS6detail25reduce_by_key_init_kernelINS1_19lookback_scan_stateINS0_5tupleIJjfEEELb1ELb1EEEfNS1_16block_id_wrapperIjLb1EEEEEvT_jbjPmPT0_T1_: ; @_ZN7rocprim17ROCPRIM_400000_NS6detail25reduce_by_key_init_kernelINS1_19lookback_scan_stateINS0_5tupleIJjfEEELb1ELb1EEEfNS1_16block_id_wrapperIjLb1EEEEEvT_jbjPmPT0_T1_
; %bb.0:
	s_load_dwordx8 s[8:15], s[4:5], 0x8
	s_load_dword s0, s[4:5], 0x3c
	s_load_dwordx2 s[16:17], s[4:5], 0x28
	s_load_dwordx2 s[2:3], s[4:5], 0x0
	s_waitcnt lgkmcnt(0)
	s_and_b32 s1, s9, 1
	s_and_b32 s0, s0, 0xffff
	s_mul_i32 s6, s6, s0
	s_cmp_eq_u32 s1, 0
	v_add_u32_e32 v0, s6, v0
	s_mov_b64 s[0:1], -1
	s_cbranch_scc1 .LBB98_6
; %bb.1:
	s_andn2_b64 vcc, exec, s[0:1]
	v_cmp_eq_u32_e64 s[0:1], 0, v0
	s_cbranch_vccz .LBB98_15
.LBB98_2:
	v_cmp_eq_u32_e32 vcc, 0, v0
	s_and_saveexec_b64 s[0:1], vcc
	s_cbranch_execnz .LBB98_18
.LBB98_3:
	s_or_b64 exec, exec, s[0:1]
	v_cmp_gt_u32_e32 vcc, s8, v0
	s_and_saveexec_b64 s[0:1], vcc
	s_cbranch_execnz .LBB98_19
.LBB98_4:
	s_or_b64 exec, exec, s[0:1]
	v_cmp_gt_u32_e32 vcc, 64, v0
	s_and_saveexec_b64 s[0:1], vcc
	s_cbranch_execnz .LBB98_20
.LBB98_5:
	s_endpgm
.LBB98_6:
	s_cmp_lt_u32 s10, s8
	s_cselect_b32 s0, s10, 0
	v_cmp_eq_u32_e32 vcc, s0, v0
	s_and_saveexec_b64 s[0:1], vcc
	s_cbranch_execz .LBB98_14
; %bb.7:
	s_add_i32 s4, s10, 64
	s_mov_b32 s5, 0
	s_lshl_b64 s[4:5], s[4:5], 4
	s_add_u32 s10, s2, s4
	s_addc_u32 s11, s3, s5
	v_pk_mov_b32 v[2:3], s[10:11], s[10:11] op_sel:[0,1]
	v_mov_b32_e32 v7, 0
	;;#ASMSTART
	global_load_dwordx4 v[2:5], v[2:3] off glc	
s_waitcnt vmcnt(0)
	;;#ASMEND
	v_and_b32_e32 v6, 0xff, v4
	v_lshrrev_b64 v[12:13], 8, v[2:3]
	v_lshrrev_b64 v[10:11], 16, v[2:3]
	;; [unrolled: 1-line block ×3, first 2 shown]
	s_mov_b64 s[6:7], 0
	v_cmp_eq_u64_e32 vcc, 0, v[6:7]
	s_and_saveexec_b64 s[4:5], vcc
	s_cbranch_execz .LBB98_13
; %bb.8:
	s_mov_b32 s9, 1
	v_pk_mov_b32 v[8:9], s[10:11], s[10:11] op_sel:[0,1]
.LBB98_9:                               ; =>This Loop Header: Depth=1
                                        ;     Child Loop BB98_10 Depth 2
	s_max_u32 s10, s9, 1
.LBB98_10:                              ;   Parent Loop BB98_9 Depth=1
                                        ; =>  This Inner Loop Header: Depth=2
	s_add_i32 s10, s10, -1
	s_cmp_eq_u32 s10, 0
	s_sleep 1
	s_cbranch_scc0 .LBB98_10
; %bb.11:                               ;   in Loop: Header=BB98_9 Depth=1
	s_cmp_lt_u32 s9, 32
	s_cselect_b64 s[10:11], -1, 0
	s_cmp_lg_u64 s[10:11], 0
	;;#ASMSTART
	global_load_dwordx4 v[2:5], v[8:9] off glc	
s_waitcnt vmcnt(0)
	;;#ASMEND
	v_and_b32_e32 v6, 0xff, v4
	s_addc_u32 s9, s9, 0
	v_cmp_ne_u64_e32 vcc, 0, v[6:7]
	s_or_b64 s[6:7], vcc, s[6:7]
	s_andn2_b64 exec, exec, s[6:7]
	s_cbranch_execnz .LBB98_9
; %bb.12:
	s_or_b64 exec, exec, s[6:7]
	v_lshrrev_b64 v[8:9], 24, v[2:3]
	v_lshrrev_b64 v[10:11], 16, v[2:3]
	;; [unrolled: 1-line block ×3, first 2 shown]
.LBB98_13:
	s_or_b64 exec, exec, s[4:5]
	v_mov_b32_e32 v1, 0
	global_load_dwordx2 v[4:5], v1, s[12:13]
	v_lshlrev_b32_e32 v6, 24, v8
	v_lshlrev_b32_e32 v8, 8, v12
	s_mov_b32 s4, 0xc0c0500
	v_lshlrev_b32_e32 v7, 16, v10
	s_mov_b32 s5, 0xff0000
	v_perm_b32 v2, v8, v2, s4
	v_and_or_b32 v2, v7, s5, v2
	s_waitcnt vmcnt(0)
	v_add_co_u32_e32 v2, vcc, v2, v4
	v_addc_co_u32_e32 v5, vcc, 0, v5, vcc
	v_add_co_u32_e32 v4, vcc, v2, v6
	v_addc_co_u32_e32 v5, vcc, 0, v5, vcc
	global_store_dwordx2 v1, v[4:5], s[12:13]
	global_store_dword v1, v3, s[14:15]
.LBB98_14:
	s_or_b64 exec, exec, s[0:1]
	v_cmp_eq_u32_e64 s[0:1], 0, v0
	s_cbranch_execnz .LBB98_2
.LBB98_15:
	s_cmp_lg_u64 s[12:13], 0
	s_cselect_b64 s[4:5], -1, 0
	s_and_b64 s[4:5], s[4:5], s[0:1]
	s_and_saveexec_b64 s[0:1], s[4:5]
	s_cbranch_execz .LBB98_17
; %bb.16:
	v_mov_b32_e32 v2, 0
	v_mov_b32_e32 v3, v2
	global_store_dwordx2 v2, v[2:3], s[12:13]
.LBB98_17:
	s_or_b64 exec, exec, s[0:1]
	v_cmp_eq_u32_e32 vcc, 0, v0
	s_and_saveexec_b64 s[0:1], vcc
	s_cbranch_execz .LBB98_3
.LBB98_18:
	v_mov_b32_e32 v1, 0
	global_store_dword v1, v1, s[16:17]
	s_or_b64 exec, exec, s[0:1]
	v_cmp_gt_u32_e32 vcc, s8, v0
	s_and_saveexec_b64 s[0:1], vcc
	s_cbranch_execz .LBB98_4
.LBB98_19:
	v_add_u32_e32 v2, 64, v0
	v_mov_b32_e32 v3, 0
	v_lshlrev_b64 v[4:5], 4, v[2:3]
	v_mov_b32_e32 v1, s3
	v_add_co_u32_e32 v6, vcc, s2, v4
	v_addc_co_u32_e32 v7, vcc, v1, v5, vcc
	v_mov_b32_e32 v2, v3
	v_mov_b32_e32 v4, v3
	;; [unrolled: 1-line block ×3, first 2 shown]
	global_store_dwordx4 v[6:7], v[2:5], off
	s_or_b64 exec, exec, s[0:1]
	v_cmp_gt_u32_e32 vcc, 64, v0
	s_and_saveexec_b64 s[0:1], vcc
	s_cbranch_execz .LBB98_5
.LBB98_20:
	v_mov_b32_e32 v1, 0
	v_lshlrev_b64 v[2:3], 4, v[0:1]
	v_mov_b32_e32 v0, s3
	v_add_co_u32_e32 v4, vcc, s2, v2
	v_addc_co_u32_e32 v5, vcc, v0, v3, vcc
	v_mov_b32_e32 v2, 0xff
	v_mov_b32_e32 v0, v1
	;; [unrolled: 1-line block ×3, first 2 shown]
	global_store_dwordx4 v[4:5], v[0:3], off
	s_endpgm
	.section	.rodata,"a",@progbits
	.p2align	6, 0x0
	.amdhsa_kernel _ZN7rocprim17ROCPRIM_400000_NS6detail25reduce_by_key_init_kernelINS1_19lookback_scan_stateINS0_5tupleIJjfEEELb1ELb1EEEfNS1_16block_id_wrapperIjLb1EEEEEvT_jbjPmPT0_T1_
		.amdhsa_group_segment_fixed_size 0
		.amdhsa_private_segment_fixed_size 0
		.amdhsa_kernarg_size 304
		.amdhsa_user_sgpr_count 6
		.amdhsa_user_sgpr_private_segment_buffer 1
		.amdhsa_user_sgpr_dispatch_ptr 0
		.amdhsa_user_sgpr_queue_ptr 0
		.amdhsa_user_sgpr_kernarg_segment_ptr 1
		.amdhsa_user_sgpr_dispatch_id 0
		.amdhsa_user_sgpr_flat_scratch_init 0
		.amdhsa_user_sgpr_kernarg_preload_length 0
		.amdhsa_user_sgpr_kernarg_preload_offset 0
		.amdhsa_user_sgpr_private_segment_size 0
		.amdhsa_uses_dynamic_stack 0
		.amdhsa_system_sgpr_private_segment_wavefront_offset 0
		.amdhsa_system_sgpr_workgroup_id_x 1
		.amdhsa_system_sgpr_workgroup_id_y 0
		.amdhsa_system_sgpr_workgroup_id_z 0
		.amdhsa_system_sgpr_workgroup_info 0
		.amdhsa_system_vgpr_workitem_id 0
		.amdhsa_next_free_vgpr 14
		.amdhsa_next_free_sgpr 18
		.amdhsa_accum_offset 16
		.amdhsa_reserve_vcc 1
		.amdhsa_reserve_flat_scratch 0
		.amdhsa_float_round_mode_32 0
		.amdhsa_float_round_mode_16_64 0
		.amdhsa_float_denorm_mode_32 3
		.amdhsa_float_denorm_mode_16_64 3
		.amdhsa_dx10_clamp 1
		.amdhsa_ieee_mode 1
		.amdhsa_fp16_overflow 0
		.amdhsa_tg_split 0
		.amdhsa_exception_fp_ieee_invalid_op 0
		.amdhsa_exception_fp_denorm_src 0
		.amdhsa_exception_fp_ieee_div_zero 0
		.amdhsa_exception_fp_ieee_overflow 0
		.amdhsa_exception_fp_ieee_underflow 0
		.amdhsa_exception_fp_ieee_inexact 0
		.amdhsa_exception_int_div_zero 0
	.end_amdhsa_kernel
	.section	.text._ZN7rocprim17ROCPRIM_400000_NS6detail25reduce_by_key_init_kernelINS1_19lookback_scan_stateINS0_5tupleIJjfEEELb1ELb1EEEfNS1_16block_id_wrapperIjLb1EEEEEvT_jbjPmPT0_T1_,"axG",@progbits,_ZN7rocprim17ROCPRIM_400000_NS6detail25reduce_by_key_init_kernelINS1_19lookback_scan_stateINS0_5tupleIJjfEEELb1ELb1EEEfNS1_16block_id_wrapperIjLb1EEEEEvT_jbjPmPT0_T1_,comdat
.Lfunc_end98:
	.size	_ZN7rocprim17ROCPRIM_400000_NS6detail25reduce_by_key_init_kernelINS1_19lookback_scan_stateINS0_5tupleIJjfEEELb1ELb1EEEfNS1_16block_id_wrapperIjLb1EEEEEvT_jbjPmPT0_T1_, .Lfunc_end98-_ZN7rocprim17ROCPRIM_400000_NS6detail25reduce_by_key_init_kernelINS1_19lookback_scan_stateINS0_5tupleIJjfEEELb1ELb1EEEfNS1_16block_id_wrapperIjLb1EEEEEvT_jbjPmPT0_T1_
                                        ; -- End function
	.section	.AMDGPU.csdata,"",@progbits
; Kernel info:
; codeLenInByte = 672
; NumSgprs: 22
; NumVgprs: 14
; NumAgprs: 0
; TotalNumVgprs: 14
; ScratchSize: 0
; MemoryBound: 0
; FloatMode: 240
; IeeeMode: 1
; LDSByteSize: 0 bytes/workgroup (compile time only)
; SGPRBlocks: 2
; VGPRBlocks: 1
; NumSGPRsForWavesPerEU: 22
; NumVGPRsForWavesPerEU: 14
; AccumOffset: 16
; Occupancy: 8
; WaveLimiterHint : 0
; COMPUTE_PGM_RSRC2:SCRATCH_EN: 0
; COMPUTE_PGM_RSRC2:USER_SGPR: 6
; COMPUTE_PGM_RSRC2:TRAP_HANDLER: 0
; COMPUTE_PGM_RSRC2:TGID_X_EN: 1
; COMPUTE_PGM_RSRC2:TGID_Y_EN: 0
; COMPUTE_PGM_RSRC2:TGID_Z_EN: 0
; COMPUTE_PGM_RSRC2:TIDIG_COMP_CNT: 0
; COMPUTE_PGM_RSRC3_GFX90A:ACCUM_OFFSET: 3
; COMPUTE_PGM_RSRC3_GFX90A:TG_SPLIT: 0
	.section	.text._ZN7rocprim17ROCPRIM_400000_NS6detail17trampoline_kernelINS0_14default_configENS1_29reduce_by_key_config_selectorIffN6thrust23THRUST_200600_302600_NS4plusIfEEEEZZNS1_33reduce_by_key_impl_wrapped_configILNS1_25lookback_scan_determinismE1ES3_S9_NS6_6detail15normal_iteratorINS6_10device_ptrIfEEEESG_SG_SG_PmS8_NS6_8equal_toIfEEEE10hipError_tPvRmT2_T3_mT4_T5_T6_T7_T8_P12ihipStream_tbENKUlT_T0_E_clISt17integral_constantIbLb1EES11_EEDaSW_SX_EUlSW_E_NS1_11comp_targetILNS1_3genE0ELNS1_11target_archE4294967295ELNS1_3gpuE0ELNS1_3repE0EEENS1_30default_config_static_selectorELNS0_4arch9wavefront6targetE1EEEvT1_,"axG",@progbits,_ZN7rocprim17ROCPRIM_400000_NS6detail17trampoline_kernelINS0_14default_configENS1_29reduce_by_key_config_selectorIffN6thrust23THRUST_200600_302600_NS4plusIfEEEEZZNS1_33reduce_by_key_impl_wrapped_configILNS1_25lookback_scan_determinismE1ES3_S9_NS6_6detail15normal_iteratorINS6_10device_ptrIfEEEESG_SG_SG_PmS8_NS6_8equal_toIfEEEE10hipError_tPvRmT2_T3_mT4_T5_T6_T7_T8_P12ihipStream_tbENKUlT_T0_E_clISt17integral_constantIbLb1EES11_EEDaSW_SX_EUlSW_E_NS1_11comp_targetILNS1_3genE0ELNS1_11target_archE4294967295ELNS1_3gpuE0ELNS1_3repE0EEENS1_30default_config_static_selectorELNS0_4arch9wavefront6targetE1EEEvT1_,comdat
	.protected	_ZN7rocprim17ROCPRIM_400000_NS6detail17trampoline_kernelINS0_14default_configENS1_29reduce_by_key_config_selectorIffN6thrust23THRUST_200600_302600_NS4plusIfEEEEZZNS1_33reduce_by_key_impl_wrapped_configILNS1_25lookback_scan_determinismE1ES3_S9_NS6_6detail15normal_iteratorINS6_10device_ptrIfEEEESG_SG_SG_PmS8_NS6_8equal_toIfEEEE10hipError_tPvRmT2_T3_mT4_T5_T6_T7_T8_P12ihipStream_tbENKUlT_T0_E_clISt17integral_constantIbLb1EES11_EEDaSW_SX_EUlSW_E_NS1_11comp_targetILNS1_3genE0ELNS1_11target_archE4294967295ELNS1_3gpuE0ELNS1_3repE0EEENS1_30default_config_static_selectorELNS0_4arch9wavefront6targetE1EEEvT1_ ; -- Begin function _ZN7rocprim17ROCPRIM_400000_NS6detail17trampoline_kernelINS0_14default_configENS1_29reduce_by_key_config_selectorIffN6thrust23THRUST_200600_302600_NS4plusIfEEEEZZNS1_33reduce_by_key_impl_wrapped_configILNS1_25lookback_scan_determinismE1ES3_S9_NS6_6detail15normal_iteratorINS6_10device_ptrIfEEEESG_SG_SG_PmS8_NS6_8equal_toIfEEEE10hipError_tPvRmT2_T3_mT4_T5_T6_T7_T8_P12ihipStream_tbENKUlT_T0_E_clISt17integral_constantIbLb1EES11_EEDaSW_SX_EUlSW_E_NS1_11comp_targetILNS1_3genE0ELNS1_11target_archE4294967295ELNS1_3gpuE0ELNS1_3repE0EEENS1_30default_config_static_selectorELNS0_4arch9wavefront6targetE1EEEvT1_
	.globl	_ZN7rocprim17ROCPRIM_400000_NS6detail17trampoline_kernelINS0_14default_configENS1_29reduce_by_key_config_selectorIffN6thrust23THRUST_200600_302600_NS4plusIfEEEEZZNS1_33reduce_by_key_impl_wrapped_configILNS1_25lookback_scan_determinismE1ES3_S9_NS6_6detail15normal_iteratorINS6_10device_ptrIfEEEESG_SG_SG_PmS8_NS6_8equal_toIfEEEE10hipError_tPvRmT2_T3_mT4_T5_T6_T7_T8_P12ihipStream_tbENKUlT_T0_E_clISt17integral_constantIbLb1EES11_EEDaSW_SX_EUlSW_E_NS1_11comp_targetILNS1_3genE0ELNS1_11target_archE4294967295ELNS1_3gpuE0ELNS1_3repE0EEENS1_30default_config_static_selectorELNS0_4arch9wavefront6targetE1EEEvT1_
	.p2align	8
	.type	_ZN7rocprim17ROCPRIM_400000_NS6detail17trampoline_kernelINS0_14default_configENS1_29reduce_by_key_config_selectorIffN6thrust23THRUST_200600_302600_NS4plusIfEEEEZZNS1_33reduce_by_key_impl_wrapped_configILNS1_25lookback_scan_determinismE1ES3_S9_NS6_6detail15normal_iteratorINS6_10device_ptrIfEEEESG_SG_SG_PmS8_NS6_8equal_toIfEEEE10hipError_tPvRmT2_T3_mT4_T5_T6_T7_T8_P12ihipStream_tbENKUlT_T0_E_clISt17integral_constantIbLb1EES11_EEDaSW_SX_EUlSW_E_NS1_11comp_targetILNS1_3genE0ELNS1_11target_archE4294967295ELNS1_3gpuE0ELNS1_3repE0EEENS1_30default_config_static_selectorELNS0_4arch9wavefront6targetE1EEEvT1_,@function
_ZN7rocprim17ROCPRIM_400000_NS6detail17trampoline_kernelINS0_14default_configENS1_29reduce_by_key_config_selectorIffN6thrust23THRUST_200600_302600_NS4plusIfEEEEZZNS1_33reduce_by_key_impl_wrapped_configILNS1_25lookback_scan_determinismE1ES3_S9_NS6_6detail15normal_iteratorINS6_10device_ptrIfEEEESG_SG_SG_PmS8_NS6_8equal_toIfEEEE10hipError_tPvRmT2_T3_mT4_T5_T6_T7_T8_P12ihipStream_tbENKUlT_T0_E_clISt17integral_constantIbLb1EES11_EEDaSW_SX_EUlSW_E_NS1_11comp_targetILNS1_3genE0ELNS1_11target_archE4294967295ELNS1_3gpuE0ELNS1_3repE0EEENS1_30default_config_static_selectorELNS0_4arch9wavefront6targetE1EEEvT1_: ; @_ZN7rocprim17ROCPRIM_400000_NS6detail17trampoline_kernelINS0_14default_configENS1_29reduce_by_key_config_selectorIffN6thrust23THRUST_200600_302600_NS4plusIfEEEEZZNS1_33reduce_by_key_impl_wrapped_configILNS1_25lookback_scan_determinismE1ES3_S9_NS6_6detail15normal_iteratorINS6_10device_ptrIfEEEESG_SG_SG_PmS8_NS6_8equal_toIfEEEE10hipError_tPvRmT2_T3_mT4_T5_T6_T7_T8_P12ihipStream_tbENKUlT_T0_E_clISt17integral_constantIbLb1EES11_EEDaSW_SX_EUlSW_E_NS1_11comp_targetILNS1_3genE0ELNS1_11target_archE4294967295ELNS1_3gpuE0ELNS1_3repE0EEENS1_30default_config_static_selectorELNS0_4arch9wavefront6targetE1EEEvT1_
; %bb.0:
	.section	.rodata,"a",@progbits
	.p2align	6, 0x0
	.amdhsa_kernel _ZN7rocprim17ROCPRIM_400000_NS6detail17trampoline_kernelINS0_14default_configENS1_29reduce_by_key_config_selectorIffN6thrust23THRUST_200600_302600_NS4plusIfEEEEZZNS1_33reduce_by_key_impl_wrapped_configILNS1_25lookback_scan_determinismE1ES3_S9_NS6_6detail15normal_iteratorINS6_10device_ptrIfEEEESG_SG_SG_PmS8_NS6_8equal_toIfEEEE10hipError_tPvRmT2_T3_mT4_T5_T6_T7_T8_P12ihipStream_tbENKUlT_T0_E_clISt17integral_constantIbLb1EES11_EEDaSW_SX_EUlSW_E_NS1_11comp_targetILNS1_3genE0ELNS1_11target_archE4294967295ELNS1_3gpuE0ELNS1_3repE0EEENS1_30default_config_static_selectorELNS0_4arch9wavefront6targetE1EEEvT1_
		.amdhsa_group_segment_fixed_size 0
		.amdhsa_private_segment_fixed_size 0
		.amdhsa_kernarg_size 120
		.amdhsa_user_sgpr_count 6
		.amdhsa_user_sgpr_private_segment_buffer 1
		.amdhsa_user_sgpr_dispatch_ptr 0
		.amdhsa_user_sgpr_queue_ptr 0
		.amdhsa_user_sgpr_kernarg_segment_ptr 1
		.amdhsa_user_sgpr_dispatch_id 0
		.amdhsa_user_sgpr_flat_scratch_init 0
		.amdhsa_user_sgpr_kernarg_preload_length 0
		.amdhsa_user_sgpr_kernarg_preload_offset 0
		.amdhsa_user_sgpr_private_segment_size 0
		.amdhsa_uses_dynamic_stack 0
		.amdhsa_system_sgpr_private_segment_wavefront_offset 0
		.amdhsa_system_sgpr_workgroup_id_x 1
		.amdhsa_system_sgpr_workgroup_id_y 0
		.amdhsa_system_sgpr_workgroup_id_z 0
		.amdhsa_system_sgpr_workgroup_info 0
		.amdhsa_system_vgpr_workitem_id 0
		.amdhsa_next_free_vgpr 1
		.amdhsa_next_free_sgpr 0
		.amdhsa_accum_offset 4
		.amdhsa_reserve_vcc 0
		.amdhsa_reserve_flat_scratch 0
		.amdhsa_float_round_mode_32 0
		.amdhsa_float_round_mode_16_64 0
		.amdhsa_float_denorm_mode_32 3
		.amdhsa_float_denorm_mode_16_64 3
		.amdhsa_dx10_clamp 1
		.amdhsa_ieee_mode 1
		.amdhsa_fp16_overflow 0
		.amdhsa_tg_split 0
		.amdhsa_exception_fp_ieee_invalid_op 0
		.amdhsa_exception_fp_denorm_src 0
		.amdhsa_exception_fp_ieee_div_zero 0
		.amdhsa_exception_fp_ieee_overflow 0
		.amdhsa_exception_fp_ieee_underflow 0
		.amdhsa_exception_fp_ieee_inexact 0
		.amdhsa_exception_int_div_zero 0
	.end_amdhsa_kernel
	.section	.text._ZN7rocprim17ROCPRIM_400000_NS6detail17trampoline_kernelINS0_14default_configENS1_29reduce_by_key_config_selectorIffN6thrust23THRUST_200600_302600_NS4plusIfEEEEZZNS1_33reduce_by_key_impl_wrapped_configILNS1_25lookback_scan_determinismE1ES3_S9_NS6_6detail15normal_iteratorINS6_10device_ptrIfEEEESG_SG_SG_PmS8_NS6_8equal_toIfEEEE10hipError_tPvRmT2_T3_mT4_T5_T6_T7_T8_P12ihipStream_tbENKUlT_T0_E_clISt17integral_constantIbLb1EES11_EEDaSW_SX_EUlSW_E_NS1_11comp_targetILNS1_3genE0ELNS1_11target_archE4294967295ELNS1_3gpuE0ELNS1_3repE0EEENS1_30default_config_static_selectorELNS0_4arch9wavefront6targetE1EEEvT1_,"axG",@progbits,_ZN7rocprim17ROCPRIM_400000_NS6detail17trampoline_kernelINS0_14default_configENS1_29reduce_by_key_config_selectorIffN6thrust23THRUST_200600_302600_NS4plusIfEEEEZZNS1_33reduce_by_key_impl_wrapped_configILNS1_25lookback_scan_determinismE1ES3_S9_NS6_6detail15normal_iteratorINS6_10device_ptrIfEEEESG_SG_SG_PmS8_NS6_8equal_toIfEEEE10hipError_tPvRmT2_T3_mT4_T5_T6_T7_T8_P12ihipStream_tbENKUlT_T0_E_clISt17integral_constantIbLb1EES11_EEDaSW_SX_EUlSW_E_NS1_11comp_targetILNS1_3genE0ELNS1_11target_archE4294967295ELNS1_3gpuE0ELNS1_3repE0EEENS1_30default_config_static_selectorELNS0_4arch9wavefront6targetE1EEEvT1_,comdat
.Lfunc_end99:
	.size	_ZN7rocprim17ROCPRIM_400000_NS6detail17trampoline_kernelINS0_14default_configENS1_29reduce_by_key_config_selectorIffN6thrust23THRUST_200600_302600_NS4plusIfEEEEZZNS1_33reduce_by_key_impl_wrapped_configILNS1_25lookback_scan_determinismE1ES3_S9_NS6_6detail15normal_iteratorINS6_10device_ptrIfEEEESG_SG_SG_PmS8_NS6_8equal_toIfEEEE10hipError_tPvRmT2_T3_mT4_T5_T6_T7_T8_P12ihipStream_tbENKUlT_T0_E_clISt17integral_constantIbLb1EES11_EEDaSW_SX_EUlSW_E_NS1_11comp_targetILNS1_3genE0ELNS1_11target_archE4294967295ELNS1_3gpuE0ELNS1_3repE0EEENS1_30default_config_static_selectorELNS0_4arch9wavefront6targetE1EEEvT1_, .Lfunc_end99-_ZN7rocprim17ROCPRIM_400000_NS6detail17trampoline_kernelINS0_14default_configENS1_29reduce_by_key_config_selectorIffN6thrust23THRUST_200600_302600_NS4plusIfEEEEZZNS1_33reduce_by_key_impl_wrapped_configILNS1_25lookback_scan_determinismE1ES3_S9_NS6_6detail15normal_iteratorINS6_10device_ptrIfEEEESG_SG_SG_PmS8_NS6_8equal_toIfEEEE10hipError_tPvRmT2_T3_mT4_T5_T6_T7_T8_P12ihipStream_tbENKUlT_T0_E_clISt17integral_constantIbLb1EES11_EEDaSW_SX_EUlSW_E_NS1_11comp_targetILNS1_3genE0ELNS1_11target_archE4294967295ELNS1_3gpuE0ELNS1_3repE0EEENS1_30default_config_static_selectorELNS0_4arch9wavefront6targetE1EEEvT1_
                                        ; -- End function
	.section	.AMDGPU.csdata,"",@progbits
; Kernel info:
; codeLenInByte = 0
; NumSgprs: 4
; NumVgprs: 0
; NumAgprs: 0
; TotalNumVgprs: 0
; ScratchSize: 0
; MemoryBound: 0
; FloatMode: 240
; IeeeMode: 1
; LDSByteSize: 0 bytes/workgroup (compile time only)
; SGPRBlocks: 0
; VGPRBlocks: 0
; NumSGPRsForWavesPerEU: 4
; NumVGPRsForWavesPerEU: 1
; AccumOffset: 4
; Occupancy: 8
; WaveLimiterHint : 0
; COMPUTE_PGM_RSRC2:SCRATCH_EN: 0
; COMPUTE_PGM_RSRC2:USER_SGPR: 6
; COMPUTE_PGM_RSRC2:TRAP_HANDLER: 0
; COMPUTE_PGM_RSRC2:TGID_X_EN: 1
; COMPUTE_PGM_RSRC2:TGID_Y_EN: 0
; COMPUTE_PGM_RSRC2:TGID_Z_EN: 0
; COMPUTE_PGM_RSRC2:TIDIG_COMP_CNT: 0
; COMPUTE_PGM_RSRC3_GFX90A:ACCUM_OFFSET: 0
; COMPUTE_PGM_RSRC3_GFX90A:TG_SPLIT: 0
	.section	.text._ZN7rocprim17ROCPRIM_400000_NS6detail17trampoline_kernelINS0_14default_configENS1_29reduce_by_key_config_selectorIffN6thrust23THRUST_200600_302600_NS4plusIfEEEEZZNS1_33reduce_by_key_impl_wrapped_configILNS1_25lookback_scan_determinismE1ES3_S9_NS6_6detail15normal_iteratorINS6_10device_ptrIfEEEESG_SG_SG_PmS8_NS6_8equal_toIfEEEE10hipError_tPvRmT2_T3_mT4_T5_T6_T7_T8_P12ihipStream_tbENKUlT_T0_E_clISt17integral_constantIbLb1EES11_EEDaSW_SX_EUlSW_E_NS1_11comp_targetILNS1_3genE5ELNS1_11target_archE942ELNS1_3gpuE9ELNS1_3repE0EEENS1_30default_config_static_selectorELNS0_4arch9wavefront6targetE1EEEvT1_,"axG",@progbits,_ZN7rocprim17ROCPRIM_400000_NS6detail17trampoline_kernelINS0_14default_configENS1_29reduce_by_key_config_selectorIffN6thrust23THRUST_200600_302600_NS4plusIfEEEEZZNS1_33reduce_by_key_impl_wrapped_configILNS1_25lookback_scan_determinismE1ES3_S9_NS6_6detail15normal_iteratorINS6_10device_ptrIfEEEESG_SG_SG_PmS8_NS6_8equal_toIfEEEE10hipError_tPvRmT2_T3_mT4_T5_T6_T7_T8_P12ihipStream_tbENKUlT_T0_E_clISt17integral_constantIbLb1EES11_EEDaSW_SX_EUlSW_E_NS1_11comp_targetILNS1_3genE5ELNS1_11target_archE942ELNS1_3gpuE9ELNS1_3repE0EEENS1_30default_config_static_selectorELNS0_4arch9wavefront6targetE1EEEvT1_,comdat
	.protected	_ZN7rocprim17ROCPRIM_400000_NS6detail17trampoline_kernelINS0_14default_configENS1_29reduce_by_key_config_selectorIffN6thrust23THRUST_200600_302600_NS4plusIfEEEEZZNS1_33reduce_by_key_impl_wrapped_configILNS1_25lookback_scan_determinismE1ES3_S9_NS6_6detail15normal_iteratorINS6_10device_ptrIfEEEESG_SG_SG_PmS8_NS6_8equal_toIfEEEE10hipError_tPvRmT2_T3_mT4_T5_T6_T7_T8_P12ihipStream_tbENKUlT_T0_E_clISt17integral_constantIbLb1EES11_EEDaSW_SX_EUlSW_E_NS1_11comp_targetILNS1_3genE5ELNS1_11target_archE942ELNS1_3gpuE9ELNS1_3repE0EEENS1_30default_config_static_selectorELNS0_4arch9wavefront6targetE1EEEvT1_ ; -- Begin function _ZN7rocprim17ROCPRIM_400000_NS6detail17trampoline_kernelINS0_14default_configENS1_29reduce_by_key_config_selectorIffN6thrust23THRUST_200600_302600_NS4plusIfEEEEZZNS1_33reduce_by_key_impl_wrapped_configILNS1_25lookback_scan_determinismE1ES3_S9_NS6_6detail15normal_iteratorINS6_10device_ptrIfEEEESG_SG_SG_PmS8_NS6_8equal_toIfEEEE10hipError_tPvRmT2_T3_mT4_T5_T6_T7_T8_P12ihipStream_tbENKUlT_T0_E_clISt17integral_constantIbLb1EES11_EEDaSW_SX_EUlSW_E_NS1_11comp_targetILNS1_3genE5ELNS1_11target_archE942ELNS1_3gpuE9ELNS1_3repE0EEENS1_30default_config_static_selectorELNS0_4arch9wavefront6targetE1EEEvT1_
	.globl	_ZN7rocprim17ROCPRIM_400000_NS6detail17trampoline_kernelINS0_14default_configENS1_29reduce_by_key_config_selectorIffN6thrust23THRUST_200600_302600_NS4plusIfEEEEZZNS1_33reduce_by_key_impl_wrapped_configILNS1_25lookback_scan_determinismE1ES3_S9_NS6_6detail15normal_iteratorINS6_10device_ptrIfEEEESG_SG_SG_PmS8_NS6_8equal_toIfEEEE10hipError_tPvRmT2_T3_mT4_T5_T6_T7_T8_P12ihipStream_tbENKUlT_T0_E_clISt17integral_constantIbLb1EES11_EEDaSW_SX_EUlSW_E_NS1_11comp_targetILNS1_3genE5ELNS1_11target_archE942ELNS1_3gpuE9ELNS1_3repE0EEENS1_30default_config_static_selectorELNS0_4arch9wavefront6targetE1EEEvT1_
	.p2align	8
	.type	_ZN7rocprim17ROCPRIM_400000_NS6detail17trampoline_kernelINS0_14default_configENS1_29reduce_by_key_config_selectorIffN6thrust23THRUST_200600_302600_NS4plusIfEEEEZZNS1_33reduce_by_key_impl_wrapped_configILNS1_25lookback_scan_determinismE1ES3_S9_NS6_6detail15normal_iteratorINS6_10device_ptrIfEEEESG_SG_SG_PmS8_NS6_8equal_toIfEEEE10hipError_tPvRmT2_T3_mT4_T5_T6_T7_T8_P12ihipStream_tbENKUlT_T0_E_clISt17integral_constantIbLb1EES11_EEDaSW_SX_EUlSW_E_NS1_11comp_targetILNS1_3genE5ELNS1_11target_archE942ELNS1_3gpuE9ELNS1_3repE0EEENS1_30default_config_static_selectorELNS0_4arch9wavefront6targetE1EEEvT1_,@function
_ZN7rocprim17ROCPRIM_400000_NS6detail17trampoline_kernelINS0_14default_configENS1_29reduce_by_key_config_selectorIffN6thrust23THRUST_200600_302600_NS4plusIfEEEEZZNS1_33reduce_by_key_impl_wrapped_configILNS1_25lookback_scan_determinismE1ES3_S9_NS6_6detail15normal_iteratorINS6_10device_ptrIfEEEESG_SG_SG_PmS8_NS6_8equal_toIfEEEE10hipError_tPvRmT2_T3_mT4_T5_T6_T7_T8_P12ihipStream_tbENKUlT_T0_E_clISt17integral_constantIbLb1EES11_EEDaSW_SX_EUlSW_E_NS1_11comp_targetILNS1_3genE5ELNS1_11target_archE942ELNS1_3gpuE9ELNS1_3repE0EEENS1_30default_config_static_selectorELNS0_4arch9wavefront6targetE1EEEvT1_: ; @_ZN7rocprim17ROCPRIM_400000_NS6detail17trampoline_kernelINS0_14default_configENS1_29reduce_by_key_config_selectorIffN6thrust23THRUST_200600_302600_NS4plusIfEEEEZZNS1_33reduce_by_key_impl_wrapped_configILNS1_25lookback_scan_determinismE1ES3_S9_NS6_6detail15normal_iteratorINS6_10device_ptrIfEEEESG_SG_SG_PmS8_NS6_8equal_toIfEEEE10hipError_tPvRmT2_T3_mT4_T5_T6_T7_T8_P12ihipStream_tbENKUlT_T0_E_clISt17integral_constantIbLb1EES11_EEDaSW_SX_EUlSW_E_NS1_11comp_targetILNS1_3genE5ELNS1_11target_archE942ELNS1_3gpuE9ELNS1_3repE0EEENS1_30default_config_static_selectorELNS0_4arch9wavefront6targetE1EEEvT1_
; %bb.0:
	.section	.rodata,"a",@progbits
	.p2align	6, 0x0
	.amdhsa_kernel _ZN7rocprim17ROCPRIM_400000_NS6detail17trampoline_kernelINS0_14default_configENS1_29reduce_by_key_config_selectorIffN6thrust23THRUST_200600_302600_NS4plusIfEEEEZZNS1_33reduce_by_key_impl_wrapped_configILNS1_25lookback_scan_determinismE1ES3_S9_NS6_6detail15normal_iteratorINS6_10device_ptrIfEEEESG_SG_SG_PmS8_NS6_8equal_toIfEEEE10hipError_tPvRmT2_T3_mT4_T5_T6_T7_T8_P12ihipStream_tbENKUlT_T0_E_clISt17integral_constantIbLb1EES11_EEDaSW_SX_EUlSW_E_NS1_11comp_targetILNS1_3genE5ELNS1_11target_archE942ELNS1_3gpuE9ELNS1_3repE0EEENS1_30default_config_static_selectorELNS0_4arch9wavefront6targetE1EEEvT1_
		.amdhsa_group_segment_fixed_size 0
		.amdhsa_private_segment_fixed_size 0
		.amdhsa_kernarg_size 120
		.amdhsa_user_sgpr_count 6
		.amdhsa_user_sgpr_private_segment_buffer 1
		.amdhsa_user_sgpr_dispatch_ptr 0
		.amdhsa_user_sgpr_queue_ptr 0
		.amdhsa_user_sgpr_kernarg_segment_ptr 1
		.amdhsa_user_sgpr_dispatch_id 0
		.amdhsa_user_sgpr_flat_scratch_init 0
		.amdhsa_user_sgpr_kernarg_preload_length 0
		.amdhsa_user_sgpr_kernarg_preload_offset 0
		.amdhsa_user_sgpr_private_segment_size 0
		.amdhsa_uses_dynamic_stack 0
		.amdhsa_system_sgpr_private_segment_wavefront_offset 0
		.amdhsa_system_sgpr_workgroup_id_x 1
		.amdhsa_system_sgpr_workgroup_id_y 0
		.amdhsa_system_sgpr_workgroup_id_z 0
		.amdhsa_system_sgpr_workgroup_info 0
		.amdhsa_system_vgpr_workitem_id 0
		.amdhsa_next_free_vgpr 1
		.amdhsa_next_free_sgpr 0
		.amdhsa_accum_offset 4
		.amdhsa_reserve_vcc 0
		.amdhsa_reserve_flat_scratch 0
		.amdhsa_float_round_mode_32 0
		.amdhsa_float_round_mode_16_64 0
		.amdhsa_float_denorm_mode_32 3
		.amdhsa_float_denorm_mode_16_64 3
		.amdhsa_dx10_clamp 1
		.amdhsa_ieee_mode 1
		.amdhsa_fp16_overflow 0
		.amdhsa_tg_split 0
		.amdhsa_exception_fp_ieee_invalid_op 0
		.amdhsa_exception_fp_denorm_src 0
		.amdhsa_exception_fp_ieee_div_zero 0
		.amdhsa_exception_fp_ieee_overflow 0
		.amdhsa_exception_fp_ieee_underflow 0
		.amdhsa_exception_fp_ieee_inexact 0
		.amdhsa_exception_int_div_zero 0
	.end_amdhsa_kernel
	.section	.text._ZN7rocprim17ROCPRIM_400000_NS6detail17trampoline_kernelINS0_14default_configENS1_29reduce_by_key_config_selectorIffN6thrust23THRUST_200600_302600_NS4plusIfEEEEZZNS1_33reduce_by_key_impl_wrapped_configILNS1_25lookback_scan_determinismE1ES3_S9_NS6_6detail15normal_iteratorINS6_10device_ptrIfEEEESG_SG_SG_PmS8_NS6_8equal_toIfEEEE10hipError_tPvRmT2_T3_mT4_T5_T6_T7_T8_P12ihipStream_tbENKUlT_T0_E_clISt17integral_constantIbLb1EES11_EEDaSW_SX_EUlSW_E_NS1_11comp_targetILNS1_3genE5ELNS1_11target_archE942ELNS1_3gpuE9ELNS1_3repE0EEENS1_30default_config_static_selectorELNS0_4arch9wavefront6targetE1EEEvT1_,"axG",@progbits,_ZN7rocprim17ROCPRIM_400000_NS6detail17trampoline_kernelINS0_14default_configENS1_29reduce_by_key_config_selectorIffN6thrust23THRUST_200600_302600_NS4plusIfEEEEZZNS1_33reduce_by_key_impl_wrapped_configILNS1_25lookback_scan_determinismE1ES3_S9_NS6_6detail15normal_iteratorINS6_10device_ptrIfEEEESG_SG_SG_PmS8_NS6_8equal_toIfEEEE10hipError_tPvRmT2_T3_mT4_T5_T6_T7_T8_P12ihipStream_tbENKUlT_T0_E_clISt17integral_constantIbLb1EES11_EEDaSW_SX_EUlSW_E_NS1_11comp_targetILNS1_3genE5ELNS1_11target_archE942ELNS1_3gpuE9ELNS1_3repE0EEENS1_30default_config_static_selectorELNS0_4arch9wavefront6targetE1EEEvT1_,comdat
.Lfunc_end100:
	.size	_ZN7rocprim17ROCPRIM_400000_NS6detail17trampoline_kernelINS0_14default_configENS1_29reduce_by_key_config_selectorIffN6thrust23THRUST_200600_302600_NS4plusIfEEEEZZNS1_33reduce_by_key_impl_wrapped_configILNS1_25lookback_scan_determinismE1ES3_S9_NS6_6detail15normal_iteratorINS6_10device_ptrIfEEEESG_SG_SG_PmS8_NS6_8equal_toIfEEEE10hipError_tPvRmT2_T3_mT4_T5_T6_T7_T8_P12ihipStream_tbENKUlT_T0_E_clISt17integral_constantIbLb1EES11_EEDaSW_SX_EUlSW_E_NS1_11comp_targetILNS1_3genE5ELNS1_11target_archE942ELNS1_3gpuE9ELNS1_3repE0EEENS1_30default_config_static_selectorELNS0_4arch9wavefront6targetE1EEEvT1_, .Lfunc_end100-_ZN7rocprim17ROCPRIM_400000_NS6detail17trampoline_kernelINS0_14default_configENS1_29reduce_by_key_config_selectorIffN6thrust23THRUST_200600_302600_NS4plusIfEEEEZZNS1_33reduce_by_key_impl_wrapped_configILNS1_25lookback_scan_determinismE1ES3_S9_NS6_6detail15normal_iteratorINS6_10device_ptrIfEEEESG_SG_SG_PmS8_NS6_8equal_toIfEEEE10hipError_tPvRmT2_T3_mT4_T5_T6_T7_T8_P12ihipStream_tbENKUlT_T0_E_clISt17integral_constantIbLb1EES11_EEDaSW_SX_EUlSW_E_NS1_11comp_targetILNS1_3genE5ELNS1_11target_archE942ELNS1_3gpuE9ELNS1_3repE0EEENS1_30default_config_static_selectorELNS0_4arch9wavefront6targetE1EEEvT1_
                                        ; -- End function
	.section	.AMDGPU.csdata,"",@progbits
; Kernel info:
; codeLenInByte = 0
; NumSgprs: 4
; NumVgprs: 0
; NumAgprs: 0
; TotalNumVgprs: 0
; ScratchSize: 0
; MemoryBound: 0
; FloatMode: 240
; IeeeMode: 1
; LDSByteSize: 0 bytes/workgroup (compile time only)
; SGPRBlocks: 0
; VGPRBlocks: 0
; NumSGPRsForWavesPerEU: 4
; NumVGPRsForWavesPerEU: 1
; AccumOffset: 4
; Occupancy: 8
; WaveLimiterHint : 0
; COMPUTE_PGM_RSRC2:SCRATCH_EN: 0
; COMPUTE_PGM_RSRC2:USER_SGPR: 6
; COMPUTE_PGM_RSRC2:TRAP_HANDLER: 0
; COMPUTE_PGM_RSRC2:TGID_X_EN: 1
; COMPUTE_PGM_RSRC2:TGID_Y_EN: 0
; COMPUTE_PGM_RSRC2:TGID_Z_EN: 0
; COMPUTE_PGM_RSRC2:TIDIG_COMP_CNT: 0
; COMPUTE_PGM_RSRC3_GFX90A:ACCUM_OFFSET: 0
; COMPUTE_PGM_RSRC3_GFX90A:TG_SPLIT: 0
	.section	.text._ZN7rocprim17ROCPRIM_400000_NS6detail17trampoline_kernelINS0_14default_configENS1_29reduce_by_key_config_selectorIffN6thrust23THRUST_200600_302600_NS4plusIfEEEEZZNS1_33reduce_by_key_impl_wrapped_configILNS1_25lookback_scan_determinismE1ES3_S9_NS6_6detail15normal_iteratorINS6_10device_ptrIfEEEESG_SG_SG_PmS8_NS6_8equal_toIfEEEE10hipError_tPvRmT2_T3_mT4_T5_T6_T7_T8_P12ihipStream_tbENKUlT_T0_E_clISt17integral_constantIbLb1EES11_EEDaSW_SX_EUlSW_E_NS1_11comp_targetILNS1_3genE4ELNS1_11target_archE910ELNS1_3gpuE8ELNS1_3repE0EEENS1_30default_config_static_selectorELNS0_4arch9wavefront6targetE1EEEvT1_,"axG",@progbits,_ZN7rocprim17ROCPRIM_400000_NS6detail17trampoline_kernelINS0_14default_configENS1_29reduce_by_key_config_selectorIffN6thrust23THRUST_200600_302600_NS4plusIfEEEEZZNS1_33reduce_by_key_impl_wrapped_configILNS1_25lookback_scan_determinismE1ES3_S9_NS6_6detail15normal_iteratorINS6_10device_ptrIfEEEESG_SG_SG_PmS8_NS6_8equal_toIfEEEE10hipError_tPvRmT2_T3_mT4_T5_T6_T7_T8_P12ihipStream_tbENKUlT_T0_E_clISt17integral_constantIbLb1EES11_EEDaSW_SX_EUlSW_E_NS1_11comp_targetILNS1_3genE4ELNS1_11target_archE910ELNS1_3gpuE8ELNS1_3repE0EEENS1_30default_config_static_selectorELNS0_4arch9wavefront6targetE1EEEvT1_,comdat
	.protected	_ZN7rocprim17ROCPRIM_400000_NS6detail17trampoline_kernelINS0_14default_configENS1_29reduce_by_key_config_selectorIffN6thrust23THRUST_200600_302600_NS4plusIfEEEEZZNS1_33reduce_by_key_impl_wrapped_configILNS1_25lookback_scan_determinismE1ES3_S9_NS6_6detail15normal_iteratorINS6_10device_ptrIfEEEESG_SG_SG_PmS8_NS6_8equal_toIfEEEE10hipError_tPvRmT2_T3_mT4_T5_T6_T7_T8_P12ihipStream_tbENKUlT_T0_E_clISt17integral_constantIbLb1EES11_EEDaSW_SX_EUlSW_E_NS1_11comp_targetILNS1_3genE4ELNS1_11target_archE910ELNS1_3gpuE8ELNS1_3repE0EEENS1_30default_config_static_selectorELNS0_4arch9wavefront6targetE1EEEvT1_ ; -- Begin function _ZN7rocprim17ROCPRIM_400000_NS6detail17trampoline_kernelINS0_14default_configENS1_29reduce_by_key_config_selectorIffN6thrust23THRUST_200600_302600_NS4plusIfEEEEZZNS1_33reduce_by_key_impl_wrapped_configILNS1_25lookback_scan_determinismE1ES3_S9_NS6_6detail15normal_iteratorINS6_10device_ptrIfEEEESG_SG_SG_PmS8_NS6_8equal_toIfEEEE10hipError_tPvRmT2_T3_mT4_T5_T6_T7_T8_P12ihipStream_tbENKUlT_T0_E_clISt17integral_constantIbLb1EES11_EEDaSW_SX_EUlSW_E_NS1_11comp_targetILNS1_3genE4ELNS1_11target_archE910ELNS1_3gpuE8ELNS1_3repE0EEENS1_30default_config_static_selectorELNS0_4arch9wavefront6targetE1EEEvT1_
	.globl	_ZN7rocprim17ROCPRIM_400000_NS6detail17trampoline_kernelINS0_14default_configENS1_29reduce_by_key_config_selectorIffN6thrust23THRUST_200600_302600_NS4plusIfEEEEZZNS1_33reduce_by_key_impl_wrapped_configILNS1_25lookback_scan_determinismE1ES3_S9_NS6_6detail15normal_iteratorINS6_10device_ptrIfEEEESG_SG_SG_PmS8_NS6_8equal_toIfEEEE10hipError_tPvRmT2_T3_mT4_T5_T6_T7_T8_P12ihipStream_tbENKUlT_T0_E_clISt17integral_constantIbLb1EES11_EEDaSW_SX_EUlSW_E_NS1_11comp_targetILNS1_3genE4ELNS1_11target_archE910ELNS1_3gpuE8ELNS1_3repE0EEENS1_30default_config_static_selectorELNS0_4arch9wavefront6targetE1EEEvT1_
	.p2align	8
	.type	_ZN7rocprim17ROCPRIM_400000_NS6detail17trampoline_kernelINS0_14default_configENS1_29reduce_by_key_config_selectorIffN6thrust23THRUST_200600_302600_NS4plusIfEEEEZZNS1_33reduce_by_key_impl_wrapped_configILNS1_25lookback_scan_determinismE1ES3_S9_NS6_6detail15normal_iteratorINS6_10device_ptrIfEEEESG_SG_SG_PmS8_NS6_8equal_toIfEEEE10hipError_tPvRmT2_T3_mT4_T5_T6_T7_T8_P12ihipStream_tbENKUlT_T0_E_clISt17integral_constantIbLb1EES11_EEDaSW_SX_EUlSW_E_NS1_11comp_targetILNS1_3genE4ELNS1_11target_archE910ELNS1_3gpuE8ELNS1_3repE0EEENS1_30default_config_static_selectorELNS0_4arch9wavefront6targetE1EEEvT1_,@function
_ZN7rocprim17ROCPRIM_400000_NS6detail17trampoline_kernelINS0_14default_configENS1_29reduce_by_key_config_selectorIffN6thrust23THRUST_200600_302600_NS4plusIfEEEEZZNS1_33reduce_by_key_impl_wrapped_configILNS1_25lookback_scan_determinismE1ES3_S9_NS6_6detail15normal_iteratorINS6_10device_ptrIfEEEESG_SG_SG_PmS8_NS6_8equal_toIfEEEE10hipError_tPvRmT2_T3_mT4_T5_T6_T7_T8_P12ihipStream_tbENKUlT_T0_E_clISt17integral_constantIbLb1EES11_EEDaSW_SX_EUlSW_E_NS1_11comp_targetILNS1_3genE4ELNS1_11target_archE910ELNS1_3gpuE8ELNS1_3repE0EEENS1_30default_config_static_selectorELNS0_4arch9wavefront6targetE1EEEvT1_: ; @_ZN7rocprim17ROCPRIM_400000_NS6detail17trampoline_kernelINS0_14default_configENS1_29reduce_by_key_config_selectorIffN6thrust23THRUST_200600_302600_NS4plusIfEEEEZZNS1_33reduce_by_key_impl_wrapped_configILNS1_25lookback_scan_determinismE1ES3_S9_NS6_6detail15normal_iteratorINS6_10device_ptrIfEEEESG_SG_SG_PmS8_NS6_8equal_toIfEEEE10hipError_tPvRmT2_T3_mT4_T5_T6_T7_T8_P12ihipStream_tbENKUlT_T0_E_clISt17integral_constantIbLb1EES11_EEDaSW_SX_EUlSW_E_NS1_11comp_targetILNS1_3genE4ELNS1_11target_archE910ELNS1_3gpuE8ELNS1_3repE0EEENS1_30default_config_static_selectorELNS0_4arch9wavefront6targetE1EEEvT1_
; %bb.0:
	s_load_dwordx8 s[40:47], s[4:5], 0x0
	s_load_dwordx4 s[56:59], s[4:5], 0x20
	s_load_dwordx8 s[48:55], s[4:5], 0x38
	s_load_dwordx2 s[64:65], s[4:5], 0x68
	s_load_dwordx4 s[60:63], s[4:5], 0x58
	s_add_u32 flat_scratch_lo, s6, s9
	s_addc_u32 flat_scratch_hi, s7, 0
	s_add_u32 s0, s0, s9
	s_addc_u32 s1, s1, 0
	v_cmp_ne_u32_e64 s[6:7], 0, v0
	v_cmp_eq_u32_e64 s[38:39], 0, v0
	s_and_saveexec_b64 s[8:9], s[38:39]
	s_cbranch_execz .LBB101_4
; %bb.1:
	s_mov_b64 s[12:13], exec
	v_mbcnt_lo_u32_b32 v1, s12, 0
	v_mbcnt_hi_u32_b32 v1, s13, v1
	v_cmp_eq_u32_e32 vcc, 0, v1
                                        ; implicit-def: $vgpr2
	s_and_saveexec_b64 s[10:11], vcc
	s_cbranch_execz .LBB101_3
; %bb.2:
	s_load_dwordx2 s[4:5], s[4:5], 0x70
	s_bcnt1_i32_b64 s12, s[12:13]
	v_mov_b32_e32 v2, 0
	v_mov_b32_e32 v3, s12
	s_waitcnt lgkmcnt(0)
	global_atomic_add v2, v2, v3, s[4:5] glc
.LBB101_3:
	s_or_b64 exec, exec, s[10:11]
	s_waitcnt vmcnt(0)
	v_readfirstlane_b32 s4, v2
	v_add_u32_e32 v1, s4, v1
	v_mov_b32_e32 v2, 0
	ds_write_b32 v2, v1
.LBB101_4:
	s_or_b64 exec, exec, s[8:9]
	v_mov_b32_e32 v3, 0
	s_waitcnt lgkmcnt(0)
	s_lshl_b64 s[4:5], s[42:43], 2
	s_barrier
	ds_read_b32 v1, v3
	s_add_u32 s8, s40, s4
	s_addc_u32 s9, s41, s5
	s_add_u32 s4, s44, s4
	s_mul_i32 s10, s52, s51
	s_mul_hi_u32 s11, s52, s50
	s_addc_u32 s5, s45, s5
	s_add_i32 s10, s11, s10
	s_mul_i32 s11, s53, s50
	s_add_i32 s10, s10, s11
	s_mul_i32 s11, s52, s50
	s_waitcnt lgkmcnt(0)
	v_readfirstlane_b32 s66, v1
	s_movk_i32 s12, 0xf00
	v_mul_lo_u32 v2, v1, s12
	s_add_u32 s44, s11, s66
	v_lshlrev_b64 v[2:3], 2, v[2:3]
	s_addc_u32 s45, s10, 0
	v_mov_b32_e32 v1, s9
	v_add_co_u32_e32 v10, vcc, s8, v2
	s_add_u32 s8, s54, -1
	v_addc_co_u32_e32 v11, vcc, v1, v3, vcc
	s_addc_u32 s9, s55, -1
	v_mov_b32_e32 v1, s5
	v_add_co_u32_e32 v26, vcc, s4, v2
	s_cmp_eq_u64 s[44:45], s[8:9]
	v_addc_co_u32_e32 v27, vcc, v1, v3, vcc
	s_cselect_b64 s[40:41], -1, 0
	s_cmp_lg_u64 s[44:45], s[8:9]
	s_mov_b64 s[4:5], -1
	s_cselect_b64 s[52:53], -1, 0
	s_mul_i32 s33, s8, 0xfffff100
	s_and_b64 vcc, exec, s[40:41]
	s_barrier
	s_cbranch_vccnz .LBB101_6
; %bb.5:
	v_lshlrev_b32_e32 v28, 2, v0
	v_add_co_u32_e32 v2, vcc, v10, v28
	v_addc_co_u32_e32 v3, vcc, 0, v11, vcc
	v_add_co_u32_e32 v4, vcc, 0x1000, v2
	v_addc_co_u32_e32 v5, vcc, 0, v3, vcc
	flat_load_dword v1, v[2:3]
	flat_load_dword v12, v[2:3] offset:1024
	flat_load_dword v13, v[2:3] offset:2048
	flat_load_dword v14, v[2:3] offset:3072
	flat_load_dword v15, v[4:5]
	flat_load_dword v16, v[4:5] offset:1024
	flat_load_dword v17, v[4:5] offset:2048
	;; [unrolled: 1-line block ×3, first 2 shown]
	v_add_co_u32_e32 v4, vcc, 0x2000, v2
	v_addc_co_u32_e32 v5, vcc, 0, v3, vcc
	v_add_co_u32_e32 v2, vcc, 0x3000, v2
	v_addc_co_u32_e32 v3, vcc, 0, v3, vcc
	flat_load_dword v19, v[4:5]
	flat_load_dword v20, v[4:5] offset:1024
	flat_load_dword v21, v[4:5] offset:2048
	;; [unrolled: 1-line block ×3, first 2 shown]
	flat_load_dword v23, v[2:3]
	flat_load_dword v24, v[2:3] offset:1024
	flat_load_dword v25, v[2:3] offset:2048
	v_add_co_u32_e32 v2, vcc, v26, v28
	s_movk_i32 s4, 0x1000
	v_addc_co_u32_e32 v3, vcc, 0, v27, vcc
	v_add_co_u32_e32 v4, vcc, s4, v2
	s_movk_i32 s5, 0x2000
	v_addc_co_u32_e32 v5, vcc, 0, v3, vcc
	;; [unrolled: 3-line block ×3, first 2 shown]
	v_mad_u32_u24 v40, v0, 56, v28
	v_add_co_u32_e32 v8, vcc, s8, v2
	v_addc_co_u32_e32 v9, vcc, 0, v3, vcc
	s_waitcnt vmcnt(0) lgkmcnt(0)
	ds_write2st64_b32 v28, v1, v12 offset1:4
	ds_write2st64_b32 v28, v13, v14 offset0:8 offset1:12
	ds_write2st64_b32 v28, v15, v16 offset0:16 offset1:20
	;; [unrolled: 1-line block ×6, first 2 shown]
	ds_write_b32 v28, v25 offset:14336
	s_waitcnt lgkmcnt(0)
	s_barrier
	ds_read2_b32 v[24:25], v40 offset1:1
	ds_read2_b32 v[22:23], v40 offset0:2 offset1:3
	ds_read2_b32 v[20:21], v40 offset0:4 offset1:5
	;; [unrolled: 1-line block ×6, first 2 shown]
	ds_read_b32 v1, v40 offset:56
	s_waitcnt lgkmcnt(0)
	s_barrier
	flat_load_dword v29, v[2:3]
	flat_load_dword v30, v[2:3] offset:1024
	flat_load_dword v31, v[2:3] offset:2048
	flat_load_dword v32, v[2:3] offset:3072
	flat_load_dword v33, v[4:5]
	flat_load_dword v34, v[4:5] offset:1024
	flat_load_dword v35, v[4:5] offset:2048
	flat_load_dword v36, v[4:5] offset:3072
	;; [unrolled: 4-line block ×3, first 2 shown]
	flat_load_dword v42, v[8:9]
	flat_load_dword v43, v[8:9] offset:1024
	flat_load_dword v44, v[8:9] offset:2048
	v_mov_b32_e32 v8, v24
	v_mov_b32_e32 v9, v22
	;; [unrolled: 1-line block ×7, first 2 shown]
	s_waitcnt vmcnt(0) lgkmcnt(0)
	ds_write2st64_b32 v28, v29, v30 offset1:4
	ds_write2st64_b32 v28, v31, v32 offset0:8 offset1:12
	ds_write2st64_b32 v28, v33, v34 offset0:16 offset1:20
	;; [unrolled: 1-line block ×6, first 2 shown]
	ds_write_b32 v28, v44 offset:14336
	s_waitcnt lgkmcnt(0)
	s_barrier
	s_add_i32 s33, s33, s60
	s_cbranch_execz .LBB101_7
	s_branch .LBB101_54
.LBB101_6:
                                        ; implicit-def: $vgpr1
                                        ; implicit-def: $vgpr12
                                        ; implicit-def: $vgpr14
                                        ; implicit-def: $vgpr16
                                        ; implicit-def: $vgpr18
                                        ; implicit-def: $vgpr20
                                        ; implicit-def: $vgpr22
                                        ; implicit-def: $vgpr24
                                        ; implicit-def: $vgpr40
                                        ; implicit-def: $vgpr2_vgpr3
                                        ; implicit-def: $vgpr4_vgpr5
                                        ; implicit-def: $vgpr8_vgpr9
                                        ; implicit-def: $vgpr6_vgpr7
	s_andn2_b64 vcc, exec, s[4:5]
	s_add_i32 s33, s33, s60
	s_cbranch_vccnz .LBB101_54
.LBB101_7:
	v_cmp_gt_u32_e32 vcc, s33, v0
                                        ; implicit-def: $vgpr1
	s_and_saveexec_b64 s[8:9], vcc
	s_cbranch_execz .LBB101_9
; %bb.8:
	v_lshlrev_b32_e32 v1, 2, v0
	v_add_co_u32_e64 v2, s[4:5], v10, v1
	v_addc_co_u32_e64 v3, s[4:5], 0, v11, s[4:5]
	flat_load_dword v1, v[2:3]
.LBB101_9:
	s_or_b64 exec, exec, s[8:9]
	v_or_b32_e32 v2, 0x100, v0
	v_cmp_gt_u32_e64 s[8:9], s33, v2
                                        ; implicit-def: $vgpr12
	s_and_saveexec_b64 s[10:11], s[8:9]
	s_cbranch_execz .LBB101_11
; %bb.10:
	v_lshlrev_b32_e32 v2, 2, v0
	v_add_co_u32_e64 v2, s[4:5], v10, v2
	v_addc_co_u32_e64 v3, s[4:5], 0, v11, s[4:5]
	flat_load_dword v12, v[2:3] offset:1024
.LBB101_11:
	s_or_b64 exec, exec, s[10:11]
	v_or_b32_e32 v2, 0x200, v0
	v_cmp_gt_u32_e64 s[10:11], s33, v2
                                        ; implicit-def: $vgpr13
	s_and_saveexec_b64 s[12:13], s[10:11]
	s_cbranch_execz .LBB101_13
; %bb.12:
	v_lshlrev_b32_e32 v2, 2, v0
	v_add_co_u32_e64 v2, s[4:5], v10, v2
	v_addc_co_u32_e64 v3, s[4:5], 0, v11, s[4:5]
	flat_load_dword v13, v[2:3] offset:2048
.LBB101_13:
	s_or_b64 exec, exec, s[12:13]
	v_or_b32_e32 v2, 0x300, v0
	v_cmp_gt_u32_e64 s[12:13], s33, v2
                                        ; implicit-def: $vgpr14
	s_and_saveexec_b64 s[14:15], s[12:13]
	s_cbranch_execz .LBB101_15
; %bb.14:
	v_lshlrev_b32_e32 v2, 2, v0
	v_add_co_u32_e64 v2, s[4:5], v10, v2
	v_addc_co_u32_e64 v3, s[4:5], 0, v11, s[4:5]
	flat_load_dword v14, v[2:3] offset:3072
.LBB101_15:
	s_or_b64 exec, exec, s[14:15]
	v_or_b32_e32 v2, 0x400, v0
	v_cmp_gt_u32_e64 s[14:15], s33, v2
                                        ; implicit-def: $vgpr15
	s_and_saveexec_b64 s[16:17], s[14:15]
	s_cbranch_execz .LBB101_17
; %bb.16:
	v_lshlrev_b32_e32 v3, 2, v2
	v_add_co_u32_e64 v4, s[4:5], v10, v3
	v_addc_co_u32_e64 v5, s[4:5], 0, v11, s[4:5]
	flat_load_dword v15, v[4:5]
.LBB101_17:
	s_or_b64 exec, exec, s[16:17]
	v_or_b32_e32 v3, 0x500, v0
	v_cmp_gt_u32_e64 s[16:17], s33, v3
                                        ; implicit-def: $vgpr16
	s_and_saveexec_b64 s[18:19], s[16:17]
	s_cbranch_execz .LBB101_19
; %bb.18:
	v_lshlrev_b32_e32 v4, 2, v3
	v_add_co_u32_e64 v4, s[4:5], v10, v4
	v_addc_co_u32_e64 v5, s[4:5], 0, v11, s[4:5]
	flat_load_dword v16, v[4:5]
.LBB101_19:
	s_or_b64 exec, exec, s[18:19]
	v_or_b32_e32 v4, 0x600, v0
	v_cmp_gt_u32_e64 s[18:19], s33, v4
                                        ; implicit-def: $vgpr17
	s_and_saveexec_b64 s[20:21], s[18:19]
	s_cbranch_execz .LBB101_21
; %bb.20:
	v_lshlrev_b32_e32 v5, 2, v4
	v_add_co_u32_e64 v6, s[4:5], v10, v5
	v_addc_co_u32_e64 v7, s[4:5], 0, v11, s[4:5]
	flat_load_dword v17, v[6:7]
.LBB101_21:
	s_or_b64 exec, exec, s[20:21]
	v_or_b32_e32 v5, 0x700, v0
	v_cmp_gt_u32_e64 s[20:21], s33, v5
                                        ; implicit-def: $vgpr18
	s_and_saveexec_b64 s[22:23], s[20:21]
	s_cbranch_execz .LBB101_23
; %bb.22:
	v_lshlrev_b32_e32 v6, 2, v5
	v_add_co_u32_e64 v6, s[4:5], v10, v6
	v_addc_co_u32_e64 v7, s[4:5], 0, v11, s[4:5]
	flat_load_dword v18, v[6:7]
.LBB101_23:
	s_or_b64 exec, exec, s[22:23]
	v_or_b32_e32 v6, 0x800, v0
	v_cmp_gt_u32_e64 s[22:23], s33, v6
                                        ; implicit-def: $vgpr19
	s_and_saveexec_b64 s[24:25], s[22:23]
	s_cbranch_execz .LBB101_25
; %bb.24:
	v_lshlrev_b32_e32 v7, 2, v6
	v_add_co_u32_e64 v8, s[4:5], v10, v7
	v_addc_co_u32_e64 v9, s[4:5], 0, v11, s[4:5]
	flat_load_dword v19, v[8:9]
.LBB101_25:
	s_or_b64 exec, exec, s[24:25]
	v_or_b32_e32 v8, 0x900, v0
	v_cmp_gt_u32_e64 s[24:25], s33, v8
                                        ; implicit-def: $vgpr20
	s_and_saveexec_b64 s[26:27], s[24:25]
	s_cbranch_execz .LBB101_27
; %bb.26:
	v_lshlrev_b32_e32 v7, 2, v8
	v_add_co_u32_e64 v20, s[4:5], v10, v7
	v_addc_co_u32_e64 v21, s[4:5], 0, v11, s[4:5]
	flat_load_dword v20, v[20:21]
.LBB101_27:
	s_or_b64 exec, exec, s[26:27]
	v_or_b32_e32 v9, 0xa00, v0
	v_cmp_gt_u32_e64 s[26:27], s33, v9
                                        ; implicit-def: $vgpr21
	s_and_saveexec_b64 s[28:29], s[26:27]
	s_cbranch_execz .LBB101_29
; %bb.28:
	v_lshlrev_b32_e32 v7, 2, v9
	v_add_co_u32_e64 v22, s[4:5], v10, v7
	v_addc_co_u32_e64 v23, s[4:5], 0, v11, s[4:5]
	flat_load_dword v21, v[22:23]
.LBB101_29:
	s_or_b64 exec, exec, s[28:29]
	v_or_b32_e32 v28, 0xb00, v0
	v_cmp_gt_u32_e64 s[28:29], s33, v28
                                        ; implicit-def: $vgpr22
	s_and_saveexec_b64 s[30:31], s[28:29]
	s_cbranch_execz .LBB101_31
; %bb.30:
	v_lshlrev_b32_e32 v7, 2, v28
	v_add_co_u32_e64 v22, s[4:5], v10, v7
	v_addc_co_u32_e64 v23, s[4:5], 0, v11, s[4:5]
	flat_load_dword v22, v[22:23]
.LBB101_31:
	s_or_b64 exec, exec, s[30:31]
	v_or_b32_e32 v29, 0xc00, v0
	v_cmp_gt_u32_e64 s[30:31], s33, v29
                                        ; implicit-def: $vgpr23
	s_and_saveexec_b64 s[34:35], s[30:31]
	s_cbranch_execz .LBB101_33
; %bb.32:
	v_lshlrev_b32_e32 v7, 2, v29
	v_add_co_u32_e64 v24, s[4:5], v10, v7
	v_addc_co_u32_e64 v25, s[4:5], 0, v11, s[4:5]
	flat_load_dword v23, v[24:25]
.LBB101_33:
	s_or_b64 exec, exec, s[34:35]
	v_or_b32_e32 v30, 0xd00, v0
	v_cmp_gt_u32_e64 s[34:35], s33, v30
                                        ; implicit-def: $vgpr24
	s_and_saveexec_b64 s[36:37], s[34:35]
	s_cbranch_execz .LBB101_35
; %bb.34:
	v_lshlrev_b32_e32 v7, 2, v30
	v_add_co_u32_e64 v24, s[4:5], v10, v7
	v_addc_co_u32_e64 v25, s[4:5], 0, v11, s[4:5]
	flat_load_dword v24, v[24:25]
.LBB101_35:
	s_or_b64 exec, exec, s[36:37]
	v_or_b32_e32 v31, 0xe00, v0
	v_cmp_gt_u32_e64 s[36:37], s33, v31
                                        ; implicit-def: $vgpr25
	s_and_saveexec_b64 s[42:43], s[36:37]
	s_cbranch_execz .LBB101_37
; %bb.36:
	v_lshlrev_b32_e32 v7, 2, v31
	v_add_co_u32_e64 v32, s[4:5], v10, v7
	v_addc_co_u32_e64 v33, s[4:5], 0, v11, s[4:5]
	flat_load_dword v25, v[32:33]
.LBB101_37:
	s_or_b64 exec, exec, s[42:43]
	v_lshlrev_b32_e32 v7, 2, v0
	v_mad_u32_u24 v40, v0, 56, v7
	s_waitcnt vmcnt(0) lgkmcnt(0)
	ds_write2st64_b32 v7, v1, v12 offset1:4
	ds_write2st64_b32 v7, v13, v14 offset0:8 offset1:12
	ds_write2st64_b32 v7, v15, v16 offset0:16 offset1:20
	;; [unrolled: 1-line block ×6, first 2 shown]
	ds_write_b32 v7, v25 offset:14336
	s_waitcnt lgkmcnt(0)
	s_barrier
	ds_read2_b32 v[24:25], v40 offset1:1
	ds_read2_b32 v[22:23], v40 offset0:2 offset1:3
	ds_read2_b32 v[20:21], v40 offset0:4 offset1:5
	ds_read2_b32 v[18:19], v40 offset0:6 offset1:7
	ds_read2_b32 v[16:17], v40 offset0:8 offset1:9
	ds_read2_b32 v[14:15], v40 offset0:10 offset1:11
	ds_read2_b32 v[12:13], v40 offset0:12 offset1:13
	ds_read_b32 v1, v40 offset:56
	s_waitcnt lgkmcnt(0)
	s_barrier
	s_waitcnt lgkmcnt(0)
                                        ; implicit-def: $vgpr32
	s_and_saveexec_b64 s[4:5], vcc
	s_cbranch_execz .LBB101_60
; %bb.38:
	v_add_co_u32_e32 v32, vcc, v26, v7
	v_addc_co_u32_e32 v33, vcc, 0, v27, vcc
	flat_load_dword v32, v[32:33]
	s_or_b64 exec, exec, s[4:5]
                                        ; implicit-def: $vgpr33
	s_and_saveexec_b64 s[4:5], s[8:9]
	s_cbranch_execnz .LBB101_61
.LBB101_39:
	s_or_b64 exec, exec, s[4:5]
                                        ; implicit-def: $vgpr34
	s_and_saveexec_b64 s[4:5], s[10:11]
	s_cbranch_execz .LBB101_62
.LBB101_40:
	v_add_co_u32_e32 v34, vcc, v26, v7
	v_addc_co_u32_e32 v35, vcc, 0, v27, vcc
	flat_load_dword v34, v[34:35] offset:2048
	s_or_b64 exec, exec, s[4:5]
                                        ; implicit-def: $vgpr35
	s_and_saveexec_b64 s[4:5], s[12:13]
	s_cbranch_execnz .LBB101_63
.LBB101_41:
	s_or_b64 exec, exec, s[4:5]
                                        ; implicit-def: $vgpr36
	s_and_saveexec_b64 s[4:5], s[14:15]
	s_cbranch_execz .LBB101_64
.LBB101_42:
	v_lshlrev_b32_e32 v2, 2, v2
	v_add_co_u32_e32 v36, vcc, v26, v2
	v_addc_co_u32_e32 v37, vcc, 0, v27, vcc
	flat_load_dword v36, v[36:37]
	s_or_b64 exec, exec, s[4:5]
                                        ; implicit-def: $vgpr2
	s_and_saveexec_b64 s[4:5], s[16:17]
	s_cbranch_execnz .LBB101_65
.LBB101_43:
	s_or_b64 exec, exec, s[4:5]
                                        ; implicit-def: $vgpr3
	s_and_saveexec_b64 s[4:5], s[18:19]
	s_cbranch_execz .LBB101_66
.LBB101_44:
	v_lshlrev_b32_e32 v3, 2, v4
	v_add_co_u32_e32 v38, vcc, v26, v3
	v_addc_co_u32_e32 v39, vcc, 0, v27, vcc
	flat_load_dword v3, v[38:39]
	s_or_b64 exec, exec, s[4:5]
                                        ; implicit-def: $vgpr4
	s_and_saveexec_b64 s[4:5], s[20:21]
	s_cbranch_execnz .LBB101_67
.LBB101_45:
	s_or_b64 exec, exec, s[4:5]
                                        ; implicit-def: $vgpr5
	s_and_saveexec_b64 s[4:5], s[22:23]
	s_cbranch_execz .LBB101_68
.LBB101_46:
	v_lshlrev_b32_e32 v5, 2, v6
	v_add_co_u32_e32 v38, vcc, v26, v5
	v_addc_co_u32_e32 v39, vcc, 0, v27, vcc
	flat_load_dword v5, v[38:39]
	s_or_b64 exec, exec, s[4:5]
                                        ; implicit-def: $vgpr6
	s_and_saveexec_b64 s[4:5], s[24:25]
	s_cbranch_execnz .LBB101_69
.LBB101_47:
	s_or_b64 exec, exec, s[4:5]
                                        ; implicit-def: $vgpr8
	s_and_saveexec_b64 s[4:5], s[26:27]
	s_cbranch_execz .LBB101_70
.LBB101_48:
	v_lshlrev_b32_e32 v8, 2, v9
	v_add_co_u32_e32 v8, vcc, v26, v8
	v_addc_co_u32_e32 v9, vcc, 0, v27, vcc
	flat_load_dword v8, v[8:9]
	s_or_b64 exec, exec, s[4:5]
                                        ; implicit-def: $vgpr9
	s_and_saveexec_b64 s[4:5], s[28:29]
	s_cbranch_execnz .LBB101_71
.LBB101_49:
	s_or_b64 exec, exec, s[4:5]
                                        ; implicit-def: $vgpr28
	s_and_saveexec_b64 s[4:5], s[30:31]
	s_cbranch_execz .LBB101_72
.LBB101_50:
	v_lshlrev_b32_e32 v28, 2, v29
	v_add_co_u32_e32 v28, vcc, v26, v28
	v_addc_co_u32_e32 v29, vcc, 0, v27, vcc
	flat_load_dword v28, v[28:29]
	s_or_b64 exec, exec, s[4:5]
                                        ; implicit-def: $vgpr29
	s_and_saveexec_b64 s[4:5], s[34:35]
	s_cbranch_execnz .LBB101_73
.LBB101_51:
	s_or_b64 exec, exec, s[4:5]
                                        ; implicit-def: $vgpr30
	s_and_saveexec_b64 s[4:5], s[36:37]
	s_cbranch_execz .LBB101_53
.LBB101_52:
	v_lshlrev_b32_e32 v30, 2, v31
	v_add_co_u32_e32 v26, vcc, v26, v30
	v_addc_co_u32_e32 v27, vcc, 0, v27, vcc
	flat_load_dword v30, v[26:27]
.LBB101_53:
	s_or_b64 exec, exec, s[4:5]
	s_waitcnt vmcnt(0) lgkmcnt(0)
	ds_write2st64_b32 v7, v32, v33 offset1:4
	ds_write2st64_b32 v7, v34, v35 offset0:8 offset1:12
	ds_write2st64_b32 v7, v36, v2 offset0:16 offset1:20
	;; [unrolled: 1-line block ×6, first 2 shown]
	ds_write_b32 v7, v30 offset:14336
	v_mov_b32_e32 v8, v24
	v_mov_b32_e32 v9, v22
	;; [unrolled: 1-line block ×7, first 2 shown]
	s_waitcnt lgkmcnt(0)
	s_barrier
.LBB101_54:
	ds_read2_b32 v[38:39], v40 offset1:1
	ds_read2_b32 v[36:37], v40 offset0:2 offset1:3
	ds_read2_b32 v[34:35], v40 offset0:4 offset1:5
	;; [unrolled: 1-line block ×6, first 2 shown]
	ds_read_b32 v59, v40 offset:56
	s_cmp_eq_u64 s[44:45], 0
	s_cselect_b64 s[42:43], -1, 0
	s_cmp_lg_u64 s[44:45], 0
	s_mov_b64 s[8:9], 0
	s_cselect_b64 s[10:11], -1, 0
	s_and_b64 vcc, exec, s[52:53]
	s_waitcnt lgkmcnt(0)
	s_barrier
	s_cbranch_vccz .LBB101_74
; %bb.55:
	s_and_b64 vcc, exec, s[10:11]
	s_cbranch_vccz .LBB101_114
; %bb.56:
	v_add_co_u32_e32 v40, vcc, -4, v10
	v_addc_co_u32_e32 v41, vcc, -1, v11, vcc
	flat_load_dword v7, v[40:41]
	v_lshlrev_b32_e32 v40, 2, v0
	ds_write_b32 v40, v1
	s_waitcnt lgkmcnt(0)
	s_barrier
	s_and_saveexec_b64 s[4:5], s[6:7]
	s_cbranch_execz .LBB101_58
; %bb.57:
	s_waitcnt vmcnt(0)
	v_add_u32_e32 v7, -4, v40
	ds_read_b32 v7, v7
.LBB101_58:
	s_or_b64 exec, exec, s[4:5]
	v_cmp_neq_f32_e32 vcc, v8, v25
	v_cndmask_b32_e64 v57, 0, 1, vcc
	v_cmp_neq_f32_e32 vcc, v9, v25
	v_cndmask_b32_e64 v56, 0, 1, vcc
	;; [unrolled: 2-line block ×14, first 2 shown]
	s_waitcnt vmcnt(0) lgkmcnt(0)
	v_cmp_neq_f32_e64 s[4:5], v7, v24
	s_mov_b64 s[8:9], -1
.LBB101_59:
                                        ; implicit-def: $sgpr14
	s_branch .LBB101_75
.LBB101_60:
	s_or_b64 exec, exec, s[4:5]
                                        ; implicit-def: $vgpr33
	s_and_saveexec_b64 s[4:5], s[8:9]
	s_cbranch_execz .LBB101_39
.LBB101_61:
	v_add_co_u32_e32 v34, vcc, v26, v7
	v_addc_co_u32_e32 v35, vcc, 0, v27, vcc
	flat_load_dword v33, v[34:35] offset:1024
	s_or_b64 exec, exec, s[4:5]
                                        ; implicit-def: $vgpr34
	s_and_saveexec_b64 s[4:5], s[10:11]
	s_cbranch_execnz .LBB101_40
.LBB101_62:
	s_or_b64 exec, exec, s[4:5]
                                        ; implicit-def: $vgpr35
	s_and_saveexec_b64 s[4:5], s[12:13]
	s_cbranch_execz .LBB101_41
.LBB101_63:
	v_add_co_u32_e32 v36, vcc, v26, v7
	v_addc_co_u32_e32 v37, vcc, 0, v27, vcc
	flat_load_dword v35, v[36:37] offset:3072
	s_or_b64 exec, exec, s[4:5]
                                        ; implicit-def: $vgpr36
	s_and_saveexec_b64 s[4:5], s[14:15]
	s_cbranch_execnz .LBB101_42
.LBB101_64:
	s_or_b64 exec, exec, s[4:5]
                                        ; implicit-def: $vgpr2
	s_and_saveexec_b64 s[4:5], s[16:17]
	s_cbranch_execz .LBB101_43
.LBB101_65:
	v_lshlrev_b32_e32 v2, 2, v3
	v_add_co_u32_e32 v2, vcc, v26, v2
	v_addc_co_u32_e32 v3, vcc, 0, v27, vcc
	flat_load_dword v2, v[2:3]
	s_or_b64 exec, exec, s[4:5]
                                        ; implicit-def: $vgpr3
	s_and_saveexec_b64 s[4:5], s[18:19]
	s_cbranch_execnz .LBB101_44
.LBB101_66:
	s_or_b64 exec, exec, s[4:5]
                                        ; implicit-def: $vgpr4
	s_and_saveexec_b64 s[4:5], s[20:21]
	s_cbranch_execz .LBB101_45
.LBB101_67:
	v_lshlrev_b32_e32 v4, 2, v5
	v_add_co_u32_e32 v4, vcc, v26, v4
	v_addc_co_u32_e32 v5, vcc, 0, v27, vcc
	flat_load_dword v4, v[4:5]
	s_or_b64 exec, exec, s[4:5]
                                        ; implicit-def: $vgpr5
	s_and_saveexec_b64 s[4:5], s[22:23]
	s_cbranch_execnz .LBB101_46
.LBB101_68:
	s_or_b64 exec, exec, s[4:5]
                                        ; implicit-def: $vgpr6
	s_and_saveexec_b64 s[4:5], s[24:25]
	s_cbranch_execz .LBB101_47
.LBB101_69:
	v_lshlrev_b32_e32 v6, 2, v8
	v_add_co_u32_e32 v38, vcc, v26, v6
	v_addc_co_u32_e32 v39, vcc, 0, v27, vcc
	flat_load_dword v6, v[38:39]
	s_or_b64 exec, exec, s[4:5]
                                        ; implicit-def: $vgpr8
	s_and_saveexec_b64 s[4:5], s[26:27]
	s_cbranch_execnz .LBB101_48
.LBB101_70:
	s_or_b64 exec, exec, s[4:5]
                                        ; implicit-def: $vgpr9
	s_and_saveexec_b64 s[4:5], s[28:29]
	s_cbranch_execz .LBB101_49
.LBB101_71:
	v_lshlrev_b32_e32 v9, 2, v28
	v_add_co_u32_e32 v38, vcc, v26, v9
	v_addc_co_u32_e32 v39, vcc, 0, v27, vcc
	flat_load_dword v9, v[38:39]
	s_or_b64 exec, exec, s[4:5]
                                        ; implicit-def: $vgpr28
	s_and_saveexec_b64 s[4:5], s[30:31]
	s_cbranch_execnz .LBB101_50
.LBB101_72:
	s_or_b64 exec, exec, s[4:5]
                                        ; implicit-def: $vgpr29
	s_and_saveexec_b64 s[4:5], s[34:35]
	s_cbranch_execz .LBB101_51
.LBB101_73:
	v_lshlrev_b32_e32 v29, 2, v30
	v_add_co_u32_e32 v38, vcc, v26, v29
	v_addc_co_u32_e32 v39, vcc, 0, v27, vcc
	flat_load_dword v29, v[38:39]
	s_or_b64 exec, exec, s[4:5]
                                        ; implicit-def: $vgpr30
	s_and_saveexec_b64 s[4:5], s[36:37]
	s_cbranch_execnz .LBB101_52
	s_branch .LBB101_53
.LBB101_74:
                                        ; implicit-def: $sgpr4_sgpr5
                                        ; implicit-def: $vgpr44
                                        ; implicit-def: $vgpr45
                                        ; implicit-def: $vgpr46
                                        ; implicit-def: $vgpr47
                                        ; implicit-def: $vgpr48
                                        ; implicit-def: $vgpr49
                                        ; implicit-def: $vgpr50
                                        ; implicit-def: $vgpr51
                                        ; implicit-def: $vgpr52
                                        ; implicit-def: $vgpr53
                                        ; implicit-def: $vgpr54
                                        ; implicit-def: $vgpr55
                                        ; implicit-def: $vgpr56
                                        ; implicit-def: $vgpr57
                                        ; implicit-def: $sgpr14
	s_cbranch_execnz .LBB101_118
.LBB101_75:
	v_mov_b32_e32 v58, s14
	s_and_saveexec_b64 s[6:7], s[8:9]
.LBB101_76:
	v_cndmask_b32_e64 v58, 0, 1, s[4:5]
.LBB101_77:
	s_or_b64 exec, exec, s[6:7]
	s_cmp_eq_u64 s[50:51], 0
	v_add3_u32 v2, v57, v58, v56
	s_mov_b64 s[44:45], 0
	s_cselect_b64 s[36:37], -1, 0
	s_cmp_lg_u32 s66, 0
	v_add_f32_e32 v78, v38, v39
	v_cmp_eq_u32_e64 s[30:31], 0, v57
	v_cmp_eq_u32_e64 s[28:29], 0, v56
	;; [unrolled: 1-line block ×3, first 2 shown]
	v_add3_u32 v77, v2, v55, v54
	v_cmp_eq_u32_e64 s[26:27], 0, v54
	v_cmp_eq_u32_e64 s[22:23], 0, v53
	;; [unrolled: 1-line block ×10, first 2 shown]
	v_cmp_eq_u32_e32 vcc, 0, v44
	v_mbcnt_lo_u32_b32 v76, -1, 0
	v_lshrrev_b32_e32 v74, 6, v0
	v_or_b32_e32 v75, 63, v0
	s_cbranch_scc0 .LBB101_112
; %bb.78:
	v_cndmask_b32_e64 v2, v39, v78, s[30:31]
	v_add_f32_e32 v2, v36, v2
	v_cndmask_b32_e64 v2, v36, v2, s[28:29]
	v_add_f32_e32 v2, v37, v2
	;; [unrolled: 2-line block ×11, first 2 shown]
	v_cndmask_b32_e64 v2, v26, v2, s[8:9]
	v_add3_u32 v3, v77, v53, v52
	v_add_f32_e32 v2, v27, v2
	v_add3_u32 v3, v3, v51, v50
	v_cndmask_b32_e64 v2, v27, v2, s[6:7]
	v_add3_u32 v3, v3, v49, v48
	v_add_f32_e32 v2, v59, v2
	v_add3_u32 v3, v3, v47, v46
	v_cndmask_b32_e32 v2, v59, v2, vcc
	v_add3_u32 v3, v3, v45, v44
	v_mbcnt_hi_u32_b32 v8, -1, v76
	v_mov_b32_dpp v6, v2 row_shr:1 row_mask:0xf bank_mask:0xf
	v_and_b32_e32 v4, 15, v8
	v_add_f32_e32 v6, v2, v6
	v_cmp_eq_u32_e32 vcc, 0, v3
	v_mov_b32_dpp v5, v3 row_shr:1 row_mask:0xf bank_mask:0xf
	v_cndmask_b32_e32 v6, v2, v6, vcc
	v_cmp_eq_u32_e32 vcc, 0, v4
	v_cndmask_b32_e64 v5, v5, 0, vcc
	v_cndmask_b32_e32 v2, v6, v2, vcc
	v_add_u32_e32 v3, v5, v3
	v_cmp_eq_u32_e32 vcc, 0, v3
	v_mov_b32_dpp v6, v2 row_shr:2 row_mask:0xf bank_mask:0xf
	v_add_f32_e32 v6, v2, v6
	v_mov_b32_dpp v5, v3 row_shr:2 row_mask:0xf bank_mask:0xf
	v_cndmask_b32_e32 v6, v2, v6, vcc
	v_cmp_lt_u32_e32 vcc, 1, v4
	v_cndmask_b32_e32 v2, v2, v6, vcc
	v_cndmask_b32_e32 v5, 0, v5, vcc
	v_add_u32_e32 v3, v3, v5
	v_mov_b32_dpp v6, v2 row_shr:4 row_mask:0xf bank_mask:0xf
	v_add_f32_e32 v6, v2, v6
	v_cmp_eq_u32_e32 vcc, 0, v3
	v_mov_b32_dpp v5, v3 row_shr:4 row_mask:0xf bank_mask:0xf
	v_cndmask_b32_e32 v6, v2, v6, vcc
	v_cmp_lt_u32_e32 vcc, 3, v4
	v_cndmask_b32_e32 v2, v2, v6, vcc
	v_cndmask_b32_e32 v5, 0, v5, vcc
	v_add_u32_e32 v3, v5, v3
	v_mov_b32_dpp v6, v2 row_shr:8 row_mask:0xf bank_mask:0xf
	v_add_f32_e32 v6, v2, v6
	v_cmp_eq_u32_e32 vcc, 0, v3
	v_mov_b32_dpp v5, v3 row_shr:8 row_mask:0xf bank_mask:0xf
	v_cndmask_b32_e32 v6, v2, v6, vcc
	v_cmp_lt_u32_e32 vcc, 7, v4
	v_cndmask_b32_e32 v2, v2, v6, vcc
	v_cndmask_b32_e32 v4, 0, v5, vcc
	v_add_u32_e32 v3, v4, v3
	v_mov_b32_dpp v5, v2 row_bcast:15 row_mask:0xf bank_mask:0xf
	v_bfe_i32 v6, v8, 4, 1
	v_mov_b32_dpp v4, v3 row_bcast:15 row_mask:0xf bank_mask:0xf
	v_and_b32_e32 v7, 16, v8
	v_add_f32_e32 v5, v2, v5
	v_cmp_eq_u32_e32 vcc, 0, v3
	v_cndmask_b32_e32 v5, v2, v5, vcc
	v_and_b32_e32 v4, v6, v4
	v_cmp_eq_u32_e32 vcc, 0, v7
	v_add_u32_e32 v4, v4, v3
	v_cndmask_b32_e32 v3, v5, v2, vcc
	v_cmp_eq_u32_e32 vcc, 0, v4
	v_mov_b32_dpp v2, v4 row_bcast:31 row_mask:0xf bank_mask:0xf
	v_mov_b32_dpp v5, v3 row_bcast:31 row_mask:0xf bank_mask:0xf
	v_add_f32_e32 v5, v3, v5
	v_cndmask_b32_e32 v6, v3, v5, vcc
	v_cmp_lt_u32_e32 vcc, 31, v8
	v_cndmask_b32_e32 v2, 0, v2, vcc
	v_add_u32_e32 v2, v2, v4
	v_cmp_eq_u32_e64 s[4:5], v75, v0
	v_lshlrev_b32_e32 v5, 3, v74
	v_cndmask_b32_e32 v4, v3, v6, vcc
	s_and_saveexec_b64 s[34:35], s[4:5]
	s_cbranch_execz .LBB101_80
; %bb.79:
	v_cndmask_b32_e32 v3, v3, v6, vcc
	ds_write_b64 v5, v[2:3] offset:2064
.LBB101_80:
	s_or_b64 exec, exec, s[34:35]
	v_cmp_gt_u32_e32 vcc, 4, v0
	s_waitcnt lgkmcnt(0)
	s_barrier
	s_and_saveexec_b64 s[34:35], vcc
	s_cbranch_execz .LBB101_82
; %bb.81:
	v_lshlrev_b32_e32 v3, 3, v0
	ds_read_b64 v[6:7], v3 offset:2064
	v_and_b32_e32 v9, 3, v8
	v_cmp_lt_u32_e64 s[4:5], 1, v9
	s_waitcnt lgkmcnt(0)
	v_mov_b32_dpp v11, v7 row_shr:1 row_mask:0xf bank_mask:0xf
	v_add_f32_e32 v11, v7, v11
	v_cmp_eq_u32_e32 vcc, 0, v6
	v_mov_b32_dpp v10, v6 row_shr:1 row_mask:0xf bank_mask:0xf
	v_cndmask_b32_e32 v11, v7, v11, vcc
	v_cmp_eq_u32_e32 vcc, 0, v9
	v_cndmask_b32_e64 v10, v10, 0, vcc
	v_add_u32_e32 v6, v10, v6
	v_cndmask_b32_e32 v7, v11, v7, vcc
	v_cmp_eq_u32_e32 vcc, 0, v6
	v_mov_b32_dpp v10, v6 row_shr:2 row_mask:0xf bank_mask:0xf
	v_mov_b32_dpp v11, v7 row_shr:2 row_mask:0xf bank_mask:0xf
	v_add_f32_e32 v11, v7, v11
	v_cndmask_b32_e64 v9, 0, v10, s[4:5]
	s_and_b64 vcc, s[4:5], vcc
	v_add_u32_e32 v6, v9, v6
	v_cndmask_b32_e32 v7, v7, v11, vcc
	ds_write_b64 v3, v[6:7] offset:2064
.LBB101_82:
	s_or_b64 exec, exec, s[34:35]
	v_cmp_gt_u32_e32 vcc, 64, v0
	v_cmp_lt_u32_e64 s[4:5], 63, v0
	v_mov_b32_e32 v40, 0
	v_mov_b32_e32 v41, 0
	s_waitcnt lgkmcnt(0)
	s_barrier
	s_and_saveexec_b64 s[34:35], s[4:5]
	s_cbranch_execz .LBB101_84
; %bb.83:
	ds_read_b64 v[40:41], v5 offset:2056
	v_cmp_eq_u32_e64 s[4:5], 0, v2
	s_waitcnt lgkmcnt(0)
	v_add_u32_e32 v3, v40, v2
	v_add_f32_e32 v5, v4, v41
	v_cndmask_b32_e64 v4, v4, v5, s[4:5]
	v_mov_b32_e32 v2, v3
.LBB101_84:
	s_or_b64 exec, exec, s[34:35]
	v_add_u32_e32 v3, -1, v8
	v_and_b32_e32 v5, 64, v8
	v_cmp_lt_i32_e64 s[4:5], v3, v5
	v_cndmask_b32_e64 v3, v3, v8, s[4:5]
	v_lshlrev_b32_e32 v3, 2, v3
	ds_bpermute_b32 v79, v3, v2
	ds_bpermute_b32 v80, v3, v4
	v_cmp_eq_u32_e64 s[34:35], 0, v8
	s_mov_b64 s[52:53], -1
	s_mov_b64 s[4:5], 0
	s_and_saveexec_b64 s[50:51], vcc
                                        ; implicit-def: $vgpr3_vgpr4_vgpr5
	s_cbranch_execz .LBB101_146
; %bb.85:
	v_mov_b32_e32 v7, 0
	ds_read_b64 v[2:3], v7 offset:2088
	s_waitcnt lgkmcnt(0)
	v_readfirstlane_b32 s60, v3
	s_and_saveexec_b64 s[4:5], s[34:35]
	s_cbranch_execz .LBB101_87
; %bb.86:
	s_add_i32 s52, s66, 64
	s_mov_b32 s53, 0
	s_lshl_b64 s[54:55], s[52:53], 4
	s_add_u32 s54, s48, s54
	s_addc_u32 s55, s49, s55
	s_and_b32 s69, s60, 0xff000000
	s_mov_b32 s68, s53
	s_and_b32 s71, s60, 0xff0000
	s_mov_b32 s70, s53
	s_or_b64 s[68:69], s[70:71], s[68:69]
	s_and_b32 s71, s60, 0xff00
	s_or_b64 s[68:69], s[68:69], s[70:71]
	s_and_b32 s71, s60, 0xff
	s_or_b64 s[52:53], s[68:69], s[70:71]
	v_mov_b32_e32 v5, s53
	v_mov_b32_e32 v6, 1
	;; [unrolled: 1-line block ×3, first 2 shown]
	v_pk_mov_b32 v[10:11], s[54:55], s[54:55] op_sel:[0,1]
	;;#ASMSTART
	global_store_dwordx4 v[10:11], v[4:7] off	
s_waitcnt vmcnt(0)
	;;#ASMEND
.LBB101_87:
	s_or_b64 exec, exec, s[4:5]
	v_xad_u32 v42, v8, -1, s66
	v_add_u32_e32 v6, 64, v42
	v_lshlrev_b64 v[4:5], 4, v[6:7]
	buffer_store_dword v7, off, s[0:3], 0
	buffer_store_dword v7, off, s[0:3], 0 offset:4
	buffer_store_dword v7, off, s[0:3], 0 offset:8
	;; [unrolled: 1-line block ×7, first 2 shown]
	v_mov_b32_e32 v6, s49
	v_add_co_u32_e32 v4, vcc, s48, v4
	s_mov_b32 s4, 0x70605
	v_addc_co_u32_e32 v5, vcc, v6, v5, vcc
	;;#ASMSTART
	global_load_dwordx4 v[8:11], v[4:5] off glc	
s_waitcnt vmcnt(0)
	;;#ASMEND
	v_perm_b32 v6, v9, v10, s4
	s_mov_b32 s4, 0x1000706
	v_perm_b32 v43, v9, v10, s4
	s_mov_b32 s4, 0x2010007
	v_perm_b32 v60, v9, v10, s4
	v_lshlrev_b32_e32 v6, 8, v6
	s_mov_b32 s4, 0xc0c0500
	v_alignbit_b32 v11, v9, v8, 8
	v_alignbit_b32 v63, v9, v8, 16
	;; [unrolled: 1-line block ×3, first 2 shown]
	v_perm_b32 v6, v6, v9, s4
	v_lshlrev_b32_e32 v9, 16, v43
	v_and_b32_e32 v9, 0xff0000, v9
	v_lshlrev_b32_e32 v43, 24, v60
	v_or3_b32 v9, v6, v9, v43
	v_cmp_eq_u16_sdwa s[52:53], v10, v7 src0_sel:BYTE_0 src1_sel:DWORD
	s_and_saveexec_b64 s[4:5], s[52:53]
	s_cbranch_execz .LBB101_93
; %bb.88:
	s_mov_b32 s54, 1
	s_mov_b64 s[52:53], 0
	v_mov_b32_e32 v6, 0
.LBB101_89:                             ; =>This Loop Header: Depth=1
                                        ;     Child Loop BB101_90 Depth 2
	s_max_u32 s55, s54, 1
.LBB101_90:                             ;   Parent Loop BB101_89 Depth=1
                                        ; =>  This Inner Loop Header: Depth=2
	s_add_i32 s55, s55, -1
	s_cmp_eq_u32 s55, 0
	s_sleep 1
	s_cbranch_scc0 .LBB101_90
; %bb.91:                               ;   in Loop: Header=BB101_89 Depth=1
	s_cmp_lt_u32 s54, 32
	s_cselect_b64 s[68:69], -1, 0
	s_cmp_lg_u64 s[68:69], 0
	s_addc_u32 s54, s54, 0
	;;#ASMSTART
	global_load_dwordx4 v[8:11], v[4:5] off glc	
s_waitcnt vmcnt(0)
	;;#ASMEND
	v_cmp_ne_u16_sdwa s[68:69], v10, v6 src0_sel:BYTE_0 src1_sel:DWORD
	s_or_b64 s[52:53], s[68:69], s[52:53]
	s_andn2_b64 exec, exec, s[52:53]
	s_cbranch_execnz .LBB101_89
; %bb.92:
	s_or_b64 exec, exec, s[52:53]
	s_mov_b32 s52, 0x70605
	v_perm_b32 v4, v9, v10, s52
	s_mov_b32 s52, 0x1000706
	v_perm_b32 v5, v9, v10, s52
	;; [unrolled: 2-line block ×3, first 2 shown]
	v_lshlrev_b32_e32 v4, 8, v4
	s_mov_b32 s52, 0xc0c0500
	v_lshlrev_b32_e32 v5, 16, v5
	v_perm_b32 v4, v4, v9, s52
	v_lshlrev_b32_e32 v6, 24, v6
	v_and_b32_e32 v5, 0xff0000, v5
	v_alignbit_b32 v11, v9, v8, 8
	v_alignbit_b32 v63, v9, v8, 16
	;; [unrolled: 1-line block ×3, first 2 shown]
	v_or3_b32 v9, v4, v5, v6
.LBB101_93:
	s_or_b64 exec, exec, s[4:5]
	s_mov_b32 s54, 0
	s_mov_b32 s67, 0x4020c0c
	s_movk_i32 s68, 0xff
	v_mov_b32_e32 v61, 0
	v_mov_b32_e32 v5, 0
	s_mov_b32 s69, 0x70605
	s_mov_b32 s70, 0x1000706
	;; [unrolled: 1-line block ×4, first 2 shown]
	v_mov_b32_e32 v62, 2
	s_branch .LBB101_95
.LBB101_94:                             ;   in Loop: Header=BB101_95 Depth=1
	s_or_b64 exec, exec, s[52:53]
	s_add_i32 s54, s61, 1
	v_subrev_u32_e32 v42, 64, v4
	s_cbranch_execz .LBB101_103
.LBB101_95:                             ; =>This Loop Header: Depth=1
                                        ;     Child Loop BB101_98 Depth 2
                                        ;       Child Loop BB101_99 Depth 3
	v_mov_b32_e32 v6, v10
	v_cmp_ne_u16_sdwa s[4:5], v6, v62 src0_sel:BYTE_0 src1_sel:DWORD
	v_cmp_ne_u16_sdwa s[52:53], v6, s68 src0_sel:BYTE_0 src1_sel:DWORD
	s_and_b64 s[52:53], s[4:5], s[52:53]
	v_lshlrev_b32_e32 v10, 8, v11
	v_cndmask_b32_e64 v11, 0, 1, s[52:53]
	;;#ASMSTART
	;;#ASMEND
	v_cmp_ne_u32_e32 vcc, 0, v11
	s_cmp_eq_u64 vcc, exec
	s_cselect_b64 s[52:53], -1, 0
	s_cmp_lt_u32 s54, 4
	s_mov_b32 s61, s54
	v_mov_b32_e32 v7, v9
	v_lshlrev_b32_e32 v9, 16, v63
	s_cselect_b64 s[54:55], -1, 0
	v_perm_b32 v9, v64, v9, s67
	v_and_b32_e32 v10, 0xff00, v10
	v_and_b32_e32 v8, 0xff, v8
	s_and_b64 s[52:53], s[52:53], s[54:55]
	v_mov_b32_e32 v4, v42
	s_andn2_b64 vcc, exec, s[52:53]
	v_or3_b32 v60, v9, v10, v8
	s_cbranch_vccnz .LBB101_102
; %bb.96:                               ;   in Loop: Header=BB101_95 Depth=1
	s_lshl_b32 s52, s61, 3
	v_add_u32_e32 v8, s52, v61
	buffer_store_dword v60, v8, s[0:3], 0 offen
	buffer_store_dword v7, v8, s[0:3], 0 offen offset:4
	v_lshlrev_b64 v[8:9], 4, v[4:5]
	v_mov_b32_e32 v10, s49
	v_add_co_u32_e32 v42, vcc, s48, v8
	v_addc_co_u32_e32 v43, vcc, v10, v9, vcc
	;;#ASMSTART
	global_load_dwordx4 v[8:11], v[42:43] off glc	
s_waitcnt vmcnt(0)
	;;#ASMEND
	v_perm_b32 v65, v9, v10, s69
	v_perm_b32 v66, v9, v10, s70
	v_lshlrev_b32_e32 v65, 8, v65
	v_alignbit_b32 v11, v9, v8, 8
	v_alignbit_b32 v63, v9, v8, 16
	;; [unrolled: 1-line block ×3, first 2 shown]
	v_perm_b32 v67, v9, v10, s71
	v_perm_b32 v9, v65, v9, s72
	v_lshlrev_b32_e32 v65, 16, v66
	v_and_b32_e32 v65, 0xff0000, v65
	v_lshlrev_b32_e32 v66, 24, v67
	v_or3_b32 v9, v9, v65, v66
	v_cmp_eq_u16_sdwa s[54:55], v10, v5 src0_sel:BYTE_0 src1_sel:DWORD
	s_and_saveexec_b64 s[52:53], s[54:55]
	s_cbranch_execz .LBB101_94
; %bb.97:                               ;   in Loop: Header=BB101_95 Depth=1
	s_mov_b32 s73, 1
	s_mov_b64 s[54:55], 0
.LBB101_98:                             ;   Parent Loop BB101_95 Depth=1
                                        ; =>  This Loop Header: Depth=2
                                        ;       Child Loop BB101_99 Depth 3
	s_max_u32 s74, s73, 1
.LBB101_99:                             ;   Parent Loop BB101_95 Depth=1
                                        ;     Parent Loop BB101_98 Depth=2
                                        ; =>    This Inner Loop Header: Depth=3
	s_add_i32 s74, s74, -1
	s_cmp_eq_u32 s74, 0
	s_sleep 1
	s_cbranch_scc0 .LBB101_99
; %bb.100:                              ;   in Loop: Header=BB101_98 Depth=2
	s_cmp_lt_u32 s73, 32
	s_cselect_b64 s[74:75], -1, 0
	s_cmp_lg_u64 s[74:75], 0
	s_addc_u32 s73, s73, 0
	;;#ASMSTART
	global_load_dwordx4 v[8:11], v[42:43] off glc	
s_waitcnt vmcnt(0)
	;;#ASMEND
	v_cmp_ne_u16_sdwa s[74:75], v10, v5 src0_sel:BYTE_0 src1_sel:DWORD
	s_or_b64 s[54:55], s[74:75], s[54:55]
	s_andn2_b64 exec, exec, s[54:55]
	s_cbranch_execnz .LBB101_98
; %bb.101:                              ;   in Loop: Header=BB101_95 Depth=1
	s_or_b64 exec, exec, s[54:55]
	v_perm_b32 v42, v9, v10, s69
	v_perm_b32 v43, v9, v10, s70
	v_lshlrev_b32_e32 v42, 8, v42
	v_alignbit_b32 v11, v9, v8, 8
	v_alignbit_b32 v63, v9, v8, 16
	;; [unrolled: 1-line block ×3, first 2 shown]
	v_perm_b32 v65, v9, v10, s71
	v_perm_b32 v9, v42, v9, s72
	v_lshlrev_b32_e32 v42, 16, v43
	v_lshlrev_b32_e32 v43, 24, v65
	v_and_b32_e32 v42, 0xff0000, v42
	v_or3_b32 v9, v9, v42, v43
	s_branch .LBB101_94
.LBB101_102:
                                        ; implicit-def: $vgpr42
                                        ; implicit-def: $sgpr54
                                        ; implicit-def: $vgpr10
                                        ; implicit-def: $vgpr9
                                        ; implicit-def: $vgpr11
                                        ; implicit-def: $vgpr63
                                        ; implicit-def: $vgpr64
.LBB101_103:
	v_cndmask_b32_e64 v5, 0, 1, s[4:5]
	;;#ASMSTART
	;;#ASMEND
	v_cmp_ne_u32_e32 vcc, 0, v5
	s_cmp_lg_u64 vcc, exec
	s_cbranch_scc1 .LBB101_127
; %bb.104:
	s_movk_i32 s4, 0xff
	v_cmp_eq_u16_sdwa s[4:5], v6, s4 src0_sel:BYTE_0 src1_sel:DWORD
	v_cndmask_b32_e64 v5, 0, 1, s[4:5]
	;;#ASMSTART
	;;#ASMEND
	v_cmp_ne_u32_e32 vcc, 0, v5
	s_cmp_eq_u64 vcc, exec
	v_add_u32_e32 v5, 64, v4
	s_cselect_b64 vcc, -1, 0
	v_cndmask_b32_e32 v4, v4, v5, vcc
	v_add_u32_e32 v8, 64, v4
	v_mov_b32_e32 v9, 0
	v_lshlrev_b64 v[4:5], 4, v[8:9]
	v_mov_b32_e32 v6, s49
	v_add_co_u32_e64 v10, s[4:5], s48, v4
	v_addc_co_u32_e64 v11, s[4:5], v6, v5, s[4:5]
	s_mov_b32 s54, 0x70605
	s_mov_b32 s55, 0x1000706
	;; [unrolled: 1-line block ×4, first 2 shown]
	v_mov_b32_e32 v8, 2
	s_branch .LBB101_106
.LBB101_105:                            ;   in Loop: Header=BB101_106 Depth=1
	s_or_b64 exec, exec, s[4:5]
	v_cmp_ne_u16_sdwa s[4:5], v6, v8 src0_sel:BYTE_0 src1_sel:DWORD
	v_cndmask_b32_e64 v5, 0, 1, s[4:5]
	;;#ASMSTART
	;;#ASMEND
	v_cmp_ne_u32_e64 s[4:5], 0, v5
	s_cmp_eq_u64 s[4:5], exec
	s_cbranch_scc0 .LBB101_126
.LBB101_106:                            ; =>This Loop Header: Depth=1
                                        ;     Child Loop BB101_108 Depth 2
                                        ;       Child Loop BB101_109 Depth 3
	;;#ASMSTART
	global_load_dwordx4 v[4:7], v[10:11] off glc	
s_waitcnt vmcnt(0)
	;;#ASMEND
	v_perm_b32 v7, v5, v6, s54
	v_perm_b32 v61, v5, v6, s55
	v_lshlrev_b32_e32 v7, 8, v7
	v_alignbit_b32 v42, v5, v4, 8
	v_alignbit_b32 v60, v5, v4, 16
	;; [unrolled: 1-line block ×3, first 2 shown]
	v_perm_b32 v62, v5, v6, s67
	v_perm_b32 v5, v7, v5, s68
	v_lshlrev_b32_e32 v7, 16, v61
	v_and_b32_e32 v7, 0xff0000, v7
	v_lshlrev_b32_e32 v61, 24, v62
	v_or3_b32 v7, v5, v7, v61
	v_cmp_eq_u16_sdwa s[52:53], v6, v9 src0_sel:BYTE_0 src1_sel:DWORD
	s_and_saveexec_b64 s[4:5], s[52:53]
	s_cbranch_execz .LBB101_105
; %bb.107:                              ;   in Loop: Header=BB101_106 Depth=1
	s_mov_b32 s69, 1
	s_mov_b64 s[52:53], 0
.LBB101_108:                            ;   Parent Loop BB101_106 Depth=1
                                        ; =>  This Loop Header: Depth=2
                                        ;       Child Loop BB101_109 Depth 3
	s_max_u32 s70, s69, 1
.LBB101_109:                            ;   Parent Loop BB101_106 Depth=1
                                        ;     Parent Loop BB101_108 Depth=2
                                        ; =>    This Inner Loop Header: Depth=3
	s_add_i32 s70, s70, -1
	s_cmp_eq_u32 s70, 0
	s_sleep 1
	s_cbranch_scc0 .LBB101_109
; %bb.110:                              ;   in Loop: Header=BB101_108 Depth=2
	s_cmp_lt_u32 s69, 32
	s_cselect_b64 s[70:71], -1, 0
	s_cmp_lg_u64 s[70:71], 0
	s_addc_u32 s69, s69, 0
	;;#ASMSTART
	global_load_dwordx4 v[4:7], v[10:11] off glc	
s_waitcnt vmcnt(0)
	;;#ASMEND
	v_cmp_ne_u16_sdwa s[70:71], v6, v9 src0_sel:BYTE_0 src1_sel:DWORD
	s_or_b64 s[52:53], s[70:71], s[52:53]
	s_andn2_b64 exec, exec, s[52:53]
	s_cbranch_execnz .LBB101_108
; %bb.111:                              ;   in Loop: Header=BB101_106 Depth=1
	s_or_b64 exec, exec, s[52:53]
	v_perm_b32 v7, v5, v6, s54
	v_perm_b32 v61, v5, v6, s55
	v_lshlrev_b32_e32 v7, 8, v7
	v_alignbit_b32 v42, v5, v4, 8
	v_alignbit_b32 v60, v5, v4, 16
	;; [unrolled: 1-line block ×3, first 2 shown]
	v_perm_b32 v62, v5, v6, s67
	v_perm_b32 v5, v7, v5, s68
	v_lshlrev_b32_e32 v7, 16, v61
	v_lshlrev_b32_e32 v61, 24, v62
	v_and_b32_e32 v7, 0xff0000, v7
	v_or3_b32 v7, v5, v7, v61
	s_branch .LBB101_105
.LBB101_112:
                                        ; implicit-def: $vgpr2
                                        ; implicit-def: $vgpr42
                                        ; implicit-def: $vgpr6
                                        ; implicit-def: $vgpr62
                                        ; implicit-def: $vgpr43
                                        ; implicit-def: $vgpr60
                                        ; implicit-def: $vgpr61
                                        ; implicit-def: $vgpr63
                                        ; implicit-def: $vgpr64
                                        ; implicit-def: $vgpr65
                                        ; implicit-def: $vgpr66
                                        ; implicit-def: $vgpr67
                                        ; implicit-def: $vgpr68
                                        ; implicit-def: $vgpr69
                                        ; implicit-def: $vgpr70
                                        ; implicit-def: $vgpr71
                                        ; implicit-def: $vgpr72
                                        ; implicit-def: $vgpr73
	s_cbranch_execnz .LBB101_151
.LBB101_113:
	s_and_saveexec_b64 s[4:5], s[44:45]
	s_cbranch_execnz .LBB101_162
	s_branch .LBB101_345
.LBB101_114:
                                        ; implicit-def: $sgpr4_sgpr5
                                        ; implicit-def: $vgpr44
                                        ; implicit-def: $vgpr45
                                        ; implicit-def: $vgpr46
                                        ; implicit-def: $vgpr47
                                        ; implicit-def: $vgpr48
                                        ; implicit-def: $vgpr49
                                        ; implicit-def: $vgpr50
                                        ; implicit-def: $vgpr51
                                        ; implicit-def: $vgpr52
                                        ; implicit-def: $vgpr53
                                        ; implicit-def: $vgpr54
                                        ; implicit-def: $vgpr55
                                        ; implicit-def: $vgpr56
                                        ; implicit-def: $vgpr57
	s_cbranch_execz .LBB101_59
; %bb.115:
	v_cmp_neq_f32_e32 vcc, v25, v8
	v_cndmask_b32_e64 v57, 0, 1, vcc
	v_cmp_neq_f32_e32 vcc, v25, v9
	v_cndmask_b32_e64 v56, 0, 1, vcc
	;; [unrolled: 2-line block ×13, first 2 shown]
	v_cmp_neq_f32_e32 vcc, v13, v1
	v_lshlrev_b32_e32 v7, 2, v0
	v_cndmask_b32_e64 v44, 0, 1, vcc
	ds_write_b32 v7, v1
	s_waitcnt lgkmcnt(0)
	s_barrier
	s_waitcnt lgkmcnt(0)
                                        ; implicit-def: $sgpr4_sgpr5
	s_and_saveexec_b64 s[12:13], s[6:7]
	s_xor_b64 s[12:13], exec, s[12:13]
	s_cbranch_execz .LBB101_117
; %bb.116:
	v_add_u32_e32 v2, -4, v7
	ds_read_b32 v2, v2
	s_or_b64 s[8:9], s[8:9], exec
	s_waitcnt lgkmcnt(0)
	v_cmp_neq_f32_e32 vcc, v2, v24
	s_and_b64 s[4:5], vcc, exec
.LBB101_117:
	s_or_b64 exec, exec, s[12:13]
	s_mov_b32 s14, 1
	s_branch .LBB101_75
.LBB101_118:
	s_mul_hi_u32 s5, s44, 0xfffff100
	s_mul_i32 s4, s45, 0xfffff100
	s_sub_i32 s5, s5, s44
	s_add_i32 s5, s5, s4
	s_mul_i32 s4, s44, 0xfffff100
	s_add_u32 s12, s4, s60
	s_addc_u32 s13, s5, s61
	s_and_b64 vcc, exec, s[10:11]
	s_cbranch_vccz .LBB101_123
; %bb.119:
	v_add_co_u32_e32 v2, vcc, -4, v10
	v_addc_co_u32_e32 v3, vcc, -1, v11, vcc
	flat_load_dword v6, v[2:3]
	v_mad_u32_u24 v4, v0, 15, 14
	v_mov_b32_e32 v5, 0
	v_cmp_gt_u64_e32 vcc, s[12:13], v[4:5]
	v_cmp_neq_f32_e64 s[4:5], v13, v1
	v_mad_u32_u24 v4, v0, 15, 13
	s_and_b64 s[8:9], vcc, s[4:5]
	v_cmp_gt_u64_e32 vcc, s[12:13], v[4:5]
	v_cmp_neq_f32_e64 s[4:5], v12, v13
	v_mad_u32_u24 v4, v0, 15, 12
	s_and_b64 s[10:11], vcc, s[4:5]
	v_cmp_gt_u64_e32 vcc, s[12:13], v[4:5]
	v_cmp_neq_f32_e64 s[4:5], v15, v12
	v_mad_u32_u24 v4, v0, 15, 11
	s_and_b64 s[14:15], vcc, s[4:5]
	v_cmp_gt_u64_e32 vcc, s[12:13], v[4:5]
	v_cmp_neq_f32_e64 s[4:5], v14, v15
	v_mad_u32_u24 v4, v0, 15, 10
	s_and_b64 s[16:17], vcc, s[4:5]
	v_cmp_gt_u64_e32 vcc, s[12:13], v[4:5]
	v_cmp_neq_f32_e64 s[4:5], v17, v14
	v_mad_u32_u24 v4, v0, 15, 9
	s_and_b64 s[18:19], vcc, s[4:5]
	v_cmp_gt_u64_e32 vcc, s[12:13], v[4:5]
	v_cmp_neq_f32_e64 s[4:5], v16, v17
	v_mad_u32_u24 v4, v0, 15, 8
	s_and_b64 s[20:21], vcc, s[4:5]
	v_cmp_gt_u64_e32 vcc, s[12:13], v[4:5]
	v_cmp_neq_f32_e64 s[4:5], v19, v16
	v_mad_u32_u24 v4, v0, 15, 7
	s_and_b64 s[22:23], vcc, s[4:5]
	v_cmp_gt_u64_e32 vcc, s[12:13], v[4:5]
	v_cmp_neq_f32_e64 s[4:5], v18, v19
	v_mad_u32_u24 v4, v0, 15, 6
	s_and_b64 s[24:25], vcc, s[4:5]
	v_cmp_gt_u64_e32 vcc, s[12:13], v[4:5]
	v_cmp_neq_f32_e64 s[4:5], v21, v18
	v_mad_u32_u24 v4, v0, 15, 5
	s_and_b64 s[26:27], vcc, s[4:5]
	v_cmp_gt_u64_e32 vcc, s[12:13], v[4:5]
	v_cmp_neq_f32_e64 s[4:5], v20, v21
	v_mad_u32_u24 v4, v0, 15, 4
	s_and_b64 s[28:29], vcc, s[4:5]
	v_cmp_gt_u64_e32 vcc, s[12:13], v[4:5]
	v_cmp_neq_f32_e64 s[4:5], v23, v20
	v_mad_u32_u24 v4, v0, 15, 3
	s_and_b64 s[30:31], vcc, s[4:5]
	v_cmp_gt_u64_e32 vcc, s[12:13], v[4:5]
	v_cmp_neq_f32_e64 s[4:5], v22, v23
	v_mad_u32_u24 v4, v0, 15, 2
	s_and_b64 s[34:35], vcc, s[4:5]
	v_cmp_gt_u64_e32 vcc, s[12:13], v[4:5]
	v_cmp_neq_f32_e64 s[4:5], v25, v22
	v_mad_u32_u24 v4, v0, 15, 1
	s_and_b64 s[36:37], vcc, s[4:5]
	v_cmp_gt_u64_e32 vcc, s[12:13], v[4:5]
	v_cmp_neq_f32_e64 s[4:5], v24, v25
	v_lshlrev_b32_e32 v3, 2, v0
	v_mul_u32_u24_e32 v2, 15, v0
	s_and_b64 s[4:5], vcc, s[4:5]
	ds_write_b32 v3, v1
	s_waitcnt lgkmcnt(0)
	s_barrier
	s_and_saveexec_b64 s[44:45], s[6:7]
	s_cbranch_execz .LBB101_121
; %bb.120:
	v_add_u32_e32 v3, -4, v3
	s_waitcnt vmcnt(0)
	ds_read_b32 v6, v3
.LBB101_121:
	s_or_b64 exec, exec, s[44:45]
	v_mov_b32_e32 v3, v5
	v_cndmask_b32_e64 v57, 0, 1, s[4:5]
	v_cmp_gt_u64_e32 vcc, s[12:13], v[2:3]
	s_waitcnt vmcnt(0) lgkmcnt(0)
	v_cmp_neq_f32_e64 s[4:5], v6, v24
	v_cndmask_b32_e64 v44, 0, 1, s[8:9]
	v_cndmask_b32_e64 v45, 0, 1, s[10:11]
	;; [unrolled: 1-line block ×13, first 2 shown]
	s_and_b64 s[4:5], vcc, s[4:5]
	s_mov_b64 s[8:9], -1
.LBB101_122:
                                        ; implicit-def: $sgpr14
	v_mov_b32_e32 v58, s14
	s_and_saveexec_b64 s[6:7], s[8:9]
	s_cbranch_execnz .LBB101_76
	s_branch .LBB101_77
.LBB101_123:
                                        ; implicit-def: $sgpr4_sgpr5
                                        ; implicit-def: $vgpr44
                                        ; implicit-def: $vgpr45
                                        ; implicit-def: $vgpr46
                                        ; implicit-def: $vgpr47
                                        ; implicit-def: $vgpr48
                                        ; implicit-def: $vgpr49
                                        ; implicit-def: $vgpr50
                                        ; implicit-def: $vgpr51
                                        ; implicit-def: $vgpr52
                                        ; implicit-def: $vgpr53
                                        ; implicit-def: $vgpr54
                                        ; implicit-def: $vgpr55
                                        ; implicit-def: $vgpr56
                                        ; implicit-def: $vgpr57
	s_cbranch_execz .LBB101_122
; %bb.124:
	v_mad_u32_u24 v2, v0, 15, 14
	v_mov_b32_e32 v3, 0
	v_cmp_gt_u64_e32 vcc, s[12:13], v[2:3]
	v_cmp_neq_f32_e64 s[4:5], v13, v1
	s_and_b64 s[4:5], vcc, s[4:5]
	v_mad_u32_u24 v2, v0, 15, 13
	v_cndmask_b32_e64 v44, 0, 1, s[4:5]
	v_cmp_gt_u64_e32 vcc, s[12:13], v[2:3]
	v_cmp_neq_f32_e64 s[4:5], v12, v13
	s_and_b64 s[4:5], vcc, s[4:5]
	v_mad_u32_u24 v2, v0, 15, 12
	v_cndmask_b32_e64 v45, 0, 1, s[4:5]
	;; [unrolled: 5-line block ×13, first 2 shown]
	v_cmp_gt_u64_e32 vcc, s[12:13], v[2:3]
	v_cmp_neq_f32_e64 s[4:5], v24, v25
	s_and_b64 s[4:5], vcc, s[4:5]
	v_lshlrev_b32_e32 v4, 2, v0
	s_mov_b32 s14, 1
	v_cndmask_b32_e64 v57, 0, 1, s[4:5]
	ds_write_b32 v4, v1
	s_waitcnt lgkmcnt(0)
	s_barrier
	s_waitcnt lgkmcnt(0)
                                        ; implicit-def: $sgpr4_sgpr5
	s_and_saveexec_b64 s[10:11], s[6:7]
	s_cbranch_execz .LBB101_132
; %bb.125:
	v_add_u32_e32 v2, -4, v4
	ds_read_b32 v4, v2
	v_mul_u32_u24_e32 v2, 15, v0
	v_cmp_gt_u64_e32 vcc, s[12:13], v[2:3]
	s_or_b64 s[8:9], s[8:9], exec
	s_waitcnt lgkmcnt(0)
	v_cmp_neq_f32_e64 s[4:5], v4, v24
	s_and_b64 s[4:5], vcc, s[4:5]
	s_and_b64 s[4:5], s[4:5], exec
	s_or_b64 exec, exec, s[10:11]
	v_mov_b32_e32 v58, s14
	s_and_saveexec_b64 s[6:7], s[8:9]
	s_cbranch_execz .LBB101_77
	s_branch .LBB101_76
.LBB101_126:
	v_cndmask_b32_e64 v5, 0, 1, vcc
	v_readfirstlane_b32 s4, v5
	s_sub_i32 s61, s61, s4
	v_lshlrev_b32_e32 v5, 16, v60
	s_mov_b32 s4, 0x4020c0c
	v_lshlrev_b32_e32 v8, 8, v42
	v_perm_b32 v5, v43, v5, s4
	v_and_b32_e32 v8, 0xff00, v8
	v_and_b32_e32 v4, 0xff, v4
	v_or3_b32 v60, v5, v8, v4
.LBB101_127:
	v_mov_b32_e32 v4, 2
	v_cmp_eq_u16_sdwa vcc, v6, v4 src0_sel:BYTE_0 src1_sel:DWORD
	s_cbranch_vccz .LBB101_133
; %bb.128:
	s_ff1_i32_b64 s4, vcc
	s_cmp_eq_u32 s4, 0
	s_cbranch_scc1 .LBB101_134
; %bb.129:
	v_cmp_eq_u32_e32 vcc, 0, v60
	v_mov_b32_e32 v9, v7
	v_mov_b32_e32 v8, v60
.LBB101_130:                            ; =>This Inner Loop Header: Depth=1
	s_nop 1
	v_mov_b32_dpp v4, v8 wave_rol:1 row_mask:0xf bank_mask:0xf
	v_mov_b32_dpp v5, v9 wave_rol:1 row_mask:0xf bank_mask:0xf
	v_add_u32_e32 v8, v4, v60
	v_add_f32_e32 v4, v7, v5
	s_add_i32 s4, s4, -1
	s_cmp_lg_u32 s4, 0
	v_cndmask_b32_e32 v9, v7, v4, vcc
	s_cbranch_scc1 .LBB101_130
; %bb.131:
	s_cmp_lt_i32 s61, 1
	s_cbranch_scc0 .LBB101_135
	s_branch .LBB101_140
.LBB101_132:
	s_or_b64 exec, exec, s[10:11]
	v_mov_b32_e32 v58, s14
	s_and_saveexec_b64 s[6:7], s[8:9]
	s_cbranch_execnz .LBB101_76
	s_branch .LBB101_77
.LBB101_133:
	s_mov_b64 s[52:53], 0
	s_mov_b64 s[4:5], -1
	s_branch .LBB101_145
.LBB101_134:
	v_mov_b32_e32 v9, v7
	v_mov_b32_e32 v8, v60
	s_cmp_lt_i32 s61, 1
	s_cbranch_scc1 .LBB101_140
.LBB101_135:
	v_mov_b32_e32 v4, 0
.LBB101_136:                            ; =>This Loop Header: Depth=1
                                        ;     Child Loop BB101_137 Depth 2
	s_add_i32 s4, s61, -1
	s_lshl_b32 s5, s4, 3
	v_add_u32_e32 v6, s5, v4
	buffer_load_dword v5, v6, s[0:3], 0 offen
	s_nop 0
	buffer_load_dword v6, v6, s[0:3], 0 offen offset:4
	s_mov_b32 s5, 64
	s_waitcnt vmcnt(1)
	v_cmp_eq_u32_e32 vcc, 0, v5
.LBB101_137:                            ;   Parent Loop BB101_136 Depth=1
                                        ; =>  This Inner Loop Header: Depth=2
	v_mov_b32_dpp v7, v8 wave_rol:1 row_mask:0xf bank_mask:0xf
	v_mov_b32_dpp v8, v9 wave_rol:1 row_mask:0xf bank_mask:0xf
	s_waitcnt vmcnt(0)
	v_add_f32_e32 v8, v6, v8
	v_cndmask_b32_e32 v8, v6, v8, vcc
	v_add_u32_e32 v7, v7, v5
	s_add_i32 s5, s5, -16
	v_mov_b32_dpp v8, v8 wave_rol:1 row_mask:0xf bank_mask:0xf
	v_add_f32_e32 v8, v6, v8
	v_cndmask_b32_e32 v8, v6, v8, vcc
	v_mov_b32_dpp v7, v7 wave_rol:1 row_mask:0xf bank_mask:0xf
	v_add_u32_e32 v7, v7, v5
	v_mov_b32_dpp v8, v8 wave_rol:1 row_mask:0xf bank_mask:0xf
	v_add_f32_e32 v8, v6, v8
	v_cndmask_b32_e32 v8, v6, v8, vcc
	v_mov_b32_dpp v7, v7 wave_rol:1 row_mask:0xf bank_mask:0xf
	v_add_u32_e32 v7, v7, v5
	;; [unrolled: 5-line block ×12, first 2 shown]
	v_mov_b32_dpp v8, v8 wave_rol:1 row_mask:0xf bank_mask:0xf
	v_add_f32_e32 v8, v6, v8
	v_mov_b32_dpp v7, v7 wave_rol:1 row_mask:0xf bank_mask:0xf
	v_cndmask_b32_e32 v8, v6, v8, vcc
	v_add_u32_e32 v7, v7, v5
	s_cmp_lg_u32 s5, 0
	v_mov_b32_dpp v8, v8 wave_rol:1 row_mask:0xf bank_mask:0xf
	v_mov_b32_dpp v7, v7 wave_rol:1 row_mask:0xf bank_mask:0xf
	v_add_f32_e32 v8, v6, v8
	v_add_u32_e32 v7, v7, v5
	v_cndmask_b32_e32 v8, v6, v8, vcc
	s_nop 0
	v_mov_b32_dpp v7, v7 wave_rol:1 row_mask:0xf bank_mask:0xf
	v_mov_b32_dpp v9, v8 wave_rol:1 row_mask:0xf bank_mask:0xf
	v_add_u32_e32 v8, v7, v5
	v_add_f32_e32 v7, v6, v9
	v_cndmask_b32_e32 v9, v6, v7, vcc
	s_cbranch_scc1 .LBB101_137
; %bb.138:                              ;   in Loop: Header=BB101_136 Depth=1
	s_cmp_gt_i32 s61, 1
	s_cbranch_scc0 .LBB101_140
; %bb.139:                              ;   in Loop: Header=BB101_136 Depth=1
	s_mov_b32 s61, s4
	s_branch .LBB101_136
.LBB101_140:
	v_readfirstlane_b32 s52, v8
	v_readfirstlane_b32 s53, v9
	s_and_saveexec_b64 s[4:5], s[34:35]
	s_cbranch_execz .LBB101_142
; %bb.141:
	v_mov_b32_e32 v5, s53
	v_add_f32_e32 v4, s60, v5
	v_mov_b32_e32 v7, s60
	v_cmp_eq_u32_e32 vcc, 0, v2
	s_mov_b32 s55, 0
	v_cndmask_b32_e32 v4, v7, v4, vcc
	s_add_i32 s54, s66, 64
	s_lshl_b64 s[54:55], s[54:55], 4
	v_and_b32_e32 v7, 0xff000000, v4
	v_and_b32_e32 v8, 0xff0000, v4
	s_add_u32 s54, s48, s54
	v_or_b32_e32 v7, v8, v7
	v_and_b32_e32 v8, 0xff00, v4
	s_addc_u32 s55, s49, s55
	v_or_b32_e32 v7, v7, v8
	v_add_u32_e32 v6, s52, v2
	v_mov_b32_e32 v9, 0
	v_or_b32_sdwa v7, v7, v4 dst_sel:DWORD dst_unused:UNUSED_PAD src0_sel:DWORD src1_sel:BYTE_0
	v_mov_b32_e32 v8, 2
	v_pk_mov_b32 v[10:11], s[54:55], s[54:55] op_sel:[0,1]
	;;#ASMSTART
	global_store_dwordx4 v[10:11], v[6:9] off	
s_waitcnt vmcnt(0)
	;;#ASMEND
	v_mov_b32_e32 v4, s52
	ds_write_b128 v9, v[2:5] offset:2048
.LBB101_142:
	s_or_b64 exec, exec, s[4:5]
	s_and_saveexec_b64 s[4:5], s[38:39]
	s_cbranch_execz .LBB101_144
; %bb.143:
	v_mov_b32_e32 v2, s52
	v_mov_b32_e32 v3, s53
	;; [unrolled: 1-line block ×3, first 2 shown]
	ds_write_b64 v4, v[2:3] offset:2088
.LBB101_144:
	s_or_b64 exec, exec, s[4:5]
	s_mov_b64 s[52:53], -1
	s_mov_b64 s[4:5], 0
.LBB101_145:
	s_and_b64 s[4:5], s[4:5], exec
	s_orn2_b64 s[52:53], s[52:53], exec
.LBB101_146:
	s_or_b64 exec, exec, s[50:51]
                                        ; implicit-def: $vgpr2
                                        ; implicit-def: $vgpr42
                                        ; implicit-def: $vgpr6
                                        ; implicit-def: $vgpr62
                                        ; implicit-def: $vgpr43
                                        ; implicit-def: $vgpr60
                                        ; implicit-def: $vgpr61
                                        ; implicit-def: $vgpr63
                                        ; implicit-def: $vgpr64
                                        ; implicit-def: $vgpr65
                                        ; implicit-def: $vgpr66
                                        ; implicit-def: $vgpr67
                                        ; implicit-def: $vgpr68
                                        ; implicit-def: $vgpr69
                                        ; implicit-def: $vgpr70
                                        ; implicit-def: $vgpr71
                                        ; implicit-def: $vgpr72
                                        ; implicit-def: $vgpr73
	s_and_saveexec_b64 s[50:51], s[52:53]
	s_cbranch_execz .LBB101_149
; %bb.147:
	v_mov_b32_e32 v4, 0
	s_waitcnt lgkmcnt(0)
	s_barrier
	ds_read_b64 v[2:3], v4 offset:2088
	v_cndmask_b32_e64 v5, v80, v41, s[34:35]
	v_cndmask_b32_e64 v6, v79, v40, s[34:35]
	v_cmp_eq_u32_e32 vcc, 0, v6
	s_waitcnt lgkmcnt(0)
	v_add_f32_e32 v7, v5, v3
	v_cndmask_b32_e32 v5, v5, v7, vcc
	v_cndmask_b32_e64 v73, v5, v3, s[38:39]
	v_cndmask_b32_e64 v3, v6, 0, s[38:39]
	v_add_u32_e32 v7, v2, v3
	v_add_f32_e32 v2, v38, v73
	v_cmp_eq_u32_e32 vcc, 0, v58
	v_cndmask_b32_e32 v72, v38, v2, vcc
	v_add_f32_e32 v2, v39, v72
	v_cndmask_b32_e64 v71, v39, v2, s[30:31]
	v_add_f32_e32 v2, v36, v71
	v_cndmask_b32_e64 v70, v36, v2, s[28:29]
	;; [unrolled: 2-line block ×11, first 2 shown]
	s_barrier
	ds_read_b128 v[2:5], v4 offset:2048
	v_add_f32_e32 v6, v26, v60
	v_cndmask_b32_e64 v43, v26, v6, s[8:9]
	v_add_f32_e32 v6, v27, v43
	s_mov_b64 s[44:45], exec
	s_waitcnt lgkmcnt(0)
	v_add_f32_e32 v5, v5, v3
	v_cmp_eq_u32_e32 vcc, 0, v2
	v_cndmask_b32_e64 v62, v27, v6, s[6:7]
	v_cndmask_b32_e32 v42, v3, v5, vcc
	v_mov_b32_e32 v6, v4
	v_mov_b32_e32 v5, v7
	s_or_b64 exec, exec, s[50:51]
	s_and_saveexec_b64 s[6:7], s[4:5]
	s_xor_b64 s[4:5], exec, s[6:7]
	s_cbranch_execz .LBB101_150
.LBB101_148:
	s_trap 2
	; divergent unreachable
                                        ; implicit-def: $vgpr62
                                        ; implicit-def: $vgpr43
                                        ; implicit-def: $vgpr60
                                        ; implicit-def: $vgpr61
                                        ; implicit-def: $vgpr63
                                        ; implicit-def: $vgpr64
                                        ; implicit-def: $vgpr65
                                        ; implicit-def: $vgpr66
                                        ; implicit-def: $vgpr67
                                        ; implicit-def: $vgpr68
                                        ; implicit-def: $vgpr69
                                        ; implicit-def: $vgpr70
                                        ; implicit-def: $vgpr71
                                        ; implicit-def: $vgpr72
                                        ; implicit-def: $vgpr73
	s_branch .LBB101_150
.LBB101_149:
	s_or_b64 exec, exec, s[50:51]
	s_and_saveexec_b64 s[6:7], s[4:5]
	s_xor_b64 s[4:5], exec, s[6:7]
	s_cbranch_execnz .LBB101_148
.LBB101_150:
	s_or_b64 exec, exec, s[4:5]
	s_branch .LBB101_113
.LBB101_151:
	s_and_b64 s[4:5], s[36:37], exec
	s_cselect_b32 s5, 0, s65
	s_cselect_b32 s4, 0, s64
	s_cmp_eq_u64 s[4:5], 0
	v_mov_b32_e32 v6, v38
	s_cbranch_scc1 .LBB101_153
; %bb.152:
	v_mov_b32_e32 v2, 0
	global_load_dword v6, v2, s[4:5]
.LBB101_153:
	v_cmp_eq_u32_e64 s[6:7], 0, v57
	v_cndmask_b32_e64 v2, v39, v78, s[6:7]
	v_add_f32_e32 v2, v36, v2
	v_cmp_eq_u32_e64 s[8:9], 0, v56
	v_cndmask_b32_e64 v2, v36, v2, s[8:9]
	v_add_f32_e32 v2, v37, v2
	;; [unrolled: 3-line block ×11, first 2 shown]
	v_cmp_eq_u32_e64 s[28:29], 0, v46
	v_cndmask_b32_e64 v2, v26, v2, s[28:29]
	v_add3_u32 v3, v77, v53, v52
	v_add_f32_e32 v2, v27, v2
	v_cmp_eq_u32_e32 vcc, 0, v45
	v_add3_u32 v3, v3, v51, v50
	v_cndmask_b32_e32 v2, v27, v2, vcc
	v_add3_u32 v3, v3, v49, v48
	v_add_f32_e32 v2, v59, v2
	v_cmp_eq_u32_e64 s[4:5], 0, v44
	v_add3_u32 v3, v3, v47, v46
	v_cndmask_b32_e64 v2, v59, v2, s[4:5]
	v_add3_u32 v3, v3, v45, v44
	v_mbcnt_hi_u32_b32 v7, -1, v76
	v_mov_b32_dpp v8, v2 row_shr:1 row_mask:0xf bank_mask:0xf
	v_and_b32_e32 v4, 15, v7
	v_add_f32_e32 v8, v2, v8
	v_cmp_eq_u32_e64 s[4:5], 0, v3
	v_mov_b32_dpp v5, v3 row_shr:1 row_mask:0xf bank_mask:0xf
	v_cndmask_b32_e64 v8, v2, v8, s[4:5]
	v_cmp_eq_u32_e64 s[4:5], 0, v4
	v_cndmask_b32_e64 v5, v5, 0, s[4:5]
	v_cndmask_b32_e64 v2, v8, v2, s[4:5]
	v_add_u32_e32 v3, v5, v3
	v_cmp_eq_u32_e64 s[4:5], 0, v3
	v_mov_b32_dpp v8, v2 row_shr:2 row_mask:0xf bank_mask:0xf
	v_add_f32_e32 v8, v2, v8
	v_mov_b32_dpp v5, v3 row_shr:2 row_mask:0xf bank_mask:0xf
	v_cndmask_b32_e64 v8, v2, v8, s[4:5]
	v_cmp_lt_u32_e64 s[4:5], 1, v4
	v_cndmask_b32_e64 v2, v2, v8, s[4:5]
	v_cndmask_b32_e64 v5, 0, v5, s[4:5]
	v_add_u32_e32 v3, v3, v5
	v_mov_b32_dpp v8, v2 row_shr:4 row_mask:0xf bank_mask:0xf
	v_add_f32_e32 v8, v2, v8
	v_cmp_eq_u32_e64 s[4:5], 0, v3
	v_mov_b32_dpp v5, v3 row_shr:4 row_mask:0xf bank_mask:0xf
	v_cndmask_b32_e64 v8, v2, v8, s[4:5]
	v_cmp_lt_u32_e64 s[4:5], 3, v4
	v_cndmask_b32_e64 v2, v2, v8, s[4:5]
	v_cndmask_b32_e64 v5, 0, v5, s[4:5]
	v_add_u32_e32 v3, v5, v3
	v_mov_b32_dpp v8, v2 row_shr:8 row_mask:0xf bank_mask:0xf
	v_add_f32_e32 v8, v2, v8
	v_cmp_eq_u32_e64 s[4:5], 0, v3
	v_mov_b32_dpp v5, v3 row_shr:8 row_mask:0xf bank_mask:0xf
	v_cndmask_b32_e64 v8, v2, v8, s[4:5]
	v_cmp_lt_u32_e64 s[4:5], 7, v4
	v_cndmask_b32_e64 v2, v2, v8, s[4:5]
	v_cndmask_b32_e64 v4, 0, v5, s[4:5]
	v_add_u32_e32 v3, v4, v3
	v_mov_b32_dpp v5, v2 row_bcast:15 row_mask:0xf bank_mask:0xf
	v_bfe_i32 v8, v7, 4, 1
	v_mov_b32_dpp v4, v3 row_bcast:15 row_mask:0xf bank_mask:0xf
	v_and_b32_e32 v9, 16, v7
	v_add_f32_e32 v5, v2, v5
	v_cmp_eq_u32_e64 s[4:5], 0, v3
	v_cndmask_b32_e64 v5, v2, v5, s[4:5]
	v_and_b32_e32 v4, v8, v4
	v_cmp_eq_u32_e64 s[4:5], 0, v9
	v_add_u32_e32 v3, v4, v3
	v_cndmask_b32_e64 v4, v5, v2, s[4:5]
	v_cmp_eq_u32_e64 s[4:5], 0, v3
	v_mov_b32_dpp v2, v3 row_bcast:31 row_mask:0xf bank_mask:0xf
	v_mov_b32_dpp v5, v4 row_bcast:31 row_mask:0xf bank_mask:0xf
	v_add_f32_e32 v5, v4, v5
	v_cndmask_b32_e64 v5, v4, v5, s[4:5]
	v_cmp_lt_u32_e64 s[4:5], 31, v7
	v_cndmask_b32_e64 v2, 0, v2, s[4:5]
	v_add_u32_e32 v2, v2, v3
	v_cmp_eq_u32_e64 s[30:31], v75, v0
	v_cndmask_b32_e64 v3, v4, v5, s[4:5]
	s_and_saveexec_b64 s[4:5], s[30:31]
	s_cbranch_execz .LBB101_155
; %bb.154:
	v_lshlrev_b32_e32 v4, 3, v74
	ds_write_b64 v4, v[2:3] offset:2064
.LBB101_155:
	s_or_b64 exec, exec, s[4:5]
	v_cmp_gt_u32_e64 s[4:5], 4, v0
	s_waitcnt lgkmcnt(0)
	s_barrier
	s_and_saveexec_b64 s[34:35], s[4:5]
	s_cbranch_execz .LBB101_157
; %bb.156:
	v_lshlrev_b32_e32 v8, 3, v0
	ds_read_b64 v[4:5], v8 offset:2064
	v_and_b32_e32 v9, 3, v7
	v_cmp_lt_u32_e64 s[30:31], 1, v9
	s_waitcnt lgkmcnt(0)
	v_mov_b32_dpp v11, v5 row_shr:1 row_mask:0xf bank_mask:0xf
	v_add_f32_e32 v11, v5, v11
	v_cmp_eq_u32_e64 s[4:5], 0, v4
	v_mov_b32_dpp v10, v4 row_shr:1 row_mask:0xf bank_mask:0xf
	v_cndmask_b32_e64 v11, v5, v11, s[4:5]
	v_cmp_eq_u32_e64 s[4:5], 0, v9
	v_cndmask_b32_e64 v10, v10, 0, s[4:5]
	v_add_u32_e32 v4, v10, v4
	v_cndmask_b32_e64 v5, v11, v5, s[4:5]
	v_cmp_eq_u32_e64 s[4:5], 0, v4
	v_mov_b32_dpp v10, v4 row_shr:2 row_mask:0xf bank_mask:0xf
	v_mov_b32_dpp v11, v5 row_shr:2 row_mask:0xf bank_mask:0xf
	v_add_f32_e32 v11, v5, v11
	v_cndmask_b32_e64 v9, 0, v10, s[30:31]
	s_and_b64 s[4:5], s[30:31], s[4:5]
	v_add_u32_e32 v4, v9, v4
	v_cndmask_b32_e64 v5, v5, v11, s[4:5]
	ds_write_b64 v8, v[4:5] offset:2064
.LBB101_157:
	s_or_b64 exec, exec, s[34:35]
	v_cmp_lt_u32_e64 s[4:5], 63, v0
	v_mov_b32_e32 v8, 0
	v_mov_b32_e32 v4, 0
	s_waitcnt vmcnt(0)
	v_mov_b32_e32 v9, v6
	s_waitcnt lgkmcnt(0)
	s_barrier
	s_and_saveexec_b64 s[30:31], s[4:5]
	s_cbranch_execz .LBB101_159
; %bb.158:
	v_lshlrev_b32_e32 v4, 3, v74
	ds_read_b64 v[4:5], v4 offset:2056
	s_waitcnt lgkmcnt(0)
	v_add_f32_e32 v9, v6, v5
	v_cmp_eq_u32_e64 s[4:5], 0, v4
	v_cndmask_b32_e64 v9, v5, v9, s[4:5]
.LBB101_159:
	s_or_b64 exec, exec, s[30:31]
	v_add_f32_e32 v10, v3, v9
	v_cmp_eq_u32_e64 s[4:5], 0, v2
	v_add_u32_e32 v5, v4, v2
	v_cndmask_b32_e64 v2, v3, v10, s[4:5]
	v_add_u32_e32 v3, -1, v7
	v_and_b32_e32 v10, 64, v7
	v_cmp_lt_i32_e64 s[4:5], v3, v10
	v_cndmask_b32_e64 v3, v3, v7, s[4:5]
	v_lshlrev_b32_e32 v3, 2, v3
	ds_bpermute_b32 v2, v3, v2
	ds_bpermute_b32 v5, v3, v5
	v_cmp_eq_u32_e64 s[4:5], 0, v7
	s_waitcnt lgkmcnt(1)
	v_cndmask_b32_e64 v73, v2, v9, s[4:5]
	v_cndmask_b32_e64 v2, v73, v6, s[38:39]
	s_waitcnt lgkmcnt(0)
	v_cndmask_b32_e64 v5, v5, v4, s[4:5]
	v_add_f32_e32 v2, v38, v2
	v_cmp_eq_u32_e64 s[4:5], 0, v58
	v_cndmask_b32_e64 v72, v38, v2, s[4:5]
	v_add_f32_e32 v2, v39, v72
	v_cndmask_b32_e64 v71, v39, v2, s[6:7]
	v_add_f32_e32 v2, v36, v71
	;; [unrolled: 2-line block ×10, first 2 shown]
	v_cndmask_b32_e64 v61, v28, v2, s[26:27]
	ds_read_b64 v[2:3], v8 offset:2088
	v_add_f32_e32 v4, v29, v61
	v_cndmask_b32_e64 v60, v29, v4, s[24:25]
	v_add_f32_e32 v4, v26, v60
	v_cndmask_b32_e64 v43, v26, v4, s[28:29]
	s_waitcnt lgkmcnt(0)
	v_add_f32_e32 v4, v6, v3
	v_cmp_eq_u32_e64 s[4:5], 0, v2
	v_add_f32_e32 v7, v27, v43
	v_cndmask_b32_e64 v42, v3, v4, s[4:5]
	s_and_saveexec_b64 s[4:5], s[38:39]
	s_cbranch_execz .LBB101_161
; %bb.160:
	s_add_u32 s6, s48, 0x400
	v_and_b32_e32 v3, 0xff000000, v42
	v_and_b32_e32 v4, 0xff0000, v42
	s_addc_u32 s7, s49, 0
	v_or_b32_e32 v3, v4, v3
	v_and_b32_e32 v4, 0xff00, v42
	v_and_b32_e32 v8, 0xff, v42
	v_mov_b32_e32 v5, 0
	v_or3_b32 v3, v3, v4, v8
	v_mov_b32_e32 v4, 2
	v_pk_mov_b32 v[8:9], s[6:7], s[6:7] op_sel:[0,1]
	;;#ASMSTART
	global_store_dwordx4 v[8:9], v[2:5] off	
s_waitcnt vmcnt(0)
	;;#ASMEND
	v_mov_b32_e32 v73, v6
.LBB101_161:
	s_or_b64 exec, exec, s[4:5]
	v_cndmask_b32_e32 v62, v27, v7, vcc
	s_mov_b64 s[44:45], -1
	v_mov_b32_e32 v6, 0
	s_and_saveexec_b64 s[4:5], s[44:45]
	s_cbranch_execz .LBB101_345
.LBB101_162:
	s_and_b64 s[4:5], s[36:37], exec
	s_cselect_b32 s5, 0, s63
	s_cselect_b32 s4, 0, s62
	s_cmp_eq_u64 s[4:5], 0
	v_pk_mov_b32 v[8:9], 0, 0
	s_waitcnt lgkmcnt(0)
	s_barrier
	s_cbranch_scc1 .LBB101_164
; %bb.163:
	v_mov_b32_e32 v3, 0
	global_load_dwordx2 v[8:9], v3, s[4:5]
.LBB101_164:
	s_waitcnt vmcnt(0)
	v_lshlrev_b64 v[10:11], 2, v[8:9]
	v_mov_b32_e32 v7, s47
	v_add_co_u32_e32 v40, vcc, s46, v10
	v_addc_co_u32_e32 v41, vcc, v7, v11, vcc
	v_mov_b32_e32 v7, 0
	v_lshlrev_b64 v[26:27], 2, v[6:7]
	v_add_co_u32_e32 v7, vcc, v40, v26
	v_addc_co_u32_e32 v40, vcc, v41, v27, vcc
	v_cmp_eq_u32_e32 vcc, 0, v58
	v_cndmask_b32_e64 v41, 1, 2, vcc
	v_cmp_eq_u32_e32 vcc, 0, v57
	v_cndmask_b32_e64 v59, 1, 2, vcc
	v_cmp_eq_u32_e32 vcc, 0, v56
	v_add_u32_e32 v39, v5, v58
	v_and_b32_e32 v41, v59, v41
	v_cndmask_b32_e64 v59, 1, 2, vcc
	v_cmp_eq_u32_e32 vcc, 0, v55
	v_add_u32_e32 v38, v39, v57
	v_and_b32_e32 v41, v41, v59
	;; [unrolled: 4-line block ×12, first 2 shown]
	v_cndmask_b32_e64 v59, 1, 2, vcc
	v_cmp_eq_u32_e32 vcc, 0, v44
	s_movk_i32 s4, 0x100
	v_add_u32_e32 v4, v28, v46
	v_and_b32_e32 v41, v41, v59
	v_cndmask_b32_e64 v59, 1, 2, vcc
	v_cmp_gt_u32_e32 vcc, s4, v2
	v_add_u32_e32 v3, v4, v45
	v_cmp_ne_u32_e64 s[36:37], 0, v58
	v_cmp_ne_u32_e64 s[34:35], 0, v57
	;; [unrolled: 1-line block ×15, first 2 shown]
	v_and_b32_e32 v41, v41, v59
	s_mov_b64 s[4:5], -1
	s_cbranch_vccz .LBB101_201
; %bb.165:
	v_cmp_gt_i16_e32 vcc, 2, v41
	s_and_saveexec_b64 s[4:5], vcc
	s_cbranch_execz .LBB101_200
; %bb.166:
	v_cmp_ne_u16_e32 vcc, 1, v41
	s_mov_b64 s[46:47], 0
	s_and_saveexec_b64 s[44:45], vcc
	s_xor_b64 s[44:45], exec, s[44:45]
	s_cbranch_execz .LBB101_181
; %bb.167:
	s_and_saveexec_b64 s[46:47], s[36:37]
	s_cbranch_execz .LBB101_183
; %bb.168:
	v_sub_u32_e32 v74, v5, v6
	v_mov_b32_e32 v75, 0
	v_lshlrev_b64 v[74:75], 2, v[74:75]
	v_add_co_u32_e32 v74, vcc, v7, v74
	v_addc_co_u32_e32 v75, vcc, v40, v75, vcc
	global_store_dword v[74:75], v24, off
	s_or_b64 exec, exec, s[46:47]
	s_and_saveexec_b64 s[46:47], s[34:35]
	s_cbranch_execnz .LBB101_184
.LBB101_169:
	s_or_b64 exec, exec, s[46:47]
	s_and_saveexec_b64 s[46:47], s[30:31]
	s_cbranch_execz .LBB101_185
.LBB101_170:
	v_sub_u32_e32 v74, v38, v6
	v_mov_b32_e32 v75, 0
	v_lshlrev_b64 v[74:75], 2, v[74:75]
	v_add_co_u32_e32 v74, vcc, v7, v74
	v_addc_co_u32_e32 v75, vcc, v40, v75, vcc
	global_store_dword v[74:75], v22, off
	s_or_b64 exec, exec, s[46:47]
	s_and_saveexec_b64 s[46:47], s[28:29]
	s_cbranch_execnz .LBB101_186
.LBB101_171:
	s_or_b64 exec, exec, s[46:47]
	s_and_saveexec_b64 s[46:47], s[26:27]
	s_cbranch_execz .LBB101_187
.LBB101_172:
	v_sub_u32_e32 v74, v36, v6
	v_mov_b32_e32 v75, 0
	v_lshlrev_b64 v[74:75], 2, v[74:75]
	v_add_co_u32_e32 v74, vcc, v7, v74
	v_addc_co_u32_e32 v75, vcc, v40, v75, vcc
	global_store_dword v[74:75], v20, off
	s_or_b64 exec, exec, s[46:47]
	s_and_saveexec_b64 s[46:47], s[24:25]
	s_cbranch_execnz .LBB101_188
.LBB101_173:
	s_or_b64 exec, exec, s[46:47]
	s_and_saveexec_b64 s[46:47], s[22:23]
	s_cbranch_execz .LBB101_189
.LBB101_174:
	v_sub_u32_e32 v74, v34, v6
	v_mov_b32_e32 v75, 0
	v_lshlrev_b64 v[74:75], 2, v[74:75]
	v_add_co_u32_e32 v74, vcc, v7, v74
	v_addc_co_u32_e32 v75, vcc, v40, v75, vcc
	global_store_dword v[74:75], v18, off
	s_or_b64 exec, exec, s[46:47]
	s_and_saveexec_b64 s[46:47], s[20:21]
	s_cbranch_execnz .LBB101_190
.LBB101_175:
	s_or_b64 exec, exec, s[46:47]
	s_and_saveexec_b64 s[46:47], s[18:19]
	s_cbranch_execz .LBB101_191
.LBB101_176:
	v_sub_u32_e32 v74, v32, v6
	v_mov_b32_e32 v75, 0
	v_lshlrev_b64 v[74:75], 2, v[74:75]
	v_add_co_u32_e32 v74, vcc, v7, v74
	v_addc_co_u32_e32 v75, vcc, v40, v75, vcc
	global_store_dword v[74:75], v16, off
	s_or_b64 exec, exec, s[46:47]
	s_and_saveexec_b64 s[46:47], s[16:17]
	s_cbranch_execnz .LBB101_192
.LBB101_177:
	s_or_b64 exec, exec, s[46:47]
	s_and_saveexec_b64 s[46:47], s[14:15]
	s_cbranch_execz .LBB101_193
.LBB101_178:
	v_sub_u32_e32 v74, v30, v6
	v_mov_b32_e32 v75, 0
	v_lshlrev_b64 v[74:75], 2, v[74:75]
	v_add_co_u32_e32 v74, vcc, v7, v74
	v_addc_co_u32_e32 v75, vcc, v40, v75, vcc
	global_store_dword v[74:75], v14, off
	s_or_b64 exec, exec, s[46:47]
	s_and_saveexec_b64 s[46:47], s[12:13]
	s_cbranch_execnz .LBB101_194
.LBB101_179:
	s_or_b64 exec, exec, s[46:47]
	s_and_saveexec_b64 s[46:47], s[10:11]
	s_cbranch_execz .LBB101_195
.LBB101_180:
	v_sub_u32_e32 v74, v28, v6
	v_mov_b32_e32 v75, 0
	v_lshlrev_b64 v[74:75], 2, v[74:75]
	v_add_co_u32_e32 v74, vcc, v7, v74
	v_addc_co_u32_e32 v75, vcc, v40, v75, vcc
	global_store_dword v[74:75], v12, off
	s_or_b64 exec, exec, s[46:47]
	s_and_saveexec_b64 s[46:47], s[8:9]
	s_cbranch_execnz .LBB101_196
	s_branch .LBB101_197
.LBB101_181:
	s_andn2_saveexec_b64 s[44:45], s[44:45]
	s_cbranch_execz .LBB101_198
.LBB101_182:
	v_sub_u32_e32 v74, v5, v6
	v_mov_b32_e32 v75, 0
	v_lshlrev_b64 v[76:77], 2, v[74:75]
	v_add_co_u32_e32 v76, vcc, v7, v76
	v_addc_co_u32_e32 v77, vcc, v40, v77, vcc
	v_sub_u32_e32 v74, v39, v6
	global_store_dword v[76:77], v24, off
	v_lshlrev_b64 v[76:77], 2, v[74:75]
	v_add_co_u32_e32 v76, vcc, v7, v76
	v_addc_co_u32_e32 v77, vcc, v40, v77, vcc
	v_sub_u32_e32 v74, v38, v6
	global_store_dword v[76:77], v25, off
	;; [unrolled: 5-line block ×12, first 2 shown]
	v_lshlrev_b64 v[76:77], 2, v[74:75]
	v_add_co_u32_e32 v76, vcc, v7, v76
	v_sub_u32_e32 v74, v4, v6
	v_addc_co_u32_e32 v77, vcc, v40, v77, vcc
	v_lshlrev_b64 v[74:75], 2, v[74:75]
	v_add_co_u32_e32 v74, vcc, v7, v74
	v_addc_co_u32_e32 v75, vcc, v40, v75, vcc
	s_or_b64 s[46:47], s[46:47], exec
	global_store_dword v[76:77], v12, off
	global_store_dword v[74:75], v13, off
	s_or_b64 exec, exec, s[44:45]
	s_and_b64 exec, exec, s[46:47]
	s_cbranch_execnz .LBB101_199
	s_branch .LBB101_200
.LBB101_183:
	s_or_b64 exec, exec, s[46:47]
	s_and_saveexec_b64 s[46:47], s[34:35]
	s_cbranch_execz .LBB101_169
.LBB101_184:
	v_sub_u32_e32 v74, v39, v6
	v_mov_b32_e32 v75, 0
	v_lshlrev_b64 v[74:75], 2, v[74:75]
	v_add_co_u32_e32 v74, vcc, v7, v74
	v_addc_co_u32_e32 v75, vcc, v40, v75, vcc
	global_store_dword v[74:75], v25, off
	s_or_b64 exec, exec, s[46:47]
	s_and_saveexec_b64 s[46:47], s[30:31]
	s_cbranch_execnz .LBB101_170
.LBB101_185:
	s_or_b64 exec, exec, s[46:47]
	s_and_saveexec_b64 s[46:47], s[28:29]
	s_cbranch_execz .LBB101_171
.LBB101_186:
	v_sub_u32_e32 v74, v37, v6
	v_mov_b32_e32 v75, 0
	v_lshlrev_b64 v[74:75], 2, v[74:75]
	v_add_co_u32_e32 v74, vcc, v7, v74
	v_addc_co_u32_e32 v75, vcc, v40, v75, vcc
	global_store_dword v[74:75], v23, off
	s_or_b64 exec, exec, s[46:47]
	s_and_saveexec_b64 s[46:47], s[26:27]
	s_cbranch_execnz .LBB101_172
.LBB101_187:
	s_or_b64 exec, exec, s[46:47]
	s_and_saveexec_b64 s[46:47], s[24:25]
	s_cbranch_execz .LBB101_173
.LBB101_188:
	v_sub_u32_e32 v74, v35, v6
	v_mov_b32_e32 v75, 0
	v_lshlrev_b64 v[74:75], 2, v[74:75]
	v_add_co_u32_e32 v74, vcc, v7, v74
	v_addc_co_u32_e32 v75, vcc, v40, v75, vcc
	global_store_dword v[74:75], v21, off
	s_or_b64 exec, exec, s[46:47]
	s_and_saveexec_b64 s[46:47], s[22:23]
	s_cbranch_execnz .LBB101_174
.LBB101_189:
	s_or_b64 exec, exec, s[46:47]
	s_and_saveexec_b64 s[46:47], s[20:21]
	s_cbranch_execz .LBB101_175
.LBB101_190:
	v_sub_u32_e32 v74, v33, v6
	v_mov_b32_e32 v75, 0
	v_lshlrev_b64 v[74:75], 2, v[74:75]
	v_add_co_u32_e32 v74, vcc, v7, v74
	v_addc_co_u32_e32 v75, vcc, v40, v75, vcc
	global_store_dword v[74:75], v19, off
	s_or_b64 exec, exec, s[46:47]
	s_and_saveexec_b64 s[46:47], s[18:19]
	s_cbranch_execnz .LBB101_176
.LBB101_191:
	s_or_b64 exec, exec, s[46:47]
	s_and_saveexec_b64 s[46:47], s[16:17]
	s_cbranch_execz .LBB101_177
.LBB101_192:
	v_sub_u32_e32 v74, v31, v6
	v_mov_b32_e32 v75, 0
	v_lshlrev_b64 v[74:75], 2, v[74:75]
	v_add_co_u32_e32 v74, vcc, v7, v74
	v_addc_co_u32_e32 v75, vcc, v40, v75, vcc
	global_store_dword v[74:75], v17, off
	s_or_b64 exec, exec, s[46:47]
	s_and_saveexec_b64 s[46:47], s[14:15]
	s_cbranch_execnz .LBB101_178
.LBB101_193:
	s_or_b64 exec, exec, s[46:47]
	s_and_saveexec_b64 s[46:47], s[12:13]
	s_cbranch_execz .LBB101_179
.LBB101_194:
	v_sub_u32_e32 v74, v29, v6
	v_mov_b32_e32 v75, 0
	v_lshlrev_b64 v[74:75], 2, v[74:75]
	v_add_co_u32_e32 v74, vcc, v7, v74
	v_addc_co_u32_e32 v75, vcc, v40, v75, vcc
	global_store_dword v[74:75], v15, off
	s_or_b64 exec, exec, s[46:47]
	s_and_saveexec_b64 s[46:47], s[10:11]
	s_cbranch_execnz .LBB101_180
.LBB101_195:
	s_or_b64 exec, exec, s[46:47]
	s_and_saveexec_b64 s[46:47], s[8:9]
	s_cbranch_execz .LBB101_197
.LBB101_196:
	v_sub_u32_e32 v74, v4, v6
	v_mov_b32_e32 v75, 0
	v_lshlrev_b64 v[74:75], 2, v[74:75]
	v_add_co_u32_e32 v74, vcc, v7, v74
	v_addc_co_u32_e32 v75, vcc, v40, v75, vcc
	global_store_dword v[74:75], v13, off
.LBB101_197:
	s_or_b64 exec, exec, s[46:47]
	s_and_b64 s[46:47], s[6:7], exec
	s_andn2_saveexec_b64 s[44:45], s[44:45]
	s_cbranch_execnz .LBB101_182
.LBB101_198:
	s_or_b64 exec, exec, s[44:45]
	s_and_b64 exec, exec, s[46:47]
	s_cbranch_execz .LBB101_200
.LBB101_199:
	v_sub_u32_e32 v74, v3, v6
	v_mov_b32_e32 v75, 0
	v_lshlrev_b64 v[74:75], 2, v[74:75]
	v_add_co_u32_e32 v74, vcc, v7, v74
	v_addc_co_u32_e32 v75, vcc, v40, v75, vcc
	global_store_dword v[74:75], v1, off
.LBB101_200:
	s_or_b64 exec, exec, s[4:5]
	s_mov_b64 s[4:5], 0
.LBB101_201:
	s_and_b64 vcc, exec, s[4:5]
	s_cbranch_vccz .LBB101_253
; %bb.202:
	v_cmp_gt_i16_e32 vcc, 2, v41
	s_and_saveexec_b64 s[4:5], vcc
	s_cbranch_execz .LBB101_237
; %bb.203:
	v_cmp_ne_u16_e32 vcc, 1, v41
	s_mov_b64 s[46:47], 0
	s_and_saveexec_b64 s[44:45], vcc
	s_xor_b64 s[44:45], exec, s[44:45]
	s_cbranch_execz .LBB101_218
; %bb.204:
	s_and_saveexec_b64 s[46:47], s[36:37]
	s_cbranch_execz .LBB101_220
; %bb.205:
	v_sub_u32_e32 v41, v5, v6
	v_lshlrev_b32_e32 v41, 2, v41
	ds_write_b32 v41, v24
	s_or_b64 exec, exec, s[46:47]
	s_and_saveexec_b64 s[36:37], s[34:35]
	s_cbranch_execnz .LBB101_221
.LBB101_206:
	s_or_b64 exec, exec, s[36:37]
	s_and_saveexec_b64 s[34:35], s[30:31]
	s_cbranch_execz .LBB101_222
.LBB101_207:
	v_sub_u32_e32 v24, v38, v6
	v_lshlrev_b32_e32 v24, 2, v24
	ds_write_b32 v24, v22
	s_or_b64 exec, exec, s[34:35]
	s_and_saveexec_b64 s[30:31], s[28:29]
	s_cbranch_execnz .LBB101_223
.LBB101_208:
	s_or_b64 exec, exec, s[30:31]
	s_and_saveexec_b64 s[28:29], s[26:27]
	s_cbranch_execz .LBB101_224
.LBB101_209:
	v_sub_u32_e32 v22, v36, v6
	v_lshlrev_b32_e32 v22, 2, v22
	ds_write_b32 v22, v20
	s_or_b64 exec, exec, s[28:29]
	s_and_saveexec_b64 s[26:27], s[24:25]
	s_cbranch_execnz .LBB101_225
.LBB101_210:
	s_or_b64 exec, exec, s[26:27]
	s_and_saveexec_b64 s[24:25], s[22:23]
	s_cbranch_execz .LBB101_226
.LBB101_211:
	v_sub_u32_e32 v20, v34, v6
	v_lshlrev_b32_e32 v20, 2, v20
	ds_write_b32 v20, v18
	s_or_b64 exec, exec, s[24:25]
	s_and_saveexec_b64 s[22:23], s[20:21]
	s_cbranch_execnz .LBB101_227
.LBB101_212:
	s_or_b64 exec, exec, s[22:23]
	s_and_saveexec_b64 s[20:21], s[18:19]
	s_cbranch_execz .LBB101_228
.LBB101_213:
	v_sub_u32_e32 v18, v32, v6
	v_lshlrev_b32_e32 v18, 2, v18
	ds_write_b32 v18, v16
	s_or_b64 exec, exec, s[20:21]
	s_and_saveexec_b64 s[18:19], s[16:17]
	s_cbranch_execnz .LBB101_229
.LBB101_214:
	s_or_b64 exec, exec, s[18:19]
	s_and_saveexec_b64 s[16:17], s[14:15]
	s_cbranch_execz .LBB101_230
.LBB101_215:
	v_sub_u32_e32 v16, v30, v6
	v_lshlrev_b32_e32 v16, 2, v16
	ds_write_b32 v16, v14
	s_or_b64 exec, exec, s[16:17]
	s_and_saveexec_b64 s[14:15], s[12:13]
	s_cbranch_execnz .LBB101_231
.LBB101_216:
	s_or_b64 exec, exec, s[14:15]
	s_and_saveexec_b64 s[12:13], s[10:11]
	s_cbranch_execz .LBB101_232
.LBB101_217:
	v_sub_u32_e32 v14, v28, v6
	v_lshlrev_b32_e32 v14, 2, v14
	ds_write_b32 v14, v12
	s_or_b64 exec, exec, s[12:13]
	s_and_saveexec_b64 s[10:11], s[8:9]
	s_cbranch_execnz .LBB101_233
	s_branch .LBB101_234
.LBB101_218:
	s_andn2_saveexec_b64 s[6:7], s[44:45]
	s_cbranch_execz .LBB101_235
.LBB101_219:
	v_sub_u32_e32 v41, v5, v6
	v_lshlrev_b32_e32 v41, 2, v41
	ds_write_b32 v41, v24
	v_sub_u32_e32 v24, v39, v6
	v_lshlrev_b32_e32 v24, 2, v24
	ds_write_b32 v24, v25
	;; [unrolled: 3-line block ×13, first 2 shown]
	v_sub_u32_e32 v12, v4, v6
	v_lshlrev_b32_e32 v12, 2, v12
	s_or_b64 s[46:47], s[46:47], exec
	ds_write_b32 v12, v13
	s_or_b64 exec, exec, s[6:7]
	s_and_b64 exec, exec, s[46:47]
	s_cbranch_execnz .LBB101_236
	s_branch .LBB101_237
.LBB101_220:
	s_or_b64 exec, exec, s[46:47]
	s_and_saveexec_b64 s[36:37], s[34:35]
	s_cbranch_execz .LBB101_206
.LBB101_221:
	v_sub_u32_e32 v24, v39, v6
	v_lshlrev_b32_e32 v24, 2, v24
	ds_write_b32 v24, v25
	s_or_b64 exec, exec, s[36:37]
	s_and_saveexec_b64 s[34:35], s[30:31]
	s_cbranch_execnz .LBB101_207
.LBB101_222:
	s_or_b64 exec, exec, s[34:35]
	s_and_saveexec_b64 s[30:31], s[28:29]
	s_cbranch_execz .LBB101_208
.LBB101_223:
	v_sub_u32_e32 v22, v37, v6
	v_lshlrev_b32_e32 v22, 2, v22
	ds_write_b32 v22, v23
	s_or_b64 exec, exec, s[30:31]
	s_and_saveexec_b64 s[28:29], s[26:27]
	s_cbranch_execnz .LBB101_209
.LBB101_224:
	s_or_b64 exec, exec, s[28:29]
	s_and_saveexec_b64 s[26:27], s[24:25]
	s_cbranch_execz .LBB101_210
.LBB101_225:
	v_sub_u32_e32 v20, v35, v6
	v_lshlrev_b32_e32 v20, 2, v20
	ds_write_b32 v20, v21
	s_or_b64 exec, exec, s[26:27]
	s_and_saveexec_b64 s[24:25], s[22:23]
	s_cbranch_execnz .LBB101_211
.LBB101_226:
	s_or_b64 exec, exec, s[24:25]
	s_and_saveexec_b64 s[22:23], s[20:21]
	s_cbranch_execz .LBB101_212
.LBB101_227:
	v_sub_u32_e32 v18, v33, v6
	v_lshlrev_b32_e32 v18, 2, v18
	ds_write_b32 v18, v19
	s_or_b64 exec, exec, s[22:23]
	s_and_saveexec_b64 s[20:21], s[18:19]
	s_cbranch_execnz .LBB101_213
.LBB101_228:
	s_or_b64 exec, exec, s[20:21]
	s_and_saveexec_b64 s[18:19], s[16:17]
	s_cbranch_execz .LBB101_214
.LBB101_229:
	v_sub_u32_e32 v16, v31, v6
	v_lshlrev_b32_e32 v16, 2, v16
	ds_write_b32 v16, v17
	s_or_b64 exec, exec, s[18:19]
	s_and_saveexec_b64 s[16:17], s[14:15]
	s_cbranch_execnz .LBB101_215
.LBB101_230:
	s_or_b64 exec, exec, s[16:17]
	s_and_saveexec_b64 s[14:15], s[12:13]
	s_cbranch_execz .LBB101_216
.LBB101_231:
	v_sub_u32_e32 v14, v29, v6
	v_lshlrev_b32_e32 v14, 2, v14
	ds_write_b32 v14, v15
	s_or_b64 exec, exec, s[14:15]
	s_and_saveexec_b64 s[12:13], s[10:11]
	s_cbranch_execnz .LBB101_217
.LBB101_232:
	s_or_b64 exec, exec, s[12:13]
	s_and_saveexec_b64 s[10:11], s[8:9]
	s_cbranch_execz .LBB101_234
.LBB101_233:
	v_sub_u32_e32 v12, v4, v6
	v_lshlrev_b32_e32 v12, 2, v12
	ds_write_b32 v12, v13
.LBB101_234:
	s_or_b64 exec, exec, s[10:11]
	s_and_b64 s[46:47], s[6:7], exec
                                        ; implicit-def: $vgpr12
                                        ; implicit-def: $vgpr14
                                        ; implicit-def: $vgpr16
                                        ; implicit-def: $vgpr18
                                        ; implicit-def: $vgpr20
                                        ; implicit-def: $vgpr22
                                        ; implicit-def: $vgpr24
	s_andn2_saveexec_b64 s[6:7], s[44:45]
	s_cbranch_execnz .LBB101_219
.LBB101_235:
	s_or_b64 exec, exec, s[6:7]
	s_and_b64 exec, exec, s[46:47]
	s_cbranch_execz .LBB101_237
.LBB101_236:
	v_sub_u32_e32 v12, v3, v6
	v_lshlrev_b32_e32 v12, 2, v12
	ds_write_b32 v12, v1
.LBB101_237:
	s_or_b64 exec, exec, s[4:5]
	v_cmp_lt_u32_e32 vcc, v0, v2
	s_waitcnt lgkmcnt(0)
	s_barrier
	s_and_saveexec_b64 s[6:7], vcc
	s_cbranch_execz .LBB101_252
; %bb.238:
	v_xad_u32 v1, v0, -1, v2
	s_movk_i32 s4, 0x1700
	v_cmp_gt_u32_e64 s[8:9], s4, v1
	s_movk_i32 s4, 0x16ff
	v_cmp_lt_u32_e32 vcc, s4, v1
	v_mov_b32_e32 v12, v0
	s_and_saveexec_b64 s[10:11], vcc
	s_cbranch_execz .LBB101_249
; %bb.239:
	v_sub_u32_e32 v12, v0, v2
	v_or_b32_e32 v12, 0xff, v12
	v_cmp_ge_u32_e32 vcc, v12, v0
	s_mov_b64 s[4:5], -1
	v_mov_b32_e32 v12, v0
	s_and_saveexec_b64 s[12:13], vcc
	s_cbranch_execz .LBB101_248
; %bb.240:
	v_lshrrev_b32_e32 v16, 8, v1
	v_add_u32_e32 v12, -1, v16
	v_or_b32_e32 v1, 0x100, v0
	v_lshrrev_b32_e32 v13, 1, v12
	v_add_u32_e32 v17, 1, v13
	v_cmp_lt_u32_e32 vcc, 13, v12
	v_mov_b32_e32 v20, 0
	v_pk_mov_b32 v[12:13], v[0:1], v[0:1] op_sel:[0,1]
	s_and_saveexec_b64 s[14:15], vcc
	s_cbranch_execz .LBB101_244
; %bb.241:
	v_and_b32_e32 v18, -8, v17
	v_lshlrev_b32_e32 v19, 2, v0
	s_mov_b32 s18, 0
	s_mov_b64 s[16:17], 0
	v_mov_b32_e32 v15, 0
	v_pk_mov_b32 v[12:13], v[0:1], v[0:1] op_sel:[0,1]
.LBB101_242:                            ; =>This Inner Loop Header: Depth=1
	v_mov_b32_e32 v14, v12
	v_add_u32_e32 v18, -8, v18
	v_lshlrev_b64 v[98:99], 2, v[14:15]
	v_mov_b32_e32 v14, v13
	ds_read2st64_b32 v[22:23], v19 offset1:4
	s_add_i32 s18, s18, 16
	v_cmp_eq_u32_e32 vcc, 0, v18
	v_lshlrev_b64 v[102:103], 2, v[14:15]
	v_add_u32_e32 v14, 0x200, v12
	s_or_b64 s[16:17], vcc, s[16:17]
	v_add_co_u32_e32 v102, vcc, v7, v102
	v_add_u32_e32 v20, 0x200, v13
	v_mov_b32_e32 v21, v15
	ds_read2st64_b32 v[24:25], v19 offset0:8 offset1:12
	ds_read2st64_b32 v[76:77], v19 offset0:16 offset1:20
	v_add_co_u32_e64 v98, s[4:5], v7, v98
	v_addc_co_u32_e32 v103, vcc, v40, v103, vcc
	v_lshlrev_b64 v[104:105], 2, v[14:15]
	v_lshlrev_b64 v[100:101], 2, v[20:21]
	v_addc_co_u32_e64 v99, s[4:5], v40, v99, s[4:5]
	v_add_u32_e32 v14, 0x400, v12
	v_add_co_u32_e32 v104, vcc, v7, v104
	v_add_u32_e32 v74, 0x400, v13
	v_mov_b32_e32 v75, v15
	ds_read2st64_b32 v[80:81], v19 offset0:24 offset1:28
	v_add_co_u32_e64 v100, s[4:5], v7, v100
	v_addc_co_u32_e32 v105, vcc, v40, v105, vcc
	v_lshlrev_b64 v[106:107], 2, v[14:15]
	ds_read2st64_b32 v[84:85], v19 offset0:32 offset1:36
	ds_read2st64_b32 v[88:89], v19 offset0:40 offset1:44
	;; [unrolled: 1-line block ×4, first 2 shown]
	v_lshlrev_b64 v[74:75], 2, v[74:75]
	v_addc_co_u32_e64 v101, s[4:5], v40, v101, s[4:5]
	v_add_u32_e32 v14, 0x600, v12
	s_waitcnt lgkmcnt(7)
	global_store_dword v[98:99], v22, off
	global_store_dword v[102:103], v23, off
	s_waitcnt lgkmcnt(6)
	global_store_dword v[104:105], v24, off
	global_store_dword v[100:101], v25, off
	v_add_co_u32_e32 v22, vcc, v7, v106
	v_add_u32_e32 v78, 0x600, v13
	v_mov_b32_e32 v79, v15
	v_add_co_u32_e64 v74, s[4:5], v7, v74
	v_addc_co_u32_e32 v23, vcc, v40, v107, vcc
	v_lshlrev_b64 v[24:25], 2, v[14:15]
	v_lshlrev_b64 v[78:79], 2, v[78:79]
	v_addc_co_u32_e64 v75, s[4:5], v40, v75, s[4:5]
	v_add_u32_e32 v14, 0x800, v12
	s_waitcnt lgkmcnt(5)
	global_store_dword v[22:23], v76, off
	global_store_dword v[74:75], v77, off
	v_add_co_u32_e32 v22, vcc, v7, v24
	v_add_u32_e32 v82, 0x800, v13
	v_mov_b32_e32 v83, v15
	v_add_co_u32_e64 v78, s[4:5], v7, v78
	v_addc_co_u32_e32 v23, vcc, v40, v25, vcc
	v_lshlrev_b64 v[24:25], 2, v[14:15]
	v_lshlrev_b64 v[82:83], 2, v[82:83]
	v_addc_co_u32_e64 v79, s[4:5], v40, v79, s[4:5]
	v_add_u32_e32 v14, 0xa00, v12
	;; [unrolled: 12-line block ×4, first 2 shown]
	s_waitcnt lgkmcnt(2)
	global_store_dword v[22:23], v88, off
	global_store_dword v[86:87], v89, off
	v_add_co_u32_e32 v22, vcc, v7, v24
	v_add_u32_e32 v94, 0xe00, v13
	v_mov_b32_e32 v95, v15
	v_add_co_u32_e64 v90, s[4:5], v7, v90
	v_addc_co_u32_e32 v23, vcc, v40, v25, vcc
	v_lshlrev_b64 v[24:25], 2, v[14:15]
	v_lshlrev_b64 v[94:95], 2, v[94:95]
	v_addc_co_u32_e64 v91, s[4:5], v40, v91, s[4:5]
	s_waitcnt lgkmcnt(1)
	global_store_dword v[22:23], v92, off
	global_store_dword v[90:91], v93, off
	v_add_co_u32_e32 v22, vcc, v7, v24
	v_add_u32_e32 v19, 0x4000, v19
	v_add_u32_e32 v13, 0x1000, v13
	v_mov_b32_e32 v20, s18
	v_add_co_u32_e64 v94, s[4:5], v7, v94
	v_add_u32_e32 v12, 0x1000, v12
	v_addc_co_u32_e32 v23, vcc, v40, v25, vcc
	v_addc_co_u32_e64 v95, s[4:5], v40, v95, s[4:5]
	s_waitcnt lgkmcnt(0)
	global_store_dword v[22:23], v96, off
	global_store_dword v[94:95], v97, off
	s_andn2_b64 exec, exec, s[16:17]
	s_cbranch_execnz .LBB101_242
; %bb.243:
	s_or_b64 exec, exec, s[16:17]
.LBB101_244:
	s_or_b64 exec, exec, s[14:15]
	v_and_b32_e32 v1, 7, v17
	v_cmp_ne_u32_e32 vcc, 0, v1
	s_and_saveexec_b64 s[14:15], vcc
	s_cbranch_execz .LBB101_247
; %bb.245:
	v_lshlrev_b32_e32 v14, 2, v0
	v_lshl_or_b32 v17, v20, 10, v14
	s_mov_b64 s[16:17], 0
	v_mov_b32_e32 v15, 0
.LBB101_246:                            ; =>This Inner Loop Header: Depth=1
	ds_read2st64_b32 v[18:19], v17 offset1:4
	v_mov_b32_e32 v14, v12
	v_add_u32_e32 v1, -1, v1
	v_lshlrev_b64 v[20:21], 2, v[14:15]
	v_mov_b32_e32 v14, v13
	v_cmp_eq_u32_e32 vcc, 0, v1
	v_add_co_u32_e64 v20, s[4:5], v7, v20
	v_lshlrev_b64 v[22:23], 2, v[14:15]
	v_add_u32_e32 v12, 0x200, v12
	v_add_u32_e32 v17, 0x800, v17
	;; [unrolled: 1-line block ×3, first 2 shown]
	v_addc_co_u32_e64 v21, s[4:5], v40, v21, s[4:5]
	s_or_b64 s[16:17], vcc, s[16:17]
	v_add_co_u32_e32 v22, vcc, v7, v22
	v_addc_co_u32_e32 v23, vcc, v40, v23, vcc
	s_waitcnt lgkmcnt(0)
	global_store_dword v[20:21], v18, off
	global_store_dword v[22:23], v19, off
	s_andn2_b64 exec, exec, s[16:17]
	s_cbranch_execnz .LBB101_246
.LBB101_247:
	s_or_b64 exec, exec, s[14:15]
	v_add_u32_e32 v1, 1, v16
	v_and_b32_e32 v13, 0x1fffffe, v1
	v_cmp_ne_u32_e32 vcc, v1, v13
	v_lshl_or_b32 v12, v13, 8, v0
	s_orn2_b64 s[4:5], vcc, exec
.LBB101_248:
	s_or_b64 exec, exec, s[12:13]
	s_andn2_b64 s[8:9], s[8:9], exec
	s_and_b64 s[4:5], s[4:5], exec
	s_or_b64 s[8:9], s[8:9], s[4:5]
.LBB101_249:
	s_or_b64 exec, exec, s[10:11]
	s_and_b64 exec, exec, s[8:9]
	s_cbranch_execz .LBB101_252
; %bb.250:
	v_lshlrev_b32_e32 v1, 2, v12
	s_mov_b64 s[4:5], 0
	v_mov_b32_e32 v13, 0
.LBB101_251:                            ; =>This Inner Loop Header: Depth=1
	v_lshlrev_b64 v[14:15], 2, v[12:13]
	ds_read_b32 v16, v1
	v_add_co_u32_e32 v14, vcc, v7, v14
	v_add_u32_e32 v12, 0x100, v12
	v_addc_co_u32_e32 v15, vcc, v40, v15, vcc
	v_cmp_ge_u32_e32 vcc, v12, v2
	v_add_u32_e32 v1, 0x400, v1
	s_or_b64 s[4:5], vcc, s[4:5]
	s_waitcnt lgkmcnt(0)
	global_store_dword v[14:15], v16, off
	s_andn2_b64 exec, exec, s[4:5]
	s_cbranch_execnz .LBB101_251
.LBB101_252:
	s_or_b64 exec, exec, s[6:7]
.LBB101_253:
	s_cmpk_lg_i32 s33, 0xf00
	s_cselect_b64 s[4:5], -1, 0
	s_and_b64 s[4:5], s[4:5], s[40:41]
	v_cndmask_b32_e64 v16, 0, 1, s[4:5]
	s_and_b64 s[4:5], s[38:39], s[42:43]
	v_cndmask_b32_e64 v12, v58, 0, s[4:5]
	s_mul_hi_u32 s4, s33, 0x88888889
	s_lshr_b32 s4, s4, 3
	v_mad_i32_i24 v13, v0, -15, s33
	v_cmp_eq_u32_e32 vcc, s4, v0
	v_cmp_ne_u32_e64 s[4:5], 0, v13
	v_cndmask_b32_e64 v14, 1, v12, s[4:5]
	v_cmp_ne_u32_e64 s[4:5], 1, v13
	v_cndmask_b32_e64 v15, 1, v57, s[4:5]
	;; [unrolled: 2-line block ×15, first 2 shown]
	s_and_b64 vcc, vcc, s[40:41]
	v_cndmask_b32_e32 v44, v44, v13, vcc
	v_cndmask_b32_e32 v45, v45, v58, vcc
	;; [unrolled: 1-line block ×15, first 2 shown]
	v_mov_b32_e32 v12, s57
	v_add_co_u32_e32 v10, vcc, s56, v10
	v_addc_co_u32_e32 v11, vcc, v12, v11, vcc
	v_cndmask_b32_e64 v1, 0, 1, s[42:43]
	v_add_co_u32_e32 v12, vcc, v10, v26
	v_addc_co_u32_e32 v13, vcc, v11, v27, vcc
	v_lshlrev_b32_e32 v10, 2, v1
	v_add_co_u32_e32 v10, vcc, v10, v12
	v_addc_co_u32_e32 v11, vcc, 0, v13, vcc
	v_add_co_u32_e32 v14, vcc, -4, v10
	v_addc_co_u32_e32 v15, vcc, -1, v11, vcc
	v_cmp_eq_u32_e32 vcc, 0, v47
	v_cndmask_b32_e64 v11, 1, 2, vcc
	v_cmp_eq_u32_e32 vcc, 0, v46
	v_cndmask_b32_e64 v26, 1, 2, vcc
	v_cmp_eq_u32_e32 vcc, 0, v17
	v_and_b32_e32 v11, v26, v11
	v_cmp_ne_u32_e64 s[28:29], 0, v17
	v_cndmask_b32_e64 v17, 1, 2, vcc
	v_cmp_eq_u32_e32 vcc, 0, v18
	v_and_b32_e32 v11, v11, v17
	v_cndmask_b32_e64 v17, 1, 2, vcc
	v_cmp_eq_u32_e32 vcc, 0, v19
	v_and_b32_e32 v11, v11, v17
	;; [unrolled: 3-line block ×9, first 2 shown]
	v_cndmask_b32_e64 v17, 1, 2, vcc
	v_cmp_eq_u32_e32 vcc, 0, v41
	v_sub_u32_e32 v7, v2, v1
	v_and_b32_e32 v11, v11, v17
	v_cndmask_b32_e64 v17, 1, 2, vcc
	v_cmp_eq_u32_e32 vcc, 0, v45
	v_add_u32_e32 v7, v7, v16
	v_and_b32_e32 v11, v11, v17
	v_cndmask_b32_e64 v17, 1, 2, vcc
	v_cmp_eq_u32_e32 vcc, 0, v44
	s_movk_i32 s36, 0x100
	v_and_b32_e32 v11, v11, v17
	v_cndmask_b32_e64 v17, 1, 2, vcc
	v_cmp_gt_u32_e32 vcc, s36, v7
	v_add_u32_e32 v10, v6, v1
	v_cmp_ne_u32_e64 s[34:35], 0, v47
	v_cmp_ne_u32_e64 s[30:31], 0, v46
	;; [unrolled: 1-line block ×14, first 2 shown]
	v_and_b32_e32 v11, v11, v17
	s_mov_b64 s[36:37], -1
	s_barrier
	s_cbranch_vccz .LBB101_290
; %bb.254:
	v_cmp_gt_i16_e32 vcc, 2, v11
	s_and_saveexec_b64 s[36:37], vcc
	s_cbranch_execz .LBB101_289
; %bb.255:
	v_cmp_ne_u16_e32 vcc, 1, v11
	s_mov_b64 s[42:43], 0
	s_and_saveexec_b64 s[38:39], vcc
	s_xor_b64 s[38:39], exec, s[38:39]
	s_cbranch_execz .LBB101_270
; %bb.256:
	s_and_saveexec_b64 s[42:43], s[34:35]
	s_cbranch_execz .LBB101_272
; %bb.257:
	v_sub_u32_e32 v18, v5, v10
	v_mov_b32_e32 v19, 0
	v_lshlrev_b64 v[18:19], 2, v[18:19]
	v_add_co_u32_e32 v18, vcc, v14, v18
	v_addc_co_u32_e32 v19, vcc, v15, v19, vcc
	global_store_dword v[18:19], v73, off
	s_or_b64 exec, exec, s[42:43]
	s_and_saveexec_b64 s[42:43], s[30:31]
	s_cbranch_execnz .LBB101_273
.LBB101_258:
	s_or_b64 exec, exec, s[42:43]
	s_and_saveexec_b64 s[42:43], s[28:29]
	s_cbranch_execz .LBB101_274
.LBB101_259:
	v_sub_u32_e32 v18, v38, v10
	v_mov_b32_e32 v19, 0
	v_lshlrev_b64 v[18:19], 2, v[18:19]
	v_add_co_u32_e32 v18, vcc, v14, v18
	v_addc_co_u32_e32 v19, vcc, v15, v19, vcc
	global_store_dword v[18:19], v71, off
	s_or_b64 exec, exec, s[42:43]
	s_and_saveexec_b64 s[42:43], s[26:27]
	s_cbranch_execnz .LBB101_275
.LBB101_260:
	s_or_b64 exec, exec, s[42:43]
	s_and_saveexec_b64 s[42:43], s[24:25]
	s_cbranch_execz .LBB101_276
.LBB101_261:
	v_sub_u32_e32 v18, v36, v10
	v_mov_b32_e32 v19, 0
	v_lshlrev_b64 v[18:19], 2, v[18:19]
	v_add_co_u32_e32 v18, vcc, v14, v18
	v_addc_co_u32_e32 v19, vcc, v15, v19, vcc
	global_store_dword v[18:19], v69, off
	s_or_b64 exec, exec, s[42:43]
	s_and_saveexec_b64 s[42:43], s[22:23]
	s_cbranch_execnz .LBB101_277
.LBB101_262:
	s_or_b64 exec, exec, s[42:43]
	s_and_saveexec_b64 s[42:43], s[20:21]
	s_cbranch_execz .LBB101_278
.LBB101_263:
	v_sub_u32_e32 v18, v34, v10
	v_mov_b32_e32 v19, 0
	v_lshlrev_b64 v[18:19], 2, v[18:19]
	v_add_co_u32_e32 v18, vcc, v14, v18
	v_addc_co_u32_e32 v19, vcc, v15, v19, vcc
	global_store_dword v[18:19], v67, off
	s_or_b64 exec, exec, s[42:43]
	s_and_saveexec_b64 s[42:43], s[18:19]
	s_cbranch_execnz .LBB101_279
.LBB101_264:
	s_or_b64 exec, exec, s[42:43]
	s_and_saveexec_b64 s[42:43], s[16:17]
	s_cbranch_execz .LBB101_280
.LBB101_265:
	v_sub_u32_e32 v18, v32, v10
	v_mov_b32_e32 v19, 0
	v_lshlrev_b64 v[18:19], 2, v[18:19]
	v_add_co_u32_e32 v18, vcc, v14, v18
	v_addc_co_u32_e32 v19, vcc, v15, v19, vcc
	global_store_dword v[18:19], v65, off
	s_or_b64 exec, exec, s[42:43]
	s_and_saveexec_b64 s[42:43], s[14:15]
	s_cbranch_execnz .LBB101_281
.LBB101_266:
	s_or_b64 exec, exec, s[42:43]
	s_and_saveexec_b64 s[42:43], s[12:13]
	s_cbranch_execz .LBB101_282
.LBB101_267:
	v_sub_u32_e32 v18, v30, v10
	v_mov_b32_e32 v19, 0
	v_lshlrev_b64 v[18:19], 2, v[18:19]
	v_add_co_u32_e32 v18, vcc, v14, v18
	v_addc_co_u32_e32 v19, vcc, v15, v19, vcc
	global_store_dword v[18:19], v63, off
	s_or_b64 exec, exec, s[42:43]
	s_and_saveexec_b64 s[42:43], s[10:11]
	s_cbranch_execnz .LBB101_283
.LBB101_268:
	s_or_b64 exec, exec, s[42:43]
	s_and_saveexec_b64 s[42:43], s[8:9]
	s_cbranch_execz .LBB101_284
.LBB101_269:
	v_sub_u32_e32 v18, v28, v10
	v_mov_b32_e32 v19, 0
	v_lshlrev_b64 v[18:19], 2, v[18:19]
	v_add_co_u32_e32 v18, vcc, v14, v18
	v_addc_co_u32_e32 v19, vcc, v15, v19, vcc
	global_store_dword v[18:19], v60, off
	s_or_b64 exec, exec, s[42:43]
	s_and_saveexec_b64 s[42:43], s[6:7]
	s_cbranch_execnz .LBB101_285
	s_branch .LBB101_286
.LBB101_270:
	s_andn2_saveexec_b64 s[38:39], s[38:39]
	s_cbranch_execz .LBB101_287
.LBB101_271:
	v_sub_u32_e32 v18, v5, v10
	v_mov_b32_e32 v19, 0
	v_lshlrev_b64 v[20:21], 2, v[18:19]
	v_add_co_u32_e32 v20, vcc, v14, v20
	v_addc_co_u32_e32 v21, vcc, v15, v21, vcc
	v_sub_u32_e32 v18, v39, v10
	global_store_dword v[20:21], v73, off
	v_lshlrev_b64 v[20:21], 2, v[18:19]
	v_add_co_u32_e32 v20, vcc, v14, v20
	v_addc_co_u32_e32 v21, vcc, v15, v21, vcc
	v_sub_u32_e32 v18, v38, v10
	global_store_dword v[20:21], v72, off
	;; [unrolled: 5-line block ×12, first 2 shown]
	v_lshlrev_b64 v[20:21], 2, v[18:19]
	v_add_co_u32_e32 v20, vcc, v14, v20
	v_sub_u32_e32 v18, v4, v10
	v_addc_co_u32_e32 v21, vcc, v15, v21, vcc
	v_lshlrev_b64 v[18:19], 2, v[18:19]
	v_add_co_u32_e32 v18, vcc, v14, v18
	v_addc_co_u32_e32 v19, vcc, v15, v19, vcc
	s_or_b64 s[42:43], s[42:43], exec
	global_store_dword v[20:21], v60, off
	global_store_dword v[18:19], v43, off
	s_or_b64 exec, exec, s[38:39]
	s_and_b64 exec, exec, s[42:43]
	s_cbranch_execnz .LBB101_288
	s_branch .LBB101_289
.LBB101_272:
	s_or_b64 exec, exec, s[42:43]
	s_and_saveexec_b64 s[42:43], s[30:31]
	s_cbranch_execz .LBB101_258
.LBB101_273:
	v_sub_u32_e32 v18, v39, v10
	v_mov_b32_e32 v19, 0
	v_lshlrev_b64 v[18:19], 2, v[18:19]
	v_add_co_u32_e32 v18, vcc, v14, v18
	v_addc_co_u32_e32 v19, vcc, v15, v19, vcc
	global_store_dword v[18:19], v72, off
	s_or_b64 exec, exec, s[42:43]
	s_and_saveexec_b64 s[42:43], s[28:29]
	s_cbranch_execnz .LBB101_259
.LBB101_274:
	s_or_b64 exec, exec, s[42:43]
	s_and_saveexec_b64 s[42:43], s[26:27]
	s_cbranch_execz .LBB101_260
.LBB101_275:
	v_sub_u32_e32 v18, v37, v10
	v_mov_b32_e32 v19, 0
	v_lshlrev_b64 v[18:19], 2, v[18:19]
	v_add_co_u32_e32 v18, vcc, v14, v18
	v_addc_co_u32_e32 v19, vcc, v15, v19, vcc
	global_store_dword v[18:19], v70, off
	s_or_b64 exec, exec, s[42:43]
	s_and_saveexec_b64 s[42:43], s[24:25]
	s_cbranch_execnz .LBB101_261
.LBB101_276:
	s_or_b64 exec, exec, s[42:43]
	s_and_saveexec_b64 s[42:43], s[22:23]
	s_cbranch_execz .LBB101_262
.LBB101_277:
	v_sub_u32_e32 v18, v35, v10
	v_mov_b32_e32 v19, 0
	v_lshlrev_b64 v[18:19], 2, v[18:19]
	v_add_co_u32_e32 v18, vcc, v14, v18
	v_addc_co_u32_e32 v19, vcc, v15, v19, vcc
	global_store_dword v[18:19], v68, off
	s_or_b64 exec, exec, s[42:43]
	s_and_saveexec_b64 s[42:43], s[20:21]
	s_cbranch_execnz .LBB101_263
.LBB101_278:
	s_or_b64 exec, exec, s[42:43]
	s_and_saveexec_b64 s[42:43], s[18:19]
	s_cbranch_execz .LBB101_264
.LBB101_279:
	v_sub_u32_e32 v18, v33, v10
	v_mov_b32_e32 v19, 0
	v_lshlrev_b64 v[18:19], 2, v[18:19]
	v_add_co_u32_e32 v18, vcc, v14, v18
	v_addc_co_u32_e32 v19, vcc, v15, v19, vcc
	global_store_dword v[18:19], v66, off
	s_or_b64 exec, exec, s[42:43]
	s_and_saveexec_b64 s[42:43], s[16:17]
	s_cbranch_execnz .LBB101_265
.LBB101_280:
	s_or_b64 exec, exec, s[42:43]
	s_and_saveexec_b64 s[42:43], s[14:15]
	s_cbranch_execz .LBB101_266
.LBB101_281:
	v_sub_u32_e32 v18, v31, v10
	v_mov_b32_e32 v19, 0
	v_lshlrev_b64 v[18:19], 2, v[18:19]
	v_add_co_u32_e32 v18, vcc, v14, v18
	v_addc_co_u32_e32 v19, vcc, v15, v19, vcc
	global_store_dword v[18:19], v64, off
	s_or_b64 exec, exec, s[42:43]
	s_and_saveexec_b64 s[42:43], s[12:13]
	s_cbranch_execnz .LBB101_267
.LBB101_282:
	s_or_b64 exec, exec, s[42:43]
	s_and_saveexec_b64 s[42:43], s[10:11]
	s_cbranch_execz .LBB101_268
.LBB101_283:
	v_sub_u32_e32 v18, v29, v10
	v_mov_b32_e32 v19, 0
	v_lshlrev_b64 v[18:19], 2, v[18:19]
	v_add_co_u32_e32 v18, vcc, v14, v18
	v_addc_co_u32_e32 v19, vcc, v15, v19, vcc
	global_store_dword v[18:19], v61, off
	s_or_b64 exec, exec, s[42:43]
	s_and_saveexec_b64 s[42:43], s[8:9]
	s_cbranch_execnz .LBB101_269
.LBB101_284:
	s_or_b64 exec, exec, s[42:43]
	s_and_saveexec_b64 s[42:43], s[6:7]
	s_cbranch_execz .LBB101_286
.LBB101_285:
	v_sub_u32_e32 v18, v4, v10
	v_mov_b32_e32 v19, 0
	v_lshlrev_b64 v[18:19], 2, v[18:19]
	v_add_co_u32_e32 v18, vcc, v14, v18
	v_addc_co_u32_e32 v19, vcc, v15, v19, vcc
	global_store_dword v[18:19], v43, off
.LBB101_286:
	s_or_b64 exec, exec, s[42:43]
	s_and_b64 s[42:43], s[4:5], exec
	s_andn2_saveexec_b64 s[38:39], s[38:39]
	s_cbranch_execnz .LBB101_271
.LBB101_287:
	s_or_b64 exec, exec, s[38:39]
	s_and_b64 exec, exec, s[42:43]
	s_cbranch_execz .LBB101_289
.LBB101_288:
	v_sub_u32_e32 v18, v3, v10
	v_mov_b32_e32 v19, 0
	v_lshlrev_b64 v[18:19], 2, v[18:19]
	v_add_co_u32_e32 v18, vcc, v14, v18
	v_addc_co_u32_e32 v19, vcc, v15, v19, vcc
	global_store_dword v[18:19], v62, off
.LBB101_289:
	s_or_b64 exec, exec, s[36:37]
	s_mov_b64 s[36:37], 0
.LBB101_290:
	s_and_b64 vcc, exec, s[36:37]
	s_cbranch_vccz .LBB101_342
; %bb.291:
	v_cmp_gt_i16_e32 vcc, 2, v11
	s_and_saveexec_b64 s[36:37], vcc
	s_cbranch_execz .LBB101_326
; %bb.292:
	v_cmp_ne_u16_e32 vcc, 1, v11
	s_mov_b64 s[42:43], 0
	s_and_saveexec_b64 s[38:39], vcc
	s_xor_b64 s[38:39], exec, s[38:39]
	s_cbranch_execz .LBB101_307
; %bb.293:
	s_and_saveexec_b64 s[42:43], s[34:35]
	s_cbranch_execz .LBB101_309
; %bb.294:
	v_sub_u32_e32 v5, v5, v10
	v_lshlrev_b32_e32 v5, 2, v5
	ds_write_b32 v5, v73
	s_or_b64 exec, exec, s[42:43]
	s_and_saveexec_b64 s[34:35], s[30:31]
	s_cbranch_execnz .LBB101_310
.LBB101_295:
	s_or_b64 exec, exec, s[34:35]
	s_and_saveexec_b64 s[30:31], s[28:29]
	s_cbranch_execz .LBB101_311
.LBB101_296:
	v_sub_u32_e32 v5, v38, v10
	v_lshlrev_b32_e32 v5, 2, v5
	ds_write_b32 v5, v71
	s_or_b64 exec, exec, s[30:31]
	s_and_saveexec_b64 s[28:29], s[26:27]
	s_cbranch_execnz .LBB101_312
.LBB101_297:
	s_or_b64 exec, exec, s[28:29]
	s_and_saveexec_b64 s[26:27], s[24:25]
	s_cbranch_execz .LBB101_313
.LBB101_298:
	v_sub_u32_e32 v5, v36, v10
	v_lshlrev_b32_e32 v5, 2, v5
	ds_write_b32 v5, v69
	s_or_b64 exec, exec, s[26:27]
	s_and_saveexec_b64 s[24:25], s[22:23]
	s_cbranch_execnz .LBB101_314
.LBB101_299:
	s_or_b64 exec, exec, s[24:25]
	s_and_saveexec_b64 s[22:23], s[20:21]
	s_cbranch_execz .LBB101_315
.LBB101_300:
	v_sub_u32_e32 v5, v34, v10
	v_lshlrev_b32_e32 v5, 2, v5
	ds_write_b32 v5, v67
	s_or_b64 exec, exec, s[22:23]
	s_and_saveexec_b64 s[20:21], s[18:19]
	s_cbranch_execnz .LBB101_316
.LBB101_301:
	s_or_b64 exec, exec, s[20:21]
	s_and_saveexec_b64 s[18:19], s[16:17]
	s_cbranch_execz .LBB101_317
.LBB101_302:
	v_sub_u32_e32 v5, v32, v10
	v_lshlrev_b32_e32 v5, 2, v5
	ds_write_b32 v5, v65
	s_or_b64 exec, exec, s[18:19]
	s_and_saveexec_b64 s[16:17], s[14:15]
	s_cbranch_execnz .LBB101_318
.LBB101_303:
	s_or_b64 exec, exec, s[16:17]
	s_and_saveexec_b64 s[14:15], s[12:13]
	s_cbranch_execz .LBB101_319
.LBB101_304:
	v_sub_u32_e32 v5, v30, v10
	v_lshlrev_b32_e32 v5, 2, v5
	ds_write_b32 v5, v63
	s_or_b64 exec, exec, s[14:15]
	s_and_saveexec_b64 s[12:13], s[10:11]
	s_cbranch_execnz .LBB101_320
.LBB101_305:
	s_or_b64 exec, exec, s[12:13]
	s_and_saveexec_b64 s[10:11], s[8:9]
	s_cbranch_execz .LBB101_321
.LBB101_306:
	v_sub_u32_e32 v5, v28, v10
	v_lshlrev_b32_e32 v5, 2, v5
	ds_write_b32 v5, v60
	s_or_b64 exec, exec, s[10:11]
	s_and_saveexec_b64 s[8:9], s[6:7]
	s_cbranch_execnz .LBB101_322
	s_branch .LBB101_323
.LBB101_307:
	s_andn2_saveexec_b64 s[4:5], s[38:39]
	s_cbranch_execz .LBB101_324
.LBB101_308:
	v_sub_u32_e32 v5, v5, v10
	v_lshlrev_b32_e32 v5, 2, v5
	ds_write_b32 v5, v73
	v_sub_u32_e32 v5, v39, v10
	v_lshlrev_b32_e32 v5, 2, v5
	ds_write_b32 v5, v72
	;; [unrolled: 3-line block ×12, first 2 shown]
	v_sub_u32_e32 v5, v28, v10
	v_sub_u32_e32 v4, v4, v10
	v_lshlrev_b32_e32 v5, 2, v5
	v_lshlrev_b32_e32 v4, 2, v4
	s_or_b64 s[42:43], s[42:43], exec
	ds_write_b32 v5, v60
	ds_write_b32 v4, v43
	s_or_b64 exec, exec, s[4:5]
	s_and_b64 exec, exec, s[42:43]
	s_cbranch_execnz .LBB101_325
	s_branch .LBB101_326
.LBB101_309:
	s_or_b64 exec, exec, s[42:43]
	s_and_saveexec_b64 s[34:35], s[30:31]
	s_cbranch_execz .LBB101_295
.LBB101_310:
	v_sub_u32_e32 v5, v39, v10
	v_lshlrev_b32_e32 v5, 2, v5
	ds_write_b32 v5, v72
	s_or_b64 exec, exec, s[34:35]
	s_and_saveexec_b64 s[30:31], s[28:29]
	s_cbranch_execnz .LBB101_296
.LBB101_311:
	s_or_b64 exec, exec, s[30:31]
	s_and_saveexec_b64 s[28:29], s[26:27]
	s_cbranch_execz .LBB101_297
.LBB101_312:
	v_sub_u32_e32 v5, v37, v10
	v_lshlrev_b32_e32 v5, 2, v5
	ds_write_b32 v5, v70
	s_or_b64 exec, exec, s[28:29]
	s_and_saveexec_b64 s[26:27], s[24:25]
	s_cbranch_execnz .LBB101_298
.LBB101_313:
	s_or_b64 exec, exec, s[26:27]
	s_and_saveexec_b64 s[24:25], s[22:23]
	s_cbranch_execz .LBB101_299
.LBB101_314:
	v_sub_u32_e32 v5, v35, v10
	v_lshlrev_b32_e32 v5, 2, v5
	ds_write_b32 v5, v68
	s_or_b64 exec, exec, s[24:25]
	s_and_saveexec_b64 s[22:23], s[20:21]
	s_cbranch_execnz .LBB101_300
.LBB101_315:
	s_or_b64 exec, exec, s[22:23]
	s_and_saveexec_b64 s[20:21], s[18:19]
	s_cbranch_execz .LBB101_301
.LBB101_316:
	v_sub_u32_e32 v5, v33, v10
	v_lshlrev_b32_e32 v5, 2, v5
	ds_write_b32 v5, v66
	s_or_b64 exec, exec, s[20:21]
	s_and_saveexec_b64 s[18:19], s[16:17]
	s_cbranch_execnz .LBB101_302
.LBB101_317:
	s_or_b64 exec, exec, s[18:19]
	s_and_saveexec_b64 s[16:17], s[14:15]
	s_cbranch_execz .LBB101_303
.LBB101_318:
	v_sub_u32_e32 v5, v31, v10
	v_lshlrev_b32_e32 v5, 2, v5
	ds_write_b32 v5, v64
	s_or_b64 exec, exec, s[16:17]
	s_and_saveexec_b64 s[14:15], s[12:13]
	s_cbranch_execnz .LBB101_304
.LBB101_319:
	s_or_b64 exec, exec, s[14:15]
	s_and_saveexec_b64 s[12:13], s[10:11]
	s_cbranch_execz .LBB101_305
.LBB101_320:
	v_sub_u32_e32 v5, v29, v10
	v_lshlrev_b32_e32 v5, 2, v5
	ds_write_b32 v5, v61
	s_or_b64 exec, exec, s[12:13]
	s_and_saveexec_b64 s[10:11], s[8:9]
	s_cbranch_execnz .LBB101_306
.LBB101_321:
	s_or_b64 exec, exec, s[10:11]
	s_and_saveexec_b64 s[8:9], s[6:7]
	s_cbranch_execz .LBB101_323
.LBB101_322:
	v_sub_u32_e32 v4, v4, v10
	v_lshlrev_b32_e32 v4, 2, v4
	ds_write_b32 v4, v43
.LBB101_323:
	s_or_b64 exec, exec, s[8:9]
	s_and_b64 s[42:43], s[4:5], exec
                                        ; implicit-def: $vgpr43
                                        ; implicit-def: $vgpr60
                                        ; implicit-def: $vgpr61
                                        ; implicit-def: $vgpr63
                                        ; implicit-def: $vgpr64
                                        ; implicit-def: $vgpr65
                                        ; implicit-def: $vgpr66
                                        ; implicit-def: $vgpr67
                                        ; implicit-def: $vgpr68
                                        ; implicit-def: $vgpr69
                                        ; implicit-def: $vgpr70
                                        ; implicit-def: $vgpr71
                                        ; implicit-def: $vgpr72
                                        ; implicit-def: $vgpr73
                                        ; implicit-def: $vgpr39
                                        ; implicit-def: $vgpr38
                                        ; implicit-def: $vgpr37
                                        ; implicit-def: $vgpr36
                                        ; implicit-def: $vgpr35
                                        ; implicit-def: $vgpr34
                                        ; implicit-def: $vgpr33
                                        ; implicit-def: $vgpr32
                                        ; implicit-def: $vgpr31
                                        ; implicit-def: $vgpr30
                                        ; implicit-def: $vgpr29
                                        ; implicit-def: $vgpr28
                                        ; implicit-def: $vgpr4
	s_andn2_saveexec_b64 s[4:5], s[38:39]
	s_cbranch_execnz .LBB101_308
.LBB101_324:
	s_or_b64 exec, exec, s[4:5]
	s_and_b64 exec, exec, s[42:43]
	s_cbranch_execz .LBB101_326
.LBB101_325:
	v_sub_u32_e32 v3, v3, v10
	v_lshlrev_b32_e32 v3, 2, v3
	ds_write_b32 v3, v62
.LBB101_326:
	s_or_b64 exec, exec, s[36:37]
	v_cmp_lt_u32_e32 vcc, v0, v7
	s_waitcnt lgkmcnt(0)
	s_barrier
	s_and_saveexec_b64 s[6:7], vcc
	s_cbranch_execz .LBB101_341
; %bb.327:
	v_add_u32_e32 v5, v2, v16
	v_xad_u32 v3, v0, -1, v5
	v_sub_u32_e32 v3, v3, v1
	s_movk_i32 s4, 0x1900
	v_cmp_gt_u32_e64 s[8:9], s4, v3
	s_movk_i32 s4, 0x18ff
	v_cmp_lt_u32_e32 vcc, s4, v3
	v_mov_b32_e32 v4, v0
	s_and_saveexec_b64 s[10:11], vcc
	s_cbranch_execz .LBB101_338
; %bb.328:
	v_sub_u32_e32 v4, v0, v5
	v_add_u32_e32 v1, v4, v1
	v_or_b32_e32 v1, 0xff, v1
	v_cmp_ge_u32_e32 vcc, v1, v0
	s_mov_b64 s[4:5], -1
	v_mov_b32_e32 v4, v0
	s_and_saveexec_b64 s[12:13], vcc
	s_cbranch_execz .LBB101_337
; %bb.329:
	v_lshrrev_b32_e32 v3, 8, v3
	v_add_u32_e32 v4, -1, v3
	v_or_b32_e32 v1, 0x100, v0
	v_lshrrev_b32_e32 v5, 1, v4
	v_add_u32_e32 v16, 1, v5
	v_cmp_lt_u32_e32 vcc, 13, v4
	v_mov_b32_e32 v19, 0
	v_pk_mov_b32 v[4:5], v[0:1], v[0:1] op_sel:[0,1]
	s_and_saveexec_b64 s[14:15], vcc
	s_cbranch_execz .LBB101_333
; %bb.330:
	v_and_b32_e32 v17, -8, v16
	v_lshlrev_b32_e32 v18, 2, v0
	s_mov_b32 s18, 0
	s_mov_b64 s[16:17], 0
	v_mov_b32_e32 v11, 0
	v_pk_mov_b32 v[4:5], v[0:1], v[0:1] op_sel:[0,1]
.LBB101_331:                            ; =>This Inner Loop Header: Depth=1
	v_mov_b32_e32 v10, v4
	v_add_u32_e32 v17, -8, v17
	v_lshlrev_b64 v[52:53], 2, v[10:11]
	v_mov_b32_e32 v10, v5
	ds_read2st64_b32 v[20:21], v18 offset1:4
	s_add_i32 s18, s18, 16
	v_cmp_eq_u32_e32 vcc, 0, v17
	v_lshlrev_b64 v[54:55], 2, v[10:11]
	v_add_u32_e32 v10, 0x200, v4
	s_or_b64 s[16:17], vcc, s[16:17]
	v_add_co_u32_e32 v54, vcc, v14, v54
	v_add_u32_e32 v22, 0x200, v5
	v_mov_b32_e32 v23, v11
	ds_read2st64_b32 v[24:25], v18 offset0:8 offset1:12
	ds_read2st64_b32 v[28:29], v18 offset0:16 offset1:20
	v_add_co_u32_e64 v52, s[4:5], v14, v52
	v_addc_co_u32_e32 v55, vcc, v15, v55, vcc
	v_lshlrev_b64 v[56:57], 2, v[10:11]
	v_lshlrev_b64 v[22:23], 2, v[22:23]
	v_addc_co_u32_e64 v53, s[4:5], v15, v53, s[4:5]
	v_add_u32_e32 v10, 0x400, v4
	v_add_co_u32_e32 v56, vcc, v14, v56
	v_add_u32_e32 v26, 0x400, v5
	v_mov_b32_e32 v27, v11
	ds_read2st64_b32 v[32:33], v18 offset0:24 offset1:28
	v_add_co_u32_e64 v22, s[4:5], v14, v22
	v_addc_co_u32_e32 v57, vcc, v15, v57, vcc
	v_lshlrev_b64 v[58:59], 2, v[10:11]
	ds_read2st64_b32 v[36:37], v18 offset0:32 offset1:36
	ds_read2st64_b32 v[40:41], v18 offset0:40 offset1:44
	;; [unrolled: 1-line block ×4, first 2 shown]
	v_lshlrev_b64 v[26:27], 2, v[26:27]
	v_addc_co_u32_e64 v23, s[4:5], v15, v23, s[4:5]
	v_add_u32_e32 v10, 0x600, v4
	s_waitcnt lgkmcnt(7)
	global_store_dword v[52:53], v20, off
	global_store_dword v[54:55], v21, off
	s_waitcnt lgkmcnt(6)
	global_store_dword v[56:57], v24, off
	global_store_dword v[22:23], v25, off
	v_add_co_u32_e32 v20, vcc, v14, v58
	v_add_u32_e32 v30, 0x600, v5
	v_mov_b32_e32 v31, v11
	v_add_co_u32_e64 v26, s[4:5], v14, v26
	v_addc_co_u32_e32 v21, vcc, v15, v59, vcc
	v_lshlrev_b64 v[22:23], 2, v[10:11]
	v_lshlrev_b64 v[30:31], 2, v[30:31]
	v_addc_co_u32_e64 v27, s[4:5], v15, v27, s[4:5]
	v_add_u32_e32 v10, 0x800, v4
	s_waitcnt lgkmcnt(5)
	global_store_dword v[20:21], v28, off
	global_store_dword v[26:27], v29, off
	v_add_co_u32_e32 v20, vcc, v14, v22
	v_add_u32_e32 v34, 0x800, v5
	v_mov_b32_e32 v35, v11
	v_add_co_u32_e64 v30, s[4:5], v14, v30
	v_addc_co_u32_e32 v21, vcc, v15, v23, vcc
	v_lshlrev_b64 v[22:23], 2, v[10:11]
	v_lshlrev_b64 v[34:35], 2, v[34:35]
	v_addc_co_u32_e64 v31, s[4:5], v15, v31, s[4:5]
	v_add_u32_e32 v10, 0xa00, v4
	;; [unrolled: 12-line block ×4, first 2 shown]
	s_waitcnt lgkmcnt(2)
	global_store_dword v[20:21], v40, off
	global_store_dword v[38:39], v41, off
	v_add_co_u32_e32 v20, vcc, v14, v22
	v_add_u32_e32 v48, 0xe00, v5
	v_mov_b32_e32 v49, v11
	v_add_co_u32_e64 v44, s[4:5], v14, v44
	v_addc_co_u32_e32 v21, vcc, v15, v23, vcc
	v_lshlrev_b64 v[22:23], 2, v[10:11]
	v_lshlrev_b64 v[48:49], 2, v[48:49]
	v_addc_co_u32_e64 v45, s[4:5], v15, v45, s[4:5]
	s_waitcnt lgkmcnt(1)
	global_store_dword v[20:21], v46, off
	global_store_dword v[44:45], v47, off
	v_add_co_u32_e32 v20, vcc, v14, v22
	v_add_u32_e32 v18, 0x4000, v18
	v_add_u32_e32 v5, 0x1000, v5
	v_mov_b32_e32 v19, s18
	v_add_co_u32_e64 v48, s[4:5], v14, v48
	v_add_u32_e32 v4, 0x1000, v4
	v_addc_co_u32_e32 v21, vcc, v15, v23, vcc
	v_addc_co_u32_e64 v49, s[4:5], v15, v49, s[4:5]
	s_waitcnt lgkmcnt(0)
	global_store_dword v[20:21], v50, off
	global_store_dword v[48:49], v51, off
	s_andn2_b64 exec, exec, s[16:17]
	s_cbranch_execnz .LBB101_331
; %bb.332:
	s_or_b64 exec, exec, s[16:17]
.LBB101_333:
	s_or_b64 exec, exec, s[14:15]
	v_and_b32_e32 v1, 7, v16
	v_cmp_ne_u32_e32 vcc, 0, v1
	s_and_saveexec_b64 s[14:15], vcc
	s_cbranch_execz .LBB101_336
; %bb.334:
	v_lshlrev_b32_e32 v10, 2, v0
	v_lshl_or_b32 v16, v19, 10, v10
	s_mov_b64 s[16:17], 0
	v_mov_b32_e32 v11, 0
.LBB101_335:                            ; =>This Inner Loop Header: Depth=1
	ds_read2st64_b32 v[18:19], v16 offset1:4
	v_mov_b32_e32 v10, v4
	v_add_u32_e32 v1, -1, v1
	v_lshlrev_b64 v[20:21], 2, v[10:11]
	v_mov_b32_e32 v10, v5
	v_cmp_eq_u32_e32 vcc, 0, v1
	v_add_co_u32_e64 v20, s[4:5], v14, v20
	v_lshlrev_b64 v[22:23], 2, v[10:11]
	v_add_u32_e32 v4, 0x200, v4
	v_add_u32_e32 v16, 0x800, v16
	;; [unrolled: 1-line block ×3, first 2 shown]
	v_addc_co_u32_e64 v21, s[4:5], v15, v21, s[4:5]
	s_or_b64 s[16:17], vcc, s[16:17]
	v_add_co_u32_e32 v22, vcc, v14, v22
	v_addc_co_u32_e32 v23, vcc, v15, v23, vcc
	s_waitcnt lgkmcnt(0)
	global_store_dword v[20:21], v18, off
	global_store_dword v[22:23], v19, off
	s_andn2_b64 exec, exec, s[16:17]
	s_cbranch_execnz .LBB101_335
.LBB101_336:
	s_or_b64 exec, exec, s[14:15]
	v_add_u32_e32 v1, 1, v3
	v_and_b32_e32 v3, 0x1fffffe, v1
	v_cmp_ne_u32_e32 vcc, v1, v3
	v_lshl_or_b32 v4, v3, 8, v0
	s_orn2_b64 s[4:5], vcc, exec
.LBB101_337:
	s_or_b64 exec, exec, s[12:13]
	s_andn2_b64 s[8:9], s[8:9], exec
	s_and_b64 s[4:5], s[4:5], exec
	s_or_b64 s[8:9], s[8:9], s[4:5]
.LBB101_338:
	s_or_b64 exec, exec, s[10:11]
	s_and_b64 exec, exec, s[8:9]
	s_cbranch_execz .LBB101_341
; %bb.339:
	v_lshlrev_b32_e32 v1, 2, v4
	s_mov_b64 s[4:5], 0
	v_mov_b32_e32 v5, 0
.LBB101_340:                            ; =>This Inner Loop Header: Depth=1
	v_lshlrev_b64 v[10:11], 2, v[4:5]
	ds_read_b32 v3, v1
	v_add_co_u32_e32 v10, vcc, v14, v10
	v_add_u32_e32 v4, 0x100, v4
	v_addc_co_u32_e32 v11, vcc, v15, v11, vcc
	v_cmp_ge_u32_e32 vcc, v4, v7
	v_add_u32_e32 v1, 0x400, v1
	s_or_b64 s[4:5], vcc, s[4:5]
	s_waitcnt lgkmcnt(0)
	global_store_dword v[10:11], v3, off
	s_andn2_b64 exec, exec, s[4:5]
	s_cbranch_execnz .LBB101_340
.LBB101_341:
	s_or_b64 exec, exec, s[6:7]
.LBB101_342:
	s_movk_i32 s4, 0xff
	v_cmp_eq_u32_e32 vcc, s4, v0
	s_and_b64 s[4:5], vcc, s[40:41]
	s_and_b64 exec, exec, s[4:5]
	s_cbranch_execz .LBB101_345
; %bb.343:
	v_add_co_u32_e32 v0, vcc, v2, v6
	v_addc_co_u32_e64 v1, s[4:5], 0, 0, vcc
	v_add_co_u32_e32 v0, vcc, v0, v8
	v_mov_b32_e32 v3, 0
	v_addc_co_u32_e32 v1, vcc, v1, v9, vcc
	s_cmpk_lg_i32 s33, 0xf00
	global_store_dwordx2 v3, v[0:1], s[58:59]
	s_cbranch_scc1 .LBB101_345
; %bb.344:
	v_lshlrev_b64 v[0:1], 2, v[2:3]
	v_add_co_u32_e32 v0, vcc, v12, v0
	v_addc_co_u32_e32 v1, vcc, v13, v1, vcc
	global_store_dword v[0:1], v42, off offset:-4
	s_endpgm
.LBB101_345:
	s_endpgm
	.section	.rodata,"a",@progbits
	.p2align	6, 0x0
	.amdhsa_kernel _ZN7rocprim17ROCPRIM_400000_NS6detail17trampoline_kernelINS0_14default_configENS1_29reduce_by_key_config_selectorIffN6thrust23THRUST_200600_302600_NS4plusIfEEEEZZNS1_33reduce_by_key_impl_wrapped_configILNS1_25lookback_scan_determinismE1ES3_S9_NS6_6detail15normal_iteratorINS6_10device_ptrIfEEEESG_SG_SG_PmS8_NS6_8equal_toIfEEEE10hipError_tPvRmT2_T3_mT4_T5_T6_T7_T8_P12ihipStream_tbENKUlT_T0_E_clISt17integral_constantIbLb1EES11_EEDaSW_SX_EUlSW_E_NS1_11comp_targetILNS1_3genE4ELNS1_11target_archE910ELNS1_3gpuE8ELNS1_3repE0EEENS1_30default_config_static_selectorELNS0_4arch9wavefront6targetE1EEEvT1_
		.amdhsa_group_segment_fixed_size 15360
		.amdhsa_private_segment_fixed_size 48
		.amdhsa_kernarg_size 120
		.amdhsa_user_sgpr_count 8
		.amdhsa_user_sgpr_private_segment_buffer 1
		.amdhsa_user_sgpr_dispatch_ptr 0
		.amdhsa_user_sgpr_queue_ptr 0
		.amdhsa_user_sgpr_kernarg_segment_ptr 1
		.amdhsa_user_sgpr_dispatch_id 0
		.amdhsa_user_sgpr_flat_scratch_init 1
		.amdhsa_user_sgpr_kernarg_preload_length 0
		.amdhsa_user_sgpr_kernarg_preload_offset 0
		.amdhsa_user_sgpr_private_segment_size 0
		.amdhsa_uses_dynamic_stack 0
		.amdhsa_system_sgpr_private_segment_wavefront_offset 1
		.amdhsa_system_sgpr_workgroup_id_x 1
		.amdhsa_system_sgpr_workgroup_id_y 0
		.amdhsa_system_sgpr_workgroup_id_z 0
		.amdhsa_system_sgpr_workgroup_info 0
		.amdhsa_system_vgpr_workitem_id 0
		.amdhsa_next_free_vgpr 108
		.amdhsa_next_free_sgpr 76
		.amdhsa_accum_offset 108
		.amdhsa_reserve_vcc 1
		.amdhsa_reserve_flat_scratch 1
		.amdhsa_float_round_mode_32 0
		.amdhsa_float_round_mode_16_64 0
		.amdhsa_float_denorm_mode_32 3
		.amdhsa_float_denorm_mode_16_64 3
		.amdhsa_dx10_clamp 1
		.amdhsa_ieee_mode 1
		.amdhsa_fp16_overflow 0
		.amdhsa_tg_split 0
		.amdhsa_exception_fp_ieee_invalid_op 0
		.amdhsa_exception_fp_denorm_src 0
		.amdhsa_exception_fp_ieee_div_zero 0
		.amdhsa_exception_fp_ieee_overflow 0
		.amdhsa_exception_fp_ieee_underflow 0
		.amdhsa_exception_fp_ieee_inexact 0
		.amdhsa_exception_int_div_zero 0
	.end_amdhsa_kernel
	.section	.text._ZN7rocprim17ROCPRIM_400000_NS6detail17trampoline_kernelINS0_14default_configENS1_29reduce_by_key_config_selectorIffN6thrust23THRUST_200600_302600_NS4plusIfEEEEZZNS1_33reduce_by_key_impl_wrapped_configILNS1_25lookback_scan_determinismE1ES3_S9_NS6_6detail15normal_iteratorINS6_10device_ptrIfEEEESG_SG_SG_PmS8_NS6_8equal_toIfEEEE10hipError_tPvRmT2_T3_mT4_T5_T6_T7_T8_P12ihipStream_tbENKUlT_T0_E_clISt17integral_constantIbLb1EES11_EEDaSW_SX_EUlSW_E_NS1_11comp_targetILNS1_3genE4ELNS1_11target_archE910ELNS1_3gpuE8ELNS1_3repE0EEENS1_30default_config_static_selectorELNS0_4arch9wavefront6targetE1EEEvT1_,"axG",@progbits,_ZN7rocprim17ROCPRIM_400000_NS6detail17trampoline_kernelINS0_14default_configENS1_29reduce_by_key_config_selectorIffN6thrust23THRUST_200600_302600_NS4plusIfEEEEZZNS1_33reduce_by_key_impl_wrapped_configILNS1_25lookback_scan_determinismE1ES3_S9_NS6_6detail15normal_iteratorINS6_10device_ptrIfEEEESG_SG_SG_PmS8_NS6_8equal_toIfEEEE10hipError_tPvRmT2_T3_mT4_T5_T6_T7_T8_P12ihipStream_tbENKUlT_T0_E_clISt17integral_constantIbLb1EES11_EEDaSW_SX_EUlSW_E_NS1_11comp_targetILNS1_3genE4ELNS1_11target_archE910ELNS1_3gpuE8ELNS1_3repE0EEENS1_30default_config_static_selectorELNS0_4arch9wavefront6targetE1EEEvT1_,comdat
.Lfunc_end101:
	.size	_ZN7rocprim17ROCPRIM_400000_NS6detail17trampoline_kernelINS0_14default_configENS1_29reduce_by_key_config_selectorIffN6thrust23THRUST_200600_302600_NS4plusIfEEEEZZNS1_33reduce_by_key_impl_wrapped_configILNS1_25lookback_scan_determinismE1ES3_S9_NS6_6detail15normal_iteratorINS6_10device_ptrIfEEEESG_SG_SG_PmS8_NS6_8equal_toIfEEEE10hipError_tPvRmT2_T3_mT4_T5_T6_T7_T8_P12ihipStream_tbENKUlT_T0_E_clISt17integral_constantIbLb1EES11_EEDaSW_SX_EUlSW_E_NS1_11comp_targetILNS1_3genE4ELNS1_11target_archE910ELNS1_3gpuE8ELNS1_3repE0EEENS1_30default_config_static_selectorELNS0_4arch9wavefront6targetE1EEEvT1_, .Lfunc_end101-_ZN7rocprim17ROCPRIM_400000_NS6detail17trampoline_kernelINS0_14default_configENS1_29reduce_by_key_config_selectorIffN6thrust23THRUST_200600_302600_NS4plusIfEEEEZZNS1_33reduce_by_key_impl_wrapped_configILNS1_25lookback_scan_determinismE1ES3_S9_NS6_6detail15normal_iteratorINS6_10device_ptrIfEEEESG_SG_SG_PmS8_NS6_8equal_toIfEEEE10hipError_tPvRmT2_T3_mT4_T5_T6_T7_T8_P12ihipStream_tbENKUlT_T0_E_clISt17integral_constantIbLb1EES11_EEDaSW_SX_EUlSW_E_NS1_11comp_targetILNS1_3genE4ELNS1_11target_archE910ELNS1_3gpuE8ELNS1_3repE0EEENS1_30default_config_static_selectorELNS0_4arch9wavefront6targetE1EEEvT1_
                                        ; -- End function
	.section	.AMDGPU.csdata,"",@progbits
; Kernel info:
; codeLenInByte = 18060
; NumSgprs: 82
; NumVgprs: 108
; NumAgprs: 0
; TotalNumVgprs: 108
; ScratchSize: 48
; MemoryBound: 0
; FloatMode: 240
; IeeeMode: 1
; LDSByteSize: 15360 bytes/workgroup (compile time only)
; SGPRBlocks: 10
; VGPRBlocks: 13
; NumSGPRsForWavesPerEU: 82
; NumVGPRsForWavesPerEU: 108
; AccumOffset: 108
; Occupancy: 4
; WaveLimiterHint : 1
; COMPUTE_PGM_RSRC2:SCRATCH_EN: 1
; COMPUTE_PGM_RSRC2:USER_SGPR: 8
; COMPUTE_PGM_RSRC2:TRAP_HANDLER: 0
; COMPUTE_PGM_RSRC2:TGID_X_EN: 1
; COMPUTE_PGM_RSRC2:TGID_Y_EN: 0
; COMPUTE_PGM_RSRC2:TGID_Z_EN: 0
; COMPUTE_PGM_RSRC2:TIDIG_COMP_CNT: 0
; COMPUTE_PGM_RSRC3_GFX90A:ACCUM_OFFSET: 26
; COMPUTE_PGM_RSRC3_GFX90A:TG_SPLIT: 0
	.section	.text._ZN7rocprim17ROCPRIM_400000_NS6detail17trampoline_kernelINS0_14default_configENS1_29reduce_by_key_config_selectorIffN6thrust23THRUST_200600_302600_NS4plusIfEEEEZZNS1_33reduce_by_key_impl_wrapped_configILNS1_25lookback_scan_determinismE1ES3_S9_NS6_6detail15normal_iteratorINS6_10device_ptrIfEEEESG_SG_SG_PmS8_NS6_8equal_toIfEEEE10hipError_tPvRmT2_T3_mT4_T5_T6_T7_T8_P12ihipStream_tbENKUlT_T0_E_clISt17integral_constantIbLb1EES11_EEDaSW_SX_EUlSW_E_NS1_11comp_targetILNS1_3genE3ELNS1_11target_archE908ELNS1_3gpuE7ELNS1_3repE0EEENS1_30default_config_static_selectorELNS0_4arch9wavefront6targetE1EEEvT1_,"axG",@progbits,_ZN7rocprim17ROCPRIM_400000_NS6detail17trampoline_kernelINS0_14default_configENS1_29reduce_by_key_config_selectorIffN6thrust23THRUST_200600_302600_NS4plusIfEEEEZZNS1_33reduce_by_key_impl_wrapped_configILNS1_25lookback_scan_determinismE1ES3_S9_NS6_6detail15normal_iteratorINS6_10device_ptrIfEEEESG_SG_SG_PmS8_NS6_8equal_toIfEEEE10hipError_tPvRmT2_T3_mT4_T5_T6_T7_T8_P12ihipStream_tbENKUlT_T0_E_clISt17integral_constantIbLb1EES11_EEDaSW_SX_EUlSW_E_NS1_11comp_targetILNS1_3genE3ELNS1_11target_archE908ELNS1_3gpuE7ELNS1_3repE0EEENS1_30default_config_static_selectorELNS0_4arch9wavefront6targetE1EEEvT1_,comdat
	.protected	_ZN7rocprim17ROCPRIM_400000_NS6detail17trampoline_kernelINS0_14default_configENS1_29reduce_by_key_config_selectorIffN6thrust23THRUST_200600_302600_NS4plusIfEEEEZZNS1_33reduce_by_key_impl_wrapped_configILNS1_25lookback_scan_determinismE1ES3_S9_NS6_6detail15normal_iteratorINS6_10device_ptrIfEEEESG_SG_SG_PmS8_NS6_8equal_toIfEEEE10hipError_tPvRmT2_T3_mT4_T5_T6_T7_T8_P12ihipStream_tbENKUlT_T0_E_clISt17integral_constantIbLb1EES11_EEDaSW_SX_EUlSW_E_NS1_11comp_targetILNS1_3genE3ELNS1_11target_archE908ELNS1_3gpuE7ELNS1_3repE0EEENS1_30default_config_static_selectorELNS0_4arch9wavefront6targetE1EEEvT1_ ; -- Begin function _ZN7rocprim17ROCPRIM_400000_NS6detail17trampoline_kernelINS0_14default_configENS1_29reduce_by_key_config_selectorIffN6thrust23THRUST_200600_302600_NS4plusIfEEEEZZNS1_33reduce_by_key_impl_wrapped_configILNS1_25lookback_scan_determinismE1ES3_S9_NS6_6detail15normal_iteratorINS6_10device_ptrIfEEEESG_SG_SG_PmS8_NS6_8equal_toIfEEEE10hipError_tPvRmT2_T3_mT4_T5_T6_T7_T8_P12ihipStream_tbENKUlT_T0_E_clISt17integral_constantIbLb1EES11_EEDaSW_SX_EUlSW_E_NS1_11comp_targetILNS1_3genE3ELNS1_11target_archE908ELNS1_3gpuE7ELNS1_3repE0EEENS1_30default_config_static_selectorELNS0_4arch9wavefront6targetE1EEEvT1_
	.globl	_ZN7rocprim17ROCPRIM_400000_NS6detail17trampoline_kernelINS0_14default_configENS1_29reduce_by_key_config_selectorIffN6thrust23THRUST_200600_302600_NS4plusIfEEEEZZNS1_33reduce_by_key_impl_wrapped_configILNS1_25lookback_scan_determinismE1ES3_S9_NS6_6detail15normal_iteratorINS6_10device_ptrIfEEEESG_SG_SG_PmS8_NS6_8equal_toIfEEEE10hipError_tPvRmT2_T3_mT4_T5_T6_T7_T8_P12ihipStream_tbENKUlT_T0_E_clISt17integral_constantIbLb1EES11_EEDaSW_SX_EUlSW_E_NS1_11comp_targetILNS1_3genE3ELNS1_11target_archE908ELNS1_3gpuE7ELNS1_3repE0EEENS1_30default_config_static_selectorELNS0_4arch9wavefront6targetE1EEEvT1_
	.p2align	8
	.type	_ZN7rocprim17ROCPRIM_400000_NS6detail17trampoline_kernelINS0_14default_configENS1_29reduce_by_key_config_selectorIffN6thrust23THRUST_200600_302600_NS4plusIfEEEEZZNS1_33reduce_by_key_impl_wrapped_configILNS1_25lookback_scan_determinismE1ES3_S9_NS6_6detail15normal_iteratorINS6_10device_ptrIfEEEESG_SG_SG_PmS8_NS6_8equal_toIfEEEE10hipError_tPvRmT2_T3_mT4_T5_T6_T7_T8_P12ihipStream_tbENKUlT_T0_E_clISt17integral_constantIbLb1EES11_EEDaSW_SX_EUlSW_E_NS1_11comp_targetILNS1_3genE3ELNS1_11target_archE908ELNS1_3gpuE7ELNS1_3repE0EEENS1_30default_config_static_selectorELNS0_4arch9wavefront6targetE1EEEvT1_,@function
_ZN7rocprim17ROCPRIM_400000_NS6detail17trampoline_kernelINS0_14default_configENS1_29reduce_by_key_config_selectorIffN6thrust23THRUST_200600_302600_NS4plusIfEEEEZZNS1_33reduce_by_key_impl_wrapped_configILNS1_25lookback_scan_determinismE1ES3_S9_NS6_6detail15normal_iteratorINS6_10device_ptrIfEEEESG_SG_SG_PmS8_NS6_8equal_toIfEEEE10hipError_tPvRmT2_T3_mT4_T5_T6_T7_T8_P12ihipStream_tbENKUlT_T0_E_clISt17integral_constantIbLb1EES11_EEDaSW_SX_EUlSW_E_NS1_11comp_targetILNS1_3genE3ELNS1_11target_archE908ELNS1_3gpuE7ELNS1_3repE0EEENS1_30default_config_static_selectorELNS0_4arch9wavefront6targetE1EEEvT1_: ; @_ZN7rocprim17ROCPRIM_400000_NS6detail17trampoline_kernelINS0_14default_configENS1_29reduce_by_key_config_selectorIffN6thrust23THRUST_200600_302600_NS4plusIfEEEEZZNS1_33reduce_by_key_impl_wrapped_configILNS1_25lookback_scan_determinismE1ES3_S9_NS6_6detail15normal_iteratorINS6_10device_ptrIfEEEESG_SG_SG_PmS8_NS6_8equal_toIfEEEE10hipError_tPvRmT2_T3_mT4_T5_T6_T7_T8_P12ihipStream_tbENKUlT_T0_E_clISt17integral_constantIbLb1EES11_EEDaSW_SX_EUlSW_E_NS1_11comp_targetILNS1_3genE3ELNS1_11target_archE908ELNS1_3gpuE7ELNS1_3repE0EEENS1_30default_config_static_selectorELNS0_4arch9wavefront6targetE1EEEvT1_
; %bb.0:
	.section	.rodata,"a",@progbits
	.p2align	6, 0x0
	.amdhsa_kernel _ZN7rocprim17ROCPRIM_400000_NS6detail17trampoline_kernelINS0_14default_configENS1_29reduce_by_key_config_selectorIffN6thrust23THRUST_200600_302600_NS4plusIfEEEEZZNS1_33reduce_by_key_impl_wrapped_configILNS1_25lookback_scan_determinismE1ES3_S9_NS6_6detail15normal_iteratorINS6_10device_ptrIfEEEESG_SG_SG_PmS8_NS6_8equal_toIfEEEE10hipError_tPvRmT2_T3_mT4_T5_T6_T7_T8_P12ihipStream_tbENKUlT_T0_E_clISt17integral_constantIbLb1EES11_EEDaSW_SX_EUlSW_E_NS1_11comp_targetILNS1_3genE3ELNS1_11target_archE908ELNS1_3gpuE7ELNS1_3repE0EEENS1_30default_config_static_selectorELNS0_4arch9wavefront6targetE1EEEvT1_
		.amdhsa_group_segment_fixed_size 0
		.amdhsa_private_segment_fixed_size 0
		.amdhsa_kernarg_size 120
		.amdhsa_user_sgpr_count 6
		.amdhsa_user_sgpr_private_segment_buffer 1
		.amdhsa_user_sgpr_dispatch_ptr 0
		.amdhsa_user_sgpr_queue_ptr 0
		.amdhsa_user_sgpr_kernarg_segment_ptr 1
		.amdhsa_user_sgpr_dispatch_id 0
		.amdhsa_user_sgpr_flat_scratch_init 0
		.amdhsa_user_sgpr_kernarg_preload_length 0
		.amdhsa_user_sgpr_kernarg_preload_offset 0
		.amdhsa_user_sgpr_private_segment_size 0
		.amdhsa_uses_dynamic_stack 0
		.amdhsa_system_sgpr_private_segment_wavefront_offset 0
		.amdhsa_system_sgpr_workgroup_id_x 1
		.amdhsa_system_sgpr_workgroup_id_y 0
		.amdhsa_system_sgpr_workgroup_id_z 0
		.amdhsa_system_sgpr_workgroup_info 0
		.amdhsa_system_vgpr_workitem_id 0
		.amdhsa_next_free_vgpr 1
		.amdhsa_next_free_sgpr 0
		.amdhsa_accum_offset 4
		.amdhsa_reserve_vcc 0
		.amdhsa_reserve_flat_scratch 0
		.amdhsa_float_round_mode_32 0
		.amdhsa_float_round_mode_16_64 0
		.amdhsa_float_denorm_mode_32 3
		.amdhsa_float_denorm_mode_16_64 3
		.amdhsa_dx10_clamp 1
		.amdhsa_ieee_mode 1
		.amdhsa_fp16_overflow 0
		.amdhsa_tg_split 0
		.amdhsa_exception_fp_ieee_invalid_op 0
		.amdhsa_exception_fp_denorm_src 0
		.amdhsa_exception_fp_ieee_div_zero 0
		.amdhsa_exception_fp_ieee_overflow 0
		.amdhsa_exception_fp_ieee_underflow 0
		.amdhsa_exception_fp_ieee_inexact 0
		.amdhsa_exception_int_div_zero 0
	.end_amdhsa_kernel
	.section	.text._ZN7rocprim17ROCPRIM_400000_NS6detail17trampoline_kernelINS0_14default_configENS1_29reduce_by_key_config_selectorIffN6thrust23THRUST_200600_302600_NS4plusIfEEEEZZNS1_33reduce_by_key_impl_wrapped_configILNS1_25lookback_scan_determinismE1ES3_S9_NS6_6detail15normal_iteratorINS6_10device_ptrIfEEEESG_SG_SG_PmS8_NS6_8equal_toIfEEEE10hipError_tPvRmT2_T3_mT4_T5_T6_T7_T8_P12ihipStream_tbENKUlT_T0_E_clISt17integral_constantIbLb1EES11_EEDaSW_SX_EUlSW_E_NS1_11comp_targetILNS1_3genE3ELNS1_11target_archE908ELNS1_3gpuE7ELNS1_3repE0EEENS1_30default_config_static_selectorELNS0_4arch9wavefront6targetE1EEEvT1_,"axG",@progbits,_ZN7rocprim17ROCPRIM_400000_NS6detail17trampoline_kernelINS0_14default_configENS1_29reduce_by_key_config_selectorIffN6thrust23THRUST_200600_302600_NS4plusIfEEEEZZNS1_33reduce_by_key_impl_wrapped_configILNS1_25lookback_scan_determinismE1ES3_S9_NS6_6detail15normal_iteratorINS6_10device_ptrIfEEEESG_SG_SG_PmS8_NS6_8equal_toIfEEEE10hipError_tPvRmT2_T3_mT4_T5_T6_T7_T8_P12ihipStream_tbENKUlT_T0_E_clISt17integral_constantIbLb1EES11_EEDaSW_SX_EUlSW_E_NS1_11comp_targetILNS1_3genE3ELNS1_11target_archE908ELNS1_3gpuE7ELNS1_3repE0EEENS1_30default_config_static_selectorELNS0_4arch9wavefront6targetE1EEEvT1_,comdat
.Lfunc_end102:
	.size	_ZN7rocprim17ROCPRIM_400000_NS6detail17trampoline_kernelINS0_14default_configENS1_29reduce_by_key_config_selectorIffN6thrust23THRUST_200600_302600_NS4plusIfEEEEZZNS1_33reduce_by_key_impl_wrapped_configILNS1_25lookback_scan_determinismE1ES3_S9_NS6_6detail15normal_iteratorINS6_10device_ptrIfEEEESG_SG_SG_PmS8_NS6_8equal_toIfEEEE10hipError_tPvRmT2_T3_mT4_T5_T6_T7_T8_P12ihipStream_tbENKUlT_T0_E_clISt17integral_constantIbLb1EES11_EEDaSW_SX_EUlSW_E_NS1_11comp_targetILNS1_3genE3ELNS1_11target_archE908ELNS1_3gpuE7ELNS1_3repE0EEENS1_30default_config_static_selectorELNS0_4arch9wavefront6targetE1EEEvT1_, .Lfunc_end102-_ZN7rocprim17ROCPRIM_400000_NS6detail17trampoline_kernelINS0_14default_configENS1_29reduce_by_key_config_selectorIffN6thrust23THRUST_200600_302600_NS4plusIfEEEEZZNS1_33reduce_by_key_impl_wrapped_configILNS1_25lookback_scan_determinismE1ES3_S9_NS6_6detail15normal_iteratorINS6_10device_ptrIfEEEESG_SG_SG_PmS8_NS6_8equal_toIfEEEE10hipError_tPvRmT2_T3_mT4_T5_T6_T7_T8_P12ihipStream_tbENKUlT_T0_E_clISt17integral_constantIbLb1EES11_EEDaSW_SX_EUlSW_E_NS1_11comp_targetILNS1_3genE3ELNS1_11target_archE908ELNS1_3gpuE7ELNS1_3repE0EEENS1_30default_config_static_selectorELNS0_4arch9wavefront6targetE1EEEvT1_
                                        ; -- End function
	.section	.AMDGPU.csdata,"",@progbits
; Kernel info:
; codeLenInByte = 0
; NumSgprs: 4
; NumVgprs: 0
; NumAgprs: 0
; TotalNumVgprs: 0
; ScratchSize: 0
; MemoryBound: 0
; FloatMode: 240
; IeeeMode: 1
; LDSByteSize: 0 bytes/workgroup (compile time only)
; SGPRBlocks: 0
; VGPRBlocks: 0
; NumSGPRsForWavesPerEU: 4
; NumVGPRsForWavesPerEU: 1
; AccumOffset: 4
; Occupancy: 8
; WaveLimiterHint : 0
; COMPUTE_PGM_RSRC2:SCRATCH_EN: 0
; COMPUTE_PGM_RSRC2:USER_SGPR: 6
; COMPUTE_PGM_RSRC2:TRAP_HANDLER: 0
; COMPUTE_PGM_RSRC2:TGID_X_EN: 1
; COMPUTE_PGM_RSRC2:TGID_Y_EN: 0
; COMPUTE_PGM_RSRC2:TGID_Z_EN: 0
; COMPUTE_PGM_RSRC2:TIDIG_COMP_CNT: 0
; COMPUTE_PGM_RSRC3_GFX90A:ACCUM_OFFSET: 0
; COMPUTE_PGM_RSRC3_GFX90A:TG_SPLIT: 0
	.section	.text._ZN7rocprim17ROCPRIM_400000_NS6detail17trampoline_kernelINS0_14default_configENS1_29reduce_by_key_config_selectorIffN6thrust23THRUST_200600_302600_NS4plusIfEEEEZZNS1_33reduce_by_key_impl_wrapped_configILNS1_25lookback_scan_determinismE1ES3_S9_NS6_6detail15normal_iteratorINS6_10device_ptrIfEEEESG_SG_SG_PmS8_NS6_8equal_toIfEEEE10hipError_tPvRmT2_T3_mT4_T5_T6_T7_T8_P12ihipStream_tbENKUlT_T0_E_clISt17integral_constantIbLb1EES11_EEDaSW_SX_EUlSW_E_NS1_11comp_targetILNS1_3genE2ELNS1_11target_archE906ELNS1_3gpuE6ELNS1_3repE0EEENS1_30default_config_static_selectorELNS0_4arch9wavefront6targetE1EEEvT1_,"axG",@progbits,_ZN7rocprim17ROCPRIM_400000_NS6detail17trampoline_kernelINS0_14default_configENS1_29reduce_by_key_config_selectorIffN6thrust23THRUST_200600_302600_NS4plusIfEEEEZZNS1_33reduce_by_key_impl_wrapped_configILNS1_25lookback_scan_determinismE1ES3_S9_NS6_6detail15normal_iteratorINS6_10device_ptrIfEEEESG_SG_SG_PmS8_NS6_8equal_toIfEEEE10hipError_tPvRmT2_T3_mT4_T5_T6_T7_T8_P12ihipStream_tbENKUlT_T0_E_clISt17integral_constantIbLb1EES11_EEDaSW_SX_EUlSW_E_NS1_11comp_targetILNS1_3genE2ELNS1_11target_archE906ELNS1_3gpuE6ELNS1_3repE0EEENS1_30default_config_static_selectorELNS0_4arch9wavefront6targetE1EEEvT1_,comdat
	.protected	_ZN7rocprim17ROCPRIM_400000_NS6detail17trampoline_kernelINS0_14default_configENS1_29reduce_by_key_config_selectorIffN6thrust23THRUST_200600_302600_NS4plusIfEEEEZZNS1_33reduce_by_key_impl_wrapped_configILNS1_25lookback_scan_determinismE1ES3_S9_NS6_6detail15normal_iteratorINS6_10device_ptrIfEEEESG_SG_SG_PmS8_NS6_8equal_toIfEEEE10hipError_tPvRmT2_T3_mT4_T5_T6_T7_T8_P12ihipStream_tbENKUlT_T0_E_clISt17integral_constantIbLb1EES11_EEDaSW_SX_EUlSW_E_NS1_11comp_targetILNS1_3genE2ELNS1_11target_archE906ELNS1_3gpuE6ELNS1_3repE0EEENS1_30default_config_static_selectorELNS0_4arch9wavefront6targetE1EEEvT1_ ; -- Begin function _ZN7rocprim17ROCPRIM_400000_NS6detail17trampoline_kernelINS0_14default_configENS1_29reduce_by_key_config_selectorIffN6thrust23THRUST_200600_302600_NS4plusIfEEEEZZNS1_33reduce_by_key_impl_wrapped_configILNS1_25lookback_scan_determinismE1ES3_S9_NS6_6detail15normal_iteratorINS6_10device_ptrIfEEEESG_SG_SG_PmS8_NS6_8equal_toIfEEEE10hipError_tPvRmT2_T3_mT4_T5_T6_T7_T8_P12ihipStream_tbENKUlT_T0_E_clISt17integral_constantIbLb1EES11_EEDaSW_SX_EUlSW_E_NS1_11comp_targetILNS1_3genE2ELNS1_11target_archE906ELNS1_3gpuE6ELNS1_3repE0EEENS1_30default_config_static_selectorELNS0_4arch9wavefront6targetE1EEEvT1_
	.globl	_ZN7rocprim17ROCPRIM_400000_NS6detail17trampoline_kernelINS0_14default_configENS1_29reduce_by_key_config_selectorIffN6thrust23THRUST_200600_302600_NS4plusIfEEEEZZNS1_33reduce_by_key_impl_wrapped_configILNS1_25lookback_scan_determinismE1ES3_S9_NS6_6detail15normal_iteratorINS6_10device_ptrIfEEEESG_SG_SG_PmS8_NS6_8equal_toIfEEEE10hipError_tPvRmT2_T3_mT4_T5_T6_T7_T8_P12ihipStream_tbENKUlT_T0_E_clISt17integral_constantIbLb1EES11_EEDaSW_SX_EUlSW_E_NS1_11comp_targetILNS1_3genE2ELNS1_11target_archE906ELNS1_3gpuE6ELNS1_3repE0EEENS1_30default_config_static_selectorELNS0_4arch9wavefront6targetE1EEEvT1_
	.p2align	8
	.type	_ZN7rocprim17ROCPRIM_400000_NS6detail17trampoline_kernelINS0_14default_configENS1_29reduce_by_key_config_selectorIffN6thrust23THRUST_200600_302600_NS4plusIfEEEEZZNS1_33reduce_by_key_impl_wrapped_configILNS1_25lookback_scan_determinismE1ES3_S9_NS6_6detail15normal_iteratorINS6_10device_ptrIfEEEESG_SG_SG_PmS8_NS6_8equal_toIfEEEE10hipError_tPvRmT2_T3_mT4_T5_T6_T7_T8_P12ihipStream_tbENKUlT_T0_E_clISt17integral_constantIbLb1EES11_EEDaSW_SX_EUlSW_E_NS1_11comp_targetILNS1_3genE2ELNS1_11target_archE906ELNS1_3gpuE6ELNS1_3repE0EEENS1_30default_config_static_selectorELNS0_4arch9wavefront6targetE1EEEvT1_,@function
_ZN7rocprim17ROCPRIM_400000_NS6detail17trampoline_kernelINS0_14default_configENS1_29reduce_by_key_config_selectorIffN6thrust23THRUST_200600_302600_NS4plusIfEEEEZZNS1_33reduce_by_key_impl_wrapped_configILNS1_25lookback_scan_determinismE1ES3_S9_NS6_6detail15normal_iteratorINS6_10device_ptrIfEEEESG_SG_SG_PmS8_NS6_8equal_toIfEEEE10hipError_tPvRmT2_T3_mT4_T5_T6_T7_T8_P12ihipStream_tbENKUlT_T0_E_clISt17integral_constantIbLb1EES11_EEDaSW_SX_EUlSW_E_NS1_11comp_targetILNS1_3genE2ELNS1_11target_archE906ELNS1_3gpuE6ELNS1_3repE0EEENS1_30default_config_static_selectorELNS0_4arch9wavefront6targetE1EEEvT1_: ; @_ZN7rocprim17ROCPRIM_400000_NS6detail17trampoline_kernelINS0_14default_configENS1_29reduce_by_key_config_selectorIffN6thrust23THRUST_200600_302600_NS4plusIfEEEEZZNS1_33reduce_by_key_impl_wrapped_configILNS1_25lookback_scan_determinismE1ES3_S9_NS6_6detail15normal_iteratorINS6_10device_ptrIfEEEESG_SG_SG_PmS8_NS6_8equal_toIfEEEE10hipError_tPvRmT2_T3_mT4_T5_T6_T7_T8_P12ihipStream_tbENKUlT_T0_E_clISt17integral_constantIbLb1EES11_EEDaSW_SX_EUlSW_E_NS1_11comp_targetILNS1_3genE2ELNS1_11target_archE906ELNS1_3gpuE6ELNS1_3repE0EEENS1_30default_config_static_selectorELNS0_4arch9wavefront6targetE1EEEvT1_
; %bb.0:
	.section	.rodata,"a",@progbits
	.p2align	6, 0x0
	.amdhsa_kernel _ZN7rocprim17ROCPRIM_400000_NS6detail17trampoline_kernelINS0_14default_configENS1_29reduce_by_key_config_selectorIffN6thrust23THRUST_200600_302600_NS4plusIfEEEEZZNS1_33reduce_by_key_impl_wrapped_configILNS1_25lookback_scan_determinismE1ES3_S9_NS6_6detail15normal_iteratorINS6_10device_ptrIfEEEESG_SG_SG_PmS8_NS6_8equal_toIfEEEE10hipError_tPvRmT2_T3_mT4_T5_T6_T7_T8_P12ihipStream_tbENKUlT_T0_E_clISt17integral_constantIbLb1EES11_EEDaSW_SX_EUlSW_E_NS1_11comp_targetILNS1_3genE2ELNS1_11target_archE906ELNS1_3gpuE6ELNS1_3repE0EEENS1_30default_config_static_selectorELNS0_4arch9wavefront6targetE1EEEvT1_
		.amdhsa_group_segment_fixed_size 0
		.amdhsa_private_segment_fixed_size 0
		.amdhsa_kernarg_size 120
		.amdhsa_user_sgpr_count 6
		.amdhsa_user_sgpr_private_segment_buffer 1
		.amdhsa_user_sgpr_dispatch_ptr 0
		.amdhsa_user_sgpr_queue_ptr 0
		.amdhsa_user_sgpr_kernarg_segment_ptr 1
		.amdhsa_user_sgpr_dispatch_id 0
		.amdhsa_user_sgpr_flat_scratch_init 0
		.amdhsa_user_sgpr_kernarg_preload_length 0
		.amdhsa_user_sgpr_kernarg_preload_offset 0
		.amdhsa_user_sgpr_private_segment_size 0
		.amdhsa_uses_dynamic_stack 0
		.amdhsa_system_sgpr_private_segment_wavefront_offset 0
		.amdhsa_system_sgpr_workgroup_id_x 1
		.amdhsa_system_sgpr_workgroup_id_y 0
		.amdhsa_system_sgpr_workgroup_id_z 0
		.amdhsa_system_sgpr_workgroup_info 0
		.amdhsa_system_vgpr_workitem_id 0
		.amdhsa_next_free_vgpr 1
		.amdhsa_next_free_sgpr 0
		.amdhsa_accum_offset 4
		.amdhsa_reserve_vcc 0
		.amdhsa_reserve_flat_scratch 0
		.amdhsa_float_round_mode_32 0
		.amdhsa_float_round_mode_16_64 0
		.amdhsa_float_denorm_mode_32 3
		.amdhsa_float_denorm_mode_16_64 3
		.amdhsa_dx10_clamp 1
		.amdhsa_ieee_mode 1
		.amdhsa_fp16_overflow 0
		.amdhsa_tg_split 0
		.amdhsa_exception_fp_ieee_invalid_op 0
		.amdhsa_exception_fp_denorm_src 0
		.amdhsa_exception_fp_ieee_div_zero 0
		.amdhsa_exception_fp_ieee_overflow 0
		.amdhsa_exception_fp_ieee_underflow 0
		.amdhsa_exception_fp_ieee_inexact 0
		.amdhsa_exception_int_div_zero 0
	.end_amdhsa_kernel
	.section	.text._ZN7rocprim17ROCPRIM_400000_NS6detail17trampoline_kernelINS0_14default_configENS1_29reduce_by_key_config_selectorIffN6thrust23THRUST_200600_302600_NS4plusIfEEEEZZNS1_33reduce_by_key_impl_wrapped_configILNS1_25lookback_scan_determinismE1ES3_S9_NS6_6detail15normal_iteratorINS6_10device_ptrIfEEEESG_SG_SG_PmS8_NS6_8equal_toIfEEEE10hipError_tPvRmT2_T3_mT4_T5_T6_T7_T8_P12ihipStream_tbENKUlT_T0_E_clISt17integral_constantIbLb1EES11_EEDaSW_SX_EUlSW_E_NS1_11comp_targetILNS1_3genE2ELNS1_11target_archE906ELNS1_3gpuE6ELNS1_3repE0EEENS1_30default_config_static_selectorELNS0_4arch9wavefront6targetE1EEEvT1_,"axG",@progbits,_ZN7rocprim17ROCPRIM_400000_NS6detail17trampoline_kernelINS0_14default_configENS1_29reduce_by_key_config_selectorIffN6thrust23THRUST_200600_302600_NS4plusIfEEEEZZNS1_33reduce_by_key_impl_wrapped_configILNS1_25lookback_scan_determinismE1ES3_S9_NS6_6detail15normal_iteratorINS6_10device_ptrIfEEEESG_SG_SG_PmS8_NS6_8equal_toIfEEEE10hipError_tPvRmT2_T3_mT4_T5_T6_T7_T8_P12ihipStream_tbENKUlT_T0_E_clISt17integral_constantIbLb1EES11_EEDaSW_SX_EUlSW_E_NS1_11comp_targetILNS1_3genE2ELNS1_11target_archE906ELNS1_3gpuE6ELNS1_3repE0EEENS1_30default_config_static_selectorELNS0_4arch9wavefront6targetE1EEEvT1_,comdat
.Lfunc_end103:
	.size	_ZN7rocprim17ROCPRIM_400000_NS6detail17trampoline_kernelINS0_14default_configENS1_29reduce_by_key_config_selectorIffN6thrust23THRUST_200600_302600_NS4plusIfEEEEZZNS1_33reduce_by_key_impl_wrapped_configILNS1_25lookback_scan_determinismE1ES3_S9_NS6_6detail15normal_iteratorINS6_10device_ptrIfEEEESG_SG_SG_PmS8_NS6_8equal_toIfEEEE10hipError_tPvRmT2_T3_mT4_T5_T6_T7_T8_P12ihipStream_tbENKUlT_T0_E_clISt17integral_constantIbLb1EES11_EEDaSW_SX_EUlSW_E_NS1_11comp_targetILNS1_3genE2ELNS1_11target_archE906ELNS1_3gpuE6ELNS1_3repE0EEENS1_30default_config_static_selectorELNS0_4arch9wavefront6targetE1EEEvT1_, .Lfunc_end103-_ZN7rocprim17ROCPRIM_400000_NS6detail17trampoline_kernelINS0_14default_configENS1_29reduce_by_key_config_selectorIffN6thrust23THRUST_200600_302600_NS4plusIfEEEEZZNS1_33reduce_by_key_impl_wrapped_configILNS1_25lookback_scan_determinismE1ES3_S9_NS6_6detail15normal_iteratorINS6_10device_ptrIfEEEESG_SG_SG_PmS8_NS6_8equal_toIfEEEE10hipError_tPvRmT2_T3_mT4_T5_T6_T7_T8_P12ihipStream_tbENKUlT_T0_E_clISt17integral_constantIbLb1EES11_EEDaSW_SX_EUlSW_E_NS1_11comp_targetILNS1_3genE2ELNS1_11target_archE906ELNS1_3gpuE6ELNS1_3repE0EEENS1_30default_config_static_selectorELNS0_4arch9wavefront6targetE1EEEvT1_
                                        ; -- End function
	.section	.AMDGPU.csdata,"",@progbits
; Kernel info:
; codeLenInByte = 0
; NumSgprs: 4
; NumVgprs: 0
; NumAgprs: 0
; TotalNumVgprs: 0
; ScratchSize: 0
; MemoryBound: 0
; FloatMode: 240
; IeeeMode: 1
; LDSByteSize: 0 bytes/workgroup (compile time only)
; SGPRBlocks: 0
; VGPRBlocks: 0
; NumSGPRsForWavesPerEU: 4
; NumVGPRsForWavesPerEU: 1
; AccumOffset: 4
; Occupancy: 8
; WaveLimiterHint : 0
; COMPUTE_PGM_RSRC2:SCRATCH_EN: 0
; COMPUTE_PGM_RSRC2:USER_SGPR: 6
; COMPUTE_PGM_RSRC2:TRAP_HANDLER: 0
; COMPUTE_PGM_RSRC2:TGID_X_EN: 1
; COMPUTE_PGM_RSRC2:TGID_Y_EN: 0
; COMPUTE_PGM_RSRC2:TGID_Z_EN: 0
; COMPUTE_PGM_RSRC2:TIDIG_COMP_CNT: 0
; COMPUTE_PGM_RSRC3_GFX90A:ACCUM_OFFSET: 0
; COMPUTE_PGM_RSRC3_GFX90A:TG_SPLIT: 0
	.section	.text._ZN7rocprim17ROCPRIM_400000_NS6detail17trampoline_kernelINS0_14default_configENS1_29reduce_by_key_config_selectorIffN6thrust23THRUST_200600_302600_NS4plusIfEEEEZZNS1_33reduce_by_key_impl_wrapped_configILNS1_25lookback_scan_determinismE1ES3_S9_NS6_6detail15normal_iteratorINS6_10device_ptrIfEEEESG_SG_SG_PmS8_NS6_8equal_toIfEEEE10hipError_tPvRmT2_T3_mT4_T5_T6_T7_T8_P12ihipStream_tbENKUlT_T0_E_clISt17integral_constantIbLb1EES11_EEDaSW_SX_EUlSW_E_NS1_11comp_targetILNS1_3genE10ELNS1_11target_archE1201ELNS1_3gpuE5ELNS1_3repE0EEENS1_30default_config_static_selectorELNS0_4arch9wavefront6targetE1EEEvT1_,"axG",@progbits,_ZN7rocprim17ROCPRIM_400000_NS6detail17trampoline_kernelINS0_14default_configENS1_29reduce_by_key_config_selectorIffN6thrust23THRUST_200600_302600_NS4plusIfEEEEZZNS1_33reduce_by_key_impl_wrapped_configILNS1_25lookback_scan_determinismE1ES3_S9_NS6_6detail15normal_iteratorINS6_10device_ptrIfEEEESG_SG_SG_PmS8_NS6_8equal_toIfEEEE10hipError_tPvRmT2_T3_mT4_T5_T6_T7_T8_P12ihipStream_tbENKUlT_T0_E_clISt17integral_constantIbLb1EES11_EEDaSW_SX_EUlSW_E_NS1_11comp_targetILNS1_3genE10ELNS1_11target_archE1201ELNS1_3gpuE5ELNS1_3repE0EEENS1_30default_config_static_selectorELNS0_4arch9wavefront6targetE1EEEvT1_,comdat
	.protected	_ZN7rocprim17ROCPRIM_400000_NS6detail17trampoline_kernelINS0_14default_configENS1_29reduce_by_key_config_selectorIffN6thrust23THRUST_200600_302600_NS4plusIfEEEEZZNS1_33reduce_by_key_impl_wrapped_configILNS1_25lookback_scan_determinismE1ES3_S9_NS6_6detail15normal_iteratorINS6_10device_ptrIfEEEESG_SG_SG_PmS8_NS6_8equal_toIfEEEE10hipError_tPvRmT2_T3_mT4_T5_T6_T7_T8_P12ihipStream_tbENKUlT_T0_E_clISt17integral_constantIbLb1EES11_EEDaSW_SX_EUlSW_E_NS1_11comp_targetILNS1_3genE10ELNS1_11target_archE1201ELNS1_3gpuE5ELNS1_3repE0EEENS1_30default_config_static_selectorELNS0_4arch9wavefront6targetE1EEEvT1_ ; -- Begin function _ZN7rocprim17ROCPRIM_400000_NS6detail17trampoline_kernelINS0_14default_configENS1_29reduce_by_key_config_selectorIffN6thrust23THRUST_200600_302600_NS4plusIfEEEEZZNS1_33reduce_by_key_impl_wrapped_configILNS1_25lookback_scan_determinismE1ES3_S9_NS6_6detail15normal_iteratorINS6_10device_ptrIfEEEESG_SG_SG_PmS8_NS6_8equal_toIfEEEE10hipError_tPvRmT2_T3_mT4_T5_T6_T7_T8_P12ihipStream_tbENKUlT_T0_E_clISt17integral_constantIbLb1EES11_EEDaSW_SX_EUlSW_E_NS1_11comp_targetILNS1_3genE10ELNS1_11target_archE1201ELNS1_3gpuE5ELNS1_3repE0EEENS1_30default_config_static_selectorELNS0_4arch9wavefront6targetE1EEEvT1_
	.globl	_ZN7rocprim17ROCPRIM_400000_NS6detail17trampoline_kernelINS0_14default_configENS1_29reduce_by_key_config_selectorIffN6thrust23THRUST_200600_302600_NS4plusIfEEEEZZNS1_33reduce_by_key_impl_wrapped_configILNS1_25lookback_scan_determinismE1ES3_S9_NS6_6detail15normal_iteratorINS6_10device_ptrIfEEEESG_SG_SG_PmS8_NS6_8equal_toIfEEEE10hipError_tPvRmT2_T3_mT4_T5_T6_T7_T8_P12ihipStream_tbENKUlT_T0_E_clISt17integral_constantIbLb1EES11_EEDaSW_SX_EUlSW_E_NS1_11comp_targetILNS1_3genE10ELNS1_11target_archE1201ELNS1_3gpuE5ELNS1_3repE0EEENS1_30default_config_static_selectorELNS0_4arch9wavefront6targetE1EEEvT1_
	.p2align	8
	.type	_ZN7rocprim17ROCPRIM_400000_NS6detail17trampoline_kernelINS0_14default_configENS1_29reduce_by_key_config_selectorIffN6thrust23THRUST_200600_302600_NS4plusIfEEEEZZNS1_33reduce_by_key_impl_wrapped_configILNS1_25lookback_scan_determinismE1ES3_S9_NS6_6detail15normal_iteratorINS6_10device_ptrIfEEEESG_SG_SG_PmS8_NS6_8equal_toIfEEEE10hipError_tPvRmT2_T3_mT4_T5_T6_T7_T8_P12ihipStream_tbENKUlT_T0_E_clISt17integral_constantIbLb1EES11_EEDaSW_SX_EUlSW_E_NS1_11comp_targetILNS1_3genE10ELNS1_11target_archE1201ELNS1_3gpuE5ELNS1_3repE0EEENS1_30default_config_static_selectorELNS0_4arch9wavefront6targetE1EEEvT1_,@function
_ZN7rocprim17ROCPRIM_400000_NS6detail17trampoline_kernelINS0_14default_configENS1_29reduce_by_key_config_selectorIffN6thrust23THRUST_200600_302600_NS4plusIfEEEEZZNS1_33reduce_by_key_impl_wrapped_configILNS1_25lookback_scan_determinismE1ES3_S9_NS6_6detail15normal_iteratorINS6_10device_ptrIfEEEESG_SG_SG_PmS8_NS6_8equal_toIfEEEE10hipError_tPvRmT2_T3_mT4_T5_T6_T7_T8_P12ihipStream_tbENKUlT_T0_E_clISt17integral_constantIbLb1EES11_EEDaSW_SX_EUlSW_E_NS1_11comp_targetILNS1_3genE10ELNS1_11target_archE1201ELNS1_3gpuE5ELNS1_3repE0EEENS1_30default_config_static_selectorELNS0_4arch9wavefront6targetE1EEEvT1_: ; @_ZN7rocprim17ROCPRIM_400000_NS6detail17trampoline_kernelINS0_14default_configENS1_29reduce_by_key_config_selectorIffN6thrust23THRUST_200600_302600_NS4plusIfEEEEZZNS1_33reduce_by_key_impl_wrapped_configILNS1_25lookback_scan_determinismE1ES3_S9_NS6_6detail15normal_iteratorINS6_10device_ptrIfEEEESG_SG_SG_PmS8_NS6_8equal_toIfEEEE10hipError_tPvRmT2_T3_mT4_T5_T6_T7_T8_P12ihipStream_tbENKUlT_T0_E_clISt17integral_constantIbLb1EES11_EEDaSW_SX_EUlSW_E_NS1_11comp_targetILNS1_3genE10ELNS1_11target_archE1201ELNS1_3gpuE5ELNS1_3repE0EEENS1_30default_config_static_selectorELNS0_4arch9wavefront6targetE1EEEvT1_
; %bb.0:
	.section	.rodata,"a",@progbits
	.p2align	6, 0x0
	.amdhsa_kernel _ZN7rocprim17ROCPRIM_400000_NS6detail17trampoline_kernelINS0_14default_configENS1_29reduce_by_key_config_selectorIffN6thrust23THRUST_200600_302600_NS4plusIfEEEEZZNS1_33reduce_by_key_impl_wrapped_configILNS1_25lookback_scan_determinismE1ES3_S9_NS6_6detail15normal_iteratorINS6_10device_ptrIfEEEESG_SG_SG_PmS8_NS6_8equal_toIfEEEE10hipError_tPvRmT2_T3_mT4_T5_T6_T7_T8_P12ihipStream_tbENKUlT_T0_E_clISt17integral_constantIbLb1EES11_EEDaSW_SX_EUlSW_E_NS1_11comp_targetILNS1_3genE10ELNS1_11target_archE1201ELNS1_3gpuE5ELNS1_3repE0EEENS1_30default_config_static_selectorELNS0_4arch9wavefront6targetE1EEEvT1_
		.amdhsa_group_segment_fixed_size 0
		.amdhsa_private_segment_fixed_size 0
		.amdhsa_kernarg_size 120
		.amdhsa_user_sgpr_count 6
		.amdhsa_user_sgpr_private_segment_buffer 1
		.amdhsa_user_sgpr_dispatch_ptr 0
		.amdhsa_user_sgpr_queue_ptr 0
		.amdhsa_user_sgpr_kernarg_segment_ptr 1
		.amdhsa_user_sgpr_dispatch_id 0
		.amdhsa_user_sgpr_flat_scratch_init 0
		.amdhsa_user_sgpr_kernarg_preload_length 0
		.amdhsa_user_sgpr_kernarg_preload_offset 0
		.amdhsa_user_sgpr_private_segment_size 0
		.amdhsa_uses_dynamic_stack 0
		.amdhsa_system_sgpr_private_segment_wavefront_offset 0
		.amdhsa_system_sgpr_workgroup_id_x 1
		.amdhsa_system_sgpr_workgroup_id_y 0
		.amdhsa_system_sgpr_workgroup_id_z 0
		.amdhsa_system_sgpr_workgroup_info 0
		.amdhsa_system_vgpr_workitem_id 0
		.amdhsa_next_free_vgpr 1
		.amdhsa_next_free_sgpr 0
		.amdhsa_accum_offset 4
		.amdhsa_reserve_vcc 0
		.amdhsa_reserve_flat_scratch 0
		.amdhsa_float_round_mode_32 0
		.amdhsa_float_round_mode_16_64 0
		.amdhsa_float_denorm_mode_32 3
		.amdhsa_float_denorm_mode_16_64 3
		.amdhsa_dx10_clamp 1
		.amdhsa_ieee_mode 1
		.amdhsa_fp16_overflow 0
		.amdhsa_tg_split 0
		.amdhsa_exception_fp_ieee_invalid_op 0
		.amdhsa_exception_fp_denorm_src 0
		.amdhsa_exception_fp_ieee_div_zero 0
		.amdhsa_exception_fp_ieee_overflow 0
		.amdhsa_exception_fp_ieee_underflow 0
		.amdhsa_exception_fp_ieee_inexact 0
		.amdhsa_exception_int_div_zero 0
	.end_amdhsa_kernel
	.section	.text._ZN7rocprim17ROCPRIM_400000_NS6detail17trampoline_kernelINS0_14default_configENS1_29reduce_by_key_config_selectorIffN6thrust23THRUST_200600_302600_NS4plusIfEEEEZZNS1_33reduce_by_key_impl_wrapped_configILNS1_25lookback_scan_determinismE1ES3_S9_NS6_6detail15normal_iteratorINS6_10device_ptrIfEEEESG_SG_SG_PmS8_NS6_8equal_toIfEEEE10hipError_tPvRmT2_T3_mT4_T5_T6_T7_T8_P12ihipStream_tbENKUlT_T0_E_clISt17integral_constantIbLb1EES11_EEDaSW_SX_EUlSW_E_NS1_11comp_targetILNS1_3genE10ELNS1_11target_archE1201ELNS1_3gpuE5ELNS1_3repE0EEENS1_30default_config_static_selectorELNS0_4arch9wavefront6targetE1EEEvT1_,"axG",@progbits,_ZN7rocprim17ROCPRIM_400000_NS6detail17trampoline_kernelINS0_14default_configENS1_29reduce_by_key_config_selectorIffN6thrust23THRUST_200600_302600_NS4plusIfEEEEZZNS1_33reduce_by_key_impl_wrapped_configILNS1_25lookback_scan_determinismE1ES3_S9_NS6_6detail15normal_iteratorINS6_10device_ptrIfEEEESG_SG_SG_PmS8_NS6_8equal_toIfEEEE10hipError_tPvRmT2_T3_mT4_T5_T6_T7_T8_P12ihipStream_tbENKUlT_T0_E_clISt17integral_constantIbLb1EES11_EEDaSW_SX_EUlSW_E_NS1_11comp_targetILNS1_3genE10ELNS1_11target_archE1201ELNS1_3gpuE5ELNS1_3repE0EEENS1_30default_config_static_selectorELNS0_4arch9wavefront6targetE1EEEvT1_,comdat
.Lfunc_end104:
	.size	_ZN7rocprim17ROCPRIM_400000_NS6detail17trampoline_kernelINS0_14default_configENS1_29reduce_by_key_config_selectorIffN6thrust23THRUST_200600_302600_NS4plusIfEEEEZZNS1_33reduce_by_key_impl_wrapped_configILNS1_25lookback_scan_determinismE1ES3_S9_NS6_6detail15normal_iteratorINS6_10device_ptrIfEEEESG_SG_SG_PmS8_NS6_8equal_toIfEEEE10hipError_tPvRmT2_T3_mT4_T5_T6_T7_T8_P12ihipStream_tbENKUlT_T0_E_clISt17integral_constantIbLb1EES11_EEDaSW_SX_EUlSW_E_NS1_11comp_targetILNS1_3genE10ELNS1_11target_archE1201ELNS1_3gpuE5ELNS1_3repE0EEENS1_30default_config_static_selectorELNS0_4arch9wavefront6targetE1EEEvT1_, .Lfunc_end104-_ZN7rocprim17ROCPRIM_400000_NS6detail17trampoline_kernelINS0_14default_configENS1_29reduce_by_key_config_selectorIffN6thrust23THRUST_200600_302600_NS4plusIfEEEEZZNS1_33reduce_by_key_impl_wrapped_configILNS1_25lookback_scan_determinismE1ES3_S9_NS6_6detail15normal_iteratorINS6_10device_ptrIfEEEESG_SG_SG_PmS8_NS6_8equal_toIfEEEE10hipError_tPvRmT2_T3_mT4_T5_T6_T7_T8_P12ihipStream_tbENKUlT_T0_E_clISt17integral_constantIbLb1EES11_EEDaSW_SX_EUlSW_E_NS1_11comp_targetILNS1_3genE10ELNS1_11target_archE1201ELNS1_3gpuE5ELNS1_3repE0EEENS1_30default_config_static_selectorELNS0_4arch9wavefront6targetE1EEEvT1_
                                        ; -- End function
	.section	.AMDGPU.csdata,"",@progbits
; Kernel info:
; codeLenInByte = 0
; NumSgprs: 4
; NumVgprs: 0
; NumAgprs: 0
; TotalNumVgprs: 0
; ScratchSize: 0
; MemoryBound: 0
; FloatMode: 240
; IeeeMode: 1
; LDSByteSize: 0 bytes/workgroup (compile time only)
; SGPRBlocks: 0
; VGPRBlocks: 0
; NumSGPRsForWavesPerEU: 4
; NumVGPRsForWavesPerEU: 1
; AccumOffset: 4
; Occupancy: 8
; WaveLimiterHint : 0
; COMPUTE_PGM_RSRC2:SCRATCH_EN: 0
; COMPUTE_PGM_RSRC2:USER_SGPR: 6
; COMPUTE_PGM_RSRC2:TRAP_HANDLER: 0
; COMPUTE_PGM_RSRC2:TGID_X_EN: 1
; COMPUTE_PGM_RSRC2:TGID_Y_EN: 0
; COMPUTE_PGM_RSRC2:TGID_Z_EN: 0
; COMPUTE_PGM_RSRC2:TIDIG_COMP_CNT: 0
; COMPUTE_PGM_RSRC3_GFX90A:ACCUM_OFFSET: 0
; COMPUTE_PGM_RSRC3_GFX90A:TG_SPLIT: 0
	.section	.text._ZN7rocprim17ROCPRIM_400000_NS6detail17trampoline_kernelINS0_14default_configENS1_29reduce_by_key_config_selectorIffN6thrust23THRUST_200600_302600_NS4plusIfEEEEZZNS1_33reduce_by_key_impl_wrapped_configILNS1_25lookback_scan_determinismE1ES3_S9_NS6_6detail15normal_iteratorINS6_10device_ptrIfEEEESG_SG_SG_PmS8_NS6_8equal_toIfEEEE10hipError_tPvRmT2_T3_mT4_T5_T6_T7_T8_P12ihipStream_tbENKUlT_T0_E_clISt17integral_constantIbLb1EES11_EEDaSW_SX_EUlSW_E_NS1_11comp_targetILNS1_3genE10ELNS1_11target_archE1200ELNS1_3gpuE4ELNS1_3repE0EEENS1_30default_config_static_selectorELNS0_4arch9wavefront6targetE1EEEvT1_,"axG",@progbits,_ZN7rocprim17ROCPRIM_400000_NS6detail17trampoline_kernelINS0_14default_configENS1_29reduce_by_key_config_selectorIffN6thrust23THRUST_200600_302600_NS4plusIfEEEEZZNS1_33reduce_by_key_impl_wrapped_configILNS1_25lookback_scan_determinismE1ES3_S9_NS6_6detail15normal_iteratorINS6_10device_ptrIfEEEESG_SG_SG_PmS8_NS6_8equal_toIfEEEE10hipError_tPvRmT2_T3_mT4_T5_T6_T7_T8_P12ihipStream_tbENKUlT_T0_E_clISt17integral_constantIbLb1EES11_EEDaSW_SX_EUlSW_E_NS1_11comp_targetILNS1_3genE10ELNS1_11target_archE1200ELNS1_3gpuE4ELNS1_3repE0EEENS1_30default_config_static_selectorELNS0_4arch9wavefront6targetE1EEEvT1_,comdat
	.protected	_ZN7rocprim17ROCPRIM_400000_NS6detail17trampoline_kernelINS0_14default_configENS1_29reduce_by_key_config_selectorIffN6thrust23THRUST_200600_302600_NS4plusIfEEEEZZNS1_33reduce_by_key_impl_wrapped_configILNS1_25lookback_scan_determinismE1ES3_S9_NS6_6detail15normal_iteratorINS6_10device_ptrIfEEEESG_SG_SG_PmS8_NS6_8equal_toIfEEEE10hipError_tPvRmT2_T3_mT4_T5_T6_T7_T8_P12ihipStream_tbENKUlT_T0_E_clISt17integral_constantIbLb1EES11_EEDaSW_SX_EUlSW_E_NS1_11comp_targetILNS1_3genE10ELNS1_11target_archE1200ELNS1_3gpuE4ELNS1_3repE0EEENS1_30default_config_static_selectorELNS0_4arch9wavefront6targetE1EEEvT1_ ; -- Begin function _ZN7rocprim17ROCPRIM_400000_NS6detail17trampoline_kernelINS0_14default_configENS1_29reduce_by_key_config_selectorIffN6thrust23THRUST_200600_302600_NS4plusIfEEEEZZNS1_33reduce_by_key_impl_wrapped_configILNS1_25lookback_scan_determinismE1ES3_S9_NS6_6detail15normal_iteratorINS6_10device_ptrIfEEEESG_SG_SG_PmS8_NS6_8equal_toIfEEEE10hipError_tPvRmT2_T3_mT4_T5_T6_T7_T8_P12ihipStream_tbENKUlT_T0_E_clISt17integral_constantIbLb1EES11_EEDaSW_SX_EUlSW_E_NS1_11comp_targetILNS1_3genE10ELNS1_11target_archE1200ELNS1_3gpuE4ELNS1_3repE0EEENS1_30default_config_static_selectorELNS0_4arch9wavefront6targetE1EEEvT1_
	.globl	_ZN7rocprim17ROCPRIM_400000_NS6detail17trampoline_kernelINS0_14default_configENS1_29reduce_by_key_config_selectorIffN6thrust23THRUST_200600_302600_NS4plusIfEEEEZZNS1_33reduce_by_key_impl_wrapped_configILNS1_25lookback_scan_determinismE1ES3_S9_NS6_6detail15normal_iteratorINS6_10device_ptrIfEEEESG_SG_SG_PmS8_NS6_8equal_toIfEEEE10hipError_tPvRmT2_T3_mT4_T5_T6_T7_T8_P12ihipStream_tbENKUlT_T0_E_clISt17integral_constantIbLb1EES11_EEDaSW_SX_EUlSW_E_NS1_11comp_targetILNS1_3genE10ELNS1_11target_archE1200ELNS1_3gpuE4ELNS1_3repE0EEENS1_30default_config_static_selectorELNS0_4arch9wavefront6targetE1EEEvT1_
	.p2align	8
	.type	_ZN7rocprim17ROCPRIM_400000_NS6detail17trampoline_kernelINS0_14default_configENS1_29reduce_by_key_config_selectorIffN6thrust23THRUST_200600_302600_NS4plusIfEEEEZZNS1_33reduce_by_key_impl_wrapped_configILNS1_25lookback_scan_determinismE1ES3_S9_NS6_6detail15normal_iteratorINS6_10device_ptrIfEEEESG_SG_SG_PmS8_NS6_8equal_toIfEEEE10hipError_tPvRmT2_T3_mT4_T5_T6_T7_T8_P12ihipStream_tbENKUlT_T0_E_clISt17integral_constantIbLb1EES11_EEDaSW_SX_EUlSW_E_NS1_11comp_targetILNS1_3genE10ELNS1_11target_archE1200ELNS1_3gpuE4ELNS1_3repE0EEENS1_30default_config_static_selectorELNS0_4arch9wavefront6targetE1EEEvT1_,@function
_ZN7rocprim17ROCPRIM_400000_NS6detail17trampoline_kernelINS0_14default_configENS1_29reduce_by_key_config_selectorIffN6thrust23THRUST_200600_302600_NS4plusIfEEEEZZNS1_33reduce_by_key_impl_wrapped_configILNS1_25lookback_scan_determinismE1ES3_S9_NS6_6detail15normal_iteratorINS6_10device_ptrIfEEEESG_SG_SG_PmS8_NS6_8equal_toIfEEEE10hipError_tPvRmT2_T3_mT4_T5_T6_T7_T8_P12ihipStream_tbENKUlT_T0_E_clISt17integral_constantIbLb1EES11_EEDaSW_SX_EUlSW_E_NS1_11comp_targetILNS1_3genE10ELNS1_11target_archE1200ELNS1_3gpuE4ELNS1_3repE0EEENS1_30default_config_static_selectorELNS0_4arch9wavefront6targetE1EEEvT1_: ; @_ZN7rocprim17ROCPRIM_400000_NS6detail17trampoline_kernelINS0_14default_configENS1_29reduce_by_key_config_selectorIffN6thrust23THRUST_200600_302600_NS4plusIfEEEEZZNS1_33reduce_by_key_impl_wrapped_configILNS1_25lookback_scan_determinismE1ES3_S9_NS6_6detail15normal_iteratorINS6_10device_ptrIfEEEESG_SG_SG_PmS8_NS6_8equal_toIfEEEE10hipError_tPvRmT2_T3_mT4_T5_T6_T7_T8_P12ihipStream_tbENKUlT_T0_E_clISt17integral_constantIbLb1EES11_EEDaSW_SX_EUlSW_E_NS1_11comp_targetILNS1_3genE10ELNS1_11target_archE1200ELNS1_3gpuE4ELNS1_3repE0EEENS1_30default_config_static_selectorELNS0_4arch9wavefront6targetE1EEEvT1_
; %bb.0:
	.section	.rodata,"a",@progbits
	.p2align	6, 0x0
	.amdhsa_kernel _ZN7rocprim17ROCPRIM_400000_NS6detail17trampoline_kernelINS0_14default_configENS1_29reduce_by_key_config_selectorIffN6thrust23THRUST_200600_302600_NS4plusIfEEEEZZNS1_33reduce_by_key_impl_wrapped_configILNS1_25lookback_scan_determinismE1ES3_S9_NS6_6detail15normal_iteratorINS6_10device_ptrIfEEEESG_SG_SG_PmS8_NS6_8equal_toIfEEEE10hipError_tPvRmT2_T3_mT4_T5_T6_T7_T8_P12ihipStream_tbENKUlT_T0_E_clISt17integral_constantIbLb1EES11_EEDaSW_SX_EUlSW_E_NS1_11comp_targetILNS1_3genE10ELNS1_11target_archE1200ELNS1_3gpuE4ELNS1_3repE0EEENS1_30default_config_static_selectorELNS0_4arch9wavefront6targetE1EEEvT1_
		.amdhsa_group_segment_fixed_size 0
		.amdhsa_private_segment_fixed_size 0
		.amdhsa_kernarg_size 120
		.amdhsa_user_sgpr_count 6
		.amdhsa_user_sgpr_private_segment_buffer 1
		.amdhsa_user_sgpr_dispatch_ptr 0
		.amdhsa_user_sgpr_queue_ptr 0
		.amdhsa_user_sgpr_kernarg_segment_ptr 1
		.amdhsa_user_sgpr_dispatch_id 0
		.amdhsa_user_sgpr_flat_scratch_init 0
		.amdhsa_user_sgpr_kernarg_preload_length 0
		.amdhsa_user_sgpr_kernarg_preload_offset 0
		.amdhsa_user_sgpr_private_segment_size 0
		.amdhsa_uses_dynamic_stack 0
		.amdhsa_system_sgpr_private_segment_wavefront_offset 0
		.amdhsa_system_sgpr_workgroup_id_x 1
		.amdhsa_system_sgpr_workgroup_id_y 0
		.amdhsa_system_sgpr_workgroup_id_z 0
		.amdhsa_system_sgpr_workgroup_info 0
		.amdhsa_system_vgpr_workitem_id 0
		.amdhsa_next_free_vgpr 1
		.amdhsa_next_free_sgpr 0
		.amdhsa_accum_offset 4
		.amdhsa_reserve_vcc 0
		.amdhsa_reserve_flat_scratch 0
		.amdhsa_float_round_mode_32 0
		.amdhsa_float_round_mode_16_64 0
		.amdhsa_float_denorm_mode_32 3
		.amdhsa_float_denorm_mode_16_64 3
		.amdhsa_dx10_clamp 1
		.amdhsa_ieee_mode 1
		.amdhsa_fp16_overflow 0
		.amdhsa_tg_split 0
		.amdhsa_exception_fp_ieee_invalid_op 0
		.amdhsa_exception_fp_denorm_src 0
		.amdhsa_exception_fp_ieee_div_zero 0
		.amdhsa_exception_fp_ieee_overflow 0
		.amdhsa_exception_fp_ieee_underflow 0
		.amdhsa_exception_fp_ieee_inexact 0
		.amdhsa_exception_int_div_zero 0
	.end_amdhsa_kernel
	.section	.text._ZN7rocprim17ROCPRIM_400000_NS6detail17trampoline_kernelINS0_14default_configENS1_29reduce_by_key_config_selectorIffN6thrust23THRUST_200600_302600_NS4plusIfEEEEZZNS1_33reduce_by_key_impl_wrapped_configILNS1_25lookback_scan_determinismE1ES3_S9_NS6_6detail15normal_iteratorINS6_10device_ptrIfEEEESG_SG_SG_PmS8_NS6_8equal_toIfEEEE10hipError_tPvRmT2_T3_mT4_T5_T6_T7_T8_P12ihipStream_tbENKUlT_T0_E_clISt17integral_constantIbLb1EES11_EEDaSW_SX_EUlSW_E_NS1_11comp_targetILNS1_3genE10ELNS1_11target_archE1200ELNS1_3gpuE4ELNS1_3repE0EEENS1_30default_config_static_selectorELNS0_4arch9wavefront6targetE1EEEvT1_,"axG",@progbits,_ZN7rocprim17ROCPRIM_400000_NS6detail17trampoline_kernelINS0_14default_configENS1_29reduce_by_key_config_selectorIffN6thrust23THRUST_200600_302600_NS4plusIfEEEEZZNS1_33reduce_by_key_impl_wrapped_configILNS1_25lookback_scan_determinismE1ES3_S9_NS6_6detail15normal_iteratorINS6_10device_ptrIfEEEESG_SG_SG_PmS8_NS6_8equal_toIfEEEE10hipError_tPvRmT2_T3_mT4_T5_T6_T7_T8_P12ihipStream_tbENKUlT_T0_E_clISt17integral_constantIbLb1EES11_EEDaSW_SX_EUlSW_E_NS1_11comp_targetILNS1_3genE10ELNS1_11target_archE1200ELNS1_3gpuE4ELNS1_3repE0EEENS1_30default_config_static_selectorELNS0_4arch9wavefront6targetE1EEEvT1_,comdat
.Lfunc_end105:
	.size	_ZN7rocprim17ROCPRIM_400000_NS6detail17trampoline_kernelINS0_14default_configENS1_29reduce_by_key_config_selectorIffN6thrust23THRUST_200600_302600_NS4plusIfEEEEZZNS1_33reduce_by_key_impl_wrapped_configILNS1_25lookback_scan_determinismE1ES3_S9_NS6_6detail15normal_iteratorINS6_10device_ptrIfEEEESG_SG_SG_PmS8_NS6_8equal_toIfEEEE10hipError_tPvRmT2_T3_mT4_T5_T6_T7_T8_P12ihipStream_tbENKUlT_T0_E_clISt17integral_constantIbLb1EES11_EEDaSW_SX_EUlSW_E_NS1_11comp_targetILNS1_3genE10ELNS1_11target_archE1200ELNS1_3gpuE4ELNS1_3repE0EEENS1_30default_config_static_selectorELNS0_4arch9wavefront6targetE1EEEvT1_, .Lfunc_end105-_ZN7rocprim17ROCPRIM_400000_NS6detail17trampoline_kernelINS0_14default_configENS1_29reduce_by_key_config_selectorIffN6thrust23THRUST_200600_302600_NS4plusIfEEEEZZNS1_33reduce_by_key_impl_wrapped_configILNS1_25lookback_scan_determinismE1ES3_S9_NS6_6detail15normal_iteratorINS6_10device_ptrIfEEEESG_SG_SG_PmS8_NS6_8equal_toIfEEEE10hipError_tPvRmT2_T3_mT4_T5_T6_T7_T8_P12ihipStream_tbENKUlT_T0_E_clISt17integral_constantIbLb1EES11_EEDaSW_SX_EUlSW_E_NS1_11comp_targetILNS1_3genE10ELNS1_11target_archE1200ELNS1_3gpuE4ELNS1_3repE0EEENS1_30default_config_static_selectorELNS0_4arch9wavefront6targetE1EEEvT1_
                                        ; -- End function
	.section	.AMDGPU.csdata,"",@progbits
; Kernel info:
; codeLenInByte = 0
; NumSgprs: 4
; NumVgprs: 0
; NumAgprs: 0
; TotalNumVgprs: 0
; ScratchSize: 0
; MemoryBound: 0
; FloatMode: 240
; IeeeMode: 1
; LDSByteSize: 0 bytes/workgroup (compile time only)
; SGPRBlocks: 0
; VGPRBlocks: 0
; NumSGPRsForWavesPerEU: 4
; NumVGPRsForWavesPerEU: 1
; AccumOffset: 4
; Occupancy: 8
; WaveLimiterHint : 0
; COMPUTE_PGM_RSRC2:SCRATCH_EN: 0
; COMPUTE_PGM_RSRC2:USER_SGPR: 6
; COMPUTE_PGM_RSRC2:TRAP_HANDLER: 0
; COMPUTE_PGM_RSRC2:TGID_X_EN: 1
; COMPUTE_PGM_RSRC2:TGID_Y_EN: 0
; COMPUTE_PGM_RSRC2:TGID_Z_EN: 0
; COMPUTE_PGM_RSRC2:TIDIG_COMP_CNT: 0
; COMPUTE_PGM_RSRC3_GFX90A:ACCUM_OFFSET: 0
; COMPUTE_PGM_RSRC3_GFX90A:TG_SPLIT: 0
	.section	.text._ZN7rocprim17ROCPRIM_400000_NS6detail17trampoline_kernelINS0_14default_configENS1_29reduce_by_key_config_selectorIffN6thrust23THRUST_200600_302600_NS4plusIfEEEEZZNS1_33reduce_by_key_impl_wrapped_configILNS1_25lookback_scan_determinismE1ES3_S9_NS6_6detail15normal_iteratorINS6_10device_ptrIfEEEESG_SG_SG_PmS8_NS6_8equal_toIfEEEE10hipError_tPvRmT2_T3_mT4_T5_T6_T7_T8_P12ihipStream_tbENKUlT_T0_E_clISt17integral_constantIbLb1EES11_EEDaSW_SX_EUlSW_E_NS1_11comp_targetILNS1_3genE9ELNS1_11target_archE1100ELNS1_3gpuE3ELNS1_3repE0EEENS1_30default_config_static_selectorELNS0_4arch9wavefront6targetE1EEEvT1_,"axG",@progbits,_ZN7rocprim17ROCPRIM_400000_NS6detail17trampoline_kernelINS0_14default_configENS1_29reduce_by_key_config_selectorIffN6thrust23THRUST_200600_302600_NS4plusIfEEEEZZNS1_33reduce_by_key_impl_wrapped_configILNS1_25lookback_scan_determinismE1ES3_S9_NS6_6detail15normal_iteratorINS6_10device_ptrIfEEEESG_SG_SG_PmS8_NS6_8equal_toIfEEEE10hipError_tPvRmT2_T3_mT4_T5_T6_T7_T8_P12ihipStream_tbENKUlT_T0_E_clISt17integral_constantIbLb1EES11_EEDaSW_SX_EUlSW_E_NS1_11comp_targetILNS1_3genE9ELNS1_11target_archE1100ELNS1_3gpuE3ELNS1_3repE0EEENS1_30default_config_static_selectorELNS0_4arch9wavefront6targetE1EEEvT1_,comdat
	.protected	_ZN7rocprim17ROCPRIM_400000_NS6detail17trampoline_kernelINS0_14default_configENS1_29reduce_by_key_config_selectorIffN6thrust23THRUST_200600_302600_NS4plusIfEEEEZZNS1_33reduce_by_key_impl_wrapped_configILNS1_25lookback_scan_determinismE1ES3_S9_NS6_6detail15normal_iteratorINS6_10device_ptrIfEEEESG_SG_SG_PmS8_NS6_8equal_toIfEEEE10hipError_tPvRmT2_T3_mT4_T5_T6_T7_T8_P12ihipStream_tbENKUlT_T0_E_clISt17integral_constantIbLb1EES11_EEDaSW_SX_EUlSW_E_NS1_11comp_targetILNS1_3genE9ELNS1_11target_archE1100ELNS1_3gpuE3ELNS1_3repE0EEENS1_30default_config_static_selectorELNS0_4arch9wavefront6targetE1EEEvT1_ ; -- Begin function _ZN7rocprim17ROCPRIM_400000_NS6detail17trampoline_kernelINS0_14default_configENS1_29reduce_by_key_config_selectorIffN6thrust23THRUST_200600_302600_NS4plusIfEEEEZZNS1_33reduce_by_key_impl_wrapped_configILNS1_25lookback_scan_determinismE1ES3_S9_NS6_6detail15normal_iteratorINS6_10device_ptrIfEEEESG_SG_SG_PmS8_NS6_8equal_toIfEEEE10hipError_tPvRmT2_T3_mT4_T5_T6_T7_T8_P12ihipStream_tbENKUlT_T0_E_clISt17integral_constantIbLb1EES11_EEDaSW_SX_EUlSW_E_NS1_11comp_targetILNS1_3genE9ELNS1_11target_archE1100ELNS1_3gpuE3ELNS1_3repE0EEENS1_30default_config_static_selectorELNS0_4arch9wavefront6targetE1EEEvT1_
	.globl	_ZN7rocprim17ROCPRIM_400000_NS6detail17trampoline_kernelINS0_14default_configENS1_29reduce_by_key_config_selectorIffN6thrust23THRUST_200600_302600_NS4plusIfEEEEZZNS1_33reduce_by_key_impl_wrapped_configILNS1_25lookback_scan_determinismE1ES3_S9_NS6_6detail15normal_iteratorINS6_10device_ptrIfEEEESG_SG_SG_PmS8_NS6_8equal_toIfEEEE10hipError_tPvRmT2_T3_mT4_T5_T6_T7_T8_P12ihipStream_tbENKUlT_T0_E_clISt17integral_constantIbLb1EES11_EEDaSW_SX_EUlSW_E_NS1_11comp_targetILNS1_3genE9ELNS1_11target_archE1100ELNS1_3gpuE3ELNS1_3repE0EEENS1_30default_config_static_selectorELNS0_4arch9wavefront6targetE1EEEvT1_
	.p2align	8
	.type	_ZN7rocprim17ROCPRIM_400000_NS6detail17trampoline_kernelINS0_14default_configENS1_29reduce_by_key_config_selectorIffN6thrust23THRUST_200600_302600_NS4plusIfEEEEZZNS1_33reduce_by_key_impl_wrapped_configILNS1_25lookback_scan_determinismE1ES3_S9_NS6_6detail15normal_iteratorINS6_10device_ptrIfEEEESG_SG_SG_PmS8_NS6_8equal_toIfEEEE10hipError_tPvRmT2_T3_mT4_T5_T6_T7_T8_P12ihipStream_tbENKUlT_T0_E_clISt17integral_constantIbLb1EES11_EEDaSW_SX_EUlSW_E_NS1_11comp_targetILNS1_3genE9ELNS1_11target_archE1100ELNS1_3gpuE3ELNS1_3repE0EEENS1_30default_config_static_selectorELNS0_4arch9wavefront6targetE1EEEvT1_,@function
_ZN7rocprim17ROCPRIM_400000_NS6detail17trampoline_kernelINS0_14default_configENS1_29reduce_by_key_config_selectorIffN6thrust23THRUST_200600_302600_NS4plusIfEEEEZZNS1_33reduce_by_key_impl_wrapped_configILNS1_25lookback_scan_determinismE1ES3_S9_NS6_6detail15normal_iteratorINS6_10device_ptrIfEEEESG_SG_SG_PmS8_NS6_8equal_toIfEEEE10hipError_tPvRmT2_T3_mT4_T5_T6_T7_T8_P12ihipStream_tbENKUlT_T0_E_clISt17integral_constantIbLb1EES11_EEDaSW_SX_EUlSW_E_NS1_11comp_targetILNS1_3genE9ELNS1_11target_archE1100ELNS1_3gpuE3ELNS1_3repE0EEENS1_30default_config_static_selectorELNS0_4arch9wavefront6targetE1EEEvT1_: ; @_ZN7rocprim17ROCPRIM_400000_NS6detail17trampoline_kernelINS0_14default_configENS1_29reduce_by_key_config_selectorIffN6thrust23THRUST_200600_302600_NS4plusIfEEEEZZNS1_33reduce_by_key_impl_wrapped_configILNS1_25lookback_scan_determinismE1ES3_S9_NS6_6detail15normal_iteratorINS6_10device_ptrIfEEEESG_SG_SG_PmS8_NS6_8equal_toIfEEEE10hipError_tPvRmT2_T3_mT4_T5_T6_T7_T8_P12ihipStream_tbENKUlT_T0_E_clISt17integral_constantIbLb1EES11_EEDaSW_SX_EUlSW_E_NS1_11comp_targetILNS1_3genE9ELNS1_11target_archE1100ELNS1_3gpuE3ELNS1_3repE0EEENS1_30default_config_static_selectorELNS0_4arch9wavefront6targetE1EEEvT1_
; %bb.0:
	.section	.rodata,"a",@progbits
	.p2align	6, 0x0
	.amdhsa_kernel _ZN7rocprim17ROCPRIM_400000_NS6detail17trampoline_kernelINS0_14default_configENS1_29reduce_by_key_config_selectorIffN6thrust23THRUST_200600_302600_NS4plusIfEEEEZZNS1_33reduce_by_key_impl_wrapped_configILNS1_25lookback_scan_determinismE1ES3_S9_NS6_6detail15normal_iteratorINS6_10device_ptrIfEEEESG_SG_SG_PmS8_NS6_8equal_toIfEEEE10hipError_tPvRmT2_T3_mT4_T5_T6_T7_T8_P12ihipStream_tbENKUlT_T0_E_clISt17integral_constantIbLb1EES11_EEDaSW_SX_EUlSW_E_NS1_11comp_targetILNS1_3genE9ELNS1_11target_archE1100ELNS1_3gpuE3ELNS1_3repE0EEENS1_30default_config_static_selectorELNS0_4arch9wavefront6targetE1EEEvT1_
		.amdhsa_group_segment_fixed_size 0
		.amdhsa_private_segment_fixed_size 0
		.amdhsa_kernarg_size 120
		.amdhsa_user_sgpr_count 6
		.amdhsa_user_sgpr_private_segment_buffer 1
		.amdhsa_user_sgpr_dispatch_ptr 0
		.amdhsa_user_sgpr_queue_ptr 0
		.amdhsa_user_sgpr_kernarg_segment_ptr 1
		.amdhsa_user_sgpr_dispatch_id 0
		.amdhsa_user_sgpr_flat_scratch_init 0
		.amdhsa_user_sgpr_kernarg_preload_length 0
		.amdhsa_user_sgpr_kernarg_preload_offset 0
		.amdhsa_user_sgpr_private_segment_size 0
		.amdhsa_uses_dynamic_stack 0
		.amdhsa_system_sgpr_private_segment_wavefront_offset 0
		.amdhsa_system_sgpr_workgroup_id_x 1
		.amdhsa_system_sgpr_workgroup_id_y 0
		.amdhsa_system_sgpr_workgroup_id_z 0
		.amdhsa_system_sgpr_workgroup_info 0
		.amdhsa_system_vgpr_workitem_id 0
		.amdhsa_next_free_vgpr 1
		.amdhsa_next_free_sgpr 0
		.amdhsa_accum_offset 4
		.amdhsa_reserve_vcc 0
		.amdhsa_reserve_flat_scratch 0
		.amdhsa_float_round_mode_32 0
		.amdhsa_float_round_mode_16_64 0
		.amdhsa_float_denorm_mode_32 3
		.amdhsa_float_denorm_mode_16_64 3
		.amdhsa_dx10_clamp 1
		.amdhsa_ieee_mode 1
		.amdhsa_fp16_overflow 0
		.amdhsa_tg_split 0
		.amdhsa_exception_fp_ieee_invalid_op 0
		.amdhsa_exception_fp_denorm_src 0
		.amdhsa_exception_fp_ieee_div_zero 0
		.amdhsa_exception_fp_ieee_overflow 0
		.amdhsa_exception_fp_ieee_underflow 0
		.amdhsa_exception_fp_ieee_inexact 0
		.amdhsa_exception_int_div_zero 0
	.end_amdhsa_kernel
	.section	.text._ZN7rocprim17ROCPRIM_400000_NS6detail17trampoline_kernelINS0_14default_configENS1_29reduce_by_key_config_selectorIffN6thrust23THRUST_200600_302600_NS4plusIfEEEEZZNS1_33reduce_by_key_impl_wrapped_configILNS1_25lookback_scan_determinismE1ES3_S9_NS6_6detail15normal_iteratorINS6_10device_ptrIfEEEESG_SG_SG_PmS8_NS6_8equal_toIfEEEE10hipError_tPvRmT2_T3_mT4_T5_T6_T7_T8_P12ihipStream_tbENKUlT_T0_E_clISt17integral_constantIbLb1EES11_EEDaSW_SX_EUlSW_E_NS1_11comp_targetILNS1_3genE9ELNS1_11target_archE1100ELNS1_3gpuE3ELNS1_3repE0EEENS1_30default_config_static_selectorELNS0_4arch9wavefront6targetE1EEEvT1_,"axG",@progbits,_ZN7rocprim17ROCPRIM_400000_NS6detail17trampoline_kernelINS0_14default_configENS1_29reduce_by_key_config_selectorIffN6thrust23THRUST_200600_302600_NS4plusIfEEEEZZNS1_33reduce_by_key_impl_wrapped_configILNS1_25lookback_scan_determinismE1ES3_S9_NS6_6detail15normal_iteratorINS6_10device_ptrIfEEEESG_SG_SG_PmS8_NS6_8equal_toIfEEEE10hipError_tPvRmT2_T3_mT4_T5_T6_T7_T8_P12ihipStream_tbENKUlT_T0_E_clISt17integral_constantIbLb1EES11_EEDaSW_SX_EUlSW_E_NS1_11comp_targetILNS1_3genE9ELNS1_11target_archE1100ELNS1_3gpuE3ELNS1_3repE0EEENS1_30default_config_static_selectorELNS0_4arch9wavefront6targetE1EEEvT1_,comdat
.Lfunc_end106:
	.size	_ZN7rocprim17ROCPRIM_400000_NS6detail17trampoline_kernelINS0_14default_configENS1_29reduce_by_key_config_selectorIffN6thrust23THRUST_200600_302600_NS4plusIfEEEEZZNS1_33reduce_by_key_impl_wrapped_configILNS1_25lookback_scan_determinismE1ES3_S9_NS6_6detail15normal_iteratorINS6_10device_ptrIfEEEESG_SG_SG_PmS8_NS6_8equal_toIfEEEE10hipError_tPvRmT2_T3_mT4_T5_T6_T7_T8_P12ihipStream_tbENKUlT_T0_E_clISt17integral_constantIbLb1EES11_EEDaSW_SX_EUlSW_E_NS1_11comp_targetILNS1_3genE9ELNS1_11target_archE1100ELNS1_3gpuE3ELNS1_3repE0EEENS1_30default_config_static_selectorELNS0_4arch9wavefront6targetE1EEEvT1_, .Lfunc_end106-_ZN7rocprim17ROCPRIM_400000_NS6detail17trampoline_kernelINS0_14default_configENS1_29reduce_by_key_config_selectorIffN6thrust23THRUST_200600_302600_NS4plusIfEEEEZZNS1_33reduce_by_key_impl_wrapped_configILNS1_25lookback_scan_determinismE1ES3_S9_NS6_6detail15normal_iteratorINS6_10device_ptrIfEEEESG_SG_SG_PmS8_NS6_8equal_toIfEEEE10hipError_tPvRmT2_T3_mT4_T5_T6_T7_T8_P12ihipStream_tbENKUlT_T0_E_clISt17integral_constantIbLb1EES11_EEDaSW_SX_EUlSW_E_NS1_11comp_targetILNS1_3genE9ELNS1_11target_archE1100ELNS1_3gpuE3ELNS1_3repE0EEENS1_30default_config_static_selectorELNS0_4arch9wavefront6targetE1EEEvT1_
                                        ; -- End function
	.section	.AMDGPU.csdata,"",@progbits
; Kernel info:
; codeLenInByte = 0
; NumSgprs: 4
; NumVgprs: 0
; NumAgprs: 0
; TotalNumVgprs: 0
; ScratchSize: 0
; MemoryBound: 0
; FloatMode: 240
; IeeeMode: 1
; LDSByteSize: 0 bytes/workgroup (compile time only)
; SGPRBlocks: 0
; VGPRBlocks: 0
; NumSGPRsForWavesPerEU: 4
; NumVGPRsForWavesPerEU: 1
; AccumOffset: 4
; Occupancy: 8
; WaveLimiterHint : 0
; COMPUTE_PGM_RSRC2:SCRATCH_EN: 0
; COMPUTE_PGM_RSRC2:USER_SGPR: 6
; COMPUTE_PGM_RSRC2:TRAP_HANDLER: 0
; COMPUTE_PGM_RSRC2:TGID_X_EN: 1
; COMPUTE_PGM_RSRC2:TGID_Y_EN: 0
; COMPUTE_PGM_RSRC2:TGID_Z_EN: 0
; COMPUTE_PGM_RSRC2:TIDIG_COMP_CNT: 0
; COMPUTE_PGM_RSRC3_GFX90A:ACCUM_OFFSET: 0
; COMPUTE_PGM_RSRC3_GFX90A:TG_SPLIT: 0
	.section	.text._ZN7rocprim17ROCPRIM_400000_NS6detail17trampoline_kernelINS0_14default_configENS1_29reduce_by_key_config_selectorIffN6thrust23THRUST_200600_302600_NS4plusIfEEEEZZNS1_33reduce_by_key_impl_wrapped_configILNS1_25lookback_scan_determinismE1ES3_S9_NS6_6detail15normal_iteratorINS6_10device_ptrIfEEEESG_SG_SG_PmS8_NS6_8equal_toIfEEEE10hipError_tPvRmT2_T3_mT4_T5_T6_T7_T8_P12ihipStream_tbENKUlT_T0_E_clISt17integral_constantIbLb1EES11_EEDaSW_SX_EUlSW_E_NS1_11comp_targetILNS1_3genE8ELNS1_11target_archE1030ELNS1_3gpuE2ELNS1_3repE0EEENS1_30default_config_static_selectorELNS0_4arch9wavefront6targetE1EEEvT1_,"axG",@progbits,_ZN7rocprim17ROCPRIM_400000_NS6detail17trampoline_kernelINS0_14default_configENS1_29reduce_by_key_config_selectorIffN6thrust23THRUST_200600_302600_NS4plusIfEEEEZZNS1_33reduce_by_key_impl_wrapped_configILNS1_25lookback_scan_determinismE1ES3_S9_NS6_6detail15normal_iteratorINS6_10device_ptrIfEEEESG_SG_SG_PmS8_NS6_8equal_toIfEEEE10hipError_tPvRmT2_T3_mT4_T5_T6_T7_T8_P12ihipStream_tbENKUlT_T0_E_clISt17integral_constantIbLb1EES11_EEDaSW_SX_EUlSW_E_NS1_11comp_targetILNS1_3genE8ELNS1_11target_archE1030ELNS1_3gpuE2ELNS1_3repE0EEENS1_30default_config_static_selectorELNS0_4arch9wavefront6targetE1EEEvT1_,comdat
	.protected	_ZN7rocprim17ROCPRIM_400000_NS6detail17trampoline_kernelINS0_14default_configENS1_29reduce_by_key_config_selectorIffN6thrust23THRUST_200600_302600_NS4plusIfEEEEZZNS1_33reduce_by_key_impl_wrapped_configILNS1_25lookback_scan_determinismE1ES3_S9_NS6_6detail15normal_iteratorINS6_10device_ptrIfEEEESG_SG_SG_PmS8_NS6_8equal_toIfEEEE10hipError_tPvRmT2_T3_mT4_T5_T6_T7_T8_P12ihipStream_tbENKUlT_T0_E_clISt17integral_constantIbLb1EES11_EEDaSW_SX_EUlSW_E_NS1_11comp_targetILNS1_3genE8ELNS1_11target_archE1030ELNS1_3gpuE2ELNS1_3repE0EEENS1_30default_config_static_selectorELNS0_4arch9wavefront6targetE1EEEvT1_ ; -- Begin function _ZN7rocprim17ROCPRIM_400000_NS6detail17trampoline_kernelINS0_14default_configENS1_29reduce_by_key_config_selectorIffN6thrust23THRUST_200600_302600_NS4plusIfEEEEZZNS1_33reduce_by_key_impl_wrapped_configILNS1_25lookback_scan_determinismE1ES3_S9_NS6_6detail15normal_iteratorINS6_10device_ptrIfEEEESG_SG_SG_PmS8_NS6_8equal_toIfEEEE10hipError_tPvRmT2_T3_mT4_T5_T6_T7_T8_P12ihipStream_tbENKUlT_T0_E_clISt17integral_constantIbLb1EES11_EEDaSW_SX_EUlSW_E_NS1_11comp_targetILNS1_3genE8ELNS1_11target_archE1030ELNS1_3gpuE2ELNS1_3repE0EEENS1_30default_config_static_selectorELNS0_4arch9wavefront6targetE1EEEvT1_
	.globl	_ZN7rocprim17ROCPRIM_400000_NS6detail17trampoline_kernelINS0_14default_configENS1_29reduce_by_key_config_selectorIffN6thrust23THRUST_200600_302600_NS4plusIfEEEEZZNS1_33reduce_by_key_impl_wrapped_configILNS1_25lookback_scan_determinismE1ES3_S9_NS6_6detail15normal_iteratorINS6_10device_ptrIfEEEESG_SG_SG_PmS8_NS6_8equal_toIfEEEE10hipError_tPvRmT2_T3_mT4_T5_T6_T7_T8_P12ihipStream_tbENKUlT_T0_E_clISt17integral_constantIbLb1EES11_EEDaSW_SX_EUlSW_E_NS1_11comp_targetILNS1_3genE8ELNS1_11target_archE1030ELNS1_3gpuE2ELNS1_3repE0EEENS1_30default_config_static_selectorELNS0_4arch9wavefront6targetE1EEEvT1_
	.p2align	8
	.type	_ZN7rocprim17ROCPRIM_400000_NS6detail17trampoline_kernelINS0_14default_configENS1_29reduce_by_key_config_selectorIffN6thrust23THRUST_200600_302600_NS4plusIfEEEEZZNS1_33reduce_by_key_impl_wrapped_configILNS1_25lookback_scan_determinismE1ES3_S9_NS6_6detail15normal_iteratorINS6_10device_ptrIfEEEESG_SG_SG_PmS8_NS6_8equal_toIfEEEE10hipError_tPvRmT2_T3_mT4_T5_T6_T7_T8_P12ihipStream_tbENKUlT_T0_E_clISt17integral_constantIbLb1EES11_EEDaSW_SX_EUlSW_E_NS1_11comp_targetILNS1_3genE8ELNS1_11target_archE1030ELNS1_3gpuE2ELNS1_3repE0EEENS1_30default_config_static_selectorELNS0_4arch9wavefront6targetE1EEEvT1_,@function
_ZN7rocprim17ROCPRIM_400000_NS6detail17trampoline_kernelINS0_14default_configENS1_29reduce_by_key_config_selectorIffN6thrust23THRUST_200600_302600_NS4plusIfEEEEZZNS1_33reduce_by_key_impl_wrapped_configILNS1_25lookback_scan_determinismE1ES3_S9_NS6_6detail15normal_iteratorINS6_10device_ptrIfEEEESG_SG_SG_PmS8_NS6_8equal_toIfEEEE10hipError_tPvRmT2_T3_mT4_T5_T6_T7_T8_P12ihipStream_tbENKUlT_T0_E_clISt17integral_constantIbLb1EES11_EEDaSW_SX_EUlSW_E_NS1_11comp_targetILNS1_3genE8ELNS1_11target_archE1030ELNS1_3gpuE2ELNS1_3repE0EEENS1_30default_config_static_selectorELNS0_4arch9wavefront6targetE1EEEvT1_: ; @_ZN7rocprim17ROCPRIM_400000_NS6detail17trampoline_kernelINS0_14default_configENS1_29reduce_by_key_config_selectorIffN6thrust23THRUST_200600_302600_NS4plusIfEEEEZZNS1_33reduce_by_key_impl_wrapped_configILNS1_25lookback_scan_determinismE1ES3_S9_NS6_6detail15normal_iteratorINS6_10device_ptrIfEEEESG_SG_SG_PmS8_NS6_8equal_toIfEEEE10hipError_tPvRmT2_T3_mT4_T5_T6_T7_T8_P12ihipStream_tbENKUlT_T0_E_clISt17integral_constantIbLb1EES11_EEDaSW_SX_EUlSW_E_NS1_11comp_targetILNS1_3genE8ELNS1_11target_archE1030ELNS1_3gpuE2ELNS1_3repE0EEENS1_30default_config_static_selectorELNS0_4arch9wavefront6targetE1EEEvT1_
; %bb.0:
	.section	.rodata,"a",@progbits
	.p2align	6, 0x0
	.amdhsa_kernel _ZN7rocprim17ROCPRIM_400000_NS6detail17trampoline_kernelINS0_14default_configENS1_29reduce_by_key_config_selectorIffN6thrust23THRUST_200600_302600_NS4plusIfEEEEZZNS1_33reduce_by_key_impl_wrapped_configILNS1_25lookback_scan_determinismE1ES3_S9_NS6_6detail15normal_iteratorINS6_10device_ptrIfEEEESG_SG_SG_PmS8_NS6_8equal_toIfEEEE10hipError_tPvRmT2_T3_mT4_T5_T6_T7_T8_P12ihipStream_tbENKUlT_T0_E_clISt17integral_constantIbLb1EES11_EEDaSW_SX_EUlSW_E_NS1_11comp_targetILNS1_3genE8ELNS1_11target_archE1030ELNS1_3gpuE2ELNS1_3repE0EEENS1_30default_config_static_selectorELNS0_4arch9wavefront6targetE1EEEvT1_
		.amdhsa_group_segment_fixed_size 0
		.amdhsa_private_segment_fixed_size 0
		.amdhsa_kernarg_size 120
		.amdhsa_user_sgpr_count 6
		.amdhsa_user_sgpr_private_segment_buffer 1
		.amdhsa_user_sgpr_dispatch_ptr 0
		.amdhsa_user_sgpr_queue_ptr 0
		.amdhsa_user_sgpr_kernarg_segment_ptr 1
		.amdhsa_user_sgpr_dispatch_id 0
		.amdhsa_user_sgpr_flat_scratch_init 0
		.amdhsa_user_sgpr_kernarg_preload_length 0
		.amdhsa_user_sgpr_kernarg_preload_offset 0
		.amdhsa_user_sgpr_private_segment_size 0
		.amdhsa_uses_dynamic_stack 0
		.amdhsa_system_sgpr_private_segment_wavefront_offset 0
		.amdhsa_system_sgpr_workgroup_id_x 1
		.amdhsa_system_sgpr_workgroup_id_y 0
		.amdhsa_system_sgpr_workgroup_id_z 0
		.amdhsa_system_sgpr_workgroup_info 0
		.amdhsa_system_vgpr_workitem_id 0
		.amdhsa_next_free_vgpr 1
		.amdhsa_next_free_sgpr 0
		.amdhsa_accum_offset 4
		.amdhsa_reserve_vcc 0
		.amdhsa_reserve_flat_scratch 0
		.amdhsa_float_round_mode_32 0
		.amdhsa_float_round_mode_16_64 0
		.amdhsa_float_denorm_mode_32 3
		.amdhsa_float_denorm_mode_16_64 3
		.amdhsa_dx10_clamp 1
		.amdhsa_ieee_mode 1
		.amdhsa_fp16_overflow 0
		.amdhsa_tg_split 0
		.amdhsa_exception_fp_ieee_invalid_op 0
		.amdhsa_exception_fp_denorm_src 0
		.amdhsa_exception_fp_ieee_div_zero 0
		.amdhsa_exception_fp_ieee_overflow 0
		.amdhsa_exception_fp_ieee_underflow 0
		.amdhsa_exception_fp_ieee_inexact 0
		.amdhsa_exception_int_div_zero 0
	.end_amdhsa_kernel
	.section	.text._ZN7rocprim17ROCPRIM_400000_NS6detail17trampoline_kernelINS0_14default_configENS1_29reduce_by_key_config_selectorIffN6thrust23THRUST_200600_302600_NS4plusIfEEEEZZNS1_33reduce_by_key_impl_wrapped_configILNS1_25lookback_scan_determinismE1ES3_S9_NS6_6detail15normal_iteratorINS6_10device_ptrIfEEEESG_SG_SG_PmS8_NS6_8equal_toIfEEEE10hipError_tPvRmT2_T3_mT4_T5_T6_T7_T8_P12ihipStream_tbENKUlT_T0_E_clISt17integral_constantIbLb1EES11_EEDaSW_SX_EUlSW_E_NS1_11comp_targetILNS1_3genE8ELNS1_11target_archE1030ELNS1_3gpuE2ELNS1_3repE0EEENS1_30default_config_static_selectorELNS0_4arch9wavefront6targetE1EEEvT1_,"axG",@progbits,_ZN7rocprim17ROCPRIM_400000_NS6detail17trampoline_kernelINS0_14default_configENS1_29reduce_by_key_config_selectorIffN6thrust23THRUST_200600_302600_NS4plusIfEEEEZZNS1_33reduce_by_key_impl_wrapped_configILNS1_25lookback_scan_determinismE1ES3_S9_NS6_6detail15normal_iteratorINS6_10device_ptrIfEEEESG_SG_SG_PmS8_NS6_8equal_toIfEEEE10hipError_tPvRmT2_T3_mT4_T5_T6_T7_T8_P12ihipStream_tbENKUlT_T0_E_clISt17integral_constantIbLb1EES11_EEDaSW_SX_EUlSW_E_NS1_11comp_targetILNS1_3genE8ELNS1_11target_archE1030ELNS1_3gpuE2ELNS1_3repE0EEENS1_30default_config_static_selectorELNS0_4arch9wavefront6targetE1EEEvT1_,comdat
.Lfunc_end107:
	.size	_ZN7rocprim17ROCPRIM_400000_NS6detail17trampoline_kernelINS0_14default_configENS1_29reduce_by_key_config_selectorIffN6thrust23THRUST_200600_302600_NS4plusIfEEEEZZNS1_33reduce_by_key_impl_wrapped_configILNS1_25lookback_scan_determinismE1ES3_S9_NS6_6detail15normal_iteratorINS6_10device_ptrIfEEEESG_SG_SG_PmS8_NS6_8equal_toIfEEEE10hipError_tPvRmT2_T3_mT4_T5_T6_T7_T8_P12ihipStream_tbENKUlT_T0_E_clISt17integral_constantIbLb1EES11_EEDaSW_SX_EUlSW_E_NS1_11comp_targetILNS1_3genE8ELNS1_11target_archE1030ELNS1_3gpuE2ELNS1_3repE0EEENS1_30default_config_static_selectorELNS0_4arch9wavefront6targetE1EEEvT1_, .Lfunc_end107-_ZN7rocprim17ROCPRIM_400000_NS6detail17trampoline_kernelINS0_14default_configENS1_29reduce_by_key_config_selectorIffN6thrust23THRUST_200600_302600_NS4plusIfEEEEZZNS1_33reduce_by_key_impl_wrapped_configILNS1_25lookback_scan_determinismE1ES3_S9_NS6_6detail15normal_iteratorINS6_10device_ptrIfEEEESG_SG_SG_PmS8_NS6_8equal_toIfEEEE10hipError_tPvRmT2_T3_mT4_T5_T6_T7_T8_P12ihipStream_tbENKUlT_T0_E_clISt17integral_constantIbLb1EES11_EEDaSW_SX_EUlSW_E_NS1_11comp_targetILNS1_3genE8ELNS1_11target_archE1030ELNS1_3gpuE2ELNS1_3repE0EEENS1_30default_config_static_selectorELNS0_4arch9wavefront6targetE1EEEvT1_
                                        ; -- End function
	.section	.AMDGPU.csdata,"",@progbits
; Kernel info:
; codeLenInByte = 0
; NumSgprs: 4
; NumVgprs: 0
; NumAgprs: 0
; TotalNumVgprs: 0
; ScratchSize: 0
; MemoryBound: 0
; FloatMode: 240
; IeeeMode: 1
; LDSByteSize: 0 bytes/workgroup (compile time only)
; SGPRBlocks: 0
; VGPRBlocks: 0
; NumSGPRsForWavesPerEU: 4
; NumVGPRsForWavesPerEU: 1
; AccumOffset: 4
; Occupancy: 8
; WaveLimiterHint : 0
; COMPUTE_PGM_RSRC2:SCRATCH_EN: 0
; COMPUTE_PGM_RSRC2:USER_SGPR: 6
; COMPUTE_PGM_RSRC2:TRAP_HANDLER: 0
; COMPUTE_PGM_RSRC2:TGID_X_EN: 1
; COMPUTE_PGM_RSRC2:TGID_Y_EN: 0
; COMPUTE_PGM_RSRC2:TGID_Z_EN: 0
; COMPUTE_PGM_RSRC2:TIDIG_COMP_CNT: 0
; COMPUTE_PGM_RSRC3_GFX90A:ACCUM_OFFSET: 0
; COMPUTE_PGM_RSRC3_GFX90A:TG_SPLIT: 0
	.section	.text._ZN7rocprim17ROCPRIM_400000_NS6detail25reduce_by_key_init_kernelINS1_19lookback_scan_stateINS0_5tupleIJjfEEELb1ELb1EEEfNS1_16block_id_wrapperIjLb0EEEEEvT_jbjPmPT0_T1_,"axG",@progbits,_ZN7rocprim17ROCPRIM_400000_NS6detail25reduce_by_key_init_kernelINS1_19lookback_scan_stateINS0_5tupleIJjfEEELb1ELb1EEEfNS1_16block_id_wrapperIjLb0EEEEEvT_jbjPmPT0_T1_,comdat
	.protected	_ZN7rocprim17ROCPRIM_400000_NS6detail25reduce_by_key_init_kernelINS1_19lookback_scan_stateINS0_5tupleIJjfEEELb1ELb1EEEfNS1_16block_id_wrapperIjLb0EEEEEvT_jbjPmPT0_T1_ ; -- Begin function _ZN7rocprim17ROCPRIM_400000_NS6detail25reduce_by_key_init_kernelINS1_19lookback_scan_stateINS0_5tupleIJjfEEELb1ELb1EEEfNS1_16block_id_wrapperIjLb0EEEEEvT_jbjPmPT0_T1_
	.globl	_ZN7rocprim17ROCPRIM_400000_NS6detail25reduce_by_key_init_kernelINS1_19lookback_scan_stateINS0_5tupleIJjfEEELb1ELb1EEEfNS1_16block_id_wrapperIjLb0EEEEEvT_jbjPmPT0_T1_
	.p2align	8
	.type	_ZN7rocprim17ROCPRIM_400000_NS6detail25reduce_by_key_init_kernelINS1_19lookback_scan_stateINS0_5tupleIJjfEEELb1ELb1EEEfNS1_16block_id_wrapperIjLb0EEEEEvT_jbjPmPT0_T1_,@function
_ZN7rocprim17ROCPRIM_400000_NS6detail25reduce_by_key_init_kernelINS1_19lookback_scan_stateINS0_5tupleIJjfEEELb1ELb1EEEfNS1_16block_id_wrapperIjLb0EEEEEvT_jbjPmPT0_T1_: ; @_ZN7rocprim17ROCPRIM_400000_NS6detail25reduce_by_key_init_kernelINS1_19lookback_scan_stateINS0_5tupleIJjfEEELb1ELb1EEEfNS1_16block_id_wrapperIjLb0EEEEEvT_jbjPmPT0_T1_
; %bb.0:
	s_load_dwordx8 s[8:15], s[4:5], 0x8
	s_load_dword s2, s[4:5], 0x3c
	s_load_dwordx2 s[0:1], s[4:5], 0x0
	s_waitcnt lgkmcnt(0)
	s_and_b32 s3, s9, 1
	s_and_b32 s2, s2, 0xffff
	s_mul_i32 s6, s6, s2
	s_cmp_eq_u32 s3, 0
	v_add_u32_e32 v0, s6, v0
	s_mov_b64 s[2:3], -1
	s_cbranch_scc1 .LBB108_5
; %bb.1:
	s_andn2_b64 vcc, exec, s[2:3]
	s_cbranch_vccz .LBB108_14
.LBB108_2:
	v_cmp_gt_u32_e32 vcc, s8, v0
	s_and_saveexec_b64 s[2:3], vcc
	s_cbranch_execnz .LBB108_17
.LBB108_3:
	s_or_b64 exec, exec, s[2:3]
	v_cmp_gt_u32_e32 vcc, 64, v0
	s_and_saveexec_b64 s[2:3], vcc
	s_cbranch_execnz .LBB108_18
.LBB108_4:
	s_endpgm
.LBB108_5:
	s_cmp_lt_u32 s10, s8
	s_cselect_b32 s2, s10, 0
	v_cmp_eq_u32_e32 vcc, s2, v0
	s_and_saveexec_b64 s[2:3], vcc
	s_cbranch_execz .LBB108_13
; %bb.6:
	s_add_i32 s4, s10, 64
	s_mov_b32 s5, 0
	s_lshl_b64 s[4:5], s[4:5], 4
	s_add_u32 s10, s0, s4
	s_addc_u32 s11, s1, s5
	v_pk_mov_b32 v[2:3], s[10:11], s[10:11] op_sel:[0,1]
	v_mov_b32_e32 v7, 0
	;;#ASMSTART
	global_load_dwordx4 v[2:5], v[2:3] off glc	
s_waitcnt vmcnt(0)
	;;#ASMEND
	v_and_b32_e32 v6, 0xff, v4
	v_lshrrev_b64 v[12:13], 8, v[2:3]
	v_lshrrev_b64 v[10:11], 16, v[2:3]
	;; [unrolled: 1-line block ×3, first 2 shown]
	s_mov_b64 s[6:7], 0
	v_cmp_eq_u64_e32 vcc, 0, v[6:7]
	s_and_saveexec_b64 s[4:5], vcc
	s_cbranch_execz .LBB108_12
; %bb.7:
	s_mov_b32 s9, 1
	v_pk_mov_b32 v[8:9], s[10:11], s[10:11] op_sel:[0,1]
.LBB108_8:                              ; =>This Loop Header: Depth=1
                                        ;     Child Loop BB108_9 Depth 2
	s_max_u32 s10, s9, 1
.LBB108_9:                              ;   Parent Loop BB108_8 Depth=1
                                        ; =>  This Inner Loop Header: Depth=2
	s_add_i32 s10, s10, -1
	s_cmp_eq_u32 s10, 0
	s_sleep 1
	s_cbranch_scc0 .LBB108_9
; %bb.10:                               ;   in Loop: Header=BB108_8 Depth=1
	s_cmp_lt_u32 s9, 32
	s_cselect_b64 s[10:11], -1, 0
	s_cmp_lg_u64 s[10:11], 0
	;;#ASMSTART
	global_load_dwordx4 v[2:5], v[8:9] off glc	
s_waitcnt vmcnt(0)
	;;#ASMEND
	v_and_b32_e32 v6, 0xff, v4
	s_addc_u32 s9, s9, 0
	v_cmp_ne_u64_e32 vcc, 0, v[6:7]
	s_or_b64 s[6:7], vcc, s[6:7]
	s_andn2_b64 exec, exec, s[6:7]
	s_cbranch_execnz .LBB108_8
; %bb.11:
	s_or_b64 exec, exec, s[6:7]
	v_lshrrev_b64 v[8:9], 24, v[2:3]
	v_lshrrev_b64 v[10:11], 16, v[2:3]
	;; [unrolled: 1-line block ×3, first 2 shown]
.LBB108_12:
	s_or_b64 exec, exec, s[4:5]
	v_mov_b32_e32 v1, 0
	global_load_dwordx2 v[4:5], v1, s[12:13]
	v_lshlrev_b32_e32 v6, 24, v8
	v_lshlrev_b32_e32 v8, 8, v12
	s_mov_b32 s4, 0xc0c0500
	v_lshlrev_b32_e32 v7, 16, v10
	s_mov_b32 s5, 0xff0000
	v_perm_b32 v2, v8, v2, s4
	v_and_or_b32 v2, v7, s5, v2
	s_waitcnt vmcnt(0)
	v_add_co_u32_e32 v2, vcc, v2, v4
	v_addc_co_u32_e32 v5, vcc, 0, v5, vcc
	v_add_co_u32_e32 v4, vcc, v2, v6
	v_addc_co_u32_e32 v5, vcc, 0, v5, vcc
	global_store_dwordx2 v1, v[4:5], s[12:13]
	global_store_dword v1, v3, s[14:15]
.LBB108_13:
	s_or_b64 exec, exec, s[2:3]
	s_cbranch_execnz .LBB108_2
.LBB108_14:
	s_cmp_lg_u64 s[12:13], 0
	s_cselect_b64 s[2:3], -1, 0
	v_cmp_eq_u32_e32 vcc, 0, v0
	s_and_b64 s[4:5], s[2:3], vcc
	s_and_saveexec_b64 s[2:3], s[4:5]
	s_cbranch_execz .LBB108_16
; %bb.15:
	v_mov_b32_e32 v2, 0
	v_mov_b32_e32 v3, v2
	global_store_dwordx2 v2, v[2:3], s[12:13]
.LBB108_16:
	s_or_b64 exec, exec, s[2:3]
	v_cmp_gt_u32_e32 vcc, s8, v0
	s_and_saveexec_b64 s[2:3], vcc
	s_cbranch_execz .LBB108_3
.LBB108_17:
	v_add_u32_e32 v2, 64, v0
	v_mov_b32_e32 v3, 0
	v_lshlrev_b64 v[4:5], 4, v[2:3]
	v_mov_b32_e32 v1, s1
	v_add_co_u32_e32 v6, vcc, s0, v4
	v_addc_co_u32_e32 v7, vcc, v1, v5, vcc
	v_mov_b32_e32 v2, v3
	v_mov_b32_e32 v4, v3
	;; [unrolled: 1-line block ×3, first 2 shown]
	global_store_dwordx4 v[6:7], v[2:5], off
	s_or_b64 exec, exec, s[2:3]
	v_cmp_gt_u32_e32 vcc, 64, v0
	s_and_saveexec_b64 s[2:3], vcc
	s_cbranch_execz .LBB108_4
.LBB108_18:
	v_mov_b32_e32 v1, 0
	v_lshlrev_b64 v[2:3], 4, v[0:1]
	v_mov_b32_e32 v0, s1
	v_add_co_u32_e32 v4, vcc, s0, v2
	v_addc_co_u32_e32 v5, vcc, v0, v3, vcc
	v_mov_b32_e32 v2, 0xff
	v_mov_b32_e32 v0, v1
	v_mov_b32_e32 v3, v1
	global_store_dwordx4 v[4:5], v[0:3], off
	s_endpgm
	.section	.rodata,"a",@progbits
	.p2align	6, 0x0
	.amdhsa_kernel _ZN7rocprim17ROCPRIM_400000_NS6detail25reduce_by_key_init_kernelINS1_19lookback_scan_stateINS0_5tupleIJjfEEELb1ELb1EEEfNS1_16block_id_wrapperIjLb0EEEEEvT_jbjPmPT0_T1_
		.amdhsa_group_segment_fixed_size 0
		.amdhsa_private_segment_fixed_size 0
		.amdhsa_kernarg_size 304
		.amdhsa_user_sgpr_count 6
		.amdhsa_user_sgpr_private_segment_buffer 1
		.amdhsa_user_sgpr_dispatch_ptr 0
		.amdhsa_user_sgpr_queue_ptr 0
		.amdhsa_user_sgpr_kernarg_segment_ptr 1
		.amdhsa_user_sgpr_dispatch_id 0
		.amdhsa_user_sgpr_flat_scratch_init 0
		.amdhsa_user_sgpr_kernarg_preload_length 0
		.amdhsa_user_sgpr_kernarg_preload_offset 0
		.amdhsa_user_sgpr_private_segment_size 0
		.amdhsa_uses_dynamic_stack 0
		.amdhsa_system_sgpr_private_segment_wavefront_offset 0
		.amdhsa_system_sgpr_workgroup_id_x 1
		.amdhsa_system_sgpr_workgroup_id_y 0
		.amdhsa_system_sgpr_workgroup_id_z 0
		.amdhsa_system_sgpr_workgroup_info 0
		.amdhsa_system_vgpr_workitem_id 0
		.amdhsa_next_free_vgpr 14
		.amdhsa_next_free_sgpr 16
		.amdhsa_accum_offset 16
		.amdhsa_reserve_vcc 1
		.amdhsa_reserve_flat_scratch 0
		.amdhsa_float_round_mode_32 0
		.amdhsa_float_round_mode_16_64 0
		.amdhsa_float_denorm_mode_32 3
		.amdhsa_float_denorm_mode_16_64 3
		.amdhsa_dx10_clamp 1
		.amdhsa_ieee_mode 1
		.amdhsa_fp16_overflow 0
		.amdhsa_tg_split 0
		.amdhsa_exception_fp_ieee_invalid_op 0
		.amdhsa_exception_fp_denorm_src 0
		.amdhsa_exception_fp_ieee_div_zero 0
		.amdhsa_exception_fp_ieee_overflow 0
		.amdhsa_exception_fp_ieee_underflow 0
		.amdhsa_exception_fp_ieee_inexact 0
		.amdhsa_exception_int_div_zero 0
	.end_amdhsa_kernel
	.section	.text._ZN7rocprim17ROCPRIM_400000_NS6detail25reduce_by_key_init_kernelINS1_19lookback_scan_stateINS0_5tupleIJjfEEELb1ELb1EEEfNS1_16block_id_wrapperIjLb0EEEEEvT_jbjPmPT0_T1_,"axG",@progbits,_ZN7rocprim17ROCPRIM_400000_NS6detail25reduce_by_key_init_kernelINS1_19lookback_scan_stateINS0_5tupleIJjfEEELb1ELb1EEEfNS1_16block_id_wrapperIjLb0EEEEEvT_jbjPmPT0_T1_,comdat
.Lfunc_end108:
	.size	_ZN7rocprim17ROCPRIM_400000_NS6detail25reduce_by_key_init_kernelINS1_19lookback_scan_stateINS0_5tupleIJjfEEELb1ELb1EEEfNS1_16block_id_wrapperIjLb0EEEEEvT_jbjPmPT0_T1_, .Lfunc_end108-_ZN7rocprim17ROCPRIM_400000_NS6detail25reduce_by_key_init_kernelINS1_19lookback_scan_stateINS0_5tupleIJjfEEELb1ELb1EEEfNS1_16block_id_wrapperIjLb0EEEEEvT_jbjPmPT0_T1_
                                        ; -- End function
	.section	.AMDGPU.csdata,"",@progbits
; Kernel info:
; codeLenInByte = 608
; NumSgprs: 20
; NumVgprs: 14
; NumAgprs: 0
; TotalNumVgprs: 14
; ScratchSize: 0
; MemoryBound: 0
; FloatMode: 240
; IeeeMode: 1
; LDSByteSize: 0 bytes/workgroup (compile time only)
; SGPRBlocks: 2
; VGPRBlocks: 1
; NumSGPRsForWavesPerEU: 20
; NumVGPRsForWavesPerEU: 14
; AccumOffset: 16
; Occupancy: 8
; WaveLimiterHint : 0
; COMPUTE_PGM_RSRC2:SCRATCH_EN: 0
; COMPUTE_PGM_RSRC2:USER_SGPR: 6
; COMPUTE_PGM_RSRC2:TRAP_HANDLER: 0
; COMPUTE_PGM_RSRC2:TGID_X_EN: 1
; COMPUTE_PGM_RSRC2:TGID_Y_EN: 0
; COMPUTE_PGM_RSRC2:TGID_Z_EN: 0
; COMPUTE_PGM_RSRC2:TIDIG_COMP_CNT: 0
; COMPUTE_PGM_RSRC3_GFX90A:ACCUM_OFFSET: 3
; COMPUTE_PGM_RSRC3_GFX90A:TG_SPLIT: 0
	.section	.text._ZN7rocprim17ROCPRIM_400000_NS6detail17trampoline_kernelINS0_14default_configENS1_29reduce_by_key_config_selectorIffN6thrust23THRUST_200600_302600_NS4plusIfEEEEZZNS1_33reduce_by_key_impl_wrapped_configILNS1_25lookback_scan_determinismE1ES3_S9_NS6_6detail15normal_iteratorINS6_10device_ptrIfEEEESG_SG_SG_PmS8_NS6_8equal_toIfEEEE10hipError_tPvRmT2_T3_mT4_T5_T6_T7_T8_P12ihipStream_tbENKUlT_T0_E_clISt17integral_constantIbLb1EES10_IbLb0EEEEDaSW_SX_EUlSW_E_NS1_11comp_targetILNS1_3genE0ELNS1_11target_archE4294967295ELNS1_3gpuE0ELNS1_3repE0EEENS1_30default_config_static_selectorELNS0_4arch9wavefront6targetE1EEEvT1_,"axG",@progbits,_ZN7rocprim17ROCPRIM_400000_NS6detail17trampoline_kernelINS0_14default_configENS1_29reduce_by_key_config_selectorIffN6thrust23THRUST_200600_302600_NS4plusIfEEEEZZNS1_33reduce_by_key_impl_wrapped_configILNS1_25lookback_scan_determinismE1ES3_S9_NS6_6detail15normal_iteratorINS6_10device_ptrIfEEEESG_SG_SG_PmS8_NS6_8equal_toIfEEEE10hipError_tPvRmT2_T3_mT4_T5_T6_T7_T8_P12ihipStream_tbENKUlT_T0_E_clISt17integral_constantIbLb1EES10_IbLb0EEEEDaSW_SX_EUlSW_E_NS1_11comp_targetILNS1_3genE0ELNS1_11target_archE4294967295ELNS1_3gpuE0ELNS1_3repE0EEENS1_30default_config_static_selectorELNS0_4arch9wavefront6targetE1EEEvT1_,comdat
	.protected	_ZN7rocprim17ROCPRIM_400000_NS6detail17trampoline_kernelINS0_14default_configENS1_29reduce_by_key_config_selectorIffN6thrust23THRUST_200600_302600_NS4plusIfEEEEZZNS1_33reduce_by_key_impl_wrapped_configILNS1_25lookback_scan_determinismE1ES3_S9_NS6_6detail15normal_iteratorINS6_10device_ptrIfEEEESG_SG_SG_PmS8_NS6_8equal_toIfEEEE10hipError_tPvRmT2_T3_mT4_T5_T6_T7_T8_P12ihipStream_tbENKUlT_T0_E_clISt17integral_constantIbLb1EES10_IbLb0EEEEDaSW_SX_EUlSW_E_NS1_11comp_targetILNS1_3genE0ELNS1_11target_archE4294967295ELNS1_3gpuE0ELNS1_3repE0EEENS1_30default_config_static_selectorELNS0_4arch9wavefront6targetE1EEEvT1_ ; -- Begin function _ZN7rocprim17ROCPRIM_400000_NS6detail17trampoline_kernelINS0_14default_configENS1_29reduce_by_key_config_selectorIffN6thrust23THRUST_200600_302600_NS4plusIfEEEEZZNS1_33reduce_by_key_impl_wrapped_configILNS1_25lookback_scan_determinismE1ES3_S9_NS6_6detail15normal_iteratorINS6_10device_ptrIfEEEESG_SG_SG_PmS8_NS6_8equal_toIfEEEE10hipError_tPvRmT2_T3_mT4_T5_T6_T7_T8_P12ihipStream_tbENKUlT_T0_E_clISt17integral_constantIbLb1EES10_IbLb0EEEEDaSW_SX_EUlSW_E_NS1_11comp_targetILNS1_3genE0ELNS1_11target_archE4294967295ELNS1_3gpuE0ELNS1_3repE0EEENS1_30default_config_static_selectorELNS0_4arch9wavefront6targetE1EEEvT1_
	.globl	_ZN7rocprim17ROCPRIM_400000_NS6detail17trampoline_kernelINS0_14default_configENS1_29reduce_by_key_config_selectorIffN6thrust23THRUST_200600_302600_NS4plusIfEEEEZZNS1_33reduce_by_key_impl_wrapped_configILNS1_25lookback_scan_determinismE1ES3_S9_NS6_6detail15normal_iteratorINS6_10device_ptrIfEEEESG_SG_SG_PmS8_NS6_8equal_toIfEEEE10hipError_tPvRmT2_T3_mT4_T5_T6_T7_T8_P12ihipStream_tbENKUlT_T0_E_clISt17integral_constantIbLb1EES10_IbLb0EEEEDaSW_SX_EUlSW_E_NS1_11comp_targetILNS1_3genE0ELNS1_11target_archE4294967295ELNS1_3gpuE0ELNS1_3repE0EEENS1_30default_config_static_selectorELNS0_4arch9wavefront6targetE1EEEvT1_
	.p2align	8
	.type	_ZN7rocprim17ROCPRIM_400000_NS6detail17trampoline_kernelINS0_14default_configENS1_29reduce_by_key_config_selectorIffN6thrust23THRUST_200600_302600_NS4plusIfEEEEZZNS1_33reduce_by_key_impl_wrapped_configILNS1_25lookback_scan_determinismE1ES3_S9_NS6_6detail15normal_iteratorINS6_10device_ptrIfEEEESG_SG_SG_PmS8_NS6_8equal_toIfEEEE10hipError_tPvRmT2_T3_mT4_T5_T6_T7_T8_P12ihipStream_tbENKUlT_T0_E_clISt17integral_constantIbLb1EES10_IbLb0EEEEDaSW_SX_EUlSW_E_NS1_11comp_targetILNS1_3genE0ELNS1_11target_archE4294967295ELNS1_3gpuE0ELNS1_3repE0EEENS1_30default_config_static_selectorELNS0_4arch9wavefront6targetE1EEEvT1_,@function
_ZN7rocprim17ROCPRIM_400000_NS6detail17trampoline_kernelINS0_14default_configENS1_29reduce_by_key_config_selectorIffN6thrust23THRUST_200600_302600_NS4plusIfEEEEZZNS1_33reduce_by_key_impl_wrapped_configILNS1_25lookback_scan_determinismE1ES3_S9_NS6_6detail15normal_iteratorINS6_10device_ptrIfEEEESG_SG_SG_PmS8_NS6_8equal_toIfEEEE10hipError_tPvRmT2_T3_mT4_T5_T6_T7_T8_P12ihipStream_tbENKUlT_T0_E_clISt17integral_constantIbLb1EES10_IbLb0EEEEDaSW_SX_EUlSW_E_NS1_11comp_targetILNS1_3genE0ELNS1_11target_archE4294967295ELNS1_3gpuE0ELNS1_3repE0EEENS1_30default_config_static_selectorELNS0_4arch9wavefront6targetE1EEEvT1_: ; @_ZN7rocprim17ROCPRIM_400000_NS6detail17trampoline_kernelINS0_14default_configENS1_29reduce_by_key_config_selectorIffN6thrust23THRUST_200600_302600_NS4plusIfEEEEZZNS1_33reduce_by_key_impl_wrapped_configILNS1_25lookback_scan_determinismE1ES3_S9_NS6_6detail15normal_iteratorINS6_10device_ptrIfEEEESG_SG_SG_PmS8_NS6_8equal_toIfEEEE10hipError_tPvRmT2_T3_mT4_T5_T6_T7_T8_P12ihipStream_tbENKUlT_T0_E_clISt17integral_constantIbLb1EES10_IbLb0EEEEDaSW_SX_EUlSW_E_NS1_11comp_targetILNS1_3genE0ELNS1_11target_archE4294967295ELNS1_3gpuE0ELNS1_3repE0EEENS1_30default_config_static_selectorELNS0_4arch9wavefront6targetE1EEEvT1_
; %bb.0:
	.section	.rodata,"a",@progbits
	.p2align	6, 0x0
	.amdhsa_kernel _ZN7rocprim17ROCPRIM_400000_NS6detail17trampoline_kernelINS0_14default_configENS1_29reduce_by_key_config_selectorIffN6thrust23THRUST_200600_302600_NS4plusIfEEEEZZNS1_33reduce_by_key_impl_wrapped_configILNS1_25lookback_scan_determinismE1ES3_S9_NS6_6detail15normal_iteratorINS6_10device_ptrIfEEEESG_SG_SG_PmS8_NS6_8equal_toIfEEEE10hipError_tPvRmT2_T3_mT4_T5_T6_T7_T8_P12ihipStream_tbENKUlT_T0_E_clISt17integral_constantIbLb1EES10_IbLb0EEEEDaSW_SX_EUlSW_E_NS1_11comp_targetILNS1_3genE0ELNS1_11target_archE4294967295ELNS1_3gpuE0ELNS1_3repE0EEENS1_30default_config_static_selectorELNS0_4arch9wavefront6targetE1EEEvT1_
		.amdhsa_group_segment_fixed_size 0
		.amdhsa_private_segment_fixed_size 0
		.amdhsa_kernarg_size 120
		.amdhsa_user_sgpr_count 6
		.amdhsa_user_sgpr_private_segment_buffer 1
		.amdhsa_user_sgpr_dispatch_ptr 0
		.amdhsa_user_sgpr_queue_ptr 0
		.amdhsa_user_sgpr_kernarg_segment_ptr 1
		.amdhsa_user_sgpr_dispatch_id 0
		.amdhsa_user_sgpr_flat_scratch_init 0
		.amdhsa_user_sgpr_kernarg_preload_length 0
		.amdhsa_user_sgpr_kernarg_preload_offset 0
		.amdhsa_user_sgpr_private_segment_size 0
		.amdhsa_uses_dynamic_stack 0
		.amdhsa_system_sgpr_private_segment_wavefront_offset 0
		.amdhsa_system_sgpr_workgroup_id_x 1
		.amdhsa_system_sgpr_workgroup_id_y 0
		.amdhsa_system_sgpr_workgroup_id_z 0
		.amdhsa_system_sgpr_workgroup_info 0
		.amdhsa_system_vgpr_workitem_id 0
		.amdhsa_next_free_vgpr 1
		.amdhsa_next_free_sgpr 0
		.amdhsa_accum_offset 4
		.amdhsa_reserve_vcc 0
		.amdhsa_reserve_flat_scratch 0
		.amdhsa_float_round_mode_32 0
		.amdhsa_float_round_mode_16_64 0
		.amdhsa_float_denorm_mode_32 3
		.amdhsa_float_denorm_mode_16_64 3
		.amdhsa_dx10_clamp 1
		.amdhsa_ieee_mode 1
		.amdhsa_fp16_overflow 0
		.amdhsa_tg_split 0
		.amdhsa_exception_fp_ieee_invalid_op 0
		.amdhsa_exception_fp_denorm_src 0
		.amdhsa_exception_fp_ieee_div_zero 0
		.amdhsa_exception_fp_ieee_overflow 0
		.amdhsa_exception_fp_ieee_underflow 0
		.amdhsa_exception_fp_ieee_inexact 0
		.amdhsa_exception_int_div_zero 0
	.end_amdhsa_kernel
	.section	.text._ZN7rocprim17ROCPRIM_400000_NS6detail17trampoline_kernelINS0_14default_configENS1_29reduce_by_key_config_selectorIffN6thrust23THRUST_200600_302600_NS4plusIfEEEEZZNS1_33reduce_by_key_impl_wrapped_configILNS1_25lookback_scan_determinismE1ES3_S9_NS6_6detail15normal_iteratorINS6_10device_ptrIfEEEESG_SG_SG_PmS8_NS6_8equal_toIfEEEE10hipError_tPvRmT2_T3_mT4_T5_T6_T7_T8_P12ihipStream_tbENKUlT_T0_E_clISt17integral_constantIbLb1EES10_IbLb0EEEEDaSW_SX_EUlSW_E_NS1_11comp_targetILNS1_3genE0ELNS1_11target_archE4294967295ELNS1_3gpuE0ELNS1_3repE0EEENS1_30default_config_static_selectorELNS0_4arch9wavefront6targetE1EEEvT1_,"axG",@progbits,_ZN7rocprim17ROCPRIM_400000_NS6detail17trampoline_kernelINS0_14default_configENS1_29reduce_by_key_config_selectorIffN6thrust23THRUST_200600_302600_NS4plusIfEEEEZZNS1_33reduce_by_key_impl_wrapped_configILNS1_25lookback_scan_determinismE1ES3_S9_NS6_6detail15normal_iteratorINS6_10device_ptrIfEEEESG_SG_SG_PmS8_NS6_8equal_toIfEEEE10hipError_tPvRmT2_T3_mT4_T5_T6_T7_T8_P12ihipStream_tbENKUlT_T0_E_clISt17integral_constantIbLb1EES10_IbLb0EEEEDaSW_SX_EUlSW_E_NS1_11comp_targetILNS1_3genE0ELNS1_11target_archE4294967295ELNS1_3gpuE0ELNS1_3repE0EEENS1_30default_config_static_selectorELNS0_4arch9wavefront6targetE1EEEvT1_,comdat
.Lfunc_end109:
	.size	_ZN7rocprim17ROCPRIM_400000_NS6detail17trampoline_kernelINS0_14default_configENS1_29reduce_by_key_config_selectorIffN6thrust23THRUST_200600_302600_NS4plusIfEEEEZZNS1_33reduce_by_key_impl_wrapped_configILNS1_25lookback_scan_determinismE1ES3_S9_NS6_6detail15normal_iteratorINS6_10device_ptrIfEEEESG_SG_SG_PmS8_NS6_8equal_toIfEEEE10hipError_tPvRmT2_T3_mT4_T5_T6_T7_T8_P12ihipStream_tbENKUlT_T0_E_clISt17integral_constantIbLb1EES10_IbLb0EEEEDaSW_SX_EUlSW_E_NS1_11comp_targetILNS1_3genE0ELNS1_11target_archE4294967295ELNS1_3gpuE0ELNS1_3repE0EEENS1_30default_config_static_selectorELNS0_4arch9wavefront6targetE1EEEvT1_, .Lfunc_end109-_ZN7rocprim17ROCPRIM_400000_NS6detail17trampoline_kernelINS0_14default_configENS1_29reduce_by_key_config_selectorIffN6thrust23THRUST_200600_302600_NS4plusIfEEEEZZNS1_33reduce_by_key_impl_wrapped_configILNS1_25lookback_scan_determinismE1ES3_S9_NS6_6detail15normal_iteratorINS6_10device_ptrIfEEEESG_SG_SG_PmS8_NS6_8equal_toIfEEEE10hipError_tPvRmT2_T3_mT4_T5_T6_T7_T8_P12ihipStream_tbENKUlT_T0_E_clISt17integral_constantIbLb1EES10_IbLb0EEEEDaSW_SX_EUlSW_E_NS1_11comp_targetILNS1_3genE0ELNS1_11target_archE4294967295ELNS1_3gpuE0ELNS1_3repE0EEENS1_30default_config_static_selectorELNS0_4arch9wavefront6targetE1EEEvT1_
                                        ; -- End function
	.section	.AMDGPU.csdata,"",@progbits
; Kernel info:
; codeLenInByte = 0
; NumSgprs: 4
; NumVgprs: 0
; NumAgprs: 0
; TotalNumVgprs: 0
; ScratchSize: 0
; MemoryBound: 0
; FloatMode: 240
; IeeeMode: 1
; LDSByteSize: 0 bytes/workgroup (compile time only)
; SGPRBlocks: 0
; VGPRBlocks: 0
; NumSGPRsForWavesPerEU: 4
; NumVGPRsForWavesPerEU: 1
; AccumOffset: 4
; Occupancy: 8
; WaveLimiterHint : 0
; COMPUTE_PGM_RSRC2:SCRATCH_EN: 0
; COMPUTE_PGM_RSRC2:USER_SGPR: 6
; COMPUTE_PGM_RSRC2:TRAP_HANDLER: 0
; COMPUTE_PGM_RSRC2:TGID_X_EN: 1
; COMPUTE_PGM_RSRC2:TGID_Y_EN: 0
; COMPUTE_PGM_RSRC2:TGID_Z_EN: 0
; COMPUTE_PGM_RSRC2:TIDIG_COMP_CNT: 0
; COMPUTE_PGM_RSRC3_GFX90A:ACCUM_OFFSET: 0
; COMPUTE_PGM_RSRC3_GFX90A:TG_SPLIT: 0
	.section	.text._ZN7rocprim17ROCPRIM_400000_NS6detail17trampoline_kernelINS0_14default_configENS1_29reduce_by_key_config_selectorIffN6thrust23THRUST_200600_302600_NS4plusIfEEEEZZNS1_33reduce_by_key_impl_wrapped_configILNS1_25lookback_scan_determinismE1ES3_S9_NS6_6detail15normal_iteratorINS6_10device_ptrIfEEEESG_SG_SG_PmS8_NS6_8equal_toIfEEEE10hipError_tPvRmT2_T3_mT4_T5_T6_T7_T8_P12ihipStream_tbENKUlT_T0_E_clISt17integral_constantIbLb1EES10_IbLb0EEEEDaSW_SX_EUlSW_E_NS1_11comp_targetILNS1_3genE5ELNS1_11target_archE942ELNS1_3gpuE9ELNS1_3repE0EEENS1_30default_config_static_selectorELNS0_4arch9wavefront6targetE1EEEvT1_,"axG",@progbits,_ZN7rocprim17ROCPRIM_400000_NS6detail17trampoline_kernelINS0_14default_configENS1_29reduce_by_key_config_selectorIffN6thrust23THRUST_200600_302600_NS4plusIfEEEEZZNS1_33reduce_by_key_impl_wrapped_configILNS1_25lookback_scan_determinismE1ES3_S9_NS6_6detail15normal_iteratorINS6_10device_ptrIfEEEESG_SG_SG_PmS8_NS6_8equal_toIfEEEE10hipError_tPvRmT2_T3_mT4_T5_T6_T7_T8_P12ihipStream_tbENKUlT_T0_E_clISt17integral_constantIbLb1EES10_IbLb0EEEEDaSW_SX_EUlSW_E_NS1_11comp_targetILNS1_3genE5ELNS1_11target_archE942ELNS1_3gpuE9ELNS1_3repE0EEENS1_30default_config_static_selectorELNS0_4arch9wavefront6targetE1EEEvT1_,comdat
	.protected	_ZN7rocprim17ROCPRIM_400000_NS6detail17trampoline_kernelINS0_14default_configENS1_29reduce_by_key_config_selectorIffN6thrust23THRUST_200600_302600_NS4plusIfEEEEZZNS1_33reduce_by_key_impl_wrapped_configILNS1_25lookback_scan_determinismE1ES3_S9_NS6_6detail15normal_iteratorINS6_10device_ptrIfEEEESG_SG_SG_PmS8_NS6_8equal_toIfEEEE10hipError_tPvRmT2_T3_mT4_T5_T6_T7_T8_P12ihipStream_tbENKUlT_T0_E_clISt17integral_constantIbLb1EES10_IbLb0EEEEDaSW_SX_EUlSW_E_NS1_11comp_targetILNS1_3genE5ELNS1_11target_archE942ELNS1_3gpuE9ELNS1_3repE0EEENS1_30default_config_static_selectorELNS0_4arch9wavefront6targetE1EEEvT1_ ; -- Begin function _ZN7rocprim17ROCPRIM_400000_NS6detail17trampoline_kernelINS0_14default_configENS1_29reduce_by_key_config_selectorIffN6thrust23THRUST_200600_302600_NS4plusIfEEEEZZNS1_33reduce_by_key_impl_wrapped_configILNS1_25lookback_scan_determinismE1ES3_S9_NS6_6detail15normal_iteratorINS6_10device_ptrIfEEEESG_SG_SG_PmS8_NS6_8equal_toIfEEEE10hipError_tPvRmT2_T3_mT4_T5_T6_T7_T8_P12ihipStream_tbENKUlT_T0_E_clISt17integral_constantIbLb1EES10_IbLb0EEEEDaSW_SX_EUlSW_E_NS1_11comp_targetILNS1_3genE5ELNS1_11target_archE942ELNS1_3gpuE9ELNS1_3repE0EEENS1_30default_config_static_selectorELNS0_4arch9wavefront6targetE1EEEvT1_
	.globl	_ZN7rocprim17ROCPRIM_400000_NS6detail17trampoline_kernelINS0_14default_configENS1_29reduce_by_key_config_selectorIffN6thrust23THRUST_200600_302600_NS4plusIfEEEEZZNS1_33reduce_by_key_impl_wrapped_configILNS1_25lookback_scan_determinismE1ES3_S9_NS6_6detail15normal_iteratorINS6_10device_ptrIfEEEESG_SG_SG_PmS8_NS6_8equal_toIfEEEE10hipError_tPvRmT2_T3_mT4_T5_T6_T7_T8_P12ihipStream_tbENKUlT_T0_E_clISt17integral_constantIbLb1EES10_IbLb0EEEEDaSW_SX_EUlSW_E_NS1_11comp_targetILNS1_3genE5ELNS1_11target_archE942ELNS1_3gpuE9ELNS1_3repE0EEENS1_30default_config_static_selectorELNS0_4arch9wavefront6targetE1EEEvT1_
	.p2align	8
	.type	_ZN7rocprim17ROCPRIM_400000_NS6detail17trampoline_kernelINS0_14default_configENS1_29reduce_by_key_config_selectorIffN6thrust23THRUST_200600_302600_NS4plusIfEEEEZZNS1_33reduce_by_key_impl_wrapped_configILNS1_25lookback_scan_determinismE1ES3_S9_NS6_6detail15normal_iteratorINS6_10device_ptrIfEEEESG_SG_SG_PmS8_NS6_8equal_toIfEEEE10hipError_tPvRmT2_T3_mT4_T5_T6_T7_T8_P12ihipStream_tbENKUlT_T0_E_clISt17integral_constantIbLb1EES10_IbLb0EEEEDaSW_SX_EUlSW_E_NS1_11comp_targetILNS1_3genE5ELNS1_11target_archE942ELNS1_3gpuE9ELNS1_3repE0EEENS1_30default_config_static_selectorELNS0_4arch9wavefront6targetE1EEEvT1_,@function
_ZN7rocprim17ROCPRIM_400000_NS6detail17trampoline_kernelINS0_14default_configENS1_29reduce_by_key_config_selectorIffN6thrust23THRUST_200600_302600_NS4plusIfEEEEZZNS1_33reduce_by_key_impl_wrapped_configILNS1_25lookback_scan_determinismE1ES3_S9_NS6_6detail15normal_iteratorINS6_10device_ptrIfEEEESG_SG_SG_PmS8_NS6_8equal_toIfEEEE10hipError_tPvRmT2_T3_mT4_T5_T6_T7_T8_P12ihipStream_tbENKUlT_T0_E_clISt17integral_constantIbLb1EES10_IbLb0EEEEDaSW_SX_EUlSW_E_NS1_11comp_targetILNS1_3genE5ELNS1_11target_archE942ELNS1_3gpuE9ELNS1_3repE0EEENS1_30default_config_static_selectorELNS0_4arch9wavefront6targetE1EEEvT1_: ; @_ZN7rocprim17ROCPRIM_400000_NS6detail17trampoline_kernelINS0_14default_configENS1_29reduce_by_key_config_selectorIffN6thrust23THRUST_200600_302600_NS4plusIfEEEEZZNS1_33reduce_by_key_impl_wrapped_configILNS1_25lookback_scan_determinismE1ES3_S9_NS6_6detail15normal_iteratorINS6_10device_ptrIfEEEESG_SG_SG_PmS8_NS6_8equal_toIfEEEE10hipError_tPvRmT2_T3_mT4_T5_T6_T7_T8_P12ihipStream_tbENKUlT_T0_E_clISt17integral_constantIbLb1EES10_IbLb0EEEEDaSW_SX_EUlSW_E_NS1_11comp_targetILNS1_3genE5ELNS1_11target_archE942ELNS1_3gpuE9ELNS1_3repE0EEENS1_30default_config_static_selectorELNS0_4arch9wavefront6targetE1EEEvT1_
; %bb.0:
	.section	.rodata,"a",@progbits
	.p2align	6, 0x0
	.amdhsa_kernel _ZN7rocprim17ROCPRIM_400000_NS6detail17trampoline_kernelINS0_14default_configENS1_29reduce_by_key_config_selectorIffN6thrust23THRUST_200600_302600_NS4plusIfEEEEZZNS1_33reduce_by_key_impl_wrapped_configILNS1_25lookback_scan_determinismE1ES3_S9_NS6_6detail15normal_iteratorINS6_10device_ptrIfEEEESG_SG_SG_PmS8_NS6_8equal_toIfEEEE10hipError_tPvRmT2_T3_mT4_T5_T6_T7_T8_P12ihipStream_tbENKUlT_T0_E_clISt17integral_constantIbLb1EES10_IbLb0EEEEDaSW_SX_EUlSW_E_NS1_11comp_targetILNS1_3genE5ELNS1_11target_archE942ELNS1_3gpuE9ELNS1_3repE0EEENS1_30default_config_static_selectorELNS0_4arch9wavefront6targetE1EEEvT1_
		.amdhsa_group_segment_fixed_size 0
		.amdhsa_private_segment_fixed_size 0
		.amdhsa_kernarg_size 120
		.amdhsa_user_sgpr_count 6
		.amdhsa_user_sgpr_private_segment_buffer 1
		.amdhsa_user_sgpr_dispatch_ptr 0
		.amdhsa_user_sgpr_queue_ptr 0
		.amdhsa_user_sgpr_kernarg_segment_ptr 1
		.amdhsa_user_sgpr_dispatch_id 0
		.amdhsa_user_sgpr_flat_scratch_init 0
		.amdhsa_user_sgpr_kernarg_preload_length 0
		.amdhsa_user_sgpr_kernarg_preload_offset 0
		.amdhsa_user_sgpr_private_segment_size 0
		.amdhsa_uses_dynamic_stack 0
		.amdhsa_system_sgpr_private_segment_wavefront_offset 0
		.amdhsa_system_sgpr_workgroup_id_x 1
		.amdhsa_system_sgpr_workgroup_id_y 0
		.amdhsa_system_sgpr_workgroup_id_z 0
		.amdhsa_system_sgpr_workgroup_info 0
		.amdhsa_system_vgpr_workitem_id 0
		.amdhsa_next_free_vgpr 1
		.amdhsa_next_free_sgpr 0
		.amdhsa_accum_offset 4
		.amdhsa_reserve_vcc 0
		.amdhsa_reserve_flat_scratch 0
		.amdhsa_float_round_mode_32 0
		.amdhsa_float_round_mode_16_64 0
		.amdhsa_float_denorm_mode_32 3
		.amdhsa_float_denorm_mode_16_64 3
		.amdhsa_dx10_clamp 1
		.amdhsa_ieee_mode 1
		.amdhsa_fp16_overflow 0
		.amdhsa_tg_split 0
		.amdhsa_exception_fp_ieee_invalid_op 0
		.amdhsa_exception_fp_denorm_src 0
		.amdhsa_exception_fp_ieee_div_zero 0
		.amdhsa_exception_fp_ieee_overflow 0
		.amdhsa_exception_fp_ieee_underflow 0
		.amdhsa_exception_fp_ieee_inexact 0
		.amdhsa_exception_int_div_zero 0
	.end_amdhsa_kernel
	.section	.text._ZN7rocprim17ROCPRIM_400000_NS6detail17trampoline_kernelINS0_14default_configENS1_29reduce_by_key_config_selectorIffN6thrust23THRUST_200600_302600_NS4plusIfEEEEZZNS1_33reduce_by_key_impl_wrapped_configILNS1_25lookback_scan_determinismE1ES3_S9_NS6_6detail15normal_iteratorINS6_10device_ptrIfEEEESG_SG_SG_PmS8_NS6_8equal_toIfEEEE10hipError_tPvRmT2_T3_mT4_T5_T6_T7_T8_P12ihipStream_tbENKUlT_T0_E_clISt17integral_constantIbLb1EES10_IbLb0EEEEDaSW_SX_EUlSW_E_NS1_11comp_targetILNS1_3genE5ELNS1_11target_archE942ELNS1_3gpuE9ELNS1_3repE0EEENS1_30default_config_static_selectorELNS0_4arch9wavefront6targetE1EEEvT1_,"axG",@progbits,_ZN7rocprim17ROCPRIM_400000_NS6detail17trampoline_kernelINS0_14default_configENS1_29reduce_by_key_config_selectorIffN6thrust23THRUST_200600_302600_NS4plusIfEEEEZZNS1_33reduce_by_key_impl_wrapped_configILNS1_25lookback_scan_determinismE1ES3_S9_NS6_6detail15normal_iteratorINS6_10device_ptrIfEEEESG_SG_SG_PmS8_NS6_8equal_toIfEEEE10hipError_tPvRmT2_T3_mT4_T5_T6_T7_T8_P12ihipStream_tbENKUlT_T0_E_clISt17integral_constantIbLb1EES10_IbLb0EEEEDaSW_SX_EUlSW_E_NS1_11comp_targetILNS1_3genE5ELNS1_11target_archE942ELNS1_3gpuE9ELNS1_3repE0EEENS1_30default_config_static_selectorELNS0_4arch9wavefront6targetE1EEEvT1_,comdat
.Lfunc_end110:
	.size	_ZN7rocprim17ROCPRIM_400000_NS6detail17trampoline_kernelINS0_14default_configENS1_29reduce_by_key_config_selectorIffN6thrust23THRUST_200600_302600_NS4plusIfEEEEZZNS1_33reduce_by_key_impl_wrapped_configILNS1_25lookback_scan_determinismE1ES3_S9_NS6_6detail15normal_iteratorINS6_10device_ptrIfEEEESG_SG_SG_PmS8_NS6_8equal_toIfEEEE10hipError_tPvRmT2_T3_mT4_T5_T6_T7_T8_P12ihipStream_tbENKUlT_T0_E_clISt17integral_constantIbLb1EES10_IbLb0EEEEDaSW_SX_EUlSW_E_NS1_11comp_targetILNS1_3genE5ELNS1_11target_archE942ELNS1_3gpuE9ELNS1_3repE0EEENS1_30default_config_static_selectorELNS0_4arch9wavefront6targetE1EEEvT1_, .Lfunc_end110-_ZN7rocprim17ROCPRIM_400000_NS6detail17trampoline_kernelINS0_14default_configENS1_29reduce_by_key_config_selectorIffN6thrust23THRUST_200600_302600_NS4plusIfEEEEZZNS1_33reduce_by_key_impl_wrapped_configILNS1_25lookback_scan_determinismE1ES3_S9_NS6_6detail15normal_iteratorINS6_10device_ptrIfEEEESG_SG_SG_PmS8_NS6_8equal_toIfEEEE10hipError_tPvRmT2_T3_mT4_T5_T6_T7_T8_P12ihipStream_tbENKUlT_T0_E_clISt17integral_constantIbLb1EES10_IbLb0EEEEDaSW_SX_EUlSW_E_NS1_11comp_targetILNS1_3genE5ELNS1_11target_archE942ELNS1_3gpuE9ELNS1_3repE0EEENS1_30default_config_static_selectorELNS0_4arch9wavefront6targetE1EEEvT1_
                                        ; -- End function
	.section	.AMDGPU.csdata,"",@progbits
; Kernel info:
; codeLenInByte = 0
; NumSgprs: 4
; NumVgprs: 0
; NumAgprs: 0
; TotalNumVgprs: 0
; ScratchSize: 0
; MemoryBound: 0
; FloatMode: 240
; IeeeMode: 1
; LDSByteSize: 0 bytes/workgroup (compile time only)
; SGPRBlocks: 0
; VGPRBlocks: 0
; NumSGPRsForWavesPerEU: 4
; NumVGPRsForWavesPerEU: 1
; AccumOffset: 4
; Occupancy: 8
; WaveLimiterHint : 0
; COMPUTE_PGM_RSRC2:SCRATCH_EN: 0
; COMPUTE_PGM_RSRC2:USER_SGPR: 6
; COMPUTE_PGM_RSRC2:TRAP_HANDLER: 0
; COMPUTE_PGM_RSRC2:TGID_X_EN: 1
; COMPUTE_PGM_RSRC2:TGID_Y_EN: 0
; COMPUTE_PGM_RSRC2:TGID_Z_EN: 0
; COMPUTE_PGM_RSRC2:TIDIG_COMP_CNT: 0
; COMPUTE_PGM_RSRC3_GFX90A:ACCUM_OFFSET: 0
; COMPUTE_PGM_RSRC3_GFX90A:TG_SPLIT: 0
	.section	.text._ZN7rocprim17ROCPRIM_400000_NS6detail17trampoline_kernelINS0_14default_configENS1_29reduce_by_key_config_selectorIffN6thrust23THRUST_200600_302600_NS4plusIfEEEEZZNS1_33reduce_by_key_impl_wrapped_configILNS1_25lookback_scan_determinismE1ES3_S9_NS6_6detail15normal_iteratorINS6_10device_ptrIfEEEESG_SG_SG_PmS8_NS6_8equal_toIfEEEE10hipError_tPvRmT2_T3_mT4_T5_T6_T7_T8_P12ihipStream_tbENKUlT_T0_E_clISt17integral_constantIbLb1EES10_IbLb0EEEEDaSW_SX_EUlSW_E_NS1_11comp_targetILNS1_3genE4ELNS1_11target_archE910ELNS1_3gpuE8ELNS1_3repE0EEENS1_30default_config_static_selectorELNS0_4arch9wavefront6targetE1EEEvT1_,"axG",@progbits,_ZN7rocprim17ROCPRIM_400000_NS6detail17trampoline_kernelINS0_14default_configENS1_29reduce_by_key_config_selectorIffN6thrust23THRUST_200600_302600_NS4plusIfEEEEZZNS1_33reduce_by_key_impl_wrapped_configILNS1_25lookback_scan_determinismE1ES3_S9_NS6_6detail15normal_iteratorINS6_10device_ptrIfEEEESG_SG_SG_PmS8_NS6_8equal_toIfEEEE10hipError_tPvRmT2_T3_mT4_T5_T6_T7_T8_P12ihipStream_tbENKUlT_T0_E_clISt17integral_constantIbLb1EES10_IbLb0EEEEDaSW_SX_EUlSW_E_NS1_11comp_targetILNS1_3genE4ELNS1_11target_archE910ELNS1_3gpuE8ELNS1_3repE0EEENS1_30default_config_static_selectorELNS0_4arch9wavefront6targetE1EEEvT1_,comdat
	.protected	_ZN7rocprim17ROCPRIM_400000_NS6detail17trampoline_kernelINS0_14default_configENS1_29reduce_by_key_config_selectorIffN6thrust23THRUST_200600_302600_NS4plusIfEEEEZZNS1_33reduce_by_key_impl_wrapped_configILNS1_25lookback_scan_determinismE1ES3_S9_NS6_6detail15normal_iteratorINS6_10device_ptrIfEEEESG_SG_SG_PmS8_NS6_8equal_toIfEEEE10hipError_tPvRmT2_T3_mT4_T5_T6_T7_T8_P12ihipStream_tbENKUlT_T0_E_clISt17integral_constantIbLb1EES10_IbLb0EEEEDaSW_SX_EUlSW_E_NS1_11comp_targetILNS1_3genE4ELNS1_11target_archE910ELNS1_3gpuE8ELNS1_3repE0EEENS1_30default_config_static_selectorELNS0_4arch9wavefront6targetE1EEEvT1_ ; -- Begin function _ZN7rocprim17ROCPRIM_400000_NS6detail17trampoline_kernelINS0_14default_configENS1_29reduce_by_key_config_selectorIffN6thrust23THRUST_200600_302600_NS4plusIfEEEEZZNS1_33reduce_by_key_impl_wrapped_configILNS1_25lookback_scan_determinismE1ES3_S9_NS6_6detail15normal_iteratorINS6_10device_ptrIfEEEESG_SG_SG_PmS8_NS6_8equal_toIfEEEE10hipError_tPvRmT2_T3_mT4_T5_T6_T7_T8_P12ihipStream_tbENKUlT_T0_E_clISt17integral_constantIbLb1EES10_IbLb0EEEEDaSW_SX_EUlSW_E_NS1_11comp_targetILNS1_3genE4ELNS1_11target_archE910ELNS1_3gpuE8ELNS1_3repE0EEENS1_30default_config_static_selectorELNS0_4arch9wavefront6targetE1EEEvT1_
	.globl	_ZN7rocprim17ROCPRIM_400000_NS6detail17trampoline_kernelINS0_14default_configENS1_29reduce_by_key_config_selectorIffN6thrust23THRUST_200600_302600_NS4plusIfEEEEZZNS1_33reduce_by_key_impl_wrapped_configILNS1_25lookback_scan_determinismE1ES3_S9_NS6_6detail15normal_iteratorINS6_10device_ptrIfEEEESG_SG_SG_PmS8_NS6_8equal_toIfEEEE10hipError_tPvRmT2_T3_mT4_T5_T6_T7_T8_P12ihipStream_tbENKUlT_T0_E_clISt17integral_constantIbLb1EES10_IbLb0EEEEDaSW_SX_EUlSW_E_NS1_11comp_targetILNS1_3genE4ELNS1_11target_archE910ELNS1_3gpuE8ELNS1_3repE0EEENS1_30default_config_static_selectorELNS0_4arch9wavefront6targetE1EEEvT1_
	.p2align	8
	.type	_ZN7rocprim17ROCPRIM_400000_NS6detail17trampoline_kernelINS0_14default_configENS1_29reduce_by_key_config_selectorIffN6thrust23THRUST_200600_302600_NS4plusIfEEEEZZNS1_33reduce_by_key_impl_wrapped_configILNS1_25lookback_scan_determinismE1ES3_S9_NS6_6detail15normal_iteratorINS6_10device_ptrIfEEEESG_SG_SG_PmS8_NS6_8equal_toIfEEEE10hipError_tPvRmT2_T3_mT4_T5_T6_T7_T8_P12ihipStream_tbENKUlT_T0_E_clISt17integral_constantIbLb1EES10_IbLb0EEEEDaSW_SX_EUlSW_E_NS1_11comp_targetILNS1_3genE4ELNS1_11target_archE910ELNS1_3gpuE8ELNS1_3repE0EEENS1_30default_config_static_selectorELNS0_4arch9wavefront6targetE1EEEvT1_,@function
_ZN7rocprim17ROCPRIM_400000_NS6detail17trampoline_kernelINS0_14default_configENS1_29reduce_by_key_config_selectorIffN6thrust23THRUST_200600_302600_NS4plusIfEEEEZZNS1_33reduce_by_key_impl_wrapped_configILNS1_25lookback_scan_determinismE1ES3_S9_NS6_6detail15normal_iteratorINS6_10device_ptrIfEEEESG_SG_SG_PmS8_NS6_8equal_toIfEEEE10hipError_tPvRmT2_T3_mT4_T5_T6_T7_T8_P12ihipStream_tbENKUlT_T0_E_clISt17integral_constantIbLb1EES10_IbLb0EEEEDaSW_SX_EUlSW_E_NS1_11comp_targetILNS1_3genE4ELNS1_11target_archE910ELNS1_3gpuE8ELNS1_3repE0EEENS1_30default_config_static_selectorELNS0_4arch9wavefront6targetE1EEEvT1_: ; @_ZN7rocprim17ROCPRIM_400000_NS6detail17trampoline_kernelINS0_14default_configENS1_29reduce_by_key_config_selectorIffN6thrust23THRUST_200600_302600_NS4plusIfEEEEZZNS1_33reduce_by_key_impl_wrapped_configILNS1_25lookback_scan_determinismE1ES3_S9_NS6_6detail15normal_iteratorINS6_10device_ptrIfEEEESG_SG_SG_PmS8_NS6_8equal_toIfEEEE10hipError_tPvRmT2_T3_mT4_T5_T6_T7_T8_P12ihipStream_tbENKUlT_T0_E_clISt17integral_constantIbLb1EES10_IbLb0EEEEDaSW_SX_EUlSW_E_NS1_11comp_targetILNS1_3genE4ELNS1_11target_archE910ELNS1_3gpuE8ELNS1_3repE0EEENS1_30default_config_static_selectorELNS0_4arch9wavefront6targetE1EEEvT1_
; %bb.0:
	s_add_u32 flat_scratch_lo, s6, s9
	s_addc_u32 flat_scratch_hi, s7, 0
	s_add_u32 s0, s0, s9
	s_load_dwordx8 s[36:43], s[4:5], 0x0
	s_load_dwordx4 s[52:55], s[4:5], 0x20
	s_load_dwordx8 s[44:51], s[4:5], 0x38
	s_load_dwordx2 s[60:61], s[4:5], 0x68
	s_load_dwordx4 s[56:59], s[4:5], 0x58
	s_addc_u32 s1, s1, 0
	s_waitcnt lgkmcnt(0)
	s_lshl_b64 s[4:5], s[38:39], 2
	s_add_u32 s6, s36, s4
	s_addc_u32 s7, s37, s5
	s_add_u32 s10, s40, s4
	s_addc_u32 s11, s41, s5
	s_mul_i32 s4, s48, s47
	s_mul_hi_u32 s5, s48, s46
	s_add_i32 s4, s5, s4
	s_mul_i32 s5, s49, s46
	s_add_i32 s12, s4, s5
	s_mul_i32 s4, s8, 0xf00
	s_mov_b32 s5, 0
	s_lshl_b64 s[4:5], s[4:5], 2
	s_add_u32 s9, s6, s4
	s_addc_u32 s62, s7, s5
	s_add_u32 s63, s10, s4
	s_mul_i32 s13, s48, s46
	s_addc_u32 s64, s11, s5
	s_add_u32 s48, s13, s8
	s_addc_u32 s49, s12, 0
	s_add_u32 s6, s50, -1
	s_addc_u32 s7, s51, -1
	s_cmp_eq_u64 s[48:49], s[6:7]
	s_cselect_b64 s[38:39], -1, 0
	s_cmp_lg_u64 s[48:49], s[6:7]
	s_mov_b64 s[4:5], -1
	s_cselect_b64 s[50:51], -1, 0
	s_mul_i32 s33, s6, 0xfffff100
	s_and_b64 vcc, exec, s[38:39]
	s_cbranch_vccnz .LBB111_2
; %bb.1:
	v_lshlrev_b32_e32 v11, 2, v0
	v_mov_b32_e32 v1, s62
	v_add_co_u32_e32 v2, vcc, s9, v11
	v_addc_co_u32_e32 v3, vcc, 0, v1, vcc
	v_add_co_u32_e32 v4, vcc, 0x1000, v2
	v_addc_co_u32_e32 v5, vcc, 0, v3, vcc
	flat_load_dword v1, v[2:3]
	flat_load_dword v12, v[2:3] offset:1024
	flat_load_dword v13, v[2:3] offset:2048
	;; [unrolled: 1-line block ×3, first 2 shown]
	flat_load_dword v15, v[4:5]
	flat_load_dword v16, v[4:5] offset:1024
	flat_load_dword v17, v[4:5] offset:2048
	;; [unrolled: 1-line block ×3, first 2 shown]
	v_add_co_u32_e32 v4, vcc, 0x2000, v2
	v_addc_co_u32_e32 v5, vcc, 0, v3, vcc
	v_add_co_u32_e32 v2, vcc, 0x3000, v2
	v_addc_co_u32_e32 v3, vcc, 0, v3, vcc
	flat_load_dword v19, v[4:5]
	flat_load_dword v20, v[4:5] offset:1024
	flat_load_dword v21, v[4:5] offset:2048
	flat_load_dword v22, v[4:5] offset:3072
	flat_load_dword v23, v[2:3]
	flat_load_dword v24, v[2:3] offset:1024
	flat_load_dword v25, v[2:3] offset:2048
	v_mov_b32_e32 v3, s64
	v_add_co_u32_e32 v2, vcc, s63, v11
	s_movk_i32 s4, 0x1000
	v_addc_co_u32_e32 v3, vcc, 0, v3, vcc
	v_add_co_u32_e32 v4, vcc, s4, v2
	s_movk_i32 s5, 0x2000
	v_addc_co_u32_e32 v5, vcc, 0, v3, vcc
	v_add_co_u32_e32 v6, vcc, s5, v2
	s_movk_i32 s6, 0x3000
	v_addc_co_u32_e32 v7, vcc, 0, v3, vcc
	v_mad_u32_u24 v10, v0, 56, v11
	v_add_co_u32_e32 v8, vcc, s6, v2
	v_addc_co_u32_e32 v9, vcc, 0, v3, vcc
	s_waitcnt vmcnt(0) lgkmcnt(0)
	ds_write2st64_b32 v11, v1, v12 offset1:4
	ds_write2st64_b32 v11, v13, v14 offset0:8 offset1:12
	ds_write2st64_b32 v11, v15, v16 offset0:16 offset1:20
	;; [unrolled: 1-line block ×6, first 2 shown]
	ds_write_b32 v11, v25 offset:14336
	s_waitcnt lgkmcnt(0)
	s_barrier
	ds_read2_b32 v[24:25], v10 offset1:1
	ds_read2_b32 v[22:23], v10 offset0:2 offset1:3
	ds_read2_b32 v[20:21], v10 offset0:4 offset1:5
	;; [unrolled: 1-line block ×6, first 2 shown]
	ds_read_b32 v1, v10 offset:56
	s_waitcnt lgkmcnt(0)
	s_barrier
	flat_load_dword v26, v[2:3]
	flat_load_dword v27, v[2:3] offset:1024
	flat_load_dword v28, v[2:3] offset:2048
	flat_load_dword v29, v[2:3] offset:3072
	flat_load_dword v30, v[4:5]
	flat_load_dword v31, v[4:5] offset:1024
	flat_load_dword v32, v[4:5] offset:2048
	flat_load_dword v33, v[4:5] offset:3072
	;; [unrolled: 4-line block ×3, first 2 shown]
	flat_load_dword v38, v[8:9]
	flat_load_dword v39, v[8:9] offset:1024
	flat_load_dword v40, v[8:9] offset:2048
	v_mov_b32_e32 v8, v24
	v_mov_b32_e32 v9, v22
	;; [unrolled: 1-line block ×7, first 2 shown]
	s_waitcnt vmcnt(0) lgkmcnt(0)
	ds_write2st64_b32 v11, v26, v27 offset1:4
	ds_write2st64_b32 v11, v28, v29 offset0:8 offset1:12
	ds_write2st64_b32 v11, v30, v31 offset0:16 offset1:20
	;; [unrolled: 1-line block ×6, first 2 shown]
	ds_write_b32 v11, v40 offset:14336
	s_waitcnt lgkmcnt(0)
	s_barrier
	s_add_i32 s33, s33, s56
	s_cbranch_execz .LBB111_3
	s_branch .LBB111_50
.LBB111_2:
                                        ; implicit-def: $vgpr1
                                        ; implicit-def: $vgpr12
                                        ; implicit-def: $vgpr14
                                        ; implicit-def: $vgpr16
                                        ; implicit-def: $vgpr18
                                        ; implicit-def: $vgpr20
                                        ; implicit-def: $vgpr22
                                        ; implicit-def: $vgpr24
                                        ; implicit-def: $vgpr10
                                        ; implicit-def: $vgpr2_vgpr3
                                        ; implicit-def: $vgpr4_vgpr5
                                        ; implicit-def: $vgpr8_vgpr9
                                        ; implicit-def: $vgpr6_vgpr7
	s_andn2_b64 vcc, exec, s[4:5]
	s_add_i32 s33, s33, s56
	s_cbranch_vccnz .LBB111_50
.LBB111_3:
	v_cmp_gt_u32_e32 vcc, s33, v0
                                        ; implicit-def: $vgpr1
	s_and_saveexec_b64 s[6:7], vcc
	s_cbranch_execz .LBB111_5
; %bb.4:
	v_lshlrev_b32_e32 v1, 2, v0
	v_mov_b32_e32 v3, s62
	v_add_co_u32_e64 v2, s[4:5], s9, v1
	v_addc_co_u32_e64 v3, s[4:5], 0, v3, s[4:5]
	flat_load_dword v1, v[2:3]
.LBB111_5:
	s_or_b64 exec, exec, s[6:7]
	v_or_b32_e32 v2, 0x100, v0
	v_cmp_gt_u32_e64 s[4:5], s33, v2
                                        ; implicit-def: $vgpr10
	s_and_saveexec_b64 s[10:11], s[4:5]
	s_cbranch_execz .LBB111_7
; %bb.6:
	v_lshlrev_b32_e32 v2, 2, v0
	v_mov_b32_e32 v3, s62
	v_add_co_u32_e64 v2, s[6:7], s9, v2
	v_addc_co_u32_e64 v3, s[6:7], 0, v3, s[6:7]
	flat_load_dword v10, v[2:3] offset:1024
.LBB111_7:
	s_or_b64 exec, exec, s[10:11]
	v_or_b32_e32 v2, 0x200, v0
	v_cmp_gt_u32_e64 s[6:7], s33, v2
                                        ; implicit-def: $vgpr12
	s_and_saveexec_b64 s[12:13], s[6:7]
	s_cbranch_execz .LBB111_9
; %bb.8:
	v_lshlrev_b32_e32 v2, 2, v0
	v_mov_b32_e32 v3, s62
	v_add_co_u32_e64 v2, s[10:11], s9, v2
	v_addc_co_u32_e64 v3, s[10:11], 0, v3, s[10:11]
	flat_load_dword v12, v[2:3] offset:2048
.LBB111_9:
	s_or_b64 exec, exec, s[12:13]
	v_or_b32_e32 v2, 0x300, v0
	v_cmp_gt_u32_e64 s[34:35], s33, v2
                                        ; implicit-def: $vgpr13
	s_and_saveexec_b64 s[12:13], s[34:35]
	s_cbranch_execz .LBB111_11
; %bb.10:
	v_lshlrev_b32_e32 v2, 2, v0
	v_mov_b32_e32 v3, s62
	v_add_co_u32_e64 v2, s[10:11], s9, v2
	v_addc_co_u32_e64 v3, s[10:11], 0, v3, s[10:11]
	flat_load_dword v13, v[2:3] offset:3072
.LBB111_11:
	s_or_b64 exec, exec, s[12:13]
	v_or_b32_e32 v2, 0x400, v0
	v_cmp_gt_u32_e64 s[10:11], s33, v2
                                        ; implicit-def: $vgpr14
	s_and_saveexec_b64 s[14:15], s[10:11]
	s_cbranch_execz .LBB111_13
; %bb.12:
	v_lshlrev_b32_e32 v3, 2, v2
	v_mov_b32_e32 v5, s62
	v_add_co_u32_e64 v4, s[12:13], s9, v3
	v_addc_co_u32_e64 v5, s[12:13], 0, v5, s[12:13]
	flat_load_dword v14, v[4:5]
.LBB111_13:
	s_or_b64 exec, exec, s[14:15]
	v_or_b32_e32 v3, 0x500, v0
	v_cmp_gt_u32_e64 s[12:13], s33, v3
                                        ; implicit-def: $vgpr15
	s_and_saveexec_b64 s[16:17], s[12:13]
	s_cbranch_execz .LBB111_15
; %bb.14:
	v_lshlrev_b32_e32 v4, 2, v3
	v_mov_b32_e32 v5, s62
	v_add_co_u32_e64 v4, s[14:15], s9, v4
	v_addc_co_u32_e64 v5, s[14:15], 0, v5, s[14:15]
	flat_load_dword v15, v[4:5]
.LBB111_15:
	s_or_b64 exec, exec, s[16:17]
	v_or_b32_e32 v4, 0x600, v0
	v_cmp_gt_u32_e64 s[14:15], s33, v4
                                        ; implicit-def: $vgpr16
	s_and_saveexec_b64 s[18:19], s[14:15]
	s_cbranch_execz .LBB111_17
; %bb.16:
	v_lshlrev_b32_e32 v5, 2, v4
	v_mov_b32_e32 v7, s62
	v_add_co_u32_e64 v6, s[16:17], s9, v5
	v_addc_co_u32_e64 v7, s[16:17], 0, v7, s[16:17]
	flat_load_dword v16, v[6:7]
.LBB111_17:
	s_or_b64 exec, exec, s[18:19]
	v_or_b32_e32 v5, 0x700, v0
	v_cmp_gt_u32_e64 s[16:17], s33, v5
                                        ; implicit-def: $vgpr17
	s_and_saveexec_b64 s[20:21], s[16:17]
	s_cbranch_execz .LBB111_19
; %bb.18:
	v_lshlrev_b32_e32 v6, 2, v5
	v_mov_b32_e32 v7, s62
	v_add_co_u32_e64 v6, s[18:19], s9, v6
	v_addc_co_u32_e64 v7, s[18:19], 0, v7, s[18:19]
	flat_load_dword v17, v[6:7]
.LBB111_19:
	s_or_b64 exec, exec, s[20:21]
	v_or_b32_e32 v6, 0x800, v0
	v_cmp_gt_u32_e64 s[18:19], s33, v6
                                        ; implicit-def: $vgpr18
	s_and_saveexec_b64 s[22:23], s[18:19]
	s_cbranch_execz .LBB111_21
; %bb.20:
	v_lshlrev_b32_e32 v7, 2, v6
	v_mov_b32_e32 v9, s62
	v_add_co_u32_e64 v8, s[20:21], s9, v7
	v_addc_co_u32_e64 v9, s[20:21], 0, v9, s[20:21]
	flat_load_dword v18, v[8:9]
.LBB111_21:
	s_or_b64 exec, exec, s[22:23]
	v_or_b32_e32 v8, 0x900, v0
	v_cmp_gt_u32_e64 s[20:21], s33, v8
                                        ; implicit-def: $vgpr19
	s_and_saveexec_b64 s[24:25], s[20:21]
	s_cbranch_execz .LBB111_23
; %bb.22:
	v_lshlrev_b32_e32 v7, 2, v8
	v_mov_b32_e32 v9, s62
	v_add_co_u32_e64 v20, s[22:23], s9, v7
	v_addc_co_u32_e64 v21, s[22:23], 0, v9, s[22:23]
	flat_load_dword v19, v[20:21]
.LBB111_23:
	s_or_b64 exec, exec, s[24:25]
	v_or_b32_e32 v9, 0xa00, v0
	v_cmp_gt_u32_e64 s[22:23], s33, v9
                                        ; implicit-def: $vgpr20
	s_and_saveexec_b64 s[26:27], s[22:23]
	s_cbranch_execz .LBB111_25
; %bb.24:
	v_lshlrev_b32_e32 v7, 2, v9
	v_mov_b32_e32 v11, s62
	v_add_co_u32_e64 v20, s[24:25], s9, v7
	v_addc_co_u32_e64 v21, s[24:25], 0, v11, s[24:25]
	flat_load_dword v20, v[20:21]
.LBB111_25:
	s_or_b64 exec, exec, s[26:27]
	v_or_b32_e32 v11, 0xb00, v0
	v_cmp_gt_u32_e64 s[24:25], s33, v11
                                        ; implicit-def: $vgpr21
	s_and_saveexec_b64 s[28:29], s[24:25]
	s_cbranch_execz .LBB111_27
; %bb.26:
	v_lshlrev_b32_e32 v7, 2, v11
	v_mov_b32_e32 v21, s62
	v_add_co_u32_e64 v22, s[26:27], s9, v7
	v_addc_co_u32_e64 v23, s[26:27], 0, v21, s[26:27]
	flat_load_dword v21, v[22:23]
.LBB111_27:
	s_or_b64 exec, exec, s[28:29]
	v_or_b32_e32 v26, 0xc00, v0
	v_cmp_gt_u32_e64 s[26:27], s33, v26
                                        ; implicit-def: $vgpr22
	s_and_saveexec_b64 s[30:31], s[26:27]
	s_cbranch_execz .LBB111_29
; %bb.28:
	v_lshlrev_b32_e32 v7, 2, v26
	v_mov_b32_e32 v23, s62
	v_add_co_u32_e64 v22, s[28:29], s9, v7
	v_addc_co_u32_e64 v23, s[28:29], 0, v23, s[28:29]
	flat_load_dword v22, v[22:23]
.LBB111_29:
	s_or_b64 exec, exec, s[30:31]
	v_or_b32_e32 v27, 0xd00, v0
	v_cmp_gt_u32_e64 s[28:29], s33, v27
                                        ; implicit-def: $vgpr23
	s_and_saveexec_b64 s[36:37], s[28:29]
	s_cbranch_execz .LBB111_31
; %bb.30:
	v_lshlrev_b32_e32 v7, 2, v27
	v_mov_b32_e32 v23, s62
	v_add_co_u32_e64 v24, s[30:31], s9, v7
	v_addc_co_u32_e64 v25, s[30:31], 0, v23, s[30:31]
	flat_load_dword v23, v[24:25]
.LBB111_31:
	s_or_b64 exec, exec, s[36:37]
	v_or_b32_e32 v28, 0xe00, v0
	v_cmp_gt_u32_e64 s[30:31], s33, v28
                                        ; implicit-def: $vgpr24
	s_and_saveexec_b64 s[40:41], s[30:31]
	s_cbranch_execz .LBB111_33
; %bb.32:
	v_lshlrev_b32_e32 v7, 2, v28
	v_mov_b32_e32 v25, s62
	v_add_co_u32_e64 v24, s[36:37], s9, v7
	v_addc_co_u32_e64 v25, s[36:37], 0, v25, s[36:37]
	flat_load_dword v24, v[24:25]
.LBB111_33:
	s_or_b64 exec, exec, s[40:41]
	v_lshlrev_b32_e32 v7, 2, v0
	s_waitcnt vmcnt(0) lgkmcnt(0)
	ds_write2st64_b32 v7, v1, v10 offset1:4
	ds_write2st64_b32 v7, v12, v13 offset0:8 offset1:12
	ds_write2st64_b32 v7, v14, v15 offset0:16 offset1:20
	;; [unrolled: 1-line block ×6, first 2 shown]
	ds_write_b32 v7, v24 offset:14336
	v_mad_u32_u24 v10, v0, 56, v7
	s_waitcnt lgkmcnt(0)
	s_barrier
	ds_read2_b32 v[24:25], v10 offset1:1
	ds_read2_b32 v[22:23], v10 offset0:2 offset1:3
	ds_read2_b32 v[20:21], v10 offset0:4 offset1:5
	ds_read2_b32 v[18:19], v10 offset0:6 offset1:7
	ds_read2_b32 v[16:17], v10 offset0:8 offset1:9
	ds_read2_b32 v[14:15], v10 offset0:10 offset1:11
	ds_read2_b32 v[12:13], v10 offset0:12 offset1:13
	ds_read_b32 v1, v10 offset:56
	s_waitcnt lgkmcnt(0)
	s_barrier
	s_waitcnt lgkmcnt(0)
                                        ; implicit-def: $vgpr29
	s_and_saveexec_b64 s[36:37], vcc
	s_cbranch_execz .LBB111_56
; %bb.34:
	v_mov_b32_e32 v29, s64
	v_add_co_u32_e32 v30, vcc, s63, v7
	v_addc_co_u32_e32 v31, vcc, 0, v29, vcc
	flat_load_dword v29, v[30:31]
	s_or_b64 exec, exec, s[36:37]
                                        ; implicit-def: $vgpr30
	s_and_saveexec_b64 s[36:37], s[4:5]
	s_cbranch_execnz .LBB111_57
.LBB111_35:
	s_or_b64 exec, exec, s[36:37]
                                        ; implicit-def: $vgpr31
	s_and_saveexec_b64 s[4:5], s[6:7]
	s_cbranch_execz .LBB111_58
.LBB111_36:
	v_mov_b32_e32 v31, s64
	v_add_co_u32_e32 v32, vcc, s63, v7
	v_addc_co_u32_e32 v33, vcc, 0, v31, vcc
	flat_load_dword v31, v[32:33] offset:2048
	s_or_b64 exec, exec, s[4:5]
                                        ; implicit-def: $vgpr32
	s_and_saveexec_b64 s[4:5], s[34:35]
	s_cbranch_execnz .LBB111_59
.LBB111_37:
	s_or_b64 exec, exec, s[4:5]
                                        ; implicit-def: $vgpr33
	s_and_saveexec_b64 s[4:5], s[10:11]
	s_cbranch_execz .LBB111_60
.LBB111_38:
	v_lshlrev_b32_e32 v2, 2, v2
	v_mov_b32_e32 v33, s64
	v_add_co_u32_e32 v34, vcc, s63, v2
	v_addc_co_u32_e32 v35, vcc, 0, v33, vcc
	flat_load_dword v33, v[34:35]
	s_or_b64 exec, exec, s[4:5]
                                        ; implicit-def: $vgpr2
	s_and_saveexec_b64 s[4:5], s[12:13]
	s_cbranch_execnz .LBB111_61
.LBB111_39:
	s_or_b64 exec, exec, s[4:5]
                                        ; implicit-def: $vgpr3
	s_and_saveexec_b64 s[4:5], s[14:15]
	s_cbranch_execz .LBB111_62
.LBB111_40:
	v_lshlrev_b32_e32 v3, 2, v4
	v_mov_b32_e32 v4, s64
	v_add_co_u32_e32 v34, vcc, s63, v3
	v_addc_co_u32_e32 v35, vcc, 0, v4, vcc
	flat_load_dword v3, v[34:35]
	s_or_b64 exec, exec, s[4:5]
                                        ; implicit-def: $vgpr4
	s_and_saveexec_b64 s[4:5], s[16:17]
	s_cbranch_execnz .LBB111_63
.LBB111_41:
	s_or_b64 exec, exec, s[4:5]
                                        ; implicit-def: $vgpr5
	s_and_saveexec_b64 s[4:5], s[18:19]
	s_cbranch_execz .LBB111_64
.LBB111_42:
	v_lshlrev_b32_e32 v5, 2, v6
	v_mov_b32_e32 v6, s64
	v_add_co_u32_e32 v34, vcc, s63, v5
	v_addc_co_u32_e32 v35, vcc, 0, v6, vcc
	flat_load_dword v5, v[34:35]
	s_or_b64 exec, exec, s[4:5]
                                        ; implicit-def: $vgpr6
	s_and_saveexec_b64 s[4:5], s[20:21]
	s_cbranch_execnz .LBB111_65
.LBB111_43:
	s_or_b64 exec, exec, s[4:5]
                                        ; implicit-def: $vgpr8
	s_and_saveexec_b64 s[4:5], s[22:23]
	s_cbranch_execz .LBB111_66
.LBB111_44:
	v_lshlrev_b32_e32 v8, 2, v9
	v_mov_b32_e32 v9, s64
	v_add_co_u32_e32 v8, vcc, s63, v8
	v_addc_co_u32_e32 v9, vcc, 0, v9, vcc
	flat_load_dword v8, v[8:9]
	s_or_b64 exec, exec, s[4:5]
                                        ; implicit-def: $vgpr9
	s_and_saveexec_b64 s[4:5], s[24:25]
	s_cbranch_execnz .LBB111_67
.LBB111_45:
	s_or_b64 exec, exec, s[4:5]
                                        ; implicit-def: $vgpr11
	s_and_saveexec_b64 s[4:5], s[26:27]
	s_cbranch_execz .LBB111_68
.LBB111_46:
	v_lshlrev_b32_e32 v11, 2, v26
	v_mov_b32_e32 v26, s64
	v_add_co_u32_e32 v34, vcc, s63, v11
	v_addc_co_u32_e32 v35, vcc, 0, v26, vcc
	flat_load_dword v11, v[34:35]
	s_or_b64 exec, exec, s[4:5]
                                        ; implicit-def: $vgpr26
	s_and_saveexec_b64 s[4:5], s[28:29]
	s_cbranch_execnz .LBB111_69
.LBB111_47:
	s_or_b64 exec, exec, s[4:5]
                                        ; implicit-def: $vgpr27
	s_and_saveexec_b64 s[4:5], s[30:31]
	s_cbranch_execz .LBB111_49
.LBB111_48:
	v_lshlrev_b32_e32 v27, 2, v28
	v_mov_b32_e32 v28, s64
	v_add_co_u32_e32 v34, vcc, s63, v27
	v_addc_co_u32_e32 v35, vcc, 0, v28, vcc
	flat_load_dword v27, v[34:35]
.LBB111_49:
	s_or_b64 exec, exec, s[4:5]
	s_waitcnt vmcnt(0) lgkmcnt(0)
	ds_write2st64_b32 v7, v29, v30 offset1:4
	ds_write2st64_b32 v7, v31, v32 offset0:8 offset1:12
	ds_write2st64_b32 v7, v33, v2 offset0:16 offset1:20
	;; [unrolled: 1-line block ×6, first 2 shown]
	ds_write_b32 v7, v27 offset:14336
	v_mov_b32_e32 v8, v24
	v_mov_b32_e32 v9, v22
	;; [unrolled: 1-line block ×7, first 2 shown]
	s_waitcnt lgkmcnt(0)
	s_barrier
.LBB111_50:
	ds_read2_b32 v[38:39], v10 offset1:1
	ds_read2_b32 v[36:37], v10 offset0:2 offset1:3
	ds_read2_b32 v[34:35], v10 offset0:4 offset1:5
	ds_read2_b32 v[32:33], v10 offset0:6 offset1:7
	ds_read2_b32 v[30:31], v10 offset0:8 offset1:9
	ds_read2_b32 v[28:29], v10 offset0:10 offset1:11
	ds_read2_b32 v[26:27], v10 offset0:12 offset1:13
	ds_read_b32 v59, v10 offset:56
	s_cmp_eq_u64 s[48:49], 0
	s_cselect_b64 s[40:41], -1, 0
	s_cmp_lg_u64 s[48:49], 0
	s_mov_b64 s[6:7], 0
	s_cselect_b64 s[10:11], -1, 0
	s_and_b64 vcc, exec, s[50:51]
	s_waitcnt lgkmcnt(0)
	s_barrier
	s_cbranch_vccz .LBB111_70
; %bb.51:
	s_and_b64 vcc, exec, s[10:11]
	s_cbranch_vccz .LBB111_110
; %bb.52:
	v_mov_b32_e32 v7, s62
	v_add_co_u32_e64 v10, vcc, -4, s9
	v_addc_co_u32_e32 v11, vcc, -1, v7, vcc
	flat_load_dword v7, v[10:11]
	v_lshlrev_b32_e32 v10, 2, v0
	v_cmp_ne_u32_e32 vcc, 0, v0
	ds_write_b32 v10, v1
	s_waitcnt lgkmcnt(0)
	s_barrier
	s_and_saveexec_b64 s[4:5], vcc
	s_cbranch_execz .LBB111_54
; %bb.53:
	s_waitcnt vmcnt(0)
	v_add_u32_e32 v7, -4, v10
	ds_read_b32 v7, v7
.LBB111_54:
	s_or_b64 exec, exec, s[4:5]
	v_cmp_neq_f32_e32 vcc, v8, v25
	v_cndmask_b32_e64 v57, 0, 1, vcc
	v_cmp_neq_f32_e32 vcc, v9, v25
	v_cndmask_b32_e64 v56, 0, 1, vcc
	;; [unrolled: 2-line block ×14, first 2 shown]
	s_waitcnt vmcnt(0) lgkmcnt(0)
	v_cmp_neq_f32_e64 s[4:5], v7, v24
	s_mov_b64 s[6:7], -1
.LBB111_55:
                                        ; implicit-def: $sgpr14
	s_branch .LBB111_71
.LBB111_56:
	s_or_b64 exec, exec, s[36:37]
                                        ; implicit-def: $vgpr30
	s_and_saveexec_b64 s[36:37], s[4:5]
	s_cbranch_execz .LBB111_35
.LBB111_57:
	v_mov_b32_e32 v31, s64
	v_add_co_u32_e32 v30, vcc, s63, v7
	v_addc_co_u32_e32 v31, vcc, 0, v31, vcc
	flat_load_dword v30, v[30:31] offset:1024
	s_or_b64 exec, exec, s[36:37]
                                        ; implicit-def: $vgpr31
	s_and_saveexec_b64 s[4:5], s[6:7]
	s_cbranch_execnz .LBB111_36
.LBB111_58:
	s_or_b64 exec, exec, s[4:5]
                                        ; implicit-def: $vgpr32
	s_and_saveexec_b64 s[4:5], s[34:35]
	s_cbranch_execz .LBB111_37
.LBB111_59:
	v_mov_b32_e32 v33, s64
	v_add_co_u32_e32 v32, vcc, s63, v7
	v_addc_co_u32_e32 v33, vcc, 0, v33, vcc
	flat_load_dword v32, v[32:33] offset:3072
	s_or_b64 exec, exec, s[4:5]
                                        ; implicit-def: $vgpr33
	s_and_saveexec_b64 s[4:5], s[10:11]
	s_cbranch_execnz .LBB111_38
.LBB111_60:
	s_or_b64 exec, exec, s[4:5]
                                        ; implicit-def: $vgpr2
	s_and_saveexec_b64 s[4:5], s[12:13]
	s_cbranch_execz .LBB111_39
.LBB111_61:
	v_lshlrev_b32_e32 v2, 2, v3
	v_mov_b32_e32 v3, s64
	v_add_co_u32_e32 v2, vcc, s63, v2
	v_addc_co_u32_e32 v3, vcc, 0, v3, vcc
	flat_load_dword v2, v[2:3]
	s_or_b64 exec, exec, s[4:5]
                                        ; implicit-def: $vgpr3
	s_and_saveexec_b64 s[4:5], s[14:15]
	s_cbranch_execnz .LBB111_40
.LBB111_62:
	s_or_b64 exec, exec, s[4:5]
                                        ; implicit-def: $vgpr4
	s_and_saveexec_b64 s[4:5], s[16:17]
	s_cbranch_execz .LBB111_41
.LBB111_63:
	v_lshlrev_b32_e32 v4, 2, v5
	v_mov_b32_e32 v5, s64
	v_add_co_u32_e32 v4, vcc, s63, v4
	v_addc_co_u32_e32 v5, vcc, 0, v5, vcc
	flat_load_dword v4, v[4:5]
	s_or_b64 exec, exec, s[4:5]
                                        ; implicit-def: $vgpr5
	s_and_saveexec_b64 s[4:5], s[18:19]
	s_cbranch_execnz .LBB111_42
.LBB111_64:
	s_or_b64 exec, exec, s[4:5]
                                        ; implicit-def: $vgpr6
	s_and_saveexec_b64 s[4:5], s[20:21]
	s_cbranch_execz .LBB111_43
.LBB111_65:
	v_lshlrev_b32_e32 v6, 2, v8
	v_mov_b32_e32 v8, s64
	v_add_co_u32_e32 v34, vcc, s63, v6
	v_addc_co_u32_e32 v35, vcc, 0, v8, vcc
	flat_load_dword v6, v[34:35]
	s_or_b64 exec, exec, s[4:5]
                                        ; implicit-def: $vgpr8
	s_and_saveexec_b64 s[4:5], s[22:23]
	s_cbranch_execnz .LBB111_44
.LBB111_66:
	s_or_b64 exec, exec, s[4:5]
                                        ; implicit-def: $vgpr9
	s_and_saveexec_b64 s[4:5], s[24:25]
	s_cbranch_execz .LBB111_45
.LBB111_67:
	v_lshlrev_b32_e32 v9, 2, v11
	v_mov_b32_e32 v11, s64
	v_add_co_u32_e32 v34, vcc, s63, v9
	v_addc_co_u32_e32 v35, vcc, 0, v11, vcc
	flat_load_dword v9, v[34:35]
	s_or_b64 exec, exec, s[4:5]
                                        ; implicit-def: $vgpr11
	s_and_saveexec_b64 s[4:5], s[26:27]
	s_cbranch_execnz .LBB111_46
.LBB111_68:
	s_or_b64 exec, exec, s[4:5]
                                        ; implicit-def: $vgpr26
	s_and_saveexec_b64 s[4:5], s[28:29]
	s_cbranch_execz .LBB111_47
.LBB111_69:
	v_lshlrev_b32_e32 v26, 2, v27
	v_mov_b32_e32 v27, s64
	v_add_co_u32_e32 v26, vcc, s63, v26
	v_addc_co_u32_e32 v27, vcc, 0, v27, vcc
	flat_load_dword v26, v[26:27]
	s_or_b64 exec, exec, s[4:5]
                                        ; implicit-def: $vgpr27
	s_and_saveexec_b64 s[4:5], s[30:31]
	s_cbranch_execnz .LBB111_48
	s_branch .LBB111_49
.LBB111_70:
                                        ; implicit-def: $sgpr4_sgpr5
                                        ; implicit-def: $vgpr44
                                        ; implicit-def: $vgpr45
                                        ; implicit-def: $vgpr46
                                        ; implicit-def: $vgpr47
                                        ; implicit-def: $vgpr48
                                        ; implicit-def: $vgpr49
                                        ; implicit-def: $vgpr50
                                        ; implicit-def: $vgpr51
                                        ; implicit-def: $vgpr52
                                        ; implicit-def: $vgpr53
                                        ; implicit-def: $vgpr54
                                        ; implicit-def: $vgpr55
                                        ; implicit-def: $vgpr56
                                        ; implicit-def: $vgpr57
                                        ; implicit-def: $sgpr14
	s_cbranch_execnz .LBB111_114
.LBB111_71:
	v_mov_b32_e32 v58, s14
	s_and_saveexec_b64 s[10:11], s[6:7]
.LBB111_72:
	v_cndmask_b32_e64 v58, 0, 1, s[4:5]
.LBB111_73:
	s_or_b64 exec, exec, s[10:11]
	s_cmp_eq_u64 s[46:47], 0
	v_add3_u32 v2, v57, v58, v56
	s_mov_b64 s[48:49], 0
	s_cselect_b64 s[46:47], -1, 0
	s_cmp_lg_u32 s8, 0
	v_add_f32_e32 v78, v38, v39
	v_cmp_eq_u32_e64 s[28:29], 0, v57
	v_cmp_eq_u32_e64 s[26:27], 0, v56
	;; [unrolled: 1-line block ×3, first 2 shown]
	v_add3_u32 v77, v2, v55, v54
	v_cmp_eq_u32_e64 s[24:25], 0, v54
	v_cmp_eq_u32_e64 s[20:21], 0, v53
	;; [unrolled: 1-line block ×10, first 2 shown]
	v_cmp_eq_u32_e32 vcc, 0, v44
	v_mbcnt_lo_u32_b32 v76, -1, 0
	v_lshrrev_b32_e32 v74, 6, v0
	v_or_b32_e32 v75, 63, v0
	s_cbranch_scc0 .LBB111_108
; %bb.74:
	v_cndmask_b32_e64 v2, v39, v78, s[28:29]
	v_add_f32_e32 v2, v36, v2
	v_cndmask_b32_e64 v2, v36, v2, s[26:27]
	v_add_f32_e32 v2, v37, v2
	;; [unrolled: 2-line block ×11, first 2 shown]
	v_cndmask_b32_e64 v2, v26, v2, s[6:7]
	v_add3_u32 v3, v77, v53, v52
	v_add_f32_e32 v2, v27, v2
	v_add3_u32 v3, v3, v51, v50
	v_cndmask_b32_e64 v2, v27, v2, s[4:5]
	v_add3_u32 v3, v3, v49, v48
	v_add_f32_e32 v2, v59, v2
	v_add3_u32 v3, v3, v47, v46
	v_cndmask_b32_e32 v2, v59, v2, vcc
	v_add3_u32 v3, v3, v45, v44
	v_mbcnt_hi_u32_b32 v8, -1, v76
	v_mov_b32_dpp v6, v2 row_shr:1 row_mask:0xf bank_mask:0xf
	v_and_b32_e32 v4, 15, v8
	v_add_f32_e32 v6, v2, v6
	v_cmp_eq_u32_e32 vcc, 0, v3
	v_mov_b32_dpp v5, v3 row_shr:1 row_mask:0xf bank_mask:0xf
	v_cndmask_b32_e32 v6, v2, v6, vcc
	v_cmp_eq_u32_e32 vcc, 0, v4
	v_cndmask_b32_e64 v5, v5, 0, vcc
	v_cndmask_b32_e32 v2, v6, v2, vcc
	v_add_u32_e32 v3, v5, v3
	v_cmp_eq_u32_e32 vcc, 0, v3
	v_mov_b32_dpp v6, v2 row_shr:2 row_mask:0xf bank_mask:0xf
	v_add_f32_e32 v6, v2, v6
	v_mov_b32_dpp v5, v3 row_shr:2 row_mask:0xf bank_mask:0xf
	v_cndmask_b32_e32 v6, v2, v6, vcc
	v_cmp_lt_u32_e32 vcc, 1, v4
	v_cndmask_b32_e32 v2, v2, v6, vcc
	v_cndmask_b32_e32 v5, 0, v5, vcc
	v_add_u32_e32 v3, v3, v5
	v_mov_b32_dpp v6, v2 row_shr:4 row_mask:0xf bank_mask:0xf
	v_add_f32_e32 v6, v2, v6
	v_cmp_eq_u32_e32 vcc, 0, v3
	v_mov_b32_dpp v5, v3 row_shr:4 row_mask:0xf bank_mask:0xf
	v_cndmask_b32_e32 v6, v2, v6, vcc
	v_cmp_lt_u32_e32 vcc, 3, v4
	v_cndmask_b32_e32 v2, v2, v6, vcc
	v_cndmask_b32_e32 v5, 0, v5, vcc
	v_add_u32_e32 v3, v5, v3
	v_mov_b32_dpp v6, v2 row_shr:8 row_mask:0xf bank_mask:0xf
	v_add_f32_e32 v6, v2, v6
	v_cmp_eq_u32_e32 vcc, 0, v3
	v_mov_b32_dpp v5, v3 row_shr:8 row_mask:0xf bank_mask:0xf
	v_cndmask_b32_e32 v6, v2, v6, vcc
	v_cmp_lt_u32_e32 vcc, 7, v4
	v_cndmask_b32_e32 v2, v2, v6, vcc
	v_cndmask_b32_e32 v4, 0, v5, vcc
	v_add_u32_e32 v3, v4, v3
	v_mov_b32_dpp v5, v2 row_bcast:15 row_mask:0xf bank_mask:0xf
	v_bfe_i32 v6, v8, 4, 1
	v_mov_b32_dpp v4, v3 row_bcast:15 row_mask:0xf bank_mask:0xf
	v_and_b32_e32 v7, 16, v8
	v_add_f32_e32 v5, v2, v5
	v_cmp_eq_u32_e32 vcc, 0, v3
	v_cndmask_b32_e32 v5, v2, v5, vcc
	v_and_b32_e32 v4, v6, v4
	v_cmp_eq_u32_e32 vcc, 0, v7
	v_add_u32_e32 v4, v4, v3
	v_cndmask_b32_e32 v3, v5, v2, vcc
	v_cmp_eq_u32_e32 vcc, 0, v4
	v_mov_b32_dpp v2, v4 row_bcast:31 row_mask:0xf bank_mask:0xf
	v_mov_b32_dpp v5, v3 row_bcast:31 row_mask:0xf bank_mask:0xf
	v_add_f32_e32 v5, v3, v5
	v_cndmask_b32_e32 v6, v3, v5, vcc
	v_cmp_lt_u32_e32 vcc, 31, v8
	v_cndmask_b32_e32 v2, 0, v2, vcc
	v_add_u32_e32 v2, v2, v4
	v_cmp_eq_u32_e64 s[30:31], v75, v0
	v_lshlrev_b32_e32 v5, 3, v74
	v_cndmask_b32_e32 v4, v3, v6, vcc
	s_and_saveexec_b64 s[36:37], s[30:31]
	s_cbranch_execz .LBB111_76
; %bb.75:
	v_cndmask_b32_e32 v3, v3, v6, vcc
	ds_write_b64 v5, v[2:3] offset:2064
.LBB111_76:
	s_or_b64 exec, exec, s[36:37]
	v_cmp_gt_u32_e32 vcc, 4, v0
	s_waitcnt lgkmcnt(0)
	s_barrier
	s_and_saveexec_b64 s[36:37], vcc
	s_cbranch_execz .LBB111_78
; %bb.77:
	v_lshlrev_b32_e32 v3, 3, v0
	ds_read_b64 v[6:7], v3 offset:2064
	v_and_b32_e32 v9, 3, v8
	v_cmp_lt_u32_e64 s[30:31], 1, v9
	s_waitcnt lgkmcnt(0)
	v_mov_b32_dpp v11, v7 row_shr:1 row_mask:0xf bank_mask:0xf
	v_add_f32_e32 v11, v7, v11
	v_cmp_eq_u32_e32 vcc, 0, v6
	v_mov_b32_dpp v10, v6 row_shr:1 row_mask:0xf bank_mask:0xf
	v_cndmask_b32_e32 v11, v7, v11, vcc
	v_cmp_eq_u32_e32 vcc, 0, v9
	v_cndmask_b32_e64 v10, v10, 0, vcc
	v_add_u32_e32 v6, v10, v6
	v_cndmask_b32_e32 v7, v11, v7, vcc
	v_cmp_eq_u32_e32 vcc, 0, v6
	v_mov_b32_dpp v10, v6 row_shr:2 row_mask:0xf bank_mask:0xf
	v_mov_b32_dpp v11, v7 row_shr:2 row_mask:0xf bank_mask:0xf
	v_add_f32_e32 v11, v7, v11
	v_cndmask_b32_e64 v9, 0, v10, s[30:31]
	s_and_b64 vcc, s[30:31], vcc
	v_add_u32_e32 v6, v9, v6
	v_cndmask_b32_e32 v7, v7, v11, vcc
	ds_write_b64 v3, v[6:7] offset:2064
.LBB111_78:
	s_or_b64 exec, exec, s[36:37]
	v_cmp_gt_u32_e32 vcc, 64, v0
	v_cmp_lt_u32_e64 s[30:31], 63, v0
	v_mov_b32_e32 v40, 0
	v_mov_b32_e32 v41, 0
	s_waitcnt lgkmcnt(0)
	s_barrier
	s_and_saveexec_b64 s[36:37], s[30:31]
	s_cbranch_execz .LBB111_80
; %bb.79:
	ds_read_b64 v[40:41], v5 offset:2056
	v_cmp_eq_u32_e64 s[30:31], 0, v2
	s_waitcnt lgkmcnt(0)
	v_add_u32_e32 v3, v40, v2
	v_add_f32_e32 v5, v4, v41
	v_cndmask_b32_e64 v4, v4, v5, s[30:31]
	v_mov_b32_e32 v2, v3
.LBB111_80:
	s_or_b64 exec, exec, s[36:37]
	v_add_u32_e32 v3, -1, v8
	v_and_b32_e32 v5, 64, v8
	v_cmp_lt_i32_e64 s[30:31], v3, v5
	v_cndmask_b32_e64 v3, v3, v8, s[30:31]
	v_lshlrev_b32_e32 v3, 2, v3
	ds_bpermute_b32 v79, v3, v2
	ds_bpermute_b32 v80, v3, v4
	v_cmp_eq_u32_e64 s[30:31], 0, v8
	s_mov_b64 s[56:57], -1
	s_mov_b64 s[36:37], 0
	s_and_saveexec_b64 s[50:51], vcc
                                        ; implicit-def: $vgpr3_vgpr4_vgpr5
	s_cbranch_execz .LBB111_142
; %bb.81:
	v_mov_b32_e32 v7, 0
	ds_read_b64 v[2:3], v7 offset:2088
	s_waitcnt lgkmcnt(0)
	v_readfirstlane_b32 s9, v3
	s_and_saveexec_b64 s[36:37], s[30:31]
	s_cbranch_execz .LBB111_83
; %bb.82:
	s_add_i32 s56, s8, 64
	s_mov_b32 s57, 0
	s_lshl_b64 s[62:63], s[56:57], 4
	s_add_u32 s62, s44, s62
	s_addc_u32 s63, s45, s63
	s_and_b32 s65, s9, 0xff000000
	s_mov_b32 s64, s57
	s_and_b32 s67, s9, 0xff0000
	s_mov_b32 s66, s57
	s_or_b64 s[64:65], s[66:67], s[64:65]
	s_and_b32 s67, s9, 0xff00
	s_or_b64 s[64:65], s[64:65], s[66:67]
	s_and_b32 s67, s9, 0xff
	s_or_b64 s[56:57], s[64:65], s[66:67]
	v_mov_b32_e32 v5, s57
	v_mov_b32_e32 v6, 1
	;; [unrolled: 1-line block ×3, first 2 shown]
	v_pk_mov_b32 v[10:11], s[62:63], s[62:63] op_sel:[0,1]
	;;#ASMSTART
	global_store_dwordx4 v[10:11], v[4:7] off	
s_waitcnt vmcnt(0)
	;;#ASMEND
.LBB111_83:
	s_or_b64 exec, exec, s[36:37]
	v_xad_u32 v42, v8, -1, s8
	v_add_u32_e32 v6, 64, v42
	v_lshlrev_b64 v[4:5], 4, v[6:7]
	buffer_store_dword v7, off, s[0:3], 0
	buffer_store_dword v7, off, s[0:3], 0 offset:4
	buffer_store_dword v7, off, s[0:3], 0 offset:8
	;; [unrolled: 1-line block ×7, first 2 shown]
	v_mov_b32_e32 v6, s45
	v_add_co_u32_e32 v4, vcc, s44, v4
	s_mov_b32 s36, 0x70605
	v_addc_co_u32_e32 v5, vcc, v6, v5, vcc
	;;#ASMSTART
	global_load_dwordx4 v[8:11], v[4:5] off glc	
s_waitcnt vmcnt(0)
	;;#ASMEND
	v_perm_b32 v6, v9, v10, s36
	s_mov_b32 s36, 0x1000706
	v_perm_b32 v43, v9, v10, s36
	s_mov_b32 s36, 0x2010007
	v_perm_b32 v60, v9, v10, s36
	v_lshlrev_b32_e32 v6, 8, v6
	s_mov_b32 s36, 0xc0c0500
	v_alignbit_b32 v11, v9, v8, 8
	v_alignbit_b32 v63, v9, v8, 16
	v_alignbit_b32 v64, v9, v8, 24
	v_perm_b32 v6, v6, v9, s36
	v_lshlrev_b32_e32 v9, 16, v43
	v_and_b32_e32 v9, 0xff0000, v9
	v_lshlrev_b32_e32 v43, 24, v60
	v_or3_b32 v9, v6, v9, v43
	v_cmp_eq_u16_sdwa s[56:57], v10, v7 src0_sel:BYTE_0 src1_sel:DWORD
	s_and_saveexec_b64 s[36:37], s[56:57]
	s_cbranch_execz .LBB111_89
; %bb.84:
	s_mov_b32 s62, 1
	s_mov_b64 s[56:57], 0
	v_mov_b32_e32 v6, 0
.LBB111_85:                             ; =>This Loop Header: Depth=1
                                        ;     Child Loop BB111_86 Depth 2
	s_max_u32 s63, s62, 1
.LBB111_86:                             ;   Parent Loop BB111_85 Depth=1
                                        ; =>  This Inner Loop Header: Depth=2
	s_add_i32 s63, s63, -1
	s_cmp_eq_u32 s63, 0
	s_sleep 1
	s_cbranch_scc0 .LBB111_86
; %bb.87:                               ;   in Loop: Header=BB111_85 Depth=1
	s_cmp_lt_u32 s62, 32
	s_cselect_b64 s[64:65], -1, 0
	s_cmp_lg_u64 s[64:65], 0
	s_addc_u32 s62, s62, 0
	;;#ASMSTART
	global_load_dwordx4 v[8:11], v[4:5] off glc	
s_waitcnt vmcnt(0)
	;;#ASMEND
	v_cmp_ne_u16_sdwa s[64:65], v10, v6 src0_sel:BYTE_0 src1_sel:DWORD
	s_or_b64 s[56:57], s[64:65], s[56:57]
	s_andn2_b64 exec, exec, s[56:57]
	s_cbranch_execnz .LBB111_85
; %bb.88:
	s_or_b64 exec, exec, s[56:57]
	s_mov_b32 s56, 0x70605
	v_perm_b32 v4, v9, v10, s56
	s_mov_b32 s56, 0x1000706
	v_perm_b32 v5, v9, v10, s56
	;; [unrolled: 2-line block ×3, first 2 shown]
	v_lshlrev_b32_e32 v4, 8, v4
	s_mov_b32 s56, 0xc0c0500
	v_lshlrev_b32_e32 v5, 16, v5
	v_perm_b32 v4, v4, v9, s56
	v_lshlrev_b32_e32 v6, 24, v6
	v_and_b32_e32 v5, 0xff0000, v5
	v_alignbit_b32 v11, v9, v8, 8
	v_alignbit_b32 v63, v9, v8, 16
	;; [unrolled: 1-line block ×3, first 2 shown]
	v_or3_b32 v9, v4, v5, v6
.LBB111_89:
	s_or_b64 exec, exec, s[36:37]
	s_mov_b32 s62, 0
	s_mov_b32 s65, 0x4020c0c
	s_movk_i32 s66, 0xff
	v_mov_b32_e32 v61, 0
	v_mov_b32_e32 v5, 0
	s_mov_b32 s67, 0x70605
	s_mov_b32 s68, 0x1000706
	;; [unrolled: 1-line block ×4, first 2 shown]
	v_mov_b32_e32 v62, 2
	s_branch .LBB111_91
.LBB111_90:                             ;   in Loop: Header=BB111_91 Depth=1
	s_or_b64 exec, exec, s[56:57]
	s_add_i32 s62, s64, 1
	v_subrev_u32_e32 v42, 64, v4
	s_cbranch_execz .LBB111_99
.LBB111_91:                             ; =>This Loop Header: Depth=1
                                        ;     Child Loop BB111_94 Depth 2
                                        ;       Child Loop BB111_95 Depth 3
	v_mov_b32_e32 v6, v10
	v_cmp_ne_u16_sdwa s[36:37], v6, v62 src0_sel:BYTE_0 src1_sel:DWORD
	v_cmp_ne_u16_sdwa s[56:57], v6, s66 src0_sel:BYTE_0 src1_sel:DWORD
	s_and_b64 s[56:57], s[36:37], s[56:57]
	v_lshlrev_b32_e32 v10, 8, v11
	v_cndmask_b32_e64 v11, 0, 1, s[56:57]
	;;#ASMSTART
	;;#ASMEND
	v_cmp_ne_u32_e32 vcc, 0, v11
	s_cmp_eq_u64 vcc, exec
	s_cselect_b64 s[56:57], -1, 0
	s_cmp_lt_u32 s62, 4
	s_mov_b32 s64, s62
	v_mov_b32_e32 v7, v9
	v_lshlrev_b32_e32 v9, 16, v63
	s_cselect_b64 s[62:63], -1, 0
	v_perm_b32 v9, v64, v9, s65
	v_and_b32_e32 v10, 0xff00, v10
	v_and_b32_e32 v8, 0xff, v8
	s_and_b64 s[56:57], s[56:57], s[62:63]
	v_mov_b32_e32 v4, v42
	s_andn2_b64 vcc, exec, s[56:57]
	v_or3_b32 v60, v9, v10, v8
	s_cbranch_vccnz .LBB111_98
; %bb.92:                               ;   in Loop: Header=BB111_91 Depth=1
	s_lshl_b32 s56, s64, 3
	v_add_u32_e32 v8, s56, v61
	buffer_store_dword v60, v8, s[0:3], 0 offen
	buffer_store_dword v7, v8, s[0:3], 0 offen offset:4
	v_lshlrev_b64 v[8:9], 4, v[4:5]
	v_mov_b32_e32 v10, s45
	v_add_co_u32_e32 v42, vcc, s44, v8
	v_addc_co_u32_e32 v43, vcc, v10, v9, vcc
	;;#ASMSTART
	global_load_dwordx4 v[8:11], v[42:43] off glc	
s_waitcnt vmcnt(0)
	;;#ASMEND
	v_perm_b32 v65, v9, v10, s67
	v_perm_b32 v66, v9, v10, s68
	v_lshlrev_b32_e32 v65, 8, v65
	v_alignbit_b32 v11, v9, v8, 8
	v_alignbit_b32 v63, v9, v8, 16
	;; [unrolled: 1-line block ×3, first 2 shown]
	v_perm_b32 v67, v9, v10, s69
	v_perm_b32 v9, v65, v9, s70
	v_lshlrev_b32_e32 v65, 16, v66
	v_and_b32_e32 v65, 0xff0000, v65
	v_lshlrev_b32_e32 v66, 24, v67
	v_or3_b32 v9, v9, v65, v66
	v_cmp_eq_u16_sdwa s[62:63], v10, v5 src0_sel:BYTE_0 src1_sel:DWORD
	s_and_saveexec_b64 s[56:57], s[62:63]
	s_cbranch_execz .LBB111_90
; %bb.93:                               ;   in Loop: Header=BB111_91 Depth=1
	s_mov_b32 s71, 1
	s_mov_b64 s[62:63], 0
.LBB111_94:                             ;   Parent Loop BB111_91 Depth=1
                                        ; =>  This Loop Header: Depth=2
                                        ;       Child Loop BB111_95 Depth 3
	s_max_u32 s72, s71, 1
.LBB111_95:                             ;   Parent Loop BB111_91 Depth=1
                                        ;     Parent Loop BB111_94 Depth=2
                                        ; =>    This Inner Loop Header: Depth=3
	s_add_i32 s72, s72, -1
	s_cmp_eq_u32 s72, 0
	s_sleep 1
	s_cbranch_scc0 .LBB111_95
; %bb.96:                               ;   in Loop: Header=BB111_94 Depth=2
	s_cmp_lt_u32 s71, 32
	s_cselect_b64 s[72:73], -1, 0
	s_cmp_lg_u64 s[72:73], 0
	s_addc_u32 s71, s71, 0
	;;#ASMSTART
	global_load_dwordx4 v[8:11], v[42:43] off glc	
s_waitcnt vmcnt(0)
	;;#ASMEND
	v_cmp_ne_u16_sdwa s[72:73], v10, v5 src0_sel:BYTE_0 src1_sel:DWORD
	s_or_b64 s[62:63], s[72:73], s[62:63]
	s_andn2_b64 exec, exec, s[62:63]
	s_cbranch_execnz .LBB111_94
; %bb.97:                               ;   in Loop: Header=BB111_91 Depth=1
	s_or_b64 exec, exec, s[62:63]
	v_perm_b32 v42, v9, v10, s67
	v_perm_b32 v43, v9, v10, s68
	v_lshlrev_b32_e32 v42, 8, v42
	v_alignbit_b32 v11, v9, v8, 8
	v_alignbit_b32 v63, v9, v8, 16
	;; [unrolled: 1-line block ×3, first 2 shown]
	v_perm_b32 v65, v9, v10, s69
	v_perm_b32 v9, v42, v9, s70
	v_lshlrev_b32_e32 v42, 16, v43
	v_lshlrev_b32_e32 v43, 24, v65
	v_and_b32_e32 v42, 0xff0000, v42
	v_or3_b32 v9, v9, v42, v43
	s_branch .LBB111_90
.LBB111_98:
                                        ; implicit-def: $vgpr42
                                        ; implicit-def: $sgpr62
                                        ; implicit-def: $vgpr10
                                        ; implicit-def: $vgpr9
                                        ; implicit-def: $vgpr11
                                        ; implicit-def: $vgpr63
                                        ; implicit-def: $vgpr64
.LBB111_99:
	v_cndmask_b32_e64 v5, 0, 1, s[36:37]
	;;#ASMSTART
	;;#ASMEND
	v_cmp_ne_u32_e32 vcc, 0, v5
	s_cmp_lg_u64 vcc, exec
	s_cbranch_scc1 .LBB111_123
; %bb.100:
	s_movk_i32 s36, 0xff
	v_cmp_eq_u16_sdwa s[36:37], v6, s36 src0_sel:BYTE_0 src1_sel:DWORD
	v_cndmask_b32_e64 v5, 0, 1, s[36:37]
	;;#ASMSTART
	;;#ASMEND
	v_cmp_ne_u32_e32 vcc, 0, v5
	s_cmp_eq_u64 vcc, exec
	v_add_u32_e32 v5, 64, v4
	s_cselect_b64 vcc, -1, 0
	v_cndmask_b32_e32 v4, v4, v5, vcc
	v_add_u32_e32 v8, 64, v4
	v_mov_b32_e32 v9, 0
	v_lshlrev_b64 v[4:5], 4, v[8:9]
	v_mov_b32_e32 v6, s45
	v_add_co_u32_e64 v10, s[36:37], s44, v4
	v_addc_co_u32_e64 v11, s[36:37], v6, v5, s[36:37]
	s_mov_b32 s62, 0x70605
	s_mov_b32 s63, 0x1000706
	;; [unrolled: 1-line block ×4, first 2 shown]
	v_mov_b32_e32 v8, 2
	s_branch .LBB111_102
.LBB111_101:                            ;   in Loop: Header=BB111_102 Depth=1
	s_or_b64 exec, exec, s[36:37]
	v_cmp_ne_u16_sdwa s[36:37], v6, v8 src0_sel:BYTE_0 src1_sel:DWORD
	v_cndmask_b32_e64 v5, 0, 1, s[36:37]
	;;#ASMSTART
	;;#ASMEND
	v_cmp_ne_u32_e64 s[36:37], 0, v5
	s_cmp_eq_u64 s[36:37], exec
	s_cbranch_scc0 .LBB111_122
.LBB111_102:                            ; =>This Loop Header: Depth=1
                                        ;     Child Loop BB111_104 Depth 2
                                        ;       Child Loop BB111_105 Depth 3
	;;#ASMSTART
	global_load_dwordx4 v[4:7], v[10:11] off glc	
s_waitcnt vmcnt(0)
	;;#ASMEND
	v_perm_b32 v7, v5, v6, s62
	v_perm_b32 v61, v5, v6, s63
	v_lshlrev_b32_e32 v7, 8, v7
	v_alignbit_b32 v42, v5, v4, 8
	v_alignbit_b32 v60, v5, v4, 16
	;; [unrolled: 1-line block ×3, first 2 shown]
	v_perm_b32 v62, v5, v6, s65
	v_perm_b32 v5, v7, v5, s66
	v_lshlrev_b32_e32 v7, 16, v61
	v_and_b32_e32 v7, 0xff0000, v7
	v_lshlrev_b32_e32 v61, 24, v62
	v_or3_b32 v7, v5, v7, v61
	v_cmp_eq_u16_sdwa s[56:57], v6, v9 src0_sel:BYTE_0 src1_sel:DWORD
	s_and_saveexec_b64 s[36:37], s[56:57]
	s_cbranch_execz .LBB111_101
; %bb.103:                              ;   in Loop: Header=BB111_102 Depth=1
	s_mov_b32 s67, 1
	s_mov_b64 s[56:57], 0
.LBB111_104:                            ;   Parent Loop BB111_102 Depth=1
                                        ; =>  This Loop Header: Depth=2
                                        ;       Child Loop BB111_105 Depth 3
	s_max_u32 s68, s67, 1
.LBB111_105:                            ;   Parent Loop BB111_102 Depth=1
                                        ;     Parent Loop BB111_104 Depth=2
                                        ; =>    This Inner Loop Header: Depth=3
	s_add_i32 s68, s68, -1
	s_cmp_eq_u32 s68, 0
	s_sleep 1
	s_cbranch_scc0 .LBB111_105
; %bb.106:                              ;   in Loop: Header=BB111_104 Depth=2
	s_cmp_lt_u32 s67, 32
	s_cselect_b64 s[68:69], -1, 0
	s_cmp_lg_u64 s[68:69], 0
	s_addc_u32 s67, s67, 0
	;;#ASMSTART
	global_load_dwordx4 v[4:7], v[10:11] off glc	
s_waitcnt vmcnt(0)
	;;#ASMEND
	v_cmp_ne_u16_sdwa s[68:69], v6, v9 src0_sel:BYTE_0 src1_sel:DWORD
	s_or_b64 s[56:57], s[68:69], s[56:57]
	s_andn2_b64 exec, exec, s[56:57]
	s_cbranch_execnz .LBB111_104
; %bb.107:                              ;   in Loop: Header=BB111_102 Depth=1
	s_or_b64 exec, exec, s[56:57]
	v_perm_b32 v7, v5, v6, s62
	v_perm_b32 v61, v5, v6, s63
	v_lshlrev_b32_e32 v7, 8, v7
	v_alignbit_b32 v42, v5, v4, 8
	v_alignbit_b32 v60, v5, v4, 16
	;; [unrolled: 1-line block ×3, first 2 shown]
	v_perm_b32 v62, v5, v6, s65
	v_perm_b32 v5, v7, v5, s66
	v_lshlrev_b32_e32 v7, 16, v61
	v_lshlrev_b32_e32 v61, 24, v62
	v_and_b32_e32 v7, 0xff0000, v7
	v_or3_b32 v7, v5, v7, v61
	s_branch .LBB111_101
.LBB111_108:
                                        ; implicit-def: $vgpr2
                                        ; implicit-def: $vgpr42
                                        ; implicit-def: $vgpr6
                                        ; implicit-def: $vgpr62
                                        ; implicit-def: $vgpr43
                                        ; implicit-def: $vgpr60
                                        ; implicit-def: $vgpr61
                                        ; implicit-def: $vgpr63
                                        ; implicit-def: $vgpr64
                                        ; implicit-def: $vgpr65
                                        ; implicit-def: $vgpr66
                                        ; implicit-def: $vgpr67
                                        ; implicit-def: $vgpr68
                                        ; implicit-def: $vgpr69
                                        ; implicit-def: $vgpr70
                                        ; implicit-def: $vgpr71
                                        ; implicit-def: $vgpr72
                                        ; implicit-def: $vgpr73
	s_cbranch_execnz .LBB111_147
.LBB111_109:
	s_and_saveexec_b64 s[4:5], s[48:49]
	s_cbranch_execnz .LBB111_158
	s_branch .LBB111_341
.LBB111_110:
                                        ; implicit-def: $sgpr4_sgpr5
                                        ; implicit-def: $vgpr44
                                        ; implicit-def: $vgpr45
                                        ; implicit-def: $vgpr46
                                        ; implicit-def: $vgpr47
                                        ; implicit-def: $vgpr48
                                        ; implicit-def: $vgpr49
                                        ; implicit-def: $vgpr50
                                        ; implicit-def: $vgpr51
                                        ; implicit-def: $vgpr52
                                        ; implicit-def: $vgpr53
                                        ; implicit-def: $vgpr54
                                        ; implicit-def: $vgpr55
                                        ; implicit-def: $vgpr56
                                        ; implicit-def: $vgpr57
	s_cbranch_execz .LBB111_55
; %bb.111:
	v_cmp_neq_f32_e32 vcc, v25, v8
	v_cndmask_b32_e64 v57, 0, 1, vcc
	v_cmp_neq_f32_e32 vcc, v25, v9
	v_cndmask_b32_e64 v56, 0, 1, vcc
	;; [unrolled: 2-line block ×13, first 2 shown]
	v_cmp_neq_f32_e32 vcc, v13, v1
	v_lshlrev_b32_e32 v7, 2, v0
	v_cndmask_b32_e64 v44, 0, 1, vcc
	v_cmp_ne_u32_e32 vcc, 0, v0
	ds_write_b32 v7, v1
	s_waitcnt lgkmcnt(0)
	s_barrier
	s_waitcnt lgkmcnt(0)
                                        ; implicit-def: $sgpr4_sgpr5
	s_and_saveexec_b64 s[12:13], vcc
	s_xor_b64 s[12:13], exec, s[12:13]
	s_cbranch_execz .LBB111_113
; %bb.112:
	v_add_u32_e32 v2, -4, v7
	ds_read_b32 v2, v2
	s_or_b64 s[6:7], s[6:7], exec
	s_waitcnt lgkmcnt(0)
	v_cmp_neq_f32_e32 vcc, v2, v24
	s_and_b64 s[4:5], vcc, exec
.LBB111_113:
	s_or_b64 exec, exec, s[12:13]
	s_mov_b32 s14, 1
	s_branch .LBB111_71
.LBB111_114:
	s_mul_hi_u32 s5, s48, 0xfffff100
	s_mul_i32 s4, s49, 0xfffff100
	s_sub_i32 s5, s5, s48
	s_add_i32 s5, s5, s4
	s_mul_i32 s4, s48, 0xfffff100
	s_add_u32 s12, s4, s56
	s_addc_u32 s13, s5, s57
	s_and_b64 vcc, exec, s[10:11]
	s_cbranch_vccz .LBB111_119
; %bb.115:
	v_mov_b32_e32 v3, s62
	v_add_co_u32_e64 v2, vcc, -4, s9
	v_addc_co_u32_e32 v3, vcc, -1, v3, vcc
	flat_load_dword v6, v[2:3]
	v_mad_u32_u24 v4, v0, 15, 14
	v_mov_b32_e32 v5, 0
	v_cmp_gt_u64_e32 vcc, s[12:13], v[4:5]
	v_cmp_neq_f32_e64 s[4:5], v13, v1
	v_mad_u32_u24 v4, v0, 15, 13
	s_and_b64 s[6:7], vcc, s[4:5]
	v_cmp_gt_u64_e32 vcc, s[12:13], v[4:5]
	v_cmp_neq_f32_e64 s[4:5], v12, v13
	v_mad_u32_u24 v4, v0, 15, 12
	s_and_b64 s[10:11], vcc, s[4:5]
	;; [unrolled: 4-line block ×13, first 2 shown]
	v_cmp_gt_u64_e32 vcc, s[12:13], v[4:5]
	v_cmp_neq_f32_e64 s[4:5], v24, v25
	v_lshlrev_b32_e32 v3, 2, v0
	v_mul_u32_u24_e32 v2, 15, v0
	s_and_b64 s[4:5], vcc, s[4:5]
	v_cmp_ne_u32_e32 vcc, 0, v0
	ds_write_b32 v3, v1
	s_waitcnt lgkmcnt(0)
	s_barrier
	s_and_saveexec_b64 s[48:49], vcc
	s_cbranch_execz .LBB111_117
; %bb.116:
	v_add_u32_e32 v3, -4, v3
	s_waitcnt vmcnt(0)
	ds_read_b32 v6, v3
.LBB111_117:
	s_or_b64 exec, exec, s[48:49]
	v_mov_b32_e32 v3, v5
	v_cndmask_b32_e64 v57, 0, 1, s[4:5]
	v_cmp_gt_u64_e32 vcc, s[12:13], v[2:3]
	s_waitcnt vmcnt(0) lgkmcnt(0)
	v_cmp_neq_f32_e64 s[4:5], v6, v24
	v_cndmask_b32_e64 v44, 0, 1, s[6:7]
	v_cndmask_b32_e64 v45, 0, 1, s[10:11]
	;; [unrolled: 1-line block ×13, first 2 shown]
	s_and_b64 s[4:5], vcc, s[4:5]
	s_mov_b64 s[6:7], -1
.LBB111_118:
                                        ; implicit-def: $sgpr14
	v_mov_b32_e32 v58, s14
	s_and_saveexec_b64 s[10:11], s[6:7]
	s_cbranch_execnz .LBB111_72
	s_branch .LBB111_73
.LBB111_119:
                                        ; implicit-def: $sgpr4_sgpr5
                                        ; implicit-def: $vgpr44
                                        ; implicit-def: $vgpr45
                                        ; implicit-def: $vgpr46
                                        ; implicit-def: $vgpr47
                                        ; implicit-def: $vgpr48
                                        ; implicit-def: $vgpr49
                                        ; implicit-def: $vgpr50
                                        ; implicit-def: $vgpr51
                                        ; implicit-def: $vgpr52
                                        ; implicit-def: $vgpr53
                                        ; implicit-def: $vgpr54
                                        ; implicit-def: $vgpr55
                                        ; implicit-def: $vgpr56
                                        ; implicit-def: $vgpr57
	s_cbranch_execz .LBB111_118
; %bb.120:
	v_mad_u32_u24 v2, v0, 15, 14
	v_mov_b32_e32 v3, 0
	v_cmp_gt_u64_e32 vcc, s[12:13], v[2:3]
	v_cmp_neq_f32_e64 s[4:5], v13, v1
	s_and_b64 s[4:5], vcc, s[4:5]
	v_mad_u32_u24 v2, v0, 15, 13
	v_cndmask_b32_e64 v44, 0, 1, s[4:5]
	v_cmp_gt_u64_e32 vcc, s[12:13], v[2:3]
	v_cmp_neq_f32_e64 s[4:5], v12, v13
	s_and_b64 s[4:5], vcc, s[4:5]
	v_mad_u32_u24 v2, v0, 15, 12
	v_cndmask_b32_e64 v45, 0, 1, s[4:5]
	;; [unrolled: 5-line block ×13, first 2 shown]
	v_cmp_gt_u64_e32 vcc, s[12:13], v[2:3]
	v_cmp_neq_f32_e64 s[4:5], v24, v25
	s_and_b64 s[4:5], vcc, s[4:5]
	v_lshlrev_b32_e32 v4, 2, v0
	s_mov_b32 s14, 1
	v_cndmask_b32_e64 v57, 0, 1, s[4:5]
	v_cmp_ne_u32_e32 vcc, 0, v0
	ds_write_b32 v4, v1
	s_waitcnt lgkmcnt(0)
	s_barrier
	s_waitcnt lgkmcnt(0)
                                        ; implicit-def: $sgpr4_sgpr5
	s_and_saveexec_b64 s[10:11], vcc
	s_cbranch_execz .LBB111_128
; %bb.121:
	v_add_u32_e32 v2, -4, v4
	ds_read_b32 v4, v2
	v_mul_u32_u24_e32 v2, 15, v0
	v_cmp_gt_u64_e32 vcc, s[12:13], v[2:3]
	s_or_b64 s[6:7], s[6:7], exec
	s_waitcnt lgkmcnt(0)
	v_cmp_neq_f32_e64 s[4:5], v4, v24
	s_and_b64 s[4:5], vcc, s[4:5]
	s_and_b64 s[4:5], s[4:5], exec
	s_or_b64 exec, exec, s[10:11]
	v_mov_b32_e32 v58, s14
	s_and_saveexec_b64 s[10:11], s[6:7]
	s_cbranch_execz .LBB111_73
	s_branch .LBB111_72
.LBB111_122:
	v_cndmask_b32_e64 v5, 0, 1, vcc
	v_readfirstlane_b32 s36, v5
	s_sub_i32 s64, s64, s36
	v_lshlrev_b32_e32 v5, 16, v60
	s_mov_b32 s36, 0x4020c0c
	v_lshlrev_b32_e32 v8, 8, v42
	v_perm_b32 v5, v43, v5, s36
	v_and_b32_e32 v8, 0xff00, v8
	v_and_b32_e32 v4, 0xff, v4
	v_or3_b32 v60, v5, v8, v4
.LBB111_123:
	v_mov_b32_e32 v4, 2
	v_cmp_eq_u16_sdwa vcc, v6, v4 src0_sel:BYTE_0 src1_sel:DWORD
	s_cbranch_vccz .LBB111_129
; %bb.124:
	s_ff1_i32_b64 s36, vcc
	s_cmp_eq_u32 s36, 0
	s_cbranch_scc1 .LBB111_130
; %bb.125:
	v_cmp_eq_u32_e32 vcc, 0, v60
	v_mov_b32_e32 v9, v7
	v_mov_b32_e32 v8, v60
.LBB111_126:                            ; =>This Inner Loop Header: Depth=1
	s_nop 1
	v_mov_b32_dpp v4, v8 wave_rol:1 row_mask:0xf bank_mask:0xf
	v_mov_b32_dpp v5, v9 wave_rol:1 row_mask:0xf bank_mask:0xf
	v_add_u32_e32 v8, v4, v60
	v_add_f32_e32 v4, v7, v5
	s_add_i32 s36, s36, -1
	s_cmp_lg_u32 s36, 0
	v_cndmask_b32_e32 v9, v7, v4, vcc
	s_cbranch_scc1 .LBB111_126
; %bb.127:
	s_cmp_lt_i32 s64, 1
	s_cbranch_scc0 .LBB111_131
	s_branch .LBB111_136
.LBB111_128:
	s_or_b64 exec, exec, s[10:11]
	v_mov_b32_e32 v58, s14
	s_and_saveexec_b64 s[10:11], s[6:7]
	s_cbranch_execnz .LBB111_72
	s_branch .LBB111_73
.LBB111_129:
	s_mov_b64 s[8:9], 0
	s_mov_b64 s[36:37], -1
	s_branch .LBB111_141
.LBB111_130:
	v_mov_b32_e32 v9, v7
	v_mov_b32_e32 v8, v60
	s_cmp_lt_i32 s64, 1
	s_cbranch_scc1 .LBB111_136
.LBB111_131:
	v_mov_b32_e32 v4, 0
.LBB111_132:                            ; =>This Loop Header: Depth=1
                                        ;     Child Loop BB111_133 Depth 2
	s_add_i32 s36, s64, -1
	s_lshl_b32 s37, s36, 3
	v_add_u32_e32 v6, s37, v4
	buffer_load_dword v5, v6, s[0:3], 0 offen
	s_nop 0
	buffer_load_dword v6, v6, s[0:3], 0 offen offset:4
	s_mov_b32 s37, 64
	s_waitcnt vmcnt(1)
	v_cmp_eq_u32_e32 vcc, 0, v5
.LBB111_133:                            ;   Parent Loop BB111_132 Depth=1
                                        ; =>  This Inner Loop Header: Depth=2
	v_mov_b32_dpp v7, v8 wave_rol:1 row_mask:0xf bank_mask:0xf
	v_mov_b32_dpp v8, v9 wave_rol:1 row_mask:0xf bank_mask:0xf
	s_waitcnt vmcnt(0)
	v_add_f32_e32 v8, v6, v8
	v_cndmask_b32_e32 v8, v6, v8, vcc
	v_add_u32_e32 v7, v7, v5
	s_add_i32 s37, s37, -16
	v_mov_b32_dpp v8, v8 wave_rol:1 row_mask:0xf bank_mask:0xf
	v_add_f32_e32 v8, v6, v8
	v_cndmask_b32_e32 v8, v6, v8, vcc
	v_mov_b32_dpp v7, v7 wave_rol:1 row_mask:0xf bank_mask:0xf
	v_add_u32_e32 v7, v7, v5
	v_mov_b32_dpp v8, v8 wave_rol:1 row_mask:0xf bank_mask:0xf
	v_add_f32_e32 v8, v6, v8
	v_cndmask_b32_e32 v8, v6, v8, vcc
	v_mov_b32_dpp v7, v7 wave_rol:1 row_mask:0xf bank_mask:0xf
	v_add_u32_e32 v7, v7, v5
	;; [unrolled: 5-line block ×12, first 2 shown]
	v_mov_b32_dpp v8, v8 wave_rol:1 row_mask:0xf bank_mask:0xf
	v_add_f32_e32 v8, v6, v8
	v_mov_b32_dpp v7, v7 wave_rol:1 row_mask:0xf bank_mask:0xf
	v_cndmask_b32_e32 v8, v6, v8, vcc
	v_add_u32_e32 v7, v7, v5
	s_cmp_lg_u32 s37, 0
	v_mov_b32_dpp v8, v8 wave_rol:1 row_mask:0xf bank_mask:0xf
	v_mov_b32_dpp v7, v7 wave_rol:1 row_mask:0xf bank_mask:0xf
	v_add_f32_e32 v8, v6, v8
	v_add_u32_e32 v7, v7, v5
	v_cndmask_b32_e32 v8, v6, v8, vcc
	s_nop 0
	v_mov_b32_dpp v7, v7 wave_rol:1 row_mask:0xf bank_mask:0xf
	v_mov_b32_dpp v9, v8 wave_rol:1 row_mask:0xf bank_mask:0xf
	v_add_u32_e32 v8, v7, v5
	v_add_f32_e32 v7, v6, v9
	v_cndmask_b32_e32 v9, v6, v7, vcc
	s_cbranch_scc1 .LBB111_133
; %bb.134:                              ;   in Loop: Header=BB111_132 Depth=1
	s_cmp_gt_i32 s64, 1
	s_cbranch_scc0 .LBB111_136
; %bb.135:                              ;   in Loop: Header=BB111_132 Depth=1
	s_mov_b32 s64, s36
	s_branch .LBB111_132
.LBB111_136:
	v_readfirstlane_b32 s56, v8
	v_readfirstlane_b32 s57, v9
	s_and_saveexec_b64 s[36:37], s[30:31]
	s_cbranch_execz .LBB111_138
; %bb.137:
	v_mov_b32_e32 v5, s57
	v_add_f32_e32 v4, s9, v5
	v_mov_b32_e32 v7, s9
	v_cmp_eq_u32_e32 vcc, 0, v2
	s_mov_b32 s63, 0
	v_cndmask_b32_e32 v4, v7, v4, vcc
	s_add_i32 s62, s8, 64
	s_lshl_b64 s[8:9], s[62:63], 4
	v_and_b32_e32 v7, 0xff000000, v4
	v_and_b32_e32 v8, 0xff0000, v4
	s_add_u32 s8, s44, s8
	v_or_b32_e32 v7, v8, v7
	v_and_b32_e32 v8, 0xff00, v4
	s_addc_u32 s9, s45, s9
	v_or_b32_e32 v7, v7, v8
	v_add_u32_e32 v6, s56, v2
	v_mov_b32_e32 v9, 0
	v_or_b32_sdwa v7, v7, v4 dst_sel:DWORD dst_unused:UNUSED_PAD src0_sel:DWORD src1_sel:BYTE_0
	v_mov_b32_e32 v8, 2
	v_pk_mov_b32 v[10:11], s[8:9], s[8:9] op_sel:[0,1]
	;;#ASMSTART
	global_store_dwordx4 v[10:11], v[6:9] off	
s_waitcnt vmcnt(0)
	;;#ASMEND
	v_mov_b32_e32 v4, s56
	ds_write_b128 v9, v[2:5] offset:2048
.LBB111_138:
	s_or_b64 exec, exec, s[36:37]
	v_cmp_eq_u32_e32 vcc, 0, v0
	s_and_saveexec_b64 s[8:9], vcc
	s_cbranch_execz .LBB111_140
; %bb.139:
	v_mov_b32_e32 v2, s56
	v_mov_b32_e32 v3, s57
	;; [unrolled: 1-line block ×3, first 2 shown]
	ds_write_b64 v4, v[2:3] offset:2088
.LBB111_140:
	s_or_b64 exec, exec, s[8:9]
	s_mov_b64 s[8:9], -1
	s_mov_b64 s[36:37], 0
.LBB111_141:
	s_and_b64 s[36:37], s[36:37], exec
	s_orn2_b64 s[56:57], s[8:9], exec
.LBB111_142:
	s_or_b64 exec, exec, s[50:51]
                                        ; implicit-def: $vgpr2
                                        ; implicit-def: $vgpr42
                                        ; implicit-def: $vgpr6
                                        ; implicit-def: $vgpr62
                                        ; implicit-def: $vgpr43
                                        ; implicit-def: $vgpr60
                                        ; implicit-def: $vgpr61
                                        ; implicit-def: $vgpr63
                                        ; implicit-def: $vgpr64
                                        ; implicit-def: $vgpr65
                                        ; implicit-def: $vgpr66
                                        ; implicit-def: $vgpr67
                                        ; implicit-def: $vgpr68
                                        ; implicit-def: $vgpr69
                                        ; implicit-def: $vgpr70
                                        ; implicit-def: $vgpr71
                                        ; implicit-def: $vgpr72
                                        ; implicit-def: $vgpr73
	s_and_saveexec_b64 s[8:9], s[56:57]
	s_cbranch_execz .LBB111_145
; %bb.143:
	v_mov_b32_e32 v4, 0
	s_waitcnt lgkmcnt(0)
	s_barrier
	ds_read_b64 v[2:3], v4 offset:2088
	v_cndmask_b32_e64 v5, v80, v41, s[30:31]
	v_cndmask_b32_e64 v6, v79, v40, s[30:31]
	v_cmp_eq_u32_e32 vcc, 0, v6
	s_waitcnt lgkmcnt(0)
	v_add_f32_e32 v7, v5, v3
	v_cndmask_b32_e32 v5, v5, v7, vcc
	v_cmp_eq_u32_e32 vcc, 0, v0
	v_cndmask_b32_e32 v73, v5, v3, vcc
	v_cndmask_b32_e64 v3, v6, 0, vcc
	v_add_u32_e32 v7, v2, v3
	v_add_f32_e32 v2, v38, v73
	v_cmp_eq_u32_e32 vcc, 0, v58
	v_cndmask_b32_e32 v72, v38, v2, vcc
	v_add_f32_e32 v2, v39, v72
	v_cndmask_b32_e64 v71, v39, v2, s[28:29]
	v_add_f32_e32 v2, v36, v71
	v_cndmask_b32_e64 v70, v36, v2, s[26:27]
	;; [unrolled: 2-line block ×11, first 2 shown]
	s_barrier
	ds_read_b128 v[2:5], v4 offset:2048
	v_add_f32_e32 v6, v26, v60
	v_cndmask_b32_e64 v43, v26, v6, s[6:7]
	v_add_f32_e32 v6, v27, v43
	s_mov_b64 s[48:49], exec
	s_waitcnt lgkmcnt(0)
	v_add_f32_e32 v5, v5, v3
	v_cmp_eq_u32_e32 vcc, 0, v2
	v_cndmask_b32_e64 v62, v27, v6, s[4:5]
	v_cndmask_b32_e32 v42, v3, v5, vcc
	v_mov_b32_e32 v6, v4
	v_mov_b32_e32 v5, v7
	s_or_b64 exec, exec, s[8:9]
	s_and_saveexec_b64 s[4:5], s[36:37]
	s_xor_b64 s[4:5], exec, s[4:5]
	s_cbranch_execz .LBB111_146
.LBB111_144:
	s_trap 2
	; divergent unreachable
                                        ; implicit-def: $vgpr62
                                        ; implicit-def: $vgpr43
                                        ; implicit-def: $vgpr60
                                        ; implicit-def: $vgpr61
                                        ; implicit-def: $vgpr63
                                        ; implicit-def: $vgpr64
                                        ; implicit-def: $vgpr65
                                        ; implicit-def: $vgpr66
                                        ; implicit-def: $vgpr67
                                        ; implicit-def: $vgpr68
                                        ; implicit-def: $vgpr69
                                        ; implicit-def: $vgpr70
                                        ; implicit-def: $vgpr71
                                        ; implicit-def: $vgpr72
                                        ; implicit-def: $vgpr73
	s_branch .LBB111_146
.LBB111_145:
	s_or_b64 exec, exec, s[8:9]
	s_and_saveexec_b64 s[4:5], s[36:37]
	s_xor_b64 s[4:5], exec, s[4:5]
	s_cbranch_execnz .LBB111_144
.LBB111_146:
	s_or_b64 exec, exec, s[4:5]
	s_branch .LBB111_109
.LBB111_147:
	s_and_b64 s[4:5], s[46:47], exec
	s_cselect_b32 s5, 0, s61
	s_cselect_b32 s4, 0, s60
	s_cmp_eq_u64 s[4:5], 0
	v_mov_b32_e32 v6, v38
	s_cbranch_scc1 .LBB111_149
; %bb.148:
	v_mov_b32_e32 v2, 0
	global_load_dword v6, v2, s[4:5]
.LBB111_149:
	v_cmp_eq_u32_e64 s[4:5], 0, v57
	v_cndmask_b32_e64 v2, v39, v78, s[4:5]
	v_add_f32_e32 v2, v36, v2
	v_cmp_eq_u32_e64 s[6:7], 0, v56
	v_cndmask_b32_e64 v2, v36, v2, s[6:7]
	v_add_f32_e32 v2, v37, v2
	;; [unrolled: 3-line block ×11, first 2 shown]
	v_cmp_eq_u32_e64 s[26:27], 0, v46
	v_cndmask_b32_e64 v2, v26, v2, s[26:27]
	v_add3_u32 v3, v77, v53, v52
	v_add_f32_e32 v2, v27, v2
	v_cmp_eq_u32_e32 vcc, 0, v45
	v_add3_u32 v3, v3, v51, v50
	v_cndmask_b32_e32 v2, v27, v2, vcc
	v_add3_u32 v3, v3, v49, v48
	v_add_f32_e32 v2, v59, v2
	v_cmp_eq_u32_e64 s[28:29], 0, v44
	v_add3_u32 v3, v3, v47, v46
	v_cndmask_b32_e64 v2, v59, v2, s[28:29]
	v_add3_u32 v3, v3, v45, v44
	v_mbcnt_hi_u32_b32 v7, -1, v76
	v_mov_b32_dpp v8, v2 row_shr:1 row_mask:0xf bank_mask:0xf
	v_and_b32_e32 v4, 15, v7
	v_add_f32_e32 v8, v2, v8
	v_cmp_eq_u32_e64 s[28:29], 0, v3
	v_mov_b32_dpp v5, v3 row_shr:1 row_mask:0xf bank_mask:0xf
	v_cndmask_b32_e64 v8, v2, v8, s[28:29]
	v_cmp_eq_u32_e64 s[28:29], 0, v4
	v_cndmask_b32_e64 v5, v5, 0, s[28:29]
	v_cndmask_b32_e64 v2, v8, v2, s[28:29]
	v_add_u32_e32 v3, v5, v3
	v_cmp_eq_u32_e64 s[28:29], 0, v3
	v_mov_b32_dpp v8, v2 row_shr:2 row_mask:0xf bank_mask:0xf
	v_add_f32_e32 v8, v2, v8
	v_mov_b32_dpp v5, v3 row_shr:2 row_mask:0xf bank_mask:0xf
	v_cndmask_b32_e64 v8, v2, v8, s[28:29]
	v_cmp_lt_u32_e64 s[28:29], 1, v4
	v_cndmask_b32_e64 v2, v2, v8, s[28:29]
	v_cndmask_b32_e64 v5, 0, v5, s[28:29]
	v_add_u32_e32 v3, v3, v5
	v_mov_b32_dpp v8, v2 row_shr:4 row_mask:0xf bank_mask:0xf
	v_add_f32_e32 v8, v2, v8
	v_cmp_eq_u32_e64 s[28:29], 0, v3
	v_mov_b32_dpp v5, v3 row_shr:4 row_mask:0xf bank_mask:0xf
	v_cndmask_b32_e64 v8, v2, v8, s[28:29]
	v_cmp_lt_u32_e64 s[28:29], 3, v4
	v_cndmask_b32_e64 v2, v2, v8, s[28:29]
	v_cndmask_b32_e64 v5, 0, v5, s[28:29]
	v_add_u32_e32 v3, v5, v3
	v_mov_b32_dpp v8, v2 row_shr:8 row_mask:0xf bank_mask:0xf
	v_add_f32_e32 v8, v2, v8
	v_cmp_eq_u32_e64 s[28:29], 0, v3
	v_mov_b32_dpp v5, v3 row_shr:8 row_mask:0xf bank_mask:0xf
	v_cndmask_b32_e64 v8, v2, v8, s[28:29]
	v_cmp_lt_u32_e64 s[28:29], 7, v4
	v_cndmask_b32_e64 v2, v2, v8, s[28:29]
	v_cndmask_b32_e64 v4, 0, v5, s[28:29]
	v_add_u32_e32 v3, v4, v3
	v_mov_b32_dpp v5, v2 row_bcast:15 row_mask:0xf bank_mask:0xf
	v_bfe_i32 v8, v7, 4, 1
	v_mov_b32_dpp v4, v3 row_bcast:15 row_mask:0xf bank_mask:0xf
	v_and_b32_e32 v9, 16, v7
	v_add_f32_e32 v5, v2, v5
	v_cmp_eq_u32_e64 s[28:29], 0, v3
	v_cndmask_b32_e64 v5, v2, v5, s[28:29]
	v_and_b32_e32 v4, v8, v4
	v_cmp_eq_u32_e64 s[28:29], 0, v9
	v_add_u32_e32 v3, v4, v3
	v_cndmask_b32_e64 v4, v5, v2, s[28:29]
	v_cmp_eq_u32_e64 s[28:29], 0, v3
	v_mov_b32_dpp v2, v3 row_bcast:31 row_mask:0xf bank_mask:0xf
	v_mov_b32_dpp v5, v4 row_bcast:31 row_mask:0xf bank_mask:0xf
	v_add_f32_e32 v5, v4, v5
	v_cndmask_b32_e64 v5, v4, v5, s[28:29]
	v_cmp_lt_u32_e64 s[28:29], 31, v7
	v_cndmask_b32_e64 v2, 0, v2, s[28:29]
	v_add_u32_e32 v2, v2, v3
	v_cmp_eq_u32_e64 s[30:31], v75, v0
	v_cndmask_b32_e64 v3, v4, v5, s[28:29]
	s_and_saveexec_b64 s[28:29], s[30:31]
	s_cbranch_execz .LBB111_151
; %bb.150:
	v_lshlrev_b32_e32 v4, 3, v74
	ds_write_b64 v4, v[2:3] offset:2064
.LBB111_151:
	s_or_b64 exec, exec, s[28:29]
	v_cmp_gt_u32_e64 s[28:29], 4, v0
	s_waitcnt lgkmcnt(0)
	s_barrier
	s_and_saveexec_b64 s[34:35], s[28:29]
	s_cbranch_execz .LBB111_153
; %bb.152:
	v_lshlrev_b32_e32 v8, 3, v0
	ds_read_b64 v[4:5], v8 offset:2064
	v_and_b32_e32 v9, 3, v7
	v_cmp_lt_u32_e64 s[30:31], 1, v9
	s_waitcnt lgkmcnt(0)
	v_mov_b32_dpp v11, v5 row_shr:1 row_mask:0xf bank_mask:0xf
	v_add_f32_e32 v11, v5, v11
	v_cmp_eq_u32_e64 s[28:29], 0, v4
	v_mov_b32_dpp v10, v4 row_shr:1 row_mask:0xf bank_mask:0xf
	v_cndmask_b32_e64 v11, v5, v11, s[28:29]
	v_cmp_eq_u32_e64 s[28:29], 0, v9
	v_cndmask_b32_e64 v10, v10, 0, s[28:29]
	v_add_u32_e32 v4, v10, v4
	v_cndmask_b32_e64 v5, v11, v5, s[28:29]
	v_cmp_eq_u32_e64 s[28:29], 0, v4
	v_mov_b32_dpp v10, v4 row_shr:2 row_mask:0xf bank_mask:0xf
	v_mov_b32_dpp v11, v5 row_shr:2 row_mask:0xf bank_mask:0xf
	v_add_f32_e32 v11, v5, v11
	v_cndmask_b32_e64 v9, 0, v10, s[30:31]
	s_and_b64 s[28:29], s[30:31], s[28:29]
	v_add_u32_e32 v4, v9, v4
	v_cndmask_b32_e64 v5, v5, v11, s[28:29]
	ds_write_b64 v8, v[4:5] offset:2064
.LBB111_153:
	s_or_b64 exec, exec, s[34:35]
	v_cmp_lt_u32_e64 s[28:29], 63, v0
	v_mov_b32_e32 v8, 0
	v_mov_b32_e32 v4, 0
	s_waitcnt vmcnt(0)
	v_mov_b32_e32 v9, v6
	s_waitcnt lgkmcnt(0)
	s_barrier
	s_and_saveexec_b64 s[30:31], s[28:29]
	s_cbranch_execz .LBB111_155
; %bb.154:
	v_lshlrev_b32_e32 v4, 3, v74
	ds_read_b64 v[4:5], v4 offset:2056
	s_waitcnt lgkmcnt(0)
	v_add_f32_e32 v9, v6, v5
	v_cmp_eq_u32_e64 s[28:29], 0, v4
	v_cndmask_b32_e64 v9, v5, v9, s[28:29]
.LBB111_155:
	s_or_b64 exec, exec, s[30:31]
	v_add_f32_e32 v10, v3, v9
	v_cmp_eq_u32_e64 s[28:29], 0, v2
	v_add_u32_e32 v5, v4, v2
	v_cndmask_b32_e64 v2, v3, v10, s[28:29]
	v_add_u32_e32 v3, -1, v7
	v_and_b32_e32 v10, 64, v7
	v_cmp_lt_i32_e64 s[28:29], v3, v10
	v_cndmask_b32_e64 v3, v3, v7, s[28:29]
	v_lshlrev_b32_e32 v3, 2, v3
	ds_bpermute_b32 v5, v3, v5
	ds_bpermute_b32 v2, v3, v2
	v_cmp_eq_u32_e64 s[28:29], 0, v7
	v_cmp_eq_u32_e64 s[30:31], 0, v58
	s_waitcnt lgkmcnt(1)
	v_cndmask_b32_e64 v5, v5, v4, s[28:29]
	s_waitcnt lgkmcnt(0)
	v_cndmask_b32_e64 v73, v2, v9, s[28:29]
	v_cmp_eq_u32_e64 s[28:29], 0, v0
	v_cndmask_b32_e64 v2, v73, v6, s[28:29]
	v_add_f32_e32 v2, v38, v2
	v_cndmask_b32_e64 v72, v38, v2, s[30:31]
	v_add_f32_e32 v2, v39, v72
	v_cndmask_b32_e64 v71, v39, v2, s[4:5]
	v_add_f32_e32 v2, v36, v71
	v_cndmask_b32_e64 v70, v36, v2, s[6:7]
	v_add_f32_e32 v2, v37, v70
	v_cndmask_b32_e64 v69, v37, v2, s[8:9]
	v_add_f32_e32 v2, v34, v69
	v_cndmask_b32_e64 v68, v34, v2, s[10:11]
	v_add_f32_e32 v2, v35, v68
	v_cndmask_b32_e64 v67, v35, v2, s[12:13]
	v_add_f32_e32 v2, v32, v67
	v_cndmask_b32_e64 v66, v32, v2, s[14:15]
	v_add_f32_e32 v2, v33, v66
	v_cndmask_b32_e64 v65, v33, v2, s[16:17]
	v_add_f32_e32 v2, v30, v65
	v_cndmask_b32_e64 v64, v30, v2, s[18:19]
	v_add_f32_e32 v2, v31, v64
	v_cndmask_b32_e64 v63, v31, v2, s[20:21]
	v_add_f32_e32 v2, v28, v63
	v_cndmask_b32_e64 v61, v28, v2, s[24:25]
	ds_read_b64 v[2:3], v8 offset:2088
	v_add_f32_e32 v4, v29, v61
	v_cndmask_b32_e64 v60, v29, v4, s[22:23]
	v_add_f32_e32 v4, v26, v60
	v_cndmask_b32_e64 v43, v26, v4, s[26:27]
	s_waitcnt lgkmcnt(0)
	v_add_f32_e32 v4, v6, v3
	v_cmp_eq_u32_e64 s[4:5], 0, v2
	v_add_f32_e32 v7, v27, v43
	v_cndmask_b32_e64 v42, v3, v4, s[4:5]
	s_and_saveexec_b64 s[4:5], s[28:29]
	s_cbranch_execz .LBB111_157
; %bb.156:
	s_add_u32 s6, s44, 0x400
	v_and_b32_e32 v3, 0xff000000, v42
	v_and_b32_e32 v4, 0xff0000, v42
	s_addc_u32 s7, s45, 0
	v_or_b32_e32 v3, v4, v3
	v_and_b32_e32 v4, 0xff00, v42
	v_and_b32_e32 v8, 0xff, v42
	v_mov_b32_e32 v5, 0
	v_or3_b32 v3, v3, v4, v8
	v_mov_b32_e32 v4, 2
	v_pk_mov_b32 v[8:9], s[6:7], s[6:7] op_sel:[0,1]
	;;#ASMSTART
	global_store_dwordx4 v[8:9], v[2:5] off	
s_waitcnt vmcnt(0)
	;;#ASMEND
	v_mov_b32_e32 v73, v6
.LBB111_157:
	s_or_b64 exec, exec, s[4:5]
	v_cndmask_b32_e32 v62, v27, v7, vcc
	s_mov_b64 s[48:49], -1
	v_mov_b32_e32 v6, 0
	s_and_saveexec_b64 s[4:5], s[48:49]
	s_cbranch_execz .LBB111_341
.LBB111_158:
	s_and_b64 s[4:5], s[46:47], exec
	s_cselect_b32 s5, 0, s59
	s_cselect_b32 s4, 0, s58
	s_cmp_eq_u64 s[4:5], 0
	v_pk_mov_b32 v[8:9], 0, 0
	s_waitcnt lgkmcnt(0)
	s_barrier
	s_cbranch_scc1 .LBB111_160
; %bb.159:
	v_mov_b32_e32 v3, 0
	global_load_dwordx2 v[8:9], v3, s[4:5]
.LBB111_160:
	s_waitcnt vmcnt(0)
	v_lshlrev_b64 v[10:11], 2, v[8:9]
	v_mov_b32_e32 v7, s43
	v_add_co_u32_e32 v40, vcc, s42, v10
	v_addc_co_u32_e32 v41, vcc, v7, v11, vcc
	v_mov_b32_e32 v7, 0
	v_lshlrev_b64 v[26:27], 2, v[6:7]
	v_add_co_u32_e32 v7, vcc, v40, v26
	v_addc_co_u32_e32 v40, vcc, v41, v27, vcc
	v_cmp_eq_u32_e32 vcc, 0, v58
	v_cndmask_b32_e64 v41, 1, 2, vcc
	v_cmp_eq_u32_e32 vcc, 0, v57
	v_cndmask_b32_e64 v59, 1, 2, vcc
	v_cmp_eq_u32_e32 vcc, 0, v56
	v_add_u32_e32 v39, v5, v58
	v_and_b32_e32 v41, v59, v41
	v_cndmask_b32_e64 v59, 1, 2, vcc
	v_cmp_eq_u32_e32 vcc, 0, v55
	v_add_u32_e32 v38, v39, v57
	v_and_b32_e32 v41, v41, v59
	;; [unrolled: 4-line block ×12, first 2 shown]
	v_cndmask_b32_e64 v59, 1, 2, vcc
	v_cmp_eq_u32_e32 vcc, 0, v44
	s_movk_i32 s36, 0x100
	v_add_u32_e32 v4, v28, v46
	v_and_b32_e32 v41, v41, v59
	v_cndmask_b32_e64 v59, 1, 2, vcc
	v_cmp_gt_u32_e32 vcc, s36, v2
	v_add_u32_e32 v3, v4, v45
	v_cmp_ne_u32_e64 s[34:35], 0, v58
	v_cmp_ne_u32_e64 s[30:31], 0, v57
	;; [unrolled: 1-line block ×15, first 2 shown]
	v_and_b32_e32 v41, v41, v59
	s_mov_b64 s[36:37], -1
	s_cbranch_vccz .LBB111_197
; %bb.161:
	v_cmp_gt_i16_e32 vcc, 2, v41
	s_and_saveexec_b64 s[36:37], vcc
	s_cbranch_execz .LBB111_196
; %bb.162:
	v_cmp_ne_u16_e32 vcc, 1, v41
	s_mov_b64 s[44:45], 0
	s_and_saveexec_b64 s[42:43], vcc
	s_xor_b64 s[42:43], exec, s[42:43]
	s_cbranch_execz .LBB111_177
; %bb.163:
	s_and_saveexec_b64 s[44:45], s[34:35]
	s_cbranch_execz .LBB111_179
; %bb.164:
	v_sub_u32_e32 v74, v5, v6
	v_mov_b32_e32 v75, 0
	v_lshlrev_b64 v[74:75], 2, v[74:75]
	v_add_co_u32_e32 v74, vcc, v7, v74
	v_addc_co_u32_e32 v75, vcc, v40, v75, vcc
	global_store_dword v[74:75], v24, off
	s_or_b64 exec, exec, s[44:45]
	s_and_saveexec_b64 s[44:45], s[30:31]
	s_cbranch_execnz .LBB111_180
.LBB111_165:
	s_or_b64 exec, exec, s[44:45]
	s_and_saveexec_b64 s[44:45], s[28:29]
	s_cbranch_execz .LBB111_181
.LBB111_166:
	v_sub_u32_e32 v74, v38, v6
	v_mov_b32_e32 v75, 0
	v_lshlrev_b64 v[74:75], 2, v[74:75]
	v_add_co_u32_e32 v74, vcc, v7, v74
	v_addc_co_u32_e32 v75, vcc, v40, v75, vcc
	global_store_dword v[74:75], v22, off
	s_or_b64 exec, exec, s[44:45]
	s_and_saveexec_b64 s[44:45], s[26:27]
	s_cbranch_execnz .LBB111_182
.LBB111_167:
	s_or_b64 exec, exec, s[44:45]
	s_and_saveexec_b64 s[44:45], s[24:25]
	s_cbranch_execz .LBB111_183
.LBB111_168:
	v_sub_u32_e32 v74, v36, v6
	v_mov_b32_e32 v75, 0
	v_lshlrev_b64 v[74:75], 2, v[74:75]
	v_add_co_u32_e32 v74, vcc, v7, v74
	v_addc_co_u32_e32 v75, vcc, v40, v75, vcc
	global_store_dword v[74:75], v20, off
	s_or_b64 exec, exec, s[44:45]
	s_and_saveexec_b64 s[44:45], s[22:23]
	s_cbranch_execnz .LBB111_184
.LBB111_169:
	s_or_b64 exec, exec, s[44:45]
	s_and_saveexec_b64 s[44:45], s[20:21]
	s_cbranch_execz .LBB111_185
.LBB111_170:
	v_sub_u32_e32 v74, v34, v6
	v_mov_b32_e32 v75, 0
	v_lshlrev_b64 v[74:75], 2, v[74:75]
	v_add_co_u32_e32 v74, vcc, v7, v74
	v_addc_co_u32_e32 v75, vcc, v40, v75, vcc
	global_store_dword v[74:75], v18, off
	s_or_b64 exec, exec, s[44:45]
	s_and_saveexec_b64 s[44:45], s[18:19]
	s_cbranch_execnz .LBB111_186
.LBB111_171:
	s_or_b64 exec, exec, s[44:45]
	s_and_saveexec_b64 s[44:45], s[16:17]
	s_cbranch_execz .LBB111_187
.LBB111_172:
	v_sub_u32_e32 v74, v32, v6
	v_mov_b32_e32 v75, 0
	v_lshlrev_b64 v[74:75], 2, v[74:75]
	v_add_co_u32_e32 v74, vcc, v7, v74
	v_addc_co_u32_e32 v75, vcc, v40, v75, vcc
	global_store_dword v[74:75], v16, off
	s_or_b64 exec, exec, s[44:45]
	s_and_saveexec_b64 s[44:45], s[14:15]
	s_cbranch_execnz .LBB111_188
.LBB111_173:
	s_or_b64 exec, exec, s[44:45]
	s_and_saveexec_b64 s[44:45], s[12:13]
	s_cbranch_execz .LBB111_189
.LBB111_174:
	v_sub_u32_e32 v74, v30, v6
	v_mov_b32_e32 v75, 0
	v_lshlrev_b64 v[74:75], 2, v[74:75]
	v_add_co_u32_e32 v74, vcc, v7, v74
	v_addc_co_u32_e32 v75, vcc, v40, v75, vcc
	global_store_dword v[74:75], v14, off
	s_or_b64 exec, exec, s[44:45]
	s_and_saveexec_b64 s[44:45], s[10:11]
	s_cbranch_execnz .LBB111_190
.LBB111_175:
	s_or_b64 exec, exec, s[44:45]
	s_and_saveexec_b64 s[44:45], s[8:9]
	s_cbranch_execz .LBB111_191
.LBB111_176:
	v_sub_u32_e32 v74, v28, v6
	v_mov_b32_e32 v75, 0
	v_lshlrev_b64 v[74:75], 2, v[74:75]
	v_add_co_u32_e32 v74, vcc, v7, v74
	v_addc_co_u32_e32 v75, vcc, v40, v75, vcc
	global_store_dword v[74:75], v12, off
	s_or_b64 exec, exec, s[44:45]
	s_and_saveexec_b64 s[44:45], s[6:7]
	s_cbranch_execnz .LBB111_192
	s_branch .LBB111_193
.LBB111_177:
	s_andn2_saveexec_b64 s[42:43], s[42:43]
	s_cbranch_execz .LBB111_194
.LBB111_178:
	v_sub_u32_e32 v74, v5, v6
	v_mov_b32_e32 v75, 0
	v_lshlrev_b64 v[76:77], 2, v[74:75]
	v_add_co_u32_e32 v76, vcc, v7, v76
	v_addc_co_u32_e32 v77, vcc, v40, v77, vcc
	v_sub_u32_e32 v74, v39, v6
	global_store_dword v[76:77], v24, off
	v_lshlrev_b64 v[76:77], 2, v[74:75]
	v_add_co_u32_e32 v76, vcc, v7, v76
	v_addc_co_u32_e32 v77, vcc, v40, v77, vcc
	v_sub_u32_e32 v74, v38, v6
	global_store_dword v[76:77], v25, off
	;; [unrolled: 5-line block ×12, first 2 shown]
	v_lshlrev_b64 v[76:77], 2, v[74:75]
	v_add_co_u32_e32 v76, vcc, v7, v76
	v_sub_u32_e32 v74, v4, v6
	v_addc_co_u32_e32 v77, vcc, v40, v77, vcc
	v_lshlrev_b64 v[74:75], 2, v[74:75]
	v_add_co_u32_e32 v74, vcc, v7, v74
	v_addc_co_u32_e32 v75, vcc, v40, v75, vcc
	s_or_b64 s[44:45], s[44:45], exec
	global_store_dword v[76:77], v12, off
	global_store_dword v[74:75], v13, off
	s_or_b64 exec, exec, s[42:43]
	s_and_b64 exec, exec, s[44:45]
	s_cbranch_execnz .LBB111_195
	s_branch .LBB111_196
.LBB111_179:
	s_or_b64 exec, exec, s[44:45]
	s_and_saveexec_b64 s[44:45], s[30:31]
	s_cbranch_execz .LBB111_165
.LBB111_180:
	v_sub_u32_e32 v74, v39, v6
	v_mov_b32_e32 v75, 0
	v_lshlrev_b64 v[74:75], 2, v[74:75]
	v_add_co_u32_e32 v74, vcc, v7, v74
	v_addc_co_u32_e32 v75, vcc, v40, v75, vcc
	global_store_dword v[74:75], v25, off
	s_or_b64 exec, exec, s[44:45]
	s_and_saveexec_b64 s[44:45], s[28:29]
	s_cbranch_execnz .LBB111_166
.LBB111_181:
	s_or_b64 exec, exec, s[44:45]
	s_and_saveexec_b64 s[44:45], s[26:27]
	s_cbranch_execz .LBB111_167
.LBB111_182:
	v_sub_u32_e32 v74, v37, v6
	v_mov_b32_e32 v75, 0
	v_lshlrev_b64 v[74:75], 2, v[74:75]
	v_add_co_u32_e32 v74, vcc, v7, v74
	v_addc_co_u32_e32 v75, vcc, v40, v75, vcc
	global_store_dword v[74:75], v23, off
	s_or_b64 exec, exec, s[44:45]
	s_and_saveexec_b64 s[44:45], s[24:25]
	s_cbranch_execnz .LBB111_168
.LBB111_183:
	s_or_b64 exec, exec, s[44:45]
	s_and_saveexec_b64 s[44:45], s[22:23]
	s_cbranch_execz .LBB111_169
.LBB111_184:
	v_sub_u32_e32 v74, v35, v6
	v_mov_b32_e32 v75, 0
	v_lshlrev_b64 v[74:75], 2, v[74:75]
	v_add_co_u32_e32 v74, vcc, v7, v74
	v_addc_co_u32_e32 v75, vcc, v40, v75, vcc
	global_store_dword v[74:75], v21, off
	s_or_b64 exec, exec, s[44:45]
	s_and_saveexec_b64 s[44:45], s[20:21]
	s_cbranch_execnz .LBB111_170
.LBB111_185:
	s_or_b64 exec, exec, s[44:45]
	s_and_saveexec_b64 s[44:45], s[18:19]
	s_cbranch_execz .LBB111_171
.LBB111_186:
	v_sub_u32_e32 v74, v33, v6
	v_mov_b32_e32 v75, 0
	v_lshlrev_b64 v[74:75], 2, v[74:75]
	v_add_co_u32_e32 v74, vcc, v7, v74
	v_addc_co_u32_e32 v75, vcc, v40, v75, vcc
	global_store_dword v[74:75], v19, off
	s_or_b64 exec, exec, s[44:45]
	s_and_saveexec_b64 s[44:45], s[16:17]
	s_cbranch_execnz .LBB111_172
.LBB111_187:
	s_or_b64 exec, exec, s[44:45]
	s_and_saveexec_b64 s[44:45], s[14:15]
	s_cbranch_execz .LBB111_173
.LBB111_188:
	v_sub_u32_e32 v74, v31, v6
	v_mov_b32_e32 v75, 0
	v_lshlrev_b64 v[74:75], 2, v[74:75]
	v_add_co_u32_e32 v74, vcc, v7, v74
	v_addc_co_u32_e32 v75, vcc, v40, v75, vcc
	global_store_dword v[74:75], v17, off
	s_or_b64 exec, exec, s[44:45]
	s_and_saveexec_b64 s[44:45], s[12:13]
	s_cbranch_execnz .LBB111_174
.LBB111_189:
	s_or_b64 exec, exec, s[44:45]
	s_and_saveexec_b64 s[44:45], s[10:11]
	s_cbranch_execz .LBB111_175
.LBB111_190:
	v_sub_u32_e32 v74, v29, v6
	v_mov_b32_e32 v75, 0
	v_lshlrev_b64 v[74:75], 2, v[74:75]
	v_add_co_u32_e32 v74, vcc, v7, v74
	v_addc_co_u32_e32 v75, vcc, v40, v75, vcc
	global_store_dword v[74:75], v15, off
	s_or_b64 exec, exec, s[44:45]
	s_and_saveexec_b64 s[44:45], s[8:9]
	s_cbranch_execnz .LBB111_176
.LBB111_191:
	s_or_b64 exec, exec, s[44:45]
	s_and_saveexec_b64 s[44:45], s[6:7]
	s_cbranch_execz .LBB111_193
.LBB111_192:
	v_sub_u32_e32 v74, v4, v6
	v_mov_b32_e32 v75, 0
	v_lshlrev_b64 v[74:75], 2, v[74:75]
	v_add_co_u32_e32 v74, vcc, v7, v74
	v_addc_co_u32_e32 v75, vcc, v40, v75, vcc
	global_store_dword v[74:75], v13, off
.LBB111_193:
	s_or_b64 exec, exec, s[44:45]
	s_and_b64 s[44:45], s[4:5], exec
	s_andn2_saveexec_b64 s[42:43], s[42:43]
	s_cbranch_execnz .LBB111_178
.LBB111_194:
	s_or_b64 exec, exec, s[42:43]
	s_and_b64 exec, exec, s[44:45]
	s_cbranch_execz .LBB111_196
.LBB111_195:
	v_sub_u32_e32 v74, v3, v6
	v_mov_b32_e32 v75, 0
	v_lshlrev_b64 v[74:75], 2, v[74:75]
	v_add_co_u32_e32 v74, vcc, v7, v74
	v_addc_co_u32_e32 v75, vcc, v40, v75, vcc
	global_store_dword v[74:75], v1, off
.LBB111_196:
	s_or_b64 exec, exec, s[36:37]
	s_mov_b64 s[36:37], 0
.LBB111_197:
	s_and_b64 vcc, exec, s[36:37]
	s_cbranch_vccz .LBB111_249
; %bb.198:
	v_cmp_gt_i16_e32 vcc, 2, v41
	s_and_saveexec_b64 s[36:37], vcc
	s_cbranch_execz .LBB111_233
; %bb.199:
	v_cmp_ne_u16_e32 vcc, 1, v41
	s_mov_b64 s[44:45], 0
	s_and_saveexec_b64 s[42:43], vcc
	s_xor_b64 s[42:43], exec, s[42:43]
	s_cbranch_execz .LBB111_214
; %bb.200:
	s_and_saveexec_b64 s[44:45], s[34:35]
	s_cbranch_execz .LBB111_216
; %bb.201:
	v_sub_u32_e32 v41, v5, v6
	v_lshlrev_b32_e32 v41, 2, v41
	ds_write_b32 v41, v24
	s_or_b64 exec, exec, s[44:45]
	s_and_saveexec_b64 s[34:35], s[30:31]
	s_cbranch_execnz .LBB111_217
.LBB111_202:
	s_or_b64 exec, exec, s[34:35]
	s_and_saveexec_b64 s[30:31], s[28:29]
	s_cbranch_execz .LBB111_218
.LBB111_203:
	v_sub_u32_e32 v24, v38, v6
	v_lshlrev_b32_e32 v24, 2, v24
	ds_write_b32 v24, v22
	s_or_b64 exec, exec, s[30:31]
	s_and_saveexec_b64 s[28:29], s[26:27]
	s_cbranch_execnz .LBB111_219
.LBB111_204:
	s_or_b64 exec, exec, s[28:29]
	s_and_saveexec_b64 s[26:27], s[24:25]
	s_cbranch_execz .LBB111_220
.LBB111_205:
	v_sub_u32_e32 v22, v36, v6
	v_lshlrev_b32_e32 v22, 2, v22
	ds_write_b32 v22, v20
	s_or_b64 exec, exec, s[26:27]
	s_and_saveexec_b64 s[24:25], s[22:23]
	s_cbranch_execnz .LBB111_221
.LBB111_206:
	s_or_b64 exec, exec, s[24:25]
	s_and_saveexec_b64 s[22:23], s[20:21]
	s_cbranch_execz .LBB111_222
.LBB111_207:
	v_sub_u32_e32 v20, v34, v6
	v_lshlrev_b32_e32 v20, 2, v20
	ds_write_b32 v20, v18
	s_or_b64 exec, exec, s[22:23]
	s_and_saveexec_b64 s[20:21], s[18:19]
	s_cbranch_execnz .LBB111_223
.LBB111_208:
	s_or_b64 exec, exec, s[20:21]
	s_and_saveexec_b64 s[18:19], s[16:17]
	s_cbranch_execz .LBB111_224
.LBB111_209:
	v_sub_u32_e32 v18, v32, v6
	v_lshlrev_b32_e32 v18, 2, v18
	ds_write_b32 v18, v16
	s_or_b64 exec, exec, s[18:19]
	s_and_saveexec_b64 s[16:17], s[14:15]
	s_cbranch_execnz .LBB111_225
.LBB111_210:
	s_or_b64 exec, exec, s[16:17]
	s_and_saveexec_b64 s[14:15], s[12:13]
	s_cbranch_execz .LBB111_226
.LBB111_211:
	v_sub_u32_e32 v16, v30, v6
	v_lshlrev_b32_e32 v16, 2, v16
	ds_write_b32 v16, v14
	s_or_b64 exec, exec, s[14:15]
	s_and_saveexec_b64 s[12:13], s[10:11]
	s_cbranch_execnz .LBB111_227
.LBB111_212:
	s_or_b64 exec, exec, s[12:13]
	s_and_saveexec_b64 s[10:11], s[8:9]
	s_cbranch_execz .LBB111_228
.LBB111_213:
	v_sub_u32_e32 v14, v28, v6
	v_lshlrev_b32_e32 v14, 2, v14
	ds_write_b32 v14, v12
	s_or_b64 exec, exec, s[10:11]
	s_and_saveexec_b64 s[8:9], s[6:7]
	s_cbranch_execnz .LBB111_229
	s_branch .LBB111_230
.LBB111_214:
	s_andn2_saveexec_b64 s[4:5], s[42:43]
	s_cbranch_execz .LBB111_231
.LBB111_215:
	v_sub_u32_e32 v41, v5, v6
	v_lshlrev_b32_e32 v41, 2, v41
	ds_write_b32 v41, v24
	v_sub_u32_e32 v24, v39, v6
	v_lshlrev_b32_e32 v24, 2, v24
	ds_write_b32 v24, v25
	;; [unrolled: 3-line block ×13, first 2 shown]
	v_sub_u32_e32 v12, v4, v6
	v_lshlrev_b32_e32 v12, 2, v12
	s_or_b64 s[44:45], s[44:45], exec
	ds_write_b32 v12, v13
	s_or_b64 exec, exec, s[4:5]
	s_and_b64 exec, exec, s[44:45]
	s_cbranch_execnz .LBB111_232
	s_branch .LBB111_233
.LBB111_216:
	s_or_b64 exec, exec, s[44:45]
	s_and_saveexec_b64 s[34:35], s[30:31]
	s_cbranch_execz .LBB111_202
.LBB111_217:
	v_sub_u32_e32 v24, v39, v6
	v_lshlrev_b32_e32 v24, 2, v24
	ds_write_b32 v24, v25
	s_or_b64 exec, exec, s[34:35]
	s_and_saveexec_b64 s[30:31], s[28:29]
	s_cbranch_execnz .LBB111_203
.LBB111_218:
	s_or_b64 exec, exec, s[30:31]
	s_and_saveexec_b64 s[28:29], s[26:27]
	s_cbranch_execz .LBB111_204
.LBB111_219:
	v_sub_u32_e32 v22, v37, v6
	v_lshlrev_b32_e32 v22, 2, v22
	ds_write_b32 v22, v23
	s_or_b64 exec, exec, s[28:29]
	s_and_saveexec_b64 s[26:27], s[24:25]
	s_cbranch_execnz .LBB111_205
.LBB111_220:
	s_or_b64 exec, exec, s[26:27]
	s_and_saveexec_b64 s[24:25], s[22:23]
	s_cbranch_execz .LBB111_206
.LBB111_221:
	v_sub_u32_e32 v20, v35, v6
	v_lshlrev_b32_e32 v20, 2, v20
	ds_write_b32 v20, v21
	s_or_b64 exec, exec, s[24:25]
	s_and_saveexec_b64 s[22:23], s[20:21]
	s_cbranch_execnz .LBB111_207
.LBB111_222:
	s_or_b64 exec, exec, s[22:23]
	s_and_saveexec_b64 s[20:21], s[18:19]
	s_cbranch_execz .LBB111_208
.LBB111_223:
	v_sub_u32_e32 v18, v33, v6
	v_lshlrev_b32_e32 v18, 2, v18
	ds_write_b32 v18, v19
	s_or_b64 exec, exec, s[20:21]
	s_and_saveexec_b64 s[18:19], s[16:17]
	s_cbranch_execnz .LBB111_209
.LBB111_224:
	s_or_b64 exec, exec, s[18:19]
	s_and_saveexec_b64 s[16:17], s[14:15]
	s_cbranch_execz .LBB111_210
.LBB111_225:
	v_sub_u32_e32 v16, v31, v6
	v_lshlrev_b32_e32 v16, 2, v16
	ds_write_b32 v16, v17
	s_or_b64 exec, exec, s[16:17]
	s_and_saveexec_b64 s[14:15], s[12:13]
	s_cbranch_execnz .LBB111_211
.LBB111_226:
	s_or_b64 exec, exec, s[14:15]
	s_and_saveexec_b64 s[12:13], s[10:11]
	s_cbranch_execz .LBB111_212
.LBB111_227:
	v_sub_u32_e32 v14, v29, v6
	v_lshlrev_b32_e32 v14, 2, v14
	ds_write_b32 v14, v15
	s_or_b64 exec, exec, s[12:13]
	s_and_saveexec_b64 s[10:11], s[8:9]
	s_cbranch_execnz .LBB111_213
.LBB111_228:
	s_or_b64 exec, exec, s[10:11]
	s_and_saveexec_b64 s[8:9], s[6:7]
	s_cbranch_execz .LBB111_230
.LBB111_229:
	v_sub_u32_e32 v12, v4, v6
	v_lshlrev_b32_e32 v12, 2, v12
	ds_write_b32 v12, v13
.LBB111_230:
	s_or_b64 exec, exec, s[8:9]
	s_and_b64 s[44:45], s[4:5], exec
                                        ; implicit-def: $vgpr12
                                        ; implicit-def: $vgpr14
                                        ; implicit-def: $vgpr16
                                        ; implicit-def: $vgpr18
                                        ; implicit-def: $vgpr20
                                        ; implicit-def: $vgpr22
                                        ; implicit-def: $vgpr24
	s_andn2_saveexec_b64 s[4:5], s[42:43]
	s_cbranch_execnz .LBB111_215
.LBB111_231:
	s_or_b64 exec, exec, s[4:5]
	s_and_b64 exec, exec, s[44:45]
	s_cbranch_execz .LBB111_233
.LBB111_232:
	v_sub_u32_e32 v12, v3, v6
	v_lshlrev_b32_e32 v12, 2, v12
	ds_write_b32 v12, v1
.LBB111_233:
	s_or_b64 exec, exec, s[36:37]
	v_cmp_lt_u32_e32 vcc, v0, v2
	s_waitcnt lgkmcnt(0)
	s_barrier
	s_and_saveexec_b64 s[6:7], vcc
	s_cbranch_execz .LBB111_248
; %bb.234:
	v_xad_u32 v1, v0, -1, v2
	s_movk_i32 s4, 0x1700
	v_cmp_gt_u32_e64 s[8:9], s4, v1
	s_movk_i32 s4, 0x16ff
	v_cmp_lt_u32_e32 vcc, s4, v1
	v_mov_b32_e32 v12, v0
	s_and_saveexec_b64 s[10:11], vcc
	s_cbranch_execz .LBB111_245
; %bb.235:
	v_sub_u32_e32 v12, v0, v2
	v_or_b32_e32 v12, 0xff, v12
	v_cmp_ge_u32_e32 vcc, v12, v0
	s_mov_b64 s[4:5], -1
	v_mov_b32_e32 v12, v0
	s_and_saveexec_b64 s[12:13], vcc
	s_cbranch_execz .LBB111_244
; %bb.236:
	v_lshrrev_b32_e32 v16, 8, v1
	v_add_u32_e32 v12, -1, v16
	v_or_b32_e32 v1, 0x100, v0
	v_lshrrev_b32_e32 v13, 1, v12
	v_add_u32_e32 v17, 1, v13
	v_cmp_lt_u32_e32 vcc, 13, v12
	v_mov_b32_e32 v20, 0
	v_pk_mov_b32 v[12:13], v[0:1], v[0:1] op_sel:[0,1]
	s_and_saveexec_b64 s[14:15], vcc
	s_cbranch_execz .LBB111_240
; %bb.237:
	v_and_b32_e32 v18, -8, v17
	v_lshlrev_b32_e32 v19, 2, v0
	s_mov_b32 s18, 0
	s_mov_b64 s[16:17], 0
	v_mov_b32_e32 v15, 0
	v_pk_mov_b32 v[12:13], v[0:1], v[0:1] op_sel:[0,1]
.LBB111_238:                            ; =>This Inner Loop Header: Depth=1
	v_mov_b32_e32 v14, v12
	v_add_u32_e32 v18, -8, v18
	v_lshlrev_b64 v[98:99], 2, v[14:15]
	v_mov_b32_e32 v14, v13
	ds_read2st64_b32 v[22:23], v19 offset1:4
	s_add_i32 s18, s18, 16
	v_cmp_eq_u32_e32 vcc, 0, v18
	v_lshlrev_b64 v[102:103], 2, v[14:15]
	v_add_u32_e32 v14, 0x200, v12
	s_or_b64 s[16:17], vcc, s[16:17]
	v_add_co_u32_e32 v102, vcc, v7, v102
	v_add_u32_e32 v20, 0x200, v13
	v_mov_b32_e32 v21, v15
	ds_read2st64_b32 v[24:25], v19 offset0:8 offset1:12
	ds_read2st64_b32 v[76:77], v19 offset0:16 offset1:20
	v_add_co_u32_e64 v98, s[4:5], v7, v98
	v_addc_co_u32_e32 v103, vcc, v40, v103, vcc
	v_lshlrev_b64 v[104:105], 2, v[14:15]
	v_lshlrev_b64 v[100:101], 2, v[20:21]
	v_addc_co_u32_e64 v99, s[4:5], v40, v99, s[4:5]
	v_add_u32_e32 v14, 0x400, v12
	v_add_co_u32_e32 v104, vcc, v7, v104
	v_add_u32_e32 v74, 0x400, v13
	v_mov_b32_e32 v75, v15
	ds_read2st64_b32 v[80:81], v19 offset0:24 offset1:28
	v_add_co_u32_e64 v100, s[4:5], v7, v100
	v_addc_co_u32_e32 v105, vcc, v40, v105, vcc
	v_lshlrev_b64 v[106:107], 2, v[14:15]
	ds_read2st64_b32 v[84:85], v19 offset0:32 offset1:36
	ds_read2st64_b32 v[88:89], v19 offset0:40 offset1:44
	;; [unrolled: 1-line block ×4, first 2 shown]
	v_lshlrev_b64 v[74:75], 2, v[74:75]
	v_addc_co_u32_e64 v101, s[4:5], v40, v101, s[4:5]
	v_add_u32_e32 v14, 0x600, v12
	s_waitcnt lgkmcnt(7)
	global_store_dword v[98:99], v22, off
	global_store_dword v[102:103], v23, off
	s_waitcnt lgkmcnt(6)
	global_store_dword v[104:105], v24, off
	global_store_dword v[100:101], v25, off
	v_add_co_u32_e32 v22, vcc, v7, v106
	v_add_u32_e32 v78, 0x600, v13
	v_mov_b32_e32 v79, v15
	v_add_co_u32_e64 v74, s[4:5], v7, v74
	v_addc_co_u32_e32 v23, vcc, v40, v107, vcc
	v_lshlrev_b64 v[24:25], 2, v[14:15]
	v_lshlrev_b64 v[78:79], 2, v[78:79]
	v_addc_co_u32_e64 v75, s[4:5], v40, v75, s[4:5]
	v_add_u32_e32 v14, 0x800, v12
	s_waitcnt lgkmcnt(5)
	global_store_dword v[22:23], v76, off
	global_store_dword v[74:75], v77, off
	v_add_co_u32_e32 v22, vcc, v7, v24
	v_add_u32_e32 v82, 0x800, v13
	v_mov_b32_e32 v83, v15
	v_add_co_u32_e64 v78, s[4:5], v7, v78
	v_addc_co_u32_e32 v23, vcc, v40, v25, vcc
	v_lshlrev_b64 v[24:25], 2, v[14:15]
	v_lshlrev_b64 v[82:83], 2, v[82:83]
	v_addc_co_u32_e64 v79, s[4:5], v40, v79, s[4:5]
	v_add_u32_e32 v14, 0xa00, v12
	;; [unrolled: 12-line block ×4, first 2 shown]
	s_waitcnt lgkmcnt(2)
	global_store_dword v[22:23], v88, off
	global_store_dword v[86:87], v89, off
	v_add_co_u32_e32 v22, vcc, v7, v24
	v_add_u32_e32 v94, 0xe00, v13
	v_mov_b32_e32 v95, v15
	v_add_co_u32_e64 v90, s[4:5], v7, v90
	v_addc_co_u32_e32 v23, vcc, v40, v25, vcc
	v_lshlrev_b64 v[24:25], 2, v[14:15]
	v_lshlrev_b64 v[94:95], 2, v[94:95]
	v_addc_co_u32_e64 v91, s[4:5], v40, v91, s[4:5]
	s_waitcnt lgkmcnt(1)
	global_store_dword v[22:23], v92, off
	global_store_dword v[90:91], v93, off
	v_add_co_u32_e32 v22, vcc, v7, v24
	v_add_u32_e32 v19, 0x4000, v19
	v_add_u32_e32 v13, 0x1000, v13
	v_mov_b32_e32 v20, s18
	v_add_co_u32_e64 v94, s[4:5], v7, v94
	v_add_u32_e32 v12, 0x1000, v12
	v_addc_co_u32_e32 v23, vcc, v40, v25, vcc
	v_addc_co_u32_e64 v95, s[4:5], v40, v95, s[4:5]
	s_waitcnt lgkmcnt(0)
	global_store_dword v[22:23], v96, off
	global_store_dword v[94:95], v97, off
	s_andn2_b64 exec, exec, s[16:17]
	s_cbranch_execnz .LBB111_238
; %bb.239:
	s_or_b64 exec, exec, s[16:17]
.LBB111_240:
	s_or_b64 exec, exec, s[14:15]
	v_and_b32_e32 v1, 7, v17
	v_cmp_ne_u32_e32 vcc, 0, v1
	s_and_saveexec_b64 s[14:15], vcc
	s_cbranch_execz .LBB111_243
; %bb.241:
	v_lshlrev_b32_e32 v14, 2, v0
	v_lshl_or_b32 v17, v20, 10, v14
	s_mov_b64 s[16:17], 0
	v_mov_b32_e32 v15, 0
.LBB111_242:                            ; =>This Inner Loop Header: Depth=1
	ds_read2st64_b32 v[18:19], v17 offset1:4
	v_mov_b32_e32 v14, v12
	v_add_u32_e32 v1, -1, v1
	v_lshlrev_b64 v[20:21], 2, v[14:15]
	v_mov_b32_e32 v14, v13
	v_cmp_eq_u32_e32 vcc, 0, v1
	v_add_co_u32_e64 v20, s[4:5], v7, v20
	v_lshlrev_b64 v[22:23], 2, v[14:15]
	v_add_u32_e32 v12, 0x200, v12
	v_add_u32_e32 v17, 0x800, v17
	;; [unrolled: 1-line block ×3, first 2 shown]
	v_addc_co_u32_e64 v21, s[4:5], v40, v21, s[4:5]
	s_or_b64 s[16:17], vcc, s[16:17]
	v_add_co_u32_e32 v22, vcc, v7, v22
	v_addc_co_u32_e32 v23, vcc, v40, v23, vcc
	s_waitcnt lgkmcnt(0)
	global_store_dword v[20:21], v18, off
	global_store_dword v[22:23], v19, off
	s_andn2_b64 exec, exec, s[16:17]
	s_cbranch_execnz .LBB111_242
.LBB111_243:
	s_or_b64 exec, exec, s[14:15]
	v_add_u32_e32 v1, 1, v16
	v_and_b32_e32 v13, 0x1fffffe, v1
	v_cmp_ne_u32_e32 vcc, v1, v13
	v_lshl_or_b32 v12, v13, 8, v0
	s_orn2_b64 s[4:5], vcc, exec
.LBB111_244:
	s_or_b64 exec, exec, s[12:13]
	s_andn2_b64 s[8:9], s[8:9], exec
	s_and_b64 s[4:5], s[4:5], exec
	s_or_b64 s[8:9], s[8:9], s[4:5]
.LBB111_245:
	s_or_b64 exec, exec, s[10:11]
	s_and_b64 exec, exec, s[8:9]
	s_cbranch_execz .LBB111_248
; %bb.246:
	v_lshlrev_b32_e32 v1, 2, v12
	s_mov_b64 s[4:5], 0
	v_mov_b32_e32 v13, 0
.LBB111_247:                            ; =>This Inner Loop Header: Depth=1
	v_lshlrev_b64 v[14:15], 2, v[12:13]
	ds_read_b32 v16, v1
	v_add_co_u32_e32 v14, vcc, v7, v14
	v_add_u32_e32 v12, 0x100, v12
	v_addc_co_u32_e32 v15, vcc, v40, v15, vcc
	v_cmp_ge_u32_e32 vcc, v12, v2
	v_add_u32_e32 v1, 0x400, v1
	s_or_b64 s[4:5], vcc, s[4:5]
	s_waitcnt lgkmcnt(0)
	global_store_dword v[14:15], v16, off
	s_andn2_b64 exec, exec, s[4:5]
	s_cbranch_execnz .LBB111_247
.LBB111_248:
	s_or_b64 exec, exec, s[6:7]
.LBB111_249:
	s_cmpk_lg_i32 s33, 0xf00
	s_cselect_b64 s[4:5], -1, 0
	s_and_b64 s[4:5], s[38:39], s[4:5]
	v_cmp_eq_u32_e32 vcc, 0, v0
	v_cndmask_b32_e64 v16, 0, 1, s[4:5]
	s_and_b64 s[4:5], vcc, s[40:41]
	v_cndmask_b32_e64 v12, v58, 0, s[4:5]
	s_mul_hi_u32 s4, s33, 0x88888889
	s_lshr_b32 s4, s4, 3
	v_mad_i32_i24 v13, v0, -15, s33
	v_cmp_eq_u32_e32 vcc, s4, v0
	v_cmp_ne_u32_e64 s[4:5], 0, v13
	v_cndmask_b32_e64 v14, 1, v12, s[4:5]
	v_cmp_ne_u32_e64 s[4:5], 1, v13
	v_cndmask_b32_e64 v15, 1, v57, s[4:5]
	;; [unrolled: 2-line block ×15, first 2 shown]
	s_and_b64 vcc, s[38:39], vcc
	v_cndmask_b32_e32 v44, v44, v13, vcc
	v_cndmask_b32_e32 v45, v45, v58, vcc
	;; [unrolled: 1-line block ×15, first 2 shown]
	v_mov_b32_e32 v12, s53
	v_add_co_u32_e32 v10, vcc, s52, v10
	v_addc_co_u32_e32 v11, vcc, v12, v11, vcc
	v_cndmask_b32_e64 v1, 0, 1, s[40:41]
	v_add_co_u32_e32 v12, vcc, v10, v26
	v_addc_co_u32_e32 v13, vcc, v11, v27, vcc
	v_lshlrev_b32_e32 v10, 2, v1
	v_add_co_u32_e32 v10, vcc, v10, v12
	v_addc_co_u32_e32 v11, vcc, 0, v13, vcc
	v_add_co_u32_e32 v14, vcc, -4, v10
	v_addc_co_u32_e32 v15, vcc, -1, v11, vcc
	v_cmp_eq_u32_e32 vcc, 0, v47
	v_cndmask_b32_e64 v11, 1, 2, vcc
	v_cmp_eq_u32_e32 vcc, 0, v46
	v_cndmask_b32_e64 v26, 1, 2, vcc
	v_cmp_eq_u32_e32 vcc, 0, v17
	v_and_b32_e32 v11, v26, v11
	v_cmp_ne_u32_e64 s[28:29], 0, v17
	v_cndmask_b32_e64 v17, 1, 2, vcc
	v_cmp_eq_u32_e32 vcc, 0, v18
	v_and_b32_e32 v11, v11, v17
	v_cndmask_b32_e64 v17, 1, 2, vcc
	v_cmp_eq_u32_e32 vcc, 0, v19
	v_and_b32_e32 v11, v11, v17
	v_cndmask_b32_e64 v17, 1, 2, vcc
	v_cmp_eq_u32_e32 vcc, 0, v20
	v_and_b32_e32 v11, v11, v17
	v_cndmask_b32_e64 v17, 1, 2, vcc
	v_cmp_eq_u32_e32 vcc, 0, v21
	v_and_b32_e32 v11, v11, v17
	v_cndmask_b32_e64 v17, 1, 2, vcc
	v_cmp_eq_u32_e32 vcc, 0, v22
	v_and_b32_e32 v11, v11, v17
	v_cndmask_b32_e64 v17, 1, 2, vcc
	v_cmp_eq_u32_e32 vcc, 0, v23
	v_and_b32_e32 v11, v11, v17
	v_cndmask_b32_e64 v17, 1, 2, vcc
	v_cmp_eq_u32_e32 vcc, 0, v24
	v_and_b32_e32 v11, v11, v17
	v_cndmask_b32_e64 v17, 1, 2, vcc
	v_cmp_eq_u32_e32 vcc, 0, v25
	v_and_b32_e32 v11, v11, v17
	v_cndmask_b32_e64 v17, 1, 2, vcc
	v_cmp_eq_u32_e32 vcc, 0, v40
	v_and_b32_e32 v11, v11, v17
	v_cndmask_b32_e64 v17, 1, 2, vcc
	v_cmp_eq_u32_e32 vcc, 0, v41
	v_sub_u32_e32 v7, v2, v1
	v_and_b32_e32 v11, v11, v17
	v_cndmask_b32_e64 v17, 1, 2, vcc
	v_cmp_eq_u32_e32 vcc, 0, v45
	v_add_u32_e32 v7, v7, v16
	v_and_b32_e32 v11, v11, v17
	v_cndmask_b32_e64 v17, 1, 2, vcc
	v_cmp_eq_u32_e32 vcc, 0, v44
	s_movk_i32 s36, 0x100
	v_and_b32_e32 v11, v11, v17
	v_cndmask_b32_e64 v17, 1, 2, vcc
	v_cmp_gt_u32_e32 vcc, s36, v7
	v_add_u32_e32 v10, v6, v1
	v_cmp_ne_u32_e64 s[34:35], 0, v47
	v_cmp_ne_u32_e64 s[30:31], 0, v46
	;; [unrolled: 1-line block ×14, first 2 shown]
	v_and_b32_e32 v11, v11, v17
	s_mov_b64 s[36:37], -1
	s_barrier
	s_cbranch_vccz .LBB111_286
; %bb.250:
	v_cmp_gt_i16_e32 vcc, 2, v11
	s_and_saveexec_b64 s[36:37], vcc
	s_cbranch_execz .LBB111_285
; %bb.251:
	v_cmp_ne_u16_e32 vcc, 1, v11
	s_mov_b64 s[42:43], 0
	s_and_saveexec_b64 s[40:41], vcc
	s_xor_b64 s[40:41], exec, s[40:41]
	s_cbranch_execz .LBB111_266
; %bb.252:
	s_and_saveexec_b64 s[42:43], s[34:35]
	s_cbranch_execz .LBB111_268
; %bb.253:
	v_sub_u32_e32 v18, v5, v10
	v_mov_b32_e32 v19, 0
	v_lshlrev_b64 v[18:19], 2, v[18:19]
	v_add_co_u32_e32 v18, vcc, v14, v18
	v_addc_co_u32_e32 v19, vcc, v15, v19, vcc
	global_store_dword v[18:19], v73, off
	s_or_b64 exec, exec, s[42:43]
	s_and_saveexec_b64 s[42:43], s[30:31]
	s_cbranch_execnz .LBB111_269
.LBB111_254:
	s_or_b64 exec, exec, s[42:43]
	s_and_saveexec_b64 s[42:43], s[28:29]
	s_cbranch_execz .LBB111_270
.LBB111_255:
	v_sub_u32_e32 v18, v38, v10
	v_mov_b32_e32 v19, 0
	v_lshlrev_b64 v[18:19], 2, v[18:19]
	v_add_co_u32_e32 v18, vcc, v14, v18
	v_addc_co_u32_e32 v19, vcc, v15, v19, vcc
	global_store_dword v[18:19], v71, off
	s_or_b64 exec, exec, s[42:43]
	s_and_saveexec_b64 s[42:43], s[26:27]
	s_cbranch_execnz .LBB111_271
.LBB111_256:
	s_or_b64 exec, exec, s[42:43]
	s_and_saveexec_b64 s[42:43], s[24:25]
	s_cbranch_execz .LBB111_272
.LBB111_257:
	v_sub_u32_e32 v18, v36, v10
	v_mov_b32_e32 v19, 0
	v_lshlrev_b64 v[18:19], 2, v[18:19]
	v_add_co_u32_e32 v18, vcc, v14, v18
	v_addc_co_u32_e32 v19, vcc, v15, v19, vcc
	global_store_dword v[18:19], v69, off
	s_or_b64 exec, exec, s[42:43]
	s_and_saveexec_b64 s[42:43], s[22:23]
	s_cbranch_execnz .LBB111_273
.LBB111_258:
	s_or_b64 exec, exec, s[42:43]
	s_and_saveexec_b64 s[42:43], s[20:21]
	s_cbranch_execz .LBB111_274
.LBB111_259:
	v_sub_u32_e32 v18, v34, v10
	v_mov_b32_e32 v19, 0
	v_lshlrev_b64 v[18:19], 2, v[18:19]
	v_add_co_u32_e32 v18, vcc, v14, v18
	v_addc_co_u32_e32 v19, vcc, v15, v19, vcc
	global_store_dword v[18:19], v67, off
	s_or_b64 exec, exec, s[42:43]
	s_and_saveexec_b64 s[42:43], s[18:19]
	s_cbranch_execnz .LBB111_275
.LBB111_260:
	s_or_b64 exec, exec, s[42:43]
	s_and_saveexec_b64 s[42:43], s[16:17]
	s_cbranch_execz .LBB111_276
.LBB111_261:
	v_sub_u32_e32 v18, v32, v10
	v_mov_b32_e32 v19, 0
	v_lshlrev_b64 v[18:19], 2, v[18:19]
	v_add_co_u32_e32 v18, vcc, v14, v18
	v_addc_co_u32_e32 v19, vcc, v15, v19, vcc
	global_store_dword v[18:19], v65, off
	s_or_b64 exec, exec, s[42:43]
	s_and_saveexec_b64 s[42:43], s[14:15]
	s_cbranch_execnz .LBB111_277
.LBB111_262:
	s_or_b64 exec, exec, s[42:43]
	s_and_saveexec_b64 s[42:43], s[12:13]
	s_cbranch_execz .LBB111_278
.LBB111_263:
	v_sub_u32_e32 v18, v30, v10
	v_mov_b32_e32 v19, 0
	v_lshlrev_b64 v[18:19], 2, v[18:19]
	v_add_co_u32_e32 v18, vcc, v14, v18
	v_addc_co_u32_e32 v19, vcc, v15, v19, vcc
	global_store_dword v[18:19], v63, off
	s_or_b64 exec, exec, s[42:43]
	s_and_saveexec_b64 s[42:43], s[10:11]
	s_cbranch_execnz .LBB111_279
.LBB111_264:
	s_or_b64 exec, exec, s[42:43]
	s_and_saveexec_b64 s[42:43], s[8:9]
	s_cbranch_execz .LBB111_280
.LBB111_265:
	v_sub_u32_e32 v18, v28, v10
	v_mov_b32_e32 v19, 0
	v_lshlrev_b64 v[18:19], 2, v[18:19]
	v_add_co_u32_e32 v18, vcc, v14, v18
	v_addc_co_u32_e32 v19, vcc, v15, v19, vcc
	global_store_dword v[18:19], v60, off
	s_or_b64 exec, exec, s[42:43]
	s_and_saveexec_b64 s[42:43], s[6:7]
	s_cbranch_execnz .LBB111_281
	s_branch .LBB111_282
.LBB111_266:
	s_andn2_saveexec_b64 s[40:41], s[40:41]
	s_cbranch_execz .LBB111_283
.LBB111_267:
	v_sub_u32_e32 v18, v5, v10
	v_mov_b32_e32 v19, 0
	v_lshlrev_b64 v[20:21], 2, v[18:19]
	v_add_co_u32_e32 v20, vcc, v14, v20
	v_addc_co_u32_e32 v21, vcc, v15, v21, vcc
	v_sub_u32_e32 v18, v39, v10
	global_store_dword v[20:21], v73, off
	v_lshlrev_b64 v[20:21], 2, v[18:19]
	v_add_co_u32_e32 v20, vcc, v14, v20
	v_addc_co_u32_e32 v21, vcc, v15, v21, vcc
	v_sub_u32_e32 v18, v38, v10
	global_store_dword v[20:21], v72, off
	;; [unrolled: 5-line block ×12, first 2 shown]
	v_lshlrev_b64 v[20:21], 2, v[18:19]
	v_add_co_u32_e32 v20, vcc, v14, v20
	v_sub_u32_e32 v18, v4, v10
	v_addc_co_u32_e32 v21, vcc, v15, v21, vcc
	v_lshlrev_b64 v[18:19], 2, v[18:19]
	v_add_co_u32_e32 v18, vcc, v14, v18
	v_addc_co_u32_e32 v19, vcc, v15, v19, vcc
	s_or_b64 s[42:43], s[42:43], exec
	global_store_dword v[20:21], v60, off
	global_store_dword v[18:19], v43, off
	s_or_b64 exec, exec, s[40:41]
	s_and_b64 exec, exec, s[42:43]
	s_cbranch_execnz .LBB111_284
	s_branch .LBB111_285
.LBB111_268:
	s_or_b64 exec, exec, s[42:43]
	s_and_saveexec_b64 s[42:43], s[30:31]
	s_cbranch_execz .LBB111_254
.LBB111_269:
	v_sub_u32_e32 v18, v39, v10
	v_mov_b32_e32 v19, 0
	v_lshlrev_b64 v[18:19], 2, v[18:19]
	v_add_co_u32_e32 v18, vcc, v14, v18
	v_addc_co_u32_e32 v19, vcc, v15, v19, vcc
	global_store_dword v[18:19], v72, off
	s_or_b64 exec, exec, s[42:43]
	s_and_saveexec_b64 s[42:43], s[28:29]
	s_cbranch_execnz .LBB111_255
.LBB111_270:
	s_or_b64 exec, exec, s[42:43]
	s_and_saveexec_b64 s[42:43], s[26:27]
	s_cbranch_execz .LBB111_256
.LBB111_271:
	v_sub_u32_e32 v18, v37, v10
	v_mov_b32_e32 v19, 0
	v_lshlrev_b64 v[18:19], 2, v[18:19]
	v_add_co_u32_e32 v18, vcc, v14, v18
	v_addc_co_u32_e32 v19, vcc, v15, v19, vcc
	global_store_dword v[18:19], v70, off
	s_or_b64 exec, exec, s[42:43]
	s_and_saveexec_b64 s[42:43], s[24:25]
	s_cbranch_execnz .LBB111_257
.LBB111_272:
	s_or_b64 exec, exec, s[42:43]
	s_and_saveexec_b64 s[42:43], s[22:23]
	s_cbranch_execz .LBB111_258
.LBB111_273:
	v_sub_u32_e32 v18, v35, v10
	v_mov_b32_e32 v19, 0
	v_lshlrev_b64 v[18:19], 2, v[18:19]
	v_add_co_u32_e32 v18, vcc, v14, v18
	v_addc_co_u32_e32 v19, vcc, v15, v19, vcc
	global_store_dword v[18:19], v68, off
	s_or_b64 exec, exec, s[42:43]
	s_and_saveexec_b64 s[42:43], s[20:21]
	s_cbranch_execnz .LBB111_259
.LBB111_274:
	s_or_b64 exec, exec, s[42:43]
	s_and_saveexec_b64 s[42:43], s[18:19]
	s_cbranch_execz .LBB111_260
.LBB111_275:
	v_sub_u32_e32 v18, v33, v10
	v_mov_b32_e32 v19, 0
	v_lshlrev_b64 v[18:19], 2, v[18:19]
	v_add_co_u32_e32 v18, vcc, v14, v18
	v_addc_co_u32_e32 v19, vcc, v15, v19, vcc
	global_store_dword v[18:19], v66, off
	s_or_b64 exec, exec, s[42:43]
	s_and_saveexec_b64 s[42:43], s[16:17]
	s_cbranch_execnz .LBB111_261
.LBB111_276:
	s_or_b64 exec, exec, s[42:43]
	s_and_saveexec_b64 s[42:43], s[14:15]
	s_cbranch_execz .LBB111_262
.LBB111_277:
	v_sub_u32_e32 v18, v31, v10
	v_mov_b32_e32 v19, 0
	v_lshlrev_b64 v[18:19], 2, v[18:19]
	v_add_co_u32_e32 v18, vcc, v14, v18
	v_addc_co_u32_e32 v19, vcc, v15, v19, vcc
	global_store_dword v[18:19], v64, off
	s_or_b64 exec, exec, s[42:43]
	s_and_saveexec_b64 s[42:43], s[12:13]
	s_cbranch_execnz .LBB111_263
.LBB111_278:
	s_or_b64 exec, exec, s[42:43]
	s_and_saveexec_b64 s[42:43], s[10:11]
	s_cbranch_execz .LBB111_264
.LBB111_279:
	v_sub_u32_e32 v18, v29, v10
	v_mov_b32_e32 v19, 0
	v_lshlrev_b64 v[18:19], 2, v[18:19]
	v_add_co_u32_e32 v18, vcc, v14, v18
	v_addc_co_u32_e32 v19, vcc, v15, v19, vcc
	global_store_dword v[18:19], v61, off
	s_or_b64 exec, exec, s[42:43]
	s_and_saveexec_b64 s[42:43], s[8:9]
	s_cbranch_execnz .LBB111_265
.LBB111_280:
	s_or_b64 exec, exec, s[42:43]
	s_and_saveexec_b64 s[42:43], s[6:7]
	s_cbranch_execz .LBB111_282
.LBB111_281:
	v_sub_u32_e32 v18, v4, v10
	v_mov_b32_e32 v19, 0
	v_lshlrev_b64 v[18:19], 2, v[18:19]
	v_add_co_u32_e32 v18, vcc, v14, v18
	v_addc_co_u32_e32 v19, vcc, v15, v19, vcc
	global_store_dword v[18:19], v43, off
.LBB111_282:
	s_or_b64 exec, exec, s[42:43]
	s_and_b64 s[42:43], s[4:5], exec
	s_andn2_saveexec_b64 s[40:41], s[40:41]
	s_cbranch_execnz .LBB111_267
.LBB111_283:
	s_or_b64 exec, exec, s[40:41]
	s_and_b64 exec, exec, s[42:43]
	s_cbranch_execz .LBB111_285
.LBB111_284:
	v_sub_u32_e32 v18, v3, v10
	v_mov_b32_e32 v19, 0
	v_lshlrev_b64 v[18:19], 2, v[18:19]
	v_add_co_u32_e32 v18, vcc, v14, v18
	v_addc_co_u32_e32 v19, vcc, v15, v19, vcc
	global_store_dword v[18:19], v62, off
.LBB111_285:
	s_or_b64 exec, exec, s[36:37]
	s_mov_b64 s[36:37], 0
.LBB111_286:
	s_and_b64 vcc, exec, s[36:37]
	s_cbranch_vccz .LBB111_338
; %bb.287:
	v_cmp_gt_i16_e32 vcc, 2, v11
	s_and_saveexec_b64 s[36:37], vcc
	s_cbranch_execz .LBB111_322
; %bb.288:
	v_cmp_ne_u16_e32 vcc, 1, v11
	s_mov_b64 s[42:43], 0
	s_and_saveexec_b64 s[40:41], vcc
	s_xor_b64 s[40:41], exec, s[40:41]
	s_cbranch_execz .LBB111_303
; %bb.289:
	s_and_saveexec_b64 s[42:43], s[34:35]
	s_cbranch_execz .LBB111_305
; %bb.290:
	v_sub_u32_e32 v5, v5, v10
	v_lshlrev_b32_e32 v5, 2, v5
	ds_write_b32 v5, v73
	s_or_b64 exec, exec, s[42:43]
	s_and_saveexec_b64 s[34:35], s[30:31]
	s_cbranch_execnz .LBB111_306
.LBB111_291:
	s_or_b64 exec, exec, s[34:35]
	s_and_saveexec_b64 s[30:31], s[28:29]
	s_cbranch_execz .LBB111_307
.LBB111_292:
	v_sub_u32_e32 v5, v38, v10
	v_lshlrev_b32_e32 v5, 2, v5
	ds_write_b32 v5, v71
	s_or_b64 exec, exec, s[30:31]
	s_and_saveexec_b64 s[28:29], s[26:27]
	s_cbranch_execnz .LBB111_308
.LBB111_293:
	s_or_b64 exec, exec, s[28:29]
	s_and_saveexec_b64 s[26:27], s[24:25]
	s_cbranch_execz .LBB111_309
.LBB111_294:
	v_sub_u32_e32 v5, v36, v10
	v_lshlrev_b32_e32 v5, 2, v5
	ds_write_b32 v5, v69
	s_or_b64 exec, exec, s[26:27]
	s_and_saveexec_b64 s[24:25], s[22:23]
	s_cbranch_execnz .LBB111_310
.LBB111_295:
	s_or_b64 exec, exec, s[24:25]
	s_and_saveexec_b64 s[22:23], s[20:21]
	s_cbranch_execz .LBB111_311
.LBB111_296:
	v_sub_u32_e32 v5, v34, v10
	v_lshlrev_b32_e32 v5, 2, v5
	ds_write_b32 v5, v67
	s_or_b64 exec, exec, s[22:23]
	s_and_saveexec_b64 s[20:21], s[18:19]
	s_cbranch_execnz .LBB111_312
.LBB111_297:
	s_or_b64 exec, exec, s[20:21]
	s_and_saveexec_b64 s[18:19], s[16:17]
	s_cbranch_execz .LBB111_313
.LBB111_298:
	v_sub_u32_e32 v5, v32, v10
	v_lshlrev_b32_e32 v5, 2, v5
	ds_write_b32 v5, v65
	s_or_b64 exec, exec, s[18:19]
	s_and_saveexec_b64 s[16:17], s[14:15]
	s_cbranch_execnz .LBB111_314
.LBB111_299:
	s_or_b64 exec, exec, s[16:17]
	s_and_saveexec_b64 s[14:15], s[12:13]
	s_cbranch_execz .LBB111_315
.LBB111_300:
	v_sub_u32_e32 v5, v30, v10
	v_lshlrev_b32_e32 v5, 2, v5
	ds_write_b32 v5, v63
	s_or_b64 exec, exec, s[14:15]
	s_and_saveexec_b64 s[12:13], s[10:11]
	s_cbranch_execnz .LBB111_316
.LBB111_301:
	s_or_b64 exec, exec, s[12:13]
	s_and_saveexec_b64 s[10:11], s[8:9]
	s_cbranch_execz .LBB111_317
.LBB111_302:
	v_sub_u32_e32 v5, v28, v10
	v_lshlrev_b32_e32 v5, 2, v5
	ds_write_b32 v5, v60
	s_or_b64 exec, exec, s[10:11]
	s_and_saveexec_b64 s[8:9], s[6:7]
	s_cbranch_execnz .LBB111_318
	s_branch .LBB111_319
.LBB111_303:
	s_andn2_saveexec_b64 s[4:5], s[40:41]
	s_cbranch_execz .LBB111_320
.LBB111_304:
	v_sub_u32_e32 v5, v5, v10
	v_lshlrev_b32_e32 v5, 2, v5
	ds_write_b32 v5, v73
	v_sub_u32_e32 v5, v39, v10
	v_lshlrev_b32_e32 v5, 2, v5
	ds_write_b32 v5, v72
	;; [unrolled: 3-line block ×12, first 2 shown]
	v_sub_u32_e32 v5, v28, v10
	v_sub_u32_e32 v4, v4, v10
	v_lshlrev_b32_e32 v5, 2, v5
	v_lshlrev_b32_e32 v4, 2, v4
	s_or_b64 s[42:43], s[42:43], exec
	ds_write_b32 v5, v60
	ds_write_b32 v4, v43
	s_or_b64 exec, exec, s[4:5]
	s_and_b64 exec, exec, s[42:43]
	s_cbranch_execnz .LBB111_321
	s_branch .LBB111_322
.LBB111_305:
	s_or_b64 exec, exec, s[42:43]
	s_and_saveexec_b64 s[34:35], s[30:31]
	s_cbranch_execz .LBB111_291
.LBB111_306:
	v_sub_u32_e32 v5, v39, v10
	v_lshlrev_b32_e32 v5, 2, v5
	ds_write_b32 v5, v72
	s_or_b64 exec, exec, s[34:35]
	s_and_saveexec_b64 s[30:31], s[28:29]
	s_cbranch_execnz .LBB111_292
.LBB111_307:
	s_or_b64 exec, exec, s[30:31]
	s_and_saveexec_b64 s[28:29], s[26:27]
	s_cbranch_execz .LBB111_293
.LBB111_308:
	v_sub_u32_e32 v5, v37, v10
	v_lshlrev_b32_e32 v5, 2, v5
	ds_write_b32 v5, v70
	s_or_b64 exec, exec, s[28:29]
	s_and_saveexec_b64 s[26:27], s[24:25]
	s_cbranch_execnz .LBB111_294
.LBB111_309:
	s_or_b64 exec, exec, s[26:27]
	s_and_saveexec_b64 s[24:25], s[22:23]
	s_cbranch_execz .LBB111_295
.LBB111_310:
	v_sub_u32_e32 v5, v35, v10
	v_lshlrev_b32_e32 v5, 2, v5
	ds_write_b32 v5, v68
	s_or_b64 exec, exec, s[24:25]
	s_and_saveexec_b64 s[22:23], s[20:21]
	s_cbranch_execnz .LBB111_296
.LBB111_311:
	s_or_b64 exec, exec, s[22:23]
	s_and_saveexec_b64 s[20:21], s[18:19]
	s_cbranch_execz .LBB111_297
.LBB111_312:
	v_sub_u32_e32 v5, v33, v10
	v_lshlrev_b32_e32 v5, 2, v5
	ds_write_b32 v5, v66
	s_or_b64 exec, exec, s[20:21]
	s_and_saveexec_b64 s[18:19], s[16:17]
	s_cbranch_execnz .LBB111_298
.LBB111_313:
	s_or_b64 exec, exec, s[18:19]
	s_and_saveexec_b64 s[16:17], s[14:15]
	s_cbranch_execz .LBB111_299
.LBB111_314:
	v_sub_u32_e32 v5, v31, v10
	v_lshlrev_b32_e32 v5, 2, v5
	ds_write_b32 v5, v64
	s_or_b64 exec, exec, s[16:17]
	s_and_saveexec_b64 s[14:15], s[12:13]
	s_cbranch_execnz .LBB111_300
.LBB111_315:
	s_or_b64 exec, exec, s[14:15]
	s_and_saveexec_b64 s[12:13], s[10:11]
	s_cbranch_execz .LBB111_301
.LBB111_316:
	v_sub_u32_e32 v5, v29, v10
	v_lshlrev_b32_e32 v5, 2, v5
	ds_write_b32 v5, v61
	s_or_b64 exec, exec, s[12:13]
	s_and_saveexec_b64 s[10:11], s[8:9]
	s_cbranch_execnz .LBB111_302
.LBB111_317:
	s_or_b64 exec, exec, s[10:11]
	s_and_saveexec_b64 s[8:9], s[6:7]
	s_cbranch_execz .LBB111_319
.LBB111_318:
	v_sub_u32_e32 v4, v4, v10
	v_lshlrev_b32_e32 v4, 2, v4
	ds_write_b32 v4, v43
.LBB111_319:
	s_or_b64 exec, exec, s[8:9]
	s_and_b64 s[42:43], s[4:5], exec
                                        ; implicit-def: $vgpr43
                                        ; implicit-def: $vgpr60
                                        ; implicit-def: $vgpr61
                                        ; implicit-def: $vgpr63
                                        ; implicit-def: $vgpr64
                                        ; implicit-def: $vgpr65
                                        ; implicit-def: $vgpr66
                                        ; implicit-def: $vgpr67
                                        ; implicit-def: $vgpr68
                                        ; implicit-def: $vgpr69
                                        ; implicit-def: $vgpr70
                                        ; implicit-def: $vgpr71
                                        ; implicit-def: $vgpr72
                                        ; implicit-def: $vgpr73
                                        ; implicit-def: $vgpr39
                                        ; implicit-def: $vgpr38
                                        ; implicit-def: $vgpr37
                                        ; implicit-def: $vgpr36
                                        ; implicit-def: $vgpr35
                                        ; implicit-def: $vgpr34
                                        ; implicit-def: $vgpr33
                                        ; implicit-def: $vgpr32
                                        ; implicit-def: $vgpr31
                                        ; implicit-def: $vgpr30
                                        ; implicit-def: $vgpr29
                                        ; implicit-def: $vgpr28
                                        ; implicit-def: $vgpr4
	s_andn2_saveexec_b64 s[4:5], s[40:41]
	s_cbranch_execnz .LBB111_304
.LBB111_320:
	s_or_b64 exec, exec, s[4:5]
	s_and_b64 exec, exec, s[42:43]
	s_cbranch_execz .LBB111_322
.LBB111_321:
	v_sub_u32_e32 v3, v3, v10
	v_lshlrev_b32_e32 v3, 2, v3
	ds_write_b32 v3, v62
.LBB111_322:
	s_or_b64 exec, exec, s[36:37]
	v_cmp_lt_u32_e32 vcc, v0, v7
	s_waitcnt lgkmcnt(0)
	s_barrier
	s_and_saveexec_b64 s[6:7], vcc
	s_cbranch_execz .LBB111_337
; %bb.323:
	v_add_u32_e32 v5, v2, v16
	v_xad_u32 v3, v0, -1, v5
	v_sub_u32_e32 v3, v3, v1
	s_movk_i32 s4, 0x1900
	v_cmp_gt_u32_e64 s[8:9], s4, v3
	s_movk_i32 s4, 0x18ff
	v_cmp_lt_u32_e32 vcc, s4, v3
	v_mov_b32_e32 v4, v0
	s_and_saveexec_b64 s[10:11], vcc
	s_cbranch_execz .LBB111_334
; %bb.324:
	v_sub_u32_e32 v4, v0, v5
	v_add_u32_e32 v1, v4, v1
	v_or_b32_e32 v1, 0xff, v1
	v_cmp_ge_u32_e32 vcc, v1, v0
	s_mov_b64 s[4:5], -1
	v_mov_b32_e32 v4, v0
	s_and_saveexec_b64 s[12:13], vcc
	s_cbranch_execz .LBB111_333
; %bb.325:
	v_lshrrev_b32_e32 v3, 8, v3
	v_add_u32_e32 v4, -1, v3
	v_or_b32_e32 v1, 0x100, v0
	v_lshrrev_b32_e32 v5, 1, v4
	v_add_u32_e32 v16, 1, v5
	v_cmp_lt_u32_e32 vcc, 13, v4
	v_mov_b32_e32 v19, 0
	v_pk_mov_b32 v[4:5], v[0:1], v[0:1] op_sel:[0,1]
	s_and_saveexec_b64 s[14:15], vcc
	s_cbranch_execz .LBB111_329
; %bb.326:
	v_and_b32_e32 v17, -8, v16
	v_lshlrev_b32_e32 v18, 2, v0
	s_mov_b32 s18, 0
	s_mov_b64 s[16:17], 0
	v_mov_b32_e32 v11, 0
	v_pk_mov_b32 v[4:5], v[0:1], v[0:1] op_sel:[0,1]
.LBB111_327:                            ; =>This Inner Loop Header: Depth=1
	v_mov_b32_e32 v10, v4
	v_add_u32_e32 v17, -8, v17
	v_lshlrev_b64 v[52:53], 2, v[10:11]
	v_mov_b32_e32 v10, v5
	ds_read2st64_b32 v[20:21], v18 offset1:4
	s_add_i32 s18, s18, 16
	v_cmp_eq_u32_e32 vcc, 0, v17
	v_lshlrev_b64 v[54:55], 2, v[10:11]
	v_add_u32_e32 v10, 0x200, v4
	s_or_b64 s[16:17], vcc, s[16:17]
	v_add_co_u32_e32 v54, vcc, v14, v54
	v_add_u32_e32 v22, 0x200, v5
	v_mov_b32_e32 v23, v11
	ds_read2st64_b32 v[24:25], v18 offset0:8 offset1:12
	ds_read2st64_b32 v[28:29], v18 offset0:16 offset1:20
	v_add_co_u32_e64 v52, s[4:5], v14, v52
	v_addc_co_u32_e32 v55, vcc, v15, v55, vcc
	v_lshlrev_b64 v[56:57], 2, v[10:11]
	v_lshlrev_b64 v[22:23], 2, v[22:23]
	v_addc_co_u32_e64 v53, s[4:5], v15, v53, s[4:5]
	v_add_u32_e32 v10, 0x400, v4
	v_add_co_u32_e32 v56, vcc, v14, v56
	v_add_u32_e32 v26, 0x400, v5
	v_mov_b32_e32 v27, v11
	ds_read2st64_b32 v[32:33], v18 offset0:24 offset1:28
	v_add_co_u32_e64 v22, s[4:5], v14, v22
	v_addc_co_u32_e32 v57, vcc, v15, v57, vcc
	v_lshlrev_b64 v[58:59], 2, v[10:11]
	ds_read2st64_b32 v[36:37], v18 offset0:32 offset1:36
	ds_read2st64_b32 v[40:41], v18 offset0:40 offset1:44
	;; [unrolled: 1-line block ×4, first 2 shown]
	v_lshlrev_b64 v[26:27], 2, v[26:27]
	v_addc_co_u32_e64 v23, s[4:5], v15, v23, s[4:5]
	v_add_u32_e32 v10, 0x600, v4
	s_waitcnt lgkmcnt(7)
	global_store_dword v[52:53], v20, off
	global_store_dword v[54:55], v21, off
	s_waitcnt lgkmcnt(6)
	global_store_dword v[56:57], v24, off
	global_store_dword v[22:23], v25, off
	v_add_co_u32_e32 v20, vcc, v14, v58
	v_add_u32_e32 v30, 0x600, v5
	v_mov_b32_e32 v31, v11
	v_add_co_u32_e64 v26, s[4:5], v14, v26
	v_addc_co_u32_e32 v21, vcc, v15, v59, vcc
	v_lshlrev_b64 v[22:23], 2, v[10:11]
	v_lshlrev_b64 v[30:31], 2, v[30:31]
	v_addc_co_u32_e64 v27, s[4:5], v15, v27, s[4:5]
	v_add_u32_e32 v10, 0x800, v4
	s_waitcnt lgkmcnt(5)
	global_store_dword v[20:21], v28, off
	global_store_dword v[26:27], v29, off
	v_add_co_u32_e32 v20, vcc, v14, v22
	v_add_u32_e32 v34, 0x800, v5
	v_mov_b32_e32 v35, v11
	v_add_co_u32_e64 v30, s[4:5], v14, v30
	v_addc_co_u32_e32 v21, vcc, v15, v23, vcc
	v_lshlrev_b64 v[22:23], 2, v[10:11]
	v_lshlrev_b64 v[34:35], 2, v[34:35]
	v_addc_co_u32_e64 v31, s[4:5], v15, v31, s[4:5]
	v_add_u32_e32 v10, 0xa00, v4
	;; [unrolled: 12-line block ×4, first 2 shown]
	s_waitcnt lgkmcnt(2)
	global_store_dword v[20:21], v40, off
	global_store_dword v[38:39], v41, off
	v_add_co_u32_e32 v20, vcc, v14, v22
	v_add_u32_e32 v48, 0xe00, v5
	v_mov_b32_e32 v49, v11
	v_add_co_u32_e64 v44, s[4:5], v14, v44
	v_addc_co_u32_e32 v21, vcc, v15, v23, vcc
	v_lshlrev_b64 v[22:23], 2, v[10:11]
	v_lshlrev_b64 v[48:49], 2, v[48:49]
	v_addc_co_u32_e64 v45, s[4:5], v15, v45, s[4:5]
	s_waitcnt lgkmcnt(1)
	global_store_dword v[20:21], v46, off
	global_store_dword v[44:45], v47, off
	v_add_co_u32_e32 v20, vcc, v14, v22
	v_add_u32_e32 v18, 0x4000, v18
	v_add_u32_e32 v5, 0x1000, v5
	v_mov_b32_e32 v19, s18
	v_add_co_u32_e64 v48, s[4:5], v14, v48
	v_add_u32_e32 v4, 0x1000, v4
	v_addc_co_u32_e32 v21, vcc, v15, v23, vcc
	v_addc_co_u32_e64 v49, s[4:5], v15, v49, s[4:5]
	s_waitcnt lgkmcnt(0)
	global_store_dword v[20:21], v50, off
	global_store_dword v[48:49], v51, off
	s_andn2_b64 exec, exec, s[16:17]
	s_cbranch_execnz .LBB111_327
; %bb.328:
	s_or_b64 exec, exec, s[16:17]
.LBB111_329:
	s_or_b64 exec, exec, s[14:15]
	v_and_b32_e32 v1, 7, v16
	v_cmp_ne_u32_e32 vcc, 0, v1
	s_and_saveexec_b64 s[14:15], vcc
	s_cbranch_execz .LBB111_332
; %bb.330:
	v_lshlrev_b32_e32 v10, 2, v0
	v_lshl_or_b32 v16, v19, 10, v10
	s_mov_b64 s[16:17], 0
	v_mov_b32_e32 v11, 0
.LBB111_331:                            ; =>This Inner Loop Header: Depth=1
	ds_read2st64_b32 v[18:19], v16 offset1:4
	v_mov_b32_e32 v10, v4
	v_add_u32_e32 v1, -1, v1
	v_lshlrev_b64 v[20:21], 2, v[10:11]
	v_mov_b32_e32 v10, v5
	v_cmp_eq_u32_e32 vcc, 0, v1
	v_add_co_u32_e64 v20, s[4:5], v14, v20
	v_lshlrev_b64 v[22:23], 2, v[10:11]
	v_add_u32_e32 v4, 0x200, v4
	v_add_u32_e32 v16, 0x800, v16
	v_add_u32_e32 v5, 0x200, v5
	v_addc_co_u32_e64 v21, s[4:5], v15, v21, s[4:5]
	s_or_b64 s[16:17], vcc, s[16:17]
	v_add_co_u32_e32 v22, vcc, v14, v22
	v_addc_co_u32_e32 v23, vcc, v15, v23, vcc
	s_waitcnt lgkmcnt(0)
	global_store_dword v[20:21], v18, off
	global_store_dword v[22:23], v19, off
	s_andn2_b64 exec, exec, s[16:17]
	s_cbranch_execnz .LBB111_331
.LBB111_332:
	s_or_b64 exec, exec, s[14:15]
	v_add_u32_e32 v1, 1, v3
	v_and_b32_e32 v3, 0x1fffffe, v1
	v_cmp_ne_u32_e32 vcc, v1, v3
	v_lshl_or_b32 v4, v3, 8, v0
	s_orn2_b64 s[4:5], vcc, exec
.LBB111_333:
	s_or_b64 exec, exec, s[12:13]
	s_andn2_b64 s[8:9], s[8:9], exec
	s_and_b64 s[4:5], s[4:5], exec
	s_or_b64 s[8:9], s[8:9], s[4:5]
.LBB111_334:
	s_or_b64 exec, exec, s[10:11]
	s_and_b64 exec, exec, s[8:9]
	s_cbranch_execz .LBB111_337
; %bb.335:
	v_lshlrev_b32_e32 v1, 2, v4
	s_mov_b64 s[4:5], 0
	v_mov_b32_e32 v5, 0
.LBB111_336:                            ; =>This Inner Loop Header: Depth=1
	v_lshlrev_b64 v[10:11], 2, v[4:5]
	ds_read_b32 v3, v1
	v_add_co_u32_e32 v10, vcc, v14, v10
	v_add_u32_e32 v4, 0x100, v4
	v_addc_co_u32_e32 v11, vcc, v15, v11, vcc
	v_cmp_ge_u32_e32 vcc, v4, v7
	v_add_u32_e32 v1, 0x400, v1
	s_or_b64 s[4:5], vcc, s[4:5]
	s_waitcnt lgkmcnt(0)
	global_store_dword v[10:11], v3, off
	s_andn2_b64 exec, exec, s[4:5]
	s_cbranch_execnz .LBB111_336
.LBB111_337:
	s_or_b64 exec, exec, s[6:7]
.LBB111_338:
	s_movk_i32 s4, 0xff
	v_cmp_eq_u32_e32 vcc, s4, v0
	s_and_b64 s[4:5], vcc, s[38:39]
	s_and_b64 exec, exec, s[4:5]
	s_cbranch_execz .LBB111_341
; %bb.339:
	v_add_co_u32_e32 v0, vcc, v2, v6
	v_addc_co_u32_e64 v1, s[4:5], 0, 0, vcc
	v_add_co_u32_e32 v0, vcc, v0, v8
	v_mov_b32_e32 v3, 0
	v_addc_co_u32_e32 v1, vcc, v1, v9, vcc
	s_cmpk_lg_i32 s33, 0xf00
	global_store_dwordx2 v3, v[0:1], s[54:55]
	s_cbranch_scc1 .LBB111_341
; %bb.340:
	v_lshlrev_b64 v[0:1], 2, v[2:3]
	v_add_co_u32_e32 v0, vcc, v12, v0
	v_addc_co_u32_e32 v1, vcc, v13, v1, vcc
	global_store_dword v[0:1], v42, off offset:-4
	s_endpgm
.LBB111_341:
	s_endpgm
	.section	.rodata,"a",@progbits
	.p2align	6, 0x0
	.amdhsa_kernel _ZN7rocprim17ROCPRIM_400000_NS6detail17trampoline_kernelINS0_14default_configENS1_29reduce_by_key_config_selectorIffN6thrust23THRUST_200600_302600_NS4plusIfEEEEZZNS1_33reduce_by_key_impl_wrapped_configILNS1_25lookback_scan_determinismE1ES3_S9_NS6_6detail15normal_iteratorINS6_10device_ptrIfEEEESG_SG_SG_PmS8_NS6_8equal_toIfEEEE10hipError_tPvRmT2_T3_mT4_T5_T6_T7_T8_P12ihipStream_tbENKUlT_T0_E_clISt17integral_constantIbLb1EES10_IbLb0EEEEDaSW_SX_EUlSW_E_NS1_11comp_targetILNS1_3genE4ELNS1_11target_archE910ELNS1_3gpuE8ELNS1_3repE0EEENS1_30default_config_static_selectorELNS0_4arch9wavefront6targetE1EEEvT1_
		.amdhsa_group_segment_fixed_size 15360
		.amdhsa_private_segment_fixed_size 48
		.amdhsa_kernarg_size 120
		.amdhsa_user_sgpr_count 8
		.amdhsa_user_sgpr_private_segment_buffer 1
		.amdhsa_user_sgpr_dispatch_ptr 0
		.amdhsa_user_sgpr_queue_ptr 0
		.amdhsa_user_sgpr_kernarg_segment_ptr 1
		.amdhsa_user_sgpr_dispatch_id 0
		.amdhsa_user_sgpr_flat_scratch_init 1
		.amdhsa_user_sgpr_kernarg_preload_length 0
		.amdhsa_user_sgpr_kernarg_preload_offset 0
		.amdhsa_user_sgpr_private_segment_size 0
		.amdhsa_uses_dynamic_stack 0
		.amdhsa_system_sgpr_private_segment_wavefront_offset 1
		.amdhsa_system_sgpr_workgroup_id_x 1
		.amdhsa_system_sgpr_workgroup_id_y 0
		.amdhsa_system_sgpr_workgroup_id_z 0
		.amdhsa_system_sgpr_workgroup_info 0
		.amdhsa_system_vgpr_workitem_id 0
		.amdhsa_next_free_vgpr 108
		.amdhsa_next_free_sgpr 74
		.amdhsa_accum_offset 108
		.amdhsa_reserve_vcc 1
		.amdhsa_reserve_flat_scratch 1
		.amdhsa_float_round_mode_32 0
		.amdhsa_float_round_mode_16_64 0
		.amdhsa_float_denorm_mode_32 3
		.amdhsa_float_denorm_mode_16_64 3
		.amdhsa_dx10_clamp 1
		.amdhsa_ieee_mode 1
		.amdhsa_fp16_overflow 0
		.amdhsa_tg_split 0
		.amdhsa_exception_fp_ieee_invalid_op 0
		.amdhsa_exception_fp_denorm_src 0
		.amdhsa_exception_fp_ieee_div_zero 0
		.amdhsa_exception_fp_ieee_overflow 0
		.amdhsa_exception_fp_ieee_underflow 0
		.amdhsa_exception_fp_ieee_inexact 0
		.amdhsa_exception_int_div_zero 0
	.end_amdhsa_kernel
	.section	.text._ZN7rocprim17ROCPRIM_400000_NS6detail17trampoline_kernelINS0_14default_configENS1_29reduce_by_key_config_selectorIffN6thrust23THRUST_200600_302600_NS4plusIfEEEEZZNS1_33reduce_by_key_impl_wrapped_configILNS1_25lookback_scan_determinismE1ES3_S9_NS6_6detail15normal_iteratorINS6_10device_ptrIfEEEESG_SG_SG_PmS8_NS6_8equal_toIfEEEE10hipError_tPvRmT2_T3_mT4_T5_T6_T7_T8_P12ihipStream_tbENKUlT_T0_E_clISt17integral_constantIbLb1EES10_IbLb0EEEEDaSW_SX_EUlSW_E_NS1_11comp_targetILNS1_3genE4ELNS1_11target_archE910ELNS1_3gpuE8ELNS1_3repE0EEENS1_30default_config_static_selectorELNS0_4arch9wavefront6targetE1EEEvT1_,"axG",@progbits,_ZN7rocprim17ROCPRIM_400000_NS6detail17trampoline_kernelINS0_14default_configENS1_29reduce_by_key_config_selectorIffN6thrust23THRUST_200600_302600_NS4plusIfEEEEZZNS1_33reduce_by_key_impl_wrapped_configILNS1_25lookback_scan_determinismE1ES3_S9_NS6_6detail15normal_iteratorINS6_10device_ptrIfEEEESG_SG_SG_PmS8_NS6_8equal_toIfEEEE10hipError_tPvRmT2_T3_mT4_T5_T6_T7_T8_P12ihipStream_tbENKUlT_T0_E_clISt17integral_constantIbLb1EES10_IbLb0EEEEDaSW_SX_EUlSW_E_NS1_11comp_targetILNS1_3genE4ELNS1_11target_archE910ELNS1_3gpuE8ELNS1_3repE0EEENS1_30default_config_static_selectorELNS0_4arch9wavefront6targetE1EEEvT1_,comdat
.Lfunc_end111:
	.size	_ZN7rocprim17ROCPRIM_400000_NS6detail17trampoline_kernelINS0_14default_configENS1_29reduce_by_key_config_selectorIffN6thrust23THRUST_200600_302600_NS4plusIfEEEEZZNS1_33reduce_by_key_impl_wrapped_configILNS1_25lookback_scan_determinismE1ES3_S9_NS6_6detail15normal_iteratorINS6_10device_ptrIfEEEESG_SG_SG_PmS8_NS6_8equal_toIfEEEE10hipError_tPvRmT2_T3_mT4_T5_T6_T7_T8_P12ihipStream_tbENKUlT_T0_E_clISt17integral_constantIbLb1EES10_IbLb0EEEEDaSW_SX_EUlSW_E_NS1_11comp_targetILNS1_3genE4ELNS1_11target_archE910ELNS1_3gpuE8ELNS1_3repE0EEENS1_30default_config_static_selectorELNS0_4arch9wavefront6targetE1EEEvT1_, .Lfunc_end111-_ZN7rocprim17ROCPRIM_400000_NS6detail17trampoline_kernelINS0_14default_configENS1_29reduce_by_key_config_selectorIffN6thrust23THRUST_200600_302600_NS4plusIfEEEEZZNS1_33reduce_by_key_impl_wrapped_configILNS1_25lookback_scan_determinismE1ES3_S9_NS6_6detail15normal_iteratorINS6_10device_ptrIfEEEESG_SG_SG_PmS8_NS6_8equal_toIfEEEE10hipError_tPvRmT2_T3_mT4_T5_T6_T7_T8_P12ihipStream_tbENKUlT_T0_E_clISt17integral_constantIbLb1EES10_IbLb0EEEEDaSW_SX_EUlSW_E_NS1_11comp_targetILNS1_3genE4ELNS1_11target_archE910ELNS1_3gpuE8ELNS1_3repE0EEENS1_30default_config_static_selectorELNS0_4arch9wavefront6targetE1EEEvT1_
                                        ; -- End function
	.section	.AMDGPU.csdata,"",@progbits
; Kernel info:
; codeLenInByte = 18076
; NumSgprs: 80
; NumVgprs: 108
; NumAgprs: 0
; TotalNumVgprs: 108
; ScratchSize: 48
; MemoryBound: 0
; FloatMode: 240
; IeeeMode: 1
; LDSByteSize: 15360 bytes/workgroup (compile time only)
; SGPRBlocks: 9
; VGPRBlocks: 13
; NumSGPRsForWavesPerEU: 80
; NumVGPRsForWavesPerEU: 108
; AccumOffset: 108
; Occupancy: 4
; WaveLimiterHint : 1
; COMPUTE_PGM_RSRC2:SCRATCH_EN: 1
; COMPUTE_PGM_RSRC2:USER_SGPR: 8
; COMPUTE_PGM_RSRC2:TRAP_HANDLER: 0
; COMPUTE_PGM_RSRC2:TGID_X_EN: 1
; COMPUTE_PGM_RSRC2:TGID_Y_EN: 0
; COMPUTE_PGM_RSRC2:TGID_Z_EN: 0
; COMPUTE_PGM_RSRC2:TIDIG_COMP_CNT: 0
; COMPUTE_PGM_RSRC3_GFX90A:ACCUM_OFFSET: 26
; COMPUTE_PGM_RSRC3_GFX90A:TG_SPLIT: 0
	.section	.text._ZN7rocprim17ROCPRIM_400000_NS6detail17trampoline_kernelINS0_14default_configENS1_29reduce_by_key_config_selectorIffN6thrust23THRUST_200600_302600_NS4plusIfEEEEZZNS1_33reduce_by_key_impl_wrapped_configILNS1_25lookback_scan_determinismE1ES3_S9_NS6_6detail15normal_iteratorINS6_10device_ptrIfEEEESG_SG_SG_PmS8_NS6_8equal_toIfEEEE10hipError_tPvRmT2_T3_mT4_T5_T6_T7_T8_P12ihipStream_tbENKUlT_T0_E_clISt17integral_constantIbLb1EES10_IbLb0EEEEDaSW_SX_EUlSW_E_NS1_11comp_targetILNS1_3genE3ELNS1_11target_archE908ELNS1_3gpuE7ELNS1_3repE0EEENS1_30default_config_static_selectorELNS0_4arch9wavefront6targetE1EEEvT1_,"axG",@progbits,_ZN7rocprim17ROCPRIM_400000_NS6detail17trampoline_kernelINS0_14default_configENS1_29reduce_by_key_config_selectorIffN6thrust23THRUST_200600_302600_NS4plusIfEEEEZZNS1_33reduce_by_key_impl_wrapped_configILNS1_25lookback_scan_determinismE1ES3_S9_NS6_6detail15normal_iteratorINS6_10device_ptrIfEEEESG_SG_SG_PmS8_NS6_8equal_toIfEEEE10hipError_tPvRmT2_T3_mT4_T5_T6_T7_T8_P12ihipStream_tbENKUlT_T0_E_clISt17integral_constantIbLb1EES10_IbLb0EEEEDaSW_SX_EUlSW_E_NS1_11comp_targetILNS1_3genE3ELNS1_11target_archE908ELNS1_3gpuE7ELNS1_3repE0EEENS1_30default_config_static_selectorELNS0_4arch9wavefront6targetE1EEEvT1_,comdat
	.protected	_ZN7rocprim17ROCPRIM_400000_NS6detail17trampoline_kernelINS0_14default_configENS1_29reduce_by_key_config_selectorIffN6thrust23THRUST_200600_302600_NS4plusIfEEEEZZNS1_33reduce_by_key_impl_wrapped_configILNS1_25lookback_scan_determinismE1ES3_S9_NS6_6detail15normal_iteratorINS6_10device_ptrIfEEEESG_SG_SG_PmS8_NS6_8equal_toIfEEEE10hipError_tPvRmT2_T3_mT4_T5_T6_T7_T8_P12ihipStream_tbENKUlT_T0_E_clISt17integral_constantIbLb1EES10_IbLb0EEEEDaSW_SX_EUlSW_E_NS1_11comp_targetILNS1_3genE3ELNS1_11target_archE908ELNS1_3gpuE7ELNS1_3repE0EEENS1_30default_config_static_selectorELNS0_4arch9wavefront6targetE1EEEvT1_ ; -- Begin function _ZN7rocprim17ROCPRIM_400000_NS6detail17trampoline_kernelINS0_14default_configENS1_29reduce_by_key_config_selectorIffN6thrust23THRUST_200600_302600_NS4plusIfEEEEZZNS1_33reduce_by_key_impl_wrapped_configILNS1_25lookback_scan_determinismE1ES3_S9_NS6_6detail15normal_iteratorINS6_10device_ptrIfEEEESG_SG_SG_PmS8_NS6_8equal_toIfEEEE10hipError_tPvRmT2_T3_mT4_T5_T6_T7_T8_P12ihipStream_tbENKUlT_T0_E_clISt17integral_constantIbLb1EES10_IbLb0EEEEDaSW_SX_EUlSW_E_NS1_11comp_targetILNS1_3genE3ELNS1_11target_archE908ELNS1_3gpuE7ELNS1_3repE0EEENS1_30default_config_static_selectorELNS0_4arch9wavefront6targetE1EEEvT1_
	.globl	_ZN7rocprim17ROCPRIM_400000_NS6detail17trampoline_kernelINS0_14default_configENS1_29reduce_by_key_config_selectorIffN6thrust23THRUST_200600_302600_NS4plusIfEEEEZZNS1_33reduce_by_key_impl_wrapped_configILNS1_25lookback_scan_determinismE1ES3_S9_NS6_6detail15normal_iteratorINS6_10device_ptrIfEEEESG_SG_SG_PmS8_NS6_8equal_toIfEEEE10hipError_tPvRmT2_T3_mT4_T5_T6_T7_T8_P12ihipStream_tbENKUlT_T0_E_clISt17integral_constantIbLb1EES10_IbLb0EEEEDaSW_SX_EUlSW_E_NS1_11comp_targetILNS1_3genE3ELNS1_11target_archE908ELNS1_3gpuE7ELNS1_3repE0EEENS1_30default_config_static_selectorELNS0_4arch9wavefront6targetE1EEEvT1_
	.p2align	8
	.type	_ZN7rocprim17ROCPRIM_400000_NS6detail17trampoline_kernelINS0_14default_configENS1_29reduce_by_key_config_selectorIffN6thrust23THRUST_200600_302600_NS4plusIfEEEEZZNS1_33reduce_by_key_impl_wrapped_configILNS1_25lookback_scan_determinismE1ES3_S9_NS6_6detail15normal_iteratorINS6_10device_ptrIfEEEESG_SG_SG_PmS8_NS6_8equal_toIfEEEE10hipError_tPvRmT2_T3_mT4_T5_T6_T7_T8_P12ihipStream_tbENKUlT_T0_E_clISt17integral_constantIbLb1EES10_IbLb0EEEEDaSW_SX_EUlSW_E_NS1_11comp_targetILNS1_3genE3ELNS1_11target_archE908ELNS1_3gpuE7ELNS1_3repE0EEENS1_30default_config_static_selectorELNS0_4arch9wavefront6targetE1EEEvT1_,@function
_ZN7rocprim17ROCPRIM_400000_NS6detail17trampoline_kernelINS0_14default_configENS1_29reduce_by_key_config_selectorIffN6thrust23THRUST_200600_302600_NS4plusIfEEEEZZNS1_33reduce_by_key_impl_wrapped_configILNS1_25lookback_scan_determinismE1ES3_S9_NS6_6detail15normal_iteratorINS6_10device_ptrIfEEEESG_SG_SG_PmS8_NS6_8equal_toIfEEEE10hipError_tPvRmT2_T3_mT4_T5_T6_T7_T8_P12ihipStream_tbENKUlT_T0_E_clISt17integral_constantIbLb1EES10_IbLb0EEEEDaSW_SX_EUlSW_E_NS1_11comp_targetILNS1_3genE3ELNS1_11target_archE908ELNS1_3gpuE7ELNS1_3repE0EEENS1_30default_config_static_selectorELNS0_4arch9wavefront6targetE1EEEvT1_: ; @_ZN7rocprim17ROCPRIM_400000_NS6detail17trampoline_kernelINS0_14default_configENS1_29reduce_by_key_config_selectorIffN6thrust23THRUST_200600_302600_NS4plusIfEEEEZZNS1_33reduce_by_key_impl_wrapped_configILNS1_25lookback_scan_determinismE1ES3_S9_NS6_6detail15normal_iteratorINS6_10device_ptrIfEEEESG_SG_SG_PmS8_NS6_8equal_toIfEEEE10hipError_tPvRmT2_T3_mT4_T5_T6_T7_T8_P12ihipStream_tbENKUlT_T0_E_clISt17integral_constantIbLb1EES10_IbLb0EEEEDaSW_SX_EUlSW_E_NS1_11comp_targetILNS1_3genE3ELNS1_11target_archE908ELNS1_3gpuE7ELNS1_3repE0EEENS1_30default_config_static_selectorELNS0_4arch9wavefront6targetE1EEEvT1_
; %bb.0:
	.section	.rodata,"a",@progbits
	.p2align	6, 0x0
	.amdhsa_kernel _ZN7rocprim17ROCPRIM_400000_NS6detail17trampoline_kernelINS0_14default_configENS1_29reduce_by_key_config_selectorIffN6thrust23THRUST_200600_302600_NS4plusIfEEEEZZNS1_33reduce_by_key_impl_wrapped_configILNS1_25lookback_scan_determinismE1ES3_S9_NS6_6detail15normal_iteratorINS6_10device_ptrIfEEEESG_SG_SG_PmS8_NS6_8equal_toIfEEEE10hipError_tPvRmT2_T3_mT4_T5_T6_T7_T8_P12ihipStream_tbENKUlT_T0_E_clISt17integral_constantIbLb1EES10_IbLb0EEEEDaSW_SX_EUlSW_E_NS1_11comp_targetILNS1_3genE3ELNS1_11target_archE908ELNS1_3gpuE7ELNS1_3repE0EEENS1_30default_config_static_selectorELNS0_4arch9wavefront6targetE1EEEvT1_
		.amdhsa_group_segment_fixed_size 0
		.amdhsa_private_segment_fixed_size 0
		.amdhsa_kernarg_size 120
		.amdhsa_user_sgpr_count 6
		.amdhsa_user_sgpr_private_segment_buffer 1
		.amdhsa_user_sgpr_dispatch_ptr 0
		.amdhsa_user_sgpr_queue_ptr 0
		.amdhsa_user_sgpr_kernarg_segment_ptr 1
		.amdhsa_user_sgpr_dispatch_id 0
		.amdhsa_user_sgpr_flat_scratch_init 0
		.amdhsa_user_sgpr_kernarg_preload_length 0
		.amdhsa_user_sgpr_kernarg_preload_offset 0
		.amdhsa_user_sgpr_private_segment_size 0
		.amdhsa_uses_dynamic_stack 0
		.amdhsa_system_sgpr_private_segment_wavefront_offset 0
		.amdhsa_system_sgpr_workgroup_id_x 1
		.amdhsa_system_sgpr_workgroup_id_y 0
		.amdhsa_system_sgpr_workgroup_id_z 0
		.amdhsa_system_sgpr_workgroup_info 0
		.amdhsa_system_vgpr_workitem_id 0
		.amdhsa_next_free_vgpr 1
		.amdhsa_next_free_sgpr 0
		.amdhsa_accum_offset 4
		.amdhsa_reserve_vcc 0
		.amdhsa_reserve_flat_scratch 0
		.amdhsa_float_round_mode_32 0
		.amdhsa_float_round_mode_16_64 0
		.amdhsa_float_denorm_mode_32 3
		.amdhsa_float_denorm_mode_16_64 3
		.amdhsa_dx10_clamp 1
		.amdhsa_ieee_mode 1
		.amdhsa_fp16_overflow 0
		.amdhsa_tg_split 0
		.amdhsa_exception_fp_ieee_invalid_op 0
		.amdhsa_exception_fp_denorm_src 0
		.amdhsa_exception_fp_ieee_div_zero 0
		.amdhsa_exception_fp_ieee_overflow 0
		.amdhsa_exception_fp_ieee_underflow 0
		.amdhsa_exception_fp_ieee_inexact 0
		.amdhsa_exception_int_div_zero 0
	.end_amdhsa_kernel
	.section	.text._ZN7rocprim17ROCPRIM_400000_NS6detail17trampoline_kernelINS0_14default_configENS1_29reduce_by_key_config_selectorIffN6thrust23THRUST_200600_302600_NS4plusIfEEEEZZNS1_33reduce_by_key_impl_wrapped_configILNS1_25lookback_scan_determinismE1ES3_S9_NS6_6detail15normal_iteratorINS6_10device_ptrIfEEEESG_SG_SG_PmS8_NS6_8equal_toIfEEEE10hipError_tPvRmT2_T3_mT4_T5_T6_T7_T8_P12ihipStream_tbENKUlT_T0_E_clISt17integral_constantIbLb1EES10_IbLb0EEEEDaSW_SX_EUlSW_E_NS1_11comp_targetILNS1_3genE3ELNS1_11target_archE908ELNS1_3gpuE7ELNS1_3repE0EEENS1_30default_config_static_selectorELNS0_4arch9wavefront6targetE1EEEvT1_,"axG",@progbits,_ZN7rocprim17ROCPRIM_400000_NS6detail17trampoline_kernelINS0_14default_configENS1_29reduce_by_key_config_selectorIffN6thrust23THRUST_200600_302600_NS4plusIfEEEEZZNS1_33reduce_by_key_impl_wrapped_configILNS1_25lookback_scan_determinismE1ES3_S9_NS6_6detail15normal_iteratorINS6_10device_ptrIfEEEESG_SG_SG_PmS8_NS6_8equal_toIfEEEE10hipError_tPvRmT2_T3_mT4_T5_T6_T7_T8_P12ihipStream_tbENKUlT_T0_E_clISt17integral_constantIbLb1EES10_IbLb0EEEEDaSW_SX_EUlSW_E_NS1_11comp_targetILNS1_3genE3ELNS1_11target_archE908ELNS1_3gpuE7ELNS1_3repE0EEENS1_30default_config_static_selectorELNS0_4arch9wavefront6targetE1EEEvT1_,comdat
.Lfunc_end112:
	.size	_ZN7rocprim17ROCPRIM_400000_NS6detail17trampoline_kernelINS0_14default_configENS1_29reduce_by_key_config_selectorIffN6thrust23THRUST_200600_302600_NS4plusIfEEEEZZNS1_33reduce_by_key_impl_wrapped_configILNS1_25lookback_scan_determinismE1ES3_S9_NS6_6detail15normal_iteratorINS6_10device_ptrIfEEEESG_SG_SG_PmS8_NS6_8equal_toIfEEEE10hipError_tPvRmT2_T3_mT4_T5_T6_T7_T8_P12ihipStream_tbENKUlT_T0_E_clISt17integral_constantIbLb1EES10_IbLb0EEEEDaSW_SX_EUlSW_E_NS1_11comp_targetILNS1_3genE3ELNS1_11target_archE908ELNS1_3gpuE7ELNS1_3repE0EEENS1_30default_config_static_selectorELNS0_4arch9wavefront6targetE1EEEvT1_, .Lfunc_end112-_ZN7rocprim17ROCPRIM_400000_NS6detail17trampoline_kernelINS0_14default_configENS1_29reduce_by_key_config_selectorIffN6thrust23THRUST_200600_302600_NS4plusIfEEEEZZNS1_33reduce_by_key_impl_wrapped_configILNS1_25lookback_scan_determinismE1ES3_S9_NS6_6detail15normal_iteratorINS6_10device_ptrIfEEEESG_SG_SG_PmS8_NS6_8equal_toIfEEEE10hipError_tPvRmT2_T3_mT4_T5_T6_T7_T8_P12ihipStream_tbENKUlT_T0_E_clISt17integral_constantIbLb1EES10_IbLb0EEEEDaSW_SX_EUlSW_E_NS1_11comp_targetILNS1_3genE3ELNS1_11target_archE908ELNS1_3gpuE7ELNS1_3repE0EEENS1_30default_config_static_selectorELNS0_4arch9wavefront6targetE1EEEvT1_
                                        ; -- End function
	.section	.AMDGPU.csdata,"",@progbits
; Kernel info:
; codeLenInByte = 0
; NumSgprs: 4
; NumVgprs: 0
; NumAgprs: 0
; TotalNumVgprs: 0
; ScratchSize: 0
; MemoryBound: 0
; FloatMode: 240
; IeeeMode: 1
; LDSByteSize: 0 bytes/workgroup (compile time only)
; SGPRBlocks: 0
; VGPRBlocks: 0
; NumSGPRsForWavesPerEU: 4
; NumVGPRsForWavesPerEU: 1
; AccumOffset: 4
; Occupancy: 8
; WaveLimiterHint : 0
; COMPUTE_PGM_RSRC2:SCRATCH_EN: 0
; COMPUTE_PGM_RSRC2:USER_SGPR: 6
; COMPUTE_PGM_RSRC2:TRAP_HANDLER: 0
; COMPUTE_PGM_RSRC2:TGID_X_EN: 1
; COMPUTE_PGM_RSRC2:TGID_Y_EN: 0
; COMPUTE_PGM_RSRC2:TGID_Z_EN: 0
; COMPUTE_PGM_RSRC2:TIDIG_COMP_CNT: 0
; COMPUTE_PGM_RSRC3_GFX90A:ACCUM_OFFSET: 0
; COMPUTE_PGM_RSRC3_GFX90A:TG_SPLIT: 0
	.section	.text._ZN7rocprim17ROCPRIM_400000_NS6detail17trampoline_kernelINS0_14default_configENS1_29reduce_by_key_config_selectorIffN6thrust23THRUST_200600_302600_NS4plusIfEEEEZZNS1_33reduce_by_key_impl_wrapped_configILNS1_25lookback_scan_determinismE1ES3_S9_NS6_6detail15normal_iteratorINS6_10device_ptrIfEEEESG_SG_SG_PmS8_NS6_8equal_toIfEEEE10hipError_tPvRmT2_T3_mT4_T5_T6_T7_T8_P12ihipStream_tbENKUlT_T0_E_clISt17integral_constantIbLb1EES10_IbLb0EEEEDaSW_SX_EUlSW_E_NS1_11comp_targetILNS1_3genE2ELNS1_11target_archE906ELNS1_3gpuE6ELNS1_3repE0EEENS1_30default_config_static_selectorELNS0_4arch9wavefront6targetE1EEEvT1_,"axG",@progbits,_ZN7rocprim17ROCPRIM_400000_NS6detail17trampoline_kernelINS0_14default_configENS1_29reduce_by_key_config_selectorIffN6thrust23THRUST_200600_302600_NS4plusIfEEEEZZNS1_33reduce_by_key_impl_wrapped_configILNS1_25lookback_scan_determinismE1ES3_S9_NS6_6detail15normal_iteratorINS6_10device_ptrIfEEEESG_SG_SG_PmS8_NS6_8equal_toIfEEEE10hipError_tPvRmT2_T3_mT4_T5_T6_T7_T8_P12ihipStream_tbENKUlT_T0_E_clISt17integral_constantIbLb1EES10_IbLb0EEEEDaSW_SX_EUlSW_E_NS1_11comp_targetILNS1_3genE2ELNS1_11target_archE906ELNS1_3gpuE6ELNS1_3repE0EEENS1_30default_config_static_selectorELNS0_4arch9wavefront6targetE1EEEvT1_,comdat
	.protected	_ZN7rocprim17ROCPRIM_400000_NS6detail17trampoline_kernelINS0_14default_configENS1_29reduce_by_key_config_selectorIffN6thrust23THRUST_200600_302600_NS4plusIfEEEEZZNS1_33reduce_by_key_impl_wrapped_configILNS1_25lookback_scan_determinismE1ES3_S9_NS6_6detail15normal_iteratorINS6_10device_ptrIfEEEESG_SG_SG_PmS8_NS6_8equal_toIfEEEE10hipError_tPvRmT2_T3_mT4_T5_T6_T7_T8_P12ihipStream_tbENKUlT_T0_E_clISt17integral_constantIbLb1EES10_IbLb0EEEEDaSW_SX_EUlSW_E_NS1_11comp_targetILNS1_3genE2ELNS1_11target_archE906ELNS1_3gpuE6ELNS1_3repE0EEENS1_30default_config_static_selectorELNS0_4arch9wavefront6targetE1EEEvT1_ ; -- Begin function _ZN7rocprim17ROCPRIM_400000_NS6detail17trampoline_kernelINS0_14default_configENS1_29reduce_by_key_config_selectorIffN6thrust23THRUST_200600_302600_NS4plusIfEEEEZZNS1_33reduce_by_key_impl_wrapped_configILNS1_25lookback_scan_determinismE1ES3_S9_NS6_6detail15normal_iteratorINS6_10device_ptrIfEEEESG_SG_SG_PmS8_NS6_8equal_toIfEEEE10hipError_tPvRmT2_T3_mT4_T5_T6_T7_T8_P12ihipStream_tbENKUlT_T0_E_clISt17integral_constantIbLb1EES10_IbLb0EEEEDaSW_SX_EUlSW_E_NS1_11comp_targetILNS1_3genE2ELNS1_11target_archE906ELNS1_3gpuE6ELNS1_3repE0EEENS1_30default_config_static_selectorELNS0_4arch9wavefront6targetE1EEEvT1_
	.globl	_ZN7rocprim17ROCPRIM_400000_NS6detail17trampoline_kernelINS0_14default_configENS1_29reduce_by_key_config_selectorIffN6thrust23THRUST_200600_302600_NS4plusIfEEEEZZNS1_33reduce_by_key_impl_wrapped_configILNS1_25lookback_scan_determinismE1ES3_S9_NS6_6detail15normal_iteratorINS6_10device_ptrIfEEEESG_SG_SG_PmS8_NS6_8equal_toIfEEEE10hipError_tPvRmT2_T3_mT4_T5_T6_T7_T8_P12ihipStream_tbENKUlT_T0_E_clISt17integral_constantIbLb1EES10_IbLb0EEEEDaSW_SX_EUlSW_E_NS1_11comp_targetILNS1_3genE2ELNS1_11target_archE906ELNS1_3gpuE6ELNS1_3repE0EEENS1_30default_config_static_selectorELNS0_4arch9wavefront6targetE1EEEvT1_
	.p2align	8
	.type	_ZN7rocprim17ROCPRIM_400000_NS6detail17trampoline_kernelINS0_14default_configENS1_29reduce_by_key_config_selectorIffN6thrust23THRUST_200600_302600_NS4plusIfEEEEZZNS1_33reduce_by_key_impl_wrapped_configILNS1_25lookback_scan_determinismE1ES3_S9_NS6_6detail15normal_iteratorINS6_10device_ptrIfEEEESG_SG_SG_PmS8_NS6_8equal_toIfEEEE10hipError_tPvRmT2_T3_mT4_T5_T6_T7_T8_P12ihipStream_tbENKUlT_T0_E_clISt17integral_constantIbLb1EES10_IbLb0EEEEDaSW_SX_EUlSW_E_NS1_11comp_targetILNS1_3genE2ELNS1_11target_archE906ELNS1_3gpuE6ELNS1_3repE0EEENS1_30default_config_static_selectorELNS0_4arch9wavefront6targetE1EEEvT1_,@function
_ZN7rocprim17ROCPRIM_400000_NS6detail17trampoline_kernelINS0_14default_configENS1_29reduce_by_key_config_selectorIffN6thrust23THRUST_200600_302600_NS4plusIfEEEEZZNS1_33reduce_by_key_impl_wrapped_configILNS1_25lookback_scan_determinismE1ES3_S9_NS6_6detail15normal_iteratorINS6_10device_ptrIfEEEESG_SG_SG_PmS8_NS6_8equal_toIfEEEE10hipError_tPvRmT2_T3_mT4_T5_T6_T7_T8_P12ihipStream_tbENKUlT_T0_E_clISt17integral_constantIbLb1EES10_IbLb0EEEEDaSW_SX_EUlSW_E_NS1_11comp_targetILNS1_3genE2ELNS1_11target_archE906ELNS1_3gpuE6ELNS1_3repE0EEENS1_30default_config_static_selectorELNS0_4arch9wavefront6targetE1EEEvT1_: ; @_ZN7rocprim17ROCPRIM_400000_NS6detail17trampoline_kernelINS0_14default_configENS1_29reduce_by_key_config_selectorIffN6thrust23THRUST_200600_302600_NS4plusIfEEEEZZNS1_33reduce_by_key_impl_wrapped_configILNS1_25lookback_scan_determinismE1ES3_S9_NS6_6detail15normal_iteratorINS6_10device_ptrIfEEEESG_SG_SG_PmS8_NS6_8equal_toIfEEEE10hipError_tPvRmT2_T3_mT4_T5_T6_T7_T8_P12ihipStream_tbENKUlT_T0_E_clISt17integral_constantIbLb1EES10_IbLb0EEEEDaSW_SX_EUlSW_E_NS1_11comp_targetILNS1_3genE2ELNS1_11target_archE906ELNS1_3gpuE6ELNS1_3repE0EEENS1_30default_config_static_selectorELNS0_4arch9wavefront6targetE1EEEvT1_
; %bb.0:
	.section	.rodata,"a",@progbits
	.p2align	6, 0x0
	.amdhsa_kernel _ZN7rocprim17ROCPRIM_400000_NS6detail17trampoline_kernelINS0_14default_configENS1_29reduce_by_key_config_selectorIffN6thrust23THRUST_200600_302600_NS4plusIfEEEEZZNS1_33reduce_by_key_impl_wrapped_configILNS1_25lookback_scan_determinismE1ES3_S9_NS6_6detail15normal_iteratorINS6_10device_ptrIfEEEESG_SG_SG_PmS8_NS6_8equal_toIfEEEE10hipError_tPvRmT2_T3_mT4_T5_T6_T7_T8_P12ihipStream_tbENKUlT_T0_E_clISt17integral_constantIbLb1EES10_IbLb0EEEEDaSW_SX_EUlSW_E_NS1_11comp_targetILNS1_3genE2ELNS1_11target_archE906ELNS1_3gpuE6ELNS1_3repE0EEENS1_30default_config_static_selectorELNS0_4arch9wavefront6targetE1EEEvT1_
		.amdhsa_group_segment_fixed_size 0
		.amdhsa_private_segment_fixed_size 0
		.amdhsa_kernarg_size 120
		.amdhsa_user_sgpr_count 6
		.amdhsa_user_sgpr_private_segment_buffer 1
		.amdhsa_user_sgpr_dispatch_ptr 0
		.amdhsa_user_sgpr_queue_ptr 0
		.amdhsa_user_sgpr_kernarg_segment_ptr 1
		.amdhsa_user_sgpr_dispatch_id 0
		.amdhsa_user_sgpr_flat_scratch_init 0
		.amdhsa_user_sgpr_kernarg_preload_length 0
		.amdhsa_user_sgpr_kernarg_preload_offset 0
		.amdhsa_user_sgpr_private_segment_size 0
		.amdhsa_uses_dynamic_stack 0
		.amdhsa_system_sgpr_private_segment_wavefront_offset 0
		.amdhsa_system_sgpr_workgroup_id_x 1
		.amdhsa_system_sgpr_workgroup_id_y 0
		.amdhsa_system_sgpr_workgroup_id_z 0
		.amdhsa_system_sgpr_workgroup_info 0
		.amdhsa_system_vgpr_workitem_id 0
		.amdhsa_next_free_vgpr 1
		.amdhsa_next_free_sgpr 0
		.amdhsa_accum_offset 4
		.amdhsa_reserve_vcc 0
		.amdhsa_reserve_flat_scratch 0
		.amdhsa_float_round_mode_32 0
		.amdhsa_float_round_mode_16_64 0
		.amdhsa_float_denorm_mode_32 3
		.amdhsa_float_denorm_mode_16_64 3
		.amdhsa_dx10_clamp 1
		.amdhsa_ieee_mode 1
		.amdhsa_fp16_overflow 0
		.amdhsa_tg_split 0
		.amdhsa_exception_fp_ieee_invalid_op 0
		.amdhsa_exception_fp_denorm_src 0
		.amdhsa_exception_fp_ieee_div_zero 0
		.amdhsa_exception_fp_ieee_overflow 0
		.amdhsa_exception_fp_ieee_underflow 0
		.amdhsa_exception_fp_ieee_inexact 0
		.amdhsa_exception_int_div_zero 0
	.end_amdhsa_kernel
	.section	.text._ZN7rocprim17ROCPRIM_400000_NS6detail17trampoline_kernelINS0_14default_configENS1_29reduce_by_key_config_selectorIffN6thrust23THRUST_200600_302600_NS4plusIfEEEEZZNS1_33reduce_by_key_impl_wrapped_configILNS1_25lookback_scan_determinismE1ES3_S9_NS6_6detail15normal_iteratorINS6_10device_ptrIfEEEESG_SG_SG_PmS8_NS6_8equal_toIfEEEE10hipError_tPvRmT2_T3_mT4_T5_T6_T7_T8_P12ihipStream_tbENKUlT_T0_E_clISt17integral_constantIbLb1EES10_IbLb0EEEEDaSW_SX_EUlSW_E_NS1_11comp_targetILNS1_3genE2ELNS1_11target_archE906ELNS1_3gpuE6ELNS1_3repE0EEENS1_30default_config_static_selectorELNS0_4arch9wavefront6targetE1EEEvT1_,"axG",@progbits,_ZN7rocprim17ROCPRIM_400000_NS6detail17trampoline_kernelINS0_14default_configENS1_29reduce_by_key_config_selectorIffN6thrust23THRUST_200600_302600_NS4plusIfEEEEZZNS1_33reduce_by_key_impl_wrapped_configILNS1_25lookback_scan_determinismE1ES3_S9_NS6_6detail15normal_iteratorINS6_10device_ptrIfEEEESG_SG_SG_PmS8_NS6_8equal_toIfEEEE10hipError_tPvRmT2_T3_mT4_T5_T6_T7_T8_P12ihipStream_tbENKUlT_T0_E_clISt17integral_constantIbLb1EES10_IbLb0EEEEDaSW_SX_EUlSW_E_NS1_11comp_targetILNS1_3genE2ELNS1_11target_archE906ELNS1_3gpuE6ELNS1_3repE0EEENS1_30default_config_static_selectorELNS0_4arch9wavefront6targetE1EEEvT1_,comdat
.Lfunc_end113:
	.size	_ZN7rocprim17ROCPRIM_400000_NS6detail17trampoline_kernelINS0_14default_configENS1_29reduce_by_key_config_selectorIffN6thrust23THRUST_200600_302600_NS4plusIfEEEEZZNS1_33reduce_by_key_impl_wrapped_configILNS1_25lookback_scan_determinismE1ES3_S9_NS6_6detail15normal_iteratorINS6_10device_ptrIfEEEESG_SG_SG_PmS8_NS6_8equal_toIfEEEE10hipError_tPvRmT2_T3_mT4_T5_T6_T7_T8_P12ihipStream_tbENKUlT_T0_E_clISt17integral_constantIbLb1EES10_IbLb0EEEEDaSW_SX_EUlSW_E_NS1_11comp_targetILNS1_3genE2ELNS1_11target_archE906ELNS1_3gpuE6ELNS1_3repE0EEENS1_30default_config_static_selectorELNS0_4arch9wavefront6targetE1EEEvT1_, .Lfunc_end113-_ZN7rocprim17ROCPRIM_400000_NS6detail17trampoline_kernelINS0_14default_configENS1_29reduce_by_key_config_selectorIffN6thrust23THRUST_200600_302600_NS4plusIfEEEEZZNS1_33reduce_by_key_impl_wrapped_configILNS1_25lookback_scan_determinismE1ES3_S9_NS6_6detail15normal_iteratorINS6_10device_ptrIfEEEESG_SG_SG_PmS8_NS6_8equal_toIfEEEE10hipError_tPvRmT2_T3_mT4_T5_T6_T7_T8_P12ihipStream_tbENKUlT_T0_E_clISt17integral_constantIbLb1EES10_IbLb0EEEEDaSW_SX_EUlSW_E_NS1_11comp_targetILNS1_3genE2ELNS1_11target_archE906ELNS1_3gpuE6ELNS1_3repE0EEENS1_30default_config_static_selectorELNS0_4arch9wavefront6targetE1EEEvT1_
                                        ; -- End function
	.section	.AMDGPU.csdata,"",@progbits
; Kernel info:
; codeLenInByte = 0
; NumSgprs: 4
; NumVgprs: 0
; NumAgprs: 0
; TotalNumVgprs: 0
; ScratchSize: 0
; MemoryBound: 0
; FloatMode: 240
; IeeeMode: 1
; LDSByteSize: 0 bytes/workgroup (compile time only)
; SGPRBlocks: 0
; VGPRBlocks: 0
; NumSGPRsForWavesPerEU: 4
; NumVGPRsForWavesPerEU: 1
; AccumOffset: 4
; Occupancy: 8
; WaveLimiterHint : 0
; COMPUTE_PGM_RSRC2:SCRATCH_EN: 0
; COMPUTE_PGM_RSRC2:USER_SGPR: 6
; COMPUTE_PGM_RSRC2:TRAP_HANDLER: 0
; COMPUTE_PGM_RSRC2:TGID_X_EN: 1
; COMPUTE_PGM_RSRC2:TGID_Y_EN: 0
; COMPUTE_PGM_RSRC2:TGID_Z_EN: 0
; COMPUTE_PGM_RSRC2:TIDIG_COMP_CNT: 0
; COMPUTE_PGM_RSRC3_GFX90A:ACCUM_OFFSET: 0
; COMPUTE_PGM_RSRC3_GFX90A:TG_SPLIT: 0
	.section	.text._ZN7rocprim17ROCPRIM_400000_NS6detail17trampoline_kernelINS0_14default_configENS1_29reduce_by_key_config_selectorIffN6thrust23THRUST_200600_302600_NS4plusIfEEEEZZNS1_33reduce_by_key_impl_wrapped_configILNS1_25lookback_scan_determinismE1ES3_S9_NS6_6detail15normal_iteratorINS6_10device_ptrIfEEEESG_SG_SG_PmS8_NS6_8equal_toIfEEEE10hipError_tPvRmT2_T3_mT4_T5_T6_T7_T8_P12ihipStream_tbENKUlT_T0_E_clISt17integral_constantIbLb1EES10_IbLb0EEEEDaSW_SX_EUlSW_E_NS1_11comp_targetILNS1_3genE10ELNS1_11target_archE1201ELNS1_3gpuE5ELNS1_3repE0EEENS1_30default_config_static_selectorELNS0_4arch9wavefront6targetE1EEEvT1_,"axG",@progbits,_ZN7rocprim17ROCPRIM_400000_NS6detail17trampoline_kernelINS0_14default_configENS1_29reduce_by_key_config_selectorIffN6thrust23THRUST_200600_302600_NS4plusIfEEEEZZNS1_33reduce_by_key_impl_wrapped_configILNS1_25lookback_scan_determinismE1ES3_S9_NS6_6detail15normal_iteratorINS6_10device_ptrIfEEEESG_SG_SG_PmS8_NS6_8equal_toIfEEEE10hipError_tPvRmT2_T3_mT4_T5_T6_T7_T8_P12ihipStream_tbENKUlT_T0_E_clISt17integral_constantIbLb1EES10_IbLb0EEEEDaSW_SX_EUlSW_E_NS1_11comp_targetILNS1_3genE10ELNS1_11target_archE1201ELNS1_3gpuE5ELNS1_3repE0EEENS1_30default_config_static_selectorELNS0_4arch9wavefront6targetE1EEEvT1_,comdat
	.protected	_ZN7rocprim17ROCPRIM_400000_NS6detail17trampoline_kernelINS0_14default_configENS1_29reduce_by_key_config_selectorIffN6thrust23THRUST_200600_302600_NS4plusIfEEEEZZNS1_33reduce_by_key_impl_wrapped_configILNS1_25lookback_scan_determinismE1ES3_S9_NS6_6detail15normal_iteratorINS6_10device_ptrIfEEEESG_SG_SG_PmS8_NS6_8equal_toIfEEEE10hipError_tPvRmT2_T3_mT4_T5_T6_T7_T8_P12ihipStream_tbENKUlT_T0_E_clISt17integral_constantIbLb1EES10_IbLb0EEEEDaSW_SX_EUlSW_E_NS1_11comp_targetILNS1_3genE10ELNS1_11target_archE1201ELNS1_3gpuE5ELNS1_3repE0EEENS1_30default_config_static_selectorELNS0_4arch9wavefront6targetE1EEEvT1_ ; -- Begin function _ZN7rocprim17ROCPRIM_400000_NS6detail17trampoline_kernelINS0_14default_configENS1_29reduce_by_key_config_selectorIffN6thrust23THRUST_200600_302600_NS4plusIfEEEEZZNS1_33reduce_by_key_impl_wrapped_configILNS1_25lookback_scan_determinismE1ES3_S9_NS6_6detail15normal_iteratorINS6_10device_ptrIfEEEESG_SG_SG_PmS8_NS6_8equal_toIfEEEE10hipError_tPvRmT2_T3_mT4_T5_T6_T7_T8_P12ihipStream_tbENKUlT_T0_E_clISt17integral_constantIbLb1EES10_IbLb0EEEEDaSW_SX_EUlSW_E_NS1_11comp_targetILNS1_3genE10ELNS1_11target_archE1201ELNS1_3gpuE5ELNS1_3repE0EEENS1_30default_config_static_selectorELNS0_4arch9wavefront6targetE1EEEvT1_
	.globl	_ZN7rocprim17ROCPRIM_400000_NS6detail17trampoline_kernelINS0_14default_configENS1_29reduce_by_key_config_selectorIffN6thrust23THRUST_200600_302600_NS4plusIfEEEEZZNS1_33reduce_by_key_impl_wrapped_configILNS1_25lookback_scan_determinismE1ES3_S9_NS6_6detail15normal_iteratorINS6_10device_ptrIfEEEESG_SG_SG_PmS8_NS6_8equal_toIfEEEE10hipError_tPvRmT2_T3_mT4_T5_T6_T7_T8_P12ihipStream_tbENKUlT_T0_E_clISt17integral_constantIbLb1EES10_IbLb0EEEEDaSW_SX_EUlSW_E_NS1_11comp_targetILNS1_3genE10ELNS1_11target_archE1201ELNS1_3gpuE5ELNS1_3repE0EEENS1_30default_config_static_selectorELNS0_4arch9wavefront6targetE1EEEvT1_
	.p2align	8
	.type	_ZN7rocprim17ROCPRIM_400000_NS6detail17trampoline_kernelINS0_14default_configENS1_29reduce_by_key_config_selectorIffN6thrust23THRUST_200600_302600_NS4plusIfEEEEZZNS1_33reduce_by_key_impl_wrapped_configILNS1_25lookback_scan_determinismE1ES3_S9_NS6_6detail15normal_iteratorINS6_10device_ptrIfEEEESG_SG_SG_PmS8_NS6_8equal_toIfEEEE10hipError_tPvRmT2_T3_mT4_T5_T6_T7_T8_P12ihipStream_tbENKUlT_T0_E_clISt17integral_constantIbLb1EES10_IbLb0EEEEDaSW_SX_EUlSW_E_NS1_11comp_targetILNS1_3genE10ELNS1_11target_archE1201ELNS1_3gpuE5ELNS1_3repE0EEENS1_30default_config_static_selectorELNS0_4arch9wavefront6targetE1EEEvT1_,@function
_ZN7rocprim17ROCPRIM_400000_NS6detail17trampoline_kernelINS0_14default_configENS1_29reduce_by_key_config_selectorIffN6thrust23THRUST_200600_302600_NS4plusIfEEEEZZNS1_33reduce_by_key_impl_wrapped_configILNS1_25lookback_scan_determinismE1ES3_S9_NS6_6detail15normal_iteratorINS6_10device_ptrIfEEEESG_SG_SG_PmS8_NS6_8equal_toIfEEEE10hipError_tPvRmT2_T3_mT4_T5_T6_T7_T8_P12ihipStream_tbENKUlT_T0_E_clISt17integral_constantIbLb1EES10_IbLb0EEEEDaSW_SX_EUlSW_E_NS1_11comp_targetILNS1_3genE10ELNS1_11target_archE1201ELNS1_3gpuE5ELNS1_3repE0EEENS1_30default_config_static_selectorELNS0_4arch9wavefront6targetE1EEEvT1_: ; @_ZN7rocprim17ROCPRIM_400000_NS6detail17trampoline_kernelINS0_14default_configENS1_29reduce_by_key_config_selectorIffN6thrust23THRUST_200600_302600_NS4plusIfEEEEZZNS1_33reduce_by_key_impl_wrapped_configILNS1_25lookback_scan_determinismE1ES3_S9_NS6_6detail15normal_iteratorINS6_10device_ptrIfEEEESG_SG_SG_PmS8_NS6_8equal_toIfEEEE10hipError_tPvRmT2_T3_mT4_T5_T6_T7_T8_P12ihipStream_tbENKUlT_T0_E_clISt17integral_constantIbLb1EES10_IbLb0EEEEDaSW_SX_EUlSW_E_NS1_11comp_targetILNS1_3genE10ELNS1_11target_archE1201ELNS1_3gpuE5ELNS1_3repE0EEENS1_30default_config_static_selectorELNS0_4arch9wavefront6targetE1EEEvT1_
; %bb.0:
	.section	.rodata,"a",@progbits
	.p2align	6, 0x0
	.amdhsa_kernel _ZN7rocprim17ROCPRIM_400000_NS6detail17trampoline_kernelINS0_14default_configENS1_29reduce_by_key_config_selectorIffN6thrust23THRUST_200600_302600_NS4plusIfEEEEZZNS1_33reduce_by_key_impl_wrapped_configILNS1_25lookback_scan_determinismE1ES3_S9_NS6_6detail15normal_iteratorINS6_10device_ptrIfEEEESG_SG_SG_PmS8_NS6_8equal_toIfEEEE10hipError_tPvRmT2_T3_mT4_T5_T6_T7_T8_P12ihipStream_tbENKUlT_T0_E_clISt17integral_constantIbLb1EES10_IbLb0EEEEDaSW_SX_EUlSW_E_NS1_11comp_targetILNS1_3genE10ELNS1_11target_archE1201ELNS1_3gpuE5ELNS1_3repE0EEENS1_30default_config_static_selectorELNS0_4arch9wavefront6targetE1EEEvT1_
		.amdhsa_group_segment_fixed_size 0
		.amdhsa_private_segment_fixed_size 0
		.amdhsa_kernarg_size 120
		.amdhsa_user_sgpr_count 6
		.amdhsa_user_sgpr_private_segment_buffer 1
		.amdhsa_user_sgpr_dispatch_ptr 0
		.amdhsa_user_sgpr_queue_ptr 0
		.amdhsa_user_sgpr_kernarg_segment_ptr 1
		.amdhsa_user_sgpr_dispatch_id 0
		.amdhsa_user_sgpr_flat_scratch_init 0
		.amdhsa_user_sgpr_kernarg_preload_length 0
		.amdhsa_user_sgpr_kernarg_preload_offset 0
		.amdhsa_user_sgpr_private_segment_size 0
		.amdhsa_uses_dynamic_stack 0
		.amdhsa_system_sgpr_private_segment_wavefront_offset 0
		.amdhsa_system_sgpr_workgroup_id_x 1
		.amdhsa_system_sgpr_workgroup_id_y 0
		.amdhsa_system_sgpr_workgroup_id_z 0
		.amdhsa_system_sgpr_workgroup_info 0
		.amdhsa_system_vgpr_workitem_id 0
		.amdhsa_next_free_vgpr 1
		.amdhsa_next_free_sgpr 0
		.amdhsa_accum_offset 4
		.amdhsa_reserve_vcc 0
		.amdhsa_reserve_flat_scratch 0
		.amdhsa_float_round_mode_32 0
		.amdhsa_float_round_mode_16_64 0
		.amdhsa_float_denorm_mode_32 3
		.amdhsa_float_denorm_mode_16_64 3
		.amdhsa_dx10_clamp 1
		.amdhsa_ieee_mode 1
		.amdhsa_fp16_overflow 0
		.amdhsa_tg_split 0
		.amdhsa_exception_fp_ieee_invalid_op 0
		.amdhsa_exception_fp_denorm_src 0
		.amdhsa_exception_fp_ieee_div_zero 0
		.amdhsa_exception_fp_ieee_overflow 0
		.amdhsa_exception_fp_ieee_underflow 0
		.amdhsa_exception_fp_ieee_inexact 0
		.amdhsa_exception_int_div_zero 0
	.end_amdhsa_kernel
	.section	.text._ZN7rocprim17ROCPRIM_400000_NS6detail17trampoline_kernelINS0_14default_configENS1_29reduce_by_key_config_selectorIffN6thrust23THRUST_200600_302600_NS4plusIfEEEEZZNS1_33reduce_by_key_impl_wrapped_configILNS1_25lookback_scan_determinismE1ES3_S9_NS6_6detail15normal_iteratorINS6_10device_ptrIfEEEESG_SG_SG_PmS8_NS6_8equal_toIfEEEE10hipError_tPvRmT2_T3_mT4_T5_T6_T7_T8_P12ihipStream_tbENKUlT_T0_E_clISt17integral_constantIbLb1EES10_IbLb0EEEEDaSW_SX_EUlSW_E_NS1_11comp_targetILNS1_3genE10ELNS1_11target_archE1201ELNS1_3gpuE5ELNS1_3repE0EEENS1_30default_config_static_selectorELNS0_4arch9wavefront6targetE1EEEvT1_,"axG",@progbits,_ZN7rocprim17ROCPRIM_400000_NS6detail17trampoline_kernelINS0_14default_configENS1_29reduce_by_key_config_selectorIffN6thrust23THRUST_200600_302600_NS4plusIfEEEEZZNS1_33reduce_by_key_impl_wrapped_configILNS1_25lookback_scan_determinismE1ES3_S9_NS6_6detail15normal_iteratorINS6_10device_ptrIfEEEESG_SG_SG_PmS8_NS6_8equal_toIfEEEE10hipError_tPvRmT2_T3_mT4_T5_T6_T7_T8_P12ihipStream_tbENKUlT_T0_E_clISt17integral_constantIbLb1EES10_IbLb0EEEEDaSW_SX_EUlSW_E_NS1_11comp_targetILNS1_3genE10ELNS1_11target_archE1201ELNS1_3gpuE5ELNS1_3repE0EEENS1_30default_config_static_selectorELNS0_4arch9wavefront6targetE1EEEvT1_,comdat
.Lfunc_end114:
	.size	_ZN7rocprim17ROCPRIM_400000_NS6detail17trampoline_kernelINS0_14default_configENS1_29reduce_by_key_config_selectorIffN6thrust23THRUST_200600_302600_NS4plusIfEEEEZZNS1_33reduce_by_key_impl_wrapped_configILNS1_25lookback_scan_determinismE1ES3_S9_NS6_6detail15normal_iteratorINS6_10device_ptrIfEEEESG_SG_SG_PmS8_NS6_8equal_toIfEEEE10hipError_tPvRmT2_T3_mT4_T5_T6_T7_T8_P12ihipStream_tbENKUlT_T0_E_clISt17integral_constantIbLb1EES10_IbLb0EEEEDaSW_SX_EUlSW_E_NS1_11comp_targetILNS1_3genE10ELNS1_11target_archE1201ELNS1_3gpuE5ELNS1_3repE0EEENS1_30default_config_static_selectorELNS0_4arch9wavefront6targetE1EEEvT1_, .Lfunc_end114-_ZN7rocprim17ROCPRIM_400000_NS6detail17trampoline_kernelINS0_14default_configENS1_29reduce_by_key_config_selectorIffN6thrust23THRUST_200600_302600_NS4plusIfEEEEZZNS1_33reduce_by_key_impl_wrapped_configILNS1_25lookback_scan_determinismE1ES3_S9_NS6_6detail15normal_iteratorINS6_10device_ptrIfEEEESG_SG_SG_PmS8_NS6_8equal_toIfEEEE10hipError_tPvRmT2_T3_mT4_T5_T6_T7_T8_P12ihipStream_tbENKUlT_T0_E_clISt17integral_constantIbLb1EES10_IbLb0EEEEDaSW_SX_EUlSW_E_NS1_11comp_targetILNS1_3genE10ELNS1_11target_archE1201ELNS1_3gpuE5ELNS1_3repE0EEENS1_30default_config_static_selectorELNS0_4arch9wavefront6targetE1EEEvT1_
                                        ; -- End function
	.section	.AMDGPU.csdata,"",@progbits
; Kernel info:
; codeLenInByte = 0
; NumSgprs: 4
; NumVgprs: 0
; NumAgprs: 0
; TotalNumVgprs: 0
; ScratchSize: 0
; MemoryBound: 0
; FloatMode: 240
; IeeeMode: 1
; LDSByteSize: 0 bytes/workgroup (compile time only)
; SGPRBlocks: 0
; VGPRBlocks: 0
; NumSGPRsForWavesPerEU: 4
; NumVGPRsForWavesPerEU: 1
; AccumOffset: 4
; Occupancy: 8
; WaveLimiterHint : 0
; COMPUTE_PGM_RSRC2:SCRATCH_EN: 0
; COMPUTE_PGM_RSRC2:USER_SGPR: 6
; COMPUTE_PGM_RSRC2:TRAP_HANDLER: 0
; COMPUTE_PGM_RSRC2:TGID_X_EN: 1
; COMPUTE_PGM_RSRC2:TGID_Y_EN: 0
; COMPUTE_PGM_RSRC2:TGID_Z_EN: 0
; COMPUTE_PGM_RSRC2:TIDIG_COMP_CNT: 0
; COMPUTE_PGM_RSRC3_GFX90A:ACCUM_OFFSET: 0
; COMPUTE_PGM_RSRC3_GFX90A:TG_SPLIT: 0
	.section	.text._ZN7rocprim17ROCPRIM_400000_NS6detail17trampoline_kernelINS0_14default_configENS1_29reduce_by_key_config_selectorIffN6thrust23THRUST_200600_302600_NS4plusIfEEEEZZNS1_33reduce_by_key_impl_wrapped_configILNS1_25lookback_scan_determinismE1ES3_S9_NS6_6detail15normal_iteratorINS6_10device_ptrIfEEEESG_SG_SG_PmS8_NS6_8equal_toIfEEEE10hipError_tPvRmT2_T3_mT4_T5_T6_T7_T8_P12ihipStream_tbENKUlT_T0_E_clISt17integral_constantIbLb1EES10_IbLb0EEEEDaSW_SX_EUlSW_E_NS1_11comp_targetILNS1_3genE10ELNS1_11target_archE1200ELNS1_3gpuE4ELNS1_3repE0EEENS1_30default_config_static_selectorELNS0_4arch9wavefront6targetE1EEEvT1_,"axG",@progbits,_ZN7rocprim17ROCPRIM_400000_NS6detail17trampoline_kernelINS0_14default_configENS1_29reduce_by_key_config_selectorIffN6thrust23THRUST_200600_302600_NS4plusIfEEEEZZNS1_33reduce_by_key_impl_wrapped_configILNS1_25lookback_scan_determinismE1ES3_S9_NS6_6detail15normal_iteratorINS6_10device_ptrIfEEEESG_SG_SG_PmS8_NS6_8equal_toIfEEEE10hipError_tPvRmT2_T3_mT4_T5_T6_T7_T8_P12ihipStream_tbENKUlT_T0_E_clISt17integral_constantIbLb1EES10_IbLb0EEEEDaSW_SX_EUlSW_E_NS1_11comp_targetILNS1_3genE10ELNS1_11target_archE1200ELNS1_3gpuE4ELNS1_3repE0EEENS1_30default_config_static_selectorELNS0_4arch9wavefront6targetE1EEEvT1_,comdat
	.protected	_ZN7rocprim17ROCPRIM_400000_NS6detail17trampoline_kernelINS0_14default_configENS1_29reduce_by_key_config_selectorIffN6thrust23THRUST_200600_302600_NS4plusIfEEEEZZNS1_33reduce_by_key_impl_wrapped_configILNS1_25lookback_scan_determinismE1ES3_S9_NS6_6detail15normal_iteratorINS6_10device_ptrIfEEEESG_SG_SG_PmS8_NS6_8equal_toIfEEEE10hipError_tPvRmT2_T3_mT4_T5_T6_T7_T8_P12ihipStream_tbENKUlT_T0_E_clISt17integral_constantIbLb1EES10_IbLb0EEEEDaSW_SX_EUlSW_E_NS1_11comp_targetILNS1_3genE10ELNS1_11target_archE1200ELNS1_3gpuE4ELNS1_3repE0EEENS1_30default_config_static_selectorELNS0_4arch9wavefront6targetE1EEEvT1_ ; -- Begin function _ZN7rocprim17ROCPRIM_400000_NS6detail17trampoline_kernelINS0_14default_configENS1_29reduce_by_key_config_selectorIffN6thrust23THRUST_200600_302600_NS4plusIfEEEEZZNS1_33reduce_by_key_impl_wrapped_configILNS1_25lookback_scan_determinismE1ES3_S9_NS6_6detail15normal_iteratorINS6_10device_ptrIfEEEESG_SG_SG_PmS8_NS6_8equal_toIfEEEE10hipError_tPvRmT2_T3_mT4_T5_T6_T7_T8_P12ihipStream_tbENKUlT_T0_E_clISt17integral_constantIbLb1EES10_IbLb0EEEEDaSW_SX_EUlSW_E_NS1_11comp_targetILNS1_3genE10ELNS1_11target_archE1200ELNS1_3gpuE4ELNS1_3repE0EEENS1_30default_config_static_selectorELNS0_4arch9wavefront6targetE1EEEvT1_
	.globl	_ZN7rocprim17ROCPRIM_400000_NS6detail17trampoline_kernelINS0_14default_configENS1_29reduce_by_key_config_selectorIffN6thrust23THRUST_200600_302600_NS4plusIfEEEEZZNS1_33reduce_by_key_impl_wrapped_configILNS1_25lookback_scan_determinismE1ES3_S9_NS6_6detail15normal_iteratorINS6_10device_ptrIfEEEESG_SG_SG_PmS8_NS6_8equal_toIfEEEE10hipError_tPvRmT2_T3_mT4_T5_T6_T7_T8_P12ihipStream_tbENKUlT_T0_E_clISt17integral_constantIbLb1EES10_IbLb0EEEEDaSW_SX_EUlSW_E_NS1_11comp_targetILNS1_3genE10ELNS1_11target_archE1200ELNS1_3gpuE4ELNS1_3repE0EEENS1_30default_config_static_selectorELNS0_4arch9wavefront6targetE1EEEvT1_
	.p2align	8
	.type	_ZN7rocprim17ROCPRIM_400000_NS6detail17trampoline_kernelINS0_14default_configENS1_29reduce_by_key_config_selectorIffN6thrust23THRUST_200600_302600_NS4plusIfEEEEZZNS1_33reduce_by_key_impl_wrapped_configILNS1_25lookback_scan_determinismE1ES3_S9_NS6_6detail15normal_iteratorINS6_10device_ptrIfEEEESG_SG_SG_PmS8_NS6_8equal_toIfEEEE10hipError_tPvRmT2_T3_mT4_T5_T6_T7_T8_P12ihipStream_tbENKUlT_T0_E_clISt17integral_constantIbLb1EES10_IbLb0EEEEDaSW_SX_EUlSW_E_NS1_11comp_targetILNS1_3genE10ELNS1_11target_archE1200ELNS1_3gpuE4ELNS1_3repE0EEENS1_30default_config_static_selectorELNS0_4arch9wavefront6targetE1EEEvT1_,@function
_ZN7rocprim17ROCPRIM_400000_NS6detail17trampoline_kernelINS0_14default_configENS1_29reduce_by_key_config_selectorIffN6thrust23THRUST_200600_302600_NS4plusIfEEEEZZNS1_33reduce_by_key_impl_wrapped_configILNS1_25lookback_scan_determinismE1ES3_S9_NS6_6detail15normal_iteratorINS6_10device_ptrIfEEEESG_SG_SG_PmS8_NS6_8equal_toIfEEEE10hipError_tPvRmT2_T3_mT4_T5_T6_T7_T8_P12ihipStream_tbENKUlT_T0_E_clISt17integral_constantIbLb1EES10_IbLb0EEEEDaSW_SX_EUlSW_E_NS1_11comp_targetILNS1_3genE10ELNS1_11target_archE1200ELNS1_3gpuE4ELNS1_3repE0EEENS1_30default_config_static_selectorELNS0_4arch9wavefront6targetE1EEEvT1_: ; @_ZN7rocprim17ROCPRIM_400000_NS6detail17trampoline_kernelINS0_14default_configENS1_29reduce_by_key_config_selectorIffN6thrust23THRUST_200600_302600_NS4plusIfEEEEZZNS1_33reduce_by_key_impl_wrapped_configILNS1_25lookback_scan_determinismE1ES3_S9_NS6_6detail15normal_iteratorINS6_10device_ptrIfEEEESG_SG_SG_PmS8_NS6_8equal_toIfEEEE10hipError_tPvRmT2_T3_mT4_T5_T6_T7_T8_P12ihipStream_tbENKUlT_T0_E_clISt17integral_constantIbLb1EES10_IbLb0EEEEDaSW_SX_EUlSW_E_NS1_11comp_targetILNS1_3genE10ELNS1_11target_archE1200ELNS1_3gpuE4ELNS1_3repE0EEENS1_30default_config_static_selectorELNS0_4arch9wavefront6targetE1EEEvT1_
; %bb.0:
	.section	.rodata,"a",@progbits
	.p2align	6, 0x0
	.amdhsa_kernel _ZN7rocprim17ROCPRIM_400000_NS6detail17trampoline_kernelINS0_14default_configENS1_29reduce_by_key_config_selectorIffN6thrust23THRUST_200600_302600_NS4plusIfEEEEZZNS1_33reduce_by_key_impl_wrapped_configILNS1_25lookback_scan_determinismE1ES3_S9_NS6_6detail15normal_iteratorINS6_10device_ptrIfEEEESG_SG_SG_PmS8_NS6_8equal_toIfEEEE10hipError_tPvRmT2_T3_mT4_T5_T6_T7_T8_P12ihipStream_tbENKUlT_T0_E_clISt17integral_constantIbLb1EES10_IbLb0EEEEDaSW_SX_EUlSW_E_NS1_11comp_targetILNS1_3genE10ELNS1_11target_archE1200ELNS1_3gpuE4ELNS1_3repE0EEENS1_30default_config_static_selectorELNS0_4arch9wavefront6targetE1EEEvT1_
		.amdhsa_group_segment_fixed_size 0
		.amdhsa_private_segment_fixed_size 0
		.amdhsa_kernarg_size 120
		.amdhsa_user_sgpr_count 6
		.amdhsa_user_sgpr_private_segment_buffer 1
		.amdhsa_user_sgpr_dispatch_ptr 0
		.amdhsa_user_sgpr_queue_ptr 0
		.amdhsa_user_sgpr_kernarg_segment_ptr 1
		.amdhsa_user_sgpr_dispatch_id 0
		.amdhsa_user_sgpr_flat_scratch_init 0
		.amdhsa_user_sgpr_kernarg_preload_length 0
		.amdhsa_user_sgpr_kernarg_preload_offset 0
		.amdhsa_user_sgpr_private_segment_size 0
		.amdhsa_uses_dynamic_stack 0
		.amdhsa_system_sgpr_private_segment_wavefront_offset 0
		.amdhsa_system_sgpr_workgroup_id_x 1
		.amdhsa_system_sgpr_workgroup_id_y 0
		.amdhsa_system_sgpr_workgroup_id_z 0
		.amdhsa_system_sgpr_workgroup_info 0
		.amdhsa_system_vgpr_workitem_id 0
		.amdhsa_next_free_vgpr 1
		.amdhsa_next_free_sgpr 0
		.amdhsa_accum_offset 4
		.amdhsa_reserve_vcc 0
		.amdhsa_reserve_flat_scratch 0
		.amdhsa_float_round_mode_32 0
		.amdhsa_float_round_mode_16_64 0
		.amdhsa_float_denorm_mode_32 3
		.amdhsa_float_denorm_mode_16_64 3
		.amdhsa_dx10_clamp 1
		.amdhsa_ieee_mode 1
		.amdhsa_fp16_overflow 0
		.amdhsa_tg_split 0
		.amdhsa_exception_fp_ieee_invalid_op 0
		.amdhsa_exception_fp_denorm_src 0
		.amdhsa_exception_fp_ieee_div_zero 0
		.amdhsa_exception_fp_ieee_overflow 0
		.amdhsa_exception_fp_ieee_underflow 0
		.amdhsa_exception_fp_ieee_inexact 0
		.amdhsa_exception_int_div_zero 0
	.end_amdhsa_kernel
	.section	.text._ZN7rocprim17ROCPRIM_400000_NS6detail17trampoline_kernelINS0_14default_configENS1_29reduce_by_key_config_selectorIffN6thrust23THRUST_200600_302600_NS4plusIfEEEEZZNS1_33reduce_by_key_impl_wrapped_configILNS1_25lookback_scan_determinismE1ES3_S9_NS6_6detail15normal_iteratorINS6_10device_ptrIfEEEESG_SG_SG_PmS8_NS6_8equal_toIfEEEE10hipError_tPvRmT2_T3_mT4_T5_T6_T7_T8_P12ihipStream_tbENKUlT_T0_E_clISt17integral_constantIbLb1EES10_IbLb0EEEEDaSW_SX_EUlSW_E_NS1_11comp_targetILNS1_3genE10ELNS1_11target_archE1200ELNS1_3gpuE4ELNS1_3repE0EEENS1_30default_config_static_selectorELNS0_4arch9wavefront6targetE1EEEvT1_,"axG",@progbits,_ZN7rocprim17ROCPRIM_400000_NS6detail17trampoline_kernelINS0_14default_configENS1_29reduce_by_key_config_selectorIffN6thrust23THRUST_200600_302600_NS4plusIfEEEEZZNS1_33reduce_by_key_impl_wrapped_configILNS1_25lookback_scan_determinismE1ES3_S9_NS6_6detail15normal_iteratorINS6_10device_ptrIfEEEESG_SG_SG_PmS8_NS6_8equal_toIfEEEE10hipError_tPvRmT2_T3_mT4_T5_T6_T7_T8_P12ihipStream_tbENKUlT_T0_E_clISt17integral_constantIbLb1EES10_IbLb0EEEEDaSW_SX_EUlSW_E_NS1_11comp_targetILNS1_3genE10ELNS1_11target_archE1200ELNS1_3gpuE4ELNS1_3repE0EEENS1_30default_config_static_selectorELNS0_4arch9wavefront6targetE1EEEvT1_,comdat
.Lfunc_end115:
	.size	_ZN7rocprim17ROCPRIM_400000_NS6detail17trampoline_kernelINS0_14default_configENS1_29reduce_by_key_config_selectorIffN6thrust23THRUST_200600_302600_NS4plusIfEEEEZZNS1_33reduce_by_key_impl_wrapped_configILNS1_25lookback_scan_determinismE1ES3_S9_NS6_6detail15normal_iteratorINS6_10device_ptrIfEEEESG_SG_SG_PmS8_NS6_8equal_toIfEEEE10hipError_tPvRmT2_T3_mT4_T5_T6_T7_T8_P12ihipStream_tbENKUlT_T0_E_clISt17integral_constantIbLb1EES10_IbLb0EEEEDaSW_SX_EUlSW_E_NS1_11comp_targetILNS1_3genE10ELNS1_11target_archE1200ELNS1_3gpuE4ELNS1_3repE0EEENS1_30default_config_static_selectorELNS0_4arch9wavefront6targetE1EEEvT1_, .Lfunc_end115-_ZN7rocprim17ROCPRIM_400000_NS6detail17trampoline_kernelINS0_14default_configENS1_29reduce_by_key_config_selectorIffN6thrust23THRUST_200600_302600_NS4plusIfEEEEZZNS1_33reduce_by_key_impl_wrapped_configILNS1_25lookback_scan_determinismE1ES3_S9_NS6_6detail15normal_iteratorINS6_10device_ptrIfEEEESG_SG_SG_PmS8_NS6_8equal_toIfEEEE10hipError_tPvRmT2_T3_mT4_T5_T6_T7_T8_P12ihipStream_tbENKUlT_T0_E_clISt17integral_constantIbLb1EES10_IbLb0EEEEDaSW_SX_EUlSW_E_NS1_11comp_targetILNS1_3genE10ELNS1_11target_archE1200ELNS1_3gpuE4ELNS1_3repE0EEENS1_30default_config_static_selectorELNS0_4arch9wavefront6targetE1EEEvT1_
                                        ; -- End function
	.section	.AMDGPU.csdata,"",@progbits
; Kernel info:
; codeLenInByte = 0
; NumSgprs: 4
; NumVgprs: 0
; NumAgprs: 0
; TotalNumVgprs: 0
; ScratchSize: 0
; MemoryBound: 0
; FloatMode: 240
; IeeeMode: 1
; LDSByteSize: 0 bytes/workgroup (compile time only)
; SGPRBlocks: 0
; VGPRBlocks: 0
; NumSGPRsForWavesPerEU: 4
; NumVGPRsForWavesPerEU: 1
; AccumOffset: 4
; Occupancy: 8
; WaveLimiterHint : 0
; COMPUTE_PGM_RSRC2:SCRATCH_EN: 0
; COMPUTE_PGM_RSRC2:USER_SGPR: 6
; COMPUTE_PGM_RSRC2:TRAP_HANDLER: 0
; COMPUTE_PGM_RSRC2:TGID_X_EN: 1
; COMPUTE_PGM_RSRC2:TGID_Y_EN: 0
; COMPUTE_PGM_RSRC2:TGID_Z_EN: 0
; COMPUTE_PGM_RSRC2:TIDIG_COMP_CNT: 0
; COMPUTE_PGM_RSRC3_GFX90A:ACCUM_OFFSET: 0
; COMPUTE_PGM_RSRC3_GFX90A:TG_SPLIT: 0
	.section	.text._ZN7rocprim17ROCPRIM_400000_NS6detail17trampoline_kernelINS0_14default_configENS1_29reduce_by_key_config_selectorIffN6thrust23THRUST_200600_302600_NS4plusIfEEEEZZNS1_33reduce_by_key_impl_wrapped_configILNS1_25lookback_scan_determinismE1ES3_S9_NS6_6detail15normal_iteratorINS6_10device_ptrIfEEEESG_SG_SG_PmS8_NS6_8equal_toIfEEEE10hipError_tPvRmT2_T3_mT4_T5_T6_T7_T8_P12ihipStream_tbENKUlT_T0_E_clISt17integral_constantIbLb1EES10_IbLb0EEEEDaSW_SX_EUlSW_E_NS1_11comp_targetILNS1_3genE9ELNS1_11target_archE1100ELNS1_3gpuE3ELNS1_3repE0EEENS1_30default_config_static_selectorELNS0_4arch9wavefront6targetE1EEEvT1_,"axG",@progbits,_ZN7rocprim17ROCPRIM_400000_NS6detail17trampoline_kernelINS0_14default_configENS1_29reduce_by_key_config_selectorIffN6thrust23THRUST_200600_302600_NS4plusIfEEEEZZNS1_33reduce_by_key_impl_wrapped_configILNS1_25lookback_scan_determinismE1ES3_S9_NS6_6detail15normal_iteratorINS6_10device_ptrIfEEEESG_SG_SG_PmS8_NS6_8equal_toIfEEEE10hipError_tPvRmT2_T3_mT4_T5_T6_T7_T8_P12ihipStream_tbENKUlT_T0_E_clISt17integral_constantIbLb1EES10_IbLb0EEEEDaSW_SX_EUlSW_E_NS1_11comp_targetILNS1_3genE9ELNS1_11target_archE1100ELNS1_3gpuE3ELNS1_3repE0EEENS1_30default_config_static_selectorELNS0_4arch9wavefront6targetE1EEEvT1_,comdat
	.protected	_ZN7rocprim17ROCPRIM_400000_NS6detail17trampoline_kernelINS0_14default_configENS1_29reduce_by_key_config_selectorIffN6thrust23THRUST_200600_302600_NS4plusIfEEEEZZNS1_33reduce_by_key_impl_wrapped_configILNS1_25lookback_scan_determinismE1ES3_S9_NS6_6detail15normal_iteratorINS6_10device_ptrIfEEEESG_SG_SG_PmS8_NS6_8equal_toIfEEEE10hipError_tPvRmT2_T3_mT4_T5_T6_T7_T8_P12ihipStream_tbENKUlT_T0_E_clISt17integral_constantIbLb1EES10_IbLb0EEEEDaSW_SX_EUlSW_E_NS1_11comp_targetILNS1_3genE9ELNS1_11target_archE1100ELNS1_3gpuE3ELNS1_3repE0EEENS1_30default_config_static_selectorELNS0_4arch9wavefront6targetE1EEEvT1_ ; -- Begin function _ZN7rocprim17ROCPRIM_400000_NS6detail17trampoline_kernelINS0_14default_configENS1_29reduce_by_key_config_selectorIffN6thrust23THRUST_200600_302600_NS4plusIfEEEEZZNS1_33reduce_by_key_impl_wrapped_configILNS1_25lookback_scan_determinismE1ES3_S9_NS6_6detail15normal_iteratorINS6_10device_ptrIfEEEESG_SG_SG_PmS8_NS6_8equal_toIfEEEE10hipError_tPvRmT2_T3_mT4_T5_T6_T7_T8_P12ihipStream_tbENKUlT_T0_E_clISt17integral_constantIbLb1EES10_IbLb0EEEEDaSW_SX_EUlSW_E_NS1_11comp_targetILNS1_3genE9ELNS1_11target_archE1100ELNS1_3gpuE3ELNS1_3repE0EEENS1_30default_config_static_selectorELNS0_4arch9wavefront6targetE1EEEvT1_
	.globl	_ZN7rocprim17ROCPRIM_400000_NS6detail17trampoline_kernelINS0_14default_configENS1_29reduce_by_key_config_selectorIffN6thrust23THRUST_200600_302600_NS4plusIfEEEEZZNS1_33reduce_by_key_impl_wrapped_configILNS1_25lookback_scan_determinismE1ES3_S9_NS6_6detail15normal_iteratorINS6_10device_ptrIfEEEESG_SG_SG_PmS8_NS6_8equal_toIfEEEE10hipError_tPvRmT2_T3_mT4_T5_T6_T7_T8_P12ihipStream_tbENKUlT_T0_E_clISt17integral_constantIbLb1EES10_IbLb0EEEEDaSW_SX_EUlSW_E_NS1_11comp_targetILNS1_3genE9ELNS1_11target_archE1100ELNS1_3gpuE3ELNS1_3repE0EEENS1_30default_config_static_selectorELNS0_4arch9wavefront6targetE1EEEvT1_
	.p2align	8
	.type	_ZN7rocprim17ROCPRIM_400000_NS6detail17trampoline_kernelINS0_14default_configENS1_29reduce_by_key_config_selectorIffN6thrust23THRUST_200600_302600_NS4plusIfEEEEZZNS1_33reduce_by_key_impl_wrapped_configILNS1_25lookback_scan_determinismE1ES3_S9_NS6_6detail15normal_iteratorINS6_10device_ptrIfEEEESG_SG_SG_PmS8_NS6_8equal_toIfEEEE10hipError_tPvRmT2_T3_mT4_T5_T6_T7_T8_P12ihipStream_tbENKUlT_T0_E_clISt17integral_constantIbLb1EES10_IbLb0EEEEDaSW_SX_EUlSW_E_NS1_11comp_targetILNS1_3genE9ELNS1_11target_archE1100ELNS1_3gpuE3ELNS1_3repE0EEENS1_30default_config_static_selectorELNS0_4arch9wavefront6targetE1EEEvT1_,@function
_ZN7rocprim17ROCPRIM_400000_NS6detail17trampoline_kernelINS0_14default_configENS1_29reduce_by_key_config_selectorIffN6thrust23THRUST_200600_302600_NS4plusIfEEEEZZNS1_33reduce_by_key_impl_wrapped_configILNS1_25lookback_scan_determinismE1ES3_S9_NS6_6detail15normal_iteratorINS6_10device_ptrIfEEEESG_SG_SG_PmS8_NS6_8equal_toIfEEEE10hipError_tPvRmT2_T3_mT4_T5_T6_T7_T8_P12ihipStream_tbENKUlT_T0_E_clISt17integral_constantIbLb1EES10_IbLb0EEEEDaSW_SX_EUlSW_E_NS1_11comp_targetILNS1_3genE9ELNS1_11target_archE1100ELNS1_3gpuE3ELNS1_3repE0EEENS1_30default_config_static_selectorELNS0_4arch9wavefront6targetE1EEEvT1_: ; @_ZN7rocprim17ROCPRIM_400000_NS6detail17trampoline_kernelINS0_14default_configENS1_29reduce_by_key_config_selectorIffN6thrust23THRUST_200600_302600_NS4plusIfEEEEZZNS1_33reduce_by_key_impl_wrapped_configILNS1_25lookback_scan_determinismE1ES3_S9_NS6_6detail15normal_iteratorINS6_10device_ptrIfEEEESG_SG_SG_PmS8_NS6_8equal_toIfEEEE10hipError_tPvRmT2_T3_mT4_T5_T6_T7_T8_P12ihipStream_tbENKUlT_T0_E_clISt17integral_constantIbLb1EES10_IbLb0EEEEDaSW_SX_EUlSW_E_NS1_11comp_targetILNS1_3genE9ELNS1_11target_archE1100ELNS1_3gpuE3ELNS1_3repE0EEENS1_30default_config_static_selectorELNS0_4arch9wavefront6targetE1EEEvT1_
; %bb.0:
	.section	.rodata,"a",@progbits
	.p2align	6, 0x0
	.amdhsa_kernel _ZN7rocprim17ROCPRIM_400000_NS6detail17trampoline_kernelINS0_14default_configENS1_29reduce_by_key_config_selectorIffN6thrust23THRUST_200600_302600_NS4plusIfEEEEZZNS1_33reduce_by_key_impl_wrapped_configILNS1_25lookback_scan_determinismE1ES3_S9_NS6_6detail15normal_iteratorINS6_10device_ptrIfEEEESG_SG_SG_PmS8_NS6_8equal_toIfEEEE10hipError_tPvRmT2_T3_mT4_T5_T6_T7_T8_P12ihipStream_tbENKUlT_T0_E_clISt17integral_constantIbLb1EES10_IbLb0EEEEDaSW_SX_EUlSW_E_NS1_11comp_targetILNS1_3genE9ELNS1_11target_archE1100ELNS1_3gpuE3ELNS1_3repE0EEENS1_30default_config_static_selectorELNS0_4arch9wavefront6targetE1EEEvT1_
		.amdhsa_group_segment_fixed_size 0
		.amdhsa_private_segment_fixed_size 0
		.amdhsa_kernarg_size 120
		.amdhsa_user_sgpr_count 6
		.amdhsa_user_sgpr_private_segment_buffer 1
		.amdhsa_user_sgpr_dispatch_ptr 0
		.amdhsa_user_sgpr_queue_ptr 0
		.amdhsa_user_sgpr_kernarg_segment_ptr 1
		.amdhsa_user_sgpr_dispatch_id 0
		.amdhsa_user_sgpr_flat_scratch_init 0
		.amdhsa_user_sgpr_kernarg_preload_length 0
		.amdhsa_user_sgpr_kernarg_preload_offset 0
		.amdhsa_user_sgpr_private_segment_size 0
		.amdhsa_uses_dynamic_stack 0
		.amdhsa_system_sgpr_private_segment_wavefront_offset 0
		.amdhsa_system_sgpr_workgroup_id_x 1
		.amdhsa_system_sgpr_workgroup_id_y 0
		.amdhsa_system_sgpr_workgroup_id_z 0
		.amdhsa_system_sgpr_workgroup_info 0
		.amdhsa_system_vgpr_workitem_id 0
		.amdhsa_next_free_vgpr 1
		.amdhsa_next_free_sgpr 0
		.amdhsa_accum_offset 4
		.amdhsa_reserve_vcc 0
		.amdhsa_reserve_flat_scratch 0
		.amdhsa_float_round_mode_32 0
		.amdhsa_float_round_mode_16_64 0
		.amdhsa_float_denorm_mode_32 3
		.amdhsa_float_denorm_mode_16_64 3
		.amdhsa_dx10_clamp 1
		.amdhsa_ieee_mode 1
		.amdhsa_fp16_overflow 0
		.amdhsa_tg_split 0
		.amdhsa_exception_fp_ieee_invalid_op 0
		.amdhsa_exception_fp_denorm_src 0
		.amdhsa_exception_fp_ieee_div_zero 0
		.amdhsa_exception_fp_ieee_overflow 0
		.amdhsa_exception_fp_ieee_underflow 0
		.amdhsa_exception_fp_ieee_inexact 0
		.amdhsa_exception_int_div_zero 0
	.end_amdhsa_kernel
	.section	.text._ZN7rocprim17ROCPRIM_400000_NS6detail17trampoline_kernelINS0_14default_configENS1_29reduce_by_key_config_selectorIffN6thrust23THRUST_200600_302600_NS4plusIfEEEEZZNS1_33reduce_by_key_impl_wrapped_configILNS1_25lookback_scan_determinismE1ES3_S9_NS6_6detail15normal_iteratorINS6_10device_ptrIfEEEESG_SG_SG_PmS8_NS6_8equal_toIfEEEE10hipError_tPvRmT2_T3_mT4_T5_T6_T7_T8_P12ihipStream_tbENKUlT_T0_E_clISt17integral_constantIbLb1EES10_IbLb0EEEEDaSW_SX_EUlSW_E_NS1_11comp_targetILNS1_3genE9ELNS1_11target_archE1100ELNS1_3gpuE3ELNS1_3repE0EEENS1_30default_config_static_selectorELNS0_4arch9wavefront6targetE1EEEvT1_,"axG",@progbits,_ZN7rocprim17ROCPRIM_400000_NS6detail17trampoline_kernelINS0_14default_configENS1_29reduce_by_key_config_selectorIffN6thrust23THRUST_200600_302600_NS4plusIfEEEEZZNS1_33reduce_by_key_impl_wrapped_configILNS1_25lookback_scan_determinismE1ES3_S9_NS6_6detail15normal_iteratorINS6_10device_ptrIfEEEESG_SG_SG_PmS8_NS6_8equal_toIfEEEE10hipError_tPvRmT2_T3_mT4_T5_T6_T7_T8_P12ihipStream_tbENKUlT_T0_E_clISt17integral_constantIbLb1EES10_IbLb0EEEEDaSW_SX_EUlSW_E_NS1_11comp_targetILNS1_3genE9ELNS1_11target_archE1100ELNS1_3gpuE3ELNS1_3repE0EEENS1_30default_config_static_selectorELNS0_4arch9wavefront6targetE1EEEvT1_,comdat
.Lfunc_end116:
	.size	_ZN7rocprim17ROCPRIM_400000_NS6detail17trampoline_kernelINS0_14default_configENS1_29reduce_by_key_config_selectorIffN6thrust23THRUST_200600_302600_NS4plusIfEEEEZZNS1_33reduce_by_key_impl_wrapped_configILNS1_25lookback_scan_determinismE1ES3_S9_NS6_6detail15normal_iteratorINS6_10device_ptrIfEEEESG_SG_SG_PmS8_NS6_8equal_toIfEEEE10hipError_tPvRmT2_T3_mT4_T5_T6_T7_T8_P12ihipStream_tbENKUlT_T0_E_clISt17integral_constantIbLb1EES10_IbLb0EEEEDaSW_SX_EUlSW_E_NS1_11comp_targetILNS1_3genE9ELNS1_11target_archE1100ELNS1_3gpuE3ELNS1_3repE0EEENS1_30default_config_static_selectorELNS0_4arch9wavefront6targetE1EEEvT1_, .Lfunc_end116-_ZN7rocprim17ROCPRIM_400000_NS6detail17trampoline_kernelINS0_14default_configENS1_29reduce_by_key_config_selectorIffN6thrust23THRUST_200600_302600_NS4plusIfEEEEZZNS1_33reduce_by_key_impl_wrapped_configILNS1_25lookback_scan_determinismE1ES3_S9_NS6_6detail15normal_iteratorINS6_10device_ptrIfEEEESG_SG_SG_PmS8_NS6_8equal_toIfEEEE10hipError_tPvRmT2_T3_mT4_T5_T6_T7_T8_P12ihipStream_tbENKUlT_T0_E_clISt17integral_constantIbLb1EES10_IbLb0EEEEDaSW_SX_EUlSW_E_NS1_11comp_targetILNS1_3genE9ELNS1_11target_archE1100ELNS1_3gpuE3ELNS1_3repE0EEENS1_30default_config_static_selectorELNS0_4arch9wavefront6targetE1EEEvT1_
                                        ; -- End function
	.section	.AMDGPU.csdata,"",@progbits
; Kernel info:
; codeLenInByte = 0
; NumSgprs: 4
; NumVgprs: 0
; NumAgprs: 0
; TotalNumVgprs: 0
; ScratchSize: 0
; MemoryBound: 0
; FloatMode: 240
; IeeeMode: 1
; LDSByteSize: 0 bytes/workgroup (compile time only)
; SGPRBlocks: 0
; VGPRBlocks: 0
; NumSGPRsForWavesPerEU: 4
; NumVGPRsForWavesPerEU: 1
; AccumOffset: 4
; Occupancy: 8
; WaveLimiterHint : 0
; COMPUTE_PGM_RSRC2:SCRATCH_EN: 0
; COMPUTE_PGM_RSRC2:USER_SGPR: 6
; COMPUTE_PGM_RSRC2:TRAP_HANDLER: 0
; COMPUTE_PGM_RSRC2:TGID_X_EN: 1
; COMPUTE_PGM_RSRC2:TGID_Y_EN: 0
; COMPUTE_PGM_RSRC2:TGID_Z_EN: 0
; COMPUTE_PGM_RSRC2:TIDIG_COMP_CNT: 0
; COMPUTE_PGM_RSRC3_GFX90A:ACCUM_OFFSET: 0
; COMPUTE_PGM_RSRC3_GFX90A:TG_SPLIT: 0
	.section	.text._ZN7rocprim17ROCPRIM_400000_NS6detail17trampoline_kernelINS0_14default_configENS1_29reduce_by_key_config_selectorIffN6thrust23THRUST_200600_302600_NS4plusIfEEEEZZNS1_33reduce_by_key_impl_wrapped_configILNS1_25lookback_scan_determinismE1ES3_S9_NS6_6detail15normal_iteratorINS6_10device_ptrIfEEEESG_SG_SG_PmS8_NS6_8equal_toIfEEEE10hipError_tPvRmT2_T3_mT4_T5_T6_T7_T8_P12ihipStream_tbENKUlT_T0_E_clISt17integral_constantIbLb1EES10_IbLb0EEEEDaSW_SX_EUlSW_E_NS1_11comp_targetILNS1_3genE8ELNS1_11target_archE1030ELNS1_3gpuE2ELNS1_3repE0EEENS1_30default_config_static_selectorELNS0_4arch9wavefront6targetE1EEEvT1_,"axG",@progbits,_ZN7rocprim17ROCPRIM_400000_NS6detail17trampoline_kernelINS0_14default_configENS1_29reduce_by_key_config_selectorIffN6thrust23THRUST_200600_302600_NS4plusIfEEEEZZNS1_33reduce_by_key_impl_wrapped_configILNS1_25lookback_scan_determinismE1ES3_S9_NS6_6detail15normal_iteratorINS6_10device_ptrIfEEEESG_SG_SG_PmS8_NS6_8equal_toIfEEEE10hipError_tPvRmT2_T3_mT4_T5_T6_T7_T8_P12ihipStream_tbENKUlT_T0_E_clISt17integral_constantIbLb1EES10_IbLb0EEEEDaSW_SX_EUlSW_E_NS1_11comp_targetILNS1_3genE8ELNS1_11target_archE1030ELNS1_3gpuE2ELNS1_3repE0EEENS1_30default_config_static_selectorELNS0_4arch9wavefront6targetE1EEEvT1_,comdat
	.protected	_ZN7rocprim17ROCPRIM_400000_NS6detail17trampoline_kernelINS0_14default_configENS1_29reduce_by_key_config_selectorIffN6thrust23THRUST_200600_302600_NS4plusIfEEEEZZNS1_33reduce_by_key_impl_wrapped_configILNS1_25lookback_scan_determinismE1ES3_S9_NS6_6detail15normal_iteratorINS6_10device_ptrIfEEEESG_SG_SG_PmS8_NS6_8equal_toIfEEEE10hipError_tPvRmT2_T3_mT4_T5_T6_T7_T8_P12ihipStream_tbENKUlT_T0_E_clISt17integral_constantIbLb1EES10_IbLb0EEEEDaSW_SX_EUlSW_E_NS1_11comp_targetILNS1_3genE8ELNS1_11target_archE1030ELNS1_3gpuE2ELNS1_3repE0EEENS1_30default_config_static_selectorELNS0_4arch9wavefront6targetE1EEEvT1_ ; -- Begin function _ZN7rocprim17ROCPRIM_400000_NS6detail17trampoline_kernelINS0_14default_configENS1_29reduce_by_key_config_selectorIffN6thrust23THRUST_200600_302600_NS4plusIfEEEEZZNS1_33reduce_by_key_impl_wrapped_configILNS1_25lookback_scan_determinismE1ES3_S9_NS6_6detail15normal_iteratorINS6_10device_ptrIfEEEESG_SG_SG_PmS8_NS6_8equal_toIfEEEE10hipError_tPvRmT2_T3_mT4_T5_T6_T7_T8_P12ihipStream_tbENKUlT_T0_E_clISt17integral_constantIbLb1EES10_IbLb0EEEEDaSW_SX_EUlSW_E_NS1_11comp_targetILNS1_3genE8ELNS1_11target_archE1030ELNS1_3gpuE2ELNS1_3repE0EEENS1_30default_config_static_selectorELNS0_4arch9wavefront6targetE1EEEvT1_
	.globl	_ZN7rocprim17ROCPRIM_400000_NS6detail17trampoline_kernelINS0_14default_configENS1_29reduce_by_key_config_selectorIffN6thrust23THRUST_200600_302600_NS4plusIfEEEEZZNS1_33reduce_by_key_impl_wrapped_configILNS1_25lookback_scan_determinismE1ES3_S9_NS6_6detail15normal_iteratorINS6_10device_ptrIfEEEESG_SG_SG_PmS8_NS6_8equal_toIfEEEE10hipError_tPvRmT2_T3_mT4_T5_T6_T7_T8_P12ihipStream_tbENKUlT_T0_E_clISt17integral_constantIbLb1EES10_IbLb0EEEEDaSW_SX_EUlSW_E_NS1_11comp_targetILNS1_3genE8ELNS1_11target_archE1030ELNS1_3gpuE2ELNS1_3repE0EEENS1_30default_config_static_selectorELNS0_4arch9wavefront6targetE1EEEvT1_
	.p2align	8
	.type	_ZN7rocprim17ROCPRIM_400000_NS6detail17trampoline_kernelINS0_14default_configENS1_29reduce_by_key_config_selectorIffN6thrust23THRUST_200600_302600_NS4plusIfEEEEZZNS1_33reduce_by_key_impl_wrapped_configILNS1_25lookback_scan_determinismE1ES3_S9_NS6_6detail15normal_iteratorINS6_10device_ptrIfEEEESG_SG_SG_PmS8_NS6_8equal_toIfEEEE10hipError_tPvRmT2_T3_mT4_T5_T6_T7_T8_P12ihipStream_tbENKUlT_T0_E_clISt17integral_constantIbLb1EES10_IbLb0EEEEDaSW_SX_EUlSW_E_NS1_11comp_targetILNS1_3genE8ELNS1_11target_archE1030ELNS1_3gpuE2ELNS1_3repE0EEENS1_30default_config_static_selectorELNS0_4arch9wavefront6targetE1EEEvT1_,@function
_ZN7rocprim17ROCPRIM_400000_NS6detail17trampoline_kernelINS0_14default_configENS1_29reduce_by_key_config_selectorIffN6thrust23THRUST_200600_302600_NS4plusIfEEEEZZNS1_33reduce_by_key_impl_wrapped_configILNS1_25lookback_scan_determinismE1ES3_S9_NS6_6detail15normal_iteratorINS6_10device_ptrIfEEEESG_SG_SG_PmS8_NS6_8equal_toIfEEEE10hipError_tPvRmT2_T3_mT4_T5_T6_T7_T8_P12ihipStream_tbENKUlT_T0_E_clISt17integral_constantIbLb1EES10_IbLb0EEEEDaSW_SX_EUlSW_E_NS1_11comp_targetILNS1_3genE8ELNS1_11target_archE1030ELNS1_3gpuE2ELNS1_3repE0EEENS1_30default_config_static_selectorELNS0_4arch9wavefront6targetE1EEEvT1_: ; @_ZN7rocprim17ROCPRIM_400000_NS6detail17trampoline_kernelINS0_14default_configENS1_29reduce_by_key_config_selectorIffN6thrust23THRUST_200600_302600_NS4plusIfEEEEZZNS1_33reduce_by_key_impl_wrapped_configILNS1_25lookback_scan_determinismE1ES3_S9_NS6_6detail15normal_iteratorINS6_10device_ptrIfEEEESG_SG_SG_PmS8_NS6_8equal_toIfEEEE10hipError_tPvRmT2_T3_mT4_T5_T6_T7_T8_P12ihipStream_tbENKUlT_T0_E_clISt17integral_constantIbLb1EES10_IbLb0EEEEDaSW_SX_EUlSW_E_NS1_11comp_targetILNS1_3genE8ELNS1_11target_archE1030ELNS1_3gpuE2ELNS1_3repE0EEENS1_30default_config_static_selectorELNS0_4arch9wavefront6targetE1EEEvT1_
; %bb.0:
	.section	.rodata,"a",@progbits
	.p2align	6, 0x0
	.amdhsa_kernel _ZN7rocprim17ROCPRIM_400000_NS6detail17trampoline_kernelINS0_14default_configENS1_29reduce_by_key_config_selectorIffN6thrust23THRUST_200600_302600_NS4plusIfEEEEZZNS1_33reduce_by_key_impl_wrapped_configILNS1_25lookback_scan_determinismE1ES3_S9_NS6_6detail15normal_iteratorINS6_10device_ptrIfEEEESG_SG_SG_PmS8_NS6_8equal_toIfEEEE10hipError_tPvRmT2_T3_mT4_T5_T6_T7_T8_P12ihipStream_tbENKUlT_T0_E_clISt17integral_constantIbLb1EES10_IbLb0EEEEDaSW_SX_EUlSW_E_NS1_11comp_targetILNS1_3genE8ELNS1_11target_archE1030ELNS1_3gpuE2ELNS1_3repE0EEENS1_30default_config_static_selectorELNS0_4arch9wavefront6targetE1EEEvT1_
		.amdhsa_group_segment_fixed_size 0
		.amdhsa_private_segment_fixed_size 0
		.amdhsa_kernarg_size 120
		.amdhsa_user_sgpr_count 6
		.amdhsa_user_sgpr_private_segment_buffer 1
		.amdhsa_user_sgpr_dispatch_ptr 0
		.amdhsa_user_sgpr_queue_ptr 0
		.amdhsa_user_sgpr_kernarg_segment_ptr 1
		.amdhsa_user_sgpr_dispatch_id 0
		.amdhsa_user_sgpr_flat_scratch_init 0
		.amdhsa_user_sgpr_kernarg_preload_length 0
		.amdhsa_user_sgpr_kernarg_preload_offset 0
		.amdhsa_user_sgpr_private_segment_size 0
		.amdhsa_uses_dynamic_stack 0
		.amdhsa_system_sgpr_private_segment_wavefront_offset 0
		.amdhsa_system_sgpr_workgroup_id_x 1
		.amdhsa_system_sgpr_workgroup_id_y 0
		.amdhsa_system_sgpr_workgroup_id_z 0
		.amdhsa_system_sgpr_workgroup_info 0
		.amdhsa_system_vgpr_workitem_id 0
		.amdhsa_next_free_vgpr 1
		.amdhsa_next_free_sgpr 0
		.amdhsa_accum_offset 4
		.amdhsa_reserve_vcc 0
		.amdhsa_reserve_flat_scratch 0
		.amdhsa_float_round_mode_32 0
		.amdhsa_float_round_mode_16_64 0
		.amdhsa_float_denorm_mode_32 3
		.amdhsa_float_denorm_mode_16_64 3
		.amdhsa_dx10_clamp 1
		.amdhsa_ieee_mode 1
		.amdhsa_fp16_overflow 0
		.amdhsa_tg_split 0
		.amdhsa_exception_fp_ieee_invalid_op 0
		.amdhsa_exception_fp_denorm_src 0
		.amdhsa_exception_fp_ieee_div_zero 0
		.amdhsa_exception_fp_ieee_overflow 0
		.amdhsa_exception_fp_ieee_underflow 0
		.amdhsa_exception_fp_ieee_inexact 0
		.amdhsa_exception_int_div_zero 0
	.end_amdhsa_kernel
	.section	.text._ZN7rocprim17ROCPRIM_400000_NS6detail17trampoline_kernelINS0_14default_configENS1_29reduce_by_key_config_selectorIffN6thrust23THRUST_200600_302600_NS4plusIfEEEEZZNS1_33reduce_by_key_impl_wrapped_configILNS1_25lookback_scan_determinismE1ES3_S9_NS6_6detail15normal_iteratorINS6_10device_ptrIfEEEESG_SG_SG_PmS8_NS6_8equal_toIfEEEE10hipError_tPvRmT2_T3_mT4_T5_T6_T7_T8_P12ihipStream_tbENKUlT_T0_E_clISt17integral_constantIbLb1EES10_IbLb0EEEEDaSW_SX_EUlSW_E_NS1_11comp_targetILNS1_3genE8ELNS1_11target_archE1030ELNS1_3gpuE2ELNS1_3repE0EEENS1_30default_config_static_selectorELNS0_4arch9wavefront6targetE1EEEvT1_,"axG",@progbits,_ZN7rocprim17ROCPRIM_400000_NS6detail17trampoline_kernelINS0_14default_configENS1_29reduce_by_key_config_selectorIffN6thrust23THRUST_200600_302600_NS4plusIfEEEEZZNS1_33reduce_by_key_impl_wrapped_configILNS1_25lookback_scan_determinismE1ES3_S9_NS6_6detail15normal_iteratorINS6_10device_ptrIfEEEESG_SG_SG_PmS8_NS6_8equal_toIfEEEE10hipError_tPvRmT2_T3_mT4_T5_T6_T7_T8_P12ihipStream_tbENKUlT_T0_E_clISt17integral_constantIbLb1EES10_IbLb0EEEEDaSW_SX_EUlSW_E_NS1_11comp_targetILNS1_3genE8ELNS1_11target_archE1030ELNS1_3gpuE2ELNS1_3repE0EEENS1_30default_config_static_selectorELNS0_4arch9wavefront6targetE1EEEvT1_,comdat
.Lfunc_end117:
	.size	_ZN7rocprim17ROCPRIM_400000_NS6detail17trampoline_kernelINS0_14default_configENS1_29reduce_by_key_config_selectorIffN6thrust23THRUST_200600_302600_NS4plusIfEEEEZZNS1_33reduce_by_key_impl_wrapped_configILNS1_25lookback_scan_determinismE1ES3_S9_NS6_6detail15normal_iteratorINS6_10device_ptrIfEEEESG_SG_SG_PmS8_NS6_8equal_toIfEEEE10hipError_tPvRmT2_T3_mT4_T5_T6_T7_T8_P12ihipStream_tbENKUlT_T0_E_clISt17integral_constantIbLb1EES10_IbLb0EEEEDaSW_SX_EUlSW_E_NS1_11comp_targetILNS1_3genE8ELNS1_11target_archE1030ELNS1_3gpuE2ELNS1_3repE0EEENS1_30default_config_static_selectorELNS0_4arch9wavefront6targetE1EEEvT1_, .Lfunc_end117-_ZN7rocprim17ROCPRIM_400000_NS6detail17trampoline_kernelINS0_14default_configENS1_29reduce_by_key_config_selectorIffN6thrust23THRUST_200600_302600_NS4plusIfEEEEZZNS1_33reduce_by_key_impl_wrapped_configILNS1_25lookback_scan_determinismE1ES3_S9_NS6_6detail15normal_iteratorINS6_10device_ptrIfEEEESG_SG_SG_PmS8_NS6_8equal_toIfEEEE10hipError_tPvRmT2_T3_mT4_T5_T6_T7_T8_P12ihipStream_tbENKUlT_T0_E_clISt17integral_constantIbLb1EES10_IbLb0EEEEDaSW_SX_EUlSW_E_NS1_11comp_targetILNS1_3genE8ELNS1_11target_archE1030ELNS1_3gpuE2ELNS1_3repE0EEENS1_30default_config_static_selectorELNS0_4arch9wavefront6targetE1EEEvT1_
                                        ; -- End function
	.section	.AMDGPU.csdata,"",@progbits
; Kernel info:
; codeLenInByte = 0
; NumSgprs: 4
; NumVgprs: 0
; NumAgprs: 0
; TotalNumVgprs: 0
; ScratchSize: 0
; MemoryBound: 0
; FloatMode: 240
; IeeeMode: 1
; LDSByteSize: 0 bytes/workgroup (compile time only)
; SGPRBlocks: 0
; VGPRBlocks: 0
; NumSGPRsForWavesPerEU: 4
; NumVGPRsForWavesPerEU: 1
; AccumOffset: 4
; Occupancy: 8
; WaveLimiterHint : 0
; COMPUTE_PGM_RSRC2:SCRATCH_EN: 0
; COMPUTE_PGM_RSRC2:USER_SGPR: 6
; COMPUTE_PGM_RSRC2:TRAP_HANDLER: 0
; COMPUTE_PGM_RSRC2:TGID_X_EN: 1
; COMPUTE_PGM_RSRC2:TGID_Y_EN: 0
; COMPUTE_PGM_RSRC2:TGID_Z_EN: 0
; COMPUTE_PGM_RSRC2:TIDIG_COMP_CNT: 0
; COMPUTE_PGM_RSRC3_GFX90A:ACCUM_OFFSET: 0
; COMPUTE_PGM_RSRC3_GFX90A:TG_SPLIT: 0
	.section	.text._ZN7rocprim17ROCPRIM_400000_NS6detail25reduce_by_key_init_kernelINS1_19lookback_scan_stateINS0_5tupleIJjfEEELb0ELb1EEEfNS1_16block_id_wrapperIjLb1EEEEEvT_jbjPmPT0_T1_,"axG",@progbits,_ZN7rocprim17ROCPRIM_400000_NS6detail25reduce_by_key_init_kernelINS1_19lookback_scan_stateINS0_5tupleIJjfEEELb0ELb1EEEfNS1_16block_id_wrapperIjLb1EEEEEvT_jbjPmPT0_T1_,comdat
	.protected	_ZN7rocprim17ROCPRIM_400000_NS6detail25reduce_by_key_init_kernelINS1_19lookback_scan_stateINS0_5tupleIJjfEEELb0ELb1EEEfNS1_16block_id_wrapperIjLb1EEEEEvT_jbjPmPT0_T1_ ; -- Begin function _ZN7rocprim17ROCPRIM_400000_NS6detail25reduce_by_key_init_kernelINS1_19lookback_scan_stateINS0_5tupleIJjfEEELb0ELb1EEEfNS1_16block_id_wrapperIjLb1EEEEEvT_jbjPmPT0_T1_
	.globl	_ZN7rocprim17ROCPRIM_400000_NS6detail25reduce_by_key_init_kernelINS1_19lookback_scan_stateINS0_5tupleIJjfEEELb0ELb1EEEfNS1_16block_id_wrapperIjLb1EEEEEvT_jbjPmPT0_T1_
	.p2align	8
	.type	_ZN7rocprim17ROCPRIM_400000_NS6detail25reduce_by_key_init_kernelINS1_19lookback_scan_stateINS0_5tupleIJjfEEELb0ELb1EEEfNS1_16block_id_wrapperIjLb1EEEEEvT_jbjPmPT0_T1_,@function
_ZN7rocprim17ROCPRIM_400000_NS6detail25reduce_by_key_init_kernelINS1_19lookback_scan_stateINS0_5tupleIJjfEEELb0ELb1EEEfNS1_16block_id_wrapperIjLb1EEEEEvT_jbjPmPT0_T1_: ; @_ZN7rocprim17ROCPRIM_400000_NS6detail25reduce_by_key_init_kernelINS1_19lookback_scan_stateINS0_5tupleIJjfEEELb0ELb1EEEfNS1_16block_id_wrapperIjLb1EEEEEvT_jbjPmPT0_T1_
; %bb.0:
	s_load_dwordx8 s[8:15], s[4:5], 0x8
	s_load_dword s0, s[4:5], 0x3c
	s_load_dwordx2 s[16:17], s[4:5], 0x28
	s_load_dwordx2 s[2:3], s[4:5], 0x0
	s_waitcnt lgkmcnt(0)
	s_and_b32 s1, s9, 1
	s_and_b32 s0, s0, 0xffff
	s_mul_i32 s6, s6, s0
	s_cmp_eq_u32 s1, 0
	v_add_u32_e32 v0, s6, v0
	s_mov_b64 s[0:1], -1
	s_cbranch_scc1 .LBB118_6
; %bb.1:
	s_andn2_b64 vcc, exec, s[0:1]
	v_cmp_eq_u32_e64 s[0:1], 0, v0
	s_cbranch_vccz .LBB118_13
.LBB118_2:
	v_cmp_eq_u32_e32 vcc, 0, v0
	s_and_saveexec_b64 s[0:1], vcc
	s_cbranch_execnz .LBB118_16
.LBB118_3:
	s_or_b64 exec, exec, s[0:1]
	v_cmp_gt_u32_e32 vcc, s8, v0
	s_and_saveexec_b64 s[0:1], vcc
	s_cbranch_execnz .LBB118_17
.LBB118_4:
	s_or_b64 exec, exec, s[0:1]
	v_cmp_gt_u32_e32 vcc, 64, v0
	s_and_saveexec_b64 s[0:1], vcc
	s_cbranch_execnz .LBB118_18
.LBB118_5:
	s_endpgm
.LBB118_6:
	s_cmp_lt_u32 s10, s8
	s_cselect_b32 s0, s10, 0
	v_cmp_eq_u32_e32 vcc, s0, v0
	s_and_saveexec_b64 s[0:1], vcc
	s_cbranch_execz .LBB118_12
; %bb.7:
	s_add_i32 s4, s10, 64
	s_mov_b32 s5, 0
	s_lshl_b64 s[4:5], s[4:5], 4
	s_add_u32 s6, s2, s4
	s_addc_u32 s7, s3, s5
	v_pk_mov_b32 v[2:3], s[6:7], s[6:7] op_sel:[0,1]
	v_mov_b32_e32 v13, 0
	;;#ASMSTART
	global_load_dwordx4 v[2:5], v[2:3] off glc	
s_waitcnt vmcnt(0)
	;;#ASMEND
	v_and_b32_e32 v12, 0xff, v4
	v_lshrrev_b64 v[10:11], 8, v[2:3]
	v_lshrrev_b64 v[8:9], 16, v[2:3]
	;; [unrolled: 1-line block ×3, first 2 shown]
	s_mov_b64 s[10:11], 0
	v_cmp_eq_u64_e32 vcc, 0, v[12:13]
	s_and_saveexec_b64 s[4:5], vcc
	s_cbranch_execz .LBB118_11
; %bb.8:
	v_pk_mov_b32 v[6:7], s[6:7], s[6:7] op_sel:[0,1]
.LBB118_9:                              ; =>This Inner Loop Header: Depth=1
	;;#ASMSTART
	global_load_dwordx4 v[2:5], v[6:7] off glc	
s_waitcnt vmcnt(0)
	;;#ASMEND
	v_and_b32_e32 v12, 0xff, v4
	v_cmp_ne_u64_e32 vcc, 0, v[12:13]
	s_or_b64 s[10:11], vcc, s[10:11]
	s_andn2_b64 exec, exec, s[10:11]
	s_cbranch_execnz .LBB118_9
; %bb.10:
	s_or_b64 exec, exec, s[10:11]
	v_lshrrev_b64 v[6:7], 24, v[2:3]
	v_lshrrev_b64 v[8:9], 16, v[2:3]
	;; [unrolled: 1-line block ×3, first 2 shown]
.LBB118_11:
	s_or_b64 exec, exec, s[4:5]
	v_mov_b32_e32 v1, 0
	global_load_dwordx2 v[4:5], v1, s[12:13]
	v_lshlrev_b32_e32 v7, 16, v8
	v_lshlrev_b32_e32 v8, 8, v10
	s_mov_b32 s4, 0xc0c0500
	s_mov_b32 s5, 0xff0000
	v_perm_b32 v2, v8, v2, s4
	v_and_or_b32 v2, v7, s5, v2
	v_lshlrev_b32_e32 v6, 24, v6
	s_waitcnt vmcnt(0)
	v_add_co_u32_e32 v2, vcc, v2, v4
	v_addc_co_u32_e32 v5, vcc, 0, v5, vcc
	v_add_co_u32_e32 v4, vcc, v2, v6
	v_addc_co_u32_e32 v5, vcc, 0, v5, vcc
	global_store_dwordx2 v1, v[4:5], s[12:13]
	global_store_dword v1, v3, s[14:15]
.LBB118_12:
	s_or_b64 exec, exec, s[0:1]
	v_cmp_eq_u32_e64 s[0:1], 0, v0
	s_cbranch_execnz .LBB118_2
.LBB118_13:
	s_cmp_lg_u64 s[12:13], 0
	s_cselect_b64 s[4:5], -1, 0
	s_and_b64 s[4:5], s[4:5], s[0:1]
	s_and_saveexec_b64 s[0:1], s[4:5]
	s_cbranch_execz .LBB118_15
; %bb.14:
	v_mov_b32_e32 v2, 0
	v_mov_b32_e32 v3, v2
	global_store_dwordx2 v2, v[2:3], s[12:13]
.LBB118_15:
	s_or_b64 exec, exec, s[0:1]
	v_cmp_eq_u32_e32 vcc, 0, v0
	s_and_saveexec_b64 s[0:1], vcc
	s_cbranch_execz .LBB118_3
.LBB118_16:
	v_mov_b32_e32 v1, 0
	global_store_dword v1, v1, s[16:17]
	s_or_b64 exec, exec, s[0:1]
	v_cmp_gt_u32_e32 vcc, s8, v0
	s_and_saveexec_b64 s[0:1], vcc
	s_cbranch_execz .LBB118_4
.LBB118_17:
	v_add_u32_e32 v2, 64, v0
	v_mov_b32_e32 v3, 0
	v_lshlrev_b64 v[4:5], 4, v[2:3]
	v_mov_b32_e32 v1, s3
	v_add_co_u32_e32 v6, vcc, s2, v4
	v_addc_co_u32_e32 v7, vcc, v1, v5, vcc
	v_mov_b32_e32 v2, v3
	v_mov_b32_e32 v4, v3
	v_mov_b32_e32 v5, v3
	global_store_dwordx4 v[6:7], v[2:5], off
	s_or_b64 exec, exec, s[0:1]
	v_cmp_gt_u32_e32 vcc, 64, v0
	s_and_saveexec_b64 s[0:1], vcc
	s_cbranch_execz .LBB118_5
.LBB118_18:
	v_mov_b32_e32 v1, 0
	v_lshlrev_b64 v[2:3], 4, v[0:1]
	v_mov_b32_e32 v0, s3
	v_add_co_u32_e32 v4, vcc, s2, v2
	v_addc_co_u32_e32 v5, vcc, v0, v3, vcc
	v_mov_b32_e32 v2, 0xff
	v_mov_b32_e32 v0, v1
	;; [unrolled: 1-line block ×3, first 2 shown]
	global_store_dwordx4 v[4:5], v[0:3], off
	s_endpgm
	.section	.rodata,"a",@progbits
	.p2align	6, 0x0
	.amdhsa_kernel _ZN7rocprim17ROCPRIM_400000_NS6detail25reduce_by_key_init_kernelINS1_19lookback_scan_stateINS0_5tupleIJjfEEELb0ELb1EEEfNS1_16block_id_wrapperIjLb1EEEEEvT_jbjPmPT0_T1_
		.amdhsa_group_segment_fixed_size 0
		.amdhsa_private_segment_fixed_size 0
		.amdhsa_kernarg_size 304
		.amdhsa_user_sgpr_count 6
		.amdhsa_user_sgpr_private_segment_buffer 1
		.amdhsa_user_sgpr_dispatch_ptr 0
		.amdhsa_user_sgpr_queue_ptr 0
		.amdhsa_user_sgpr_kernarg_segment_ptr 1
		.amdhsa_user_sgpr_dispatch_id 0
		.amdhsa_user_sgpr_flat_scratch_init 0
		.amdhsa_user_sgpr_kernarg_preload_length 0
		.amdhsa_user_sgpr_kernarg_preload_offset 0
		.amdhsa_user_sgpr_private_segment_size 0
		.amdhsa_uses_dynamic_stack 0
		.amdhsa_system_sgpr_private_segment_wavefront_offset 0
		.amdhsa_system_sgpr_workgroup_id_x 1
		.amdhsa_system_sgpr_workgroup_id_y 0
		.amdhsa_system_sgpr_workgroup_id_z 0
		.amdhsa_system_sgpr_workgroup_info 0
		.amdhsa_system_vgpr_workitem_id 0
		.amdhsa_next_free_vgpr 14
		.amdhsa_next_free_sgpr 18
		.amdhsa_accum_offset 16
		.amdhsa_reserve_vcc 1
		.amdhsa_reserve_flat_scratch 0
		.amdhsa_float_round_mode_32 0
		.amdhsa_float_round_mode_16_64 0
		.amdhsa_float_denorm_mode_32 3
		.amdhsa_float_denorm_mode_16_64 3
		.amdhsa_dx10_clamp 1
		.amdhsa_ieee_mode 1
		.amdhsa_fp16_overflow 0
		.amdhsa_tg_split 0
		.amdhsa_exception_fp_ieee_invalid_op 0
		.amdhsa_exception_fp_denorm_src 0
		.amdhsa_exception_fp_ieee_div_zero 0
		.amdhsa_exception_fp_ieee_overflow 0
		.amdhsa_exception_fp_ieee_underflow 0
		.amdhsa_exception_fp_ieee_inexact 0
		.amdhsa_exception_int_div_zero 0
	.end_amdhsa_kernel
	.section	.text._ZN7rocprim17ROCPRIM_400000_NS6detail25reduce_by_key_init_kernelINS1_19lookback_scan_stateINS0_5tupleIJjfEEELb0ELb1EEEfNS1_16block_id_wrapperIjLb1EEEEEvT_jbjPmPT0_T1_,"axG",@progbits,_ZN7rocprim17ROCPRIM_400000_NS6detail25reduce_by_key_init_kernelINS1_19lookback_scan_stateINS0_5tupleIJjfEEELb0ELb1EEEfNS1_16block_id_wrapperIjLb1EEEEEvT_jbjPmPT0_T1_,comdat
.Lfunc_end118:
	.size	_ZN7rocprim17ROCPRIM_400000_NS6detail25reduce_by_key_init_kernelINS1_19lookback_scan_stateINS0_5tupleIJjfEEELb0ELb1EEEfNS1_16block_id_wrapperIjLb1EEEEEvT_jbjPmPT0_T1_, .Lfunc_end118-_ZN7rocprim17ROCPRIM_400000_NS6detail25reduce_by_key_init_kernelINS1_19lookback_scan_stateINS0_5tupleIJjfEEELb0ELb1EEEfNS1_16block_id_wrapperIjLb1EEEEEvT_jbjPmPT0_T1_
                                        ; -- End function
	.section	.AMDGPU.csdata,"",@progbits
; Kernel info:
; codeLenInByte = 632
; NumSgprs: 22
; NumVgprs: 14
; NumAgprs: 0
; TotalNumVgprs: 14
; ScratchSize: 0
; MemoryBound: 0
; FloatMode: 240
; IeeeMode: 1
; LDSByteSize: 0 bytes/workgroup (compile time only)
; SGPRBlocks: 2
; VGPRBlocks: 1
; NumSGPRsForWavesPerEU: 22
; NumVGPRsForWavesPerEU: 14
; AccumOffset: 16
; Occupancy: 8
; WaveLimiterHint : 0
; COMPUTE_PGM_RSRC2:SCRATCH_EN: 0
; COMPUTE_PGM_RSRC2:USER_SGPR: 6
; COMPUTE_PGM_RSRC2:TRAP_HANDLER: 0
; COMPUTE_PGM_RSRC2:TGID_X_EN: 1
; COMPUTE_PGM_RSRC2:TGID_Y_EN: 0
; COMPUTE_PGM_RSRC2:TGID_Z_EN: 0
; COMPUTE_PGM_RSRC2:TIDIG_COMP_CNT: 0
; COMPUTE_PGM_RSRC3_GFX90A:ACCUM_OFFSET: 3
; COMPUTE_PGM_RSRC3_GFX90A:TG_SPLIT: 0
	.section	.text._ZN7rocprim17ROCPRIM_400000_NS6detail17trampoline_kernelINS0_14default_configENS1_29reduce_by_key_config_selectorIffN6thrust23THRUST_200600_302600_NS4plusIfEEEEZZNS1_33reduce_by_key_impl_wrapped_configILNS1_25lookback_scan_determinismE1ES3_S9_NS6_6detail15normal_iteratorINS6_10device_ptrIfEEEESG_SG_SG_PmS8_NS6_8equal_toIfEEEE10hipError_tPvRmT2_T3_mT4_T5_T6_T7_T8_P12ihipStream_tbENKUlT_T0_E_clISt17integral_constantIbLb0EES10_IbLb1EEEEDaSW_SX_EUlSW_E_NS1_11comp_targetILNS1_3genE0ELNS1_11target_archE4294967295ELNS1_3gpuE0ELNS1_3repE0EEENS1_30default_config_static_selectorELNS0_4arch9wavefront6targetE1EEEvT1_,"axG",@progbits,_ZN7rocprim17ROCPRIM_400000_NS6detail17trampoline_kernelINS0_14default_configENS1_29reduce_by_key_config_selectorIffN6thrust23THRUST_200600_302600_NS4plusIfEEEEZZNS1_33reduce_by_key_impl_wrapped_configILNS1_25lookback_scan_determinismE1ES3_S9_NS6_6detail15normal_iteratorINS6_10device_ptrIfEEEESG_SG_SG_PmS8_NS6_8equal_toIfEEEE10hipError_tPvRmT2_T3_mT4_T5_T6_T7_T8_P12ihipStream_tbENKUlT_T0_E_clISt17integral_constantIbLb0EES10_IbLb1EEEEDaSW_SX_EUlSW_E_NS1_11comp_targetILNS1_3genE0ELNS1_11target_archE4294967295ELNS1_3gpuE0ELNS1_3repE0EEENS1_30default_config_static_selectorELNS0_4arch9wavefront6targetE1EEEvT1_,comdat
	.protected	_ZN7rocprim17ROCPRIM_400000_NS6detail17trampoline_kernelINS0_14default_configENS1_29reduce_by_key_config_selectorIffN6thrust23THRUST_200600_302600_NS4plusIfEEEEZZNS1_33reduce_by_key_impl_wrapped_configILNS1_25lookback_scan_determinismE1ES3_S9_NS6_6detail15normal_iteratorINS6_10device_ptrIfEEEESG_SG_SG_PmS8_NS6_8equal_toIfEEEE10hipError_tPvRmT2_T3_mT4_T5_T6_T7_T8_P12ihipStream_tbENKUlT_T0_E_clISt17integral_constantIbLb0EES10_IbLb1EEEEDaSW_SX_EUlSW_E_NS1_11comp_targetILNS1_3genE0ELNS1_11target_archE4294967295ELNS1_3gpuE0ELNS1_3repE0EEENS1_30default_config_static_selectorELNS0_4arch9wavefront6targetE1EEEvT1_ ; -- Begin function _ZN7rocprim17ROCPRIM_400000_NS6detail17trampoline_kernelINS0_14default_configENS1_29reduce_by_key_config_selectorIffN6thrust23THRUST_200600_302600_NS4plusIfEEEEZZNS1_33reduce_by_key_impl_wrapped_configILNS1_25lookback_scan_determinismE1ES3_S9_NS6_6detail15normal_iteratorINS6_10device_ptrIfEEEESG_SG_SG_PmS8_NS6_8equal_toIfEEEE10hipError_tPvRmT2_T3_mT4_T5_T6_T7_T8_P12ihipStream_tbENKUlT_T0_E_clISt17integral_constantIbLb0EES10_IbLb1EEEEDaSW_SX_EUlSW_E_NS1_11comp_targetILNS1_3genE0ELNS1_11target_archE4294967295ELNS1_3gpuE0ELNS1_3repE0EEENS1_30default_config_static_selectorELNS0_4arch9wavefront6targetE1EEEvT1_
	.globl	_ZN7rocprim17ROCPRIM_400000_NS6detail17trampoline_kernelINS0_14default_configENS1_29reduce_by_key_config_selectorIffN6thrust23THRUST_200600_302600_NS4plusIfEEEEZZNS1_33reduce_by_key_impl_wrapped_configILNS1_25lookback_scan_determinismE1ES3_S9_NS6_6detail15normal_iteratorINS6_10device_ptrIfEEEESG_SG_SG_PmS8_NS6_8equal_toIfEEEE10hipError_tPvRmT2_T3_mT4_T5_T6_T7_T8_P12ihipStream_tbENKUlT_T0_E_clISt17integral_constantIbLb0EES10_IbLb1EEEEDaSW_SX_EUlSW_E_NS1_11comp_targetILNS1_3genE0ELNS1_11target_archE4294967295ELNS1_3gpuE0ELNS1_3repE0EEENS1_30default_config_static_selectorELNS0_4arch9wavefront6targetE1EEEvT1_
	.p2align	8
	.type	_ZN7rocprim17ROCPRIM_400000_NS6detail17trampoline_kernelINS0_14default_configENS1_29reduce_by_key_config_selectorIffN6thrust23THRUST_200600_302600_NS4plusIfEEEEZZNS1_33reduce_by_key_impl_wrapped_configILNS1_25lookback_scan_determinismE1ES3_S9_NS6_6detail15normal_iteratorINS6_10device_ptrIfEEEESG_SG_SG_PmS8_NS6_8equal_toIfEEEE10hipError_tPvRmT2_T3_mT4_T5_T6_T7_T8_P12ihipStream_tbENKUlT_T0_E_clISt17integral_constantIbLb0EES10_IbLb1EEEEDaSW_SX_EUlSW_E_NS1_11comp_targetILNS1_3genE0ELNS1_11target_archE4294967295ELNS1_3gpuE0ELNS1_3repE0EEENS1_30default_config_static_selectorELNS0_4arch9wavefront6targetE1EEEvT1_,@function
_ZN7rocprim17ROCPRIM_400000_NS6detail17trampoline_kernelINS0_14default_configENS1_29reduce_by_key_config_selectorIffN6thrust23THRUST_200600_302600_NS4plusIfEEEEZZNS1_33reduce_by_key_impl_wrapped_configILNS1_25lookback_scan_determinismE1ES3_S9_NS6_6detail15normal_iteratorINS6_10device_ptrIfEEEESG_SG_SG_PmS8_NS6_8equal_toIfEEEE10hipError_tPvRmT2_T3_mT4_T5_T6_T7_T8_P12ihipStream_tbENKUlT_T0_E_clISt17integral_constantIbLb0EES10_IbLb1EEEEDaSW_SX_EUlSW_E_NS1_11comp_targetILNS1_3genE0ELNS1_11target_archE4294967295ELNS1_3gpuE0ELNS1_3repE0EEENS1_30default_config_static_selectorELNS0_4arch9wavefront6targetE1EEEvT1_: ; @_ZN7rocprim17ROCPRIM_400000_NS6detail17trampoline_kernelINS0_14default_configENS1_29reduce_by_key_config_selectorIffN6thrust23THRUST_200600_302600_NS4plusIfEEEEZZNS1_33reduce_by_key_impl_wrapped_configILNS1_25lookback_scan_determinismE1ES3_S9_NS6_6detail15normal_iteratorINS6_10device_ptrIfEEEESG_SG_SG_PmS8_NS6_8equal_toIfEEEE10hipError_tPvRmT2_T3_mT4_T5_T6_T7_T8_P12ihipStream_tbENKUlT_T0_E_clISt17integral_constantIbLb0EES10_IbLb1EEEEDaSW_SX_EUlSW_E_NS1_11comp_targetILNS1_3genE0ELNS1_11target_archE4294967295ELNS1_3gpuE0ELNS1_3repE0EEENS1_30default_config_static_selectorELNS0_4arch9wavefront6targetE1EEEvT1_
; %bb.0:
	.section	.rodata,"a",@progbits
	.p2align	6, 0x0
	.amdhsa_kernel _ZN7rocprim17ROCPRIM_400000_NS6detail17trampoline_kernelINS0_14default_configENS1_29reduce_by_key_config_selectorIffN6thrust23THRUST_200600_302600_NS4plusIfEEEEZZNS1_33reduce_by_key_impl_wrapped_configILNS1_25lookback_scan_determinismE1ES3_S9_NS6_6detail15normal_iteratorINS6_10device_ptrIfEEEESG_SG_SG_PmS8_NS6_8equal_toIfEEEE10hipError_tPvRmT2_T3_mT4_T5_T6_T7_T8_P12ihipStream_tbENKUlT_T0_E_clISt17integral_constantIbLb0EES10_IbLb1EEEEDaSW_SX_EUlSW_E_NS1_11comp_targetILNS1_3genE0ELNS1_11target_archE4294967295ELNS1_3gpuE0ELNS1_3repE0EEENS1_30default_config_static_selectorELNS0_4arch9wavefront6targetE1EEEvT1_
		.amdhsa_group_segment_fixed_size 0
		.amdhsa_private_segment_fixed_size 0
		.amdhsa_kernarg_size 120
		.amdhsa_user_sgpr_count 6
		.amdhsa_user_sgpr_private_segment_buffer 1
		.amdhsa_user_sgpr_dispatch_ptr 0
		.amdhsa_user_sgpr_queue_ptr 0
		.amdhsa_user_sgpr_kernarg_segment_ptr 1
		.amdhsa_user_sgpr_dispatch_id 0
		.amdhsa_user_sgpr_flat_scratch_init 0
		.amdhsa_user_sgpr_kernarg_preload_length 0
		.amdhsa_user_sgpr_kernarg_preload_offset 0
		.amdhsa_user_sgpr_private_segment_size 0
		.amdhsa_uses_dynamic_stack 0
		.amdhsa_system_sgpr_private_segment_wavefront_offset 0
		.amdhsa_system_sgpr_workgroup_id_x 1
		.amdhsa_system_sgpr_workgroup_id_y 0
		.amdhsa_system_sgpr_workgroup_id_z 0
		.amdhsa_system_sgpr_workgroup_info 0
		.amdhsa_system_vgpr_workitem_id 0
		.amdhsa_next_free_vgpr 1
		.amdhsa_next_free_sgpr 0
		.amdhsa_accum_offset 4
		.amdhsa_reserve_vcc 0
		.amdhsa_reserve_flat_scratch 0
		.amdhsa_float_round_mode_32 0
		.amdhsa_float_round_mode_16_64 0
		.amdhsa_float_denorm_mode_32 3
		.amdhsa_float_denorm_mode_16_64 3
		.amdhsa_dx10_clamp 1
		.amdhsa_ieee_mode 1
		.amdhsa_fp16_overflow 0
		.amdhsa_tg_split 0
		.amdhsa_exception_fp_ieee_invalid_op 0
		.amdhsa_exception_fp_denorm_src 0
		.amdhsa_exception_fp_ieee_div_zero 0
		.amdhsa_exception_fp_ieee_overflow 0
		.amdhsa_exception_fp_ieee_underflow 0
		.amdhsa_exception_fp_ieee_inexact 0
		.amdhsa_exception_int_div_zero 0
	.end_amdhsa_kernel
	.section	.text._ZN7rocprim17ROCPRIM_400000_NS6detail17trampoline_kernelINS0_14default_configENS1_29reduce_by_key_config_selectorIffN6thrust23THRUST_200600_302600_NS4plusIfEEEEZZNS1_33reduce_by_key_impl_wrapped_configILNS1_25lookback_scan_determinismE1ES3_S9_NS6_6detail15normal_iteratorINS6_10device_ptrIfEEEESG_SG_SG_PmS8_NS6_8equal_toIfEEEE10hipError_tPvRmT2_T3_mT4_T5_T6_T7_T8_P12ihipStream_tbENKUlT_T0_E_clISt17integral_constantIbLb0EES10_IbLb1EEEEDaSW_SX_EUlSW_E_NS1_11comp_targetILNS1_3genE0ELNS1_11target_archE4294967295ELNS1_3gpuE0ELNS1_3repE0EEENS1_30default_config_static_selectorELNS0_4arch9wavefront6targetE1EEEvT1_,"axG",@progbits,_ZN7rocprim17ROCPRIM_400000_NS6detail17trampoline_kernelINS0_14default_configENS1_29reduce_by_key_config_selectorIffN6thrust23THRUST_200600_302600_NS4plusIfEEEEZZNS1_33reduce_by_key_impl_wrapped_configILNS1_25lookback_scan_determinismE1ES3_S9_NS6_6detail15normal_iteratorINS6_10device_ptrIfEEEESG_SG_SG_PmS8_NS6_8equal_toIfEEEE10hipError_tPvRmT2_T3_mT4_T5_T6_T7_T8_P12ihipStream_tbENKUlT_T0_E_clISt17integral_constantIbLb0EES10_IbLb1EEEEDaSW_SX_EUlSW_E_NS1_11comp_targetILNS1_3genE0ELNS1_11target_archE4294967295ELNS1_3gpuE0ELNS1_3repE0EEENS1_30default_config_static_selectorELNS0_4arch9wavefront6targetE1EEEvT1_,comdat
.Lfunc_end119:
	.size	_ZN7rocprim17ROCPRIM_400000_NS6detail17trampoline_kernelINS0_14default_configENS1_29reduce_by_key_config_selectorIffN6thrust23THRUST_200600_302600_NS4plusIfEEEEZZNS1_33reduce_by_key_impl_wrapped_configILNS1_25lookback_scan_determinismE1ES3_S9_NS6_6detail15normal_iteratorINS6_10device_ptrIfEEEESG_SG_SG_PmS8_NS6_8equal_toIfEEEE10hipError_tPvRmT2_T3_mT4_T5_T6_T7_T8_P12ihipStream_tbENKUlT_T0_E_clISt17integral_constantIbLb0EES10_IbLb1EEEEDaSW_SX_EUlSW_E_NS1_11comp_targetILNS1_3genE0ELNS1_11target_archE4294967295ELNS1_3gpuE0ELNS1_3repE0EEENS1_30default_config_static_selectorELNS0_4arch9wavefront6targetE1EEEvT1_, .Lfunc_end119-_ZN7rocprim17ROCPRIM_400000_NS6detail17trampoline_kernelINS0_14default_configENS1_29reduce_by_key_config_selectorIffN6thrust23THRUST_200600_302600_NS4plusIfEEEEZZNS1_33reduce_by_key_impl_wrapped_configILNS1_25lookback_scan_determinismE1ES3_S9_NS6_6detail15normal_iteratorINS6_10device_ptrIfEEEESG_SG_SG_PmS8_NS6_8equal_toIfEEEE10hipError_tPvRmT2_T3_mT4_T5_T6_T7_T8_P12ihipStream_tbENKUlT_T0_E_clISt17integral_constantIbLb0EES10_IbLb1EEEEDaSW_SX_EUlSW_E_NS1_11comp_targetILNS1_3genE0ELNS1_11target_archE4294967295ELNS1_3gpuE0ELNS1_3repE0EEENS1_30default_config_static_selectorELNS0_4arch9wavefront6targetE1EEEvT1_
                                        ; -- End function
	.section	.AMDGPU.csdata,"",@progbits
; Kernel info:
; codeLenInByte = 0
; NumSgprs: 4
; NumVgprs: 0
; NumAgprs: 0
; TotalNumVgprs: 0
; ScratchSize: 0
; MemoryBound: 0
; FloatMode: 240
; IeeeMode: 1
; LDSByteSize: 0 bytes/workgroup (compile time only)
; SGPRBlocks: 0
; VGPRBlocks: 0
; NumSGPRsForWavesPerEU: 4
; NumVGPRsForWavesPerEU: 1
; AccumOffset: 4
; Occupancy: 8
; WaveLimiterHint : 0
; COMPUTE_PGM_RSRC2:SCRATCH_EN: 0
; COMPUTE_PGM_RSRC2:USER_SGPR: 6
; COMPUTE_PGM_RSRC2:TRAP_HANDLER: 0
; COMPUTE_PGM_RSRC2:TGID_X_EN: 1
; COMPUTE_PGM_RSRC2:TGID_Y_EN: 0
; COMPUTE_PGM_RSRC2:TGID_Z_EN: 0
; COMPUTE_PGM_RSRC2:TIDIG_COMP_CNT: 0
; COMPUTE_PGM_RSRC3_GFX90A:ACCUM_OFFSET: 0
; COMPUTE_PGM_RSRC3_GFX90A:TG_SPLIT: 0
	.section	.text._ZN7rocprim17ROCPRIM_400000_NS6detail17trampoline_kernelINS0_14default_configENS1_29reduce_by_key_config_selectorIffN6thrust23THRUST_200600_302600_NS4plusIfEEEEZZNS1_33reduce_by_key_impl_wrapped_configILNS1_25lookback_scan_determinismE1ES3_S9_NS6_6detail15normal_iteratorINS6_10device_ptrIfEEEESG_SG_SG_PmS8_NS6_8equal_toIfEEEE10hipError_tPvRmT2_T3_mT4_T5_T6_T7_T8_P12ihipStream_tbENKUlT_T0_E_clISt17integral_constantIbLb0EES10_IbLb1EEEEDaSW_SX_EUlSW_E_NS1_11comp_targetILNS1_3genE5ELNS1_11target_archE942ELNS1_3gpuE9ELNS1_3repE0EEENS1_30default_config_static_selectorELNS0_4arch9wavefront6targetE1EEEvT1_,"axG",@progbits,_ZN7rocprim17ROCPRIM_400000_NS6detail17trampoline_kernelINS0_14default_configENS1_29reduce_by_key_config_selectorIffN6thrust23THRUST_200600_302600_NS4plusIfEEEEZZNS1_33reduce_by_key_impl_wrapped_configILNS1_25lookback_scan_determinismE1ES3_S9_NS6_6detail15normal_iteratorINS6_10device_ptrIfEEEESG_SG_SG_PmS8_NS6_8equal_toIfEEEE10hipError_tPvRmT2_T3_mT4_T5_T6_T7_T8_P12ihipStream_tbENKUlT_T0_E_clISt17integral_constantIbLb0EES10_IbLb1EEEEDaSW_SX_EUlSW_E_NS1_11comp_targetILNS1_3genE5ELNS1_11target_archE942ELNS1_3gpuE9ELNS1_3repE0EEENS1_30default_config_static_selectorELNS0_4arch9wavefront6targetE1EEEvT1_,comdat
	.protected	_ZN7rocprim17ROCPRIM_400000_NS6detail17trampoline_kernelINS0_14default_configENS1_29reduce_by_key_config_selectorIffN6thrust23THRUST_200600_302600_NS4plusIfEEEEZZNS1_33reduce_by_key_impl_wrapped_configILNS1_25lookback_scan_determinismE1ES3_S9_NS6_6detail15normal_iteratorINS6_10device_ptrIfEEEESG_SG_SG_PmS8_NS6_8equal_toIfEEEE10hipError_tPvRmT2_T3_mT4_T5_T6_T7_T8_P12ihipStream_tbENKUlT_T0_E_clISt17integral_constantIbLb0EES10_IbLb1EEEEDaSW_SX_EUlSW_E_NS1_11comp_targetILNS1_3genE5ELNS1_11target_archE942ELNS1_3gpuE9ELNS1_3repE0EEENS1_30default_config_static_selectorELNS0_4arch9wavefront6targetE1EEEvT1_ ; -- Begin function _ZN7rocprim17ROCPRIM_400000_NS6detail17trampoline_kernelINS0_14default_configENS1_29reduce_by_key_config_selectorIffN6thrust23THRUST_200600_302600_NS4plusIfEEEEZZNS1_33reduce_by_key_impl_wrapped_configILNS1_25lookback_scan_determinismE1ES3_S9_NS6_6detail15normal_iteratorINS6_10device_ptrIfEEEESG_SG_SG_PmS8_NS6_8equal_toIfEEEE10hipError_tPvRmT2_T3_mT4_T5_T6_T7_T8_P12ihipStream_tbENKUlT_T0_E_clISt17integral_constantIbLb0EES10_IbLb1EEEEDaSW_SX_EUlSW_E_NS1_11comp_targetILNS1_3genE5ELNS1_11target_archE942ELNS1_3gpuE9ELNS1_3repE0EEENS1_30default_config_static_selectorELNS0_4arch9wavefront6targetE1EEEvT1_
	.globl	_ZN7rocprim17ROCPRIM_400000_NS6detail17trampoline_kernelINS0_14default_configENS1_29reduce_by_key_config_selectorIffN6thrust23THRUST_200600_302600_NS4plusIfEEEEZZNS1_33reduce_by_key_impl_wrapped_configILNS1_25lookback_scan_determinismE1ES3_S9_NS6_6detail15normal_iteratorINS6_10device_ptrIfEEEESG_SG_SG_PmS8_NS6_8equal_toIfEEEE10hipError_tPvRmT2_T3_mT4_T5_T6_T7_T8_P12ihipStream_tbENKUlT_T0_E_clISt17integral_constantIbLb0EES10_IbLb1EEEEDaSW_SX_EUlSW_E_NS1_11comp_targetILNS1_3genE5ELNS1_11target_archE942ELNS1_3gpuE9ELNS1_3repE0EEENS1_30default_config_static_selectorELNS0_4arch9wavefront6targetE1EEEvT1_
	.p2align	8
	.type	_ZN7rocprim17ROCPRIM_400000_NS6detail17trampoline_kernelINS0_14default_configENS1_29reduce_by_key_config_selectorIffN6thrust23THRUST_200600_302600_NS4plusIfEEEEZZNS1_33reduce_by_key_impl_wrapped_configILNS1_25lookback_scan_determinismE1ES3_S9_NS6_6detail15normal_iteratorINS6_10device_ptrIfEEEESG_SG_SG_PmS8_NS6_8equal_toIfEEEE10hipError_tPvRmT2_T3_mT4_T5_T6_T7_T8_P12ihipStream_tbENKUlT_T0_E_clISt17integral_constantIbLb0EES10_IbLb1EEEEDaSW_SX_EUlSW_E_NS1_11comp_targetILNS1_3genE5ELNS1_11target_archE942ELNS1_3gpuE9ELNS1_3repE0EEENS1_30default_config_static_selectorELNS0_4arch9wavefront6targetE1EEEvT1_,@function
_ZN7rocprim17ROCPRIM_400000_NS6detail17trampoline_kernelINS0_14default_configENS1_29reduce_by_key_config_selectorIffN6thrust23THRUST_200600_302600_NS4plusIfEEEEZZNS1_33reduce_by_key_impl_wrapped_configILNS1_25lookback_scan_determinismE1ES3_S9_NS6_6detail15normal_iteratorINS6_10device_ptrIfEEEESG_SG_SG_PmS8_NS6_8equal_toIfEEEE10hipError_tPvRmT2_T3_mT4_T5_T6_T7_T8_P12ihipStream_tbENKUlT_T0_E_clISt17integral_constantIbLb0EES10_IbLb1EEEEDaSW_SX_EUlSW_E_NS1_11comp_targetILNS1_3genE5ELNS1_11target_archE942ELNS1_3gpuE9ELNS1_3repE0EEENS1_30default_config_static_selectorELNS0_4arch9wavefront6targetE1EEEvT1_: ; @_ZN7rocprim17ROCPRIM_400000_NS6detail17trampoline_kernelINS0_14default_configENS1_29reduce_by_key_config_selectorIffN6thrust23THRUST_200600_302600_NS4plusIfEEEEZZNS1_33reduce_by_key_impl_wrapped_configILNS1_25lookback_scan_determinismE1ES3_S9_NS6_6detail15normal_iteratorINS6_10device_ptrIfEEEESG_SG_SG_PmS8_NS6_8equal_toIfEEEE10hipError_tPvRmT2_T3_mT4_T5_T6_T7_T8_P12ihipStream_tbENKUlT_T0_E_clISt17integral_constantIbLb0EES10_IbLb1EEEEDaSW_SX_EUlSW_E_NS1_11comp_targetILNS1_3genE5ELNS1_11target_archE942ELNS1_3gpuE9ELNS1_3repE0EEENS1_30default_config_static_selectorELNS0_4arch9wavefront6targetE1EEEvT1_
; %bb.0:
	.section	.rodata,"a",@progbits
	.p2align	6, 0x0
	.amdhsa_kernel _ZN7rocprim17ROCPRIM_400000_NS6detail17trampoline_kernelINS0_14default_configENS1_29reduce_by_key_config_selectorIffN6thrust23THRUST_200600_302600_NS4plusIfEEEEZZNS1_33reduce_by_key_impl_wrapped_configILNS1_25lookback_scan_determinismE1ES3_S9_NS6_6detail15normal_iteratorINS6_10device_ptrIfEEEESG_SG_SG_PmS8_NS6_8equal_toIfEEEE10hipError_tPvRmT2_T3_mT4_T5_T6_T7_T8_P12ihipStream_tbENKUlT_T0_E_clISt17integral_constantIbLb0EES10_IbLb1EEEEDaSW_SX_EUlSW_E_NS1_11comp_targetILNS1_3genE5ELNS1_11target_archE942ELNS1_3gpuE9ELNS1_3repE0EEENS1_30default_config_static_selectorELNS0_4arch9wavefront6targetE1EEEvT1_
		.amdhsa_group_segment_fixed_size 0
		.amdhsa_private_segment_fixed_size 0
		.amdhsa_kernarg_size 120
		.amdhsa_user_sgpr_count 6
		.amdhsa_user_sgpr_private_segment_buffer 1
		.amdhsa_user_sgpr_dispatch_ptr 0
		.amdhsa_user_sgpr_queue_ptr 0
		.amdhsa_user_sgpr_kernarg_segment_ptr 1
		.amdhsa_user_sgpr_dispatch_id 0
		.amdhsa_user_sgpr_flat_scratch_init 0
		.amdhsa_user_sgpr_kernarg_preload_length 0
		.amdhsa_user_sgpr_kernarg_preload_offset 0
		.amdhsa_user_sgpr_private_segment_size 0
		.amdhsa_uses_dynamic_stack 0
		.amdhsa_system_sgpr_private_segment_wavefront_offset 0
		.amdhsa_system_sgpr_workgroup_id_x 1
		.amdhsa_system_sgpr_workgroup_id_y 0
		.amdhsa_system_sgpr_workgroup_id_z 0
		.amdhsa_system_sgpr_workgroup_info 0
		.amdhsa_system_vgpr_workitem_id 0
		.amdhsa_next_free_vgpr 1
		.amdhsa_next_free_sgpr 0
		.amdhsa_accum_offset 4
		.amdhsa_reserve_vcc 0
		.amdhsa_reserve_flat_scratch 0
		.amdhsa_float_round_mode_32 0
		.amdhsa_float_round_mode_16_64 0
		.amdhsa_float_denorm_mode_32 3
		.amdhsa_float_denorm_mode_16_64 3
		.amdhsa_dx10_clamp 1
		.amdhsa_ieee_mode 1
		.amdhsa_fp16_overflow 0
		.amdhsa_tg_split 0
		.amdhsa_exception_fp_ieee_invalid_op 0
		.amdhsa_exception_fp_denorm_src 0
		.amdhsa_exception_fp_ieee_div_zero 0
		.amdhsa_exception_fp_ieee_overflow 0
		.amdhsa_exception_fp_ieee_underflow 0
		.amdhsa_exception_fp_ieee_inexact 0
		.amdhsa_exception_int_div_zero 0
	.end_amdhsa_kernel
	.section	.text._ZN7rocprim17ROCPRIM_400000_NS6detail17trampoline_kernelINS0_14default_configENS1_29reduce_by_key_config_selectorIffN6thrust23THRUST_200600_302600_NS4plusIfEEEEZZNS1_33reduce_by_key_impl_wrapped_configILNS1_25lookback_scan_determinismE1ES3_S9_NS6_6detail15normal_iteratorINS6_10device_ptrIfEEEESG_SG_SG_PmS8_NS6_8equal_toIfEEEE10hipError_tPvRmT2_T3_mT4_T5_T6_T7_T8_P12ihipStream_tbENKUlT_T0_E_clISt17integral_constantIbLb0EES10_IbLb1EEEEDaSW_SX_EUlSW_E_NS1_11comp_targetILNS1_3genE5ELNS1_11target_archE942ELNS1_3gpuE9ELNS1_3repE0EEENS1_30default_config_static_selectorELNS0_4arch9wavefront6targetE1EEEvT1_,"axG",@progbits,_ZN7rocprim17ROCPRIM_400000_NS6detail17trampoline_kernelINS0_14default_configENS1_29reduce_by_key_config_selectorIffN6thrust23THRUST_200600_302600_NS4plusIfEEEEZZNS1_33reduce_by_key_impl_wrapped_configILNS1_25lookback_scan_determinismE1ES3_S9_NS6_6detail15normal_iteratorINS6_10device_ptrIfEEEESG_SG_SG_PmS8_NS6_8equal_toIfEEEE10hipError_tPvRmT2_T3_mT4_T5_T6_T7_T8_P12ihipStream_tbENKUlT_T0_E_clISt17integral_constantIbLb0EES10_IbLb1EEEEDaSW_SX_EUlSW_E_NS1_11comp_targetILNS1_3genE5ELNS1_11target_archE942ELNS1_3gpuE9ELNS1_3repE0EEENS1_30default_config_static_selectorELNS0_4arch9wavefront6targetE1EEEvT1_,comdat
.Lfunc_end120:
	.size	_ZN7rocprim17ROCPRIM_400000_NS6detail17trampoline_kernelINS0_14default_configENS1_29reduce_by_key_config_selectorIffN6thrust23THRUST_200600_302600_NS4plusIfEEEEZZNS1_33reduce_by_key_impl_wrapped_configILNS1_25lookback_scan_determinismE1ES3_S9_NS6_6detail15normal_iteratorINS6_10device_ptrIfEEEESG_SG_SG_PmS8_NS6_8equal_toIfEEEE10hipError_tPvRmT2_T3_mT4_T5_T6_T7_T8_P12ihipStream_tbENKUlT_T0_E_clISt17integral_constantIbLb0EES10_IbLb1EEEEDaSW_SX_EUlSW_E_NS1_11comp_targetILNS1_3genE5ELNS1_11target_archE942ELNS1_3gpuE9ELNS1_3repE0EEENS1_30default_config_static_selectorELNS0_4arch9wavefront6targetE1EEEvT1_, .Lfunc_end120-_ZN7rocprim17ROCPRIM_400000_NS6detail17trampoline_kernelINS0_14default_configENS1_29reduce_by_key_config_selectorIffN6thrust23THRUST_200600_302600_NS4plusIfEEEEZZNS1_33reduce_by_key_impl_wrapped_configILNS1_25lookback_scan_determinismE1ES3_S9_NS6_6detail15normal_iteratorINS6_10device_ptrIfEEEESG_SG_SG_PmS8_NS6_8equal_toIfEEEE10hipError_tPvRmT2_T3_mT4_T5_T6_T7_T8_P12ihipStream_tbENKUlT_T0_E_clISt17integral_constantIbLb0EES10_IbLb1EEEEDaSW_SX_EUlSW_E_NS1_11comp_targetILNS1_3genE5ELNS1_11target_archE942ELNS1_3gpuE9ELNS1_3repE0EEENS1_30default_config_static_selectorELNS0_4arch9wavefront6targetE1EEEvT1_
                                        ; -- End function
	.section	.AMDGPU.csdata,"",@progbits
; Kernel info:
; codeLenInByte = 0
; NumSgprs: 4
; NumVgprs: 0
; NumAgprs: 0
; TotalNumVgprs: 0
; ScratchSize: 0
; MemoryBound: 0
; FloatMode: 240
; IeeeMode: 1
; LDSByteSize: 0 bytes/workgroup (compile time only)
; SGPRBlocks: 0
; VGPRBlocks: 0
; NumSGPRsForWavesPerEU: 4
; NumVGPRsForWavesPerEU: 1
; AccumOffset: 4
; Occupancy: 8
; WaveLimiterHint : 0
; COMPUTE_PGM_RSRC2:SCRATCH_EN: 0
; COMPUTE_PGM_RSRC2:USER_SGPR: 6
; COMPUTE_PGM_RSRC2:TRAP_HANDLER: 0
; COMPUTE_PGM_RSRC2:TGID_X_EN: 1
; COMPUTE_PGM_RSRC2:TGID_Y_EN: 0
; COMPUTE_PGM_RSRC2:TGID_Z_EN: 0
; COMPUTE_PGM_RSRC2:TIDIG_COMP_CNT: 0
; COMPUTE_PGM_RSRC3_GFX90A:ACCUM_OFFSET: 0
; COMPUTE_PGM_RSRC3_GFX90A:TG_SPLIT: 0
	.section	.text._ZN7rocprim17ROCPRIM_400000_NS6detail17trampoline_kernelINS0_14default_configENS1_29reduce_by_key_config_selectorIffN6thrust23THRUST_200600_302600_NS4plusIfEEEEZZNS1_33reduce_by_key_impl_wrapped_configILNS1_25lookback_scan_determinismE1ES3_S9_NS6_6detail15normal_iteratorINS6_10device_ptrIfEEEESG_SG_SG_PmS8_NS6_8equal_toIfEEEE10hipError_tPvRmT2_T3_mT4_T5_T6_T7_T8_P12ihipStream_tbENKUlT_T0_E_clISt17integral_constantIbLb0EES10_IbLb1EEEEDaSW_SX_EUlSW_E_NS1_11comp_targetILNS1_3genE4ELNS1_11target_archE910ELNS1_3gpuE8ELNS1_3repE0EEENS1_30default_config_static_selectorELNS0_4arch9wavefront6targetE1EEEvT1_,"axG",@progbits,_ZN7rocprim17ROCPRIM_400000_NS6detail17trampoline_kernelINS0_14default_configENS1_29reduce_by_key_config_selectorIffN6thrust23THRUST_200600_302600_NS4plusIfEEEEZZNS1_33reduce_by_key_impl_wrapped_configILNS1_25lookback_scan_determinismE1ES3_S9_NS6_6detail15normal_iteratorINS6_10device_ptrIfEEEESG_SG_SG_PmS8_NS6_8equal_toIfEEEE10hipError_tPvRmT2_T3_mT4_T5_T6_T7_T8_P12ihipStream_tbENKUlT_T0_E_clISt17integral_constantIbLb0EES10_IbLb1EEEEDaSW_SX_EUlSW_E_NS1_11comp_targetILNS1_3genE4ELNS1_11target_archE910ELNS1_3gpuE8ELNS1_3repE0EEENS1_30default_config_static_selectorELNS0_4arch9wavefront6targetE1EEEvT1_,comdat
	.protected	_ZN7rocprim17ROCPRIM_400000_NS6detail17trampoline_kernelINS0_14default_configENS1_29reduce_by_key_config_selectorIffN6thrust23THRUST_200600_302600_NS4plusIfEEEEZZNS1_33reduce_by_key_impl_wrapped_configILNS1_25lookback_scan_determinismE1ES3_S9_NS6_6detail15normal_iteratorINS6_10device_ptrIfEEEESG_SG_SG_PmS8_NS6_8equal_toIfEEEE10hipError_tPvRmT2_T3_mT4_T5_T6_T7_T8_P12ihipStream_tbENKUlT_T0_E_clISt17integral_constantIbLb0EES10_IbLb1EEEEDaSW_SX_EUlSW_E_NS1_11comp_targetILNS1_3genE4ELNS1_11target_archE910ELNS1_3gpuE8ELNS1_3repE0EEENS1_30default_config_static_selectorELNS0_4arch9wavefront6targetE1EEEvT1_ ; -- Begin function _ZN7rocprim17ROCPRIM_400000_NS6detail17trampoline_kernelINS0_14default_configENS1_29reduce_by_key_config_selectorIffN6thrust23THRUST_200600_302600_NS4plusIfEEEEZZNS1_33reduce_by_key_impl_wrapped_configILNS1_25lookback_scan_determinismE1ES3_S9_NS6_6detail15normal_iteratorINS6_10device_ptrIfEEEESG_SG_SG_PmS8_NS6_8equal_toIfEEEE10hipError_tPvRmT2_T3_mT4_T5_T6_T7_T8_P12ihipStream_tbENKUlT_T0_E_clISt17integral_constantIbLb0EES10_IbLb1EEEEDaSW_SX_EUlSW_E_NS1_11comp_targetILNS1_3genE4ELNS1_11target_archE910ELNS1_3gpuE8ELNS1_3repE0EEENS1_30default_config_static_selectorELNS0_4arch9wavefront6targetE1EEEvT1_
	.globl	_ZN7rocprim17ROCPRIM_400000_NS6detail17trampoline_kernelINS0_14default_configENS1_29reduce_by_key_config_selectorIffN6thrust23THRUST_200600_302600_NS4plusIfEEEEZZNS1_33reduce_by_key_impl_wrapped_configILNS1_25lookback_scan_determinismE1ES3_S9_NS6_6detail15normal_iteratorINS6_10device_ptrIfEEEESG_SG_SG_PmS8_NS6_8equal_toIfEEEE10hipError_tPvRmT2_T3_mT4_T5_T6_T7_T8_P12ihipStream_tbENKUlT_T0_E_clISt17integral_constantIbLb0EES10_IbLb1EEEEDaSW_SX_EUlSW_E_NS1_11comp_targetILNS1_3genE4ELNS1_11target_archE910ELNS1_3gpuE8ELNS1_3repE0EEENS1_30default_config_static_selectorELNS0_4arch9wavefront6targetE1EEEvT1_
	.p2align	8
	.type	_ZN7rocprim17ROCPRIM_400000_NS6detail17trampoline_kernelINS0_14default_configENS1_29reduce_by_key_config_selectorIffN6thrust23THRUST_200600_302600_NS4plusIfEEEEZZNS1_33reduce_by_key_impl_wrapped_configILNS1_25lookback_scan_determinismE1ES3_S9_NS6_6detail15normal_iteratorINS6_10device_ptrIfEEEESG_SG_SG_PmS8_NS6_8equal_toIfEEEE10hipError_tPvRmT2_T3_mT4_T5_T6_T7_T8_P12ihipStream_tbENKUlT_T0_E_clISt17integral_constantIbLb0EES10_IbLb1EEEEDaSW_SX_EUlSW_E_NS1_11comp_targetILNS1_3genE4ELNS1_11target_archE910ELNS1_3gpuE8ELNS1_3repE0EEENS1_30default_config_static_selectorELNS0_4arch9wavefront6targetE1EEEvT1_,@function
_ZN7rocprim17ROCPRIM_400000_NS6detail17trampoline_kernelINS0_14default_configENS1_29reduce_by_key_config_selectorIffN6thrust23THRUST_200600_302600_NS4plusIfEEEEZZNS1_33reduce_by_key_impl_wrapped_configILNS1_25lookback_scan_determinismE1ES3_S9_NS6_6detail15normal_iteratorINS6_10device_ptrIfEEEESG_SG_SG_PmS8_NS6_8equal_toIfEEEE10hipError_tPvRmT2_T3_mT4_T5_T6_T7_T8_P12ihipStream_tbENKUlT_T0_E_clISt17integral_constantIbLb0EES10_IbLb1EEEEDaSW_SX_EUlSW_E_NS1_11comp_targetILNS1_3genE4ELNS1_11target_archE910ELNS1_3gpuE8ELNS1_3repE0EEENS1_30default_config_static_selectorELNS0_4arch9wavefront6targetE1EEEvT1_: ; @_ZN7rocprim17ROCPRIM_400000_NS6detail17trampoline_kernelINS0_14default_configENS1_29reduce_by_key_config_selectorIffN6thrust23THRUST_200600_302600_NS4plusIfEEEEZZNS1_33reduce_by_key_impl_wrapped_configILNS1_25lookback_scan_determinismE1ES3_S9_NS6_6detail15normal_iteratorINS6_10device_ptrIfEEEESG_SG_SG_PmS8_NS6_8equal_toIfEEEE10hipError_tPvRmT2_T3_mT4_T5_T6_T7_T8_P12ihipStream_tbENKUlT_T0_E_clISt17integral_constantIbLb0EES10_IbLb1EEEEDaSW_SX_EUlSW_E_NS1_11comp_targetILNS1_3genE4ELNS1_11target_archE910ELNS1_3gpuE8ELNS1_3repE0EEENS1_30default_config_static_selectorELNS0_4arch9wavefront6targetE1EEEvT1_
; %bb.0:
	s_load_dwordx8 s[40:47], s[4:5], 0x0
	s_load_dwordx4 s[56:59], s[4:5], 0x20
	s_load_dwordx8 s[48:55], s[4:5], 0x38
	s_load_dwordx2 s[64:65], s[4:5], 0x68
	s_load_dwordx4 s[60:63], s[4:5], 0x58
	s_add_u32 flat_scratch_lo, s6, s9
	s_addc_u32 flat_scratch_hi, s7, 0
	s_add_u32 s0, s0, s9
	s_addc_u32 s1, s1, 0
	v_cmp_ne_u32_e64 s[6:7], 0, v0
	v_cmp_eq_u32_e64 s[38:39], 0, v0
	s_and_saveexec_b64 s[8:9], s[38:39]
	s_cbranch_execz .LBB121_4
; %bb.1:
	s_mov_b64 s[12:13], exec
	v_mbcnt_lo_u32_b32 v1, s12, 0
	v_mbcnt_hi_u32_b32 v1, s13, v1
	v_cmp_eq_u32_e32 vcc, 0, v1
                                        ; implicit-def: $vgpr2
	s_and_saveexec_b64 s[10:11], vcc
	s_cbranch_execz .LBB121_3
; %bb.2:
	s_load_dwordx2 s[4:5], s[4:5], 0x70
	s_bcnt1_i32_b64 s12, s[12:13]
	v_mov_b32_e32 v2, 0
	v_mov_b32_e32 v3, s12
	s_waitcnt lgkmcnt(0)
	global_atomic_add v2, v2, v3, s[4:5] glc
.LBB121_3:
	s_or_b64 exec, exec, s[10:11]
	s_waitcnt vmcnt(0)
	v_readfirstlane_b32 s4, v2
	v_add_u32_e32 v1, s4, v1
	v_mov_b32_e32 v2, 0
	ds_write_b32 v2, v1
.LBB121_4:
	s_or_b64 exec, exec, s[8:9]
	v_mov_b32_e32 v3, 0
	s_waitcnt lgkmcnt(0)
	s_lshl_b64 s[4:5], s[42:43], 2
	s_barrier
	ds_read_b32 v1, v3
	s_add_u32 s8, s40, s4
	s_addc_u32 s9, s41, s5
	s_add_u32 s4, s44, s4
	s_mul_i32 s10, s52, s51
	s_mul_hi_u32 s11, s52, s50
	s_addc_u32 s5, s45, s5
	s_add_i32 s10, s11, s10
	s_mul_i32 s11, s53, s50
	s_add_i32 s10, s10, s11
	s_mul_i32 s11, s52, s50
	s_waitcnt lgkmcnt(0)
	v_readfirstlane_b32 s66, v1
	s_movk_i32 s12, 0xf00
	v_mul_lo_u32 v2, v1, s12
	s_add_u32 s44, s11, s66
	v_lshlrev_b64 v[2:3], 2, v[2:3]
	s_addc_u32 s45, s10, 0
	v_mov_b32_e32 v1, s9
	v_add_co_u32_e32 v10, vcc, s8, v2
	s_add_u32 s8, s54, -1
	v_addc_co_u32_e32 v11, vcc, v1, v3, vcc
	s_addc_u32 s9, s55, -1
	v_mov_b32_e32 v1, s5
	v_add_co_u32_e32 v26, vcc, s4, v2
	s_cmp_eq_u64 s[44:45], s[8:9]
	v_addc_co_u32_e32 v27, vcc, v1, v3, vcc
	s_cselect_b64 s[40:41], -1, 0
	s_cmp_lg_u64 s[44:45], s[8:9]
	s_mov_b64 s[4:5], -1
	s_cselect_b64 s[52:53], -1, 0
	s_mul_i32 s33, s8, 0xfffff100
	s_and_b64 vcc, exec, s[40:41]
	s_barrier
	s_cbranch_vccnz .LBB121_6
; %bb.5:
	v_lshlrev_b32_e32 v28, 2, v0
	v_add_co_u32_e32 v2, vcc, v10, v28
	v_addc_co_u32_e32 v3, vcc, 0, v11, vcc
	v_add_co_u32_e32 v4, vcc, 0x1000, v2
	v_addc_co_u32_e32 v5, vcc, 0, v3, vcc
	flat_load_dword v1, v[2:3]
	flat_load_dword v12, v[2:3] offset:1024
	flat_load_dword v13, v[2:3] offset:2048
	flat_load_dword v14, v[2:3] offset:3072
	flat_load_dword v15, v[4:5]
	flat_load_dword v16, v[4:5] offset:1024
	flat_load_dword v17, v[4:5] offset:2048
	;; [unrolled: 1-line block ×3, first 2 shown]
	v_add_co_u32_e32 v4, vcc, 0x2000, v2
	v_addc_co_u32_e32 v5, vcc, 0, v3, vcc
	v_add_co_u32_e32 v2, vcc, 0x3000, v2
	v_addc_co_u32_e32 v3, vcc, 0, v3, vcc
	flat_load_dword v19, v[4:5]
	flat_load_dword v20, v[4:5] offset:1024
	flat_load_dword v21, v[4:5] offset:2048
	;; [unrolled: 1-line block ×3, first 2 shown]
	flat_load_dword v23, v[2:3]
	flat_load_dword v24, v[2:3] offset:1024
	flat_load_dword v25, v[2:3] offset:2048
	v_add_co_u32_e32 v2, vcc, v26, v28
	s_movk_i32 s4, 0x1000
	v_addc_co_u32_e32 v3, vcc, 0, v27, vcc
	v_add_co_u32_e32 v4, vcc, s4, v2
	s_movk_i32 s5, 0x2000
	v_addc_co_u32_e32 v5, vcc, 0, v3, vcc
	;; [unrolled: 3-line block ×3, first 2 shown]
	v_mad_u32_u24 v40, v0, 56, v28
	v_add_co_u32_e32 v8, vcc, s8, v2
	v_addc_co_u32_e32 v9, vcc, 0, v3, vcc
	s_waitcnt vmcnt(0) lgkmcnt(0)
	ds_write2st64_b32 v28, v1, v12 offset1:4
	ds_write2st64_b32 v28, v13, v14 offset0:8 offset1:12
	ds_write2st64_b32 v28, v15, v16 offset0:16 offset1:20
	;; [unrolled: 1-line block ×6, first 2 shown]
	ds_write_b32 v28, v25 offset:14336
	s_waitcnt lgkmcnt(0)
	s_barrier
	ds_read2_b32 v[24:25], v40 offset1:1
	ds_read2_b32 v[22:23], v40 offset0:2 offset1:3
	ds_read2_b32 v[20:21], v40 offset0:4 offset1:5
	;; [unrolled: 1-line block ×6, first 2 shown]
	ds_read_b32 v1, v40 offset:56
	s_waitcnt lgkmcnt(0)
	s_barrier
	flat_load_dword v29, v[2:3]
	flat_load_dword v30, v[2:3] offset:1024
	flat_load_dword v31, v[2:3] offset:2048
	flat_load_dword v32, v[2:3] offset:3072
	flat_load_dword v33, v[4:5]
	flat_load_dword v34, v[4:5] offset:1024
	flat_load_dword v35, v[4:5] offset:2048
	flat_load_dword v36, v[4:5] offset:3072
	;; [unrolled: 4-line block ×3, first 2 shown]
	flat_load_dword v42, v[8:9]
	flat_load_dword v43, v[8:9] offset:1024
	flat_load_dword v44, v[8:9] offset:2048
	v_mov_b32_e32 v8, v24
	v_mov_b32_e32 v9, v22
	;; [unrolled: 1-line block ×7, first 2 shown]
	s_waitcnt vmcnt(0) lgkmcnt(0)
	ds_write2st64_b32 v28, v29, v30 offset1:4
	ds_write2st64_b32 v28, v31, v32 offset0:8 offset1:12
	ds_write2st64_b32 v28, v33, v34 offset0:16 offset1:20
	;; [unrolled: 1-line block ×6, first 2 shown]
	ds_write_b32 v28, v44 offset:14336
	s_waitcnt lgkmcnt(0)
	s_barrier
	s_add_i32 s33, s33, s60
	s_cbranch_execz .LBB121_7
	s_branch .LBB121_54
.LBB121_6:
                                        ; implicit-def: $vgpr1
                                        ; implicit-def: $vgpr12
                                        ; implicit-def: $vgpr14
                                        ; implicit-def: $vgpr16
                                        ; implicit-def: $vgpr18
                                        ; implicit-def: $vgpr20
                                        ; implicit-def: $vgpr22
                                        ; implicit-def: $vgpr24
                                        ; implicit-def: $vgpr40
                                        ; implicit-def: $vgpr2_vgpr3
                                        ; implicit-def: $vgpr4_vgpr5
                                        ; implicit-def: $vgpr8_vgpr9
                                        ; implicit-def: $vgpr6_vgpr7
	s_andn2_b64 vcc, exec, s[4:5]
	s_add_i32 s33, s33, s60
	s_cbranch_vccnz .LBB121_54
.LBB121_7:
	v_cmp_gt_u32_e32 vcc, s33, v0
                                        ; implicit-def: $vgpr1
	s_and_saveexec_b64 s[8:9], vcc
	s_cbranch_execz .LBB121_9
; %bb.8:
	v_lshlrev_b32_e32 v1, 2, v0
	v_add_co_u32_e64 v2, s[4:5], v10, v1
	v_addc_co_u32_e64 v3, s[4:5], 0, v11, s[4:5]
	flat_load_dword v1, v[2:3]
.LBB121_9:
	s_or_b64 exec, exec, s[8:9]
	v_or_b32_e32 v2, 0x100, v0
	v_cmp_gt_u32_e64 s[8:9], s33, v2
                                        ; implicit-def: $vgpr12
	s_and_saveexec_b64 s[10:11], s[8:9]
	s_cbranch_execz .LBB121_11
; %bb.10:
	v_lshlrev_b32_e32 v2, 2, v0
	v_add_co_u32_e64 v2, s[4:5], v10, v2
	v_addc_co_u32_e64 v3, s[4:5], 0, v11, s[4:5]
	flat_load_dword v12, v[2:3] offset:1024
.LBB121_11:
	s_or_b64 exec, exec, s[10:11]
	v_or_b32_e32 v2, 0x200, v0
	v_cmp_gt_u32_e64 s[10:11], s33, v2
                                        ; implicit-def: $vgpr13
	s_and_saveexec_b64 s[12:13], s[10:11]
	s_cbranch_execz .LBB121_13
; %bb.12:
	v_lshlrev_b32_e32 v2, 2, v0
	v_add_co_u32_e64 v2, s[4:5], v10, v2
	v_addc_co_u32_e64 v3, s[4:5], 0, v11, s[4:5]
	flat_load_dword v13, v[2:3] offset:2048
.LBB121_13:
	s_or_b64 exec, exec, s[12:13]
	v_or_b32_e32 v2, 0x300, v0
	v_cmp_gt_u32_e64 s[12:13], s33, v2
                                        ; implicit-def: $vgpr14
	s_and_saveexec_b64 s[14:15], s[12:13]
	s_cbranch_execz .LBB121_15
; %bb.14:
	v_lshlrev_b32_e32 v2, 2, v0
	v_add_co_u32_e64 v2, s[4:5], v10, v2
	v_addc_co_u32_e64 v3, s[4:5], 0, v11, s[4:5]
	flat_load_dword v14, v[2:3] offset:3072
.LBB121_15:
	s_or_b64 exec, exec, s[14:15]
	v_or_b32_e32 v2, 0x400, v0
	v_cmp_gt_u32_e64 s[14:15], s33, v2
                                        ; implicit-def: $vgpr15
	s_and_saveexec_b64 s[16:17], s[14:15]
	s_cbranch_execz .LBB121_17
; %bb.16:
	v_lshlrev_b32_e32 v3, 2, v2
	v_add_co_u32_e64 v4, s[4:5], v10, v3
	v_addc_co_u32_e64 v5, s[4:5], 0, v11, s[4:5]
	flat_load_dword v15, v[4:5]
.LBB121_17:
	s_or_b64 exec, exec, s[16:17]
	v_or_b32_e32 v3, 0x500, v0
	v_cmp_gt_u32_e64 s[16:17], s33, v3
                                        ; implicit-def: $vgpr16
	s_and_saveexec_b64 s[18:19], s[16:17]
	s_cbranch_execz .LBB121_19
; %bb.18:
	v_lshlrev_b32_e32 v4, 2, v3
	v_add_co_u32_e64 v4, s[4:5], v10, v4
	v_addc_co_u32_e64 v5, s[4:5], 0, v11, s[4:5]
	flat_load_dword v16, v[4:5]
.LBB121_19:
	s_or_b64 exec, exec, s[18:19]
	v_or_b32_e32 v4, 0x600, v0
	v_cmp_gt_u32_e64 s[18:19], s33, v4
                                        ; implicit-def: $vgpr17
	s_and_saveexec_b64 s[20:21], s[18:19]
	s_cbranch_execz .LBB121_21
; %bb.20:
	v_lshlrev_b32_e32 v5, 2, v4
	v_add_co_u32_e64 v6, s[4:5], v10, v5
	v_addc_co_u32_e64 v7, s[4:5], 0, v11, s[4:5]
	flat_load_dword v17, v[6:7]
.LBB121_21:
	s_or_b64 exec, exec, s[20:21]
	v_or_b32_e32 v5, 0x700, v0
	v_cmp_gt_u32_e64 s[20:21], s33, v5
                                        ; implicit-def: $vgpr18
	s_and_saveexec_b64 s[22:23], s[20:21]
	s_cbranch_execz .LBB121_23
; %bb.22:
	v_lshlrev_b32_e32 v6, 2, v5
	v_add_co_u32_e64 v6, s[4:5], v10, v6
	v_addc_co_u32_e64 v7, s[4:5], 0, v11, s[4:5]
	flat_load_dword v18, v[6:7]
.LBB121_23:
	s_or_b64 exec, exec, s[22:23]
	v_or_b32_e32 v6, 0x800, v0
	v_cmp_gt_u32_e64 s[22:23], s33, v6
                                        ; implicit-def: $vgpr19
	s_and_saveexec_b64 s[24:25], s[22:23]
	s_cbranch_execz .LBB121_25
; %bb.24:
	v_lshlrev_b32_e32 v7, 2, v6
	v_add_co_u32_e64 v8, s[4:5], v10, v7
	v_addc_co_u32_e64 v9, s[4:5], 0, v11, s[4:5]
	flat_load_dword v19, v[8:9]
.LBB121_25:
	s_or_b64 exec, exec, s[24:25]
	v_or_b32_e32 v8, 0x900, v0
	v_cmp_gt_u32_e64 s[24:25], s33, v8
                                        ; implicit-def: $vgpr20
	s_and_saveexec_b64 s[26:27], s[24:25]
	s_cbranch_execz .LBB121_27
; %bb.26:
	v_lshlrev_b32_e32 v7, 2, v8
	v_add_co_u32_e64 v20, s[4:5], v10, v7
	v_addc_co_u32_e64 v21, s[4:5], 0, v11, s[4:5]
	flat_load_dword v20, v[20:21]
.LBB121_27:
	s_or_b64 exec, exec, s[26:27]
	v_or_b32_e32 v9, 0xa00, v0
	v_cmp_gt_u32_e64 s[26:27], s33, v9
                                        ; implicit-def: $vgpr21
	s_and_saveexec_b64 s[28:29], s[26:27]
	s_cbranch_execz .LBB121_29
; %bb.28:
	v_lshlrev_b32_e32 v7, 2, v9
	v_add_co_u32_e64 v22, s[4:5], v10, v7
	v_addc_co_u32_e64 v23, s[4:5], 0, v11, s[4:5]
	flat_load_dword v21, v[22:23]
.LBB121_29:
	s_or_b64 exec, exec, s[28:29]
	v_or_b32_e32 v28, 0xb00, v0
	v_cmp_gt_u32_e64 s[28:29], s33, v28
                                        ; implicit-def: $vgpr22
	s_and_saveexec_b64 s[30:31], s[28:29]
	s_cbranch_execz .LBB121_31
; %bb.30:
	v_lshlrev_b32_e32 v7, 2, v28
	v_add_co_u32_e64 v22, s[4:5], v10, v7
	v_addc_co_u32_e64 v23, s[4:5], 0, v11, s[4:5]
	flat_load_dword v22, v[22:23]
.LBB121_31:
	s_or_b64 exec, exec, s[30:31]
	v_or_b32_e32 v29, 0xc00, v0
	v_cmp_gt_u32_e64 s[30:31], s33, v29
                                        ; implicit-def: $vgpr23
	s_and_saveexec_b64 s[34:35], s[30:31]
	s_cbranch_execz .LBB121_33
; %bb.32:
	v_lshlrev_b32_e32 v7, 2, v29
	v_add_co_u32_e64 v24, s[4:5], v10, v7
	v_addc_co_u32_e64 v25, s[4:5], 0, v11, s[4:5]
	flat_load_dword v23, v[24:25]
.LBB121_33:
	s_or_b64 exec, exec, s[34:35]
	v_or_b32_e32 v30, 0xd00, v0
	v_cmp_gt_u32_e64 s[34:35], s33, v30
                                        ; implicit-def: $vgpr24
	s_and_saveexec_b64 s[36:37], s[34:35]
	s_cbranch_execz .LBB121_35
; %bb.34:
	v_lshlrev_b32_e32 v7, 2, v30
	v_add_co_u32_e64 v24, s[4:5], v10, v7
	v_addc_co_u32_e64 v25, s[4:5], 0, v11, s[4:5]
	flat_load_dword v24, v[24:25]
.LBB121_35:
	s_or_b64 exec, exec, s[36:37]
	v_or_b32_e32 v31, 0xe00, v0
	v_cmp_gt_u32_e64 s[36:37], s33, v31
                                        ; implicit-def: $vgpr25
	s_and_saveexec_b64 s[42:43], s[36:37]
	s_cbranch_execz .LBB121_37
; %bb.36:
	v_lshlrev_b32_e32 v7, 2, v31
	v_add_co_u32_e64 v32, s[4:5], v10, v7
	v_addc_co_u32_e64 v33, s[4:5], 0, v11, s[4:5]
	flat_load_dword v25, v[32:33]
.LBB121_37:
	s_or_b64 exec, exec, s[42:43]
	v_lshlrev_b32_e32 v7, 2, v0
	v_mad_u32_u24 v40, v0, 56, v7
	s_waitcnt vmcnt(0) lgkmcnt(0)
	ds_write2st64_b32 v7, v1, v12 offset1:4
	ds_write2st64_b32 v7, v13, v14 offset0:8 offset1:12
	ds_write2st64_b32 v7, v15, v16 offset0:16 offset1:20
	;; [unrolled: 1-line block ×6, first 2 shown]
	ds_write_b32 v7, v25 offset:14336
	s_waitcnt lgkmcnt(0)
	s_barrier
	ds_read2_b32 v[24:25], v40 offset1:1
	ds_read2_b32 v[22:23], v40 offset0:2 offset1:3
	ds_read2_b32 v[20:21], v40 offset0:4 offset1:5
	;; [unrolled: 1-line block ×6, first 2 shown]
	ds_read_b32 v1, v40 offset:56
	s_waitcnt lgkmcnt(0)
	s_barrier
	s_waitcnt lgkmcnt(0)
                                        ; implicit-def: $vgpr32
	s_and_saveexec_b64 s[4:5], vcc
	s_cbranch_execz .LBB121_60
; %bb.38:
	v_add_co_u32_e32 v32, vcc, v26, v7
	v_addc_co_u32_e32 v33, vcc, 0, v27, vcc
	flat_load_dword v32, v[32:33]
	s_or_b64 exec, exec, s[4:5]
                                        ; implicit-def: $vgpr33
	s_and_saveexec_b64 s[4:5], s[8:9]
	s_cbranch_execnz .LBB121_61
.LBB121_39:
	s_or_b64 exec, exec, s[4:5]
                                        ; implicit-def: $vgpr34
	s_and_saveexec_b64 s[4:5], s[10:11]
	s_cbranch_execz .LBB121_62
.LBB121_40:
	v_add_co_u32_e32 v34, vcc, v26, v7
	v_addc_co_u32_e32 v35, vcc, 0, v27, vcc
	flat_load_dword v34, v[34:35] offset:2048
	s_or_b64 exec, exec, s[4:5]
                                        ; implicit-def: $vgpr35
	s_and_saveexec_b64 s[4:5], s[12:13]
	s_cbranch_execnz .LBB121_63
.LBB121_41:
	s_or_b64 exec, exec, s[4:5]
                                        ; implicit-def: $vgpr36
	s_and_saveexec_b64 s[4:5], s[14:15]
	s_cbranch_execz .LBB121_64
.LBB121_42:
	v_lshlrev_b32_e32 v2, 2, v2
	v_add_co_u32_e32 v36, vcc, v26, v2
	v_addc_co_u32_e32 v37, vcc, 0, v27, vcc
	flat_load_dword v36, v[36:37]
	s_or_b64 exec, exec, s[4:5]
                                        ; implicit-def: $vgpr2
	s_and_saveexec_b64 s[4:5], s[16:17]
	s_cbranch_execnz .LBB121_65
.LBB121_43:
	s_or_b64 exec, exec, s[4:5]
                                        ; implicit-def: $vgpr3
	s_and_saveexec_b64 s[4:5], s[18:19]
	s_cbranch_execz .LBB121_66
.LBB121_44:
	v_lshlrev_b32_e32 v3, 2, v4
	v_add_co_u32_e32 v38, vcc, v26, v3
	v_addc_co_u32_e32 v39, vcc, 0, v27, vcc
	flat_load_dword v3, v[38:39]
	s_or_b64 exec, exec, s[4:5]
                                        ; implicit-def: $vgpr4
	s_and_saveexec_b64 s[4:5], s[20:21]
	s_cbranch_execnz .LBB121_67
.LBB121_45:
	s_or_b64 exec, exec, s[4:5]
                                        ; implicit-def: $vgpr5
	s_and_saveexec_b64 s[4:5], s[22:23]
	s_cbranch_execz .LBB121_68
.LBB121_46:
	v_lshlrev_b32_e32 v5, 2, v6
	v_add_co_u32_e32 v38, vcc, v26, v5
	v_addc_co_u32_e32 v39, vcc, 0, v27, vcc
	flat_load_dword v5, v[38:39]
	s_or_b64 exec, exec, s[4:5]
                                        ; implicit-def: $vgpr6
	s_and_saveexec_b64 s[4:5], s[24:25]
	s_cbranch_execnz .LBB121_69
.LBB121_47:
	s_or_b64 exec, exec, s[4:5]
                                        ; implicit-def: $vgpr8
	s_and_saveexec_b64 s[4:5], s[26:27]
	s_cbranch_execz .LBB121_70
.LBB121_48:
	v_lshlrev_b32_e32 v8, 2, v9
	v_add_co_u32_e32 v8, vcc, v26, v8
	v_addc_co_u32_e32 v9, vcc, 0, v27, vcc
	flat_load_dword v8, v[8:9]
	s_or_b64 exec, exec, s[4:5]
                                        ; implicit-def: $vgpr9
	s_and_saveexec_b64 s[4:5], s[28:29]
	s_cbranch_execnz .LBB121_71
.LBB121_49:
	s_or_b64 exec, exec, s[4:5]
                                        ; implicit-def: $vgpr28
	s_and_saveexec_b64 s[4:5], s[30:31]
	s_cbranch_execz .LBB121_72
.LBB121_50:
	v_lshlrev_b32_e32 v28, 2, v29
	v_add_co_u32_e32 v28, vcc, v26, v28
	v_addc_co_u32_e32 v29, vcc, 0, v27, vcc
	flat_load_dword v28, v[28:29]
	s_or_b64 exec, exec, s[4:5]
                                        ; implicit-def: $vgpr29
	s_and_saveexec_b64 s[4:5], s[34:35]
	s_cbranch_execnz .LBB121_73
.LBB121_51:
	s_or_b64 exec, exec, s[4:5]
                                        ; implicit-def: $vgpr30
	s_and_saveexec_b64 s[4:5], s[36:37]
	s_cbranch_execz .LBB121_53
.LBB121_52:
	v_lshlrev_b32_e32 v30, 2, v31
	v_add_co_u32_e32 v26, vcc, v26, v30
	v_addc_co_u32_e32 v27, vcc, 0, v27, vcc
	flat_load_dword v30, v[26:27]
.LBB121_53:
	s_or_b64 exec, exec, s[4:5]
	s_waitcnt vmcnt(0) lgkmcnt(0)
	ds_write2st64_b32 v7, v32, v33 offset1:4
	ds_write2st64_b32 v7, v34, v35 offset0:8 offset1:12
	ds_write2st64_b32 v7, v36, v2 offset0:16 offset1:20
	;; [unrolled: 1-line block ×6, first 2 shown]
	ds_write_b32 v7, v30 offset:14336
	v_mov_b32_e32 v8, v24
	v_mov_b32_e32 v9, v22
	;; [unrolled: 1-line block ×7, first 2 shown]
	s_waitcnt lgkmcnt(0)
	s_barrier
.LBB121_54:
	ds_read2_b32 v[38:39], v40 offset1:1
	ds_read2_b32 v[36:37], v40 offset0:2 offset1:3
	ds_read2_b32 v[34:35], v40 offset0:4 offset1:5
	ds_read2_b32 v[32:33], v40 offset0:6 offset1:7
	ds_read2_b32 v[30:31], v40 offset0:8 offset1:9
	ds_read2_b32 v[28:29], v40 offset0:10 offset1:11
	ds_read2_b32 v[26:27], v40 offset0:12 offset1:13
	ds_read_b32 v59, v40 offset:56
	s_cmp_eq_u64 s[44:45], 0
	s_cselect_b64 s[42:43], -1, 0
	s_cmp_lg_u64 s[44:45], 0
	s_mov_b64 s[8:9], 0
	s_cselect_b64 s[10:11], -1, 0
	s_and_b64 vcc, exec, s[52:53]
	s_waitcnt lgkmcnt(0)
	s_barrier
	s_cbranch_vccz .LBB121_74
; %bb.55:
	s_and_b64 vcc, exec, s[10:11]
	s_cbranch_vccz .LBB121_108
; %bb.56:
	v_add_co_u32_e32 v40, vcc, -4, v10
	v_addc_co_u32_e32 v41, vcc, -1, v11, vcc
	flat_load_dword v7, v[40:41]
	v_lshlrev_b32_e32 v40, 2, v0
	ds_write_b32 v40, v1
	s_waitcnt lgkmcnt(0)
	s_barrier
	s_and_saveexec_b64 s[4:5], s[6:7]
	s_cbranch_execz .LBB121_58
; %bb.57:
	s_waitcnt vmcnt(0)
	v_add_u32_e32 v7, -4, v40
	ds_read_b32 v7, v7
.LBB121_58:
	s_or_b64 exec, exec, s[4:5]
	v_cmp_neq_f32_e32 vcc, v8, v25
	v_cndmask_b32_e64 v57, 0, 1, vcc
	v_cmp_neq_f32_e32 vcc, v9, v25
	v_cndmask_b32_e64 v56, 0, 1, vcc
	;; [unrolled: 2-line block ×14, first 2 shown]
	s_waitcnt vmcnt(0) lgkmcnt(0)
	v_cmp_neq_f32_e64 s[4:5], v7, v24
	s_mov_b64 s[8:9], -1
.LBB121_59:
                                        ; implicit-def: $sgpr14
	s_branch .LBB121_75
.LBB121_60:
	s_or_b64 exec, exec, s[4:5]
                                        ; implicit-def: $vgpr33
	s_and_saveexec_b64 s[4:5], s[8:9]
	s_cbranch_execz .LBB121_39
.LBB121_61:
	v_add_co_u32_e32 v34, vcc, v26, v7
	v_addc_co_u32_e32 v35, vcc, 0, v27, vcc
	flat_load_dword v33, v[34:35] offset:1024
	s_or_b64 exec, exec, s[4:5]
                                        ; implicit-def: $vgpr34
	s_and_saveexec_b64 s[4:5], s[10:11]
	s_cbranch_execnz .LBB121_40
.LBB121_62:
	s_or_b64 exec, exec, s[4:5]
                                        ; implicit-def: $vgpr35
	s_and_saveexec_b64 s[4:5], s[12:13]
	s_cbranch_execz .LBB121_41
.LBB121_63:
	v_add_co_u32_e32 v36, vcc, v26, v7
	v_addc_co_u32_e32 v37, vcc, 0, v27, vcc
	flat_load_dword v35, v[36:37] offset:3072
	s_or_b64 exec, exec, s[4:5]
                                        ; implicit-def: $vgpr36
	s_and_saveexec_b64 s[4:5], s[14:15]
	s_cbranch_execnz .LBB121_42
.LBB121_64:
	s_or_b64 exec, exec, s[4:5]
                                        ; implicit-def: $vgpr2
	s_and_saveexec_b64 s[4:5], s[16:17]
	s_cbranch_execz .LBB121_43
.LBB121_65:
	v_lshlrev_b32_e32 v2, 2, v3
	v_add_co_u32_e32 v2, vcc, v26, v2
	v_addc_co_u32_e32 v3, vcc, 0, v27, vcc
	flat_load_dword v2, v[2:3]
	s_or_b64 exec, exec, s[4:5]
                                        ; implicit-def: $vgpr3
	s_and_saveexec_b64 s[4:5], s[18:19]
	s_cbranch_execnz .LBB121_44
.LBB121_66:
	s_or_b64 exec, exec, s[4:5]
                                        ; implicit-def: $vgpr4
	s_and_saveexec_b64 s[4:5], s[20:21]
	s_cbranch_execz .LBB121_45
.LBB121_67:
	v_lshlrev_b32_e32 v4, 2, v5
	v_add_co_u32_e32 v4, vcc, v26, v4
	v_addc_co_u32_e32 v5, vcc, 0, v27, vcc
	flat_load_dword v4, v[4:5]
	s_or_b64 exec, exec, s[4:5]
                                        ; implicit-def: $vgpr5
	s_and_saveexec_b64 s[4:5], s[22:23]
	s_cbranch_execnz .LBB121_46
.LBB121_68:
	s_or_b64 exec, exec, s[4:5]
                                        ; implicit-def: $vgpr6
	s_and_saveexec_b64 s[4:5], s[24:25]
	s_cbranch_execz .LBB121_47
.LBB121_69:
	v_lshlrev_b32_e32 v6, 2, v8
	v_add_co_u32_e32 v38, vcc, v26, v6
	v_addc_co_u32_e32 v39, vcc, 0, v27, vcc
	flat_load_dword v6, v[38:39]
	s_or_b64 exec, exec, s[4:5]
                                        ; implicit-def: $vgpr8
	s_and_saveexec_b64 s[4:5], s[26:27]
	s_cbranch_execnz .LBB121_48
.LBB121_70:
	s_or_b64 exec, exec, s[4:5]
                                        ; implicit-def: $vgpr9
	s_and_saveexec_b64 s[4:5], s[28:29]
	s_cbranch_execz .LBB121_49
.LBB121_71:
	v_lshlrev_b32_e32 v9, 2, v28
	v_add_co_u32_e32 v38, vcc, v26, v9
	v_addc_co_u32_e32 v39, vcc, 0, v27, vcc
	flat_load_dword v9, v[38:39]
	s_or_b64 exec, exec, s[4:5]
                                        ; implicit-def: $vgpr28
	s_and_saveexec_b64 s[4:5], s[30:31]
	s_cbranch_execnz .LBB121_50
.LBB121_72:
	s_or_b64 exec, exec, s[4:5]
                                        ; implicit-def: $vgpr29
	s_and_saveexec_b64 s[4:5], s[34:35]
	s_cbranch_execz .LBB121_51
.LBB121_73:
	v_lshlrev_b32_e32 v29, 2, v30
	v_add_co_u32_e32 v38, vcc, v26, v29
	v_addc_co_u32_e32 v39, vcc, 0, v27, vcc
	flat_load_dword v29, v[38:39]
	s_or_b64 exec, exec, s[4:5]
                                        ; implicit-def: $vgpr30
	s_and_saveexec_b64 s[4:5], s[36:37]
	s_cbranch_execnz .LBB121_52
	s_branch .LBB121_53
.LBB121_74:
                                        ; implicit-def: $sgpr4_sgpr5
                                        ; implicit-def: $vgpr44
                                        ; implicit-def: $vgpr45
                                        ; implicit-def: $vgpr46
                                        ; implicit-def: $vgpr47
                                        ; implicit-def: $vgpr48
                                        ; implicit-def: $vgpr49
                                        ; implicit-def: $vgpr50
                                        ; implicit-def: $vgpr51
                                        ; implicit-def: $vgpr52
                                        ; implicit-def: $vgpr53
                                        ; implicit-def: $vgpr54
                                        ; implicit-def: $vgpr55
                                        ; implicit-def: $vgpr56
                                        ; implicit-def: $vgpr57
                                        ; implicit-def: $sgpr14
	s_cbranch_execnz .LBB121_112
.LBB121_75:
	v_mov_b32_e32 v58, s14
	s_and_saveexec_b64 s[6:7], s[8:9]
.LBB121_76:
	v_cndmask_b32_e64 v58, 0, 1, s[4:5]
.LBB121_77:
	s_or_b64 exec, exec, s[6:7]
	s_cmp_eq_u64 s[50:51], 0
	v_add3_u32 v2, v57, v58, v56
	s_mov_b64 s[44:45], 0
	s_cselect_b64 s[36:37], -1, 0
	s_cmp_lg_u32 s66, 0
	v_add_f32_e32 v78, v38, v39
	v_cmp_eq_u32_e64 s[30:31], 0, v57
	v_cmp_eq_u32_e64 s[28:29], 0, v56
	;; [unrolled: 1-line block ×3, first 2 shown]
	v_add3_u32 v77, v2, v55, v54
	v_cmp_eq_u32_e64 s[26:27], 0, v54
	v_cmp_eq_u32_e64 s[22:23], 0, v53
	;; [unrolled: 1-line block ×10, first 2 shown]
	v_cmp_eq_u32_e32 vcc, 0, v44
	v_mbcnt_lo_u32_b32 v76, -1, 0
	v_lshrrev_b32_e32 v74, 6, v0
	v_or_b32_e32 v75, 63, v0
	s_cbranch_scc0 .LBB121_106
; %bb.78:
	v_cndmask_b32_e64 v2, v39, v78, s[30:31]
	v_add_f32_e32 v2, v36, v2
	v_cndmask_b32_e64 v2, v36, v2, s[28:29]
	v_add_f32_e32 v2, v37, v2
	;; [unrolled: 2-line block ×11, first 2 shown]
	v_cndmask_b32_e64 v2, v26, v2, s[8:9]
	v_add3_u32 v3, v77, v53, v52
	v_add_f32_e32 v2, v27, v2
	v_add3_u32 v3, v3, v51, v50
	v_cndmask_b32_e64 v2, v27, v2, s[6:7]
	v_add3_u32 v3, v3, v49, v48
	v_add_f32_e32 v2, v59, v2
	v_add3_u32 v3, v3, v47, v46
	v_cndmask_b32_e32 v2, v59, v2, vcc
	v_add3_u32 v3, v3, v45, v44
	v_mbcnt_hi_u32_b32 v8, -1, v76
	v_mov_b32_dpp v6, v2 row_shr:1 row_mask:0xf bank_mask:0xf
	v_and_b32_e32 v4, 15, v8
	v_add_f32_e32 v6, v2, v6
	v_cmp_eq_u32_e32 vcc, 0, v3
	v_mov_b32_dpp v5, v3 row_shr:1 row_mask:0xf bank_mask:0xf
	v_cndmask_b32_e32 v6, v2, v6, vcc
	v_cmp_eq_u32_e32 vcc, 0, v4
	v_cndmask_b32_e64 v5, v5, 0, vcc
	v_cndmask_b32_e32 v2, v6, v2, vcc
	v_add_u32_e32 v3, v5, v3
	v_cmp_eq_u32_e32 vcc, 0, v3
	v_mov_b32_dpp v6, v2 row_shr:2 row_mask:0xf bank_mask:0xf
	v_add_f32_e32 v6, v2, v6
	v_mov_b32_dpp v5, v3 row_shr:2 row_mask:0xf bank_mask:0xf
	v_cndmask_b32_e32 v6, v2, v6, vcc
	v_cmp_lt_u32_e32 vcc, 1, v4
	v_cndmask_b32_e32 v2, v2, v6, vcc
	v_cndmask_b32_e32 v5, 0, v5, vcc
	v_add_u32_e32 v3, v3, v5
	v_mov_b32_dpp v6, v2 row_shr:4 row_mask:0xf bank_mask:0xf
	v_add_f32_e32 v6, v2, v6
	v_cmp_eq_u32_e32 vcc, 0, v3
	v_mov_b32_dpp v5, v3 row_shr:4 row_mask:0xf bank_mask:0xf
	v_cndmask_b32_e32 v6, v2, v6, vcc
	v_cmp_lt_u32_e32 vcc, 3, v4
	v_cndmask_b32_e32 v2, v2, v6, vcc
	v_cndmask_b32_e32 v5, 0, v5, vcc
	v_add_u32_e32 v3, v5, v3
	v_mov_b32_dpp v6, v2 row_shr:8 row_mask:0xf bank_mask:0xf
	v_add_f32_e32 v6, v2, v6
	v_cmp_eq_u32_e32 vcc, 0, v3
	v_mov_b32_dpp v5, v3 row_shr:8 row_mask:0xf bank_mask:0xf
	v_cndmask_b32_e32 v6, v2, v6, vcc
	v_cmp_lt_u32_e32 vcc, 7, v4
	v_cndmask_b32_e32 v2, v2, v6, vcc
	v_cndmask_b32_e32 v4, 0, v5, vcc
	v_add_u32_e32 v3, v4, v3
	v_mov_b32_dpp v5, v2 row_bcast:15 row_mask:0xf bank_mask:0xf
	v_bfe_i32 v6, v8, 4, 1
	v_mov_b32_dpp v4, v3 row_bcast:15 row_mask:0xf bank_mask:0xf
	v_and_b32_e32 v7, 16, v8
	v_add_f32_e32 v5, v2, v5
	v_cmp_eq_u32_e32 vcc, 0, v3
	v_cndmask_b32_e32 v5, v2, v5, vcc
	v_and_b32_e32 v4, v6, v4
	v_cmp_eq_u32_e32 vcc, 0, v7
	v_add_u32_e32 v4, v4, v3
	v_cndmask_b32_e32 v3, v5, v2, vcc
	v_cmp_eq_u32_e32 vcc, 0, v4
	v_mov_b32_dpp v2, v4 row_bcast:31 row_mask:0xf bank_mask:0xf
	v_mov_b32_dpp v5, v3 row_bcast:31 row_mask:0xf bank_mask:0xf
	v_add_f32_e32 v5, v3, v5
	v_cndmask_b32_e32 v5, v3, v5, vcc
	v_cmp_lt_u32_e32 vcc, 31, v8
	v_cndmask_b32_e32 v2, 0, v2, vcc
	v_add_u32_e32 v2, v2, v4
	v_cmp_eq_u32_e64 s[4:5], v75, v0
	v_cndmask_b32_e32 v4, v3, v5, vcc
	s_and_saveexec_b64 s[34:35], s[4:5]
	s_cbranch_execz .LBB121_80
; %bb.79:
	v_lshlrev_b32_e32 v6, 3, v74
	v_cndmask_b32_e32 v3, v3, v5, vcc
	ds_write_b64 v6, v[2:3] offset:2064
.LBB121_80:
	s_or_b64 exec, exec, s[34:35]
	v_cmp_gt_u32_e32 vcc, 4, v0
	s_waitcnt lgkmcnt(0)
	s_barrier
	s_and_saveexec_b64 s[34:35], vcc
	s_cbranch_execz .LBB121_82
; %bb.81:
	v_lshlrev_b32_e32 v3, 3, v0
	ds_read_b64 v[6:7], v3 offset:2064
	v_and_b32_e32 v5, 3, v8
	v_cmp_lt_u32_e64 s[4:5], 1, v5
	s_waitcnt lgkmcnt(0)
	v_mov_b32_dpp v10, v7 row_shr:1 row_mask:0xf bank_mask:0xf
	v_add_f32_e32 v10, v7, v10
	v_cmp_eq_u32_e32 vcc, 0, v6
	v_mov_b32_dpp v9, v6 row_shr:1 row_mask:0xf bank_mask:0xf
	v_cndmask_b32_e32 v10, v7, v10, vcc
	v_cmp_eq_u32_e32 vcc, 0, v5
	v_cndmask_b32_e64 v9, v9, 0, vcc
	v_add_u32_e32 v6, v9, v6
	v_cndmask_b32_e32 v7, v10, v7, vcc
	v_cmp_eq_u32_e32 vcc, 0, v6
	v_mov_b32_dpp v9, v6 row_shr:2 row_mask:0xf bank_mask:0xf
	v_mov_b32_dpp v10, v7 row_shr:2 row_mask:0xf bank_mask:0xf
	v_add_f32_e32 v10, v7, v10
	v_cndmask_b32_e64 v5, 0, v9, s[4:5]
	s_and_b64 vcc, s[4:5], vcc
	v_add_u32_e32 v6, v5, v6
	v_cndmask_b32_e32 v7, v7, v10, vcc
	ds_write_b64 v3, v[6:7] offset:2064
.LBB121_82:
	s_or_b64 exec, exec, s[34:35]
	v_cmp_gt_u32_e32 vcc, 64, v0
	v_cmp_lt_u32_e64 s[4:5], 63, v0
	v_mov_b32_e32 v40, 0
	v_mov_b32_e32 v41, 0
	s_waitcnt lgkmcnt(0)
	s_barrier
	s_and_saveexec_b64 s[34:35], s[4:5]
	s_cbranch_execz .LBB121_84
; %bb.83:
	v_lshlrev_b32_e32 v3, 3, v74
	ds_read_b64 v[40:41], v3 offset:2056
	v_cmp_eq_u32_e64 s[4:5], 0, v2
	s_waitcnt lgkmcnt(0)
	v_add_u32_e32 v3, v40, v2
	v_add_f32_e32 v5, v4, v41
	v_cndmask_b32_e64 v4, v4, v5, s[4:5]
	v_mov_b32_e32 v2, v3
.LBB121_84:
	s_or_b64 exec, exec, s[34:35]
	v_add_u32_e32 v3, -1, v8
	v_and_b32_e32 v5, 64, v8
	v_cmp_lt_i32_e64 s[4:5], v3, v5
	v_cndmask_b32_e64 v3, v3, v8, s[4:5]
	v_lshlrev_b32_e32 v3, 2, v3
	ds_bpermute_b32 v79, v3, v2
	ds_bpermute_b32 v80, v3, v4
	v_cmp_eq_u32_e64 s[34:35], 0, v8
	s_mov_b64 s[52:53], -1
	s_mov_b64 s[4:5], 0
	s_and_saveexec_b64 s[50:51], vcc
                                        ; implicit-def: $vgpr3_vgpr4_vgpr5
	s_cbranch_execz .LBB121_140
; %bb.85:
	v_mov_b32_e32 v7, 0
	ds_read_b64 v[2:3], v7 offset:2088
	s_waitcnt lgkmcnt(0)
	v_readfirstlane_b32 s60, v3
	s_and_saveexec_b64 s[4:5], s[34:35]
	s_cbranch_execz .LBB121_87
; %bb.86:
	s_add_i32 s52, s66, 64
	s_mov_b32 s53, 0
	s_lshl_b64 s[54:55], s[52:53], 4
	s_add_u32 s54, s48, s54
	s_addc_u32 s55, s49, s55
	s_and_b32 s69, s60, 0xff000000
	s_mov_b32 s68, s53
	s_and_b32 s71, s60, 0xff0000
	s_mov_b32 s70, s53
	s_or_b64 s[68:69], s[70:71], s[68:69]
	s_and_b32 s71, s60, 0xff00
	s_or_b64 s[68:69], s[68:69], s[70:71]
	s_and_b32 s71, s60, 0xff
	s_or_b64 s[52:53], s[68:69], s[70:71]
	v_mov_b32_e32 v5, s53
	v_mov_b32_e32 v6, 1
	;; [unrolled: 1-line block ×3, first 2 shown]
	v_pk_mov_b32 v[10:11], s[54:55], s[54:55] op_sel:[0,1]
	;;#ASMSTART
	global_store_dwordx4 v[10:11], v[4:7] off	
s_waitcnt vmcnt(0)
	;;#ASMEND
.LBB121_87:
	s_or_b64 exec, exec, s[4:5]
	v_xad_u32 v42, v8, -1, s66
	v_add_u32_e32 v6, 64, v42
	v_lshlrev_b64 v[4:5], 4, v[6:7]
	buffer_store_dword v7, off, s[0:3], 0
	buffer_store_dword v7, off, s[0:3], 0 offset:4
	buffer_store_dword v7, off, s[0:3], 0 offset:8
	;; [unrolled: 1-line block ×7, first 2 shown]
	v_mov_b32_e32 v6, s49
	v_add_co_u32_e32 v4, vcc, s48, v4
	s_mov_b32 s4, 0x70605
	v_addc_co_u32_e32 v5, vcc, v6, v5, vcc
	;;#ASMSTART
	global_load_dwordx4 v[8:11], v[4:5] off glc	
s_waitcnt vmcnt(0)
	;;#ASMEND
	v_perm_b32 v6, v9, v10, s4
	s_mov_b32 s4, 0x1000706
	v_perm_b32 v43, v9, v10, s4
	s_mov_b32 s4, 0x2010007
	v_perm_b32 v60, v9, v10, s4
	v_lshlrev_b32_e32 v6, 8, v6
	s_mov_b32 s4, 0xc0c0500
	v_alignbit_b32 v11, v9, v8, 8
	v_alignbit_b32 v62, v9, v8, 16
	;; [unrolled: 1-line block ×3, first 2 shown]
	v_perm_b32 v6, v6, v9, s4
	v_lshlrev_b32_e32 v9, 16, v43
	v_and_b32_e32 v9, 0xff0000, v9
	v_lshlrev_b32_e32 v43, 24, v60
	v_or3_b32 v9, v6, v9, v43
	v_cmp_eq_u16_sdwa s[52:53], v10, v7 src0_sel:BYTE_0 src1_sel:DWORD
	s_and_saveexec_b64 s[4:5], s[52:53]
	s_cbranch_execz .LBB121_91
; %bb.88:
	s_mov_b64 s[52:53], 0
	v_mov_b32_e32 v6, 0
.LBB121_89:                             ; =>This Inner Loop Header: Depth=1
	;;#ASMSTART
	global_load_dwordx4 v[8:11], v[4:5] off glc	
s_waitcnt vmcnt(0)
	;;#ASMEND
	v_cmp_ne_u16_sdwa s[54:55], v10, v6 src0_sel:BYTE_0 src1_sel:DWORD
	s_or_b64 s[52:53], s[54:55], s[52:53]
	s_andn2_b64 exec, exec, s[52:53]
	s_cbranch_execnz .LBB121_89
; %bb.90:
	s_or_b64 exec, exec, s[52:53]
	s_mov_b32 s52, 0x70605
	v_perm_b32 v4, v9, v10, s52
	s_mov_b32 s52, 0x1000706
	v_perm_b32 v5, v9, v10, s52
	;; [unrolled: 2-line block ×3, first 2 shown]
	v_lshlrev_b32_e32 v4, 8, v4
	s_mov_b32 s52, 0xc0c0500
	v_lshlrev_b32_e32 v5, 16, v5
	v_perm_b32 v4, v4, v9, s52
	v_lshlrev_b32_e32 v6, 24, v6
	v_and_b32_e32 v5, 0xff0000, v5
	v_alignbit_b32 v11, v9, v8, 8
	v_alignbit_b32 v62, v9, v8, 16
	;; [unrolled: 1-line block ×3, first 2 shown]
	v_or3_b32 v9, v4, v5, v6
.LBB121_91:
	s_or_b64 exec, exec, s[4:5]
	s_mov_b32 s54, 0
	s_mov_b32 s67, 0x4020c0c
	s_movk_i32 s68, 0xff
	v_mov_b32_e32 v61, 0
	v_mov_b32_e32 v5, 0
	s_mov_b32 s69, 0x70605
	s_mov_b32 s70, 0x1000706
	;; [unrolled: 1-line block ×4, first 2 shown]
	v_mov_b32_e32 v63, 2
	s_branch .LBB121_93
.LBB121_92:                             ;   in Loop: Header=BB121_93 Depth=1
	s_or_b64 exec, exec, s[52:53]
	s_add_i32 s54, s61, 1
	v_subrev_u32_e32 v42, 64, v4
	s_cbranch_execz .LBB121_99
.LBB121_93:                             ; =>This Loop Header: Depth=1
                                        ;     Child Loop BB121_96 Depth 2
	v_mov_b32_e32 v6, v10
	v_cmp_ne_u16_sdwa s[4:5], v6, v63 src0_sel:BYTE_0 src1_sel:DWORD
	v_cmp_ne_u16_sdwa s[52:53], v6, s68 src0_sel:BYTE_0 src1_sel:DWORD
	s_and_b64 s[52:53], s[4:5], s[52:53]
	v_lshlrev_b32_e32 v10, 8, v11
	v_cndmask_b32_e64 v11, 0, 1, s[52:53]
	;;#ASMSTART
	;;#ASMEND
	v_cmp_ne_u32_e32 vcc, 0, v11
	s_cmp_eq_u64 vcc, exec
	s_cselect_b64 s[52:53], -1, 0
	s_cmp_lt_u32 s54, 4
	s_mov_b32 s61, s54
	v_mov_b32_e32 v7, v9
	v_lshlrev_b32_e32 v9, 16, v62
	s_cselect_b64 s[54:55], -1, 0
	v_perm_b32 v9, v64, v9, s67
	v_and_b32_e32 v10, 0xff00, v10
	v_and_b32_e32 v8, 0xff, v8
	s_and_b64 s[52:53], s[52:53], s[54:55]
	v_mov_b32_e32 v4, v42
	s_andn2_b64 vcc, exec, s[52:53]
	v_or3_b32 v60, v9, v10, v8
	s_cbranch_vccnz .LBB121_98
; %bb.94:                               ;   in Loop: Header=BB121_93 Depth=1
	s_lshl_b32 s52, s61, 3
	v_add_u32_e32 v8, s52, v61
	buffer_store_dword v60, v8, s[0:3], 0 offen
	buffer_store_dword v7, v8, s[0:3], 0 offen offset:4
	v_lshlrev_b64 v[8:9], 4, v[4:5]
	v_mov_b32_e32 v10, s49
	v_add_co_u32_e32 v42, vcc, s48, v8
	v_addc_co_u32_e32 v43, vcc, v10, v9, vcc
	;;#ASMSTART
	global_load_dwordx4 v[8:11], v[42:43] off glc	
s_waitcnt vmcnt(0)
	;;#ASMEND
	v_perm_b32 v65, v9, v10, s69
	v_perm_b32 v66, v9, v10, s70
	v_lshlrev_b32_e32 v65, 8, v65
	v_alignbit_b32 v11, v9, v8, 8
	v_alignbit_b32 v62, v9, v8, 16
	;; [unrolled: 1-line block ×3, first 2 shown]
	v_perm_b32 v67, v9, v10, s71
	v_perm_b32 v9, v65, v9, s72
	v_lshlrev_b32_e32 v65, 16, v66
	v_and_b32_e32 v65, 0xff0000, v65
	v_lshlrev_b32_e32 v66, 24, v67
	v_or3_b32 v9, v9, v65, v66
	v_cmp_eq_u16_sdwa s[54:55], v10, v5 src0_sel:BYTE_0 src1_sel:DWORD
	s_and_saveexec_b64 s[52:53], s[54:55]
	s_cbranch_execz .LBB121_92
; %bb.95:                               ;   in Loop: Header=BB121_93 Depth=1
	s_mov_b64 s[54:55], 0
.LBB121_96:                             ;   Parent Loop BB121_93 Depth=1
                                        ; =>  This Inner Loop Header: Depth=2
	;;#ASMSTART
	global_load_dwordx4 v[8:11], v[42:43] off glc	
s_waitcnt vmcnt(0)
	;;#ASMEND
	v_cmp_ne_u16_sdwa s[74:75], v10, v5 src0_sel:BYTE_0 src1_sel:DWORD
	s_or_b64 s[54:55], s[74:75], s[54:55]
	s_andn2_b64 exec, exec, s[54:55]
	s_cbranch_execnz .LBB121_96
; %bb.97:                               ;   in Loop: Header=BB121_93 Depth=1
	s_or_b64 exec, exec, s[54:55]
	v_perm_b32 v42, v9, v10, s69
	v_perm_b32 v43, v9, v10, s70
	v_lshlrev_b32_e32 v42, 8, v42
	v_alignbit_b32 v11, v9, v8, 8
	v_alignbit_b32 v62, v9, v8, 16
	;; [unrolled: 1-line block ×3, first 2 shown]
	v_perm_b32 v65, v9, v10, s71
	v_perm_b32 v9, v42, v9, s72
	v_lshlrev_b32_e32 v42, 16, v43
	v_lshlrev_b32_e32 v43, 24, v65
	v_and_b32_e32 v42, 0xff0000, v42
	v_or3_b32 v9, v9, v42, v43
	s_branch .LBB121_92
.LBB121_98:
                                        ; implicit-def: $vgpr42
                                        ; implicit-def: $sgpr54
                                        ; implicit-def: $vgpr10
                                        ; implicit-def: $vgpr9
                                        ; implicit-def: $vgpr11
                                        ; implicit-def: $vgpr62
                                        ; implicit-def: $vgpr64
.LBB121_99:
	v_cndmask_b32_e64 v5, 0, 1, s[4:5]
	;;#ASMSTART
	;;#ASMEND
	v_cmp_ne_u32_e32 vcc, 0, v5
	s_cmp_lg_u64 vcc, exec
	s_cbranch_scc1 .LBB121_121
; %bb.100:
	s_movk_i32 s4, 0xff
	v_cmp_eq_u16_sdwa s[4:5], v6, s4 src0_sel:BYTE_0 src1_sel:DWORD
	v_cndmask_b32_e64 v5, 0, 1, s[4:5]
	;;#ASMSTART
	;;#ASMEND
	v_cmp_ne_u32_e32 vcc, 0, v5
	s_cmp_eq_u64 vcc, exec
	v_add_u32_e32 v5, 64, v4
	s_cselect_b64 vcc, -1, 0
	v_cndmask_b32_e32 v4, v4, v5, vcc
	v_add_u32_e32 v8, 64, v4
	v_mov_b32_e32 v9, 0
	v_lshlrev_b64 v[4:5], 4, v[8:9]
	v_mov_b32_e32 v6, s49
	v_add_co_u32_e64 v10, s[4:5], s48, v4
	v_addc_co_u32_e64 v11, s[4:5], v6, v5, s[4:5]
	s_mov_b32 s54, 0x70605
	s_mov_b32 s55, 0x1000706
	;; [unrolled: 1-line block ×4, first 2 shown]
	v_mov_b32_e32 v8, 2
	s_branch .LBB121_102
.LBB121_101:                            ;   in Loop: Header=BB121_102 Depth=1
	s_or_b64 exec, exec, s[4:5]
	v_cmp_ne_u16_sdwa s[4:5], v6, v8 src0_sel:BYTE_0 src1_sel:DWORD
	v_cndmask_b32_e64 v5, 0, 1, s[4:5]
	;;#ASMSTART
	;;#ASMEND
	v_cmp_ne_u32_e64 s[4:5], 0, v5
	s_cmp_eq_u64 s[4:5], exec
	s_cbranch_scc0 .LBB121_120
.LBB121_102:                            ; =>This Loop Header: Depth=1
                                        ;     Child Loop BB121_104 Depth 2
	;;#ASMSTART
	global_load_dwordx4 v[4:7], v[10:11] off glc	
s_waitcnt vmcnt(0)
	;;#ASMEND
	v_perm_b32 v7, v5, v6, s54
	v_perm_b32 v61, v5, v6, s55
	v_lshlrev_b32_e32 v7, 8, v7
	v_alignbit_b32 v42, v5, v4, 8
	v_alignbit_b32 v60, v5, v4, 16
	;; [unrolled: 1-line block ×3, first 2 shown]
	v_perm_b32 v62, v5, v6, s67
	v_perm_b32 v5, v7, v5, s68
	v_lshlrev_b32_e32 v7, 16, v61
	v_and_b32_e32 v7, 0xff0000, v7
	v_lshlrev_b32_e32 v61, 24, v62
	v_or3_b32 v7, v5, v7, v61
	v_cmp_eq_u16_sdwa s[52:53], v6, v9 src0_sel:BYTE_0 src1_sel:DWORD
	s_and_saveexec_b64 s[4:5], s[52:53]
	s_cbranch_execz .LBB121_101
; %bb.103:                              ;   in Loop: Header=BB121_102 Depth=1
	s_mov_b64 s[52:53], 0
.LBB121_104:                            ;   Parent Loop BB121_102 Depth=1
                                        ; =>  This Inner Loop Header: Depth=2
	;;#ASMSTART
	global_load_dwordx4 v[4:7], v[10:11] off glc	
s_waitcnt vmcnt(0)
	;;#ASMEND
	v_cmp_ne_u16_sdwa s[70:71], v6, v9 src0_sel:BYTE_0 src1_sel:DWORD
	s_or_b64 s[52:53], s[70:71], s[52:53]
	s_andn2_b64 exec, exec, s[52:53]
	s_cbranch_execnz .LBB121_104
; %bb.105:                              ;   in Loop: Header=BB121_102 Depth=1
	s_or_b64 exec, exec, s[52:53]
	v_perm_b32 v7, v5, v6, s54
	v_perm_b32 v61, v5, v6, s55
	v_lshlrev_b32_e32 v7, 8, v7
	v_alignbit_b32 v42, v5, v4, 8
	v_alignbit_b32 v60, v5, v4, 16
	;; [unrolled: 1-line block ×3, first 2 shown]
	v_perm_b32 v62, v5, v6, s67
	v_perm_b32 v5, v7, v5, s68
	v_lshlrev_b32_e32 v7, 16, v61
	v_lshlrev_b32_e32 v61, 24, v62
	v_and_b32_e32 v7, 0xff0000, v7
	v_or3_b32 v7, v5, v7, v61
	s_branch .LBB121_101
.LBB121_106:
                                        ; implicit-def: $vgpr2
                                        ; implicit-def: $vgpr42
                                        ; implicit-def: $vgpr6
                                        ; implicit-def: $vgpr62
                                        ; implicit-def: $vgpr43
                                        ; implicit-def: $vgpr60
                                        ; implicit-def: $vgpr61
                                        ; implicit-def: $vgpr63
                                        ; implicit-def: $vgpr64
                                        ; implicit-def: $vgpr65
                                        ; implicit-def: $vgpr66
                                        ; implicit-def: $vgpr67
                                        ; implicit-def: $vgpr68
                                        ; implicit-def: $vgpr69
                                        ; implicit-def: $vgpr70
                                        ; implicit-def: $vgpr71
                                        ; implicit-def: $vgpr72
                                        ; implicit-def: $vgpr73
	s_cbranch_execnz .LBB121_145
.LBB121_107:
	s_and_saveexec_b64 s[4:5], s[44:45]
	s_cbranch_execnz .LBB121_156
	s_branch .LBB121_339
.LBB121_108:
                                        ; implicit-def: $sgpr4_sgpr5
                                        ; implicit-def: $vgpr44
                                        ; implicit-def: $vgpr45
                                        ; implicit-def: $vgpr46
                                        ; implicit-def: $vgpr47
                                        ; implicit-def: $vgpr48
                                        ; implicit-def: $vgpr49
                                        ; implicit-def: $vgpr50
                                        ; implicit-def: $vgpr51
                                        ; implicit-def: $vgpr52
                                        ; implicit-def: $vgpr53
                                        ; implicit-def: $vgpr54
                                        ; implicit-def: $vgpr55
                                        ; implicit-def: $vgpr56
                                        ; implicit-def: $vgpr57
	s_cbranch_execz .LBB121_59
; %bb.109:
	v_cmp_neq_f32_e32 vcc, v25, v8
	v_cndmask_b32_e64 v57, 0, 1, vcc
	v_cmp_neq_f32_e32 vcc, v25, v9
	v_cndmask_b32_e64 v56, 0, 1, vcc
	;; [unrolled: 2-line block ×13, first 2 shown]
	v_cmp_neq_f32_e32 vcc, v13, v1
	v_lshlrev_b32_e32 v7, 2, v0
	v_cndmask_b32_e64 v44, 0, 1, vcc
	ds_write_b32 v7, v1
	s_waitcnt lgkmcnt(0)
	s_barrier
	s_waitcnt lgkmcnt(0)
                                        ; implicit-def: $sgpr4_sgpr5
	s_and_saveexec_b64 s[12:13], s[6:7]
	s_xor_b64 s[12:13], exec, s[12:13]
	s_cbranch_execz .LBB121_111
; %bb.110:
	v_add_u32_e32 v2, -4, v7
	ds_read_b32 v2, v2
	s_or_b64 s[8:9], s[8:9], exec
	s_waitcnt lgkmcnt(0)
	v_cmp_neq_f32_e32 vcc, v2, v24
	s_and_b64 s[4:5], vcc, exec
.LBB121_111:
	s_or_b64 exec, exec, s[12:13]
	s_mov_b32 s14, 1
	s_branch .LBB121_75
.LBB121_112:
	s_mul_hi_u32 s5, s44, 0xfffff100
	s_mul_i32 s4, s45, 0xfffff100
	s_sub_i32 s5, s5, s44
	s_add_i32 s5, s5, s4
	s_mul_i32 s4, s44, 0xfffff100
	s_add_u32 s12, s4, s60
	s_addc_u32 s13, s5, s61
	s_and_b64 vcc, exec, s[10:11]
	s_cbranch_vccz .LBB121_117
; %bb.113:
	v_add_co_u32_e32 v2, vcc, -4, v10
	v_addc_co_u32_e32 v3, vcc, -1, v11, vcc
	flat_load_dword v6, v[2:3]
	v_mad_u32_u24 v4, v0, 15, 14
	v_mov_b32_e32 v5, 0
	v_cmp_gt_u64_e32 vcc, s[12:13], v[4:5]
	v_cmp_neq_f32_e64 s[4:5], v13, v1
	v_mad_u32_u24 v4, v0, 15, 13
	s_and_b64 s[8:9], vcc, s[4:5]
	v_cmp_gt_u64_e32 vcc, s[12:13], v[4:5]
	v_cmp_neq_f32_e64 s[4:5], v12, v13
	v_mad_u32_u24 v4, v0, 15, 12
	s_and_b64 s[10:11], vcc, s[4:5]
	;; [unrolled: 4-line block ×13, first 2 shown]
	v_cmp_gt_u64_e32 vcc, s[12:13], v[4:5]
	v_cmp_neq_f32_e64 s[4:5], v24, v25
	v_lshlrev_b32_e32 v3, 2, v0
	v_mul_u32_u24_e32 v2, 15, v0
	s_and_b64 s[4:5], vcc, s[4:5]
	ds_write_b32 v3, v1
	s_waitcnt lgkmcnt(0)
	s_barrier
	s_and_saveexec_b64 s[44:45], s[6:7]
	s_cbranch_execz .LBB121_115
; %bb.114:
	v_add_u32_e32 v3, -4, v3
	s_waitcnt vmcnt(0)
	ds_read_b32 v6, v3
.LBB121_115:
	s_or_b64 exec, exec, s[44:45]
	v_mov_b32_e32 v3, v5
	v_cndmask_b32_e64 v57, 0, 1, s[4:5]
	v_cmp_gt_u64_e32 vcc, s[12:13], v[2:3]
	s_waitcnt vmcnt(0) lgkmcnt(0)
	v_cmp_neq_f32_e64 s[4:5], v6, v24
	v_cndmask_b32_e64 v44, 0, 1, s[8:9]
	v_cndmask_b32_e64 v45, 0, 1, s[10:11]
	v_cndmask_b32_e64 v46, 0, 1, s[14:15]
	v_cndmask_b32_e64 v47, 0, 1, s[16:17]
	v_cndmask_b32_e64 v48, 0, 1, s[18:19]
	v_cndmask_b32_e64 v49, 0, 1, s[20:21]
	v_cndmask_b32_e64 v50, 0, 1, s[22:23]
	v_cndmask_b32_e64 v51, 0, 1, s[24:25]
	v_cndmask_b32_e64 v52, 0, 1, s[26:27]
	v_cndmask_b32_e64 v53, 0, 1, s[28:29]
	v_cndmask_b32_e64 v54, 0, 1, s[30:31]
	v_cndmask_b32_e64 v55, 0, 1, s[34:35]
	v_cndmask_b32_e64 v56, 0, 1, s[36:37]
	s_and_b64 s[4:5], vcc, s[4:5]
	s_mov_b64 s[8:9], -1
.LBB121_116:
                                        ; implicit-def: $sgpr14
	v_mov_b32_e32 v58, s14
	s_and_saveexec_b64 s[6:7], s[8:9]
	s_cbranch_execnz .LBB121_76
	s_branch .LBB121_77
.LBB121_117:
                                        ; implicit-def: $sgpr4_sgpr5
                                        ; implicit-def: $vgpr44
                                        ; implicit-def: $vgpr45
                                        ; implicit-def: $vgpr46
                                        ; implicit-def: $vgpr47
                                        ; implicit-def: $vgpr48
                                        ; implicit-def: $vgpr49
                                        ; implicit-def: $vgpr50
                                        ; implicit-def: $vgpr51
                                        ; implicit-def: $vgpr52
                                        ; implicit-def: $vgpr53
                                        ; implicit-def: $vgpr54
                                        ; implicit-def: $vgpr55
                                        ; implicit-def: $vgpr56
                                        ; implicit-def: $vgpr57
	s_cbranch_execz .LBB121_116
; %bb.118:
	v_mad_u32_u24 v2, v0, 15, 14
	v_mov_b32_e32 v3, 0
	v_cmp_gt_u64_e32 vcc, s[12:13], v[2:3]
	v_cmp_neq_f32_e64 s[4:5], v13, v1
	s_and_b64 s[4:5], vcc, s[4:5]
	v_mad_u32_u24 v2, v0, 15, 13
	v_cndmask_b32_e64 v44, 0, 1, s[4:5]
	v_cmp_gt_u64_e32 vcc, s[12:13], v[2:3]
	v_cmp_neq_f32_e64 s[4:5], v12, v13
	s_and_b64 s[4:5], vcc, s[4:5]
	v_mad_u32_u24 v2, v0, 15, 12
	v_cndmask_b32_e64 v45, 0, 1, s[4:5]
	;; [unrolled: 5-line block ×13, first 2 shown]
	v_cmp_gt_u64_e32 vcc, s[12:13], v[2:3]
	v_cmp_neq_f32_e64 s[4:5], v24, v25
	s_and_b64 s[4:5], vcc, s[4:5]
	v_lshlrev_b32_e32 v4, 2, v0
	s_mov_b32 s14, 1
	v_cndmask_b32_e64 v57, 0, 1, s[4:5]
	ds_write_b32 v4, v1
	s_waitcnt lgkmcnt(0)
	s_barrier
	s_waitcnt lgkmcnt(0)
                                        ; implicit-def: $sgpr4_sgpr5
	s_and_saveexec_b64 s[10:11], s[6:7]
	s_cbranch_execz .LBB121_126
; %bb.119:
	v_add_u32_e32 v2, -4, v4
	ds_read_b32 v4, v2
	v_mul_u32_u24_e32 v2, 15, v0
	v_cmp_gt_u64_e32 vcc, s[12:13], v[2:3]
	s_or_b64 s[8:9], s[8:9], exec
	s_waitcnt lgkmcnt(0)
	v_cmp_neq_f32_e64 s[4:5], v4, v24
	s_and_b64 s[4:5], vcc, s[4:5]
	s_and_b64 s[4:5], s[4:5], exec
	s_or_b64 exec, exec, s[10:11]
	v_mov_b32_e32 v58, s14
	s_and_saveexec_b64 s[6:7], s[8:9]
	s_cbranch_execz .LBB121_77
	s_branch .LBB121_76
.LBB121_120:
	v_cndmask_b32_e64 v5, 0, 1, vcc
	v_readfirstlane_b32 s4, v5
	s_sub_i32 s61, s61, s4
	v_lshlrev_b32_e32 v5, 16, v60
	s_mov_b32 s4, 0x4020c0c
	v_lshlrev_b32_e32 v8, 8, v42
	v_perm_b32 v5, v43, v5, s4
	v_and_b32_e32 v8, 0xff00, v8
	v_and_b32_e32 v4, 0xff, v4
	v_or3_b32 v60, v5, v8, v4
.LBB121_121:
	v_mov_b32_e32 v4, 2
	v_cmp_eq_u16_sdwa vcc, v6, v4 src0_sel:BYTE_0 src1_sel:DWORD
	s_cbranch_vccz .LBB121_127
; %bb.122:
	s_ff1_i32_b64 s4, vcc
	s_cmp_eq_u32 s4, 0
	s_cbranch_scc1 .LBB121_128
; %bb.123:
	v_cmp_eq_u32_e32 vcc, 0, v60
	v_mov_b32_e32 v9, v7
	v_mov_b32_e32 v8, v60
.LBB121_124:                            ; =>This Inner Loop Header: Depth=1
	s_nop 1
	v_mov_b32_dpp v4, v8 wave_rol:1 row_mask:0xf bank_mask:0xf
	v_mov_b32_dpp v5, v9 wave_rol:1 row_mask:0xf bank_mask:0xf
	v_add_u32_e32 v8, v4, v60
	v_add_f32_e32 v4, v7, v5
	s_add_i32 s4, s4, -1
	s_cmp_lg_u32 s4, 0
	v_cndmask_b32_e32 v9, v7, v4, vcc
	s_cbranch_scc1 .LBB121_124
; %bb.125:
	s_cmp_lt_i32 s61, 1
	s_cbranch_scc0 .LBB121_129
	s_branch .LBB121_134
.LBB121_126:
	s_or_b64 exec, exec, s[10:11]
	v_mov_b32_e32 v58, s14
	s_and_saveexec_b64 s[6:7], s[8:9]
	s_cbranch_execnz .LBB121_76
	s_branch .LBB121_77
.LBB121_127:
	s_mov_b64 s[52:53], 0
	s_mov_b64 s[4:5], -1
	s_branch .LBB121_139
.LBB121_128:
	v_mov_b32_e32 v9, v7
	v_mov_b32_e32 v8, v60
	s_cmp_lt_i32 s61, 1
	s_cbranch_scc1 .LBB121_134
.LBB121_129:
	v_mov_b32_e32 v4, 0
.LBB121_130:                            ; =>This Loop Header: Depth=1
                                        ;     Child Loop BB121_131 Depth 2
	s_add_i32 s4, s61, -1
	s_lshl_b32 s5, s4, 3
	v_add_u32_e32 v6, s5, v4
	buffer_load_dword v5, v6, s[0:3], 0 offen
	s_nop 0
	buffer_load_dword v6, v6, s[0:3], 0 offen offset:4
	s_mov_b32 s5, 64
	s_waitcnt vmcnt(1)
	v_cmp_eq_u32_e32 vcc, 0, v5
.LBB121_131:                            ;   Parent Loop BB121_130 Depth=1
                                        ; =>  This Inner Loop Header: Depth=2
	v_mov_b32_dpp v7, v8 wave_rol:1 row_mask:0xf bank_mask:0xf
	v_mov_b32_dpp v8, v9 wave_rol:1 row_mask:0xf bank_mask:0xf
	s_waitcnt vmcnt(0)
	v_add_f32_e32 v8, v6, v8
	v_cndmask_b32_e32 v8, v6, v8, vcc
	v_add_u32_e32 v7, v7, v5
	s_add_i32 s5, s5, -16
	v_mov_b32_dpp v8, v8 wave_rol:1 row_mask:0xf bank_mask:0xf
	v_add_f32_e32 v8, v6, v8
	v_cndmask_b32_e32 v8, v6, v8, vcc
	v_mov_b32_dpp v7, v7 wave_rol:1 row_mask:0xf bank_mask:0xf
	v_add_u32_e32 v7, v7, v5
	v_mov_b32_dpp v8, v8 wave_rol:1 row_mask:0xf bank_mask:0xf
	v_add_f32_e32 v8, v6, v8
	v_cndmask_b32_e32 v8, v6, v8, vcc
	v_mov_b32_dpp v7, v7 wave_rol:1 row_mask:0xf bank_mask:0xf
	v_add_u32_e32 v7, v7, v5
	;; [unrolled: 5-line block ×12, first 2 shown]
	v_mov_b32_dpp v8, v8 wave_rol:1 row_mask:0xf bank_mask:0xf
	v_add_f32_e32 v8, v6, v8
	v_mov_b32_dpp v7, v7 wave_rol:1 row_mask:0xf bank_mask:0xf
	v_cndmask_b32_e32 v8, v6, v8, vcc
	v_add_u32_e32 v7, v7, v5
	s_cmp_lg_u32 s5, 0
	v_mov_b32_dpp v8, v8 wave_rol:1 row_mask:0xf bank_mask:0xf
	v_mov_b32_dpp v7, v7 wave_rol:1 row_mask:0xf bank_mask:0xf
	v_add_f32_e32 v8, v6, v8
	v_add_u32_e32 v7, v7, v5
	v_cndmask_b32_e32 v8, v6, v8, vcc
	s_nop 0
	v_mov_b32_dpp v7, v7 wave_rol:1 row_mask:0xf bank_mask:0xf
	v_mov_b32_dpp v9, v8 wave_rol:1 row_mask:0xf bank_mask:0xf
	v_add_u32_e32 v8, v7, v5
	v_add_f32_e32 v7, v6, v9
	v_cndmask_b32_e32 v9, v6, v7, vcc
	s_cbranch_scc1 .LBB121_131
; %bb.132:                              ;   in Loop: Header=BB121_130 Depth=1
	s_cmp_gt_i32 s61, 1
	s_cbranch_scc0 .LBB121_134
; %bb.133:                              ;   in Loop: Header=BB121_130 Depth=1
	s_mov_b32 s61, s4
	s_branch .LBB121_130
.LBB121_134:
	v_readfirstlane_b32 s52, v8
	v_readfirstlane_b32 s53, v9
	s_and_saveexec_b64 s[4:5], s[34:35]
	s_cbranch_execz .LBB121_136
; %bb.135:
	v_mov_b32_e32 v5, s53
	v_add_f32_e32 v4, s60, v5
	v_mov_b32_e32 v7, s60
	v_cmp_eq_u32_e32 vcc, 0, v2
	s_mov_b32 s55, 0
	v_cndmask_b32_e32 v4, v7, v4, vcc
	s_add_i32 s54, s66, 64
	s_lshl_b64 s[54:55], s[54:55], 4
	v_and_b32_e32 v7, 0xff000000, v4
	v_and_b32_e32 v8, 0xff0000, v4
	s_add_u32 s54, s48, s54
	v_or_b32_e32 v7, v8, v7
	v_and_b32_e32 v8, 0xff00, v4
	s_addc_u32 s55, s49, s55
	v_or_b32_e32 v7, v7, v8
	v_add_u32_e32 v6, s52, v2
	v_mov_b32_e32 v9, 0
	v_or_b32_sdwa v7, v7, v4 dst_sel:DWORD dst_unused:UNUSED_PAD src0_sel:DWORD src1_sel:BYTE_0
	v_mov_b32_e32 v8, 2
	v_pk_mov_b32 v[10:11], s[54:55], s[54:55] op_sel:[0,1]
	;;#ASMSTART
	global_store_dwordx4 v[10:11], v[6:9] off	
s_waitcnt vmcnt(0)
	;;#ASMEND
	v_mov_b32_e32 v4, s52
	ds_write_b128 v9, v[2:5] offset:2048
.LBB121_136:
	s_or_b64 exec, exec, s[4:5]
	s_and_saveexec_b64 s[4:5], s[38:39]
	s_cbranch_execz .LBB121_138
; %bb.137:
	v_mov_b32_e32 v2, s52
	v_mov_b32_e32 v3, s53
	;; [unrolled: 1-line block ×3, first 2 shown]
	ds_write_b64 v4, v[2:3] offset:2088
.LBB121_138:
	s_or_b64 exec, exec, s[4:5]
	s_mov_b64 s[52:53], -1
	s_mov_b64 s[4:5], 0
.LBB121_139:
	s_and_b64 s[4:5], s[4:5], exec
	s_orn2_b64 s[52:53], s[52:53], exec
.LBB121_140:
	s_or_b64 exec, exec, s[50:51]
                                        ; implicit-def: $vgpr2
                                        ; implicit-def: $vgpr42
                                        ; implicit-def: $vgpr6
                                        ; implicit-def: $vgpr62
                                        ; implicit-def: $vgpr43
                                        ; implicit-def: $vgpr60
                                        ; implicit-def: $vgpr61
                                        ; implicit-def: $vgpr63
                                        ; implicit-def: $vgpr64
                                        ; implicit-def: $vgpr65
                                        ; implicit-def: $vgpr66
                                        ; implicit-def: $vgpr67
                                        ; implicit-def: $vgpr68
                                        ; implicit-def: $vgpr69
                                        ; implicit-def: $vgpr70
                                        ; implicit-def: $vgpr71
                                        ; implicit-def: $vgpr72
                                        ; implicit-def: $vgpr73
	s_and_saveexec_b64 s[50:51], s[52:53]
	s_cbranch_execz .LBB121_143
; %bb.141:
	v_mov_b32_e32 v4, 0
	s_waitcnt lgkmcnt(0)
	s_barrier
	ds_read_b64 v[2:3], v4 offset:2088
	v_cndmask_b32_e64 v5, v80, v41, s[34:35]
	v_cndmask_b32_e64 v6, v79, v40, s[34:35]
	v_cmp_eq_u32_e32 vcc, 0, v6
	s_waitcnt lgkmcnt(0)
	v_add_f32_e32 v7, v5, v3
	v_cndmask_b32_e32 v5, v5, v7, vcc
	v_cndmask_b32_e64 v73, v5, v3, s[38:39]
	v_cndmask_b32_e64 v3, v6, 0, s[38:39]
	v_add_u32_e32 v7, v2, v3
	v_add_f32_e32 v2, v38, v73
	v_cmp_eq_u32_e32 vcc, 0, v58
	v_cndmask_b32_e32 v72, v38, v2, vcc
	v_add_f32_e32 v2, v39, v72
	v_cndmask_b32_e64 v71, v39, v2, s[30:31]
	v_add_f32_e32 v2, v36, v71
	v_cndmask_b32_e64 v70, v36, v2, s[28:29]
	;; [unrolled: 2-line block ×11, first 2 shown]
	s_barrier
	ds_read_b128 v[2:5], v4 offset:2048
	v_add_f32_e32 v6, v26, v60
	v_cndmask_b32_e64 v43, v26, v6, s[8:9]
	v_add_f32_e32 v6, v27, v43
	s_mov_b64 s[44:45], exec
	s_waitcnt lgkmcnt(0)
	v_add_f32_e32 v5, v5, v3
	v_cmp_eq_u32_e32 vcc, 0, v2
	v_cndmask_b32_e64 v62, v27, v6, s[6:7]
	v_cndmask_b32_e32 v42, v3, v5, vcc
	v_mov_b32_e32 v6, v4
	v_mov_b32_e32 v5, v7
	s_or_b64 exec, exec, s[50:51]
	s_and_saveexec_b64 s[6:7], s[4:5]
	s_xor_b64 s[4:5], exec, s[6:7]
	s_cbranch_execz .LBB121_144
.LBB121_142:
	s_trap 2
	; divergent unreachable
                                        ; implicit-def: $vgpr62
                                        ; implicit-def: $vgpr43
                                        ; implicit-def: $vgpr60
                                        ; implicit-def: $vgpr61
                                        ; implicit-def: $vgpr63
                                        ; implicit-def: $vgpr64
                                        ; implicit-def: $vgpr65
                                        ; implicit-def: $vgpr66
                                        ; implicit-def: $vgpr67
                                        ; implicit-def: $vgpr68
                                        ; implicit-def: $vgpr69
                                        ; implicit-def: $vgpr70
                                        ; implicit-def: $vgpr71
                                        ; implicit-def: $vgpr72
                                        ; implicit-def: $vgpr73
	s_branch .LBB121_144
.LBB121_143:
	s_or_b64 exec, exec, s[50:51]
	s_and_saveexec_b64 s[6:7], s[4:5]
	s_xor_b64 s[4:5], exec, s[6:7]
	s_cbranch_execnz .LBB121_142
.LBB121_144:
	s_or_b64 exec, exec, s[4:5]
	s_branch .LBB121_107
.LBB121_145:
	s_and_b64 s[4:5], s[36:37], exec
	s_cselect_b32 s5, 0, s65
	s_cselect_b32 s4, 0, s64
	s_cmp_eq_u64 s[4:5], 0
	v_mov_b32_e32 v6, v38
	s_cbranch_scc1 .LBB121_147
; %bb.146:
	v_mov_b32_e32 v2, 0
	global_load_dword v6, v2, s[4:5]
.LBB121_147:
	v_cmp_eq_u32_e64 s[6:7], 0, v57
	v_cndmask_b32_e64 v2, v39, v78, s[6:7]
	v_add_f32_e32 v2, v36, v2
	v_cmp_eq_u32_e64 s[8:9], 0, v56
	v_cndmask_b32_e64 v2, v36, v2, s[8:9]
	v_add_f32_e32 v2, v37, v2
	;; [unrolled: 3-line block ×11, first 2 shown]
	v_cmp_eq_u32_e64 s[28:29], 0, v46
	v_cndmask_b32_e64 v2, v26, v2, s[28:29]
	v_add3_u32 v3, v77, v53, v52
	v_add_f32_e32 v2, v27, v2
	v_cmp_eq_u32_e32 vcc, 0, v45
	v_add3_u32 v3, v3, v51, v50
	v_cndmask_b32_e32 v2, v27, v2, vcc
	v_add3_u32 v3, v3, v49, v48
	v_add_f32_e32 v2, v59, v2
	v_cmp_eq_u32_e64 s[4:5], 0, v44
	v_add3_u32 v3, v3, v47, v46
	v_cndmask_b32_e64 v2, v59, v2, s[4:5]
	v_add3_u32 v3, v3, v45, v44
	v_mbcnt_hi_u32_b32 v7, -1, v76
	v_mov_b32_dpp v8, v2 row_shr:1 row_mask:0xf bank_mask:0xf
	v_and_b32_e32 v4, 15, v7
	v_add_f32_e32 v8, v2, v8
	v_cmp_eq_u32_e64 s[4:5], 0, v3
	v_mov_b32_dpp v5, v3 row_shr:1 row_mask:0xf bank_mask:0xf
	v_cndmask_b32_e64 v8, v2, v8, s[4:5]
	v_cmp_eq_u32_e64 s[4:5], 0, v4
	v_cndmask_b32_e64 v5, v5, 0, s[4:5]
	v_cndmask_b32_e64 v2, v8, v2, s[4:5]
	v_add_u32_e32 v3, v5, v3
	v_cmp_eq_u32_e64 s[4:5], 0, v3
	v_mov_b32_dpp v8, v2 row_shr:2 row_mask:0xf bank_mask:0xf
	v_add_f32_e32 v8, v2, v8
	v_mov_b32_dpp v5, v3 row_shr:2 row_mask:0xf bank_mask:0xf
	v_cndmask_b32_e64 v8, v2, v8, s[4:5]
	v_cmp_lt_u32_e64 s[4:5], 1, v4
	v_cndmask_b32_e64 v2, v2, v8, s[4:5]
	v_cndmask_b32_e64 v5, 0, v5, s[4:5]
	v_add_u32_e32 v3, v3, v5
	v_mov_b32_dpp v8, v2 row_shr:4 row_mask:0xf bank_mask:0xf
	v_add_f32_e32 v8, v2, v8
	v_cmp_eq_u32_e64 s[4:5], 0, v3
	v_mov_b32_dpp v5, v3 row_shr:4 row_mask:0xf bank_mask:0xf
	v_cndmask_b32_e64 v8, v2, v8, s[4:5]
	v_cmp_lt_u32_e64 s[4:5], 3, v4
	v_cndmask_b32_e64 v2, v2, v8, s[4:5]
	v_cndmask_b32_e64 v5, 0, v5, s[4:5]
	v_add_u32_e32 v3, v5, v3
	v_mov_b32_dpp v8, v2 row_shr:8 row_mask:0xf bank_mask:0xf
	v_add_f32_e32 v8, v2, v8
	v_cmp_eq_u32_e64 s[4:5], 0, v3
	v_mov_b32_dpp v5, v3 row_shr:8 row_mask:0xf bank_mask:0xf
	v_cndmask_b32_e64 v8, v2, v8, s[4:5]
	v_cmp_lt_u32_e64 s[4:5], 7, v4
	v_cndmask_b32_e64 v2, v2, v8, s[4:5]
	v_cndmask_b32_e64 v4, 0, v5, s[4:5]
	v_add_u32_e32 v3, v4, v3
	v_mov_b32_dpp v5, v2 row_bcast:15 row_mask:0xf bank_mask:0xf
	v_bfe_i32 v8, v7, 4, 1
	v_mov_b32_dpp v4, v3 row_bcast:15 row_mask:0xf bank_mask:0xf
	v_and_b32_e32 v9, 16, v7
	v_add_f32_e32 v5, v2, v5
	v_cmp_eq_u32_e64 s[4:5], 0, v3
	v_cndmask_b32_e64 v5, v2, v5, s[4:5]
	v_and_b32_e32 v4, v8, v4
	v_cmp_eq_u32_e64 s[4:5], 0, v9
	v_add_u32_e32 v3, v4, v3
	v_cndmask_b32_e64 v4, v5, v2, s[4:5]
	v_cmp_eq_u32_e64 s[4:5], 0, v3
	v_mov_b32_dpp v2, v3 row_bcast:31 row_mask:0xf bank_mask:0xf
	v_mov_b32_dpp v5, v4 row_bcast:31 row_mask:0xf bank_mask:0xf
	v_add_f32_e32 v5, v4, v5
	v_cndmask_b32_e64 v5, v4, v5, s[4:5]
	v_cmp_lt_u32_e64 s[4:5], 31, v7
	v_cndmask_b32_e64 v2, 0, v2, s[4:5]
	v_add_u32_e32 v2, v2, v3
	v_cmp_eq_u32_e64 s[30:31], v75, v0
	v_cndmask_b32_e64 v3, v4, v5, s[4:5]
	s_and_saveexec_b64 s[4:5], s[30:31]
	s_cbranch_execz .LBB121_149
; %bb.148:
	v_lshlrev_b32_e32 v4, 3, v74
	ds_write_b64 v4, v[2:3] offset:2064
.LBB121_149:
	s_or_b64 exec, exec, s[4:5]
	v_cmp_gt_u32_e64 s[4:5], 4, v0
	s_waitcnt lgkmcnt(0)
	s_barrier
	s_and_saveexec_b64 s[34:35], s[4:5]
	s_cbranch_execz .LBB121_151
; %bb.150:
	v_lshlrev_b32_e32 v8, 3, v0
	ds_read_b64 v[4:5], v8 offset:2064
	v_and_b32_e32 v9, 3, v7
	v_cmp_lt_u32_e64 s[30:31], 1, v9
	s_waitcnt lgkmcnt(0)
	v_mov_b32_dpp v11, v5 row_shr:1 row_mask:0xf bank_mask:0xf
	v_add_f32_e32 v11, v5, v11
	v_cmp_eq_u32_e64 s[4:5], 0, v4
	v_mov_b32_dpp v10, v4 row_shr:1 row_mask:0xf bank_mask:0xf
	v_cndmask_b32_e64 v11, v5, v11, s[4:5]
	v_cmp_eq_u32_e64 s[4:5], 0, v9
	v_cndmask_b32_e64 v10, v10, 0, s[4:5]
	v_add_u32_e32 v4, v10, v4
	v_cndmask_b32_e64 v5, v11, v5, s[4:5]
	v_cmp_eq_u32_e64 s[4:5], 0, v4
	v_mov_b32_dpp v10, v4 row_shr:2 row_mask:0xf bank_mask:0xf
	v_mov_b32_dpp v11, v5 row_shr:2 row_mask:0xf bank_mask:0xf
	v_add_f32_e32 v11, v5, v11
	v_cndmask_b32_e64 v9, 0, v10, s[30:31]
	s_and_b64 s[4:5], s[30:31], s[4:5]
	v_add_u32_e32 v4, v9, v4
	v_cndmask_b32_e64 v5, v5, v11, s[4:5]
	ds_write_b64 v8, v[4:5] offset:2064
.LBB121_151:
	s_or_b64 exec, exec, s[34:35]
	v_cmp_lt_u32_e64 s[4:5], 63, v0
	v_mov_b32_e32 v8, 0
	v_mov_b32_e32 v4, 0
	s_waitcnt vmcnt(0)
	v_mov_b32_e32 v9, v6
	s_waitcnt lgkmcnt(0)
	s_barrier
	s_and_saveexec_b64 s[30:31], s[4:5]
	s_cbranch_execz .LBB121_153
; %bb.152:
	v_lshlrev_b32_e32 v4, 3, v74
	ds_read_b64 v[4:5], v4 offset:2056
	s_waitcnt lgkmcnt(0)
	v_add_f32_e32 v9, v6, v5
	v_cmp_eq_u32_e64 s[4:5], 0, v4
	v_cndmask_b32_e64 v9, v5, v9, s[4:5]
.LBB121_153:
	s_or_b64 exec, exec, s[30:31]
	v_add_f32_e32 v10, v3, v9
	v_cmp_eq_u32_e64 s[4:5], 0, v2
	v_add_u32_e32 v5, v4, v2
	v_cndmask_b32_e64 v2, v3, v10, s[4:5]
	v_add_u32_e32 v3, -1, v7
	v_and_b32_e32 v10, 64, v7
	v_cmp_lt_i32_e64 s[4:5], v3, v10
	v_cndmask_b32_e64 v3, v3, v7, s[4:5]
	v_lshlrev_b32_e32 v3, 2, v3
	ds_bpermute_b32 v2, v3, v2
	ds_bpermute_b32 v5, v3, v5
	v_cmp_eq_u32_e64 s[4:5], 0, v7
	s_waitcnt lgkmcnt(1)
	v_cndmask_b32_e64 v73, v2, v9, s[4:5]
	v_cndmask_b32_e64 v2, v73, v6, s[38:39]
	s_waitcnt lgkmcnt(0)
	v_cndmask_b32_e64 v5, v5, v4, s[4:5]
	v_add_f32_e32 v2, v38, v2
	v_cmp_eq_u32_e64 s[4:5], 0, v58
	v_cndmask_b32_e64 v72, v38, v2, s[4:5]
	v_add_f32_e32 v2, v39, v72
	v_cndmask_b32_e64 v71, v39, v2, s[6:7]
	v_add_f32_e32 v2, v36, v71
	;; [unrolled: 2-line block ×10, first 2 shown]
	v_cndmask_b32_e64 v61, v28, v2, s[26:27]
	ds_read_b64 v[2:3], v8 offset:2088
	v_add_f32_e32 v4, v29, v61
	v_cndmask_b32_e64 v60, v29, v4, s[24:25]
	v_add_f32_e32 v4, v26, v60
	v_cndmask_b32_e64 v43, v26, v4, s[28:29]
	s_waitcnt lgkmcnt(0)
	v_add_f32_e32 v4, v6, v3
	v_cmp_eq_u32_e64 s[4:5], 0, v2
	v_add_f32_e32 v7, v27, v43
	v_cndmask_b32_e64 v42, v3, v4, s[4:5]
	s_and_saveexec_b64 s[4:5], s[38:39]
	s_cbranch_execz .LBB121_155
; %bb.154:
	s_add_u32 s6, s48, 0x400
	v_and_b32_e32 v3, 0xff000000, v42
	v_and_b32_e32 v4, 0xff0000, v42
	s_addc_u32 s7, s49, 0
	v_or_b32_e32 v3, v4, v3
	v_and_b32_e32 v4, 0xff00, v42
	v_and_b32_e32 v8, 0xff, v42
	v_mov_b32_e32 v5, 0
	v_or3_b32 v3, v3, v4, v8
	v_mov_b32_e32 v4, 2
	v_pk_mov_b32 v[8:9], s[6:7], s[6:7] op_sel:[0,1]
	;;#ASMSTART
	global_store_dwordx4 v[8:9], v[2:5] off	
s_waitcnt vmcnt(0)
	;;#ASMEND
	v_mov_b32_e32 v73, v6
.LBB121_155:
	s_or_b64 exec, exec, s[4:5]
	v_cndmask_b32_e32 v62, v27, v7, vcc
	s_mov_b64 s[44:45], -1
	v_mov_b32_e32 v6, 0
	s_and_saveexec_b64 s[4:5], s[44:45]
	s_cbranch_execz .LBB121_339
.LBB121_156:
	s_and_b64 s[4:5], s[36:37], exec
	s_cselect_b32 s5, 0, s63
	s_cselect_b32 s4, 0, s62
	s_cmp_eq_u64 s[4:5], 0
	v_pk_mov_b32 v[8:9], 0, 0
	s_waitcnt lgkmcnt(0)
	s_barrier
	s_cbranch_scc1 .LBB121_158
; %bb.157:
	v_mov_b32_e32 v3, 0
	global_load_dwordx2 v[8:9], v3, s[4:5]
.LBB121_158:
	s_waitcnt vmcnt(0)
	v_lshlrev_b64 v[10:11], 2, v[8:9]
	v_mov_b32_e32 v7, s47
	v_add_co_u32_e32 v40, vcc, s46, v10
	v_addc_co_u32_e32 v41, vcc, v7, v11, vcc
	v_mov_b32_e32 v7, 0
	v_lshlrev_b64 v[26:27], 2, v[6:7]
	v_add_co_u32_e32 v7, vcc, v40, v26
	v_addc_co_u32_e32 v40, vcc, v41, v27, vcc
	v_cmp_eq_u32_e32 vcc, 0, v58
	v_cndmask_b32_e64 v41, 1, 2, vcc
	v_cmp_eq_u32_e32 vcc, 0, v57
	v_cndmask_b32_e64 v59, 1, 2, vcc
	v_cmp_eq_u32_e32 vcc, 0, v56
	v_add_u32_e32 v39, v5, v58
	v_and_b32_e32 v41, v59, v41
	v_cndmask_b32_e64 v59, 1, 2, vcc
	v_cmp_eq_u32_e32 vcc, 0, v55
	v_add_u32_e32 v38, v39, v57
	v_and_b32_e32 v41, v41, v59
	;; [unrolled: 4-line block ×12, first 2 shown]
	v_cndmask_b32_e64 v59, 1, 2, vcc
	v_cmp_eq_u32_e32 vcc, 0, v44
	s_movk_i32 s4, 0x100
	v_add_u32_e32 v4, v28, v46
	v_and_b32_e32 v41, v41, v59
	v_cndmask_b32_e64 v59, 1, 2, vcc
	v_cmp_gt_u32_e32 vcc, s4, v2
	v_add_u32_e32 v3, v4, v45
	v_cmp_ne_u32_e64 s[36:37], 0, v58
	v_cmp_ne_u32_e64 s[34:35], 0, v57
	;; [unrolled: 1-line block ×15, first 2 shown]
	v_and_b32_e32 v41, v41, v59
	s_mov_b64 s[4:5], -1
	s_cbranch_vccz .LBB121_195
; %bb.159:
	v_cmp_gt_i16_e32 vcc, 2, v41
	s_and_saveexec_b64 s[4:5], vcc
	s_cbranch_execz .LBB121_194
; %bb.160:
	v_cmp_ne_u16_e32 vcc, 1, v41
	s_mov_b64 s[46:47], 0
	s_and_saveexec_b64 s[44:45], vcc
	s_xor_b64 s[44:45], exec, s[44:45]
	s_cbranch_execz .LBB121_175
; %bb.161:
	s_and_saveexec_b64 s[46:47], s[36:37]
	s_cbranch_execz .LBB121_177
; %bb.162:
	v_sub_u32_e32 v74, v5, v6
	v_mov_b32_e32 v75, 0
	v_lshlrev_b64 v[74:75], 2, v[74:75]
	v_add_co_u32_e32 v74, vcc, v7, v74
	v_addc_co_u32_e32 v75, vcc, v40, v75, vcc
	global_store_dword v[74:75], v24, off
	s_or_b64 exec, exec, s[46:47]
	s_and_saveexec_b64 s[46:47], s[34:35]
	s_cbranch_execnz .LBB121_178
.LBB121_163:
	s_or_b64 exec, exec, s[46:47]
	s_and_saveexec_b64 s[46:47], s[30:31]
	s_cbranch_execz .LBB121_179
.LBB121_164:
	v_sub_u32_e32 v74, v38, v6
	v_mov_b32_e32 v75, 0
	v_lshlrev_b64 v[74:75], 2, v[74:75]
	v_add_co_u32_e32 v74, vcc, v7, v74
	v_addc_co_u32_e32 v75, vcc, v40, v75, vcc
	global_store_dword v[74:75], v22, off
	s_or_b64 exec, exec, s[46:47]
	s_and_saveexec_b64 s[46:47], s[28:29]
	s_cbranch_execnz .LBB121_180
.LBB121_165:
	s_or_b64 exec, exec, s[46:47]
	s_and_saveexec_b64 s[46:47], s[26:27]
	s_cbranch_execz .LBB121_181
.LBB121_166:
	v_sub_u32_e32 v74, v36, v6
	v_mov_b32_e32 v75, 0
	v_lshlrev_b64 v[74:75], 2, v[74:75]
	v_add_co_u32_e32 v74, vcc, v7, v74
	v_addc_co_u32_e32 v75, vcc, v40, v75, vcc
	global_store_dword v[74:75], v20, off
	s_or_b64 exec, exec, s[46:47]
	s_and_saveexec_b64 s[46:47], s[24:25]
	s_cbranch_execnz .LBB121_182
.LBB121_167:
	s_or_b64 exec, exec, s[46:47]
	s_and_saveexec_b64 s[46:47], s[22:23]
	s_cbranch_execz .LBB121_183
.LBB121_168:
	v_sub_u32_e32 v74, v34, v6
	v_mov_b32_e32 v75, 0
	v_lshlrev_b64 v[74:75], 2, v[74:75]
	v_add_co_u32_e32 v74, vcc, v7, v74
	v_addc_co_u32_e32 v75, vcc, v40, v75, vcc
	global_store_dword v[74:75], v18, off
	s_or_b64 exec, exec, s[46:47]
	s_and_saveexec_b64 s[46:47], s[20:21]
	s_cbranch_execnz .LBB121_184
.LBB121_169:
	s_or_b64 exec, exec, s[46:47]
	s_and_saveexec_b64 s[46:47], s[18:19]
	s_cbranch_execz .LBB121_185
.LBB121_170:
	v_sub_u32_e32 v74, v32, v6
	v_mov_b32_e32 v75, 0
	v_lshlrev_b64 v[74:75], 2, v[74:75]
	v_add_co_u32_e32 v74, vcc, v7, v74
	v_addc_co_u32_e32 v75, vcc, v40, v75, vcc
	global_store_dword v[74:75], v16, off
	s_or_b64 exec, exec, s[46:47]
	s_and_saveexec_b64 s[46:47], s[16:17]
	s_cbranch_execnz .LBB121_186
.LBB121_171:
	s_or_b64 exec, exec, s[46:47]
	s_and_saveexec_b64 s[46:47], s[14:15]
	s_cbranch_execz .LBB121_187
.LBB121_172:
	v_sub_u32_e32 v74, v30, v6
	v_mov_b32_e32 v75, 0
	v_lshlrev_b64 v[74:75], 2, v[74:75]
	v_add_co_u32_e32 v74, vcc, v7, v74
	v_addc_co_u32_e32 v75, vcc, v40, v75, vcc
	global_store_dword v[74:75], v14, off
	s_or_b64 exec, exec, s[46:47]
	s_and_saveexec_b64 s[46:47], s[12:13]
	s_cbranch_execnz .LBB121_188
.LBB121_173:
	s_or_b64 exec, exec, s[46:47]
	s_and_saveexec_b64 s[46:47], s[10:11]
	s_cbranch_execz .LBB121_189
.LBB121_174:
	v_sub_u32_e32 v74, v28, v6
	v_mov_b32_e32 v75, 0
	v_lshlrev_b64 v[74:75], 2, v[74:75]
	v_add_co_u32_e32 v74, vcc, v7, v74
	v_addc_co_u32_e32 v75, vcc, v40, v75, vcc
	global_store_dword v[74:75], v12, off
	s_or_b64 exec, exec, s[46:47]
	s_and_saveexec_b64 s[46:47], s[8:9]
	s_cbranch_execnz .LBB121_190
	s_branch .LBB121_191
.LBB121_175:
	s_andn2_saveexec_b64 s[44:45], s[44:45]
	s_cbranch_execz .LBB121_192
.LBB121_176:
	v_sub_u32_e32 v74, v5, v6
	v_mov_b32_e32 v75, 0
	v_lshlrev_b64 v[76:77], 2, v[74:75]
	v_add_co_u32_e32 v76, vcc, v7, v76
	v_addc_co_u32_e32 v77, vcc, v40, v77, vcc
	v_sub_u32_e32 v74, v39, v6
	global_store_dword v[76:77], v24, off
	v_lshlrev_b64 v[76:77], 2, v[74:75]
	v_add_co_u32_e32 v76, vcc, v7, v76
	v_addc_co_u32_e32 v77, vcc, v40, v77, vcc
	v_sub_u32_e32 v74, v38, v6
	global_store_dword v[76:77], v25, off
	;; [unrolled: 5-line block ×12, first 2 shown]
	v_lshlrev_b64 v[76:77], 2, v[74:75]
	v_add_co_u32_e32 v76, vcc, v7, v76
	v_sub_u32_e32 v74, v4, v6
	v_addc_co_u32_e32 v77, vcc, v40, v77, vcc
	v_lshlrev_b64 v[74:75], 2, v[74:75]
	v_add_co_u32_e32 v74, vcc, v7, v74
	v_addc_co_u32_e32 v75, vcc, v40, v75, vcc
	s_or_b64 s[46:47], s[46:47], exec
	global_store_dword v[76:77], v12, off
	global_store_dword v[74:75], v13, off
	s_or_b64 exec, exec, s[44:45]
	s_and_b64 exec, exec, s[46:47]
	s_cbranch_execnz .LBB121_193
	s_branch .LBB121_194
.LBB121_177:
	s_or_b64 exec, exec, s[46:47]
	s_and_saveexec_b64 s[46:47], s[34:35]
	s_cbranch_execz .LBB121_163
.LBB121_178:
	v_sub_u32_e32 v74, v39, v6
	v_mov_b32_e32 v75, 0
	v_lshlrev_b64 v[74:75], 2, v[74:75]
	v_add_co_u32_e32 v74, vcc, v7, v74
	v_addc_co_u32_e32 v75, vcc, v40, v75, vcc
	global_store_dword v[74:75], v25, off
	s_or_b64 exec, exec, s[46:47]
	s_and_saveexec_b64 s[46:47], s[30:31]
	s_cbranch_execnz .LBB121_164
.LBB121_179:
	s_or_b64 exec, exec, s[46:47]
	s_and_saveexec_b64 s[46:47], s[28:29]
	s_cbranch_execz .LBB121_165
.LBB121_180:
	v_sub_u32_e32 v74, v37, v6
	v_mov_b32_e32 v75, 0
	v_lshlrev_b64 v[74:75], 2, v[74:75]
	v_add_co_u32_e32 v74, vcc, v7, v74
	v_addc_co_u32_e32 v75, vcc, v40, v75, vcc
	global_store_dword v[74:75], v23, off
	s_or_b64 exec, exec, s[46:47]
	s_and_saveexec_b64 s[46:47], s[26:27]
	s_cbranch_execnz .LBB121_166
.LBB121_181:
	s_or_b64 exec, exec, s[46:47]
	s_and_saveexec_b64 s[46:47], s[24:25]
	s_cbranch_execz .LBB121_167
.LBB121_182:
	v_sub_u32_e32 v74, v35, v6
	v_mov_b32_e32 v75, 0
	v_lshlrev_b64 v[74:75], 2, v[74:75]
	v_add_co_u32_e32 v74, vcc, v7, v74
	v_addc_co_u32_e32 v75, vcc, v40, v75, vcc
	global_store_dword v[74:75], v21, off
	s_or_b64 exec, exec, s[46:47]
	s_and_saveexec_b64 s[46:47], s[22:23]
	s_cbranch_execnz .LBB121_168
.LBB121_183:
	s_or_b64 exec, exec, s[46:47]
	s_and_saveexec_b64 s[46:47], s[20:21]
	s_cbranch_execz .LBB121_169
.LBB121_184:
	v_sub_u32_e32 v74, v33, v6
	v_mov_b32_e32 v75, 0
	v_lshlrev_b64 v[74:75], 2, v[74:75]
	v_add_co_u32_e32 v74, vcc, v7, v74
	v_addc_co_u32_e32 v75, vcc, v40, v75, vcc
	global_store_dword v[74:75], v19, off
	s_or_b64 exec, exec, s[46:47]
	s_and_saveexec_b64 s[46:47], s[18:19]
	s_cbranch_execnz .LBB121_170
.LBB121_185:
	s_or_b64 exec, exec, s[46:47]
	s_and_saveexec_b64 s[46:47], s[16:17]
	s_cbranch_execz .LBB121_171
.LBB121_186:
	v_sub_u32_e32 v74, v31, v6
	v_mov_b32_e32 v75, 0
	v_lshlrev_b64 v[74:75], 2, v[74:75]
	v_add_co_u32_e32 v74, vcc, v7, v74
	v_addc_co_u32_e32 v75, vcc, v40, v75, vcc
	global_store_dword v[74:75], v17, off
	s_or_b64 exec, exec, s[46:47]
	s_and_saveexec_b64 s[46:47], s[14:15]
	s_cbranch_execnz .LBB121_172
.LBB121_187:
	s_or_b64 exec, exec, s[46:47]
	s_and_saveexec_b64 s[46:47], s[12:13]
	s_cbranch_execz .LBB121_173
.LBB121_188:
	v_sub_u32_e32 v74, v29, v6
	v_mov_b32_e32 v75, 0
	v_lshlrev_b64 v[74:75], 2, v[74:75]
	v_add_co_u32_e32 v74, vcc, v7, v74
	v_addc_co_u32_e32 v75, vcc, v40, v75, vcc
	global_store_dword v[74:75], v15, off
	s_or_b64 exec, exec, s[46:47]
	s_and_saveexec_b64 s[46:47], s[10:11]
	s_cbranch_execnz .LBB121_174
.LBB121_189:
	s_or_b64 exec, exec, s[46:47]
	s_and_saveexec_b64 s[46:47], s[8:9]
	s_cbranch_execz .LBB121_191
.LBB121_190:
	v_sub_u32_e32 v74, v4, v6
	v_mov_b32_e32 v75, 0
	v_lshlrev_b64 v[74:75], 2, v[74:75]
	v_add_co_u32_e32 v74, vcc, v7, v74
	v_addc_co_u32_e32 v75, vcc, v40, v75, vcc
	global_store_dword v[74:75], v13, off
.LBB121_191:
	s_or_b64 exec, exec, s[46:47]
	s_and_b64 s[46:47], s[6:7], exec
	s_andn2_saveexec_b64 s[44:45], s[44:45]
	s_cbranch_execnz .LBB121_176
.LBB121_192:
	s_or_b64 exec, exec, s[44:45]
	s_and_b64 exec, exec, s[46:47]
	s_cbranch_execz .LBB121_194
.LBB121_193:
	v_sub_u32_e32 v74, v3, v6
	v_mov_b32_e32 v75, 0
	v_lshlrev_b64 v[74:75], 2, v[74:75]
	v_add_co_u32_e32 v74, vcc, v7, v74
	v_addc_co_u32_e32 v75, vcc, v40, v75, vcc
	global_store_dword v[74:75], v1, off
.LBB121_194:
	s_or_b64 exec, exec, s[4:5]
	s_mov_b64 s[4:5], 0
.LBB121_195:
	s_and_b64 vcc, exec, s[4:5]
	s_cbranch_vccz .LBB121_247
; %bb.196:
	v_cmp_gt_i16_e32 vcc, 2, v41
	s_and_saveexec_b64 s[4:5], vcc
	s_cbranch_execz .LBB121_231
; %bb.197:
	v_cmp_ne_u16_e32 vcc, 1, v41
	s_mov_b64 s[46:47], 0
	s_and_saveexec_b64 s[44:45], vcc
	s_xor_b64 s[44:45], exec, s[44:45]
	s_cbranch_execz .LBB121_212
; %bb.198:
	s_and_saveexec_b64 s[46:47], s[36:37]
	s_cbranch_execz .LBB121_214
; %bb.199:
	v_sub_u32_e32 v41, v5, v6
	v_lshlrev_b32_e32 v41, 2, v41
	ds_write_b32 v41, v24
	s_or_b64 exec, exec, s[46:47]
	s_and_saveexec_b64 s[36:37], s[34:35]
	s_cbranch_execnz .LBB121_215
.LBB121_200:
	s_or_b64 exec, exec, s[36:37]
	s_and_saveexec_b64 s[34:35], s[30:31]
	s_cbranch_execz .LBB121_216
.LBB121_201:
	v_sub_u32_e32 v24, v38, v6
	v_lshlrev_b32_e32 v24, 2, v24
	ds_write_b32 v24, v22
	s_or_b64 exec, exec, s[34:35]
	s_and_saveexec_b64 s[30:31], s[28:29]
	s_cbranch_execnz .LBB121_217
.LBB121_202:
	s_or_b64 exec, exec, s[30:31]
	s_and_saveexec_b64 s[28:29], s[26:27]
	s_cbranch_execz .LBB121_218
.LBB121_203:
	v_sub_u32_e32 v22, v36, v6
	v_lshlrev_b32_e32 v22, 2, v22
	ds_write_b32 v22, v20
	s_or_b64 exec, exec, s[28:29]
	s_and_saveexec_b64 s[26:27], s[24:25]
	s_cbranch_execnz .LBB121_219
.LBB121_204:
	s_or_b64 exec, exec, s[26:27]
	s_and_saveexec_b64 s[24:25], s[22:23]
	s_cbranch_execz .LBB121_220
.LBB121_205:
	v_sub_u32_e32 v20, v34, v6
	v_lshlrev_b32_e32 v20, 2, v20
	ds_write_b32 v20, v18
	s_or_b64 exec, exec, s[24:25]
	s_and_saveexec_b64 s[22:23], s[20:21]
	s_cbranch_execnz .LBB121_221
.LBB121_206:
	s_or_b64 exec, exec, s[22:23]
	s_and_saveexec_b64 s[20:21], s[18:19]
	s_cbranch_execz .LBB121_222
.LBB121_207:
	v_sub_u32_e32 v18, v32, v6
	v_lshlrev_b32_e32 v18, 2, v18
	ds_write_b32 v18, v16
	s_or_b64 exec, exec, s[20:21]
	s_and_saveexec_b64 s[18:19], s[16:17]
	s_cbranch_execnz .LBB121_223
.LBB121_208:
	s_or_b64 exec, exec, s[18:19]
	s_and_saveexec_b64 s[16:17], s[14:15]
	s_cbranch_execz .LBB121_224
.LBB121_209:
	v_sub_u32_e32 v16, v30, v6
	v_lshlrev_b32_e32 v16, 2, v16
	ds_write_b32 v16, v14
	s_or_b64 exec, exec, s[16:17]
	s_and_saveexec_b64 s[14:15], s[12:13]
	s_cbranch_execnz .LBB121_225
.LBB121_210:
	s_or_b64 exec, exec, s[14:15]
	s_and_saveexec_b64 s[12:13], s[10:11]
	s_cbranch_execz .LBB121_226
.LBB121_211:
	v_sub_u32_e32 v14, v28, v6
	v_lshlrev_b32_e32 v14, 2, v14
	ds_write_b32 v14, v12
	s_or_b64 exec, exec, s[12:13]
	s_and_saveexec_b64 s[10:11], s[8:9]
	s_cbranch_execnz .LBB121_227
	s_branch .LBB121_228
.LBB121_212:
	s_andn2_saveexec_b64 s[6:7], s[44:45]
	s_cbranch_execz .LBB121_229
.LBB121_213:
	v_sub_u32_e32 v41, v5, v6
	v_lshlrev_b32_e32 v41, 2, v41
	ds_write_b32 v41, v24
	v_sub_u32_e32 v24, v39, v6
	v_lshlrev_b32_e32 v24, 2, v24
	ds_write_b32 v24, v25
	;; [unrolled: 3-line block ×13, first 2 shown]
	v_sub_u32_e32 v12, v4, v6
	v_lshlrev_b32_e32 v12, 2, v12
	s_or_b64 s[46:47], s[46:47], exec
	ds_write_b32 v12, v13
	s_or_b64 exec, exec, s[6:7]
	s_and_b64 exec, exec, s[46:47]
	s_cbranch_execnz .LBB121_230
	s_branch .LBB121_231
.LBB121_214:
	s_or_b64 exec, exec, s[46:47]
	s_and_saveexec_b64 s[36:37], s[34:35]
	s_cbranch_execz .LBB121_200
.LBB121_215:
	v_sub_u32_e32 v24, v39, v6
	v_lshlrev_b32_e32 v24, 2, v24
	ds_write_b32 v24, v25
	s_or_b64 exec, exec, s[36:37]
	s_and_saveexec_b64 s[34:35], s[30:31]
	s_cbranch_execnz .LBB121_201
.LBB121_216:
	s_or_b64 exec, exec, s[34:35]
	s_and_saveexec_b64 s[30:31], s[28:29]
	s_cbranch_execz .LBB121_202
.LBB121_217:
	v_sub_u32_e32 v22, v37, v6
	v_lshlrev_b32_e32 v22, 2, v22
	ds_write_b32 v22, v23
	s_or_b64 exec, exec, s[30:31]
	s_and_saveexec_b64 s[28:29], s[26:27]
	s_cbranch_execnz .LBB121_203
.LBB121_218:
	s_or_b64 exec, exec, s[28:29]
	s_and_saveexec_b64 s[26:27], s[24:25]
	s_cbranch_execz .LBB121_204
.LBB121_219:
	v_sub_u32_e32 v20, v35, v6
	v_lshlrev_b32_e32 v20, 2, v20
	ds_write_b32 v20, v21
	s_or_b64 exec, exec, s[26:27]
	s_and_saveexec_b64 s[24:25], s[22:23]
	s_cbranch_execnz .LBB121_205
.LBB121_220:
	s_or_b64 exec, exec, s[24:25]
	s_and_saveexec_b64 s[22:23], s[20:21]
	s_cbranch_execz .LBB121_206
.LBB121_221:
	v_sub_u32_e32 v18, v33, v6
	v_lshlrev_b32_e32 v18, 2, v18
	ds_write_b32 v18, v19
	s_or_b64 exec, exec, s[22:23]
	s_and_saveexec_b64 s[20:21], s[18:19]
	s_cbranch_execnz .LBB121_207
.LBB121_222:
	s_or_b64 exec, exec, s[20:21]
	s_and_saveexec_b64 s[18:19], s[16:17]
	s_cbranch_execz .LBB121_208
.LBB121_223:
	v_sub_u32_e32 v16, v31, v6
	v_lshlrev_b32_e32 v16, 2, v16
	ds_write_b32 v16, v17
	s_or_b64 exec, exec, s[18:19]
	s_and_saveexec_b64 s[16:17], s[14:15]
	s_cbranch_execnz .LBB121_209
.LBB121_224:
	s_or_b64 exec, exec, s[16:17]
	s_and_saveexec_b64 s[14:15], s[12:13]
	s_cbranch_execz .LBB121_210
.LBB121_225:
	v_sub_u32_e32 v14, v29, v6
	v_lshlrev_b32_e32 v14, 2, v14
	ds_write_b32 v14, v15
	s_or_b64 exec, exec, s[14:15]
	s_and_saveexec_b64 s[12:13], s[10:11]
	s_cbranch_execnz .LBB121_211
.LBB121_226:
	s_or_b64 exec, exec, s[12:13]
	s_and_saveexec_b64 s[10:11], s[8:9]
	s_cbranch_execz .LBB121_228
.LBB121_227:
	v_sub_u32_e32 v12, v4, v6
	v_lshlrev_b32_e32 v12, 2, v12
	ds_write_b32 v12, v13
.LBB121_228:
	s_or_b64 exec, exec, s[10:11]
	s_and_b64 s[46:47], s[6:7], exec
                                        ; implicit-def: $vgpr12
                                        ; implicit-def: $vgpr14
                                        ; implicit-def: $vgpr16
                                        ; implicit-def: $vgpr18
                                        ; implicit-def: $vgpr20
                                        ; implicit-def: $vgpr22
                                        ; implicit-def: $vgpr24
	s_andn2_saveexec_b64 s[6:7], s[44:45]
	s_cbranch_execnz .LBB121_213
.LBB121_229:
	s_or_b64 exec, exec, s[6:7]
	s_and_b64 exec, exec, s[46:47]
	s_cbranch_execz .LBB121_231
.LBB121_230:
	v_sub_u32_e32 v12, v3, v6
	v_lshlrev_b32_e32 v12, 2, v12
	ds_write_b32 v12, v1
.LBB121_231:
	s_or_b64 exec, exec, s[4:5]
	v_cmp_lt_u32_e32 vcc, v0, v2
	s_waitcnt lgkmcnt(0)
	s_barrier
	s_and_saveexec_b64 s[6:7], vcc
	s_cbranch_execz .LBB121_246
; %bb.232:
	v_xad_u32 v1, v0, -1, v2
	s_movk_i32 s4, 0x1700
	v_cmp_gt_u32_e64 s[8:9], s4, v1
	s_movk_i32 s4, 0x16ff
	v_cmp_lt_u32_e32 vcc, s4, v1
	v_mov_b32_e32 v12, v0
	s_and_saveexec_b64 s[10:11], vcc
	s_cbranch_execz .LBB121_243
; %bb.233:
	v_sub_u32_e32 v12, v0, v2
	v_or_b32_e32 v12, 0xff, v12
	v_cmp_ge_u32_e32 vcc, v12, v0
	s_mov_b64 s[4:5], -1
	v_mov_b32_e32 v12, v0
	s_and_saveexec_b64 s[12:13], vcc
	s_cbranch_execz .LBB121_242
; %bb.234:
	v_lshrrev_b32_e32 v16, 8, v1
	v_add_u32_e32 v12, -1, v16
	v_or_b32_e32 v1, 0x100, v0
	v_lshrrev_b32_e32 v13, 1, v12
	v_add_u32_e32 v17, 1, v13
	v_cmp_lt_u32_e32 vcc, 13, v12
	v_mov_b32_e32 v20, 0
	v_pk_mov_b32 v[12:13], v[0:1], v[0:1] op_sel:[0,1]
	s_and_saveexec_b64 s[14:15], vcc
	s_cbranch_execz .LBB121_238
; %bb.235:
	v_and_b32_e32 v18, -8, v17
	v_lshlrev_b32_e32 v19, 2, v0
	s_mov_b32 s18, 0
	s_mov_b64 s[16:17], 0
	v_mov_b32_e32 v15, 0
	v_pk_mov_b32 v[12:13], v[0:1], v[0:1] op_sel:[0,1]
.LBB121_236:                            ; =>This Inner Loop Header: Depth=1
	v_mov_b32_e32 v14, v12
	v_add_u32_e32 v18, -8, v18
	v_lshlrev_b64 v[98:99], 2, v[14:15]
	v_mov_b32_e32 v14, v13
	ds_read2st64_b32 v[22:23], v19 offset1:4
	s_add_i32 s18, s18, 16
	v_cmp_eq_u32_e32 vcc, 0, v18
	v_lshlrev_b64 v[102:103], 2, v[14:15]
	v_add_u32_e32 v14, 0x200, v12
	s_or_b64 s[16:17], vcc, s[16:17]
	v_add_co_u32_e32 v102, vcc, v7, v102
	v_add_u32_e32 v20, 0x200, v13
	v_mov_b32_e32 v21, v15
	ds_read2st64_b32 v[24:25], v19 offset0:8 offset1:12
	ds_read2st64_b32 v[76:77], v19 offset0:16 offset1:20
	v_add_co_u32_e64 v98, s[4:5], v7, v98
	v_addc_co_u32_e32 v103, vcc, v40, v103, vcc
	v_lshlrev_b64 v[104:105], 2, v[14:15]
	v_lshlrev_b64 v[100:101], 2, v[20:21]
	v_addc_co_u32_e64 v99, s[4:5], v40, v99, s[4:5]
	v_add_u32_e32 v14, 0x400, v12
	v_add_co_u32_e32 v104, vcc, v7, v104
	v_add_u32_e32 v74, 0x400, v13
	v_mov_b32_e32 v75, v15
	ds_read2st64_b32 v[80:81], v19 offset0:24 offset1:28
	v_add_co_u32_e64 v100, s[4:5], v7, v100
	v_addc_co_u32_e32 v105, vcc, v40, v105, vcc
	v_lshlrev_b64 v[106:107], 2, v[14:15]
	ds_read2st64_b32 v[84:85], v19 offset0:32 offset1:36
	ds_read2st64_b32 v[88:89], v19 offset0:40 offset1:44
	;; [unrolled: 1-line block ×4, first 2 shown]
	v_lshlrev_b64 v[74:75], 2, v[74:75]
	v_addc_co_u32_e64 v101, s[4:5], v40, v101, s[4:5]
	v_add_u32_e32 v14, 0x600, v12
	s_waitcnt lgkmcnt(7)
	global_store_dword v[98:99], v22, off
	global_store_dword v[102:103], v23, off
	s_waitcnt lgkmcnt(6)
	global_store_dword v[104:105], v24, off
	global_store_dword v[100:101], v25, off
	v_add_co_u32_e32 v22, vcc, v7, v106
	v_add_u32_e32 v78, 0x600, v13
	v_mov_b32_e32 v79, v15
	v_add_co_u32_e64 v74, s[4:5], v7, v74
	v_addc_co_u32_e32 v23, vcc, v40, v107, vcc
	v_lshlrev_b64 v[24:25], 2, v[14:15]
	v_lshlrev_b64 v[78:79], 2, v[78:79]
	v_addc_co_u32_e64 v75, s[4:5], v40, v75, s[4:5]
	v_add_u32_e32 v14, 0x800, v12
	s_waitcnt lgkmcnt(5)
	global_store_dword v[22:23], v76, off
	global_store_dword v[74:75], v77, off
	v_add_co_u32_e32 v22, vcc, v7, v24
	v_add_u32_e32 v82, 0x800, v13
	v_mov_b32_e32 v83, v15
	v_add_co_u32_e64 v78, s[4:5], v7, v78
	v_addc_co_u32_e32 v23, vcc, v40, v25, vcc
	v_lshlrev_b64 v[24:25], 2, v[14:15]
	v_lshlrev_b64 v[82:83], 2, v[82:83]
	v_addc_co_u32_e64 v79, s[4:5], v40, v79, s[4:5]
	v_add_u32_e32 v14, 0xa00, v12
	;; [unrolled: 12-line block ×4, first 2 shown]
	s_waitcnt lgkmcnt(2)
	global_store_dword v[22:23], v88, off
	global_store_dword v[86:87], v89, off
	v_add_co_u32_e32 v22, vcc, v7, v24
	v_add_u32_e32 v94, 0xe00, v13
	v_mov_b32_e32 v95, v15
	v_add_co_u32_e64 v90, s[4:5], v7, v90
	v_addc_co_u32_e32 v23, vcc, v40, v25, vcc
	v_lshlrev_b64 v[24:25], 2, v[14:15]
	v_lshlrev_b64 v[94:95], 2, v[94:95]
	v_addc_co_u32_e64 v91, s[4:5], v40, v91, s[4:5]
	s_waitcnt lgkmcnt(1)
	global_store_dword v[22:23], v92, off
	global_store_dword v[90:91], v93, off
	v_add_co_u32_e32 v22, vcc, v7, v24
	v_add_u32_e32 v19, 0x4000, v19
	v_add_u32_e32 v13, 0x1000, v13
	v_mov_b32_e32 v20, s18
	v_add_co_u32_e64 v94, s[4:5], v7, v94
	v_add_u32_e32 v12, 0x1000, v12
	v_addc_co_u32_e32 v23, vcc, v40, v25, vcc
	v_addc_co_u32_e64 v95, s[4:5], v40, v95, s[4:5]
	s_waitcnt lgkmcnt(0)
	global_store_dword v[22:23], v96, off
	global_store_dword v[94:95], v97, off
	s_andn2_b64 exec, exec, s[16:17]
	s_cbranch_execnz .LBB121_236
; %bb.237:
	s_or_b64 exec, exec, s[16:17]
.LBB121_238:
	s_or_b64 exec, exec, s[14:15]
	v_and_b32_e32 v1, 7, v17
	v_cmp_ne_u32_e32 vcc, 0, v1
	s_and_saveexec_b64 s[14:15], vcc
	s_cbranch_execz .LBB121_241
; %bb.239:
	v_lshlrev_b32_e32 v14, 2, v0
	v_lshl_or_b32 v17, v20, 10, v14
	s_mov_b64 s[16:17], 0
	v_mov_b32_e32 v15, 0
.LBB121_240:                            ; =>This Inner Loop Header: Depth=1
	ds_read2st64_b32 v[18:19], v17 offset1:4
	v_mov_b32_e32 v14, v12
	v_add_u32_e32 v1, -1, v1
	v_lshlrev_b64 v[20:21], 2, v[14:15]
	v_mov_b32_e32 v14, v13
	v_cmp_eq_u32_e32 vcc, 0, v1
	v_add_co_u32_e64 v20, s[4:5], v7, v20
	v_lshlrev_b64 v[22:23], 2, v[14:15]
	v_add_u32_e32 v12, 0x200, v12
	v_add_u32_e32 v17, 0x800, v17
	;; [unrolled: 1-line block ×3, first 2 shown]
	v_addc_co_u32_e64 v21, s[4:5], v40, v21, s[4:5]
	s_or_b64 s[16:17], vcc, s[16:17]
	v_add_co_u32_e32 v22, vcc, v7, v22
	v_addc_co_u32_e32 v23, vcc, v40, v23, vcc
	s_waitcnt lgkmcnt(0)
	global_store_dword v[20:21], v18, off
	global_store_dword v[22:23], v19, off
	s_andn2_b64 exec, exec, s[16:17]
	s_cbranch_execnz .LBB121_240
.LBB121_241:
	s_or_b64 exec, exec, s[14:15]
	v_add_u32_e32 v1, 1, v16
	v_and_b32_e32 v13, 0x1fffffe, v1
	v_cmp_ne_u32_e32 vcc, v1, v13
	v_lshl_or_b32 v12, v13, 8, v0
	s_orn2_b64 s[4:5], vcc, exec
.LBB121_242:
	s_or_b64 exec, exec, s[12:13]
	s_andn2_b64 s[8:9], s[8:9], exec
	s_and_b64 s[4:5], s[4:5], exec
	s_or_b64 s[8:9], s[8:9], s[4:5]
.LBB121_243:
	s_or_b64 exec, exec, s[10:11]
	s_and_b64 exec, exec, s[8:9]
	s_cbranch_execz .LBB121_246
; %bb.244:
	v_lshlrev_b32_e32 v1, 2, v12
	s_mov_b64 s[4:5], 0
	v_mov_b32_e32 v13, 0
.LBB121_245:                            ; =>This Inner Loop Header: Depth=1
	v_lshlrev_b64 v[14:15], 2, v[12:13]
	ds_read_b32 v16, v1
	v_add_co_u32_e32 v14, vcc, v7, v14
	v_add_u32_e32 v12, 0x100, v12
	v_addc_co_u32_e32 v15, vcc, v40, v15, vcc
	v_cmp_ge_u32_e32 vcc, v12, v2
	v_add_u32_e32 v1, 0x400, v1
	s_or_b64 s[4:5], vcc, s[4:5]
	s_waitcnt lgkmcnt(0)
	global_store_dword v[14:15], v16, off
	s_andn2_b64 exec, exec, s[4:5]
	s_cbranch_execnz .LBB121_245
.LBB121_246:
	s_or_b64 exec, exec, s[6:7]
.LBB121_247:
	s_cmpk_lg_i32 s33, 0xf00
	s_cselect_b64 s[4:5], -1, 0
	s_and_b64 s[4:5], s[4:5], s[40:41]
	v_cndmask_b32_e64 v16, 0, 1, s[4:5]
	s_and_b64 s[4:5], s[38:39], s[42:43]
	v_cndmask_b32_e64 v12, v58, 0, s[4:5]
	s_mul_hi_u32 s4, s33, 0x88888889
	s_lshr_b32 s4, s4, 3
	v_mad_i32_i24 v13, v0, -15, s33
	v_cmp_eq_u32_e32 vcc, s4, v0
	v_cmp_ne_u32_e64 s[4:5], 0, v13
	v_cndmask_b32_e64 v14, 1, v12, s[4:5]
	v_cmp_ne_u32_e64 s[4:5], 1, v13
	v_cndmask_b32_e64 v15, 1, v57, s[4:5]
	;; [unrolled: 2-line block ×15, first 2 shown]
	s_and_b64 vcc, vcc, s[40:41]
	v_cndmask_b32_e32 v44, v44, v13, vcc
	v_cndmask_b32_e32 v45, v45, v58, vcc
	;; [unrolled: 1-line block ×15, first 2 shown]
	v_mov_b32_e32 v12, s57
	v_add_co_u32_e32 v10, vcc, s56, v10
	v_addc_co_u32_e32 v11, vcc, v12, v11, vcc
	v_cndmask_b32_e64 v1, 0, 1, s[42:43]
	v_add_co_u32_e32 v12, vcc, v10, v26
	v_addc_co_u32_e32 v13, vcc, v11, v27, vcc
	v_lshlrev_b32_e32 v10, 2, v1
	v_add_co_u32_e32 v10, vcc, v10, v12
	v_addc_co_u32_e32 v11, vcc, 0, v13, vcc
	v_add_co_u32_e32 v14, vcc, -4, v10
	v_addc_co_u32_e32 v15, vcc, -1, v11, vcc
	v_cmp_eq_u32_e32 vcc, 0, v47
	v_cndmask_b32_e64 v11, 1, 2, vcc
	v_cmp_eq_u32_e32 vcc, 0, v46
	v_cndmask_b32_e64 v26, 1, 2, vcc
	v_cmp_eq_u32_e32 vcc, 0, v17
	v_and_b32_e32 v11, v26, v11
	v_cmp_ne_u32_e64 s[28:29], 0, v17
	v_cndmask_b32_e64 v17, 1, 2, vcc
	v_cmp_eq_u32_e32 vcc, 0, v18
	v_and_b32_e32 v11, v11, v17
	v_cndmask_b32_e64 v17, 1, 2, vcc
	v_cmp_eq_u32_e32 vcc, 0, v19
	v_and_b32_e32 v11, v11, v17
	;; [unrolled: 3-line block ×9, first 2 shown]
	v_cndmask_b32_e64 v17, 1, 2, vcc
	v_cmp_eq_u32_e32 vcc, 0, v41
	v_sub_u32_e32 v7, v2, v1
	v_and_b32_e32 v11, v11, v17
	v_cndmask_b32_e64 v17, 1, 2, vcc
	v_cmp_eq_u32_e32 vcc, 0, v45
	v_add_u32_e32 v7, v7, v16
	v_and_b32_e32 v11, v11, v17
	v_cndmask_b32_e64 v17, 1, 2, vcc
	v_cmp_eq_u32_e32 vcc, 0, v44
	s_movk_i32 s36, 0x100
	v_and_b32_e32 v11, v11, v17
	v_cndmask_b32_e64 v17, 1, 2, vcc
	v_cmp_gt_u32_e32 vcc, s36, v7
	v_add_u32_e32 v10, v6, v1
	v_cmp_ne_u32_e64 s[34:35], 0, v47
	v_cmp_ne_u32_e64 s[30:31], 0, v46
	;; [unrolled: 1-line block ×14, first 2 shown]
	v_and_b32_e32 v11, v11, v17
	s_mov_b64 s[36:37], -1
	s_barrier
	s_cbranch_vccz .LBB121_284
; %bb.248:
	v_cmp_gt_i16_e32 vcc, 2, v11
	s_and_saveexec_b64 s[36:37], vcc
	s_cbranch_execz .LBB121_283
; %bb.249:
	v_cmp_ne_u16_e32 vcc, 1, v11
	s_mov_b64 s[42:43], 0
	s_and_saveexec_b64 s[38:39], vcc
	s_xor_b64 s[38:39], exec, s[38:39]
	s_cbranch_execz .LBB121_264
; %bb.250:
	s_and_saveexec_b64 s[42:43], s[34:35]
	s_cbranch_execz .LBB121_266
; %bb.251:
	v_sub_u32_e32 v18, v5, v10
	v_mov_b32_e32 v19, 0
	v_lshlrev_b64 v[18:19], 2, v[18:19]
	v_add_co_u32_e32 v18, vcc, v14, v18
	v_addc_co_u32_e32 v19, vcc, v15, v19, vcc
	global_store_dword v[18:19], v73, off
	s_or_b64 exec, exec, s[42:43]
	s_and_saveexec_b64 s[42:43], s[30:31]
	s_cbranch_execnz .LBB121_267
.LBB121_252:
	s_or_b64 exec, exec, s[42:43]
	s_and_saveexec_b64 s[42:43], s[28:29]
	s_cbranch_execz .LBB121_268
.LBB121_253:
	v_sub_u32_e32 v18, v38, v10
	v_mov_b32_e32 v19, 0
	v_lshlrev_b64 v[18:19], 2, v[18:19]
	v_add_co_u32_e32 v18, vcc, v14, v18
	v_addc_co_u32_e32 v19, vcc, v15, v19, vcc
	global_store_dword v[18:19], v71, off
	s_or_b64 exec, exec, s[42:43]
	s_and_saveexec_b64 s[42:43], s[26:27]
	s_cbranch_execnz .LBB121_269
.LBB121_254:
	s_or_b64 exec, exec, s[42:43]
	s_and_saveexec_b64 s[42:43], s[24:25]
	s_cbranch_execz .LBB121_270
.LBB121_255:
	v_sub_u32_e32 v18, v36, v10
	v_mov_b32_e32 v19, 0
	v_lshlrev_b64 v[18:19], 2, v[18:19]
	v_add_co_u32_e32 v18, vcc, v14, v18
	v_addc_co_u32_e32 v19, vcc, v15, v19, vcc
	global_store_dword v[18:19], v69, off
	s_or_b64 exec, exec, s[42:43]
	s_and_saveexec_b64 s[42:43], s[22:23]
	s_cbranch_execnz .LBB121_271
.LBB121_256:
	s_or_b64 exec, exec, s[42:43]
	s_and_saveexec_b64 s[42:43], s[20:21]
	s_cbranch_execz .LBB121_272
.LBB121_257:
	v_sub_u32_e32 v18, v34, v10
	v_mov_b32_e32 v19, 0
	v_lshlrev_b64 v[18:19], 2, v[18:19]
	v_add_co_u32_e32 v18, vcc, v14, v18
	v_addc_co_u32_e32 v19, vcc, v15, v19, vcc
	global_store_dword v[18:19], v67, off
	s_or_b64 exec, exec, s[42:43]
	s_and_saveexec_b64 s[42:43], s[18:19]
	s_cbranch_execnz .LBB121_273
.LBB121_258:
	s_or_b64 exec, exec, s[42:43]
	s_and_saveexec_b64 s[42:43], s[16:17]
	s_cbranch_execz .LBB121_274
.LBB121_259:
	v_sub_u32_e32 v18, v32, v10
	v_mov_b32_e32 v19, 0
	v_lshlrev_b64 v[18:19], 2, v[18:19]
	v_add_co_u32_e32 v18, vcc, v14, v18
	v_addc_co_u32_e32 v19, vcc, v15, v19, vcc
	global_store_dword v[18:19], v65, off
	s_or_b64 exec, exec, s[42:43]
	s_and_saveexec_b64 s[42:43], s[14:15]
	s_cbranch_execnz .LBB121_275
.LBB121_260:
	s_or_b64 exec, exec, s[42:43]
	s_and_saveexec_b64 s[42:43], s[12:13]
	s_cbranch_execz .LBB121_276
.LBB121_261:
	v_sub_u32_e32 v18, v30, v10
	v_mov_b32_e32 v19, 0
	v_lshlrev_b64 v[18:19], 2, v[18:19]
	v_add_co_u32_e32 v18, vcc, v14, v18
	v_addc_co_u32_e32 v19, vcc, v15, v19, vcc
	global_store_dword v[18:19], v63, off
	s_or_b64 exec, exec, s[42:43]
	s_and_saveexec_b64 s[42:43], s[10:11]
	s_cbranch_execnz .LBB121_277
.LBB121_262:
	s_or_b64 exec, exec, s[42:43]
	s_and_saveexec_b64 s[42:43], s[8:9]
	s_cbranch_execz .LBB121_278
.LBB121_263:
	v_sub_u32_e32 v18, v28, v10
	v_mov_b32_e32 v19, 0
	v_lshlrev_b64 v[18:19], 2, v[18:19]
	v_add_co_u32_e32 v18, vcc, v14, v18
	v_addc_co_u32_e32 v19, vcc, v15, v19, vcc
	global_store_dword v[18:19], v60, off
	s_or_b64 exec, exec, s[42:43]
	s_and_saveexec_b64 s[42:43], s[6:7]
	s_cbranch_execnz .LBB121_279
	s_branch .LBB121_280
.LBB121_264:
	s_andn2_saveexec_b64 s[38:39], s[38:39]
	s_cbranch_execz .LBB121_281
.LBB121_265:
	v_sub_u32_e32 v18, v5, v10
	v_mov_b32_e32 v19, 0
	v_lshlrev_b64 v[20:21], 2, v[18:19]
	v_add_co_u32_e32 v20, vcc, v14, v20
	v_addc_co_u32_e32 v21, vcc, v15, v21, vcc
	v_sub_u32_e32 v18, v39, v10
	global_store_dword v[20:21], v73, off
	v_lshlrev_b64 v[20:21], 2, v[18:19]
	v_add_co_u32_e32 v20, vcc, v14, v20
	v_addc_co_u32_e32 v21, vcc, v15, v21, vcc
	v_sub_u32_e32 v18, v38, v10
	global_store_dword v[20:21], v72, off
	;; [unrolled: 5-line block ×12, first 2 shown]
	v_lshlrev_b64 v[20:21], 2, v[18:19]
	v_add_co_u32_e32 v20, vcc, v14, v20
	v_sub_u32_e32 v18, v4, v10
	v_addc_co_u32_e32 v21, vcc, v15, v21, vcc
	v_lshlrev_b64 v[18:19], 2, v[18:19]
	v_add_co_u32_e32 v18, vcc, v14, v18
	v_addc_co_u32_e32 v19, vcc, v15, v19, vcc
	s_or_b64 s[42:43], s[42:43], exec
	global_store_dword v[20:21], v60, off
	global_store_dword v[18:19], v43, off
	s_or_b64 exec, exec, s[38:39]
	s_and_b64 exec, exec, s[42:43]
	s_cbranch_execnz .LBB121_282
	s_branch .LBB121_283
.LBB121_266:
	s_or_b64 exec, exec, s[42:43]
	s_and_saveexec_b64 s[42:43], s[30:31]
	s_cbranch_execz .LBB121_252
.LBB121_267:
	v_sub_u32_e32 v18, v39, v10
	v_mov_b32_e32 v19, 0
	v_lshlrev_b64 v[18:19], 2, v[18:19]
	v_add_co_u32_e32 v18, vcc, v14, v18
	v_addc_co_u32_e32 v19, vcc, v15, v19, vcc
	global_store_dword v[18:19], v72, off
	s_or_b64 exec, exec, s[42:43]
	s_and_saveexec_b64 s[42:43], s[28:29]
	s_cbranch_execnz .LBB121_253
.LBB121_268:
	s_or_b64 exec, exec, s[42:43]
	s_and_saveexec_b64 s[42:43], s[26:27]
	s_cbranch_execz .LBB121_254
.LBB121_269:
	v_sub_u32_e32 v18, v37, v10
	v_mov_b32_e32 v19, 0
	v_lshlrev_b64 v[18:19], 2, v[18:19]
	v_add_co_u32_e32 v18, vcc, v14, v18
	v_addc_co_u32_e32 v19, vcc, v15, v19, vcc
	global_store_dword v[18:19], v70, off
	s_or_b64 exec, exec, s[42:43]
	s_and_saveexec_b64 s[42:43], s[24:25]
	s_cbranch_execnz .LBB121_255
.LBB121_270:
	s_or_b64 exec, exec, s[42:43]
	s_and_saveexec_b64 s[42:43], s[22:23]
	s_cbranch_execz .LBB121_256
.LBB121_271:
	v_sub_u32_e32 v18, v35, v10
	v_mov_b32_e32 v19, 0
	v_lshlrev_b64 v[18:19], 2, v[18:19]
	v_add_co_u32_e32 v18, vcc, v14, v18
	v_addc_co_u32_e32 v19, vcc, v15, v19, vcc
	global_store_dword v[18:19], v68, off
	s_or_b64 exec, exec, s[42:43]
	s_and_saveexec_b64 s[42:43], s[20:21]
	s_cbranch_execnz .LBB121_257
.LBB121_272:
	s_or_b64 exec, exec, s[42:43]
	s_and_saveexec_b64 s[42:43], s[18:19]
	s_cbranch_execz .LBB121_258
.LBB121_273:
	v_sub_u32_e32 v18, v33, v10
	v_mov_b32_e32 v19, 0
	v_lshlrev_b64 v[18:19], 2, v[18:19]
	v_add_co_u32_e32 v18, vcc, v14, v18
	v_addc_co_u32_e32 v19, vcc, v15, v19, vcc
	global_store_dword v[18:19], v66, off
	s_or_b64 exec, exec, s[42:43]
	s_and_saveexec_b64 s[42:43], s[16:17]
	s_cbranch_execnz .LBB121_259
.LBB121_274:
	s_or_b64 exec, exec, s[42:43]
	s_and_saveexec_b64 s[42:43], s[14:15]
	s_cbranch_execz .LBB121_260
.LBB121_275:
	v_sub_u32_e32 v18, v31, v10
	v_mov_b32_e32 v19, 0
	v_lshlrev_b64 v[18:19], 2, v[18:19]
	v_add_co_u32_e32 v18, vcc, v14, v18
	v_addc_co_u32_e32 v19, vcc, v15, v19, vcc
	global_store_dword v[18:19], v64, off
	s_or_b64 exec, exec, s[42:43]
	s_and_saveexec_b64 s[42:43], s[12:13]
	s_cbranch_execnz .LBB121_261
.LBB121_276:
	s_or_b64 exec, exec, s[42:43]
	s_and_saveexec_b64 s[42:43], s[10:11]
	s_cbranch_execz .LBB121_262
.LBB121_277:
	v_sub_u32_e32 v18, v29, v10
	v_mov_b32_e32 v19, 0
	v_lshlrev_b64 v[18:19], 2, v[18:19]
	v_add_co_u32_e32 v18, vcc, v14, v18
	v_addc_co_u32_e32 v19, vcc, v15, v19, vcc
	global_store_dword v[18:19], v61, off
	s_or_b64 exec, exec, s[42:43]
	s_and_saveexec_b64 s[42:43], s[8:9]
	s_cbranch_execnz .LBB121_263
.LBB121_278:
	s_or_b64 exec, exec, s[42:43]
	s_and_saveexec_b64 s[42:43], s[6:7]
	s_cbranch_execz .LBB121_280
.LBB121_279:
	v_sub_u32_e32 v18, v4, v10
	v_mov_b32_e32 v19, 0
	v_lshlrev_b64 v[18:19], 2, v[18:19]
	v_add_co_u32_e32 v18, vcc, v14, v18
	v_addc_co_u32_e32 v19, vcc, v15, v19, vcc
	global_store_dword v[18:19], v43, off
.LBB121_280:
	s_or_b64 exec, exec, s[42:43]
	s_and_b64 s[42:43], s[4:5], exec
	s_andn2_saveexec_b64 s[38:39], s[38:39]
	s_cbranch_execnz .LBB121_265
.LBB121_281:
	s_or_b64 exec, exec, s[38:39]
	s_and_b64 exec, exec, s[42:43]
	s_cbranch_execz .LBB121_283
.LBB121_282:
	v_sub_u32_e32 v18, v3, v10
	v_mov_b32_e32 v19, 0
	v_lshlrev_b64 v[18:19], 2, v[18:19]
	v_add_co_u32_e32 v18, vcc, v14, v18
	v_addc_co_u32_e32 v19, vcc, v15, v19, vcc
	global_store_dword v[18:19], v62, off
.LBB121_283:
	s_or_b64 exec, exec, s[36:37]
	s_mov_b64 s[36:37], 0
.LBB121_284:
	s_and_b64 vcc, exec, s[36:37]
	s_cbranch_vccz .LBB121_336
; %bb.285:
	v_cmp_gt_i16_e32 vcc, 2, v11
	s_and_saveexec_b64 s[36:37], vcc
	s_cbranch_execz .LBB121_320
; %bb.286:
	v_cmp_ne_u16_e32 vcc, 1, v11
	s_mov_b64 s[42:43], 0
	s_and_saveexec_b64 s[38:39], vcc
	s_xor_b64 s[38:39], exec, s[38:39]
	s_cbranch_execz .LBB121_301
; %bb.287:
	s_and_saveexec_b64 s[42:43], s[34:35]
	s_cbranch_execz .LBB121_303
; %bb.288:
	v_sub_u32_e32 v5, v5, v10
	v_lshlrev_b32_e32 v5, 2, v5
	ds_write_b32 v5, v73
	s_or_b64 exec, exec, s[42:43]
	s_and_saveexec_b64 s[34:35], s[30:31]
	s_cbranch_execnz .LBB121_304
.LBB121_289:
	s_or_b64 exec, exec, s[34:35]
	s_and_saveexec_b64 s[30:31], s[28:29]
	s_cbranch_execz .LBB121_305
.LBB121_290:
	v_sub_u32_e32 v5, v38, v10
	v_lshlrev_b32_e32 v5, 2, v5
	ds_write_b32 v5, v71
	s_or_b64 exec, exec, s[30:31]
	s_and_saveexec_b64 s[28:29], s[26:27]
	s_cbranch_execnz .LBB121_306
.LBB121_291:
	s_or_b64 exec, exec, s[28:29]
	s_and_saveexec_b64 s[26:27], s[24:25]
	s_cbranch_execz .LBB121_307
.LBB121_292:
	v_sub_u32_e32 v5, v36, v10
	v_lshlrev_b32_e32 v5, 2, v5
	ds_write_b32 v5, v69
	s_or_b64 exec, exec, s[26:27]
	s_and_saveexec_b64 s[24:25], s[22:23]
	s_cbranch_execnz .LBB121_308
.LBB121_293:
	s_or_b64 exec, exec, s[24:25]
	s_and_saveexec_b64 s[22:23], s[20:21]
	s_cbranch_execz .LBB121_309
.LBB121_294:
	v_sub_u32_e32 v5, v34, v10
	v_lshlrev_b32_e32 v5, 2, v5
	ds_write_b32 v5, v67
	s_or_b64 exec, exec, s[22:23]
	s_and_saveexec_b64 s[20:21], s[18:19]
	s_cbranch_execnz .LBB121_310
.LBB121_295:
	s_or_b64 exec, exec, s[20:21]
	s_and_saveexec_b64 s[18:19], s[16:17]
	s_cbranch_execz .LBB121_311
.LBB121_296:
	v_sub_u32_e32 v5, v32, v10
	v_lshlrev_b32_e32 v5, 2, v5
	ds_write_b32 v5, v65
	s_or_b64 exec, exec, s[18:19]
	s_and_saveexec_b64 s[16:17], s[14:15]
	s_cbranch_execnz .LBB121_312
.LBB121_297:
	s_or_b64 exec, exec, s[16:17]
	s_and_saveexec_b64 s[14:15], s[12:13]
	s_cbranch_execz .LBB121_313
.LBB121_298:
	v_sub_u32_e32 v5, v30, v10
	v_lshlrev_b32_e32 v5, 2, v5
	ds_write_b32 v5, v63
	s_or_b64 exec, exec, s[14:15]
	s_and_saveexec_b64 s[12:13], s[10:11]
	s_cbranch_execnz .LBB121_314
.LBB121_299:
	s_or_b64 exec, exec, s[12:13]
	s_and_saveexec_b64 s[10:11], s[8:9]
	s_cbranch_execz .LBB121_315
.LBB121_300:
	v_sub_u32_e32 v5, v28, v10
	v_lshlrev_b32_e32 v5, 2, v5
	ds_write_b32 v5, v60
	s_or_b64 exec, exec, s[10:11]
	s_and_saveexec_b64 s[8:9], s[6:7]
	s_cbranch_execnz .LBB121_316
	s_branch .LBB121_317
.LBB121_301:
	s_andn2_saveexec_b64 s[4:5], s[38:39]
	s_cbranch_execz .LBB121_318
.LBB121_302:
	v_sub_u32_e32 v5, v5, v10
	v_lshlrev_b32_e32 v5, 2, v5
	ds_write_b32 v5, v73
	v_sub_u32_e32 v5, v39, v10
	v_lshlrev_b32_e32 v5, 2, v5
	ds_write_b32 v5, v72
	;; [unrolled: 3-line block ×12, first 2 shown]
	v_sub_u32_e32 v5, v28, v10
	v_sub_u32_e32 v4, v4, v10
	v_lshlrev_b32_e32 v5, 2, v5
	v_lshlrev_b32_e32 v4, 2, v4
	s_or_b64 s[42:43], s[42:43], exec
	ds_write_b32 v5, v60
	ds_write_b32 v4, v43
	s_or_b64 exec, exec, s[4:5]
	s_and_b64 exec, exec, s[42:43]
	s_cbranch_execnz .LBB121_319
	s_branch .LBB121_320
.LBB121_303:
	s_or_b64 exec, exec, s[42:43]
	s_and_saveexec_b64 s[34:35], s[30:31]
	s_cbranch_execz .LBB121_289
.LBB121_304:
	v_sub_u32_e32 v5, v39, v10
	v_lshlrev_b32_e32 v5, 2, v5
	ds_write_b32 v5, v72
	s_or_b64 exec, exec, s[34:35]
	s_and_saveexec_b64 s[30:31], s[28:29]
	s_cbranch_execnz .LBB121_290
.LBB121_305:
	s_or_b64 exec, exec, s[30:31]
	s_and_saveexec_b64 s[28:29], s[26:27]
	s_cbranch_execz .LBB121_291
.LBB121_306:
	v_sub_u32_e32 v5, v37, v10
	v_lshlrev_b32_e32 v5, 2, v5
	ds_write_b32 v5, v70
	s_or_b64 exec, exec, s[28:29]
	s_and_saveexec_b64 s[26:27], s[24:25]
	s_cbranch_execnz .LBB121_292
.LBB121_307:
	s_or_b64 exec, exec, s[26:27]
	s_and_saveexec_b64 s[24:25], s[22:23]
	s_cbranch_execz .LBB121_293
.LBB121_308:
	v_sub_u32_e32 v5, v35, v10
	v_lshlrev_b32_e32 v5, 2, v5
	ds_write_b32 v5, v68
	s_or_b64 exec, exec, s[24:25]
	s_and_saveexec_b64 s[22:23], s[20:21]
	s_cbranch_execnz .LBB121_294
.LBB121_309:
	s_or_b64 exec, exec, s[22:23]
	s_and_saveexec_b64 s[20:21], s[18:19]
	s_cbranch_execz .LBB121_295
.LBB121_310:
	v_sub_u32_e32 v5, v33, v10
	v_lshlrev_b32_e32 v5, 2, v5
	ds_write_b32 v5, v66
	s_or_b64 exec, exec, s[20:21]
	s_and_saveexec_b64 s[18:19], s[16:17]
	s_cbranch_execnz .LBB121_296
.LBB121_311:
	s_or_b64 exec, exec, s[18:19]
	s_and_saveexec_b64 s[16:17], s[14:15]
	s_cbranch_execz .LBB121_297
.LBB121_312:
	v_sub_u32_e32 v5, v31, v10
	v_lshlrev_b32_e32 v5, 2, v5
	ds_write_b32 v5, v64
	s_or_b64 exec, exec, s[16:17]
	s_and_saveexec_b64 s[14:15], s[12:13]
	s_cbranch_execnz .LBB121_298
.LBB121_313:
	s_or_b64 exec, exec, s[14:15]
	s_and_saveexec_b64 s[12:13], s[10:11]
	s_cbranch_execz .LBB121_299
.LBB121_314:
	v_sub_u32_e32 v5, v29, v10
	v_lshlrev_b32_e32 v5, 2, v5
	ds_write_b32 v5, v61
	s_or_b64 exec, exec, s[12:13]
	s_and_saveexec_b64 s[10:11], s[8:9]
	s_cbranch_execnz .LBB121_300
.LBB121_315:
	s_or_b64 exec, exec, s[10:11]
	s_and_saveexec_b64 s[8:9], s[6:7]
	s_cbranch_execz .LBB121_317
.LBB121_316:
	v_sub_u32_e32 v4, v4, v10
	v_lshlrev_b32_e32 v4, 2, v4
	ds_write_b32 v4, v43
.LBB121_317:
	s_or_b64 exec, exec, s[8:9]
	s_and_b64 s[42:43], s[4:5], exec
                                        ; implicit-def: $vgpr43
                                        ; implicit-def: $vgpr60
                                        ; implicit-def: $vgpr61
                                        ; implicit-def: $vgpr63
                                        ; implicit-def: $vgpr64
                                        ; implicit-def: $vgpr65
                                        ; implicit-def: $vgpr66
                                        ; implicit-def: $vgpr67
                                        ; implicit-def: $vgpr68
                                        ; implicit-def: $vgpr69
                                        ; implicit-def: $vgpr70
                                        ; implicit-def: $vgpr71
                                        ; implicit-def: $vgpr72
                                        ; implicit-def: $vgpr73
                                        ; implicit-def: $vgpr39
                                        ; implicit-def: $vgpr38
                                        ; implicit-def: $vgpr37
                                        ; implicit-def: $vgpr36
                                        ; implicit-def: $vgpr35
                                        ; implicit-def: $vgpr34
                                        ; implicit-def: $vgpr33
                                        ; implicit-def: $vgpr32
                                        ; implicit-def: $vgpr31
                                        ; implicit-def: $vgpr30
                                        ; implicit-def: $vgpr29
                                        ; implicit-def: $vgpr28
                                        ; implicit-def: $vgpr4
	s_andn2_saveexec_b64 s[4:5], s[38:39]
	s_cbranch_execnz .LBB121_302
.LBB121_318:
	s_or_b64 exec, exec, s[4:5]
	s_and_b64 exec, exec, s[42:43]
	s_cbranch_execz .LBB121_320
.LBB121_319:
	v_sub_u32_e32 v3, v3, v10
	v_lshlrev_b32_e32 v3, 2, v3
	ds_write_b32 v3, v62
.LBB121_320:
	s_or_b64 exec, exec, s[36:37]
	v_cmp_lt_u32_e32 vcc, v0, v7
	s_waitcnt lgkmcnt(0)
	s_barrier
	s_and_saveexec_b64 s[6:7], vcc
	s_cbranch_execz .LBB121_335
; %bb.321:
	v_add_u32_e32 v5, v2, v16
	v_xad_u32 v3, v0, -1, v5
	v_sub_u32_e32 v3, v3, v1
	s_movk_i32 s4, 0x1900
	v_cmp_gt_u32_e64 s[8:9], s4, v3
	s_movk_i32 s4, 0x18ff
	v_cmp_lt_u32_e32 vcc, s4, v3
	v_mov_b32_e32 v4, v0
	s_and_saveexec_b64 s[10:11], vcc
	s_cbranch_execz .LBB121_332
; %bb.322:
	v_sub_u32_e32 v4, v0, v5
	v_add_u32_e32 v1, v4, v1
	v_or_b32_e32 v1, 0xff, v1
	v_cmp_ge_u32_e32 vcc, v1, v0
	s_mov_b64 s[4:5], -1
	v_mov_b32_e32 v4, v0
	s_and_saveexec_b64 s[12:13], vcc
	s_cbranch_execz .LBB121_331
; %bb.323:
	v_lshrrev_b32_e32 v3, 8, v3
	v_add_u32_e32 v4, -1, v3
	v_or_b32_e32 v1, 0x100, v0
	v_lshrrev_b32_e32 v5, 1, v4
	v_add_u32_e32 v17, 1, v5
	v_cmp_lt_u32_e32 vcc, 13, v4
	v_mov_b32_e32 v20, 0
	v_lshlrev_b32_e32 v16, 2, v0
	v_pk_mov_b32 v[4:5], v[0:1], v[0:1] op_sel:[0,1]
	s_and_saveexec_b64 s[14:15], vcc
	s_cbranch_execz .LBB121_327
; %bb.324:
	v_and_b32_e32 v18, -8, v17
	s_mov_b32 s18, 0
	s_mov_b64 s[16:17], 0
	v_mov_b32_e32 v11, 0
	v_mov_b32_e32 v19, v16
	v_pk_mov_b32 v[4:5], v[0:1], v[0:1] op_sel:[0,1]
.LBB121_325:                            ; =>This Inner Loop Header: Depth=1
	v_mov_b32_e32 v10, v4
	v_add_u32_e32 v18, -8, v18
	v_lshlrev_b64 v[52:53], 2, v[10:11]
	v_mov_b32_e32 v10, v5
	ds_read2st64_b32 v[22:23], v19 offset1:4
	s_add_i32 s18, s18, 16
	v_cmp_eq_u32_e32 vcc, 0, v18
	v_lshlrev_b64 v[56:57], 2, v[10:11]
	v_add_u32_e32 v10, 0x200, v4
	s_or_b64 s[16:17], vcc, s[16:17]
	v_add_co_u32_e32 v56, vcc, v14, v56
	v_add_u32_e32 v20, 0x200, v5
	v_mov_b32_e32 v21, v11
	ds_read2st64_b32 v[24:25], v19 offset0:8 offset1:12
	ds_read2st64_b32 v[28:29], v19 offset0:16 offset1:20
	v_add_co_u32_e64 v52, s[4:5], v14, v52
	v_addc_co_u32_e32 v57, vcc, v15, v57, vcc
	v_lshlrev_b64 v[58:59], 2, v[10:11]
	v_lshlrev_b64 v[54:55], 2, v[20:21]
	v_addc_co_u32_e64 v53, s[4:5], v15, v53, s[4:5]
	v_add_u32_e32 v10, 0x400, v4
	v_add_co_u32_e32 v58, vcc, v14, v58
	v_add_u32_e32 v26, 0x400, v5
	v_mov_b32_e32 v27, v11
	ds_read2st64_b32 v[32:33], v19 offset0:24 offset1:28
	v_add_co_u32_e64 v54, s[4:5], v14, v54
	v_addc_co_u32_e32 v59, vcc, v15, v59, vcc
	v_lshlrev_b64 v[60:61], 2, v[10:11]
	ds_read2st64_b32 v[36:37], v19 offset0:32 offset1:36
	ds_read2st64_b32 v[40:41], v19 offset0:40 offset1:44
	;; [unrolled: 1-line block ×4, first 2 shown]
	v_lshlrev_b64 v[26:27], 2, v[26:27]
	v_addc_co_u32_e64 v55, s[4:5], v15, v55, s[4:5]
	v_add_u32_e32 v10, 0x600, v4
	s_waitcnt lgkmcnt(7)
	global_store_dword v[52:53], v22, off
	global_store_dword v[56:57], v23, off
	s_waitcnt lgkmcnt(6)
	global_store_dword v[58:59], v24, off
	global_store_dword v[54:55], v25, off
	v_add_co_u32_e32 v22, vcc, v14, v60
	v_add_u32_e32 v30, 0x600, v5
	v_mov_b32_e32 v31, v11
	v_add_co_u32_e64 v26, s[4:5], v14, v26
	v_addc_co_u32_e32 v23, vcc, v15, v61, vcc
	v_lshlrev_b64 v[24:25], 2, v[10:11]
	v_lshlrev_b64 v[30:31], 2, v[30:31]
	v_addc_co_u32_e64 v27, s[4:5], v15, v27, s[4:5]
	v_add_u32_e32 v10, 0x800, v4
	s_waitcnt lgkmcnt(5)
	global_store_dword v[22:23], v28, off
	global_store_dword v[26:27], v29, off
	v_add_co_u32_e32 v22, vcc, v14, v24
	v_add_u32_e32 v34, 0x800, v5
	v_mov_b32_e32 v35, v11
	v_add_co_u32_e64 v30, s[4:5], v14, v30
	v_addc_co_u32_e32 v23, vcc, v15, v25, vcc
	v_lshlrev_b64 v[24:25], 2, v[10:11]
	v_lshlrev_b64 v[34:35], 2, v[34:35]
	v_addc_co_u32_e64 v31, s[4:5], v15, v31, s[4:5]
	v_add_u32_e32 v10, 0xa00, v4
	;; [unrolled: 12-line block ×4, first 2 shown]
	s_waitcnt lgkmcnt(2)
	global_store_dword v[22:23], v40, off
	global_store_dword v[38:39], v41, off
	v_add_co_u32_e32 v22, vcc, v14, v24
	v_add_u32_e32 v48, 0xe00, v5
	v_mov_b32_e32 v49, v11
	v_add_co_u32_e64 v44, s[4:5], v14, v44
	v_addc_co_u32_e32 v23, vcc, v15, v25, vcc
	v_lshlrev_b64 v[24:25], 2, v[10:11]
	v_lshlrev_b64 v[48:49], 2, v[48:49]
	v_addc_co_u32_e64 v45, s[4:5], v15, v45, s[4:5]
	s_waitcnt lgkmcnt(1)
	global_store_dword v[22:23], v46, off
	global_store_dword v[44:45], v47, off
	v_add_co_u32_e32 v22, vcc, v14, v24
	v_add_u32_e32 v19, 0x4000, v19
	v_add_u32_e32 v5, 0x1000, v5
	v_mov_b32_e32 v20, s18
	v_add_co_u32_e64 v48, s[4:5], v14, v48
	v_add_u32_e32 v4, 0x1000, v4
	v_addc_co_u32_e32 v23, vcc, v15, v25, vcc
	v_addc_co_u32_e64 v49, s[4:5], v15, v49, s[4:5]
	s_waitcnt lgkmcnt(0)
	global_store_dword v[22:23], v50, off
	global_store_dword v[48:49], v51, off
	s_andn2_b64 exec, exec, s[16:17]
	s_cbranch_execnz .LBB121_325
; %bb.326:
	s_or_b64 exec, exec, s[16:17]
.LBB121_327:
	s_or_b64 exec, exec, s[14:15]
	v_and_b32_e32 v1, 7, v17
	v_cmp_ne_u32_e32 vcc, 0, v1
	s_and_saveexec_b64 s[14:15], vcc
	s_cbranch_execz .LBB121_330
; %bb.328:
	v_lshl_or_b32 v16, v20, 10, v16
	s_mov_b64 s[16:17], 0
	v_mov_b32_e32 v11, 0
.LBB121_329:                            ; =>This Inner Loop Header: Depth=1
	ds_read2st64_b32 v[18:19], v16 offset1:4
	v_mov_b32_e32 v10, v4
	v_add_u32_e32 v1, -1, v1
	v_lshlrev_b64 v[20:21], 2, v[10:11]
	v_mov_b32_e32 v10, v5
	v_cmp_eq_u32_e32 vcc, 0, v1
	v_add_co_u32_e64 v20, s[4:5], v14, v20
	v_lshlrev_b64 v[22:23], 2, v[10:11]
	v_add_u32_e32 v4, 0x200, v4
	v_add_u32_e32 v16, 0x800, v16
	v_add_u32_e32 v5, 0x200, v5
	v_addc_co_u32_e64 v21, s[4:5], v15, v21, s[4:5]
	s_or_b64 s[16:17], vcc, s[16:17]
	v_add_co_u32_e32 v22, vcc, v14, v22
	v_addc_co_u32_e32 v23, vcc, v15, v23, vcc
	s_waitcnt lgkmcnt(0)
	global_store_dword v[20:21], v18, off
	global_store_dword v[22:23], v19, off
	s_andn2_b64 exec, exec, s[16:17]
	s_cbranch_execnz .LBB121_329
.LBB121_330:
	s_or_b64 exec, exec, s[14:15]
	v_add_u32_e32 v1, 1, v3
	v_and_b32_e32 v3, 0x1fffffe, v1
	v_cmp_ne_u32_e32 vcc, v1, v3
	v_lshl_or_b32 v4, v3, 8, v0
	s_orn2_b64 s[4:5], vcc, exec
.LBB121_331:
	s_or_b64 exec, exec, s[12:13]
	s_andn2_b64 s[8:9], s[8:9], exec
	s_and_b64 s[4:5], s[4:5], exec
	s_or_b64 s[8:9], s[8:9], s[4:5]
.LBB121_332:
	s_or_b64 exec, exec, s[10:11]
	s_and_b64 exec, exec, s[8:9]
	s_cbranch_execz .LBB121_335
; %bb.333:
	v_lshlrev_b32_e32 v1, 2, v4
	s_mov_b64 s[4:5], 0
	v_mov_b32_e32 v5, 0
.LBB121_334:                            ; =>This Inner Loop Header: Depth=1
	v_lshlrev_b64 v[10:11], 2, v[4:5]
	ds_read_b32 v3, v1
	v_add_co_u32_e32 v10, vcc, v14, v10
	v_add_u32_e32 v4, 0x100, v4
	v_addc_co_u32_e32 v11, vcc, v15, v11, vcc
	v_cmp_ge_u32_e32 vcc, v4, v7
	v_add_u32_e32 v1, 0x400, v1
	s_or_b64 s[4:5], vcc, s[4:5]
	s_waitcnt lgkmcnt(0)
	global_store_dword v[10:11], v3, off
	s_andn2_b64 exec, exec, s[4:5]
	s_cbranch_execnz .LBB121_334
.LBB121_335:
	s_or_b64 exec, exec, s[6:7]
.LBB121_336:
	s_movk_i32 s4, 0xff
	v_cmp_eq_u32_e32 vcc, s4, v0
	s_and_b64 s[4:5], vcc, s[40:41]
	s_and_b64 exec, exec, s[4:5]
	s_cbranch_execz .LBB121_339
; %bb.337:
	v_add_co_u32_e32 v0, vcc, v2, v6
	v_addc_co_u32_e64 v1, s[4:5], 0, 0, vcc
	v_add_co_u32_e32 v0, vcc, v0, v8
	v_mov_b32_e32 v3, 0
	v_addc_co_u32_e32 v1, vcc, v1, v9, vcc
	s_cmpk_lg_i32 s33, 0xf00
	global_store_dwordx2 v3, v[0:1], s[58:59]
	s_cbranch_scc1 .LBB121_339
; %bb.338:
	v_lshlrev_b64 v[0:1], 2, v[2:3]
	v_add_co_u32_e32 v0, vcc, v12, v0
	v_addc_co_u32_e32 v1, vcc, v13, v1, vcc
	global_store_dword v[0:1], v42, off offset:-4
	s_endpgm
.LBB121_339:
	s_endpgm
	.section	.rodata,"a",@progbits
	.p2align	6, 0x0
	.amdhsa_kernel _ZN7rocprim17ROCPRIM_400000_NS6detail17trampoline_kernelINS0_14default_configENS1_29reduce_by_key_config_selectorIffN6thrust23THRUST_200600_302600_NS4plusIfEEEEZZNS1_33reduce_by_key_impl_wrapped_configILNS1_25lookback_scan_determinismE1ES3_S9_NS6_6detail15normal_iteratorINS6_10device_ptrIfEEEESG_SG_SG_PmS8_NS6_8equal_toIfEEEE10hipError_tPvRmT2_T3_mT4_T5_T6_T7_T8_P12ihipStream_tbENKUlT_T0_E_clISt17integral_constantIbLb0EES10_IbLb1EEEEDaSW_SX_EUlSW_E_NS1_11comp_targetILNS1_3genE4ELNS1_11target_archE910ELNS1_3gpuE8ELNS1_3repE0EEENS1_30default_config_static_selectorELNS0_4arch9wavefront6targetE1EEEvT1_
		.amdhsa_group_segment_fixed_size 15360
		.amdhsa_private_segment_fixed_size 48
		.amdhsa_kernarg_size 120
		.amdhsa_user_sgpr_count 8
		.amdhsa_user_sgpr_private_segment_buffer 1
		.amdhsa_user_sgpr_dispatch_ptr 0
		.amdhsa_user_sgpr_queue_ptr 0
		.amdhsa_user_sgpr_kernarg_segment_ptr 1
		.amdhsa_user_sgpr_dispatch_id 0
		.amdhsa_user_sgpr_flat_scratch_init 1
		.amdhsa_user_sgpr_kernarg_preload_length 0
		.amdhsa_user_sgpr_kernarg_preload_offset 0
		.amdhsa_user_sgpr_private_segment_size 0
		.amdhsa_uses_dynamic_stack 0
		.amdhsa_system_sgpr_private_segment_wavefront_offset 1
		.amdhsa_system_sgpr_workgroup_id_x 1
		.amdhsa_system_sgpr_workgroup_id_y 0
		.amdhsa_system_sgpr_workgroup_id_z 0
		.amdhsa_system_sgpr_workgroup_info 0
		.amdhsa_system_vgpr_workitem_id 0
		.amdhsa_next_free_vgpr 108
		.amdhsa_next_free_sgpr 76
		.amdhsa_accum_offset 108
		.amdhsa_reserve_vcc 1
		.amdhsa_reserve_flat_scratch 1
		.amdhsa_float_round_mode_32 0
		.amdhsa_float_round_mode_16_64 0
		.amdhsa_float_denorm_mode_32 3
		.amdhsa_float_denorm_mode_16_64 3
		.amdhsa_dx10_clamp 1
		.amdhsa_ieee_mode 1
		.amdhsa_fp16_overflow 0
		.amdhsa_tg_split 0
		.amdhsa_exception_fp_ieee_invalid_op 0
		.amdhsa_exception_fp_denorm_src 0
		.amdhsa_exception_fp_ieee_div_zero 0
		.amdhsa_exception_fp_ieee_overflow 0
		.amdhsa_exception_fp_ieee_underflow 0
		.amdhsa_exception_fp_ieee_inexact 0
		.amdhsa_exception_int_div_zero 0
	.end_amdhsa_kernel
	.section	.text._ZN7rocprim17ROCPRIM_400000_NS6detail17trampoline_kernelINS0_14default_configENS1_29reduce_by_key_config_selectorIffN6thrust23THRUST_200600_302600_NS4plusIfEEEEZZNS1_33reduce_by_key_impl_wrapped_configILNS1_25lookback_scan_determinismE1ES3_S9_NS6_6detail15normal_iteratorINS6_10device_ptrIfEEEESG_SG_SG_PmS8_NS6_8equal_toIfEEEE10hipError_tPvRmT2_T3_mT4_T5_T6_T7_T8_P12ihipStream_tbENKUlT_T0_E_clISt17integral_constantIbLb0EES10_IbLb1EEEEDaSW_SX_EUlSW_E_NS1_11comp_targetILNS1_3genE4ELNS1_11target_archE910ELNS1_3gpuE8ELNS1_3repE0EEENS1_30default_config_static_selectorELNS0_4arch9wavefront6targetE1EEEvT1_,"axG",@progbits,_ZN7rocprim17ROCPRIM_400000_NS6detail17trampoline_kernelINS0_14default_configENS1_29reduce_by_key_config_selectorIffN6thrust23THRUST_200600_302600_NS4plusIfEEEEZZNS1_33reduce_by_key_impl_wrapped_configILNS1_25lookback_scan_determinismE1ES3_S9_NS6_6detail15normal_iteratorINS6_10device_ptrIfEEEESG_SG_SG_PmS8_NS6_8equal_toIfEEEE10hipError_tPvRmT2_T3_mT4_T5_T6_T7_T8_P12ihipStream_tbENKUlT_T0_E_clISt17integral_constantIbLb0EES10_IbLb1EEEEDaSW_SX_EUlSW_E_NS1_11comp_targetILNS1_3genE4ELNS1_11target_archE910ELNS1_3gpuE8ELNS1_3repE0EEENS1_30default_config_static_selectorELNS0_4arch9wavefront6targetE1EEEvT1_,comdat
.Lfunc_end121:
	.size	_ZN7rocprim17ROCPRIM_400000_NS6detail17trampoline_kernelINS0_14default_configENS1_29reduce_by_key_config_selectorIffN6thrust23THRUST_200600_302600_NS4plusIfEEEEZZNS1_33reduce_by_key_impl_wrapped_configILNS1_25lookback_scan_determinismE1ES3_S9_NS6_6detail15normal_iteratorINS6_10device_ptrIfEEEESG_SG_SG_PmS8_NS6_8equal_toIfEEEE10hipError_tPvRmT2_T3_mT4_T5_T6_T7_T8_P12ihipStream_tbENKUlT_T0_E_clISt17integral_constantIbLb0EES10_IbLb1EEEEDaSW_SX_EUlSW_E_NS1_11comp_targetILNS1_3genE4ELNS1_11target_archE910ELNS1_3gpuE8ELNS1_3repE0EEENS1_30default_config_static_selectorELNS0_4arch9wavefront6targetE1EEEvT1_, .Lfunc_end121-_ZN7rocprim17ROCPRIM_400000_NS6detail17trampoline_kernelINS0_14default_configENS1_29reduce_by_key_config_selectorIffN6thrust23THRUST_200600_302600_NS4plusIfEEEEZZNS1_33reduce_by_key_impl_wrapped_configILNS1_25lookback_scan_determinismE1ES3_S9_NS6_6detail15normal_iteratorINS6_10device_ptrIfEEEESG_SG_SG_PmS8_NS6_8equal_toIfEEEE10hipError_tPvRmT2_T3_mT4_T5_T6_T7_T8_P12ihipStream_tbENKUlT_T0_E_clISt17integral_constantIbLb0EES10_IbLb1EEEEDaSW_SX_EUlSW_E_NS1_11comp_targetILNS1_3genE4ELNS1_11target_archE910ELNS1_3gpuE8ELNS1_3repE0EEENS1_30default_config_static_selectorELNS0_4arch9wavefront6targetE1EEEvT1_
                                        ; -- End function
	.section	.AMDGPU.csdata,"",@progbits
; Kernel info:
; codeLenInByte = 17944
; NumSgprs: 82
; NumVgprs: 108
; NumAgprs: 0
; TotalNumVgprs: 108
; ScratchSize: 48
; MemoryBound: 0
; FloatMode: 240
; IeeeMode: 1
; LDSByteSize: 15360 bytes/workgroup (compile time only)
; SGPRBlocks: 10
; VGPRBlocks: 13
; NumSGPRsForWavesPerEU: 82
; NumVGPRsForWavesPerEU: 108
; AccumOffset: 108
; Occupancy: 4
; WaveLimiterHint : 1
; COMPUTE_PGM_RSRC2:SCRATCH_EN: 1
; COMPUTE_PGM_RSRC2:USER_SGPR: 8
; COMPUTE_PGM_RSRC2:TRAP_HANDLER: 0
; COMPUTE_PGM_RSRC2:TGID_X_EN: 1
; COMPUTE_PGM_RSRC2:TGID_Y_EN: 0
; COMPUTE_PGM_RSRC2:TGID_Z_EN: 0
; COMPUTE_PGM_RSRC2:TIDIG_COMP_CNT: 0
; COMPUTE_PGM_RSRC3_GFX90A:ACCUM_OFFSET: 26
; COMPUTE_PGM_RSRC3_GFX90A:TG_SPLIT: 0
	.section	.text._ZN7rocprim17ROCPRIM_400000_NS6detail17trampoline_kernelINS0_14default_configENS1_29reduce_by_key_config_selectorIffN6thrust23THRUST_200600_302600_NS4plusIfEEEEZZNS1_33reduce_by_key_impl_wrapped_configILNS1_25lookback_scan_determinismE1ES3_S9_NS6_6detail15normal_iteratorINS6_10device_ptrIfEEEESG_SG_SG_PmS8_NS6_8equal_toIfEEEE10hipError_tPvRmT2_T3_mT4_T5_T6_T7_T8_P12ihipStream_tbENKUlT_T0_E_clISt17integral_constantIbLb0EES10_IbLb1EEEEDaSW_SX_EUlSW_E_NS1_11comp_targetILNS1_3genE3ELNS1_11target_archE908ELNS1_3gpuE7ELNS1_3repE0EEENS1_30default_config_static_selectorELNS0_4arch9wavefront6targetE1EEEvT1_,"axG",@progbits,_ZN7rocprim17ROCPRIM_400000_NS6detail17trampoline_kernelINS0_14default_configENS1_29reduce_by_key_config_selectorIffN6thrust23THRUST_200600_302600_NS4plusIfEEEEZZNS1_33reduce_by_key_impl_wrapped_configILNS1_25lookback_scan_determinismE1ES3_S9_NS6_6detail15normal_iteratorINS6_10device_ptrIfEEEESG_SG_SG_PmS8_NS6_8equal_toIfEEEE10hipError_tPvRmT2_T3_mT4_T5_T6_T7_T8_P12ihipStream_tbENKUlT_T0_E_clISt17integral_constantIbLb0EES10_IbLb1EEEEDaSW_SX_EUlSW_E_NS1_11comp_targetILNS1_3genE3ELNS1_11target_archE908ELNS1_3gpuE7ELNS1_3repE0EEENS1_30default_config_static_selectorELNS0_4arch9wavefront6targetE1EEEvT1_,comdat
	.protected	_ZN7rocprim17ROCPRIM_400000_NS6detail17trampoline_kernelINS0_14default_configENS1_29reduce_by_key_config_selectorIffN6thrust23THRUST_200600_302600_NS4plusIfEEEEZZNS1_33reduce_by_key_impl_wrapped_configILNS1_25lookback_scan_determinismE1ES3_S9_NS6_6detail15normal_iteratorINS6_10device_ptrIfEEEESG_SG_SG_PmS8_NS6_8equal_toIfEEEE10hipError_tPvRmT2_T3_mT4_T5_T6_T7_T8_P12ihipStream_tbENKUlT_T0_E_clISt17integral_constantIbLb0EES10_IbLb1EEEEDaSW_SX_EUlSW_E_NS1_11comp_targetILNS1_3genE3ELNS1_11target_archE908ELNS1_3gpuE7ELNS1_3repE0EEENS1_30default_config_static_selectorELNS0_4arch9wavefront6targetE1EEEvT1_ ; -- Begin function _ZN7rocprim17ROCPRIM_400000_NS6detail17trampoline_kernelINS0_14default_configENS1_29reduce_by_key_config_selectorIffN6thrust23THRUST_200600_302600_NS4plusIfEEEEZZNS1_33reduce_by_key_impl_wrapped_configILNS1_25lookback_scan_determinismE1ES3_S9_NS6_6detail15normal_iteratorINS6_10device_ptrIfEEEESG_SG_SG_PmS8_NS6_8equal_toIfEEEE10hipError_tPvRmT2_T3_mT4_T5_T6_T7_T8_P12ihipStream_tbENKUlT_T0_E_clISt17integral_constantIbLb0EES10_IbLb1EEEEDaSW_SX_EUlSW_E_NS1_11comp_targetILNS1_3genE3ELNS1_11target_archE908ELNS1_3gpuE7ELNS1_3repE0EEENS1_30default_config_static_selectorELNS0_4arch9wavefront6targetE1EEEvT1_
	.globl	_ZN7rocprim17ROCPRIM_400000_NS6detail17trampoline_kernelINS0_14default_configENS1_29reduce_by_key_config_selectorIffN6thrust23THRUST_200600_302600_NS4plusIfEEEEZZNS1_33reduce_by_key_impl_wrapped_configILNS1_25lookback_scan_determinismE1ES3_S9_NS6_6detail15normal_iteratorINS6_10device_ptrIfEEEESG_SG_SG_PmS8_NS6_8equal_toIfEEEE10hipError_tPvRmT2_T3_mT4_T5_T6_T7_T8_P12ihipStream_tbENKUlT_T0_E_clISt17integral_constantIbLb0EES10_IbLb1EEEEDaSW_SX_EUlSW_E_NS1_11comp_targetILNS1_3genE3ELNS1_11target_archE908ELNS1_3gpuE7ELNS1_3repE0EEENS1_30default_config_static_selectorELNS0_4arch9wavefront6targetE1EEEvT1_
	.p2align	8
	.type	_ZN7rocprim17ROCPRIM_400000_NS6detail17trampoline_kernelINS0_14default_configENS1_29reduce_by_key_config_selectorIffN6thrust23THRUST_200600_302600_NS4plusIfEEEEZZNS1_33reduce_by_key_impl_wrapped_configILNS1_25lookback_scan_determinismE1ES3_S9_NS6_6detail15normal_iteratorINS6_10device_ptrIfEEEESG_SG_SG_PmS8_NS6_8equal_toIfEEEE10hipError_tPvRmT2_T3_mT4_T5_T6_T7_T8_P12ihipStream_tbENKUlT_T0_E_clISt17integral_constantIbLb0EES10_IbLb1EEEEDaSW_SX_EUlSW_E_NS1_11comp_targetILNS1_3genE3ELNS1_11target_archE908ELNS1_3gpuE7ELNS1_3repE0EEENS1_30default_config_static_selectorELNS0_4arch9wavefront6targetE1EEEvT1_,@function
_ZN7rocprim17ROCPRIM_400000_NS6detail17trampoline_kernelINS0_14default_configENS1_29reduce_by_key_config_selectorIffN6thrust23THRUST_200600_302600_NS4plusIfEEEEZZNS1_33reduce_by_key_impl_wrapped_configILNS1_25lookback_scan_determinismE1ES3_S9_NS6_6detail15normal_iteratorINS6_10device_ptrIfEEEESG_SG_SG_PmS8_NS6_8equal_toIfEEEE10hipError_tPvRmT2_T3_mT4_T5_T6_T7_T8_P12ihipStream_tbENKUlT_T0_E_clISt17integral_constantIbLb0EES10_IbLb1EEEEDaSW_SX_EUlSW_E_NS1_11comp_targetILNS1_3genE3ELNS1_11target_archE908ELNS1_3gpuE7ELNS1_3repE0EEENS1_30default_config_static_selectorELNS0_4arch9wavefront6targetE1EEEvT1_: ; @_ZN7rocprim17ROCPRIM_400000_NS6detail17trampoline_kernelINS0_14default_configENS1_29reduce_by_key_config_selectorIffN6thrust23THRUST_200600_302600_NS4plusIfEEEEZZNS1_33reduce_by_key_impl_wrapped_configILNS1_25lookback_scan_determinismE1ES3_S9_NS6_6detail15normal_iteratorINS6_10device_ptrIfEEEESG_SG_SG_PmS8_NS6_8equal_toIfEEEE10hipError_tPvRmT2_T3_mT4_T5_T6_T7_T8_P12ihipStream_tbENKUlT_T0_E_clISt17integral_constantIbLb0EES10_IbLb1EEEEDaSW_SX_EUlSW_E_NS1_11comp_targetILNS1_3genE3ELNS1_11target_archE908ELNS1_3gpuE7ELNS1_3repE0EEENS1_30default_config_static_selectorELNS0_4arch9wavefront6targetE1EEEvT1_
; %bb.0:
	.section	.rodata,"a",@progbits
	.p2align	6, 0x0
	.amdhsa_kernel _ZN7rocprim17ROCPRIM_400000_NS6detail17trampoline_kernelINS0_14default_configENS1_29reduce_by_key_config_selectorIffN6thrust23THRUST_200600_302600_NS4plusIfEEEEZZNS1_33reduce_by_key_impl_wrapped_configILNS1_25lookback_scan_determinismE1ES3_S9_NS6_6detail15normal_iteratorINS6_10device_ptrIfEEEESG_SG_SG_PmS8_NS6_8equal_toIfEEEE10hipError_tPvRmT2_T3_mT4_T5_T6_T7_T8_P12ihipStream_tbENKUlT_T0_E_clISt17integral_constantIbLb0EES10_IbLb1EEEEDaSW_SX_EUlSW_E_NS1_11comp_targetILNS1_3genE3ELNS1_11target_archE908ELNS1_3gpuE7ELNS1_3repE0EEENS1_30default_config_static_selectorELNS0_4arch9wavefront6targetE1EEEvT1_
		.amdhsa_group_segment_fixed_size 0
		.amdhsa_private_segment_fixed_size 0
		.amdhsa_kernarg_size 120
		.amdhsa_user_sgpr_count 6
		.amdhsa_user_sgpr_private_segment_buffer 1
		.amdhsa_user_sgpr_dispatch_ptr 0
		.amdhsa_user_sgpr_queue_ptr 0
		.amdhsa_user_sgpr_kernarg_segment_ptr 1
		.amdhsa_user_sgpr_dispatch_id 0
		.amdhsa_user_sgpr_flat_scratch_init 0
		.amdhsa_user_sgpr_kernarg_preload_length 0
		.amdhsa_user_sgpr_kernarg_preload_offset 0
		.amdhsa_user_sgpr_private_segment_size 0
		.amdhsa_uses_dynamic_stack 0
		.amdhsa_system_sgpr_private_segment_wavefront_offset 0
		.amdhsa_system_sgpr_workgroup_id_x 1
		.amdhsa_system_sgpr_workgroup_id_y 0
		.amdhsa_system_sgpr_workgroup_id_z 0
		.amdhsa_system_sgpr_workgroup_info 0
		.amdhsa_system_vgpr_workitem_id 0
		.amdhsa_next_free_vgpr 1
		.amdhsa_next_free_sgpr 0
		.amdhsa_accum_offset 4
		.amdhsa_reserve_vcc 0
		.amdhsa_reserve_flat_scratch 0
		.amdhsa_float_round_mode_32 0
		.amdhsa_float_round_mode_16_64 0
		.amdhsa_float_denorm_mode_32 3
		.amdhsa_float_denorm_mode_16_64 3
		.amdhsa_dx10_clamp 1
		.amdhsa_ieee_mode 1
		.amdhsa_fp16_overflow 0
		.amdhsa_tg_split 0
		.amdhsa_exception_fp_ieee_invalid_op 0
		.amdhsa_exception_fp_denorm_src 0
		.amdhsa_exception_fp_ieee_div_zero 0
		.amdhsa_exception_fp_ieee_overflow 0
		.amdhsa_exception_fp_ieee_underflow 0
		.amdhsa_exception_fp_ieee_inexact 0
		.amdhsa_exception_int_div_zero 0
	.end_amdhsa_kernel
	.section	.text._ZN7rocprim17ROCPRIM_400000_NS6detail17trampoline_kernelINS0_14default_configENS1_29reduce_by_key_config_selectorIffN6thrust23THRUST_200600_302600_NS4plusIfEEEEZZNS1_33reduce_by_key_impl_wrapped_configILNS1_25lookback_scan_determinismE1ES3_S9_NS6_6detail15normal_iteratorINS6_10device_ptrIfEEEESG_SG_SG_PmS8_NS6_8equal_toIfEEEE10hipError_tPvRmT2_T3_mT4_T5_T6_T7_T8_P12ihipStream_tbENKUlT_T0_E_clISt17integral_constantIbLb0EES10_IbLb1EEEEDaSW_SX_EUlSW_E_NS1_11comp_targetILNS1_3genE3ELNS1_11target_archE908ELNS1_3gpuE7ELNS1_3repE0EEENS1_30default_config_static_selectorELNS0_4arch9wavefront6targetE1EEEvT1_,"axG",@progbits,_ZN7rocprim17ROCPRIM_400000_NS6detail17trampoline_kernelINS0_14default_configENS1_29reduce_by_key_config_selectorIffN6thrust23THRUST_200600_302600_NS4plusIfEEEEZZNS1_33reduce_by_key_impl_wrapped_configILNS1_25lookback_scan_determinismE1ES3_S9_NS6_6detail15normal_iteratorINS6_10device_ptrIfEEEESG_SG_SG_PmS8_NS6_8equal_toIfEEEE10hipError_tPvRmT2_T3_mT4_T5_T6_T7_T8_P12ihipStream_tbENKUlT_T0_E_clISt17integral_constantIbLb0EES10_IbLb1EEEEDaSW_SX_EUlSW_E_NS1_11comp_targetILNS1_3genE3ELNS1_11target_archE908ELNS1_3gpuE7ELNS1_3repE0EEENS1_30default_config_static_selectorELNS0_4arch9wavefront6targetE1EEEvT1_,comdat
.Lfunc_end122:
	.size	_ZN7rocprim17ROCPRIM_400000_NS6detail17trampoline_kernelINS0_14default_configENS1_29reduce_by_key_config_selectorIffN6thrust23THRUST_200600_302600_NS4plusIfEEEEZZNS1_33reduce_by_key_impl_wrapped_configILNS1_25lookback_scan_determinismE1ES3_S9_NS6_6detail15normal_iteratorINS6_10device_ptrIfEEEESG_SG_SG_PmS8_NS6_8equal_toIfEEEE10hipError_tPvRmT2_T3_mT4_T5_T6_T7_T8_P12ihipStream_tbENKUlT_T0_E_clISt17integral_constantIbLb0EES10_IbLb1EEEEDaSW_SX_EUlSW_E_NS1_11comp_targetILNS1_3genE3ELNS1_11target_archE908ELNS1_3gpuE7ELNS1_3repE0EEENS1_30default_config_static_selectorELNS0_4arch9wavefront6targetE1EEEvT1_, .Lfunc_end122-_ZN7rocprim17ROCPRIM_400000_NS6detail17trampoline_kernelINS0_14default_configENS1_29reduce_by_key_config_selectorIffN6thrust23THRUST_200600_302600_NS4plusIfEEEEZZNS1_33reduce_by_key_impl_wrapped_configILNS1_25lookback_scan_determinismE1ES3_S9_NS6_6detail15normal_iteratorINS6_10device_ptrIfEEEESG_SG_SG_PmS8_NS6_8equal_toIfEEEE10hipError_tPvRmT2_T3_mT4_T5_T6_T7_T8_P12ihipStream_tbENKUlT_T0_E_clISt17integral_constantIbLb0EES10_IbLb1EEEEDaSW_SX_EUlSW_E_NS1_11comp_targetILNS1_3genE3ELNS1_11target_archE908ELNS1_3gpuE7ELNS1_3repE0EEENS1_30default_config_static_selectorELNS0_4arch9wavefront6targetE1EEEvT1_
                                        ; -- End function
	.section	.AMDGPU.csdata,"",@progbits
; Kernel info:
; codeLenInByte = 0
; NumSgprs: 4
; NumVgprs: 0
; NumAgprs: 0
; TotalNumVgprs: 0
; ScratchSize: 0
; MemoryBound: 0
; FloatMode: 240
; IeeeMode: 1
; LDSByteSize: 0 bytes/workgroup (compile time only)
; SGPRBlocks: 0
; VGPRBlocks: 0
; NumSGPRsForWavesPerEU: 4
; NumVGPRsForWavesPerEU: 1
; AccumOffset: 4
; Occupancy: 8
; WaveLimiterHint : 0
; COMPUTE_PGM_RSRC2:SCRATCH_EN: 0
; COMPUTE_PGM_RSRC2:USER_SGPR: 6
; COMPUTE_PGM_RSRC2:TRAP_HANDLER: 0
; COMPUTE_PGM_RSRC2:TGID_X_EN: 1
; COMPUTE_PGM_RSRC2:TGID_Y_EN: 0
; COMPUTE_PGM_RSRC2:TGID_Z_EN: 0
; COMPUTE_PGM_RSRC2:TIDIG_COMP_CNT: 0
; COMPUTE_PGM_RSRC3_GFX90A:ACCUM_OFFSET: 0
; COMPUTE_PGM_RSRC3_GFX90A:TG_SPLIT: 0
	.section	.text._ZN7rocprim17ROCPRIM_400000_NS6detail17trampoline_kernelINS0_14default_configENS1_29reduce_by_key_config_selectorIffN6thrust23THRUST_200600_302600_NS4plusIfEEEEZZNS1_33reduce_by_key_impl_wrapped_configILNS1_25lookback_scan_determinismE1ES3_S9_NS6_6detail15normal_iteratorINS6_10device_ptrIfEEEESG_SG_SG_PmS8_NS6_8equal_toIfEEEE10hipError_tPvRmT2_T3_mT4_T5_T6_T7_T8_P12ihipStream_tbENKUlT_T0_E_clISt17integral_constantIbLb0EES10_IbLb1EEEEDaSW_SX_EUlSW_E_NS1_11comp_targetILNS1_3genE2ELNS1_11target_archE906ELNS1_3gpuE6ELNS1_3repE0EEENS1_30default_config_static_selectorELNS0_4arch9wavefront6targetE1EEEvT1_,"axG",@progbits,_ZN7rocprim17ROCPRIM_400000_NS6detail17trampoline_kernelINS0_14default_configENS1_29reduce_by_key_config_selectorIffN6thrust23THRUST_200600_302600_NS4plusIfEEEEZZNS1_33reduce_by_key_impl_wrapped_configILNS1_25lookback_scan_determinismE1ES3_S9_NS6_6detail15normal_iteratorINS6_10device_ptrIfEEEESG_SG_SG_PmS8_NS6_8equal_toIfEEEE10hipError_tPvRmT2_T3_mT4_T5_T6_T7_T8_P12ihipStream_tbENKUlT_T0_E_clISt17integral_constantIbLb0EES10_IbLb1EEEEDaSW_SX_EUlSW_E_NS1_11comp_targetILNS1_3genE2ELNS1_11target_archE906ELNS1_3gpuE6ELNS1_3repE0EEENS1_30default_config_static_selectorELNS0_4arch9wavefront6targetE1EEEvT1_,comdat
	.protected	_ZN7rocprim17ROCPRIM_400000_NS6detail17trampoline_kernelINS0_14default_configENS1_29reduce_by_key_config_selectorIffN6thrust23THRUST_200600_302600_NS4plusIfEEEEZZNS1_33reduce_by_key_impl_wrapped_configILNS1_25lookback_scan_determinismE1ES3_S9_NS6_6detail15normal_iteratorINS6_10device_ptrIfEEEESG_SG_SG_PmS8_NS6_8equal_toIfEEEE10hipError_tPvRmT2_T3_mT4_T5_T6_T7_T8_P12ihipStream_tbENKUlT_T0_E_clISt17integral_constantIbLb0EES10_IbLb1EEEEDaSW_SX_EUlSW_E_NS1_11comp_targetILNS1_3genE2ELNS1_11target_archE906ELNS1_3gpuE6ELNS1_3repE0EEENS1_30default_config_static_selectorELNS0_4arch9wavefront6targetE1EEEvT1_ ; -- Begin function _ZN7rocprim17ROCPRIM_400000_NS6detail17trampoline_kernelINS0_14default_configENS1_29reduce_by_key_config_selectorIffN6thrust23THRUST_200600_302600_NS4plusIfEEEEZZNS1_33reduce_by_key_impl_wrapped_configILNS1_25lookback_scan_determinismE1ES3_S9_NS6_6detail15normal_iteratorINS6_10device_ptrIfEEEESG_SG_SG_PmS8_NS6_8equal_toIfEEEE10hipError_tPvRmT2_T3_mT4_T5_T6_T7_T8_P12ihipStream_tbENKUlT_T0_E_clISt17integral_constantIbLb0EES10_IbLb1EEEEDaSW_SX_EUlSW_E_NS1_11comp_targetILNS1_3genE2ELNS1_11target_archE906ELNS1_3gpuE6ELNS1_3repE0EEENS1_30default_config_static_selectorELNS0_4arch9wavefront6targetE1EEEvT1_
	.globl	_ZN7rocprim17ROCPRIM_400000_NS6detail17trampoline_kernelINS0_14default_configENS1_29reduce_by_key_config_selectorIffN6thrust23THRUST_200600_302600_NS4plusIfEEEEZZNS1_33reduce_by_key_impl_wrapped_configILNS1_25lookback_scan_determinismE1ES3_S9_NS6_6detail15normal_iteratorINS6_10device_ptrIfEEEESG_SG_SG_PmS8_NS6_8equal_toIfEEEE10hipError_tPvRmT2_T3_mT4_T5_T6_T7_T8_P12ihipStream_tbENKUlT_T0_E_clISt17integral_constantIbLb0EES10_IbLb1EEEEDaSW_SX_EUlSW_E_NS1_11comp_targetILNS1_3genE2ELNS1_11target_archE906ELNS1_3gpuE6ELNS1_3repE0EEENS1_30default_config_static_selectorELNS0_4arch9wavefront6targetE1EEEvT1_
	.p2align	8
	.type	_ZN7rocprim17ROCPRIM_400000_NS6detail17trampoline_kernelINS0_14default_configENS1_29reduce_by_key_config_selectorIffN6thrust23THRUST_200600_302600_NS4plusIfEEEEZZNS1_33reduce_by_key_impl_wrapped_configILNS1_25lookback_scan_determinismE1ES3_S9_NS6_6detail15normal_iteratorINS6_10device_ptrIfEEEESG_SG_SG_PmS8_NS6_8equal_toIfEEEE10hipError_tPvRmT2_T3_mT4_T5_T6_T7_T8_P12ihipStream_tbENKUlT_T0_E_clISt17integral_constantIbLb0EES10_IbLb1EEEEDaSW_SX_EUlSW_E_NS1_11comp_targetILNS1_3genE2ELNS1_11target_archE906ELNS1_3gpuE6ELNS1_3repE0EEENS1_30default_config_static_selectorELNS0_4arch9wavefront6targetE1EEEvT1_,@function
_ZN7rocprim17ROCPRIM_400000_NS6detail17trampoline_kernelINS0_14default_configENS1_29reduce_by_key_config_selectorIffN6thrust23THRUST_200600_302600_NS4plusIfEEEEZZNS1_33reduce_by_key_impl_wrapped_configILNS1_25lookback_scan_determinismE1ES3_S9_NS6_6detail15normal_iteratorINS6_10device_ptrIfEEEESG_SG_SG_PmS8_NS6_8equal_toIfEEEE10hipError_tPvRmT2_T3_mT4_T5_T6_T7_T8_P12ihipStream_tbENKUlT_T0_E_clISt17integral_constantIbLb0EES10_IbLb1EEEEDaSW_SX_EUlSW_E_NS1_11comp_targetILNS1_3genE2ELNS1_11target_archE906ELNS1_3gpuE6ELNS1_3repE0EEENS1_30default_config_static_selectorELNS0_4arch9wavefront6targetE1EEEvT1_: ; @_ZN7rocprim17ROCPRIM_400000_NS6detail17trampoline_kernelINS0_14default_configENS1_29reduce_by_key_config_selectorIffN6thrust23THRUST_200600_302600_NS4plusIfEEEEZZNS1_33reduce_by_key_impl_wrapped_configILNS1_25lookback_scan_determinismE1ES3_S9_NS6_6detail15normal_iteratorINS6_10device_ptrIfEEEESG_SG_SG_PmS8_NS6_8equal_toIfEEEE10hipError_tPvRmT2_T3_mT4_T5_T6_T7_T8_P12ihipStream_tbENKUlT_T0_E_clISt17integral_constantIbLb0EES10_IbLb1EEEEDaSW_SX_EUlSW_E_NS1_11comp_targetILNS1_3genE2ELNS1_11target_archE906ELNS1_3gpuE6ELNS1_3repE0EEENS1_30default_config_static_selectorELNS0_4arch9wavefront6targetE1EEEvT1_
; %bb.0:
	.section	.rodata,"a",@progbits
	.p2align	6, 0x0
	.amdhsa_kernel _ZN7rocprim17ROCPRIM_400000_NS6detail17trampoline_kernelINS0_14default_configENS1_29reduce_by_key_config_selectorIffN6thrust23THRUST_200600_302600_NS4plusIfEEEEZZNS1_33reduce_by_key_impl_wrapped_configILNS1_25lookback_scan_determinismE1ES3_S9_NS6_6detail15normal_iteratorINS6_10device_ptrIfEEEESG_SG_SG_PmS8_NS6_8equal_toIfEEEE10hipError_tPvRmT2_T3_mT4_T5_T6_T7_T8_P12ihipStream_tbENKUlT_T0_E_clISt17integral_constantIbLb0EES10_IbLb1EEEEDaSW_SX_EUlSW_E_NS1_11comp_targetILNS1_3genE2ELNS1_11target_archE906ELNS1_3gpuE6ELNS1_3repE0EEENS1_30default_config_static_selectorELNS0_4arch9wavefront6targetE1EEEvT1_
		.amdhsa_group_segment_fixed_size 0
		.amdhsa_private_segment_fixed_size 0
		.amdhsa_kernarg_size 120
		.amdhsa_user_sgpr_count 6
		.amdhsa_user_sgpr_private_segment_buffer 1
		.amdhsa_user_sgpr_dispatch_ptr 0
		.amdhsa_user_sgpr_queue_ptr 0
		.amdhsa_user_sgpr_kernarg_segment_ptr 1
		.amdhsa_user_sgpr_dispatch_id 0
		.amdhsa_user_sgpr_flat_scratch_init 0
		.amdhsa_user_sgpr_kernarg_preload_length 0
		.amdhsa_user_sgpr_kernarg_preload_offset 0
		.amdhsa_user_sgpr_private_segment_size 0
		.amdhsa_uses_dynamic_stack 0
		.amdhsa_system_sgpr_private_segment_wavefront_offset 0
		.amdhsa_system_sgpr_workgroup_id_x 1
		.amdhsa_system_sgpr_workgroup_id_y 0
		.amdhsa_system_sgpr_workgroup_id_z 0
		.amdhsa_system_sgpr_workgroup_info 0
		.amdhsa_system_vgpr_workitem_id 0
		.amdhsa_next_free_vgpr 1
		.amdhsa_next_free_sgpr 0
		.amdhsa_accum_offset 4
		.amdhsa_reserve_vcc 0
		.amdhsa_reserve_flat_scratch 0
		.amdhsa_float_round_mode_32 0
		.amdhsa_float_round_mode_16_64 0
		.amdhsa_float_denorm_mode_32 3
		.amdhsa_float_denorm_mode_16_64 3
		.amdhsa_dx10_clamp 1
		.amdhsa_ieee_mode 1
		.amdhsa_fp16_overflow 0
		.amdhsa_tg_split 0
		.amdhsa_exception_fp_ieee_invalid_op 0
		.amdhsa_exception_fp_denorm_src 0
		.amdhsa_exception_fp_ieee_div_zero 0
		.amdhsa_exception_fp_ieee_overflow 0
		.amdhsa_exception_fp_ieee_underflow 0
		.amdhsa_exception_fp_ieee_inexact 0
		.amdhsa_exception_int_div_zero 0
	.end_amdhsa_kernel
	.section	.text._ZN7rocprim17ROCPRIM_400000_NS6detail17trampoline_kernelINS0_14default_configENS1_29reduce_by_key_config_selectorIffN6thrust23THRUST_200600_302600_NS4plusIfEEEEZZNS1_33reduce_by_key_impl_wrapped_configILNS1_25lookback_scan_determinismE1ES3_S9_NS6_6detail15normal_iteratorINS6_10device_ptrIfEEEESG_SG_SG_PmS8_NS6_8equal_toIfEEEE10hipError_tPvRmT2_T3_mT4_T5_T6_T7_T8_P12ihipStream_tbENKUlT_T0_E_clISt17integral_constantIbLb0EES10_IbLb1EEEEDaSW_SX_EUlSW_E_NS1_11comp_targetILNS1_3genE2ELNS1_11target_archE906ELNS1_3gpuE6ELNS1_3repE0EEENS1_30default_config_static_selectorELNS0_4arch9wavefront6targetE1EEEvT1_,"axG",@progbits,_ZN7rocprim17ROCPRIM_400000_NS6detail17trampoline_kernelINS0_14default_configENS1_29reduce_by_key_config_selectorIffN6thrust23THRUST_200600_302600_NS4plusIfEEEEZZNS1_33reduce_by_key_impl_wrapped_configILNS1_25lookback_scan_determinismE1ES3_S9_NS6_6detail15normal_iteratorINS6_10device_ptrIfEEEESG_SG_SG_PmS8_NS6_8equal_toIfEEEE10hipError_tPvRmT2_T3_mT4_T5_T6_T7_T8_P12ihipStream_tbENKUlT_T0_E_clISt17integral_constantIbLb0EES10_IbLb1EEEEDaSW_SX_EUlSW_E_NS1_11comp_targetILNS1_3genE2ELNS1_11target_archE906ELNS1_3gpuE6ELNS1_3repE0EEENS1_30default_config_static_selectorELNS0_4arch9wavefront6targetE1EEEvT1_,comdat
.Lfunc_end123:
	.size	_ZN7rocprim17ROCPRIM_400000_NS6detail17trampoline_kernelINS0_14default_configENS1_29reduce_by_key_config_selectorIffN6thrust23THRUST_200600_302600_NS4plusIfEEEEZZNS1_33reduce_by_key_impl_wrapped_configILNS1_25lookback_scan_determinismE1ES3_S9_NS6_6detail15normal_iteratorINS6_10device_ptrIfEEEESG_SG_SG_PmS8_NS6_8equal_toIfEEEE10hipError_tPvRmT2_T3_mT4_T5_T6_T7_T8_P12ihipStream_tbENKUlT_T0_E_clISt17integral_constantIbLb0EES10_IbLb1EEEEDaSW_SX_EUlSW_E_NS1_11comp_targetILNS1_3genE2ELNS1_11target_archE906ELNS1_3gpuE6ELNS1_3repE0EEENS1_30default_config_static_selectorELNS0_4arch9wavefront6targetE1EEEvT1_, .Lfunc_end123-_ZN7rocprim17ROCPRIM_400000_NS6detail17trampoline_kernelINS0_14default_configENS1_29reduce_by_key_config_selectorIffN6thrust23THRUST_200600_302600_NS4plusIfEEEEZZNS1_33reduce_by_key_impl_wrapped_configILNS1_25lookback_scan_determinismE1ES3_S9_NS6_6detail15normal_iteratorINS6_10device_ptrIfEEEESG_SG_SG_PmS8_NS6_8equal_toIfEEEE10hipError_tPvRmT2_T3_mT4_T5_T6_T7_T8_P12ihipStream_tbENKUlT_T0_E_clISt17integral_constantIbLb0EES10_IbLb1EEEEDaSW_SX_EUlSW_E_NS1_11comp_targetILNS1_3genE2ELNS1_11target_archE906ELNS1_3gpuE6ELNS1_3repE0EEENS1_30default_config_static_selectorELNS0_4arch9wavefront6targetE1EEEvT1_
                                        ; -- End function
	.section	.AMDGPU.csdata,"",@progbits
; Kernel info:
; codeLenInByte = 0
; NumSgprs: 4
; NumVgprs: 0
; NumAgprs: 0
; TotalNumVgprs: 0
; ScratchSize: 0
; MemoryBound: 0
; FloatMode: 240
; IeeeMode: 1
; LDSByteSize: 0 bytes/workgroup (compile time only)
; SGPRBlocks: 0
; VGPRBlocks: 0
; NumSGPRsForWavesPerEU: 4
; NumVGPRsForWavesPerEU: 1
; AccumOffset: 4
; Occupancy: 8
; WaveLimiterHint : 0
; COMPUTE_PGM_RSRC2:SCRATCH_EN: 0
; COMPUTE_PGM_RSRC2:USER_SGPR: 6
; COMPUTE_PGM_RSRC2:TRAP_HANDLER: 0
; COMPUTE_PGM_RSRC2:TGID_X_EN: 1
; COMPUTE_PGM_RSRC2:TGID_Y_EN: 0
; COMPUTE_PGM_RSRC2:TGID_Z_EN: 0
; COMPUTE_PGM_RSRC2:TIDIG_COMP_CNT: 0
; COMPUTE_PGM_RSRC3_GFX90A:ACCUM_OFFSET: 0
; COMPUTE_PGM_RSRC3_GFX90A:TG_SPLIT: 0
	.section	.text._ZN7rocprim17ROCPRIM_400000_NS6detail17trampoline_kernelINS0_14default_configENS1_29reduce_by_key_config_selectorIffN6thrust23THRUST_200600_302600_NS4plusIfEEEEZZNS1_33reduce_by_key_impl_wrapped_configILNS1_25lookback_scan_determinismE1ES3_S9_NS6_6detail15normal_iteratorINS6_10device_ptrIfEEEESG_SG_SG_PmS8_NS6_8equal_toIfEEEE10hipError_tPvRmT2_T3_mT4_T5_T6_T7_T8_P12ihipStream_tbENKUlT_T0_E_clISt17integral_constantIbLb0EES10_IbLb1EEEEDaSW_SX_EUlSW_E_NS1_11comp_targetILNS1_3genE10ELNS1_11target_archE1201ELNS1_3gpuE5ELNS1_3repE0EEENS1_30default_config_static_selectorELNS0_4arch9wavefront6targetE1EEEvT1_,"axG",@progbits,_ZN7rocprim17ROCPRIM_400000_NS6detail17trampoline_kernelINS0_14default_configENS1_29reduce_by_key_config_selectorIffN6thrust23THRUST_200600_302600_NS4plusIfEEEEZZNS1_33reduce_by_key_impl_wrapped_configILNS1_25lookback_scan_determinismE1ES3_S9_NS6_6detail15normal_iteratorINS6_10device_ptrIfEEEESG_SG_SG_PmS8_NS6_8equal_toIfEEEE10hipError_tPvRmT2_T3_mT4_T5_T6_T7_T8_P12ihipStream_tbENKUlT_T0_E_clISt17integral_constantIbLb0EES10_IbLb1EEEEDaSW_SX_EUlSW_E_NS1_11comp_targetILNS1_3genE10ELNS1_11target_archE1201ELNS1_3gpuE5ELNS1_3repE0EEENS1_30default_config_static_selectorELNS0_4arch9wavefront6targetE1EEEvT1_,comdat
	.protected	_ZN7rocprim17ROCPRIM_400000_NS6detail17trampoline_kernelINS0_14default_configENS1_29reduce_by_key_config_selectorIffN6thrust23THRUST_200600_302600_NS4plusIfEEEEZZNS1_33reduce_by_key_impl_wrapped_configILNS1_25lookback_scan_determinismE1ES3_S9_NS6_6detail15normal_iteratorINS6_10device_ptrIfEEEESG_SG_SG_PmS8_NS6_8equal_toIfEEEE10hipError_tPvRmT2_T3_mT4_T5_T6_T7_T8_P12ihipStream_tbENKUlT_T0_E_clISt17integral_constantIbLb0EES10_IbLb1EEEEDaSW_SX_EUlSW_E_NS1_11comp_targetILNS1_3genE10ELNS1_11target_archE1201ELNS1_3gpuE5ELNS1_3repE0EEENS1_30default_config_static_selectorELNS0_4arch9wavefront6targetE1EEEvT1_ ; -- Begin function _ZN7rocprim17ROCPRIM_400000_NS6detail17trampoline_kernelINS0_14default_configENS1_29reduce_by_key_config_selectorIffN6thrust23THRUST_200600_302600_NS4plusIfEEEEZZNS1_33reduce_by_key_impl_wrapped_configILNS1_25lookback_scan_determinismE1ES3_S9_NS6_6detail15normal_iteratorINS6_10device_ptrIfEEEESG_SG_SG_PmS8_NS6_8equal_toIfEEEE10hipError_tPvRmT2_T3_mT4_T5_T6_T7_T8_P12ihipStream_tbENKUlT_T0_E_clISt17integral_constantIbLb0EES10_IbLb1EEEEDaSW_SX_EUlSW_E_NS1_11comp_targetILNS1_3genE10ELNS1_11target_archE1201ELNS1_3gpuE5ELNS1_3repE0EEENS1_30default_config_static_selectorELNS0_4arch9wavefront6targetE1EEEvT1_
	.globl	_ZN7rocprim17ROCPRIM_400000_NS6detail17trampoline_kernelINS0_14default_configENS1_29reduce_by_key_config_selectorIffN6thrust23THRUST_200600_302600_NS4plusIfEEEEZZNS1_33reduce_by_key_impl_wrapped_configILNS1_25lookback_scan_determinismE1ES3_S9_NS6_6detail15normal_iteratorINS6_10device_ptrIfEEEESG_SG_SG_PmS8_NS6_8equal_toIfEEEE10hipError_tPvRmT2_T3_mT4_T5_T6_T7_T8_P12ihipStream_tbENKUlT_T0_E_clISt17integral_constantIbLb0EES10_IbLb1EEEEDaSW_SX_EUlSW_E_NS1_11comp_targetILNS1_3genE10ELNS1_11target_archE1201ELNS1_3gpuE5ELNS1_3repE0EEENS1_30default_config_static_selectorELNS0_4arch9wavefront6targetE1EEEvT1_
	.p2align	8
	.type	_ZN7rocprim17ROCPRIM_400000_NS6detail17trampoline_kernelINS0_14default_configENS1_29reduce_by_key_config_selectorIffN6thrust23THRUST_200600_302600_NS4plusIfEEEEZZNS1_33reduce_by_key_impl_wrapped_configILNS1_25lookback_scan_determinismE1ES3_S9_NS6_6detail15normal_iteratorINS6_10device_ptrIfEEEESG_SG_SG_PmS8_NS6_8equal_toIfEEEE10hipError_tPvRmT2_T3_mT4_T5_T6_T7_T8_P12ihipStream_tbENKUlT_T0_E_clISt17integral_constantIbLb0EES10_IbLb1EEEEDaSW_SX_EUlSW_E_NS1_11comp_targetILNS1_3genE10ELNS1_11target_archE1201ELNS1_3gpuE5ELNS1_3repE0EEENS1_30default_config_static_selectorELNS0_4arch9wavefront6targetE1EEEvT1_,@function
_ZN7rocprim17ROCPRIM_400000_NS6detail17trampoline_kernelINS0_14default_configENS1_29reduce_by_key_config_selectorIffN6thrust23THRUST_200600_302600_NS4plusIfEEEEZZNS1_33reduce_by_key_impl_wrapped_configILNS1_25lookback_scan_determinismE1ES3_S9_NS6_6detail15normal_iteratorINS6_10device_ptrIfEEEESG_SG_SG_PmS8_NS6_8equal_toIfEEEE10hipError_tPvRmT2_T3_mT4_T5_T6_T7_T8_P12ihipStream_tbENKUlT_T0_E_clISt17integral_constantIbLb0EES10_IbLb1EEEEDaSW_SX_EUlSW_E_NS1_11comp_targetILNS1_3genE10ELNS1_11target_archE1201ELNS1_3gpuE5ELNS1_3repE0EEENS1_30default_config_static_selectorELNS0_4arch9wavefront6targetE1EEEvT1_: ; @_ZN7rocprim17ROCPRIM_400000_NS6detail17trampoline_kernelINS0_14default_configENS1_29reduce_by_key_config_selectorIffN6thrust23THRUST_200600_302600_NS4plusIfEEEEZZNS1_33reduce_by_key_impl_wrapped_configILNS1_25lookback_scan_determinismE1ES3_S9_NS6_6detail15normal_iteratorINS6_10device_ptrIfEEEESG_SG_SG_PmS8_NS6_8equal_toIfEEEE10hipError_tPvRmT2_T3_mT4_T5_T6_T7_T8_P12ihipStream_tbENKUlT_T0_E_clISt17integral_constantIbLb0EES10_IbLb1EEEEDaSW_SX_EUlSW_E_NS1_11comp_targetILNS1_3genE10ELNS1_11target_archE1201ELNS1_3gpuE5ELNS1_3repE0EEENS1_30default_config_static_selectorELNS0_4arch9wavefront6targetE1EEEvT1_
; %bb.0:
	.section	.rodata,"a",@progbits
	.p2align	6, 0x0
	.amdhsa_kernel _ZN7rocprim17ROCPRIM_400000_NS6detail17trampoline_kernelINS0_14default_configENS1_29reduce_by_key_config_selectorIffN6thrust23THRUST_200600_302600_NS4plusIfEEEEZZNS1_33reduce_by_key_impl_wrapped_configILNS1_25lookback_scan_determinismE1ES3_S9_NS6_6detail15normal_iteratorINS6_10device_ptrIfEEEESG_SG_SG_PmS8_NS6_8equal_toIfEEEE10hipError_tPvRmT2_T3_mT4_T5_T6_T7_T8_P12ihipStream_tbENKUlT_T0_E_clISt17integral_constantIbLb0EES10_IbLb1EEEEDaSW_SX_EUlSW_E_NS1_11comp_targetILNS1_3genE10ELNS1_11target_archE1201ELNS1_3gpuE5ELNS1_3repE0EEENS1_30default_config_static_selectorELNS0_4arch9wavefront6targetE1EEEvT1_
		.amdhsa_group_segment_fixed_size 0
		.amdhsa_private_segment_fixed_size 0
		.amdhsa_kernarg_size 120
		.amdhsa_user_sgpr_count 6
		.amdhsa_user_sgpr_private_segment_buffer 1
		.amdhsa_user_sgpr_dispatch_ptr 0
		.amdhsa_user_sgpr_queue_ptr 0
		.amdhsa_user_sgpr_kernarg_segment_ptr 1
		.amdhsa_user_sgpr_dispatch_id 0
		.amdhsa_user_sgpr_flat_scratch_init 0
		.amdhsa_user_sgpr_kernarg_preload_length 0
		.amdhsa_user_sgpr_kernarg_preload_offset 0
		.amdhsa_user_sgpr_private_segment_size 0
		.amdhsa_uses_dynamic_stack 0
		.amdhsa_system_sgpr_private_segment_wavefront_offset 0
		.amdhsa_system_sgpr_workgroup_id_x 1
		.amdhsa_system_sgpr_workgroup_id_y 0
		.amdhsa_system_sgpr_workgroup_id_z 0
		.amdhsa_system_sgpr_workgroup_info 0
		.amdhsa_system_vgpr_workitem_id 0
		.amdhsa_next_free_vgpr 1
		.amdhsa_next_free_sgpr 0
		.amdhsa_accum_offset 4
		.amdhsa_reserve_vcc 0
		.amdhsa_reserve_flat_scratch 0
		.amdhsa_float_round_mode_32 0
		.amdhsa_float_round_mode_16_64 0
		.amdhsa_float_denorm_mode_32 3
		.amdhsa_float_denorm_mode_16_64 3
		.amdhsa_dx10_clamp 1
		.amdhsa_ieee_mode 1
		.amdhsa_fp16_overflow 0
		.amdhsa_tg_split 0
		.amdhsa_exception_fp_ieee_invalid_op 0
		.amdhsa_exception_fp_denorm_src 0
		.amdhsa_exception_fp_ieee_div_zero 0
		.amdhsa_exception_fp_ieee_overflow 0
		.amdhsa_exception_fp_ieee_underflow 0
		.amdhsa_exception_fp_ieee_inexact 0
		.amdhsa_exception_int_div_zero 0
	.end_amdhsa_kernel
	.section	.text._ZN7rocprim17ROCPRIM_400000_NS6detail17trampoline_kernelINS0_14default_configENS1_29reduce_by_key_config_selectorIffN6thrust23THRUST_200600_302600_NS4plusIfEEEEZZNS1_33reduce_by_key_impl_wrapped_configILNS1_25lookback_scan_determinismE1ES3_S9_NS6_6detail15normal_iteratorINS6_10device_ptrIfEEEESG_SG_SG_PmS8_NS6_8equal_toIfEEEE10hipError_tPvRmT2_T3_mT4_T5_T6_T7_T8_P12ihipStream_tbENKUlT_T0_E_clISt17integral_constantIbLb0EES10_IbLb1EEEEDaSW_SX_EUlSW_E_NS1_11comp_targetILNS1_3genE10ELNS1_11target_archE1201ELNS1_3gpuE5ELNS1_3repE0EEENS1_30default_config_static_selectorELNS0_4arch9wavefront6targetE1EEEvT1_,"axG",@progbits,_ZN7rocprim17ROCPRIM_400000_NS6detail17trampoline_kernelINS0_14default_configENS1_29reduce_by_key_config_selectorIffN6thrust23THRUST_200600_302600_NS4plusIfEEEEZZNS1_33reduce_by_key_impl_wrapped_configILNS1_25lookback_scan_determinismE1ES3_S9_NS6_6detail15normal_iteratorINS6_10device_ptrIfEEEESG_SG_SG_PmS8_NS6_8equal_toIfEEEE10hipError_tPvRmT2_T3_mT4_T5_T6_T7_T8_P12ihipStream_tbENKUlT_T0_E_clISt17integral_constantIbLb0EES10_IbLb1EEEEDaSW_SX_EUlSW_E_NS1_11comp_targetILNS1_3genE10ELNS1_11target_archE1201ELNS1_3gpuE5ELNS1_3repE0EEENS1_30default_config_static_selectorELNS0_4arch9wavefront6targetE1EEEvT1_,comdat
.Lfunc_end124:
	.size	_ZN7rocprim17ROCPRIM_400000_NS6detail17trampoline_kernelINS0_14default_configENS1_29reduce_by_key_config_selectorIffN6thrust23THRUST_200600_302600_NS4plusIfEEEEZZNS1_33reduce_by_key_impl_wrapped_configILNS1_25lookback_scan_determinismE1ES3_S9_NS6_6detail15normal_iteratorINS6_10device_ptrIfEEEESG_SG_SG_PmS8_NS6_8equal_toIfEEEE10hipError_tPvRmT2_T3_mT4_T5_T6_T7_T8_P12ihipStream_tbENKUlT_T0_E_clISt17integral_constantIbLb0EES10_IbLb1EEEEDaSW_SX_EUlSW_E_NS1_11comp_targetILNS1_3genE10ELNS1_11target_archE1201ELNS1_3gpuE5ELNS1_3repE0EEENS1_30default_config_static_selectorELNS0_4arch9wavefront6targetE1EEEvT1_, .Lfunc_end124-_ZN7rocprim17ROCPRIM_400000_NS6detail17trampoline_kernelINS0_14default_configENS1_29reduce_by_key_config_selectorIffN6thrust23THRUST_200600_302600_NS4plusIfEEEEZZNS1_33reduce_by_key_impl_wrapped_configILNS1_25lookback_scan_determinismE1ES3_S9_NS6_6detail15normal_iteratorINS6_10device_ptrIfEEEESG_SG_SG_PmS8_NS6_8equal_toIfEEEE10hipError_tPvRmT2_T3_mT4_T5_T6_T7_T8_P12ihipStream_tbENKUlT_T0_E_clISt17integral_constantIbLb0EES10_IbLb1EEEEDaSW_SX_EUlSW_E_NS1_11comp_targetILNS1_3genE10ELNS1_11target_archE1201ELNS1_3gpuE5ELNS1_3repE0EEENS1_30default_config_static_selectorELNS0_4arch9wavefront6targetE1EEEvT1_
                                        ; -- End function
	.section	.AMDGPU.csdata,"",@progbits
; Kernel info:
; codeLenInByte = 0
; NumSgprs: 4
; NumVgprs: 0
; NumAgprs: 0
; TotalNumVgprs: 0
; ScratchSize: 0
; MemoryBound: 0
; FloatMode: 240
; IeeeMode: 1
; LDSByteSize: 0 bytes/workgroup (compile time only)
; SGPRBlocks: 0
; VGPRBlocks: 0
; NumSGPRsForWavesPerEU: 4
; NumVGPRsForWavesPerEU: 1
; AccumOffset: 4
; Occupancy: 8
; WaveLimiterHint : 0
; COMPUTE_PGM_RSRC2:SCRATCH_EN: 0
; COMPUTE_PGM_RSRC2:USER_SGPR: 6
; COMPUTE_PGM_RSRC2:TRAP_HANDLER: 0
; COMPUTE_PGM_RSRC2:TGID_X_EN: 1
; COMPUTE_PGM_RSRC2:TGID_Y_EN: 0
; COMPUTE_PGM_RSRC2:TGID_Z_EN: 0
; COMPUTE_PGM_RSRC2:TIDIG_COMP_CNT: 0
; COMPUTE_PGM_RSRC3_GFX90A:ACCUM_OFFSET: 0
; COMPUTE_PGM_RSRC3_GFX90A:TG_SPLIT: 0
	.section	.text._ZN7rocprim17ROCPRIM_400000_NS6detail17trampoline_kernelINS0_14default_configENS1_29reduce_by_key_config_selectorIffN6thrust23THRUST_200600_302600_NS4plusIfEEEEZZNS1_33reduce_by_key_impl_wrapped_configILNS1_25lookback_scan_determinismE1ES3_S9_NS6_6detail15normal_iteratorINS6_10device_ptrIfEEEESG_SG_SG_PmS8_NS6_8equal_toIfEEEE10hipError_tPvRmT2_T3_mT4_T5_T6_T7_T8_P12ihipStream_tbENKUlT_T0_E_clISt17integral_constantIbLb0EES10_IbLb1EEEEDaSW_SX_EUlSW_E_NS1_11comp_targetILNS1_3genE10ELNS1_11target_archE1200ELNS1_3gpuE4ELNS1_3repE0EEENS1_30default_config_static_selectorELNS0_4arch9wavefront6targetE1EEEvT1_,"axG",@progbits,_ZN7rocprim17ROCPRIM_400000_NS6detail17trampoline_kernelINS0_14default_configENS1_29reduce_by_key_config_selectorIffN6thrust23THRUST_200600_302600_NS4plusIfEEEEZZNS1_33reduce_by_key_impl_wrapped_configILNS1_25lookback_scan_determinismE1ES3_S9_NS6_6detail15normal_iteratorINS6_10device_ptrIfEEEESG_SG_SG_PmS8_NS6_8equal_toIfEEEE10hipError_tPvRmT2_T3_mT4_T5_T6_T7_T8_P12ihipStream_tbENKUlT_T0_E_clISt17integral_constantIbLb0EES10_IbLb1EEEEDaSW_SX_EUlSW_E_NS1_11comp_targetILNS1_3genE10ELNS1_11target_archE1200ELNS1_3gpuE4ELNS1_3repE0EEENS1_30default_config_static_selectorELNS0_4arch9wavefront6targetE1EEEvT1_,comdat
	.protected	_ZN7rocprim17ROCPRIM_400000_NS6detail17trampoline_kernelINS0_14default_configENS1_29reduce_by_key_config_selectorIffN6thrust23THRUST_200600_302600_NS4plusIfEEEEZZNS1_33reduce_by_key_impl_wrapped_configILNS1_25lookback_scan_determinismE1ES3_S9_NS6_6detail15normal_iteratorINS6_10device_ptrIfEEEESG_SG_SG_PmS8_NS6_8equal_toIfEEEE10hipError_tPvRmT2_T3_mT4_T5_T6_T7_T8_P12ihipStream_tbENKUlT_T0_E_clISt17integral_constantIbLb0EES10_IbLb1EEEEDaSW_SX_EUlSW_E_NS1_11comp_targetILNS1_3genE10ELNS1_11target_archE1200ELNS1_3gpuE4ELNS1_3repE0EEENS1_30default_config_static_selectorELNS0_4arch9wavefront6targetE1EEEvT1_ ; -- Begin function _ZN7rocprim17ROCPRIM_400000_NS6detail17trampoline_kernelINS0_14default_configENS1_29reduce_by_key_config_selectorIffN6thrust23THRUST_200600_302600_NS4plusIfEEEEZZNS1_33reduce_by_key_impl_wrapped_configILNS1_25lookback_scan_determinismE1ES3_S9_NS6_6detail15normal_iteratorINS6_10device_ptrIfEEEESG_SG_SG_PmS8_NS6_8equal_toIfEEEE10hipError_tPvRmT2_T3_mT4_T5_T6_T7_T8_P12ihipStream_tbENKUlT_T0_E_clISt17integral_constantIbLb0EES10_IbLb1EEEEDaSW_SX_EUlSW_E_NS1_11comp_targetILNS1_3genE10ELNS1_11target_archE1200ELNS1_3gpuE4ELNS1_3repE0EEENS1_30default_config_static_selectorELNS0_4arch9wavefront6targetE1EEEvT1_
	.globl	_ZN7rocprim17ROCPRIM_400000_NS6detail17trampoline_kernelINS0_14default_configENS1_29reduce_by_key_config_selectorIffN6thrust23THRUST_200600_302600_NS4plusIfEEEEZZNS1_33reduce_by_key_impl_wrapped_configILNS1_25lookback_scan_determinismE1ES3_S9_NS6_6detail15normal_iteratorINS6_10device_ptrIfEEEESG_SG_SG_PmS8_NS6_8equal_toIfEEEE10hipError_tPvRmT2_T3_mT4_T5_T6_T7_T8_P12ihipStream_tbENKUlT_T0_E_clISt17integral_constantIbLb0EES10_IbLb1EEEEDaSW_SX_EUlSW_E_NS1_11comp_targetILNS1_3genE10ELNS1_11target_archE1200ELNS1_3gpuE4ELNS1_3repE0EEENS1_30default_config_static_selectorELNS0_4arch9wavefront6targetE1EEEvT1_
	.p2align	8
	.type	_ZN7rocprim17ROCPRIM_400000_NS6detail17trampoline_kernelINS0_14default_configENS1_29reduce_by_key_config_selectorIffN6thrust23THRUST_200600_302600_NS4plusIfEEEEZZNS1_33reduce_by_key_impl_wrapped_configILNS1_25lookback_scan_determinismE1ES3_S9_NS6_6detail15normal_iteratorINS6_10device_ptrIfEEEESG_SG_SG_PmS8_NS6_8equal_toIfEEEE10hipError_tPvRmT2_T3_mT4_T5_T6_T7_T8_P12ihipStream_tbENKUlT_T0_E_clISt17integral_constantIbLb0EES10_IbLb1EEEEDaSW_SX_EUlSW_E_NS1_11comp_targetILNS1_3genE10ELNS1_11target_archE1200ELNS1_3gpuE4ELNS1_3repE0EEENS1_30default_config_static_selectorELNS0_4arch9wavefront6targetE1EEEvT1_,@function
_ZN7rocprim17ROCPRIM_400000_NS6detail17trampoline_kernelINS0_14default_configENS1_29reduce_by_key_config_selectorIffN6thrust23THRUST_200600_302600_NS4plusIfEEEEZZNS1_33reduce_by_key_impl_wrapped_configILNS1_25lookback_scan_determinismE1ES3_S9_NS6_6detail15normal_iteratorINS6_10device_ptrIfEEEESG_SG_SG_PmS8_NS6_8equal_toIfEEEE10hipError_tPvRmT2_T3_mT4_T5_T6_T7_T8_P12ihipStream_tbENKUlT_T0_E_clISt17integral_constantIbLb0EES10_IbLb1EEEEDaSW_SX_EUlSW_E_NS1_11comp_targetILNS1_3genE10ELNS1_11target_archE1200ELNS1_3gpuE4ELNS1_3repE0EEENS1_30default_config_static_selectorELNS0_4arch9wavefront6targetE1EEEvT1_: ; @_ZN7rocprim17ROCPRIM_400000_NS6detail17trampoline_kernelINS0_14default_configENS1_29reduce_by_key_config_selectorIffN6thrust23THRUST_200600_302600_NS4plusIfEEEEZZNS1_33reduce_by_key_impl_wrapped_configILNS1_25lookback_scan_determinismE1ES3_S9_NS6_6detail15normal_iteratorINS6_10device_ptrIfEEEESG_SG_SG_PmS8_NS6_8equal_toIfEEEE10hipError_tPvRmT2_T3_mT4_T5_T6_T7_T8_P12ihipStream_tbENKUlT_T0_E_clISt17integral_constantIbLb0EES10_IbLb1EEEEDaSW_SX_EUlSW_E_NS1_11comp_targetILNS1_3genE10ELNS1_11target_archE1200ELNS1_3gpuE4ELNS1_3repE0EEENS1_30default_config_static_selectorELNS0_4arch9wavefront6targetE1EEEvT1_
; %bb.0:
	.section	.rodata,"a",@progbits
	.p2align	6, 0x0
	.amdhsa_kernel _ZN7rocprim17ROCPRIM_400000_NS6detail17trampoline_kernelINS0_14default_configENS1_29reduce_by_key_config_selectorIffN6thrust23THRUST_200600_302600_NS4plusIfEEEEZZNS1_33reduce_by_key_impl_wrapped_configILNS1_25lookback_scan_determinismE1ES3_S9_NS6_6detail15normal_iteratorINS6_10device_ptrIfEEEESG_SG_SG_PmS8_NS6_8equal_toIfEEEE10hipError_tPvRmT2_T3_mT4_T5_T6_T7_T8_P12ihipStream_tbENKUlT_T0_E_clISt17integral_constantIbLb0EES10_IbLb1EEEEDaSW_SX_EUlSW_E_NS1_11comp_targetILNS1_3genE10ELNS1_11target_archE1200ELNS1_3gpuE4ELNS1_3repE0EEENS1_30default_config_static_selectorELNS0_4arch9wavefront6targetE1EEEvT1_
		.amdhsa_group_segment_fixed_size 0
		.amdhsa_private_segment_fixed_size 0
		.amdhsa_kernarg_size 120
		.amdhsa_user_sgpr_count 6
		.amdhsa_user_sgpr_private_segment_buffer 1
		.amdhsa_user_sgpr_dispatch_ptr 0
		.amdhsa_user_sgpr_queue_ptr 0
		.amdhsa_user_sgpr_kernarg_segment_ptr 1
		.amdhsa_user_sgpr_dispatch_id 0
		.amdhsa_user_sgpr_flat_scratch_init 0
		.amdhsa_user_sgpr_kernarg_preload_length 0
		.amdhsa_user_sgpr_kernarg_preload_offset 0
		.amdhsa_user_sgpr_private_segment_size 0
		.amdhsa_uses_dynamic_stack 0
		.amdhsa_system_sgpr_private_segment_wavefront_offset 0
		.amdhsa_system_sgpr_workgroup_id_x 1
		.amdhsa_system_sgpr_workgroup_id_y 0
		.amdhsa_system_sgpr_workgroup_id_z 0
		.amdhsa_system_sgpr_workgroup_info 0
		.amdhsa_system_vgpr_workitem_id 0
		.amdhsa_next_free_vgpr 1
		.amdhsa_next_free_sgpr 0
		.amdhsa_accum_offset 4
		.amdhsa_reserve_vcc 0
		.amdhsa_reserve_flat_scratch 0
		.amdhsa_float_round_mode_32 0
		.amdhsa_float_round_mode_16_64 0
		.amdhsa_float_denorm_mode_32 3
		.amdhsa_float_denorm_mode_16_64 3
		.amdhsa_dx10_clamp 1
		.amdhsa_ieee_mode 1
		.amdhsa_fp16_overflow 0
		.amdhsa_tg_split 0
		.amdhsa_exception_fp_ieee_invalid_op 0
		.amdhsa_exception_fp_denorm_src 0
		.amdhsa_exception_fp_ieee_div_zero 0
		.amdhsa_exception_fp_ieee_overflow 0
		.amdhsa_exception_fp_ieee_underflow 0
		.amdhsa_exception_fp_ieee_inexact 0
		.amdhsa_exception_int_div_zero 0
	.end_amdhsa_kernel
	.section	.text._ZN7rocprim17ROCPRIM_400000_NS6detail17trampoline_kernelINS0_14default_configENS1_29reduce_by_key_config_selectorIffN6thrust23THRUST_200600_302600_NS4plusIfEEEEZZNS1_33reduce_by_key_impl_wrapped_configILNS1_25lookback_scan_determinismE1ES3_S9_NS6_6detail15normal_iteratorINS6_10device_ptrIfEEEESG_SG_SG_PmS8_NS6_8equal_toIfEEEE10hipError_tPvRmT2_T3_mT4_T5_T6_T7_T8_P12ihipStream_tbENKUlT_T0_E_clISt17integral_constantIbLb0EES10_IbLb1EEEEDaSW_SX_EUlSW_E_NS1_11comp_targetILNS1_3genE10ELNS1_11target_archE1200ELNS1_3gpuE4ELNS1_3repE0EEENS1_30default_config_static_selectorELNS0_4arch9wavefront6targetE1EEEvT1_,"axG",@progbits,_ZN7rocprim17ROCPRIM_400000_NS6detail17trampoline_kernelINS0_14default_configENS1_29reduce_by_key_config_selectorIffN6thrust23THRUST_200600_302600_NS4plusIfEEEEZZNS1_33reduce_by_key_impl_wrapped_configILNS1_25lookback_scan_determinismE1ES3_S9_NS6_6detail15normal_iteratorINS6_10device_ptrIfEEEESG_SG_SG_PmS8_NS6_8equal_toIfEEEE10hipError_tPvRmT2_T3_mT4_T5_T6_T7_T8_P12ihipStream_tbENKUlT_T0_E_clISt17integral_constantIbLb0EES10_IbLb1EEEEDaSW_SX_EUlSW_E_NS1_11comp_targetILNS1_3genE10ELNS1_11target_archE1200ELNS1_3gpuE4ELNS1_3repE0EEENS1_30default_config_static_selectorELNS0_4arch9wavefront6targetE1EEEvT1_,comdat
.Lfunc_end125:
	.size	_ZN7rocprim17ROCPRIM_400000_NS6detail17trampoline_kernelINS0_14default_configENS1_29reduce_by_key_config_selectorIffN6thrust23THRUST_200600_302600_NS4plusIfEEEEZZNS1_33reduce_by_key_impl_wrapped_configILNS1_25lookback_scan_determinismE1ES3_S9_NS6_6detail15normal_iteratorINS6_10device_ptrIfEEEESG_SG_SG_PmS8_NS6_8equal_toIfEEEE10hipError_tPvRmT2_T3_mT4_T5_T6_T7_T8_P12ihipStream_tbENKUlT_T0_E_clISt17integral_constantIbLb0EES10_IbLb1EEEEDaSW_SX_EUlSW_E_NS1_11comp_targetILNS1_3genE10ELNS1_11target_archE1200ELNS1_3gpuE4ELNS1_3repE0EEENS1_30default_config_static_selectorELNS0_4arch9wavefront6targetE1EEEvT1_, .Lfunc_end125-_ZN7rocprim17ROCPRIM_400000_NS6detail17trampoline_kernelINS0_14default_configENS1_29reduce_by_key_config_selectorIffN6thrust23THRUST_200600_302600_NS4plusIfEEEEZZNS1_33reduce_by_key_impl_wrapped_configILNS1_25lookback_scan_determinismE1ES3_S9_NS6_6detail15normal_iteratorINS6_10device_ptrIfEEEESG_SG_SG_PmS8_NS6_8equal_toIfEEEE10hipError_tPvRmT2_T3_mT4_T5_T6_T7_T8_P12ihipStream_tbENKUlT_T0_E_clISt17integral_constantIbLb0EES10_IbLb1EEEEDaSW_SX_EUlSW_E_NS1_11comp_targetILNS1_3genE10ELNS1_11target_archE1200ELNS1_3gpuE4ELNS1_3repE0EEENS1_30default_config_static_selectorELNS0_4arch9wavefront6targetE1EEEvT1_
                                        ; -- End function
	.section	.AMDGPU.csdata,"",@progbits
; Kernel info:
; codeLenInByte = 0
; NumSgprs: 4
; NumVgprs: 0
; NumAgprs: 0
; TotalNumVgprs: 0
; ScratchSize: 0
; MemoryBound: 0
; FloatMode: 240
; IeeeMode: 1
; LDSByteSize: 0 bytes/workgroup (compile time only)
; SGPRBlocks: 0
; VGPRBlocks: 0
; NumSGPRsForWavesPerEU: 4
; NumVGPRsForWavesPerEU: 1
; AccumOffset: 4
; Occupancy: 8
; WaveLimiterHint : 0
; COMPUTE_PGM_RSRC2:SCRATCH_EN: 0
; COMPUTE_PGM_RSRC2:USER_SGPR: 6
; COMPUTE_PGM_RSRC2:TRAP_HANDLER: 0
; COMPUTE_PGM_RSRC2:TGID_X_EN: 1
; COMPUTE_PGM_RSRC2:TGID_Y_EN: 0
; COMPUTE_PGM_RSRC2:TGID_Z_EN: 0
; COMPUTE_PGM_RSRC2:TIDIG_COMP_CNT: 0
; COMPUTE_PGM_RSRC3_GFX90A:ACCUM_OFFSET: 0
; COMPUTE_PGM_RSRC3_GFX90A:TG_SPLIT: 0
	.section	.text._ZN7rocprim17ROCPRIM_400000_NS6detail17trampoline_kernelINS0_14default_configENS1_29reduce_by_key_config_selectorIffN6thrust23THRUST_200600_302600_NS4plusIfEEEEZZNS1_33reduce_by_key_impl_wrapped_configILNS1_25lookback_scan_determinismE1ES3_S9_NS6_6detail15normal_iteratorINS6_10device_ptrIfEEEESG_SG_SG_PmS8_NS6_8equal_toIfEEEE10hipError_tPvRmT2_T3_mT4_T5_T6_T7_T8_P12ihipStream_tbENKUlT_T0_E_clISt17integral_constantIbLb0EES10_IbLb1EEEEDaSW_SX_EUlSW_E_NS1_11comp_targetILNS1_3genE9ELNS1_11target_archE1100ELNS1_3gpuE3ELNS1_3repE0EEENS1_30default_config_static_selectorELNS0_4arch9wavefront6targetE1EEEvT1_,"axG",@progbits,_ZN7rocprim17ROCPRIM_400000_NS6detail17trampoline_kernelINS0_14default_configENS1_29reduce_by_key_config_selectorIffN6thrust23THRUST_200600_302600_NS4plusIfEEEEZZNS1_33reduce_by_key_impl_wrapped_configILNS1_25lookback_scan_determinismE1ES3_S9_NS6_6detail15normal_iteratorINS6_10device_ptrIfEEEESG_SG_SG_PmS8_NS6_8equal_toIfEEEE10hipError_tPvRmT2_T3_mT4_T5_T6_T7_T8_P12ihipStream_tbENKUlT_T0_E_clISt17integral_constantIbLb0EES10_IbLb1EEEEDaSW_SX_EUlSW_E_NS1_11comp_targetILNS1_3genE9ELNS1_11target_archE1100ELNS1_3gpuE3ELNS1_3repE0EEENS1_30default_config_static_selectorELNS0_4arch9wavefront6targetE1EEEvT1_,comdat
	.protected	_ZN7rocprim17ROCPRIM_400000_NS6detail17trampoline_kernelINS0_14default_configENS1_29reduce_by_key_config_selectorIffN6thrust23THRUST_200600_302600_NS4plusIfEEEEZZNS1_33reduce_by_key_impl_wrapped_configILNS1_25lookback_scan_determinismE1ES3_S9_NS6_6detail15normal_iteratorINS6_10device_ptrIfEEEESG_SG_SG_PmS8_NS6_8equal_toIfEEEE10hipError_tPvRmT2_T3_mT4_T5_T6_T7_T8_P12ihipStream_tbENKUlT_T0_E_clISt17integral_constantIbLb0EES10_IbLb1EEEEDaSW_SX_EUlSW_E_NS1_11comp_targetILNS1_3genE9ELNS1_11target_archE1100ELNS1_3gpuE3ELNS1_3repE0EEENS1_30default_config_static_selectorELNS0_4arch9wavefront6targetE1EEEvT1_ ; -- Begin function _ZN7rocprim17ROCPRIM_400000_NS6detail17trampoline_kernelINS0_14default_configENS1_29reduce_by_key_config_selectorIffN6thrust23THRUST_200600_302600_NS4plusIfEEEEZZNS1_33reduce_by_key_impl_wrapped_configILNS1_25lookback_scan_determinismE1ES3_S9_NS6_6detail15normal_iteratorINS6_10device_ptrIfEEEESG_SG_SG_PmS8_NS6_8equal_toIfEEEE10hipError_tPvRmT2_T3_mT4_T5_T6_T7_T8_P12ihipStream_tbENKUlT_T0_E_clISt17integral_constantIbLb0EES10_IbLb1EEEEDaSW_SX_EUlSW_E_NS1_11comp_targetILNS1_3genE9ELNS1_11target_archE1100ELNS1_3gpuE3ELNS1_3repE0EEENS1_30default_config_static_selectorELNS0_4arch9wavefront6targetE1EEEvT1_
	.globl	_ZN7rocprim17ROCPRIM_400000_NS6detail17trampoline_kernelINS0_14default_configENS1_29reduce_by_key_config_selectorIffN6thrust23THRUST_200600_302600_NS4plusIfEEEEZZNS1_33reduce_by_key_impl_wrapped_configILNS1_25lookback_scan_determinismE1ES3_S9_NS6_6detail15normal_iteratorINS6_10device_ptrIfEEEESG_SG_SG_PmS8_NS6_8equal_toIfEEEE10hipError_tPvRmT2_T3_mT4_T5_T6_T7_T8_P12ihipStream_tbENKUlT_T0_E_clISt17integral_constantIbLb0EES10_IbLb1EEEEDaSW_SX_EUlSW_E_NS1_11comp_targetILNS1_3genE9ELNS1_11target_archE1100ELNS1_3gpuE3ELNS1_3repE0EEENS1_30default_config_static_selectorELNS0_4arch9wavefront6targetE1EEEvT1_
	.p2align	8
	.type	_ZN7rocprim17ROCPRIM_400000_NS6detail17trampoline_kernelINS0_14default_configENS1_29reduce_by_key_config_selectorIffN6thrust23THRUST_200600_302600_NS4plusIfEEEEZZNS1_33reduce_by_key_impl_wrapped_configILNS1_25lookback_scan_determinismE1ES3_S9_NS6_6detail15normal_iteratorINS6_10device_ptrIfEEEESG_SG_SG_PmS8_NS6_8equal_toIfEEEE10hipError_tPvRmT2_T3_mT4_T5_T6_T7_T8_P12ihipStream_tbENKUlT_T0_E_clISt17integral_constantIbLb0EES10_IbLb1EEEEDaSW_SX_EUlSW_E_NS1_11comp_targetILNS1_3genE9ELNS1_11target_archE1100ELNS1_3gpuE3ELNS1_3repE0EEENS1_30default_config_static_selectorELNS0_4arch9wavefront6targetE1EEEvT1_,@function
_ZN7rocprim17ROCPRIM_400000_NS6detail17trampoline_kernelINS0_14default_configENS1_29reduce_by_key_config_selectorIffN6thrust23THRUST_200600_302600_NS4plusIfEEEEZZNS1_33reduce_by_key_impl_wrapped_configILNS1_25lookback_scan_determinismE1ES3_S9_NS6_6detail15normal_iteratorINS6_10device_ptrIfEEEESG_SG_SG_PmS8_NS6_8equal_toIfEEEE10hipError_tPvRmT2_T3_mT4_T5_T6_T7_T8_P12ihipStream_tbENKUlT_T0_E_clISt17integral_constantIbLb0EES10_IbLb1EEEEDaSW_SX_EUlSW_E_NS1_11comp_targetILNS1_3genE9ELNS1_11target_archE1100ELNS1_3gpuE3ELNS1_3repE0EEENS1_30default_config_static_selectorELNS0_4arch9wavefront6targetE1EEEvT1_: ; @_ZN7rocprim17ROCPRIM_400000_NS6detail17trampoline_kernelINS0_14default_configENS1_29reduce_by_key_config_selectorIffN6thrust23THRUST_200600_302600_NS4plusIfEEEEZZNS1_33reduce_by_key_impl_wrapped_configILNS1_25lookback_scan_determinismE1ES3_S9_NS6_6detail15normal_iteratorINS6_10device_ptrIfEEEESG_SG_SG_PmS8_NS6_8equal_toIfEEEE10hipError_tPvRmT2_T3_mT4_T5_T6_T7_T8_P12ihipStream_tbENKUlT_T0_E_clISt17integral_constantIbLb0EES10_IbLb1EEEEDaSW_SX_EUlSW_E_NS1_11comp_targetILNS1_3genE9ELNS1_11target_archE1100ELNS1_3gpuE3ELNS1_3repE0EEENS1_30default_config_static_selectorELNS0_4arch9wavefront6targetE1EEEvT1_
; %bb.0:
	.section	.rodata,"a",@progbits
	.p2align	6, 0x0
	.amdhsa_kernel _ZN7rocprim17ROCPRIM_400000_NS6detail17trampoline_kernelINS0_14default_configENS1_29reduce_by_key_config_selectorIffN6thrust23THRUST_200600_302600_NS4plusIfEEEEZZNS1_33reduce_by_key_impl_wrapped_configILNS1_25lookback_scan_determinismE1ES3_S9_NS6_6detail15normal_iteratorINS6_10device_ptrIfEEEESG_SG_SG_PmS8_NS6_8equal_toIfEEEE10hipError_tPvRmT2_T3_mT4_T5_T6_T7_T8_P12ihipStream_tbENKUlT_T0_E_clISt17integral_constantIbLb0EES10_IbLb1EEEEDaSW_SX_EUlSW_E_NS1_11comp_targetILNS1_3genE9ELNS1_11target_archE1100ELNS1_3gpuE3ELNS1_3repE0EEENS1_30default_config_static_selectorELNS0_4arch9wavefront6targetE1EEEvT1_
		.amdhsa_group_segment_fixed_size 0
		.amdhsa_private_segment_fixed_size 0
		.amdhsa_kernarg_size 120
		.amdhsa_user_sgpr_count 6
		.amdhsa_user_sgpr_private_segment_buffer 1
		.amdhsa_user_sgpr_dispatch_ptr 0
		.amdhsa_user_sgpr_queue_ptr 0
		.amdhsa_user_sgpr_kernarg_segment_ptr 1
		.amdhsa_user_sgpr_dispatch_id 0
		.amdhsa_user_sgpr_flat_scratch_init 0
		.amdhsa_user_sgpr_kernarg_preload_length 0
		.amdhsa_user_sgpr_kernarg_preload_offset 0
		.amdhsa_user_sgpr_private_segment_size 0
		.amdhsa_uses_dynamic_stack 0
		.amdhsa_system_sgpr_private_segment_wavefront_offset 0
		.amdhsa_system_sgpr_workgroup_id_x 1
		.amdhsa_system_sgpr_workgroup_id_y 0
		.amdhsa_system_sgpr_workgroup_id_z 0
		.amdhsa_system_sgpr_workgroup_info 0
		.amdhsa_system_vgpr_workitem_id 0
		.amdhsa_next_free_vgpr 1
		.amdhsa_next_free_sgpr 0
		.amdhsa_accum_offset 4
		.amdhsa_reserve_vcc 0
		.amdhsa_reserve_flat_scratch 0
		.amdhsa_float_round_mode_32 0
		.amdhsa_float_round_mode_16_64 0
		.amdhsa_float_denorm_mode_32 3
		.amdhsa_float_denorm_mode_16_64 3
		.amdhsa_dx10_clamp 1
		.amdhsa_ieee_mode 1
		.amdhsa_fp16_overflow 0
		.amdhsa_tg_split 0
		.amdhsa_exception_fp_ieee_invalid_op 0
		.amdhsa_exception_fp_denorm_src 0
		.amdhsa_exception_fp_ieee_div_zero 0
		.amdhsa_exception_fp_ieee_overflow 0
		.amdhsa_exception_fp_ieee_underflow 0
		.amdhsa_exception_fp_ieee_inexact 0
		.amdhsa_exception_int_div_zero 0
	.end_amdhsa_kernel
	.section	.text._ZN7rocprim17ROCPRIM_400000_NS6detail17trampoline_kernelINS0_14default_configENS1_29reduce_by_key_config_selectorIffN6thrust23THRUST_200600_302600_NS4plusIfEEEEZZNS1_33reduce_by_key_impl_wrapped_configILNS1_25lookback_scan_determinismE1ES3_S9_NS6_6detail15normal_iteratorINS6_10device_ptrIfEEEESG_SG_SG_PmS8_NS6_8equal_toIfEEEE10hipError_tPvRmT2_T3_mT4_T5_T6_T7_T8_P12ihipStream_tbENKUlT_T0_E_clISt17integral_constantIbLb0EES10_IbLb1EEEEDaSW_SX_EUlSW_E_NS1_11comp_targetILNS1_3genE9ELNS1_11target_archE1100ELNS1_3gpuE3ELNS1_3repE0EEENS1_30default_config_static_selectorELNS0_4arch9wavefront6targetE1EEEvT1_,"axG",@progbits,_ZN7rocprim17ROCPRIM_400000_NS6detail17trampoline_kernelINS0_14default_configENS1_29reduce_by_key_config_selectorIffN6thrust23THRUST_200600_302600_NS4plusIfEEEEZZNS1_33reduce_by_key_impl_wrapped_configILNS1_25lookback_scan_determinismE1ES3_S9_NS6_6detail15normal_iteratorINS6_10device_ptrIfEEEESG_SG_SG_PmS8_NS6_8equal_toIfEEEE10hipError_tPvRmT2_T3_mT4_T5_T6_T7_T8_P12ihipStream_tbENKUlT_T0_E_clISt17integral_constantIbLb0EES10_IbLb1EEEEDaSW_SX_EUlSW_E_NS1_11comp_targetILNS1_3genE9ELNS1_11target_archE1100ELNS1_3gpuE3ELNS1_3repE0EEENS1_30default_config_static_selectorELNS0_4arch9wavefront6targetE1EEEvT1_,comdat
.Lfunc_end126:
	.size	_ZN7rocprim17ROCPRIM_400000_NS6detail17trampoline_kernelINS0_14default_configENS1_29reduce_by_key_config_selectorIffN6thrust23THRUST_200600_302600_NS4plusIfEEEEZZNS1_33reduce_by_key_impl_wrapped_configILNS1_25lookback_scan_determinismE1ES3_S9_NS6_6detail15normal_iteratorINS6_10device_ptrIfEEEESG_SG_SG_PmS8_NS6_8equal_toIfEEEE10hipError_tPvRmT2_T3_mT4_T5_T6_T7_T8_P12ihipStream_tbENKUlT_T0_E_clISt17integral_constantIbLb0EES10_IbLb1EEEEDaSW_SX_EUlSW_E_NS1_11comp_targetILNS1_3genE9ELNS1_11target_archE1100ELNS1_3gpuE3ELNS1_3repE0EEENS1_30default_config_static_selectorELNS0_4arch9wavefront6targetE1EEEvT1_, .Lfunc_end126-_ZN7rocprim17ROCPRIM_400000_NS6detail17trampoline_kernelINS0_14default_configENS1_29reduce_by_key_config_selectorIffN6thrust23THRUST_200600_302600_NS4plusIfEEEEZZNS1_33reduce_by_key_impl_wrapped_configILNS1_25lookback_scan_determinismE1ES3_S9_NS6_6detail15normal_iteratorINS6_10device_ptrIfEEEESG_SG_SG_PmS8_NS6_8equal_toIfEEEE10hipError_tPvRmT2_T3_mT4_T5_T6_T7_T8_P12ihipStream_tbENKUlT_T0_E_clISt17integral_constantIbLb0EES10_IbLb1EEEEDaSW_SX_EUlSW_E_NS1_11comp_targetILNS1_3genE9ELNS1_11target_archE1100ELNS1_3gpuE3ELNS1_3repE0EEENS1_30default_config_static_selectorELNS0_4arch9wavefront6targetE1EEEvT1_
                                        ; -- End function
	.section	.AMDGPU.csdata,"",@progbits
; Kernel info:
; codeLenInByte = 0
; NumSgprs: 4
; NumVgprs: 0
; NumAgprs: 0
; TotalNumVgprs: 0
; ScratchSize: 0
; MemoryBound: 0
; FloatMode: 240
; IeeeMode: 1
; LDSByteSize: 0 bytes/workgroup (compile time only)
; SGPRBlocks: 0
; VGPRBlocks: 0
; NumSGPRsForWavesPerEU: 4
; NumVGPRsForWavesPerEU: 1
; AccumOffset: 4
; Occupancy: 8
; WaveLimiterHint : 0
; COMPUTE_PGM_RSRC2:SCRATCH_EN: 0
; COMPUTE_PGM_RSRC2:USER_SGPR: 6
; COMPUTE_PGM_RSRC2:TRAP_HANDLER: 0
; COMPUTE_PGM_RSRC2:TGID_X_EN: 1
; COMPUTE_PGM_RSRC2:TGID_Y_EN: 0
; COMPUTE_PGM_RSRC2:TGID_Z_EN: 0
; COMPUTE_PGM_RSRC2:TIDIG_COMP_CNT: 0
; COMPUTE_PGM_RSRC3_GFX90A:ACCUM_OFFSET: 0
; COMPUTE_PGM_RSRC3_GFX90A:TG_SPLIT: 0
	.section	.text._ZN7rocprim17ROCPRIM_400000_NS6detail17trampoline_kernelINS0_14default_configENS1_29reduce_by_key_config_selectorIffN6thrust23THRUST_200600_302600_NS4plusIfEEEEZZNS1_33reduce_by_key_impl_wrapped_configILNS1_25lookback_scan_determinismE1ES3_S9_NS6_6detail15normal_iteratorINS6_10device_ptrIfEEEESG_SG_SG_PmS8_NS6_8equal_toIfEEEE10hipError_tPvRmT2_T3_mT4_T5_T6_T7_T8_P12ihipStream_tbENKUlT_T0_E_clISt17integral_constantIbLb0EES10_IbLb1EEEEDaSW_SX_EUlSW_E_NS1_11comp_targetILNS1_3genE8ELNS1_11target_archE1030ELNS1_3gpuE2ELNS1_3repE0EEENS1_30default_config_static_selectorELNS0_4arch9wavefront6targetE1EEEvT1_,"axG",@progbits,_ZN7rocprim17ROCPRIM_400000_NS6detail17trampoline_kernelINS0_14default_configENS1_29reduce_by_key_config_selectorIffN6thrust23THRUST_200600_302600_NS4plusIfEEEEZZNS1_33reduce_by_key_impl_wrapped_configILNS1_25lookback_scan_determinismE1ES3_S9_NS6_6detail15normal_iteratorINS6_10device_ptrIfEEEESG_SG_SG_PmS8_NS6_8equal_toIfEEEE10hipError_tPvRmT2_T3_mT4_T5_T6_T7_T8_P12ihipStream_tbENKUlT_T0_E_clISt17integral_constantIbLb0EES10_IbLb1EEEEDaSW_SX_EUlSW_E_NS1_11comp_targetILNS1_3genE8ELNS1_11target_archE1030ELNS1_3gpuE2ELNS1_3repE0EEENS1_30default_config_static_selectorELNS0_4arch9wavefront6targetE1EEEvT1_,comdat
	.protected	_ZN7rocprim17ROCPRIM_400000_NS6detail17trampoline_kernelINS0_14default_configENS1_29reduce_by_key_config_selectorIffN6thrust23THRUST_200600_302600_NS4plusIfEEEEZZNS1_33reduce_by_key_impl_wrapped_configILNS1_25lookback_scan_determinismE1ES3_S9_NS6_6detail15normal_iteratorINS6_10device_ptrIfEEEESG_SG_SG_PmS8_NS6_8equal_toIfEEEE10hipError_tPvRmT2_T3_mT4_T5_T6_T7_T8_P12ihipStream_tbENKUlT_T0_E_clISt17integral_constantIbLb0EES10_IbLb1EEEEDaSW_SX_EUlSW_E_NS1_11comp_targetILNS1_3genE8ELNS1_11target_archE1030ELNS1_3gpuE2ELNS1_3repE0EEENS1_30default_config_static_selectorELNS0_4arch9wavefront6targetE1EEEvT1_ ; -- Begin function _ZN7rocprim17ROCPRIM_400000_NS6detail17trampoline_kernelINS0_14default_configENS1_29reduce_by_key_config_selectorIffN6thrust23THRUST_200600_302600_NS4plusIfEEEEZZNS1_33reduce_by_key_impl_wrapped_configILNS1_25lookback_scan_determinismE1ES3_S9_NS6_6detail15normal_iteratorINS6_10device_ptrIfEEEESG_SG_SG_PmS8_NS6_8equal_toIfEEEE10hipError_tPvRmT2_T3_mT4_T5_T6_T7_T8_P12ihipStream_tbENKUlT_T0_E_clISt17integral_constantIbLb0EES10_IbLb1EEEEDaSW_SX_EUlSW_E_NS1_11comp_targetILNS1_3genE8ELNS1_11target_archE1030ELNS1_3gpuE2ELNS1_3repE0EEENS1_30default_config_static_selectorELNS0_4arch9wavefront6targetE1EEEvT1_
	.globl	_ZN7rocprim17ROCPRIM_400000_NS6detail17trampoline_kernelINS0_14default_configENS1_29reduce_by_key_config_selectorIffN6thrust23THRUST_200600_302600_NS4plusIfEEEEZZNS1_33reduce_by_key_impl_wrapped_configILNS1_25lookback_scan_determinismE1ES3_S9_NS6_6detail15normal_iteratorINS6_10device_ptrIfEEEESG_SG_SG_PmS8_NS6_8equal_toIfEEEE10hipError_tPvRmT2_T3_mT4_T5_T6_T7_T8_P12ihipStream_tbENKUlT_T0_E_clISt17integral_constantIbLb0EES10_IbLb1EEEEDaSW_SX_EUlSW_E_NS1_11comp_targetILNS1_3genE8ELNS1_11target_archE1030ELNS1_3gpuE2ELNS1_3repE0EEENS1_30default_config_static_selectorELNS0_4arch9wavefront6targetE1EEEvT1_
	.p2align	8
	.type	_ZN7rocprim17ROCPRIM_400000_NS6detail17trampoline_kernelINS0_14default_configENS1_29reduce_by_key_config_selectorIffN6thrust23THRUST_200600_302600_NS4plusIfEEEEZZNS1_33reduce_by_key_impl_wrapped_configILNS1_25lookback_scan_determinismE1ES3_S9_NS6_6detail15normal_iteratorINS6_10device_ptrIfEEEESG_SG_SG_PmS8_NS6_8equal_toIfEEEE10hipError_tPvRmT2_T3_mT4_T5_T6_T7_T8_P12ihipStream_tbENKUlT_T0_E_clISt17integral_constantIbLb0EES10_IbLb1EEEEDaSW_SX_EUlSW_E_NS1_11comp_targetILNS1_3genE8ELNS1_11target_archE1030ELNS1_3gpuE2ELNS1_3repE0EEENS1_30default_config_static_selectorELNS0_4arch9wavefront6targetE1EEEvT1_,@function
_ZN7rocprim17ROCPRIM_400000_NS6detail17trampoline_kernelINS0_14default_configENS1_29reduce_by_key_config_selectorIffN6thrust23THRUST_200600_302600_NS4plusIfEEEEZZNS1_33reduce_by_key_impl_wrapped_configILNS1_25lookback_scan_determinismE1ES3_S9_NS6_6detail15normal_iteratorINS6_10device_ptrIfEEEESG_SG_SG_PmS8_NS6_8equal_toIfEEEE10hipError_tPvRmT2_T3_mT4_T5_T6_T7_T8_P12ihipStream_tbENKUlT_T0_E_clISt17integral_constantIbLb0EES10_IbLb1EEEEDaSW_SX_EUlSW_E_NS1_11comp_targetILNS1_3genE8ELNS1_11target_archE1030ELNS1_3gpuE2ELNS1_3repE0EEENS1_30default_config_static_selectorELNS0_4arch9wavefront6targetE1EEEvT1_: ; @_ZN7rocprim17ROCPRIM_400000_NS6detail17trampoline_kernelINS0_14default_configENS1_29reduce_by_key_config_selectorIffN6thrust23THRUST_200600_302600_NS4plusIfEEEEZZNS1_33reduce_by_key_impl_wrapped_configILNS1_25lookback_scan_determinismE1ES3_S9_NS6_6detail15normal_iteratorINS6_10device_ptrIfEEEESG_SG_SG_PmS8_NS6_8equal_toIfEEEE10hipError_tPvRmT2_T3_mT4_T5_T6_T7_T8_P12ihipStream_tbENKUlT_T0_E_clISt17integral_constantIbLb0EES10_IbLb1EEEEDaSW_SX_EUlSW_E_NS1_11comp_targetILNS1_3genE8ELNS1_11target_archE1030ELNS1_3gpuE2ELNS1_3repE0EEENS1_30default_config_static_selectorELNS0_4arch9wavefront6targetE1EEEvT1_
; %bb.0:
	.section	.rodata,"a",@progbits
	.p2align	6, 0x0
	.amdhsa_kernel _ZN7rocprim17ROCPRIM_400000_NS6detail17trampoline_kernelINS0_14default_configENS1_29reduce_by_key_config_selectorIffN6thrust23THRUST_200600_302600_NS4plusIfEEEEZZNS1_33reduce_by_key_impl_wrapped_configILNS1_25lookback_scan_determinismE1ES3_S9_NS6_6detail15normal_iteratorINS6_10device_ptrIfEEEESG_SG_SG_PmS8_NS6_8equal_toIfEEEE10hipError_tPvRmT2_T3_mT4_T5_T6_T7_T8_P12ihipStream_tbENKUlT_T0_E_clISt17integral_constantIbLb0EES10_IbLb1EEEEDaSW_SX_EUlSW_E_NS1_11comp_targetILNS1_3genE8ELNS1_11target_archE1030ELNS1_3gpuE2ELNS1_3repE0EEENS1_30default_config_static_selectorELNS0_4arch9wavefront6targetE1EEEvT1_
		.amdhsa_group_segment_fixed_size 0
		.amdhsa_private_segment_fixed_size 0
		.amdhsa_kernarg_size 120
		.amdhsa_user_sgpr_count 6
		.amdhsa_user_sgpr_private_segment_buffer 1
		.amdhsa_user_sgpr_dispatch_ptr 0
		.amdhsa_user_sgpr_queue_ptr 0
		.amdhsa_user_sgpr_kernarg_segment_ptr 1
		.amdhsa_user_sgpr_dispatch_id 0
		.amdhsa_user_sgpr_flat_scratch_init 0
		.amdhsa_user_sgpr_kernarg_preload_length 0
		.amdhsa_user_sgpr_kernarg_preload_offset 0
		.amdhsa_user_sgpr_private_segment_size 0
		.amdhsa_uses_dynamic_stack 0
		.amdhsa_system_sgpr_private_segment_wavefront_offset 0
		.amdhsa_system_sgpr_workgroup_id_x 1
		.amdhsa_system_sgpr_workgroup_id_y 0
		.amdhsa_system_sgpr_workgroup_id_z 0
		.amdhsa_system_sgpr_workgroup_info 0
		.amdhsa_system_vgpr_workitem_id 0
		.amdhsa_next_free_vgpr 1
		.amdhsa_next_free_sgpr 0
		.amdhsa_accum_offset 4
		.amdhsa_reserve_vcc 0
		.amdhsa_reserve_flat_scratch 0
		.amdhsa_float_round_mode_32 0
		.amdhsa_float_round_mode_16_64 0
		.amdhsa_float_denorm_mode_32 3
		.amdhsa_float_denorm_mode_16_64 3
		.amdhsa_dx10_clamp 1
		.amdhsa_ieee_mode 1
		.amdhsa_fp16_overflow 0
		.amdhsa_tg_split 0
		.amdhsa_exception_fp_ieee_invalid_op 0
		.amdhsa_exception_fp_denorm_src 0
		.amdhsa_exception_fp_ieee_div_zero 0
		.amdhsa_exception_fp_ieee_overflow 0
		.amdhsa_exception_fp_ieee_underflow 0
		.amdhsa_exception_fp_ieee_inexact 0
		.amdhsa_exception_int_div_zero 0
	.end_amdhsa_kernel
	.section	.text._ZN7rocprim17ROCPRIM_400000_NS6detail17trampoline_kernelINS0_14default_configENS1_29reduce_by_key_config_selectorIffN6thrust23THRUST_200600_302600_NS4plusIfEEEEZZNS1_33reduce_by_key_impl_wrapped_configILNS1_25lookback_scan_determinismE1ES3_S9_NS6_6detail15normal_iteratorINS6_10device_ptrIfEEEESG_SG_SG_PmS8_NS6_8equal_toIfEEEE10hipError_tPvRmT2_T3_mT4_T5_T6_T7_T8_P12ihipStream_tbENKUlT_T0_E_clISt17integral_constantIbLb0EES10_IbLb1EEEEDaSW_SX_EUlSW_E_NS1_11comp_targetILNS1_3genE8ELNS1_11target_archE1030ELNS1_3gpuE2ELNS1_3repE0EEENS1_30default_config_static_selectorELNS0_4arch9wavefront6targetE1EEEvT1_,"axG",@progbits,_ZN7rocprim17ROCPRIM_400000_NS6detail17trampoline_kernelINS0_14default_configENS1_29reduce_by_key_config_selectorIffN6thrust23THRUST_200600_302600_NS4plusIfEEEEZZNS1_33reduce_by_key_impl_wrapped_configILNS1_25lookback_scan_determinismE1ES3_S9_NS6_6detail15normal_iteratorINS6_10device_ptrIfEEEESG_SG_SG_PmS8_NS6_8equal_toIfEEEE10hipError_tPvRmT2_T3_mT4_T5_T6_T7_T8_P12ihipStream_tbENKUlT_T0_E_clISt17integral_constantIbLb0EES10_IbLb1EEEEDaSW_SX_EUlSW_E_NS1_11comp_targetILNS1_3genE8ELNS1_11target_archE1030ELNS1_3gpuE2ELNS1_3repE0EEENS1_30default_config_static_selectorELNS0_4arch9wavefront6targetE1EEEvT1_,comdat
.Lfunc_end127:
	.size	_ZN7rocprim17ROCPRIM_400000_NS6detail17trampoline_kernelINS0_14default_configENS1_29reduce_by_key_config_selectorIffN6thrust23THRUST_200600_302600_NS4plusIfEEEEZZNS1_33reduce_by_key_impl_wrapped_configILNS1_25lookback_scan_determinismE1ES3_S9_NS6_6detail15normal_iteratorINS6_10device_ptrIfEEEESG_SG_SG_PmS8_NS6_8equal_toIfEEEE10hipError_tPvRmT2_T3_mT4_T5_T6_T7_T8_P12ihipStream_tbENKUlT_T0_E_clISt17integral_constantIbLb0EES10_IbLb1EEEEDaSW_SX_EUlSW_E_NS1_11comp_targetILNS1_3genE8ELNS1_11target_archE1030ELNS1_3gpuE2ELNS1_3repE0EEENS1_30default_config_static_selectorELNS0_4arch9wavefront6targetE1EEEvT1_, .Lfunc_end127-_ZN7rocprim17ROCPRIM_400000_NS6detail17trampoline_kernelINS0_14default_configENS1_29reduce_by_key_config_selectorIffN6thrust23THRUST_200600_302600_NS4plusIfEEEEZZNS1_33reduce_by_key_impl_wrapped_configILNS1_25lookback_scan_determinismE1ES3_S9_NS6_6detail15normal_iteratorINS6_10device_ptrIfEEEESG_SG_SG_PmS8_NS6_8equal_toIfEEEE10hipError_tPvRmT2_T3_mT4_T5_T6_T7_T8_P12ihipStream_tbENKUlT_T0_E_clISt17integral_constantIbLb0EES10_IbLb1EEEEDaSW_SX_EUlSW_E_NS1_11comp_targetILNS1_3genE8ELNS1_11target_archE1030ELNS1_3gpuE2ELNS1_3repE0EEENS1_30default_config_static_selectorELNS0_4arch9wavefront6targetE1EEEvT1_
                                        ; -- End function
	.section	.AMDGPU.csdata,"",@progbits
; Kernel info:
; codeLenInByte = 0
; NumSgprs: 4
; NumVgprs: 0
; NumAgprs: 0
; TotalNumVgprs: 0
; ScratchSize: 0
; MemoryBound: 0
; FloatMode: 240
; IeeeMode: 1
; LDSByteSize: 0 bytes/workgroup (compile time only)
; SGPRBlocks: 0
; VGPRBlocks: 0
; NumSGPRsForWavesPerEU: 4
; NumVGPRsForWavesPerEU: 1
; AccumOffset: 4
; Occupancy: 8
; WaveLimiterHint : 0
; COMPUTE_PGM_RSRC2:SCRATCH_EN: 0
; COMPUTE_PGM_RSRC2:USER_SGPR: 6
; COMPUTE_PGM_RSRC2:TRAP_HANDLER: 0
; COMPUTE_PGM_RSRC2:TGID_X_EN: 1
; COMPUTE_PGM_RSRC2:TGID_Y_EN: 0
; COMPUTE_PGM_RSRC2:TGID_Z_EN: 0
; COMPUTE_PGM_RSRC2:TIDIG_COMP_CNT: 0
; COMPUTE_PGM_RSRC3_GFX90A:ACCUM_OFFSET: 0
; COMPUTE_PGM_RSRC3_GFX90A:TG_SPLIT: 0
	.section	.text._ZN7rocprim17ROCPRIM_400000_NS6detail17trampoline_kernelINS0_14default_configENS1_29reduce_by_key_config_selectorIffN6thrust23THRUST_200600_302600_NS4plusIfEEEEZZNS1_33reduce_by_key_impl_wrapped_configILNS1_25lookback_scan_determinismE1ES3_S9_NS6_6detail15normal_iteratorINS6_10device_ptrIfEEEESG_SG_SG_PmS8_22is_equal_div_10_reduceIfEEE10hipError_tPvRmT2_T3_mT4_T5_T6_T7_T8_P12ihipStream_tbENKUlT_T0_E_clISt17integral_constantIbLb0EES11_EEDaSW_SX_EUlSW_E_NS1_11comp_targetILNS1_3genE0ELNS1_11target_archE4294967295ELNS1_3gpuE0ELNS1_3repE0EEENS1_30default_config_static_selectorELNS0_4arch9wavefront6targetE1EEEvT1_,"axG",@progbits,_ZN7rocprim17ROCPRIM_400000_NS6detail17trampoline_kernelINS0_14default_configENS1_29reduce_by_key_config_selectorIffN6thrust23THRUST_200600_302600_NS4plusIfEEEEZZNS1_33reduce_by_key_impl_wrapped_configILNS1_25lookback_scan_determinismE1ES3_S9_NS6_6detail15normal_iteratorINS6_10device_ptrIfEEEESG_SG_SG_PmS8_22is_equal_div_10_reduceIfEEE10hipError_tPvRmT2_T3_mT4_T5_T6_T7_T8_P12ihipStream_tbENKUlT_T0_E_clISt17integral_constantIbLb0EES11_EEDaSW_SX_EUlSW_E_NS1_11comp_targetILNS1_3genE0ELNS1_11target_archE4294967295ELNS1_3gpuE0ELNS1_3repE0EEENS1_30default_config_static_selectorELNS0_4arch9wavefront6targetE1EEEvT1_,comdat
	.protected	_ZN7rocprim17ROCPRIM_400000_NS6detail17trampoline_kernelINS0_14default_configENS1_29reduce_by_key_config_selectorIffN6thrust23THRUST_200600_302600_NS4plusIfEEEEZZNS1_33reduce_by_key_impl_wrapped_configILNS1_25lookback_scan_determinismE1ES3_S9_NS6_6detail15normal_iteratorINS6_10device_ptrIfEEEESG_SG_SG_PmS8_22is_equal_div_10_reduceIfEEE10hipError_tPvRmT2_T3_mT4_T5_T6_T7_T8_P12ihipStream_tbENKUlT_T0_E_clISt17integral_constantIbLb0EES11_EEDaSW_SX_EUlSW_E_NS1_11comp_targetILNS1_3genE0ELNS1_11target_archE4294967295ELNS1_3gpuE0ELNS1_3repE0EEENS1_30default_config_static_selectorELNS0_4arch9wavefront6targetE1EEEvT1_ ; -- Begin function _ZN7rocprim17ROCPRIM_400000_NS6detail17trampoline_kernelINS0_14default_configENS1_29reduce_by_key_config_selectorIffN6thrust23THRUST_200600_302600_NS4plusIfEEEEZZNS1_33reduce_by_key_impl_wrapped_configILNS1_25lookback_scan_determinismE1ES3_S9_NS6_6detail15normal_iteratorINS6_10device_ptrIfEEEESG_SG_SG_PmS8_22is_equal_div_10_reduceIfEEE10hipError_tPvRmT2_T3_mT4_T5_T6_T7_T8_P12ihipStream_tbENKUlT_T0_E_clISt17integral_constantIbLb0EES11_EEDaSW_SX_EUlSW_E_NS1_11comp_targetILNS1_3genE0ELNS1_11target_archE4294967295ELNS1_3gpuE0ELNS1_3repE0EEENS1_30default_config_static_selectorELNS0_4arch9wavefront6targetE1EEEvT1_
	.globl	_ZN7rocprim17ROCPRIM_400000_NS6detail17trampoline_kernelINS0_14default_configENS1_29reduce_by_key_config_selectorIffN6thrust23THRUST_200600_302600_NS4plusIfEEEEZZNS1_33reduce_by_key_impl_wrapped_configILNS1_25lookback_scan_determinismE1ES3_S9_NS6_6detail15normal_iteratorINS6_10device_ptrIfEEEESG_SG_SG_PmS8_22is_equal_div_10_reduceIfEEE10hipError_tPvRmT2_T3_mT4_T5_T6_T7_T8_P12ihipStream_tbENKUlT_T0_E_clISt17integral_constantIbLb0EES11_EEDaSW_SX_EUlSW_E_NS1_11comp_targetILNS1_3genE0ELNS1_11target_archE4294967295ELNS1_3gpuE0ELNS1_3repE0EEENS1_30default_config_static_selectorELNS0_4arch9wavefront6targetE1EEEvT1_
	.p2align	8
	.type	_ZN7rocprim17ROCPRIM_400000_NS6detail17trampoline_kernelINS0_14default_configENS1_29reduce_by_key_config_selectorIffN6thrust23THRUST_200600_302600_NS4plusIfEEEEZZNS1_33reduce_by_key_impl_wrapped_configILNS1_25lookback_scan_determinismE1ES3_S9_NS6_6detail15normal_iteratorINS6_10device_ptrIfEEEESG_SG_SG_PmS8_22is_equal_div_10_reduceIfEEE10hipError_tPvRmT2_T3_mT4_T5_T6_T7_T8_P12ihipStream_tbENKUlT_T0_E_clISt17integral_constantIbLb0EES11_EEDaSW_SX_EUlSW_E_NS1_11comp_targetILNS1_3genE0ELNS1_11target_archE4294967295ELNS1_3gpuE0ELNS1_3repE0EEENS1_30default_config_static_selectorELNS0_4arch9wavefront6targetE1EEEvT1_,@function
_ZN7rocprim17ROCPRIM_400000_NS6detail17trampoline_kernelINS0_14default_configENS1_29reduce_by_key_config_selectorIffN6thrust23THRUST_200600_302600_NS4plusIfEEEEZZNS1_33reduce_by_key_impl_wrapped_configILNS1_25lookback_scan_determinismE1ES3_S9_NS6_6detail15normal_iteratorINS6_10device_ptrIfEEEESG_SG_SG_PmS8_22is_equal_div_10_reduceIfEEE10hipError_tPvRmT2_T3_mT4_T5_T6_T7_T8_P12ihipStream_tbENKUlT_T0_E_clISt17integral_constantIbLb0EES11_EEDaSW_SX_EUlSW_E_NS1_11comp_targetILNS1_3genE0ELNS1_11target_archE4294967295ELNS1_3gpuE0ELNS1_3repE0EEENS1_30default_config_static_selectorELNS0_4arch9wavefront6targetE1EEEvT1_: ; @_ZN7rocprim17ROCPRIM_400000_NS6detail17trampoline_kernelINS0_14default_configENS1_29reduce_by_key_config_selectorIffN6thrust23THRUST_200600_302600_NS4plusIfEEEEZZNS1_33reduce_by_key_impl_wrapped_configILNS1_25lookback_scan_determinismE1ES3_S9_NS6_6detail15normal_iteratorINS6_10device_ptrIfEEEESG_SG_SG_PmS8_22is_equal_div_10_reduceIfEEE10hipError_tPvRmT2_T3_mT4_T5_T6_T7_T8_P12ihipStream_tbENKUlT_T0_E_clISt17integral_constantIbLb0EES11_EEDaSW_SX_EUlSW_E_NS1_11comp_targetILNS1_3genE0ELNS1_11target_archE4294967295ELNS1_3gpuE0ELNS1_3repE0EEENS1_30default_config_static_selectorELNS0_4arch9wavefront6targetE1EEEvT1_
; %bb.0:
	.section	.rodata,"a",@progbits
	.p2align	6, 0x0
	.amdhsa_kernel _ZN7rocprim17ROCPRIM_400000_NS6detail17trampoline_kernelINS0_14default_configENS1_29reduce_by_key_config_selectorIffN6thrust23THRUST_200600_302600_NS4plusIfEEEEZZNS1_33reduce_by_key_impl_wrapped_configILNS1_25lookback_scan_determinismE1ES3_S9_NS6_6detail15normal_iteratorINS6_10device_ptrIfEEEESG_SG_SG_PmS8_22is_equal_div_10_reduceIfEEE10hipError_tPvRmT2_T3_mT4_T5_T6_T7_T8_P12ihipStream_tbENKUlT_T0_E_clISt17integral_constantIbLb0EES11_EEDaSW_SX_EUlSW_E_NS1_11comp_targetILNS1_3genE0ELNS1_11target_archE4294967295ELNS1_3gpuE0ELNS1_3repE0EEENS1_30default_config_static_selectorELNS0_4arch9wavefront6targetE1EEEvT1_
		.amdhsa_group_segment_fixed_size 0
		.amdhsa_private_segment_fixed_size 0
		.amdhsa_kernarg_size 120
		.amdhsa_user_sgpr_count 6
		.amdhsa_user_sgpr_private_segment_buffer 1
		.amdhsa_user_sgpr_dispatch_ptr 0
		.amdhsa_user_sgpr_queue_ptr 0
		.amdhsa_user_sgpr_kernarg_segment_ptr 1
		.amdhsa_user_sgpr_dispatch_id 0
		.amdhsa_user_sgpr_flat_scratch_init 0
		.amdhsa_user_sgpr_kernarg_preload_length 0
		.amdhsa_user_sgpr_kernarg_preload_offset 0
		.amdhsa_user_sgpr_private_segment_size 0
		.amdhsa_uses_dynamic_stack 0
		.amdhsa_system_sgpr_private_segment_wavefront_offset 0
		.amdhsa_system_sgpr_workgroup_id_x 1
		.amdhsa_system_sgpr_workgroup_id_y 0
		.amdhsa_system_sgpr_workgroup_id_z 0
		.amdhsa_system_sgpr_workgroup_info 0
		.amdhsa_system_vgpr_workitem_id 0
		.amdhsa_next_free_vgpr 1
		.amdhsa_next_free_sgpr 0
		.amdhsa_accum_offset 4
		.amdhsa_reserve_vcc 0
		.amdhsa_reserve_flat_scratch 0
		.amdhsa_float_round_mode_32 0
		.amdhsa_float_round_mode_16_64 0
		.amdhsa_float_denorm_mode_32 3
		.amdhsa_float_denorm_mode_16_64 3
		.amdhsa_dx10_clamp 1
		.amdhsa_ieee_mode 1
		.amdhsa_fp16_overflow 0
		.amdhsa_tg_split 0
		.amdhsa_exception_fp_ieee_invalid_op 0
		.amdhsa_exception_fp_denorm_src 0
		.amdhsa_exception_fp_ieee_div_zero 0
		.amdhsa_exception_fp_ieee_overflow 0
		.amdhsa_exception_fp_ieee_underflow 0
		.amdhsa_exception_fp_ieee_inexact 0
		.amdhsa_exception_int_div_zero 0
	.end_amdhsa_kernel
	.section	.text._ZN7rocprim17ROCPRIM_400000_NS6detail17trampoline_kernelINS0_14default_configENS1_29reduce_by_key_config_selectorIffN6thrust23THRUST_200600_302600_NS4plusIfEEEEZZNS1_33reduce_by_key_impl_wrapped_configILNS1_25lookback_scan_determinismE1ES3_S9_NS6_6detail15normal_iteratorINS6_10device_ptrIfEEEESG_SG_SG_PmS8_22is_equal_div_10_reduceIfEEE10hipError_tPvRmT2_T3_mT4_T5_T6_T7_T8_P12ihipStream_tbENKUlT_T0_E_clISt17integral_constantIbLb0EES11_EEDaSW_SX_EUlSW_E_NS1_11comp_targetILNS1_3genE0ELNS1_11target_archE4294967295ELNS1_3gpuE0ELNS1_3repE0EEENS1_30default_config_static_selectorELNS0_4arch9wavefront6targetE1EEEvT1_,"axG",@progbits,_ZN7rocprim17ROCPRIM_400000_NS6detail17trampoline_kernelINS0_14default_configENS1_29reduce_by_key_config_selectorIffN6thrust23THRUST_200600_302600_NS4plusIfEEEEZZNS1_33reduce_by_key_impl_wrapped_configILNS1_25lookback_scan_determinismE1ES3_S9_NS6_6detail15normal_iteratorINS6_10device_ptrIfEEEESG_SG_SG_PmS8_22is_equal_div_10_reduceIfEEE10hipError_tPvRmT2_T3_mT4_T5_T6_T7_T8_P12ihipStream_tbENKUlT_T0_E_clISt17integral_constantIbLb0EES11_EEDaSW_SX_EUlSW_E_NS1_11comp_targetILNS1_3genE0ELNS1_11target_archE4294967295ELNS1_3gpuE0ELNS1_3repE0EEENS1_30default_config_static_selectorELNS0_4arch9wavefront6targetE1EEEvT1_,comdat
.Lfunc_end128:
	.size	_ZN7rocprim17ROCPRIM_400000_NS6detail17trampoline_kernelINS0_14default_configENS1_29reduce_by_key_config_selectorIffN6thrust23THRUST_200600_302600_NS4plusIfEEEEZZNS1_33reduce_by_key_impl_wrapped_configILNS1_25lookback_scan_determinismE1ES3_S9_NS6_6detail15normal_iteratorINS6_10device_ptrIfEEEESG_SG_SG_PmS8_22is_equal_div_10_reduceIfEEE10hipError_tPvRmT2_T3_mT4_T5_T6_T7_T8_P12ihipStream_tbENKUlT_T0_E_clISt17integral_constantIbLb0EES11_EEDaSW_SX_EUlSW_E_NS1_11comp_targetILNS1_3genE0ELNS1_11target_archE4294967295ELNS1_3gpuE0ELNS1_3repE0EEENS1_30default_config_static_selectorELNS0_4arch9wavefront6targetE1EEEvT1_, .Lfunc_end128-_ZN7rocprim17ROCPRIM_400000_NS6detail17trampoline_kernelINS0_14default_configENS1_29reduce_by_key_config_selectorIffN6thrust23THRUST_200600_302600_NS4plusIfEEEEZZNS1_33reduce_by_key_impl_wrapped_configILNS1_25lookback_scan_determinismE1ES3_S9_NS6_6detail15normal_iteratorINS6_10device_ptrIfEEEESG_SG_SG_PmS8_22is_equal_div_10_reduceIfEEE10hipError_tPvRmT2_T3_mT4_T5_T6_T7_T8_P12ihipStream_tbENKUlT_T0_E_clISt17integral_constantIbLb0EES11_EEDaSW_SX_EUlSW_E_NS1_11comp_targetILNS1_3genE0ELNS1_11target_archE4294967295ELNS1_3gpuE0ELNS1_3repE0EEENS1_30default_config_static_selectorELNS0_4arch9wavefront6targetE1EEEvT1_
                                        ; -- End function
	.section	.AMDGPU.csdata,"",@progbits
; Kernel info:
; codeLenInByte = 0
; NumSgprs: 4
; NumVgprs: 0
; NumAgprs: 0
; TotalNumVgprs: 0
; ScratchSize: 0
; MemoryBound: 0
; FloatMode: 240
; IeeeMode: 1
; LDSByteSize: 0 bytes/workgroup (compile time only)
; SGPRBlocks: 0
; VGPRBlocks: 0
; NumSGPRsForWavesPerEU: 4
; NumVGPRsForWavesPerEU: 1
; AccumOffset: 4
; Occupancy: 8
; WaveLimiterHint : 0
; COMPUTE_PGM_RSRC2:SCRATCH_EN: 0
; COMPUTE_PGM_RSRC2:USER_SGPR: 6
; COMPUTE_PGM_RSRC2:TRAP_HANDLER: 0
; COMPUTE_PGM_RSRC2:TGID_X_EN: 1
; COMPUTE_PGM_RSRC2:TGID_Y_EN: 0
; COMPUTE_PGM_RSRC2:TGID_Z_EN: 0
; COMPUTE_PGM_RSRC2:TIDIG_COMP_CNT: 0
; COMPUTE_PGM_RSRC3_GFX90A:ACCUM_OFFSET: 0
; COMPUTE_PGM_RSRC3_GFX90A:TG_SPLIT: 0
	.section	.text._ZN7rocprim17ROCPRIM_400000_NS6detail17trampoline_kernelINS0_14default_configENS1_29reduce_by_key_config_selectorIffN6thrust23THRUST_200600_302600_NS4plusIfEEEEZZNS1_33reduce_by_key_impl_wrapped_configILNS1_25lookback_scan_determinismE1ES3_S9_NS6_6detail15normal_iteratorINS6_10device_ptrIfEEEESG_SG_SG_PmS8_22is_equal_div_10_reduceIfEEE10hipError_tPvRmT2_T3_mT4_T5_T6_T7_T8_P12ihipStream_tbENKUlT_T0_E_clISt17integral_constantIbLb0EES11_EEDaSW_SX_EUlSW_E_NS1_11comp_targetILNS1_3genE5ELNS1_11target_archE942ELNS1_3gpuE9ELNS1_3repE0EEENS1_30default_config_static_selectorELNS0_4arch9wavefront6targetE1EEEvT1_,"axG",@progbits,_ZN7rocprim17ROCPRIM_400000_NS6detail17trampoline_kernelINS0_14default_configENS1_29reduce_by_key_config_selectorIffN6thrust23THRUST_200600_302600_NS4plusIfEEEEZZNS1_33reduce_by_key_impl_wrapped_configILNS1_25lookback_scan_determinismE1ES3_S9_NS6_6detail15normal_iteratorINS6_10device_ptrIfEEEESG_SG_SG_PmS8_22is_equal_div_10_reduceIfEEE10hipError_tPvRmT2_T3_mT4_T5_T6_T7_T8_P12ihipStream_tbENKUlT_T0_E_clISt17integral_constantIbLb0EES11_EEDaSW_SX_EUlSW_E_NS1_11comp_targetILNS1_3genE5ELNS1_11target_archE942ELNS1_3gpuE9ELNS1_3repE0EEENS1_30default_config_static_selectorELNS0_4arch9wavefront6targetE1EEEvT1_,comdat
	.protected	_ZN7rocprim17ROCPRIM_400000_NS6detail17trampoline_kernelINS0_14default_configENS1_29reduce_by_key_config_selectorIffN6thrust23THRUST_200600_302600_NS4plusIfEEEEZZNS1_33reduce_by_key_impl_wrapped_configILNS1_25lookback_scan_determinismE1ES3_S9_NS6_6detail15normal_iteratorINS6_10device_ptrIfEEEESG_SG_SG_PmS8_22is_equal_div_10_reduceIfEEE10hipError_tPvRmT2_T3_mT4_T5_T6_T7_T8_P12ihipStream_tbENKUlT_T0_E_clISt17integral_constantIbLb0EES11_EEDaSW_SX_EUlSW_E_NS1_11comp_targetILNS1_3genE5ELNS1_11target_archE942ELNS1_3gpuE9ELNS1_3repE0EEENS1_30default_config_static_selectorELNS0_4arch9wavefront6targetE1EEEvT1_ ; -- Begin function _ZN7rocprim17ROCPRIM_400000_NS6detail17trampoline_kernelINS0_14default_configENS1_29reduce_by_key_config_selectorIffN6thrust23THRUST_200600_302600_NS4plusIfEEEEZZNS1_33reduce_by_key_impl_wrapped_configILNS1_25lookback_scan_determinismE1ES3_S9_NS6_6detail15normal_iteratorINS6_10device_ptrIfEEEESG_SG_SG_PmS8_22is_equal_div_10_reduceIfEEE10hipError_tPvRmT2_T3_mT4_T5_T6_T7_T8_P12ihipStream_tbENKUlT_T0_E_clISt17integral_constantIbLb0EES11_EEDaSW_SX_EUlSW_E_NS1_11comp_targetILNS1_3genE5ELNS1_11target_archE942ELNS1_3gpuE9ELNS1_3repE0EEENS1_30default_config_static_selectorELNS0_4arch9wavefront6targetE1EEEvT1_
	.globl	_ZN7rocprim17ROCPRIM_400000_NS6detail17trampoline_kernelINS0_14default_configENS1_29reduce_by_key_config_selectorIffN6thrust23THRUST_200600_302600_NS4plusIfEEEEZZNS1_33reduce_by_key_impl_wrapped_configILNS1_25lookback_scan_determinismE1ES3_S9_NS6_6detail15normal_iteratorINS6_10device_ptrIfEEEESG_SG_SG_PmS8_22is_equal_div_10_reduceIfEEE10hipError_tPvRmT2_T3_mT4_T5_T6_T7_T8_P12ihipStream_tbENKUlT_T0_E_clISt17integral_constantIbLb0EES11_EEDaSW_SX_EUlSW_E_NS1_11comp_targetILNS1_3genE5ELNS1_11target_archE942ELNS1_3gpuE9ELNS1_3repE0EEENS1_30default_config_static_selectorELNS0_4arch9wavefront6targetE1EEEvT1_
	.p2align	8
	.type	_ZN7rocprim17ROCPRIM_400000_NS6detail17trampoline_kernelINS0_14default_configENS1_29reduce_by_key_config_selectorIffN6thrust23THRUST_200600_302600_NS4plusIfEEEEZZNS1_33reduce_by_key_impl_wrapped_configILNS1_25lookback_scan_determinismE1ES3_S9_NS6_6detail15normal_iteratorINS6_10device_ptrIfEEEESG_SG_SG_PmS8_22is_equal_div_10_reduceIfEEE10hipError_tPvRmT2_T3_mT4_T5_T6_T7_T8_P12ihipStream_tbENKUlT_T0_E_clISt17integral_constantIbLb0EES11_EEDaSW_SX_EUlSW_E_NS1_11comp_targetILNS1_3genE5ELNS1_11target_archE942ELNS1_3gpuE9ELNS1_3repE0EEENS1_30default_config_static_selectorELNS0_4arch9wavefront6targetE1EEEvT1_,@function
_ZN7rocprim17ROCPRIM_400000_NS6detail17trampoline_kernelINS0_14default_configENS1_29reduce_by_key_config_selectorIffN6thrust23THRUST_200600_302600_NS4plusIfEEEEZZNS1_33reduce_by_key_impl_wrapped_configILNS1_25lookback_scan_determinismE1ES3_S9_NS6_6detail15normal_iteratorINS6_10device_ptrIfEEEESG_SG_SG_PmS8_22is_equal_div_10_reduceIfEEE10hipError_tPvRmT2_T3_mT4_T5_T6_T7_T8_P12ihipStream_tbENKUlT_T0_E_clISt17integral_constantIbLb0EES11_EEDaSW_SX_EUlSW_E_NS1_11comp_targetILNS1_3genE5ELNS1_11target_archE942ELNS1_3gpuE9ELNS1_3repE0EEENS1_30default_config_static_selectorELNS0_4arch9wavefront6targetE1EEEvT1_: ; @_ZN7rocprim17ROCPRIM_400000_NS6detail17trampoline_kernelINS0_14default_configENS1_29reduce_by_key_config_selectorIffN6thrust23THRUST_200600_302600_NS4plusIfEEEEZZNS1_33reduce_by_key_impl_wrapped_configILNS1_25lookback_scan_determinismE1ES3_S9_NS6_6detail15normal_iteratorINS6_10device_ptrIfEEEESG_SG_SG_PmS8_22is_equal_div_10_reduceIfEEE10hipError_tPvRmT2_T3_mT4_T5_T6_T7_T8_P12ihipStream_tbENKUlT_T0_E_clISt17integral_constantIbLb0EES11_EEDaSW_SX_EUlSW_E_NS1_11comp_targetILNS1_3genE5ELNS1_11target_archE942ELNS1_3gpuE9ELNS1_3repE0EEENS1_30default_config_static_selectorELNS0_4arch9wavefront6targetE1EEEvT1_
; %bb.0:
	.section	.rodata,"a",@progbits
	.p2align	6, 0x0
	.amdhsa_kernel _ZN7rocprim17ROCPRIM_400000_NS6detail17trampoline_kernelINS0_14default_configENS1_29reduce_by_key_config_selectorIffN6thrust23THRUST_200600_302600_NS4plusIfEEEEZZNS1_33reduce_by_key_impl_wrapped_configILNS1_25lookback_scan_determinismE1ES3_S9_NS6_6detail15normal_iteratorINS6_10device_ptrIfEEEESG_SG_SG_PmS8_22is_equal_div_10_reduceIfEEE10hipError_tPvRmT2_T3_mT4_T5_T6_T7_T8_P12ihipStream_tbENKUlT_T0_E_clISt17integral_constantIbLb0EES11_EEDaSW_SX_EUlSW_E_NS1_11comp_targetILNS1_3genE5ELNS1_11target_archE942ELNS1_3gpuE9ELNS1_3repE0EEENS1_30default_config_static_selectorELNS0_4arch9wavefront6targetE1EEEvT1_
		.amdhsa_group_segment_fixed_size 0
		.amdhsa_private_segment_fixed_size 0
		.amdhsa_kernarg_size 120
		.amdhsa_user_sgpr_count 6
		.amdhsa_user_sgpr_private_segment_buffer 1
		.amdhsa_user_sgpr_dispatch_ptr 0
		.amdhsa_user_sgpr_queue_ptr 0
		.amdhsa_user_sgpr_kernarg_segment_ptr 1
		.amdhsa_user_sgpr_dispatch_id 0
		.amdhsa_user_sgpr_flat_scratch_init 0
		.amdhsa_user_sgpr_kernarg_preload_length 0
		.amdhsa_user_sgpr_kernarg_preload_offset 0
		.amdhsa_user_sgpr_private_segment_size 0
		.amdhsa_uses_dynamic_stack 0
		.amdhsa_system_sgpr_private_segment_wavefront_offset 0
		.amdhsa_system_sgpr_workgroup_id_x 1
		.amdhsa_system_sgpr_workgroup_id_y 0
		.amdhsa_system_sgpr_workgroup_id_z 0
		.amdhsa_system_sgpr_workgroup_info 0
		.amdhsa_system_vgpr_workitem_id 0
		.amdhsa_next_free_vgpr 1
		.amdhsa_next_free_sgpr 0
		.amdhsa_accum_offset 4
		.amdhsa_reserve_vcc 0
		.amdhsa_reserve_flat_scratch 0
		.amdhsa_float_round_mode_32 0
		.amdhsa_float_round_mode_16_64 0
		.amdhsa_float_denorm_mode_32 3
		.amdhsa_float_denorm_mode_16_64 3
		.amdhsa_dx10_clamp 1
		.amdhsa_ieee_mode 1
		.amdhsa_fp16_overflow 0
		.amdhsa_tg_split 0
		.amdhsa_exception_fp_ieee_invalid_op 0
		.amdhsa_exception_fp_denorm_src 0
		.amdhsa_exception_fp_ieee_div_zero 0
		.amdhsa_exception_fp_ieee_overflow 0
		.amdhsa_exception_fp_ieee_underflow 0
		.amdhsa_exception_fp_ieee_inexact 0
		.amdhsa_exception_int_div_zero 0
	.end_amdhsa_kernel
	.section	.text._ZN7rocprim17ROCPRIM_400000_NS6detail17trampoline_kernelINS0_14default_configENS1_29reduce_by_key_config_selectorIffN6thrust23THRUST_200600_302600_NS4plusIfEEEEZZNS1_33reduce_by_key_impl_wrapped_configILNS1_25lookback_scan_determinismE1ES3_S9_NS6_6detail15normal_iteratorINS6_10device_ptrIfEEEESG_SG_SG_PmS8_22is_equal_div_10_reduceIfEEE10hipError_tPvRmT2_T3_mT4_T5_T6_T7_T8_P12ihipStream_tbENKUlT_T0_E_clISt17integral_constantIbLb0EES11_EEDaSW_SX_EUlSW_E_NS1_11comp_targetILNS1_3genE5ELNS1_11target_archE942ELNS1_3gpuE9ELNS1_3repE0EEENS1_30default_config_static_selectorELNS0_4arch9wavefront6targetE1EEEvT1_,"axG",@progbits,_ZN7rocprim17ROCPRIM_400000_NS6detail17trampoline_kernelINS0_14default_configENS1_29reduce_by_key_config_selectorIffN6thrust23THRUST_200600_302600_NS4plusIfEEEEZZNS1_33reduce_by_key_impl_wrapped_configILNS1_25lookback_scan_determinismE1ES3_S9_NS6_6detail15normal_iteratorINS6_10device_ptrIfEEEESG_SG_SG_PmS8_22is_equal_div_10_reduceIfEEE10hipError_tPvRmT2_T3_mT4_T5_T6_T7_T8_P12ihipStream_tbENKUlT_T0_E_clISt17integral_constantIbLb0EES11_EEDaSW_SX_EUlSW_E_NS1_11comp_targetILNS1_3genE5ELNS1_11target_archE942ELNS1_3gpuE9ELNS1_3repE0EEENS1_30default_config_static_selectorELNS0_4arch9wavefront6targetE1EEEvT1_,comdat
.Lfunc_end129:
	.size	_ZN7rocprim17ROCPRIM_400000_NS6detail17trampoline_kernelINS0_14default_configENS1_29reduce_by_key_config_selectorIffN6thrust23THRUST_200600_302600_NS4plusIfEEEEZZNS1_33reduce_by_key_impl_wrapped_configILNS1_25lookback_scan_determinismE1ES3_S9_NS6_6detail15normal_iteratorINS6_10device_ptrIfEEEESG_SG_SG_PmS8_22is_equal_div_10_reduceIfEEE10hipError_tPvRmT2_T3_mT4_T5_T6_T7_T8_P12ihipStream_tbENKUlT_T0_E_clISt17integral_constantIbLb0EES11_EEDaSW_SX_EUlSW_E_NS1_11comp_targetILNS1_3genE5ELNS1_11target_archE942ELNS1_3gpuE9ELNS1_3repE0EEENS1_30default_config_static_selectorELNS0_4arch9wavefront6targetE1EEEvT1_, .Lfunc_end129-_ZN7rocprim17ROCPRIM_400000_NS6detail17trampoline_kernelINS0_14default_configENS1_29reduce_by_key_config_selectorIffN6thrust23THRUST_200600_302600_NS4plusIfEEEEZZNS1_33reduce_by_key_impl_wrapped_configILNS1_25lookback_scan_determinismE1ES3_S9_NS6_6detail15normal_iteratorINS6_10device_ptrIfEEEESG_SG_SG_PmS8_22is_equal_div_10_reduceIfEEE10hipError_tPvRmT2_T3_mT4_T5_T6_T7_T8_P12ihipStream_tbENKUlT_T0_E_clISt17integral_constantIbLb0EES11_EEDaSW_SX_EUlSW_E_NS1_11comp_targetILNS1_3genE5ELNS1_11target_archE942ELNS1_3gpuE9ELNS1_3repE0EEENS1_30default_config_static_selectorELNS0_4arch9wavefront6targetE1EEEvT1_
                                        ; -- End function
	.section	.AMDGPU.csdata,"",@progbits
; Kernel info:
; codeLenInByte = 0
; NumSgprs: 4
; NumVgprs: 0
; NumAgprs: 0
; TotalNumVgprs: 0
; ScratchSize: 0
; MemoryBound: 0
; FloatMode: 240
; IeeeMode: 1
; LDSByteSize: 0 bytes/workgroup (compile time only)
; SGPRBlocks: 0
; VGPRBlocks: 0
; NumSGPRsForWavesPerEU: 4
; NumVGPRsForWavesPerEU: 1
; AccumOffset: 4
; Occupancy: 8
; WaveLimiterHint : 0
; COMPUTE_PGM_RSRC2:SCRATCH_EN: 0
; COMPUTE_PGM_RSRC2:USER_SGPR: 6
; COMPUTE_PGM_RSRC2:TRAP_HANDLER: 0
; COMPUTE_PGM_RSRC2:TGID_X_EN: 1
; COMPUTE_PGM_RSRC2:TGID_Y_EN: 0
; COMPUTE_PGM_RSRC2:TGID_Z_EN: 0
; COMPUTE_PGM_RSRC2:TIDIG_COMP_CNT: 0
; COMPUTE_PGM_RSRC3_GFX90A:ACCUM_OFFSET: 0
; COMPUTE_PGM_RSRC3_GFX90A:TG_SPLIT: 0
	.section	.text._ZN7rocprim17ROCPRIM_400000_NS6detail17trampoline_kernelINS0_14default_configENS1_29reduce_by_key_config_selectorIffN6thrust23THRUST_200600_302600_NS4plusIfEEEEZZNS1_33reduce_by_key_impl_wrapped_configILNS1_25lookback_scan_determinismE1ES3_S9_NS6_6detail15normal_iteratorINS6_10device_ptrIfEEEESG_SG_SG_PmS8_22is_equal_div_10_reduceIfEEE10hipError_tPvRmT2_T3_mT4_T5_T6_T7_T8_P12ihipStream_tbENKUlT_T0_E_clISt17integral_constantIbLb0EES11_EEDaSW_SX_EUlSW_E_NS1_11comp_targetILNS1_3genE4ELNS1_11target_archE910ELNS1_3gpuE8ELNS1_3repE0EEENS1_30default_config_static_selectorELNS0_4arch9wavefront6targetE1EEEvT1_,"axG",@progbits,_ZN7rocprim17ROCPRIM_400000_NS6detail17trampoline_kernelINS0_14default_configENS1_29reduce_by_key_config_selectorIffN6thrust23THRUST_200600_302600_NS4plusIfEEEEZZNS1_33reduce_by_key_impl_wrapped_configILNS1_25lookback_scan_determinismE1ES3_S9_NS6_6detail15normal_iteratorINS6_10device_ptrIfEEEESG_SG_SG_PmS8_22is_equal_div_10_reduceIfEEE10hipError_tPvRmT2_T3_mT4_T5_T6_T7_T8_P12ihipStream_tbENKUlT_T0_E_clISt17integral_constantIbLb0EES11_EEDaSW_SX_EUlSW_E_NS1_11comp_targetILNS1_3genE4ELNS1_11target_archE910ELNS1_3gpuE8ELNS1_3repE0EEENS1_30default_config_static_selectorELNS0_4arch9wavefront6targetE1EEEvT1_,comdat
	.protected	_ZN7rocprim17ROCPRIM_400000_NS6detail17trampoline_kernelINS0_14default_configENS1_29reduce_by_key_config_selectorIffN6thrust23THRUST_200600_302600_NS4plusIfEEEEZZNS1_33reduce_by_key_impl_wrapped_configILNS1_25lookback_scan_determinismE1ES3_S9_NS6_6detail15normal_iteratorINS6_10device_ptrIfEEEESG_SG_SG_PmS8_22is_equal_div_10_reduceIfEEE10hipError_tPvRmT2_T3_mT4_T5_T6_T7_T8_P12ihipStream_tbENKUlT_T0_E_clISt17integral_constantIbLb0EES11_EEDaSW_SX_EUlSW_E_NS1_11comp_targetILNS1_3genE4ELNS1_11target_archE910ELNS1_3gpuE8ELNS1_3repE0EEENS1_30default_config_static_selectorELNS0_4arch9wavefront6targetE1EEEvT1_ ; -- Begin function _ZN7rocprim17ROCPRIM_400000_NS6detail17trampoline_kernelINS0_14default_configENS1_29reduce_by_key_config_selectorIffN6thrust23THRUST_200600_302600_NS4plusIfEEEEZZNS1_33reduce_by_key_impl_wrapped_configILNS1_25lookback_scan_determinismE1ES3_S9_NS6_6detail15normal_iteratorINS6_10device_ptrIfEEEESG_SG_SG_PmS8_22is_equal_div_10_reduceIfEEE10hipError_tPvRmT2_T3_mT4_T5_T6_T7_T8_P12ihipStream_tbENKUlT_T0_E_clISt17integral_constantIbLb0EES11_EEDaSW_SX_EUlSW_E_NS1_11comp_targetILNS1_3genE4ELNS1_11target_archE910ELNS1_3gpuE8ELNS1_3repE0EEENS1_30default_config_static_selectorELNS0_4arch9wavefront6targetE1EEEvT1_
	.globl	_ZN7rocprim17ROCPRIM_400000_NS6detail17trampoline_kernelINS0_14default_configENS1_29reduce_by_key_config_selectorIffN6thrust23THRUST_200600_302600_NS4plusIfEEEEZZNS1_33reduce_by_key_impl_wrapped_configILNS1_25lookback_scan_determinismE1ES3_S9_NS6_6detail15normal_iteratorINS6_10device_ptrIfEEEESG_SG_SG_PmS8_22is_equal_div_10_reduceIfEEE10hipError_tPvRmT2_T3_mT4_T5_T6_T7_T8_P12ihipStream_tbENKUlT_T0_E_clISt17integral_constantIbLb0EES11_EEDaSW_SX_EUlSW_E_NS1_11comp_targetILNS1_3genE4ELNS1_11target_archE910ELNS1_3gpuE8ELNS1_3repE0EEENS1_30default_config_static_selectorELNS0_4arch9wavefront6targetE1EEEvT1_
	.p2align	8
	.type	_ZN7rocprim17ROCPRIM_400000_NS6detail17trampoline_kernelINS0_14default_configENS1_29reduce_by_key_config_selectorIffN6thrust23THRUST_200600_302600_NS4plusIfEEEEZZNS1_33reduce_by_key_impl_wrapped_configILNS1_25lookback_scan_determinismE1ES3_S9_NS6_6detail15normal_iteratorINS6_10device_ptrIfEEEESG_SG_SG_PmS8_22is_equal_div_10_reduceIfEEE10hipError_tPvRmT2_T3_mT4_T5_T6_T7_T8_P12ihipStream_tbENKUlT_T0_E_clISt17integral_constantIbLb0EES11_EEDaSW_SX_EUlSW_E_NS1_11comp_targetILNS1_3genE4ELNS1_11target_archE910ELNS1_3gpuE8ELNS1_3repE0EEENS1_30default_config_static_selectorELNS0_4arch9wavefront6targetE1EEEvT1_,@function
_ZN7rocprim17ROCPRIM_400000_NS6detail17trampoline_kernelINS0_14default_configENS1_29reduce_by_key_config_selectorIffN6thrust23THRUST_200600_302600_NS4plusIfEEEEZZNS1_33reduce_by_key_impl_wrapped_configILNS1_25lookback_scan_determinismE1ES3_S9_NS6_6detail15normal_iteratorINS6_10device_ptrIfEEEESG_SG_SG_PmS8_22is_equal_div_10_reduceIfEEE10hipError_tPvRmT2_T3_mT4_T5_T6_T7_T8_P12ihipStream_tbENKUlT_T0_E_clISt17integral_constantIbLb0EES11_EEDaSW_SX_EUlSW_E_NS1_11comp_targetILNS1_3genE4ELNS1_11target_archE910ELNS1_3gpuE8ELNS1_3repE0EEENS1_30default_config_static_selectorELNS0_4arch9wavefront6targetE1EEEvT1_: ; @_ZN7rocprim17ROCPRIM_400000_NS6detail17trampoline_kernelINS0_14default_configENS1_29reduce_by_key_config_selectorIffN6thrust23THRUST_200600_302600_NS4plusIfEEEEZZNS1_33reduce_by_key_impl_wrapped_configILNS1_25lookback_scan_determinismE1ES3_S9_NS6_6detail15normal_iteratorINS6_10device_ptrIfEEEESG_SG_SG_PmS8_22is_equal_div_10_reduceIfEEE10hipError_tPvRmT2_T3_mT4_T5_T6_T7_T8_P12ihipStream_tbENKUlT_T0_E_clISt17integral_constantIbLb0EES11_EEDaSW_SX_EUlSW_E_NS1_11comp_targetILNS1_3genE4ELNS1_11target_archE910ELNS1_3gpuE8ELNS1_3repE0EEENS1_30default_config_static_selectorELNS0_4arch9wavefront6targetE1EEEvT1_
; %bb.0:
	s_add_u32 flat_scratch_lo, s6, s9
	s_addc_u32 flat_scratch_hi, s7, 0
	s_add_u32 s0, s0, s9
	s_load_dwordx8 s[36:43], s[4:5], 0x0
	s_load_dwordx4 s[52:55], s[4:5], 0x20
	s_load_dwordx8 s[44:51], s[4:5], 0x38
	s_load_dwordx2 s[60:61], s[4:5], 0x68
	s_load_dwordx4 s[56:59], s[4:5], 0x58
	s_addc_u32 s1, s1, 0
	s_waitcnt lgkmcnt(0)
	s_lshl_b64 s[4:5], s[38:39], 2
	s_add_u32 s6, s36, s4
	s_addc_u32 s7, s37, s5
	s_add_u32 s10, s40, s4
	s_addc_u32 s11, s41, s5
	s_mul_i32 s4, s48, s47
	s_mul_hi_u32 s5, s48, s46
	s_add_i32 s4, s5, s4
	s_mul_i32 s5, s49, s46
	s_add_i32 s12, s4, s5
	s_mul_i32 s4, s8, 0xf00
	s_mov_b32 s5, 0
	s_lshl_b64 s[4:5], s[4:5], 2
	s_add_u32 s9, s6, s4
	s_addc_u32 s62, s7, s5
	s_add_u32 s63, s10, s4
	s_mul_i32 s13, s48, s46
	s_addc_u32 s64, s11, s5
	s_add_u32 s48, s13, s8
	s_addc_u32 s49, s12, 0
	s_add_u32 s6, s50, -1
	s_addc_u32 s7, s51, -1
	s_cmp_eq_u64 s[48:49], s[6:7]
	s_cselect_b64 s[38:39], -1, 0
	s_cmp_lg_u64 s[48:49], s[6:7]
	s_mov_b64 s[4:5], -1
	s_cselect_b64 s[50:51], -1, 0
	s_mul_i32 s33, s6, 0xfffff100
	s_and_b64 vcc, exec, s[38:39]
	s_cbranch_vccnz .LBB130_2
; %bb.1:
	v_lshlrev_b32_e32 v26, 2, v0
	v_mov_b32_e32 v1, s62
	v_add_co_u32_e32 v2, vcc, s9, v26
	v_addc_co_u32_e32 v3, vcc, 0, v1, vcc
	v_add_co_u32_e32 v4, vcc, 0x1000, v2
	v_addc_co_u32_e32 v5, vcc, 0, v3, vcc
	flat_load_dword v1, v[2:3]
	flat_load_dword v12, v[2:3] offset:1024
	flat_load_dword v13, v[2:3] offset:2048
	flat_load_dword v14, v[2:3] offset:3072
	flat_load_dword v15, v[4:5]
	flat_load_dword v16, v[4:5] offset:1024
	flat_load_dword v17, v[4:5] offset:2048
	;; [unrolled: 1-line block ×3, first 2 shown]
	v_add_co_u32_e32 v4, vcc, 0x2000, v2
	v_addc_co_u32_e32 v5, vcc, 0, v3, vcc
	v_add_co_u32_e32 v2, vcc, 0x3000, v2
	v_addc_co_u32_e32 v3, vcc, 0, v3, vcc
	flat_load_dword v19, v[4:5]
	flat_load_dword v20, v[4:5] offset:1024
	flat_load_dword v21, v[4:5] offset:2048
	;; [unrolled: 1-line block ×3, first 2 shown]
	flat_load_dword v23, v[2:3]
	flat_load_dword v24, v[2:3] offset:1024
	flat_load_dword v25, v[2:3] offset:2048
	v_mov_b32_e32 v3, s64
	v_add_co_u32_e32 v4, vcc, s63, v26
	s_movk_i32 s4, 0x1000
	v_addc_co_u32_e32 v5, vcc, 0, v3, vcc
	v_add_co_u32_e32 v6, vcc, s4, v4
	s_movk_i32 s5, 0x2000
	v_addc_co_u32_e32 v7, vcc, 0, v5, vcc
	;; [unrolled: 3-line block ×3, first 2 shown]
	v_mad_u32_u24 v2, v0, 56, v26
	v_add_co_u32_e32 v10, vcc, s6, v4
	v_addc_co_u32_e32 v11, vcc, 0, v5, vcc
	s_waitcnt vmcnt(0) lgkmcnt(0)
	ds_write2st64_b32 v26, v1, v12 offset1:4
	ds_write2st64_b32 v26, v13, v14 offset0:8 offset1:12
	ds_write2st64_b32 v26, v15, v16 offset0:16 offset1:20
	;; [unrolled: 1-line block ×6, first 2 shown]
	ds_write_b32 v26, v25 offset:14336
	s_waitcnt lgkmcnt(0)
	s_barrier
	ds_read2_b32 v[24:25], v2 offset1:1
	ds_read2_b32 v[22:23], v2 offset0:2 offset1:3
	ds_read2_b32 v[20:21], v2 offset0:4 offset1:5
	;; [unrolled: 1-line block ×6, first 2 shown]
	ds_read_b32 v1, v2 offset:56
	s_waitcnt lgkmcnt(0)
	s_barrier
	flat_load_dword v3, v[4:5]
	flat_load_dword v27, v[4:5] offset:1024
	flat_load_dword v28, v[4:5] offset:2048
	flat_load_dword v29, v[4:5] offset:3072
	flat_load_dword v30, v[6:7]
	flat_load_dword v31, v[6:7] offset:1024
	flat_load_dword v32, v[6:7] offset:2048
	flat_load_dword v33, v[6:7] offset:3072
	;; [unrolled: 4-line block ×3, first 2 shown]
	flat_load_dword v38, v[10:11]
	flat_load_dword v39, v[10:11] offset:1024
	flat_load_dword v40, v[10:11] offset:2048
	v_mul_u32_u24_e32 v8, 15, v0
	s_waitcnt vmcnt(0) lgkmcnt(0)
	ds_write2st64_b32 v26, v3, v27 offset1:4
	ds_write2st64_b32 v26, v28, v29 offset0:8 offset1:12
	ds_write2st64_b32 v26, v30, v31 offset0:16 offset1:20
	;; [unrolled: 1-line block ×6, first 2 shown]
	ds_write_b32 v26, v40 offset:14336
	s_waitcnt lgkmcnt(0)
	s_barrier
	s_add_i32 s33, s33, s56
	s_cbranch_execz .LBB130_3
	s_branch .LBB130_50
.LBB130_2:
                                        ; implicit-def: $vgpr12_vgpr13
                                        ; implicit-def: $vgpr14_vgpr15
                                        ; implicit-def: $vgpr16_vgpr17
                                        ; implicit-def: $vgpr18_vgpr19
                                        ; implicit-def: $vgpr20_vgpr21
                                        ; implicit-def: $vgpr22_vgpr23
                                        ; implicit-def: $vgpr24_vgpr25
                                        ; implicit-def: $vgpr8
                                        ; implicit-def: $vgpr2
                                        ; implicit-def: $vgpr1
	s_andn2_b64 vcc, exec, s[4:5]
	s_add_i32 s33, s33, s56
	s_cbranch_vccnz .LBB130_50
.LBB130_3:
	v_cmp_gt_u32_e32 vcc, s33, v0
                                        ; implicit-def: $vgpr1
	s_and_saveexec_b64 s[6:7], vcc
	s_cbranch_execz .LBB130_5
; %bb.4:
	v_lshlrev_b32_e32 v1, 2, v0
	v_mov_b32_e32 v3, s62
	v_add_co_u32_e64 v2, s[4:5], s9, v1
	v_addc_co_u32_e64 v3, s[4:5], 0, v3, s[4:5]
	flat_load_dword v1, v[2:3]
.LBB130_5:
	s_or_b64 exec, exec, s[6:7]
	v_or_b32_e32 v2, 0x100, v0
	v_cmp_gt_u32_e64 s[4:5], s33, v2
                                        ; implicit-def: $vgpr2
	s_and_saveexec_b64 s[10:11], s[4:5]
	s_cbranch_execz .LBB130_7
; %bb.6:
	v_lshlrev_b32_e32 v2, 2, v0
	v_mov_b32_e32 v3, s62
	v_add_co_u32_e64 v2, s[6:7], s9, v2
	v_addc_co_u32_e64 v3, s[6:7], 0, v3, s[6:7]
	flat_load_dword v2, v[2:3] offset:1024
.LBB130_7:
	s_or_b64 exec, exec, s[10:11]
	v_or_b32_e32 v3, 0x200, v0
	v_cmp_gt_u32_e64 s[6:7], s33, v3
                                        ; implicit-def: $vgpr12
	s_and_saveexec_b64 s[12:13], s[6:7]
	s_cbranch_execz .LBB130_9
; %bb.8:
	v_lshlrev_b32_e32 v3, 2, v0
	v_mov_b32_e32 v5, s62
	v_add_co_u32_e64 v4, s[10:11], s9, v3
	v_addc_co_u32_e64 v5, s[10:11], 0, v5, s[10:11]
	flat_load_dword v12, v[4:5] offset:2048
.LBB130_9:
	s_or_b64 exec, exec, s[12:13]
	v_or_b32_e32 v3, 0x300, v0
	v_cmp_gt_u32_e64 s[34:35], s33, v3
                                        ; implicit-def: $vgpr13
	s_and_saveexec_b64 s[12:13], s[34:35]
	s_cbranch_execz .LBB130_11
; %bb.10:
	v_lshlrev_b32_e32 v3, 2, v0
	v_mov_b32_e32 v5, s62
	v_add_co_u32_e64 v4, s[10:11], s9, v3
	v_addc_co_u32_e64 v5, s[10:11], 0, v5, s[10:11]
	flat_load_dword v13, v[4:5] offset:3072
.LBB130_11:
	s_or_b64 exec, exec, s[12:13]
	v_or_b32_e32 v3, 0x400, v0
	v_cmp_gt_u32_e64 s[10:11], s33, v3
                                        ; implicit-def: $vgpr14
	s_and_saveexec_b64 s[14:15], s[10:11]
	s_cbranch_execz .LBB130_13
; %bb.12:
	v_lshlrev_b32_e32 v4, 2, v3
	v_mov_b32_e32 v5, s62
	v_add_co_u32_e64 v4, s[12:13], s9, v4
	v_addc_co_u32_e64 v5, s[12:13], 0, v5, s[12:13]
	flat_load_dword v14, v[4:5]
.LBB130_13:
	s_or_b64 exec, exec, s[14:15]
	v_or_b32_e32 v4, 0x500, v0
	v_cmp_gt_u32_e64 s[12:13], s33, v4
                                        ; implicit-def: $vgpr15
	s_and_saveexec_b64 s[16:17], s[12:13]
	s_cbranch_execz .LBB130_15
; %bb.14:
	v_lshlrev_b32_e32 v5, 2, v4
	v_mov_b32_e32 v7, s62
	v_add_co_u32_e64 v6, s[14:15], s9, v5
	v_addc_co_u32_e64 v7, s[14:15], 0, v7, s[14:15]
	flat_load_dword v15, v[6:7]
.LBB130_15:
	s_or_b64 exec, exec, s[16:17]
	v_or_b32_e32 v5, 0x600, v0
	v_cmp_gt_u32_e64 s[14:15], s33, v5
                                        ; implicit-def: $vgpr16
	s_and_saveexec_b64 s[18:19], s[14:15]
	s_cbranch_execz .LBB130_17
; %bb.16:
	v_lshlrev_b32_e32 v6, 2, v5
	v_mov_b32_e32 v7, s62
	v_add_co_u32_e64 v6, s[16:17], s9, v6
	v_addc_co_u32_e64 v7, s[16:17], 0, v7, s[16:17]
	flat_load_dword v16, v[6:7]
.LBB130_17:
	s_or_b64 exec, exec, s[18:19]
	v_or_b32_e32 v6, 0x700, v0
	v_cmp_gt_u32_e64 s[16:17], s33, v6
                                        ; implicit-def: $vgpr17
	s_and_saveexec_b64 s[20:21], s[16:17]
	s_cbranch_execz .LBB130_19
; %bb.18:
	v_lshlrev_b32_e32 v7, 2, v6
	v_mov_b32_e32 v9, s62
	v_add_co_u32_e64 v8, s[18:19], s9, v7
	v_addc_co_u32_e64 v9, s[18:19], 0, v9, s[18:19]
	flat_load_dword v17, v[8:9]
.LBB130_19:
	s_or_b64 exec, exec, s[20:21]
	v_or_b32_e32 v7, 0x800, v0
	v_cmp_gt_u32_e64 s[18:19], s33, v7
                                        ; implicit-def: $vgpr18
	s_and_saveexec_b64 s[22:23], s[18:19]
	s_cbranch_execz .LBB130_21
; %bb.20:
	v_lshlrev_b32_e32 v8, 2, v7
	v_mov_b32_e32 v9, s62
	v_add_co_u32_e64 v8, s[20:21], s9, v8
	v_addc_co_u32_e64 v9, s[20:21], 0, v9, s[20:21]
	flat_load_dword v18, v[8:9]
.LBB130_21:
	s_or_b64 exec, exec, s[22:23]
	v_or_b32_e32 v8, 0x900, v0
	v_cmp_gt_u32_e64 s[20:21], s33, v8
                                        ; implicit-def: $vgpr19
	s_and_saveexec_b64 s[24:25], s[20:21]
	s_cbranch_execz .LBB130_23
; %bb.22:
	v_lshlrev_b32_e32 v9, 2, v8
	v_mov_b32_e32 v11, s62
	v_add_co_u32_e64 v10, s[22:23], s9, v9
	v_addc_co_u32_e64 v11, s[22:23], 0, v11, s[22:23]
	flat_load_dword v19, v[10:11]
.LBB130_23:
	s_or_b64 exec, exec, s[24:25]
	v_or_b32_e32 v9, 0xa00, v0
	v_cmp_gt_u32_e64 s[22:23], s33, v9
                                        ; implicit-def: $vgpr20
	s_and_saveexec_b64 s[26:27], s[22:23]
	s_cbranch_execz .LBB130_25
; %bb.24:
	v_lshlrev_b32_e32 v10, 2, v9
	v_mov_b32_e32 v11, s62
	v_add_co_u32_e64 v10, s[24:25], s9, v10
	v_addc_co_u32_e64 v11, s[24:25], 0, v11, s[24:25]
	flat_load_dword v20, v[10:11]
.LBB130_25:
	s_or_b64 exec, exec, s[26:27]
	v_or_b32_e32 v10, 0xb00, v0
	v_cmp_gt_u32_e64 s[24:25], s33, v10
                                        ; implicit-def: $vgpr21
	s_and_saveexec_b64 s[28:29], s[24:25]
	s_cbranch_execz .LBB130_27
; %bb.26:
	v_lshlrev_b32_e32 v11, 2, v10
	v_mov_b32_e32 v21, s62
	v_add_co_u32_e64 v22, s[26:27], s9, v11
	v_addc_co_u32_e64 v23, s[26:27], 0, v21, s[26:27]
	flat_load_dword v21, v[22:23]
.LBB130_27:
	s_or_b64 exec, exec, s[28:29]
	v_or_b32_e32 v11, 0xc00, v0
	v_cmp_gt_u32_e64 s[26:27], s33, v11
                                        ; implicit-def: $vgpr22
	s_and_saveexec_b64 s[30:31], s[26:27]
	s_cbranch_execz .LBB130_29
; %bb.28:
	v_lshlrev_b32_e32 v22, 2, v11
	v_mov_b32_e32 v23, s62
	v_add_co_u32_e64 v22, s[28:29], s9, v22
	v_addc_co_u32_e64 v23, s[28:29], 0, v23, s[28:29]
	flat_load_dword v22, v[22:23]
.LBB130_29:
	s_or_b64 exec, exec, s[30:31]
	v_or_b32_e32 v26, 0xd00, v0
	v_cmp_gt_u32_e64 s[28:29], s33, v26
                                        ; implicit-def: $vgpr23
	s_and_saveexec_b64 s[36:37], s[28:29]
	s_cbranch_execz .LBB130_31
; %bb.30:
	v_lshlrev_b32_e32 v23, 2, v26
	v_mov_b32_e32 v25, s62
	v_add_co_u32_e64 v24, s[30:31], s9, v23
	v_addc_co_u32_e64 v25, s[30:31], 0, v25, s[30:31]
	flat_load_dword v23, v[24:25]
.LBB130_31:
	s_or_b64 exec, exec, s[36:37]
	v_or_b32_e32 v27, 0xe00, v0
	v_cmp_gt_u32_e64 s[30:31], s33, v27
                                        ; implicit-def: $vgpr24
	s_and_saveexec_b64 s[40:41], s[30:31]
	s_cbranch_execz .LBB130_33
; %bb.32:
	v_lshlrev_b32_e32 v24, 2, v27
	v_mov_b32_e32 v25, s62
	v_add_co_u32_e64 v24, s[36:37], s9, v24
	v_addc_co_u32_e64 v25, s[36:37], 0, v25, s[36:37]
	flat_load_dword v24, v[24:25]
.LBB130_33:
	s_or_b64 exec, exec, s[40:41]
	v_lshlrev_b32_e32 v28, 2, v0
	s_waitcnt vmcnt(0) lgkmcnt(0)
	ds_write2st64_b32 v28, v1, v2 offset1:4
	ds_write2st64_b32 v28, v12, v13 offset0:8 offset1:12
	ds_write2st64_b32 v28, v14, v15 offset0:16 offset1:20
	;; [unrolled: 1-line block ×6, first 2 shown]
	ds_write_b32 v28, v24 offset:14336
	v_mad_u32_u24 v2, v0, 56, v28
	s_waitcnt lgkmcnt(0)
	s_barrier
	ds_read2_b32 v[24:25], v2 offset1:1
	ds_read2_b32 v[22:23], v2 offset0:2 offset1:3
	ds_read2_b32 v[20:21], v2 offset0:4 offset1:5
	;; [unrolled: 1-line block ×6, first 2 shown]
	ds_read_b32 v1, v2 offset:56
	s_waitcnt lgkmcnt(0)
	s_barrier
	s_waitcnt lgkmcnt(0)
                                        ; implicit-def: $vgpr29
	s_and_saveexec_b64 s[36:37], vcc
	s_cbranch_execz .LBB130_56
; %bb.34:
	v_mov_b32_e32 v29, s64
	v_add_co_u32_e32 v30, vcc, s63, v28
	v_addc_co_u32_e32 v31, vcc, 0, v29, vcc
	flat_load_dword v29, v[30:31]
	s_or_b64 exec, exec, s[36:37]
                                        ; implicit-def: $vgpr30
	s_and_saveexec_b64 s[36:37], s[4:5]
	s_cbranch_execnz .LBB130_57
.LBB130_35:
	s_or_b64 exec, exec, s[36:37]
                                        ; implicit-def: $vgpr31
	s_and_saveexec_b64 s[4:5], s[6:7]
	s_cbranch_execz .LBB130_58
.LBB130_36:
	v_mov_b32_e32 v31, s64
	v_add_co_u32_e32 v32, vcc, s63, v28
	v_addc_co_u32_e32 v33, vcc, 0, v31, vcc
	flat_load_dword v31, v[32:33] offset:2048
	s_or_b64 exec, exec, s[4:5]
                                        ; implicit-def: $vgpr32
	s_and_saveexec_b64 s[4:5], s[34:35]
	s_cbranch_execnz .LBB130_59
.LBB130_37:
	s_or_b64 exec, exec, s[4:5]
                                        ; implicit-def: $vgpr33
	s_and_saveexec_b64 s[4:5], s[10:11]
	s_cbranch_execz .LBB130_60
.LBB130_38:
	v_lshlrev_b32_e32 v3, 2, v3
	v_mov_b32_e32 v33, s64
	v_add_co_u32_e32 v34, vcc, s63, v3
	v_addc_co_u32_e32 v35, vcc, 0, v33, vcc
	flat_load_dword v33, v[34:35]
	s_or_b64 exec, exec, s[4:5]
                                        ; implicit-def: $vgpr3
	s_and_saveexec_b64 s[4:5], s[12:13]
	s_cbranch_execnz .LBB130_61
.LBB130_39:
	s_or_b64 exec, exec, s[4:5]
                                        ; implicit-def: $vgpr4
	s_and_saveexec_b64 s[4:5], s[14:15]
	s_cbranch_execz .LBB130_62
.LBB130_40:
	v_lshlrev_b32_e32 v4, 2, v5
	v_mov_b32_e32 v5, s64
	v_add_co_u32_e32 v4, vcc, s63, v4
	v_addc_co_u32_e32 v5, vcc, 0, v5, vcc
	flat_load_dword v4, v[4:5]
	s_or_b64 exec, exec, s[4:5]
                                        ; implicit-def: $vgpr5
	s_and_saveexec_b64 s[4:5], s[16:17]
	s_cbranch_execnz .LBB130_63
.LBB130_41:
	s_or_b64 exec, exec, s[4:5]
                                        ; implicit-def: $vgpr6
	s_and_saveexec_b64 s[4:5], s[18:19]
	s_cbranch_execz .LBB130_64
.LBB130_42:
	v_lshlrev_b32_e32 v6, 2, v7
	v_mov_b32_e32 v7, s64
	v_add_co_u32_e32 v6, vcc, s63, v6
	v_addc_co_u32_e32 v7, vcc, 0, v7, vcc
	flat_load_dword v6, v[6:7]
	s_or_b64 exec, exec, s[4:5]
                                        ; implicit-def: $vgpr7
	s_and_saveexec_b64 s[4:5], s[20:21]
	s_cbranch_execnz .LBB130_65
.LBB130_43:
	s_or_b64 exec, exec, s[4:5]
                                        ; implicit-def: $vgpr34
	s_and_saveexec_b64 s[4:5], s[22:23]
	s_cbranch_execz .LBB130_66
.LBB130_44:
	v_lshlrev_b32_e32 v8, 2, v9
	v_mov_b32_e32 v9, s64
	v_add_co_u32_e32 v8, vcc, s63, v8
	v_addc_co_u32_e32 v9, vcc, 0, v9, vcc
	flat_load_dword v34, v[8:9]
	s_or_b64 exec, exec, s[4:5]
                                        ; implicit-def: $vgpr9
	s_and_saveexec_b64 s[4:5], s[24:25]
	s_cbranch_execnz .LBB130_67
.LBB130_45:
	s_or_b64 exec, exec, s[4:5]
                                        ; implicit-def: $vgpr10
	s_and_saveexec_b64 s[4:5], s[26:27]
	s_cbranch_execz .LBB130_68
.LBB130_46:
	v_lshlrev_b32_e32 v8, 2, v11
	v_mov_b32_e32 v11, s64
	v_add_co_u32_e32 v10, vcc, s63, v8
	v_addc_co_u32_e32 v11, vcc, 0, v11, vcc
	flat_load_dword v10, v[10:11]
	s_or_b64 exec, exec, s[4:5]
                                        ; implicit-def: $vgpr11
	s_and_saveexec_b64 s[4:5], s[28:29]
	s_cbranch_execnz .LBB130_69
.LBB130_47:
	s_or_b64 exec, exec, s[4:5]
                                        ; implicit-def: $vgpr26
	s_and_saveexec_b64 s[4:5], s[30:31]
	s_cbranch_execz .LBB130_49
.LBB130_48:
	v_lshlrev_b32_e32 v8, 2, v27
	v_mov_b32_e32 v27, s64
	v_add_co_u32_e32 v26, vcc, s63, v8
	v_addc_co_u32_e32 v27, vcc, 0, v27, vcc
	flat_load_dword v26, v[26:27]
.LBB130_49:
	s_or_b64 exec, exec, s[4:5]
	v_mul_u32_u24_e32 v8, 15, v0
	s_waitcnt vmcnt(0) lgkmcnt(0)
	ds_write2st64_b32 v28, v29, v30 offset1:4
	ds_write2st64_b32 v28, v31, v32 offset0:8 offset1:12
	ds_write2st64_b32 v28, v33, v3 offset0:16 offset1:20
	;; [unrolled: 1-line block ×6, first 2 shown]
	ds_write_b32 v28, v26 offset:14336
	s_waitcnt lgkmcnt(0)
	s_barrier
.LBB130_50:
	v_lshlrev_b32_e32 v3, 2, v8
	ds_read2_b32 v[50:51], v2 offset1:2
	ds_read2_b32 v[46:47], v2 offset0:4 offset1:6
	ds_read2_b32 v[44:45], v2 offset0:8 offset1:10
	;; [unrolled: 1-line block ×6, first 2 shown]
	ds_read_b32 v59, v3 offset:52
	s_cmp_eq_u64 s[48:49], 0
	s_cselect_b64 s[40:41], -1, 0
	s_cmp_lg_u64 s[48:49], 0
	s_mov_b64 s[4:5], 0
	s_cselect_b64 s[10:11], -1, 0
	s_and_b64 vcc, exec, s[50:51]
	s_waitcnt lgkmcnt(0)
	s_barrier
	s_cbranch_vccz .LBB130_70
; %bb.51:
	s_and_b64 vcc, exec, s[10:11]
	s_cbranch_vccz .LBB130_104
; %bb.52:
	v_mov_b32_e32 v3, s62
	v_add_co_u32_e64 v2, vcc, -4, s9
	v_addc_co_u32_e32 v3, vcc, -1, v3, vcc
	flat_load_dword v2, v[2:3]
	v_lshlrev_b32_e32 v3, 2, v0
	v_cmp_ne_u32_e32 vcc, 0, v0
	ds_write_b32 v3, v1
	s_waitcnt lgkmcnt(0)
	s_barrier
	s_and_saveexec_b64 s[4:5], vcc
	s_cbranch_execz .LBB130_54
; %bb.53:
	s_waitcnt vmcnt(0)
	v_add_u32_e32 v2, -4, v3
	ds_read_b32 v2, v2
.LBB130_54:
	s_or_b64 exec, exec, s[4:5]
	v_cvt_i32_f32_e32 v3, v13
	s_mov_b32 s4, 0x66666667
	v_cvt_i32_f32_e32 v4, v12
	v_cvt_i32_f32_e32 v9, v16
	v_mul_hi_i32 v3, v3, s4
	v_lshrrev_b32_e32 v5, 31, v3
	v_ashrrev_i32_e32 v3, 2, v3
	v_add_u32_e32 v3, v3, v5
	v_cvt_i32_f32_e32 v5, v1
	v_mul_hi_i32 v4, v4, s4
	v_lshrrev_b32_e32 v6, 31, v4
	v_ashrrev_i32_e32 v4, 2, v4
	v_mul_hi_i32 v5, v5, s4
	v_add_u32_e32 v4, v4, v6
	v_cvt_i32_f32_e32 v6, v15
	v_lshrrev_b32_e32 v7, 31, v5
	v_ashrrev_i32_e32 v5, 2, v5
	v_add_u32_e32 v5, v5, v7
	v_cvt_i32_f32_e32 v7, v17
	v_mul_hi_i32 v6, v6, s4
	v_lshrrev_b32_e32 v8, 31, v6
	v_ashrrev_i32_e32 v6, 2, v6
	v_mul_hi_i32 v7, v7, s4
	v_add_u32_e32 v6, v6, v8
	v_lshrrev_b32_e32 v8, 31, v7
	v_ashrrev_i32_e32 v7, 2, v7
	v_add_u32_e32 v7, v7, v8
	v_cvt_i32_f32_e32 v8, v14
	v_mul_hi_i32 v9, v9, s4
	v_lshrrev_b32_e32 v10, 31, v9
	v_ashrrev_i32_e32 v9, 2, v9
	v_mul_hi_i32 v8, v8, s4
	v_add_u32_e32 v9, v9, v10
	v_cvt_i32_f32_e32 v10, v19
	v_lshrrev_b32_e32 v11, 31, v8
	v_ashrrev_i32_e32 v8, 2, v8
	v_add_u32_e32 v8, v8, v11
	v_cvt_i32_f32_e32 v11, v21
	v_mul_hi_i32 v10, v10, s4
	v_lshrrev_b32_e32 v26, 31, v10
	v_ashrrev_i32_e32 v10, 2, v10
	v_mul_hi_i32 v11, v11, s4
	v_add_u32_e32 v10, v10, v26
	v_lshrrev_b32_e32 v26, 31, v11
	v_cvt_i32_f32_e32 v27, v20
	v_ashrrev_i32_e32 v11, 2, v11
	v_add_u32_e32 v11, v11, v26
	v_cvt_i32_f32_e32 v26, v18
	v_mul_hi_i32 v27, v27, s4
	v_lshrrev_b32_e32 v28, 31, v27
	v_ashrrev_i32_e32 v27, 2, v27
	v_mul_hi_i32 v26, v26, s4
	v_add_u32_e32 v27, v27, v28
	v_cvt_i32_f32_e32 v28, v23
	v_lshrrev_b32_e32 v29, 31, v26
	v_ashrrev_i32_e32 v26, 2, v26
	v_add_u32_e32 v26, v26, v29
	v_cvt_i32_f32_e32 v29, v25
	v_mul_hi_i32 v28, v28, s4
	v_lshrrev_b32_e32 v30, 31, v28
	v_ashrrev_i32_e32 v28, 2, v28
	v_mul_hi_i32 v29, v29, s4
	v_add_u32_e32 v28, v28, v30
	v_lshrrev_b32_e32 v30, 31, v29
	v_cvt_i32_f32_e32 v31, v24
	v_ashrrev_i32_e32 v29, 2, v29
	v_add_u32_e32 v29, v29, v30
	v_cvt_i32_f32_e32 v30, v22
	v_mul_hi_i32 v31, v31, s4
	v_lshrrev_b32_e32 v32, 31, v31
	v_ashrrev_i32_e32 v31, 2, v31
	v_mul_hi_i32 v30, v30, s4
	v_add_u32_e32 v38, v31, v32
	v_lshrrev_b32_e32 v31, 31, v30
	v_ashrrev_i32_e32 v30, 2, v30
	v_add_u32_e32 v30, v30, v31
	v_cmp_ne_u32_e32 vcc, v29, v38
	v_cndmask_b32_e64 v39, 0, 1, vcc
	v_cmp_ne_u32_e32 vcc, v29, v30
	v_cndmask_b32_e64 v36, 0, 1, vcc
	;; [unrolled: 2-line block ×8, first 2 shown]
	v_cmp_ne_u32_e32 vcc, v7, v9
	s_waitcnt vmcnt(0) lgkmcnt(0)
	v_cvt_i32_f32_e32 v2, v2
	v_cndmask_b32_e64 v31, 0, 1, vcc
	v_cmp_ne_u32_e32 vcc, v7, v8
	v_cndmask_b32_e64 v28, 0, 1, vcc
	v_cmp_ne_u32_e32 vcc, v8, v6
	;; [unrolled: 2-line block ×4, first 2 shown]
	v_mul_hi_i32 v2, v2, s4
	v_cndmask_b32_e64 v27, 0, 1, vcc
	v_cmp_ne_u32_e32 vcc, v3, v5
	v_lshrrev_b32_e32 v3, 31, v2
	v_ashrrev_i32_e32 v2, 2, v2
	v_add_u32_e32 v2, v2, v3
	v_cndmask_b32_e64 v58, 0, 1, vcc
	v_cmp_ne_u32_e64 s[12:13], v2, v38
	s_mov_b64 s[4:5], -1
.LBB130_55:
                                        ; implicit-def: $sgpr14
	s_branch .LBB130_71
.LBB130_56:
	s_or_b64 exec, exec, s[36:37]
                                        ; implicit-def: $vgpr30
	s_and_saveexec_b64 s[36:37], s[4:5]
	s_cbranch_execz .LBB130_35
.LBB130_57:
	v_mov_b32_e32 v31, s64
	v_add_co_u32_e32 v30, vcc, s63, v28
	v_addc_co_u32_e32 v31, vcc, 0, v31, vcc
	flat_load_dword v30, v[30:31] offset:1024
	s_or_b64 exec, exec, s[36:37]
                                        ; implicit-def: $vgpr31
	s_and_saveexec_b64 s[4:5], s[6:7]
	s_cbranch_execnz .LBB130_36
.LBB130_58:
	s_or_b64 exec, exec, s[4:5]
                                        ; implicit-def: $vgpr32
	s_and_saveexec_b64 s[4:5], s[34:35]
	s_cbranch_execz .LBB130_37
.LBB130_59:
	v_mov_b32_e32 v33, s64
	v_add_co_u32_e32 v32, vcc, s63, v28
	v_addc_co_u32_e32 v33, vcc, 0, v33, vcc
	flat_load_dword v32, v[32:33] offset:3072
	s_or_b64 exec, exec, s[4:5]
                                        ; implicit-def: $vgpr33
	s_and_saveexec_b64 s[4:5], s[10:11]
	s_cbranch_execnz .LBB130_38
.LBB130_60:
	s_or_b64 exec, exec, s[4:5]
                                        ; implicit-def: $vgpr3
	s_and_saveexec_b64 s[4:5], s[12:13]
	s_cbranch_execz .LBB130_39
.LBB130_61:
	v_lshlrev_b32_e32 v3, 2, v4
	v_mov_b32_e32 v4, s64
	v_add_co_u32_e32 v34, vcc, s63, v3
	v_addc_co_u32_e32 v35, vcc, 0, v4, vcc
	flat_load_dword v3, v[34:35]
	s_or_b64 exec, exec, s[4:5]
                                        ; implicit-def: $vgpr4
	s_and_saveexec_b64 s[4:5], s[14:15]
	s_cbranch_execnz .LBB130_40
.LBB130_62:
	s_or_b64 exec, exec, s[4:5]
                                        ; implicit-def: $vgpr5
	s_and_saveexec_b64 s[4:5], s[16:17]
	s_cbranch_execz .LBB130_41
.LBB130_63:
	v_lshlrev_b32_e32 v5, 2, v6
	v_mov_b32_e32 v6, s64
	v_add_co_u32_e32 v34, vcc, s63, v5
	v_addc_co_u32_e32 v35, vcc, 0, v6, vcc
	flat_load_dword v5, v[34:35]
	s_or_b64 exec, exec, s[4:5]
                                        ; implicit-def: $vgpr6
	s_and_saveexec_b64 s[4:5], s[18:19]
	s_cbranch_execnz .LBB130_42
.LBB130_64:
	s_or_b64 exec, exec, s[4:5]
                                        ; implicit-def: $vgpr7
	s_and_saveexec_b64 s[4:5], s[20:21]
	s_cbranch_execz .LBB130_43
.LBB130_65:
	v_lshlrev_b32_e32 v7, 2, v8
	v_mov_b32_e32 v8, s64
	v_add_co_u32_e32 v34, vcc, s63, v7
	v_addc_co_u32_e32 v35, vcc, 0, v8, vcc
	flat_load_dword v7, v[34:35]
	s_or_b64 exec, exec, s[4:5]
                                        ; implicit-def: $vgpr34
	s_and_saveexec_b64 s[4:5], s[22:23]
	s_cbranch_execnz .LBB130_44
.LBB130_66:
	s_or_b64 exec, exec, s[4:5]
                                        ; implicit-def: $vgpr9
	s_and_saveexec_b64 s[4:5], s[24:25]
	s_cbranch_execz .LBB130_45
.LBB130_67:
	v_lshlrev_b32_e32 v8, 2, v10
	v_mov_b32_e32 v9, s64
	v_add_co_u32_e32 v8, vcc, s63, v8
	v_addc_co_u32_e32 v9, vcc, 0, v9, vcc
	flat_load_dword v9, v[8:9]
	s_or_b64 exec, exec, s[4:5]
                                        ; implicit-def: $vgpr10
	s_and_saveexec_b64 s[4:5], s[26:27]
	s_cbranch_execnz .LBB130_46
.LBB130_68:
	s_or_b64 exec, exec, s[4:5]
                                        ; implicit-def: $vgpr11
	s_and_saveexec_b64 s[4:5], s[28:29]
	s_cbranch_execz .LBB130_47
.LBB130_69:
	v_lshlrev_b32_e32 v8, 2, v26
	v_mov_b32_e32 v11, s64
	v_add_co_u32_e32 v36, vcc, s63, v8
	v_addc_co_u32_e32 v37, vcc, 0, v11, vcc
	flat_load_dword v11, v[36:37]
	s_or_b64 exec, exec, s[4:5]
                                        ; implicit-def: $vgpr26
	s_and_saveexec_b64 s[4:5], s[30:31]
	s_cbranch_execnz .LBB130_48
	s_branch .LBB130_49
.LBB130_70:
                                        ; implicit-def: $sgpr12_sgpr13
                                        ; implicit-def: $vgpr58
                                        ; implicit-def: $vgpr27
                                        ; implicit-def: $vgpr26
                                        ; implicit-def: $vgpr29
                                        ; implicit-def: $vgpr28
                                        ; implicit-def: $vgpr31
                                        ; implicit-def: $vgpr30
                                        ; implicit-def: $vgpr33
                                        ; implicit-def: $vgpr32
                                        ; implicit-def: $vgpr35
                                        ; implicit-def: $vgpr34
                                        ; implicit-def: $vgpr37
                                        ; implicit-def: $vgpr36
                                        ; implicit-def: $vgpr39
                                        ; implicit-def: $sgpr14
	s_cbranch_execnz .LBB130_108
.LBB130_71:
	v_mov_b32_e32 v60, s14
	s_and_saveexec_b64 s[6:7], s[4:5]
.LBB130_72:
	v_cndmask_b32_e64 v60, 0, 1, s[12:13]
.LBB130_73:
	s_or_b64 exec, exec, s[6:7]
	s_cmp_eq_u64 s[46:47], 0
	v_add3_u32 v2, v39, v60, v36
	s_mov_b64 s[48:49], 0
	s_cselect_b64 s[46:47], -1, 0
	s_cmp_lg_u32 s8, 0
	v_add_f32_e32 v78, v50, v52
	v_cmp_eq_u32_e64 s[28:29], 0, v39
	v_cmp_eq_u32_e64 s[26:27], 0, v36
	;; [unrolled: 1-line block ×3, first 2 shown]
	v_add3_u32 v77, v2, v37, v34
	v_cmp_eq_u32_e64 s[24:25], 0, v34
	v_cmp_eq_u32_e64 s[20:21], 0, v35
	;; [unrolled: 1-line block ×10, first 2 shown]
	v_cmp_eq_u32_e32 vcc, 0, v58
	v_mbcnt_lo_u32_b32 v76, -1, 0
	v_lshrrev_b32_e32 v74, 6, v0
	v_or_b32_e32 v75, 63, v0
	s_cbranch_scc0 .LBB130_102
; %bb.74:
	v_cndmask_b32_e64 v2, v52, v78, s[28:29]
	v_add_f32_e32 v2, v51, v2
	v_cndmask_b32_e64 v2, v51, v2, s[26:27]
	v_add_f32_e32 v2, v53, v2
	;; [unrolled: 2-line block ×11, first 2 shown]
	v_cndmask_b32_e64 v2, v40, v2, s[6:7]
	v_add3_u32 v3, v77, v35, v32
	v_add_f32_e32 v2, v59, v2
	v_add3_u32 v3, v3, v33, v30
	v_cndmask_b32_e64 v2, v59, v2, s[4:5]
	v_add3_u32 v3, v3, v31, v28
	v_add_f32_e32 v2, v41, v2
	v_add3_u32 v3, v3, v29, v26
	v_cndmask_b32_e32 v2, v41, v2, vcc
	v_add3_u32 v3, v3, v27, v58
	v_mbcnt_hi_u32_b32 v8, -1, v76
	v_mov_b32_dpp v6, v2 row_shr:1 row_mask:0xf bank_mask:0xf
	s_waitcnt vmcnt(0) lgkmcnt(0)
	v_and_b32_e32 v4, 15, v8
	v_add_f32_e32 v6, v2, v6
	v_cmp_eq_u32_e32 vcc, 0, v3
	v_mov_b32_dpp v5, v3 row_shr:1 row_mask:0xf bank_mask:0xf
	v_cndmask_b32_e32 v6, v2, v6, vcc
	v_cmp_eq_u32_e32 vcc, 0, v4
	v_cndmask_b32_e64 v5, v5, 0, vcc
	v_cndmask_b32_e32 v2, v6, v2, vcc
	v_add_u32_e32 v3, v5, v3
	v_cmp_eq_u32_e32 vcc, 0, v3
	v_mov_b32_dpp v6, v2 row_shr:2 row_mask:0xf bank_mask:0xf
	v_add_f32_e32 v6, v2, v6
	v_mov_b32_dpp v5, v3 row_shr:2 row_mask:0xf bank_mask:0xf
	v_cndmask_b32_e32 v6, v2, v6, vcc
	v_cmp_lt_u32_e32 vcc, 1, v4
	v_cndmask_b32_e32 v2, v2, v6, vcc
	v_cndmask_b32_e32 v5, 0, v5, vcc
	v_add_u32_e32 v3, v3, v5
	v_mov_b32_dpp v6, v2 row_shr:4 row_mask:0xf bank_mask:0xf
	v_add_f32_e32 v6, v2, v6
	v_cmp_eq_u32_e32 vcc, 0, v3
	v_mov_b32_dpp v5, v3 row_shr:4 row_mask:0xf bank_mask:0xf
	v_cndmask_b32_e32 v6, v2, v6, vcc
	v_cmp_lt_u32_e32 vcc, 3, v4
	v_cndmask_b32_e32 v2, v2, v6, vcc
	v_cndmask_b32_e32 v5, 0, v5, vcc
	v_add_u32_e32 v3, v5, v3
	v_mov_b32_dpp v6, v2 row_shr:8 row_mask:0xf bank_mask:0xf
	v_add_f32_e32 v6, v2, v6
	v_cmp_eq_u32_e32 vcc, 0, v3
	v_mov_b32_dpp v5, v3 row_shr:8 row_mask:0xf bank_mask:0xf
	v_cndmask_b32_e32 v6, v2, v6, vcc
	v_cmp_lt_u32_e32 vcc, 7, v4
	v_cndmask_b32_e32 v2, v2, v6, vcc
	v_cndmask_b32_e32 v4, 0, v5, vcc
	v_add_u32_e32 v3, v4, v3
	v_mov_b32_dpp v5, v2 row_bcast:15 row_mask:0xf bank_mask:0xf
	v_bfe_i32 v6, v8, 4, 1
	v_mov_b32_dpp v4, v3 row_bcast:15 row_mask:0xf bank_mask:0xf
	v_and_b32_e32 v7, 16, v8
	v_add_f32_e32 v5, v2, v5
	v_cmp_eq_u32_e32 vcc, 0, v3
	v_cndmask_b32_e32 v5, v2, v5, vcc
	v_and_b32_e32 v4, v6, v4
	v_cmp_eq_u32_e32 vcc, 0, v7
	v_add_u32_e32 v4, v4, v3
	v_cndmask_b32_e32 v3, v5, v2, vcc
	v_cmp_eq_u32_e32 vcc, 0, v4
	v_mov_b32_dpp v2, v4 row_bcast:31 row_mask:0xf bank_mask:0xf
	v_mov_b32_dpp v5, v3 row_bcast:31 row_mask:0xf bank_mask:0xf
	v_add_f32_e32 v5, v3, v5
	v_cndmask_b32_e32 v5, v3, v5, vcc
	v_cmp_lt_u32_e32 vcc, 31, v8
	v_cndmask_b32_e32 v2, 0, v2, vcc
	v_add_u32_e32 v2, v2, v4
	v_cmp_eq_u32_e64 s[30:31], v75, v0
	v_cndmask_b32_e32 v4, v3, v5, vcc
	s_and_saveexec_b64 s[36:37], s[30:31]
	s_cbranch_execz .LBB130_76
; %bb.75:
	v_lshlrev_b32_e32 v6, 3, v74
	v_cndmask_b32_e32 v3, v3, v5, vcc
	ds_write_b64 v6, v[2:3] offset:2064
.LBB130_76:
	s_or_b64 exec, exec, s[36:37]
	v_cmp_gt_u32_e32 vcc, 4, v0
	s_waitcnt lgkmcnt(0)
	s_barrier
	s_and_saveexec_b64 s[36:37], vcc
	s_cbranch_execz .LBB130_78
; %bb.77:
	v_lshlrev_b32_e32 v3, 3, v0
	ds_read_b64 v[6:7], v3 offset:2064
	v_and_b32_e32 v5, 3, v8
	v_cmp_lt_u32_e64 s[30:31], 1, v5
	s_waitcnt lgkmcnt(0)
	v_mov_b32_dpp v10, v7 row_shr:1 row_mask:0xf bank_mask:0xf
	v_add_f32_e32 v10, v7, v10
	v_cmp_eq_u32_e32 vcc, 0, v6
	v_mov_b32_dpp v9, v6 row_shr:1 row_mask:0xf bank_mask:0xf
	v_cndmask_b32_e32 v10, v7, v10, vcc
	v_cmp_eq_u32_e32 vcc, 0, v5
	v_cndmask_b32_e64 v9, v9, 0, vcc
	v_add_u32_e32 v6, v9, v6
	v_cndmask_b32_e32 v7, v10, v7, vcc
	v_cmp_eq_u32_e32 vcc, 0, v6
	v_mov_b32_dpp v9, v6 row_shr:2 row_mask:0xf bank_mask:0xf
	v_mov_b32_dpp v10, v7 row_shr:2 row_mask:0xf bank_mask:0xf
	v_add_f32_e32 v10, v7, v10
	v_cndmask_b32_e64 v5, 0, v9, s[30:31]
	s_and_b64 vcc, s[30:31], vcc
	v_add_u32_e32 v6, v5, v6
	v_cndmask_b32_e32 v7, v7, v10, vcc
	ds_write_b64 v3, v[6:7] offset:2064
.LBB130_78:
	s_or_b64 exec, exec, s[36:37]
	v_cmp_gt_u32_e32 vcc, 64, v0
	v_cmp_lt_u32_e64 s[30:31], 63, v0
	v_mov_b32_e32 v54, 0
	v_mov_b32_e32 v55, 0
	s_waitcnt lgkmcnt(0)
	s_barrier
	s_and_saveexec_b64 s[36:37], s[30:31]
	s_cbranch_execz .LBB130_80
; %bb.79:
	v_lshlrev_b32_e32 v3, 3, v74
	ds_read_b64 v[54:55], v3 offset:2056
	v_cmp_eq_u32_e64 s[30:31], 0, v2
	s_waitcnt lgkmcnt(0)
	v_add_u32_e32 v3, v54, v2
	v_add_f32_e32 v5, v4, v55
	v_cndmask_b32_e64 v4, v4, v5, s[30:31]
	v_mov_b32_e32 v2, v3
.LBB130_80:
	s_or_b64 exec, exec, s[36:37]
	v_add_u32_e32 v3, -1, v8
	v_and_b32_e32 v5, 64, v8
	v_cmp_lt_i32_e64 s[30:31], v3, v5
	v_cndmask_b32_e64 v3, v3, v8, s[30:31]
	v_lshlrev_b32_e32 v3, 2, v3
	ds_bpermute_b32 v79, v3, v2
	ds_bpermute_b32 v80, v3, v4
	v_cmp_eq_u32_e64 s[30:31], 0, v8
	s_mov_b64 s[56:57], -1
	s_mov_b64 s[36:37], 0
	s_and_saveexec_b64 s[50:51], vcc
                                        ; implicit-def: $vgpr3_vgpr4_vgpr5
	s_cbranch_execz .LBB130_196
; %bb.81:
	v_mov_b32_e32 v7, 0
	ds_read_b64 v[2:3], v7 offset:2088
	s_waitcnt lgkmcnt(0)
	v_readfirstlane_b32 s9, v3
	s_and_saveexec_b64 s[36:37], s[30:31]
	s_cbranch_execz .LBB130_83
; %bb.82:
	s_add_i32 s56, s8, 64
	s_mov_b32 s57, 0
	s_lshl_b64 s[62:63], s[56:57], 4
	s_add_u32 s62, s44, s62
	s_addc_u32 s63, s45, s63
	s_and_b32 s65, s9, 0xff000000
	s_mov_b32 s64, s57
	s_and_b32 s67, s9, 0xff0000
	s_mov_b32 s66, s57
	s_or_b64 s[64:65], s[66:67], s[64:65]
	s_and_b32 s67, s9, 0xff00
	s_or_b64 s[64:65], s[64:65], s[66:67]
	s_and_b32 s67, s9, 0xff
	s_or_b64 s[56:57], s[64:65], s[66:67]
	v_mov_b32_e32 v5, s57
	v_mov_b32_e32 v6, 1
	;; [unrolled: 1-line block ×3, first 2 shown]
	v_pk_mov_b32 v[10:11], s[62:63], s[62:63] op_sel:[0,1]
	;;#ASMSTART
	global_store_dwordx4 v[10:11], v[4:7] off	
s_waitcnt vmcnt(0)
	;;#ASMEND
.LBB130_83:
	s_or_b64 exec, exec, s[36:37]
	v_xad_u32 v56, v8, -1, s8
	v_add_u32_e32 v6, 64, v56
	v_lshlrev_b64 v[4:5], 4, v[6:7]
	buffer_store_dword v7, off, s[0:3], 0
	buffer_store_dword v7, off, s[0:3], 0 offset:4
	buffer_store_dword v7, off, s[0:3], 0 offset:8
	;; [unrolled: 1-line block ×7, first 2 shown]
	v_mov_b32_e32 v6, s45
	v_add_co_u32_e32 v4, vcc, s44, v4
	s_mov_b32 s36, 0x70605
	v_addc_co_u32_e32 v5, vcc, v6, v5, vcc
	;;#ASMSTART
	global_load_dwordx4 v[8:11], v[4:5] off glc	
s_waitcnt vmcnt(0)
	;;#ASMEND
	v_perm_b32 v6, v9, v10, s36
	s_mov_b32 s36, 0x1000706
	v_perm_b32 v38, v9, v10, s36
	s_mov_b32 s36, 0x2010007
	v_perm_b32 v57, v9, v10, s36
	v_lshlrev_b32_e32 v6, 8, v6
	s_mov_b32 s36, 0xc0c0500
	v_alignbit_b32 v11, v9, v8, 8
	v_alignbit_b32 v62, v9, v8, 16
	;; [unrolled: 1-line block ×3, first 2 shown]
	v_perm_b32 v6, v6, v9, s36
	v_lshlrev_b32_e32 v9, 16, v38
	v_and_b32_e32 v9, 0xff0000, v9
	v_lshlrev_b32_e32 v38, 24, v57
	v_or3_b32 v9, v6, v9, v38
	v_cmp_eq_u16_sdwa s[56:57], v10, v7 src0_sel:BYTE_0 src1_sel:DWORD
	s_and_saveexec_b64 s[36:37], s[56:57]
	s_cbranch_execz .LBB130_87
; %bb.84:
	s_mov_b64 s[56:57], 0
	v_mov_b32_e32 v6, 0
.LBB130_85:                             ; =>This Inner Loop Header: Depth=1
	;;#ASMSTART
	global_load_dwordx4 v[8:11], v[4:5] off glc	
s_waitcnt vmcnt(0)
	;;#ASMEND
	v_cmp_ne_u16_sdwa s[62:63], v10, v6 src0_sel:BYTE_0 src1_sel:DWORD
	s_or_b64 s[56:57], s[62:63], s[56:57]
	s_andn2_b64 exec, exec, s[56:57]
	s_cbranch_execnz .LBB130_85
; %bb.86:
	s_or_b64 exec, exec, s[56:57]
	s_mov_b32 s56, 0x70605
	v_perm_b32 v4, v9, v10, s56
	s_mov_b32 s56, 0x1000706
	v_perm_b32 v5, v9, v10, s56
	;; [unrolled: 2-line block ×3, first 2 shown]
	v_lshlrev_b32_e32 v4, 8, v4
	s_mov_b32 s56, 0xc0c0500
	v_lshlrev_b32_e32 v5, 16, v5
	v_perm_b32 v4, v4, v9, s56
	v_lshlrev_b32_e32 v6, 24, v6
	v_and_b32_e32 v5, 0xff0000, v5
	v_alignbit_b32 v11, v9, v8, 8
	v_alignbit_b32 v62, v9, v8, 16
	;; [unrolled: 1-line block ×3, first 2 shown]
	v_or3_b32 v9, v4, v5, v6
.LBB130_87:
	s_or_b64 exec, exec, s[36:37]
	s_mov_b32 s62, 0
	s_mov_b32 s65, 0x4020c0c
	s_movk_i32 s66, 0xff
	v_mov_b32_e32 v61, 0
	v_mov_b32_e32 v5, 0
	s_mov_b32 s67, 0x70605
	s_mov_b32 s68, 0x1000706
	;; [unrolled: 1-line block ×4, first 2 shown]
	v_mov_b32_e32 v63, 2
	s_branch .LBB130_89
.LBB130_88:                             ;   in Loop: Header=BB130_89 Depth=1
	s_or_b64 exec, exec, s[56:57]
	s_add_i32 s62, s64, 1
	v_subrev_u32_e32 v56, 64, v4
	s_cbranch_execz .LBB130_95
.LBB130_89:                             ; =>This Loop Header: Depth=1
                                        ;     Child Loop BB130_92 Depth 2
	v_mov_b32_e32 v6, v10
	v_cmp_ne_u16_sdwa s[36:37], v6, v63 src0_sel:BYTE_0 src1_sel:DWORD
	v_cmp_ne_u16_sdwa s[56:57], v6, s66 src0_sel:BYTE_0 src1_sel:DWORD
	s_and_b64 s[56:57], s[36:37], s[56:57]
	v_lshlrev_b32_e32 v10, 8, v11
	v_cndmask_b32_e64 v11, 0, 1, s[56:57]
	;;#ASMSTART
	;;#ASMEND
	v_cmp_ne_u32_e32 vcc, 0, v11
	s_cmp_eq_u64 vcc, exec
	s_cselect_b64 s[56:57], -1, 0
	s_cmp_lt_u32 s62, 4
	s_mov_b32 s64, s62
	v_mov_b32_e32 v7, v9
	v_lshlrev_b32_e32 v9, 16, v62
	s_cselect_b64 s[62:63], -1, 0
	v_perm_b32 v9, v64, v9, s65
	v_and_b32_e32 v10, 0xff00, v10
	v_and_b32_e32 v8, 0xff, v8
	s_and_b64 s[56:57], s[56:57], s[62:63]
	v_mov_b32_e32 v4, v56
	s_andn2_b64 vcc, exec, s[56:57]
	v_or3_b32 v38, v9, v10, v8
	s_cbranch_vccnz .LBB130_94
; %bb.90:                               ;   in Loop: Header=BB130_89 Depth=1
	s_lshl_b32 s56, s64, 3
	v_add_u32_e32 v8, s56, v61
	buffer_store_dword v38, v8, s[0:3], 0 offen
	buffer_store_dword v7, v8, s[0:3], 0 offen offset:4
	v_lshlrev_b64 v[8:9], 4, v[4:5]
	v_mov_b32_e32 v10, s45
	v_add_co_u32_e32 v56, vcc, s44, v8
	v_addc_co_u32_e32 v57, vcc, v10, v9, vcc
	;;#ASMSTART
	global_load_dwordx4 v[8:11], v[56:57] off glc	
s_waitcnt vmcnt(0)
	;;#ASMEND
	v_perm_b32 v65, v9, v10, s67
	v_perm_b32 v66, v9, v10, s68
	v_lshlrev_b32_e32 v65, 8, v65
	v_alignbit_b32 v11, v9, v8, 8
	v_alignbit_b32 v62, v9, v8, 16
	v_alignbit_b32 v64, v9, v8, 24
	v_perm_b32 v67, v9, v10, s69
	v_perm_b32 v9, v65, v9, s70
	v_lshlrev_b32_e32 v65, 16, v66
	v_and_b32_e32 v65, 0xff0000, v65
	v_lshlrev_b32_e32 v66, 24, v67
	v_or3_b32 v9, v9, v65, v66
	v_cmp_eq_u16_sdwa s[62:63], v10, v5 src0_sel:BYTE_0 src1_sel:DWORD
	s_and_saveexec_b64 s[56:57], s[62:63]
	s_cbranch_execz .LBB130_88
; %bb.91:                               ;   in Loop: Header=BB130_89 Depth=1
	s_mov_b64 s[62:63], 0
.LBB130_92:                             ;   Parent Loop BB130_89 Depth=1
                                        ; =>  This Inner Loop Header: Depth=2
	;;#ASMSTART
	global_load_dwordx4 v[8:11], v[56:57] off glc	
s_waitcnt vmcnt(0)
	;;#ASMEND
	v_cmp_ne_u16_sdwa s[72:73], v10, v5 src0_sel:BYTE_0 src1_sel:DWORD
	s_or_b64 s[62:63], s[72:73], s[62:63]
	s_andn2_b64 exec, exec, s[62:63]
	s_cbranch_execnz .LBB130_92
; %bb.93:                               ;   in Loop: Header=BB130_89 Depth=1
	s_or_b64 exec, exec, s[62:63]
	v_perm_b32 v56, v9, v10, s67
	v_perm_b32 v57, v9, v10, s68
	v_lshlrev_b32_e32 v56, 8, v56
	v_alignbit_b32 v11, v9, v8, 8
	v_alignbit_b32 v62, v9, v8, 16
	;; [unrolled: 1-line block ×3, first 2 shown]
	v_perm_b32 v65, v9, v10, s69
	v_perm_b32 v9, v56, v9, s70
	v_lshlrev_b32_e32 v56, 16, v57
	v_lshlrev_b32_e32 v57, 24, v65
	v_and_b32_e32 v56, 0xff0000, v56
	v_or3_b32 v9, v9, v56, v57
	s_branch .LBB130_88
.LBB130_94:
                                        ; implicit-def: $vgpr56
                                        ; implicit-def: $sgpr62
                                        ; implicit-def: $vgpr10
                                        ; implicit-def: $vgpr9
                                        ; implicit-def: $vgpr11
                                        ; implicit-def: $vgpr62
                                        ; implicit-def: $vgpr64
.LBB130_95:
	v_cndmask_b32_e64 v5, 0, 1, s[36:37]
	;;#ASMSTART
	;;#ASMEND
	v_cmp_ne_u32_e32 vcc, 0, v5
	s_cmp_lg_u64 vcc, exec
	s_cbranch_scc1 .LBB130_178
; %bb.96:
	s_movk_i32 s36, 0xff
	v_cmp_eq_u16_sdwa s[36:37], v6, s36 src0_sel:BYTE_0 src1_sel:DWORD
	v_cndmask_b32_e64 v5, 0, 1, s[36:37]
	;;#ASMSTART
	;;#ASMEND
	v_cmp_ne_u32_e32 vcc, 0, v5
	s_cmp_eq_u64 vcc, exec
	v_add_u32_e32 v5, 64, v4
	s_cselect_b64 vcc, -1, 0
	v_cndmask_b32_e32 v4, v4, v5, vcc
	v_add_u32_e32 v8, 64, v4
	v_mov_b32_e32 v9, 0
	v_lshlrev_b64 v[4:5], 4, v[8:9]
	v_mov_b32_e32 v6, s45
	v_add_co_u32_e64 v10, s[36:37], s44, v4
	v_addc_co_u32_e64 v11, s[36:37], v6, v5, s[36:37]
	s_mov_b32 s62, 0x70605
	s_mov_b32 s63, 0x1000706
	;; [unrolled: 1-line block ×4, first 2 shown]
	v_mov_b32_e32 v8, 2
	s_branch .LBB130_98
.LBB130_97:                             ;   in Loop: Header=BB130_98 Depth=1
	s_or_b64 exec, exec, s[36:37]
	v_cmp_ne_u16_sdwa s[36:37], v6, v8 src0_sel:BYTE_0 src1_sel:DWORD
	v_cndmask_b32_e64 v5, 0, 1, s[36:37]
	;;#ASMSTART
	;;#ASMEND
	v_cmp_ne_u32_e64 s[36:37], 0, v5
	s_cmp_eq_u64 s[36:37], exec
	s_cbranch_scc0 .LBB130_177
.LBB130_98:                             ; =>This Loop Header: Depth=1
                                        ;     Child Loop BB130_100 Depth 2
	;;#ASMSTART
	global_load_dwordx4 v[4:7], v[10:11] off glc	
s_waitcnt vmcnt(0)
	;;#ASMEND
	v_perm_b32 v7, v5, v6, s62
	v_perm_b32 v61, v5, v6, s63
	v_lshlrev_b32_e32 v7, 8, v7
	v_alignbit_b32 v38, v5, v4, 8
	v_alignbit_b32 v57, v5, v4, 16
	;; [unrolled: 1-line block ×3, first 2 shown]
	v_perm_b32 v62, v5, v6, s65
	v_perm_b32 v5, v7, v5, s66
	v_lshlrev_b32_e32 v7, 16, v61
	v_and_b32_e32 v7, 0xff0000, v7
	v_lshlrev_b32_e32 v61, 24, v62
	v_or3_b32 v7, v5, v7, v61
	v_cmp_eq_u16_sdwa s[56:57], v6, v9 src0_sel:BYTE_0 src1_sel:DWORD
	s_and_saveexec_b64 s[36:37], s[56:57]
	s_cbranch_execz .LBB130_97
; %bb.99:                               ;   in Loop: Header=BB130_98 Depth=1
	s_mov_b64 s[56:57], 0
.LBB130_100:                            ;   Parent Loop BB130_98 Depth=1
                                        ; =>  This Inner Loop Header: Depth=2
	;;#ASMSTART
	global_load_dwordx4 v[4:7], v[10:11] off glc	
s_waitcnt vmcnt(0)
	;;#ASMEND
	v_cmp_ne_u16_sdwa s[68:69], v6, v9 src0_sel:BYTE_0 src1_sel:DWORD
	s_or_b64 s[56:57], s[68:69], s[56:57]
	s_andn2_b64 exec, exec, s[56:57]
	s_cbranch_execnz .LBB130_100
; %bb.101:                              ;   in Loop: Header=BB130_98 Depth=1
	s_or_b64 exec, exec, s[56:57]
	v_perm_b32 v7, v5, v6, s62
	v_perm_b32 v61, v5, v6, s63
	v_lshlrev_b32_e32 v7, 8, v7
	v_alignbit_b32 v38, v5, v4, 8
	v_alignbit_b32 v57, v5, v4, 16
	;; [unrolled: 1-line block ×3, first 2 shown]
	v_perm_b32 v62, v5, v6, s65
	v_perm_b32 v5, v7, v5, s66
	v_lshlrev_b32_e32 v7, 16, v61
	v_lshlrev_b32_e32 v61, 24, v62
	v_and_b32_e32 v7, 0xff0000, v7
	v_or3_b32 v7, v5, v7, v61
	s_branch .LBB130_97
.LBB130_102:
                                        ; implicit-def: $vgpr2
                                        ; implicit-def: $vgpr38
                                        ; implicit-def: $vgpr6
                                        ; implicit-def: $vgpr62
                                        ; implicit-def: $vgpr56
                                        ; implicit-def: $vgpr57
                                        ; implicit-def: $vgpr61
                                        ; implicit-def: $vgpr63
                                        ; implicit-def: $vgpr64
                                        ; implicit-def: $vgpr65
                                        ; implicit-def: $vgpr66
                                        ; implicit-def: $vgpr67
                                        ; implicit-def: $vgpr68
                                        ; implicit-def: $vgpr69
                                        ; implicit-def: $vgpr70
                                        ; implicit-def: $vgpr71
                                        ; implicit-def: $vgpr72
                                        ; implicit-def: $vgpr73
	s_cbranch_execnz .LBB130_201
.LBB130_103:
	s_and_saveexec_b64 s[4:5], s[48:49]
	s_cbranch_execnz .LBB130_212
	s_branch .LBB130_395
.LBB130_104:
                                        ; implicit-def: $sgpr12_sgpr13
                                        ; implicit-def: $vgpr58
                                        ; implicit-def: $vgpr27
                                        ; implicit-def: $vgpr26
                                        ; implicit-def: $vgpr29
                                        ; implicit-def: $vgpr28
                                        ; implicit-def: $vgpr31
                                        ; implicit-def: $vgpr30
                                        ; implicit-def: $vgpr33
                                        ; implicit-def: $vgpr32
                                        ; implicit-def: $vgpr35
                                        ; implicit-def: $vgpr34
                                        ; implicit-def: $vgpr37
                                        ; implicit-def: $vgpr36
                                        ; implicit-def: $vgpr39
	s_cbranch_execz .LBB130_55
; %bb.105:
	v_cvt_i32_f32_e32 v3, v13
	v_cvt_i32_f32_e32 v5, v12
	s_mov_b32 s14, 0x66666667
	v_cvt_i32_f32_e32 v9, v16
	v_mul_hi_i32 v3, v3, s14
	v_lshrrev_b32_e32 v4, 31, v3
	v_ashrrev_i32_e32 v3, 2, v3
	v_add_u32_e32 v4, v3, v4
	v_cvt_i32_f32_e32 v3, v1
	v_mul_hi_i32 v5, v5, s14
	v_lshrrev_b32_e32 v6, 31, v5
	v_ashrrev_i32_e32 v5, 2, v5
	v_add_u32_e32 v5, v5, v6
	v_cvt_i32_f32_e32 v6, v15
	v_mul_hi_i32 v3, v3, s14
	v_lshrrev_b32_e32 v7, 31, v3
	v_ashrrev_i32_e32 v3, 2, v3
	v_add_u32_e32 v7, v3, v7
	v_mul_hi_i32 v3, v6, s14
	v_cvt_i32_f32_e32 v6, v17
	v_lshrrev_b32_e32 v8, 31, v3
	v_ashrrev_i32_e32 v3, 2, v3
	v_add_u32_e32 v8, v3, v8
	v_mul_hi_i32 v3, v6, s14
	v_lshrrev_b32_e32 v6, 31, v3
	v_ashrrev_i32_e32 v3, 2, v3
	v_add_u32_e32 v6, v3, v6
	v_cvt_i32_f32_e32 v3, v14
	v_mul_hi_i32 v9, v9, s14
	v_lshrrev_b32_e32 v10, 31, v9
	v_ashrrev_i32_e32 v9, 2, v9
	v_add_u32_e32 v9, v9, v10
	v_cvt_i32_f32_e32 v10, v19
	v_mul_hi_i32 v3, v3, s14
	v_lshrrev_b32_e32 v11, 31, v3
	v_ashrrev_i32_e32 v3, 2, v3
	v_add_u32_e32 v11, v3, v11
	v_mul_hi_i32 v3, v10, s14
	v_cvt_i32_f32_e32 v10, v21
	v_cvt_i32_f32_e32 v27, v20
	v_lshrrev_b32_e32 v26, 31, v3
	v_ashrrev_i32_e32 v3, 2, v3
	v_add_u32_e32 v26, v3, v26
	v_mul_hi_i32 v3, v10, s14
	v_lshrrev_b32_e32 v10, 31, v3
	v_ashrrev_i32_e32 v3, 2, v3
	v_add_u32_e32 v10, v3, v10
	v_cvt_i32_f32_e32 v3, v18
	v_mul_hi_i32 v27, v27, s14
	v_lshrrev_b32_e32 v28, 31, v27
	v_ashrrev_i32_e32 v27, 2, v27
	v_add_u32_e32 v27, v27, v28
	v_cvt_i32_f32_e32 v28, v23
	v_mul_hi_i32 v3, v3, s14
	v_lshrrev_b32_e32 v29, 31, v3
	v_ashrrev_i32_e32 v3, 2, v3
	v_add_u32_e32 v29, v3, v29
	v_mul_hi_i32 v3, v28, s14
	v_cvt_i32_f32_e32 v28, v25
	v_cvt_i32_f32_e32 v31, v24
	v_lshrrev_b32_e32 v30, 31, v3
	v_ashrrev_i32_e32 v3, 2, v3
	v_add_u32_e32 v30, v3, v30
	v_mul_hi_i32 v3, v28, s14
	v_cvt_i32_f32_e32 v32, v22
	v_lshrrev_b32_e32 v28, 31, v3
	v_ashrrev_i32_e32 v3, 2, v3
	v_add_u32_e32 v28, v3, v28
	v_mul_hi_i32 v3, v31, s14
	v_lshrrev_b32_e32 v31, 31, v3
	v_ashrrev_i32_e32 v3, 2, v3
	v_add_u32_e32 v3, v3, v31
	v_mul_hi_i32 v31, v32, s14
	v_lshrrev_b32_e32 v32, 31, v31
	v_ashrrev_i32_e32 v31, 2, v31
	v_add_u32_e32 v31, v31, v32
	v_cmp_ne_u32_e32 vcc, v28, v3
	v_cndmask_b32_e64 v39, 0, 1, vcc
	v_cmp_ne_u32_e32 vcc, v28, v31
	v_cndmask_b32_e64 v36, 0, 1, vcc
	;; [unrolled: 2-line block ×13, first 2 shown]
	v_cmp_ne_u32_e32 vcc, v4, v7
	v_lshlrev_b32_e32 v2, 2, v0
	v_cndmask_b32_e64 v58, 0, 1, vcc
	v_cmp_ne_u32_e32 vcc, 0, v0
	ds_write_b32 v2, v1
	s_waitcnt lgkmcnt(0)
	s_barrier
	s_waitcnt lgkmcnt(0)
                                        ; implicit-def: $sgpr12_sgpr13
	s_and_saveexec_b64 s[6:7], vcc
	s_xor_b64 s[6:7], exec, s[6:7]
	s_cbranch_execz .LBB130_107
; %bb.106:
	v_add_u32_e32 v2, -4, v2
	ds_read_b32 v2, v2
	s_or_b64 s[4:5], s[4:5], exec
	s_waitcnt lgkmcnt(0)
	v_cvt_i32_f32_e32 v2, v2
	v_mul_hi_i32 v2, v2, s14
	v_lshrrev_b32_e32 v4, 31, v2
	v_ashrrev_i32_e32 v2, 2, v2
	v_add_u32_e32 v2, v2, v4
	v_cmp_ne_u32_e32 vcc, v2, v3
	s_and_b64 s[12:13], vcc, exec
.LBB130_107:
	s_or_b64 exec, exec, s[6:7]
	s_mov_b32 s14, 1
	s_branch .LBB130_71
.LBB130_108:
	s_mul_hi_u32 s7, s48, 0xfffff100
	s_mul_i32 s6, s49, 0xfffff100
	s_sub_i32 s7, s7, s48
	s_add_i32 s7, s7, s6
	s_mul_i32 s6, s48, 0xfffff100
	s_add_u32 s6, s6, s56
	s_addc_u32 s7, s7, s57
	s_and_b64 vcc, exec, s[10:11]
	s_cbranch_vccz .LBB130_143
; %bb.109:
	v_mov_b32_e32 v3, s62
	v_add_co_u32_e64 v2, vcc, -4, s9
	v_addc_co_u32_e32 v3, vcc, -1, v3, vcc
	flat_load_dword v4, v[2:3]
	v_mad_u32_u24 v26, v0, 15, 14
	v_mov_b32_e32 v27, 0
	v_lshlrev_b32_e32 v3, 2, v0
	v_mul_u32_u24_e32 v2, 15, v0
	v_cmp_gt_u64_e32 vcc, s[6:7], v[26:27]
	v_mov_b32_e32 v58, 0
	ds_write_b32 v3, v1
	s_and_saveexec_b64 s[4:5], vcc
	s_cbranch_execz .LBB130_111
; %bb.110:
	v_cvt_i32_f32_e32 v5, v13
	v_cvt_i32_f32_e32 v6, v1
	s_mov_b32 s9, 0x66666667
	v_mul_hi_i32 v5, v5, s9
	v_lshrrev_b32_e32 v7, 31, v5
	v_ashrrev_i32_e32 v5, 2, v5
	v_mul_hi_i32 v6, v6, s9
	v_add_u32_e32 v5, v5, v7
	v_lshrrev_b32_e32 v7, 31, v6
	v_ashrrev_i32_e32 v6, 2, v6
	v_add_u32_e32 v6, v6, v7
	v_cmp_ne_u32_e32 vcc, v5, v6
	v_cndmask_b32_e64 v58, 0, 1, vcc
.LBB130_111:
	s_or_b64 exec, exec, s[4:5]
	v_add_u32_e32 v26, 13, v2
	v_cmp_gt_u64_e32 vcc, s[6:7], v[26:27]
	s_and_saveexec_b64 s[4:5], vcc
	s_cbranch_execz .LBB130_113
; %bb.112:
	v_cvt_i32_f32_e32 v5, v12
	v_cvt_i32_f32_e32 v6, v13
	s_mov_b32 s9, 0x66666667
	v_mul_hi_i32 v5, v5, s9
	v_lshrrev_b32_e32 v7, 31, v5
	v_ashrrev_i32_e32 v5, 2, v5
	v_mul_hi_i32 v6, v6, s9
	v_add_u32_e32 v5, v5, v7
	v_lshrrev_b32_e32 v7, 31, v6
	v_ashrrev_i32_e32 v6, 2, v6
	v_add_u32_e32 v6, v6, v7
	v_cmp_ne_u32_e32 vcc, v5, v6
	v_cndmask_b32_e64 v27, 0, 1, vcc
.LBB130_113:
	s_or_b64 exec, exec, s[4:5]
	v_add_u32_e32 v28, 12, v2
	v_mov_b32_e32 v29, 0
	v_cmp_gt_u64_e32 vcc, s[6:7], v[28:29]
	v_mov_b32_e32 v26, 0
	s_and_saveexec_b64 s[4:5], vcc
	s_cbranch_execz .LBB130_115
; %bb.114:
	v_cvt_i32_f32_e32 v5, v15
	v_cvt_i32_f32_e32 v6, v12
	s_mov_b32 s9, 0x66666667
	v_mul_hi_i32 v5, v5, s9
	v_lshrrev_b32_e32 v7, 31, v5
	v_ashrrev_i32_e32 v5, 2, v5
	v_mul_hi_i32 v6, v6, s9
	v_add_u32_e32 v5, v5, v7
	v_lshrrev_b32_e32 v7, 31, v6
	v_ashrrev_i32_e32 v6, 2, v6
	v_add_u32_e32 v6, v6, v7
	v_cmp_ne_u32_e32 vcc, v5, v6
	v_cndmask_b32_e64 v26, 0, 1, vcc
.LBB130_115:
	s_or_b64 exec, exec, s[4:5]
	v_add_u32_e32 v28, 11, v2
	v_cmp_gt_u64_e32 vcc, s[6:7], v[28:29]
	s_and_saveexec_b64 s[4:5], vcc
	s_cbranch_execz .LBB130_117
; %bb.116:
	v_cvt_i32_f32_e32 v5, v14
	v_cvt_i32_f32_e32 v6, v15
	s_mov_b32 s9, 0x66666667
	v_mul_hi_i32 v5, v5, s9
	v_lshrrev_b32_e32 v7, 31, v5
	v_ashrrev_i32_e32 v5, 2, v5
	v_mul_hi_i32 v6, v6, s9
	v_add_u32_e32 v5, v5, v7
	v_lshrrev_b32_e32 v7, 31, v6
	v_ashrrev_i32_e32 v6, 2, v6
	v_add_u32_e32 v6, v6, v7
	v_cmp_ne_u32_e32 vcc, v5, v6
	v_cndmask_b32_e64 v29, 0, 1, vcc
.LBB130_117:
	s_or_b64 exec, exec, s[4:5]
	v_add_u32_e32 v30, 10, v2
	v_mov_b32_e32 v31, 0
	v_cmp_gt_u64_e32 vcc, s[6:7], v[30:31]
	v_mov_b32_e32 v28, 0
	;; [unrolled: 42-line block ×6, first 2 shown]
	s_and_saveexec_b64 s[4:5], vcc
	s_cbranch_execz .LBB130_135
; %bb.134:
	v_cvt_i32_f32_e32 v5, v25
	v_cvt_i32_f32_e32 v6, v22
	s_mov_b32 s9, 0x66666667
	v_mul_hi_i32 v5, v5, s9
	v_lshrrev_b32_e32 v7, 31, v5
	v_ashrrev_i32_e32 v5, 2, v5
	v_mul_hi_i32 v6, v6, s9
	v_add_u32_e32 v5, v5, v7
	v_lshrrev_b32_e32 v7, 31, v6
	v_ashrrev_i32_e32 v6, 2, v6
	v_add_u32_e32 v6, v6, v7
	v_cmp_ne_u32_e32 vcc, v5, v6
	v_cndmask_b32_e64 v36, 0, 1, vcc
.LBB130_135:
	s_or_b64 exec, exec, s[4:5]
	v_add_u32_e32 v38, 1, v2
	v_cmp_gt_u64_e32 vcc, s[6:7], v[38:39]
	s_and_saveexec_b64 s[4:5], vcc
	s_cbranch_execz .LBB130_137
; %bb.136:
	v_cvt_i32_f32_e32 v5, v24
	v_cvt_i32_f32_e32 v6, v25
	s_mov_b32 s9, 0x66666667
	v_mul_hi_i32 v5, v5, s9
	v_lshrrev_b32_e32 v7, 31, v5
	v_ashrrev_i32_e32 v5, 2, v5
	v_mul_hi_i32 v6, v6, s9
	v_add_u32_e32 v5, v5, v7
	v_lshrrev_b32_e32 v7, 31, v6
	v_ashrrev_i32_e32 v6, 2, v6
	v_add_u32_e32 v6, v6, v7
	v_cmp_ne_u32_e32 vcc, v5, v6
	v_cndmask_b32_e64 v39, 0, 1, vcc
.LBB130_137:
	s_or_b64 exec, exec, s[4:5]
	v_cmp_ne_u32_e32 vcc, 0, v0
	s_waitcnt lgkmcnt(0)
	s_barrier
	s_and_saveexec_b64 s[4:5], vcc
	s_cbranch_execz .LBB130_139
; %bb.138:
	v_add_u32_e32 v3, -4, v3
	s_waitcnt vmcnt(0)
	ds_read_b32 v4, v3
.LBB130_139:
	s_or_b64 exec, exec, s[4:5]
	v_mov_b32_e32 v3, 0
	v_cmp_gt_u64_e32 vcc, s[6:7], v[2:3]
	s_mov_b64 s[10:11], 0
	s_mov_b64 s[12:13], 0
	s_and_saveexec_b64 s[4:5], vcc
	s_cbranch_execz .LBB130_141
; %bb.140:
	s_waitcnt vmcnt(0) lgkmcnt(0)
	v_cvt_i32_f32_e32 v2, v4
	v_cvt_i32_f32_e32 v3, v24
	s_mov_b32 s9, 0x66666667
	v_mul_hi_i32 v2, v2, s9
	v_lshrrev_b32_e32 v4, 31, v2
	v_ashrrev_i32_e32 v2, 2, v2
	v_mul_hi_i32 v3, v3, s9
	v_add_u32_e32 v2, v2, v4
	v_lshrrev_b32_e32 v4, 31, v3
	v_ashrrev_i32_e32 v3, 2, v3
	v_add_u32_e32 v3, v3, v4
	v_cmp_ne_u32_e32 vcc, v2, v3
	s_and_b64 s[12:13], vcc, exec
.LBB130_141:
	s_or_b64 exec, exec, s[4:5]
	s_mov_b64 s[4:5], -1
	s_and_b64 vcc, exec, s[10:11]
	s_cbranch_vccnz .LBB130_144
.LBB130_142:
                                        ; implicit-def: $sgpr14
	v_mov_b32_e32 v60, s14
	s_and_saveexec_b64 s[6:7], s[4:5]
	s_cbranch_execz .LBB130_73
	s_branch .LBB130_72
.LBB130_143:
                                        ; implicit-def: $sgpr12_sgpr13
                                        ; implicit-def: $vgpr58
                                        ; implicit-def: $vgpr27
                                        ; implicit-def: $vgpr26
                                        ; implicit-def: $vgpr29
                                        ; implicit-def: $vgpr28
                                        ; implicit-def: $vgpr31
                                        ; implicit-def: $vgpr30
                                        ; implicit-def: $vgpr33
                                        ; implicit-def: $vgpr32
                                        ; implicit-def: $vgpr35
                                        ; implicit-def: $vgpr34
                                        ; implicit-def: $vgpr37
                                        ; implicit-def: $vgpr36
                                        ; implicit-def: $vgpr39
	s_cbranch_execz .LBB130_142
.LBB130_144:
	v_mad_u32_u24 v26, v0, 15, 14
	v_mov_b32_e32 v27, 0
	s_waitcnt vmcnt(0) lgkmcnt(0)
	v_lshlrev_b32_e32 v4, 2, v0
	v_mul_u32_u24_e32 v2, 15, v0
	v_cmp_gt_u64_e32 vcc, s[6:7], v[26:27]
	v_mov_b32_e32 v58, 0
	ds_write_b32 v4, v1
	s_and_saveexec_b64 s[10:11], vcc
	s_cbranch_execz .LBB130_146
; %bb.145:
	v_cvt_i32_f32_e32 v3, v13
	v_cvt_i32_f32_e32 v5, v1
	s_mov_b32 s9, 0x66666667
	v_mul_hi_i32 v3, v3, s9
	v_lshrrev_b32_e32 v6, 31, v3
	v_ashrrev_i32_e32 v3, 2, v3
	v_mul_hi_i32 v5, v5, s9
	v_add_u32_e32 v3, v3, v6
	v_lshrrev_b32_e32 v6, 31, v5
	v_ashrrev_i32_e32 v5, 2, v5
	v_add_u32_e32 v5, v5, v6
	v_cmp_ne_u32_e32 vcc, v3, v5
	v_cndmask_b32_e64 v58, 0, 1, vcc
.LBB130_146:
	s_or_b64 exec, exec, s[10:11]
	v_add_u32_e32 v26, 13, v2
	v_cmp_gt_u64_e32 vcc, s[6:7], v[26:27]
	s_and_saveexec_b64 s[10:11], vcc
	s_cbranch_execz .LBB130_148
; %bb.147:
	v_cvt_i32_f32_e32 v3, v12
	v_cvt_i32_f32_e32 v5, v13
	s_mov_b32 s9, 0x66666667
	v_mul_hi_i32 v3, v3, s9
	v_lshrrev_b32_e32 v6, 31, v3
	v_ashrrev_i32_e32 v3, 2, v3
	v_mul_hi_i32 v5, v5, s9
	v_add_u32_e32 v3, v3, v6
	v_lshrrev_b32_e32 v6, 31, v5
	v_ashrrev_i32_e32 v5, 2, v5
	v_add_u32_e32 v5, v5, v6
	v_cmp_ne_u32_e32 vcc, v3, v5
	v_cndmask_b32_e64 v27, 0, 1, vcc
.LBB130_148:
	s_or_b64 exec, exec, s[10:11]
	v_add_u32_e32 v28, 12, v2
	v_mov_b32_e32 v29, 0
	v_cmp_gt_u64_e32 vcc, s[6:7], v[28:29]
	v_mov_b32_e32 v26, 0
	s_and_saveexec_b64 s[10:11], vcc
	s_cbranch_execz .LBB130_150
; %bb.149:
	v_cvt_i32_f32_e32 v3, v15
	v_cvt_i32_f32_e32 v5, v12
	s_mov_b32 s9, 0x66666667
	v_mul_hi_i32 v3, v3, s9
	v_lshrrev_b32_e32 v6, 31, v3
	v_ashrrev_i32_e32 v3, 2, v3
	v_mul_hi_i32 v5, v5, s9
	v_add_u32_e32 v3, v3, v6
	v_lshrrev_b32_e32 v6, 31, v5
	v_ashrrev_i32_e32 v5, 2, v5
	v_add_u32_e32 v5, v5, v6
	v_cmp_ne_u32_e32 vcc, v3, v5
	v_cndmask_b32_e64 v26, 0, 1, vcc
.LBB130_150:
	s_or_b64 exec, exec, s[10:11]
	v_add_u32_e32 v28, 11, v2
	v_cmp_gt_u64_e32 vcc, s[6:7], v[28:29]
	s_and_saveexec_b64 s[10:11], vcc
	s_cbranch_execz .LBB130_152
; %bb.151:
	v_cvt_i32_f32_e32 v3, v14
	v_cvt_i32_f32_e32 v5, v15
	s_mov_b32 s9, 0x66666667
	v_mul_hi_i32 v3, v3, s9
	v_lshrrev_b32_e32 v6, 31, v3
	v_ashrrev_i32_e32 v3, 2, v3
	v_mul_hi_i32 v5, v5, s9
	v_add_u32_e32 v3, v3, v6
	v_lshrrev_b32_e32 v6, 31, v5
	v_ashrrev_i32_e32 v5, 2, v5
	v_add_u32_e32 v5, v5, v6
	v_cmp_ne_u32_e32 vcc, v3, v5
	v_cndmask_b32_e64 v29, 0, 1, vcc
.LBB130_152:
	s_or_b64 exec, exec, s[10:11]
	v_add_u32_e32 v30, 10, v2
	v_mov_b32_e32 v31, 0
	v_cmp_gt_u64_e32 vcc, s[6:7], v[30:31]
	v_mov_b32_e32 v28, 0
	s_and_saveexec_b64 s[10:11], vcc
	s_cbranch_execz .LBB130_154
; %bb.153:
	v_cvt_i32_f32_e32 v3, v17
	v_cvt_i32_f32_e32 v5, v14
	s_mov_b32 s9, 0x66666667
	v_mul_hi_i32 v3, v3, s9
	v_lshrrev_b32_e32 v6, 31, v3
	v_ashrrev_i32_e32 v3, 2, v3
	v_mul_hi_i32 v5, v5, s9
	v_add_u32_e32 v3, v3, v6
	v_lshrrev_b32_e32 v6, 31, v5
	v_ashrrev_i32_e32 v5, 2, v5
	v_add_u32_e32 v5, v5, v6
	v_cmp_ne_u32_e32 vcc, v3, v5
	v_cndmask_b32_e64 v28, 0, 1, vcc
.LBB130_154:
	s_or_b64 exec, exec, s[10:11]
	v_add_u32_e32 v30, 9, v2
	v_cmp_gt_u64_e32 vcc, s[6:7], v[30:31]
	s_and_saveexec_b64 s[10:11], vcc
	s_cbranch_execz .LBB130_156
; %bb.155:
	v_cvt_i32_f32_e32 v3, v16
	v_cvt_i32_f32_e32 v5, v17
	s_mov_b32 s9, 0x66666667
	v_mul_hi_i32 v3, v3, s9
	v_lshrrev_b32_e32 v6, 31, v3
	v_ashrrev_i32_e32 v3, 2, v3
	v_mul_hi_i32 v5, v5, s9
	v_add_u32_e32 v3, v3, v6
	v_lshrrev_b32_e32 v6, 31, v5
	v_ashrrev_i32_e32 v5, 2, v5
	v_add_u32_e32 v5, v5, v6
	v_cmp_ne_u32_e32 vcc, v3, v5
	v_cndmask_b32_e64 v31, 0, 1, vcc
.LBB130_156:
	s_or_b64 exec, exec, s[10:11]
	v_add_u32_e32 v32, 8, v2
	v_mov_b32_e32 v33, 0
	v_cmp_gt_u64_e32 vcc, s[6:7], v[32:33]
	v_mov_b32_e32 v30, 0
	s_and_saveexec_b64 s[10:11], vcc
	s_cbranch_execz .LBB130_158
; %bb.157:
	v_cvt_i32_f32_e32 v3, v19
	v_cvt_i32_f32_e32 v5, v16
	s_mov_b32 s9, 0x66666667
	v_mul_hi_i32 v3, v3, s9
	v_lshrrev_b32_e32 v6, 31, v3
	v_ashrrev_i32_e32 v3, 2, v3
	v_mul_hi_i32 v5, v5, s9
	v_add_u32_e32 v3, v3, v6
	v_lshrrev_b32_e32 v6, 31, v5
	v_ashrrev_i32_e32 v5, 2, v5
	v_add_u32_e32 v5, v5, v6
	v_cmp_ne_u32_e32 vcc, v3, v5
	v_cndmask_b32_e64 v30, 0, 1, vcc
.LBB130_158:
	s_or_b64 exec, exec, s[10:11]
	v_add_u32_e32 v32, 7, v2
	v_cmp_gt_u64_e32 vcc, s[6:7], v[32:33]
	s_and_saveexec_b64 s[10:11], vcc
	s_cbranch_execz .LBB130_160
; %bb.159:
	v_cvt_i32_f32_e32 v3, v18
	v_cvt_i32_f32_e32 v5, v19
	s_mov_b32 s9, 0x66666667
	v_mul_hi_i32 v3, v3, s9
	v_lshrrev_b32_e32 v6, 31, v3
	v_ashrrev_i32_e32 v3, 2, v3
	v_mul_hi_i32 v5, v5, s9
	v_add_u32_e32 v3, v3, v6
	v_lshrrev_b32_e32 v6, 31, v5
	v_ashrrev_i32_e32 v5, 2, v5
	v_add_u32_e32 v5, v5, v6
	v_cmp_ne_u32_e32 vcc, v3, v5
	v_cndmask_b32_e64 v33, 0, 1, vcc
.LBB130_160:
	s_or_b64 exec, exec, s[10:11]
	v_add_u32_e32 v34, 6, v2
	v_mov_b32_e32 v35, 0
	v_cmp_gt_u64_e32 vcc, s[6:7], v[34:35]
	v_mov_b32_e32 v32, 0
	s_and_saveexec_b64 s[10:11], vcc
	s_cbranch_execz .LBB130_162
; %bb.161:
	v_cvt_i32_f32_e32 v3, v21
	v_cvt_i32_f32_e32 v5, v18
	s_mov_b32 s9, 0x66666667
	v_mul_hi_i32 v3, v3, s9
	v_lshrrev_b32_e32 v6, 31, v3
	v_ashrrev_i32_e32 v3, 2, v3
	v_mul_hi_i32 v5, v5, s9
	v_add_u32_e32 v3, v3, v6
	v_lshrrev_b32_e32 v6, 31, v5
	v_ashrrev_i32_e32 v5, 2, v5
	v_add_u32_e32 v5, v5, v6
	v_cmp_ne_u32_e32 vcc, v3, v5
	v_cndmask_b32_e64 v32, 0, 1, vcc
.LBB130_162:
	s_or_b64 exec, exec, s[10:11]
	v_add_u32_e32 v34, 5, v2
	v_cmp_gt_u64_e32 vcc, s[6:7], v[34:35]
	s_and_saveexec_b64 s[10:11], vcc
	s_cbranch_execz .LBB130_164
; %bb.163:
	v_cvt_i32_f32_e32 v3, v20
	v_cvt_i32_f32_e32 v5, v21
	s_mov_b32 s9, 0x66666667
	v_mul_hi_i32 v3, v3, s9
	v_lshrrev_b32_e32 v6, 31, v3
	v_ashrrev_i32_e32 v3, 2, v3
	v_mul_hi_i32 v5, v5, s9
	v_add_u32_e32 v3, v3, v6
	v_lshrrev_b32_e32 v6, 31, v5
	v_ashrrev_i32_e32 v5, 2, v5
	v_add_u32_e32 v5, v5, v6
	v_cmp_ne_u32_e32 vcc, v3, v5
	v_cndmask_b32_e64 v35, 0, 1, vcc
.LBB130_164:
	s_or_b64 exec, exec, s[10:11]
	v_add_u32_e32 v36, 4, v2
	v_mov_b32_e32 v37, 0
	v_cmp_gt_u64_e32 vcc, s[6:7], v[36:37]
	v_mov_b32_e32 v34, 0
	s_and_saveexec_b64 s[10:11], vcc
	s_cbranch_execz .LBB130_166
; %bb.165:
	v_cvt_i32_f32_e32 v3, v23
	v_cvt_i32_f32_e32 v5, v20
	s_mov_b32 s9, 0x66666667
	v_mul_hi_i32 v3, v3, s9
	v_lshrrev_b32_e32 v6, 31, v3
	v_ashrrev_i32_e32 v3, 2, v3
	v_mul_hi_i32 v5, v5, s9
	v_add_u32_e32 v3, v3, v6
	v_lshrrev_b32_e32 v6, 31, v5
	v_ashrrev_i32_e32 v5, 2, v5
	v_add_u32_e32 v5, v5, v6
	v_cmp_ne_u32_e32 vcc, v3, v5
	v_cndmask_b32_e64 v34, 0, 1, vcc
.LBB130_166:
	s_or_b64 exec, exec, s[10:11]
	v_add_u32_e32 v36, 3, v2
	v_cmp_gt_u64_e32 vcc, s[6:7], v[36:37]
	s_and_saveexec_b64 s[10:11], vcc
	s_cbranch_execz .LBB130_168
; %bb.167:
	v_cvt_i32_f32_e32 v3, v22
	v_cvt_i32_f32_e32 v5, v23
	s_mov_b32 s9, 0x66666667
	v_mul_hi_i32 v3, v3, s9
	v_lshrrev_b32_e32 v6, 31, v3
	v_ashrrev_i32_e32 v3, 2, v3
	v_mul_hi_i32 v5, v5, s9
	v_add_u32_e32 v3, v3, v6
	v_lshrrev_b32_e32 v6, 31, v5
	v_ashrrev_i32_e32 v5, 2, v5
	v_add_u32_e32 v5, v5, v6
	v_cmp_ne_u32_e32 vcc, v3, v5
	v_cndmask_b32_e64 v37, 0, 1, vcc
.LBB130_168:
	s_or_b64 exec, exec, s[10:11]
	v_add_u32_e32 v38, 2, v2
	v_mov_b32_e32 v39, 0
	v_cmp_gt_u64_e32 vcc, s[6:7], v[38:39]
	v_mov_b32_e32 v36, 0
	s_and_saveexec_b64 s[10:11], vcc
	s_cbranch_execz .LBB130_170
; %bb.169:
	v_cvt_i32_f32_e32 v3, v25
	v_cvt_i32_f32_e32 v5, v22
	s_mov_b32 s9, 0x66666667
	v_mul_hi_i32 v3, v3, s9
	v_lshrrev_b32_e32 v6, 31, v3
	v_ashrrev_i32_e32 v3, 2, v3
	v_mul_hi_i32 v5, v5, s9
	v_add_u32_e32 v3, v3, v6
	v_lshrrev_b32_e32 v6, 31, v5
	v_ashrrev_i32_e32 v5, 2, v5
	v_add_u32_e32 v5, v5, v6
	v_cmp_ne_u32_e32 vcc, v3, v5
	v_cndmask_b32_e64 v36, 0, 1, vcc
.LBB130_170:
	s_or_b64 exec, exec, s[10:11]
	v_add_u32_e32 v38, 1, v2
	v_cmp_gt_u64_e32 vcc, s[6:7], v[38:39]
	s_and_saveexec_b64 s[10:11], vcc
	s_cbranch_execz .LBB130_172
; %bb.171:
	v_cvt_i32_f32_e32 v3, v24
	v_cvt_i32_f32_e32 v5, v25
	s_mov_b32 s9, 0x66666667
	v_mul_hi_i32 v3, v3, s9
	v_lshrrev_b32_e32 v6, 31, v3
	v_ashrrev_i32_e32 v3, 2, v3
	v_mul_hi_i32 v5, v5, s9
	v_add_u32_e32 v3, v3, v6
	v_lshrrev_b32_e32 v6, 31, v5
	v_ashrrev_i32_e32 v5, 2, v5
	v_add_u32_e32 v5, v5, v6
	v_cmp_ne_u32_e32 vcc, v3, v5
	v_cndmask_b32_e64 v39, 0, 1, vcc
.LBB130_172:
	s_or_b64 exec, exec, s[10:11]
	v_cmp_ne_u32_e32 vcc, 0, v0
	s_waitcnt lgkmcnt(0)
	s_barrier
	s_waitcnt lgkmcnt(0)
                                        ; implicit-def: $sgpr12_sgpr13
	s_and_saveexec_b64 s[10:11], vcc
	s_cbranch_execz .LBB130_176
; %bb.173:
	v_mov_b32_e32 v3, 0
	v_cmp_gt_u64_e32 vcc, s[6:7], v[2:3]
	s_mov_b64 s[12:13], 0
	s_and_saveexec_b64 s[6:7], vcc
	s_cbranch_execz .LBB130_175
; %bb.174:
	v_add_u32_e32 v2, -4, v4
	ds_read_b32 v2, v2
	v_cvt_i32_f32_e32 v3, v24
	s_mov_b32 s9, 0x66666667
	v_mul_hi_i32 v3, v3, s9
	s_waitcnt lgkmcnt(0)
	v_cvt_i32_f32_e32 v2, v2
	v_lshrrev_b32_e32 v4, 31, v3
	v_ashrrev_i32_e32 v3, 2, v3
	v_add_u32_e32 v3, v3, v4
	v_mul_hi_i32 v2, v2, s9
	v_lshrrev_b32_e32 v5, 31, v2
	v_ashrrev_i32_e32 v2, 2, v2
	v_add_u32_e32 v2, v2, v5
	v_cmp_ne_u32_e32 vcc, v2, v3
	s_and_b64 s[12:13], vcc, exec
.LBB130_175:
	s_or_b64 exec, exec, s[6:7]
	s_and_b64 s[12:13], s[12:13], exec
	s_or_b64 s[4:5], s[4:5], exec
.LBB130_176:
	s_or_b64 exec, exec, s[10:11]
	s_mov_b32 s14, 1
	v_mov_b32_e32 v60, s14
	s_and_saveexec_b64 s[6:7], s[4:5]
	s_cbranch_execnz .LBB130_72
	s_branch .LBB130_73
.LBB130_177:
	v_cndmask_b32_e64 v5, 0, 1, vcc
	v_readfirstlane_b32 s36, v5
	s_sub_i32 s64, s64, s36
	v_lshlrev_b32_e32 v5, 16, v57
	s_mov_b32 s36, 0x4020c0c
	v_lshlrev_b32_e32 v8, 8, v38
	v_perm_b32 v5, v56, v5, s36
	v_and_b32_e32 v8, 0xff00, v8
	v_and_b32_e32 v4, 0xff, v4
	v_or3_b32 v38, v5, v8, v4
.LBB130_178:
	v_mov_b32_e32 v4, 2
	v_cmp_eq_u16_sdwa vcc, v6, v4 src0_sel:BYTE_0 src1_sel:DWORD
	s_cbranch_vccz .LBB130_183
; %bb.179:
	s_ff1_i32_b64 s36, vcc
	s_cmp_eq_u32 s36, 0
	s_cbranch_scc1 .LBB130_184
; %bb.180:
	v_cmp_eq_u32_e32 vcc, 0, v38
	v_mov_b32_e32 v9, v7
	v_mov_b32_e32 v8, v38
.LBB130_181:                            ; =>This Inner Loop Header: Depth=1
	s_nop 1
	v_mov_b32_dpp v4, v8 wave_rol:1 row_mask:0xf bank_mask:0xf
	v_mov_b32_dpp v5, v9 wave_rol:1 row_mask:0xf bank_mask:0xf
	v_add_u32_e32 v8, v4, v38
	v_add_f32_e32 v4, v7, v5
	s_add_i32 s36, s36, -1
	s_cmp_lg_u32 s36, 0
	v_cndmask_b32_e32 v9, v7, v4, vcc
	s_cbranch_scc1 .LBB130_181
; %bb.182:
	s_cmp_lt_i32 s64, 1
	s_cbranch_scc0 .LBB130_185
	s_branch .LBB130_190
.LBB130_183:
	s_mov_b64 s[8:9], 0
	s_mov_b64 s[36:37], -1
	s_branch .LBB130_195
.LBB130_184:
	v_mov_b32_e32 v9, v7
	v_mov_b32_e32 v8, v38
	s_cmp_lt_i32 s64, 1
	s_cbranch_scc1 .LBB130_190
.LBB130_185:
	v_mov_b32_e32 v4, 0
.LBB130_186:                            ; =>This Loop Header: Depth=1
                                        ;     Child Loop BB130_187 Depth 2
	s_add_i32 s36, s64, -1
	s_lshl_b32 s37, s36, 3
	v_add_u32_e32 v6, s37, v4
	buffer_load_dword v5, v6, s[0:3], 0 offen
	s_nop 0
	buffer_load_dword v6, v6, s[0:3], 0 offen offset:4
	s_mov_b32 s37, 64
	s_waitcnt vmcnt(1)
	v_cmp_eq_u32_e32 vcc, 0, v5
.LBB130_187:                            ;   Parent Loop BB130_186 Depth=1
                                        ; =>  This Inner Loop Header: Depth=2
	v_mov_b32_dpp v7, v8 wave_rol:1 row_mask:0xf bank_mask:0xf
	v_mov_b32_dpp v8, v9 wave_rol:1 row_mask:0xf bank_mask:0xf
	s_waitcnt vmcnt(0)
	v_add_f32_e32 v8, v6, v8
	v_cndmask_b32_e32 v8, v6, v8, vcc
	v_add_u32_e32 v7, v7, v5
	s_add_i32 s37, s37, -16
	v_mov_b32_dpp v8, v8 wave_rol:1 row_mask:0xf bank_mask:0xf
	v_add_f32_e32 v8, v6, v8
	v_cndmask_b32_e32 v8, v6, v8, vcc
	v_mov_b32_dpp v7, v7 wave_rol:1 row_mask:0xf bank_mask:0xf
	v_add_u32_e32 v7, v7, v5
	v_mov_b32_dpp v8, v8 wave_rol:1 row_mask:0xf bank_mask:0xf
	v_add_f32_e32 v8, v6, v8
	v_cndmask_b32_e32 v8, v6, v8, vcc
	v_mov_b32_dpp v7, v7 wave_rol:1 row_mask:0xf bank_mask:0xf
	v_add_u32_e32 v7, v7, v5
	v_mov_b32_dpp v8, v8 wave_rol:1 row_mask:0xf bank_mask:0xf
	v_add_f32_e32 v8, v6, v8
	v_cndmask_b32_e32 v8, v6, v8, vcc
	v_mov_b32_dpp v7, v7 wave_rol:1 row_mask:0xf bank_mask:0xf
	v_add_u32_e32 v7, v7, v5
	v_mov_b32_dpp v8, v8 wave_rol:1 row_mask:0xf bank_mask:0xf
	v_add_f32_e32 v8, v6, v8
	v_cndmask_b32_e32 v8, v6, v8, vcc
	v_mov_b32_dpp v7, v7 wave_rol:1 row_mask:0xf bank_mask:0xf
	v_add_u32_e32 v7, v7, v5
	v_mov_b32_dpp v8, v8 wave_rol:1 row_mask:0xf bank_mask:0xf
	v_add_f32_e32 v8, v6, v8
	v_cndmask_b32_e32 v8, v6, v8, vcc
	v_mov_b32_dpp v7, v7 wave_rol:1 row_mask:0xf bank_mask:0xf
	v_add_u32_e32 v7, v7, v5
	v_mov_b32_dpp v8, v8 wave_rol:1 row_mask:0xf bank_mask:0xf
	v_add_f32_e32 v8, v6, v8
	v_cndmask_b32_e32 v8, v6, v8, vcc
	v_mov_b32_dpp v7, v7 wave_rol:1 row_mask:0xf bank_mask:0xf
	v_add_u32_e32 v7, v7, v5
	v_mov_b32_dpp v8, v8 wave_rol:1 row_mask:0xf bank_mask:0xf
	v_add_f32_e32 v8, v6, v8
	v_cndmask_b32_e32 v8, v6, v8, vcc
	v_mov_b32_dpp v7, v7 wave_rol:1 row_mask:0xf bank_mask:0xf
	v_add_u32_e32 v7, v7, v5
	v_mov_b32_dpp v8, v8 wave_rol:1 row_mask:0xf bank_mask:0xf
	v_add_f32_e32 v8, v6, v8
	v_cndmask_b32_e32 v8, v6, v8, vcc
	v_mov_b32_dpp v7, v7 wave_rol:1 row_mask:0xf bank_mask:0xf
	v_add_u32_e32 v7, v7, v5
	v_mov_b32_dpp v8, v8 wave_rol:1 row_mask:0xf bank_mask:0xf
	v_add_f32_e32 v8, v6, v8
	v_cndmask_b32_e32 v8, v6, v8, vcc
	v_mov_b32_dpp v7, v7 wave_rol:1 row_mask:0xf bank_mask:0xf
	v_add_u32_e32 v7, v7, v5
	v_mov_b32_dpp v8, v8 wave_rol:1 row_mask:0xf bank_mask:0xf
	v_add_f32_e32 v8, v6, v8
	v_cndmask_b32_e32 v8, v6, v8, vcc
	v_mov_b32_dpp v7, v7 wave_rol:1 row_mask:0xf bank_mask:0xf
	v_add_u32_e32 v7, v7, v5
	v_mov_b32_dpp v8, v8 wave_rol:1 row_mask:0xf bank_mask:0xf
	v_add_f32_e32 v8, v6, v8
	v_cndmask_b32_e32 v8, v6, v8, vcc
	v_mov_b32_dpp v7, v7 wave_rol:1 row_mask:0xf bank_mask:0xf
	v_add_u32_e32 v7, v7, v5
	v_mov_b32_dpp v8, v8 wave_rol:1 row_mask:0xf bank_mask:0xf
	v_add_f32_e32 v8, v6, v8
	v_cndmask_b32_e32 v8, v6, v8, vcc
	v_mov_b32_dpp v7, v7 wave_rol:1 row_mask:0xf bank_mask:0xf
	v_add_u32_e32 v7, v7, v5
	v_mov_b32_dpp v8, v8 wave_rol:1 row_mask:0xf bank_mask:0xf
	v_add_f32_e32 v8, v6, v8
	v_mov_b32_dpp v7, v7 wave_rol:1 row_mask:0xf bank_mask:0xf
	v_cndmask_b32_e32 v8, v6, v8, vcc
	v_add_u32_e32 v7, v7, v5
	s_cmp_lg_u32 s37, 0
	v_mov_b32_dpp v8, v8 wave_rol:1 row_mask:0xf bank_mask:0xf
	v_mov_b32_dpp v7, v7 wave_rol:1 row_mask:0xf bank_mask:0xf
	v_add_f32_e32 v8, v6, v8
	v_add_u32_e32 v7, v7, v5
	v_cndmask_b32_e32 v8, v6, v8, vcc
	s_nop 0
	v_mov_b32_dpp v7, v7 wave_rol:1 row_mask:0xf bank_mask:0xf
	v_mov_b32_dpp v9, v8 wave_rol:1 row_mask:0xf bank_mask:0xf
	v_add_u32_e32 v8, v7, v5
	v_add_f32_e32 v7, v6, v9
	v_cndmask_b32_e32 v9, v6, v7, vcc
	s_cbranch_scc1 .LBB130_187
; %bb.188:                              ;   in Loop: Header=BB130_186 Depth=1
	s_cmp_gt_i32 s64, 1
	s_cbranch_scc0 .LBB130_190
; %bb.189:                              ;   in Loop: Header=BB130_186 Depth=1
	s_mov_b32 s64, s36
	s_branch .LBB130_186
.LBB130_190:
	v_readfirstlane_b32 s56, v8
	v_readfirstlane_b32 s57, v9
	s_and_saveexec_b64 s[36:37], s[30:31]
	s_cbranch_execz .LBB130_192
; %bb.191:
	v_mov_b32_e32 v5, s57
	v_add_f32_e32 v4, s9, v5
	v_mov_b32_e32 v7, s9
	v_cmp_eq_u32_e32 vcc, 0, v2
	s_mov_b32 s63, 0
	v_cndmask_b32_e32 v4, v7, v4, vcc
	s_add_i32 s62, s8, 64
	s_lshl_b64 s[8:9], s[62:63], 4
	v_and_b32_e32 v7, 0xff000000, v4
	v_and_b32_e32 v8, 0xff0000, v4
	s_add_u32 s8, s44, s8
	v_or_b32_e32 v7, v8, v7
	v_and_b32_e32 v8, 0xff00, v4
	s_addc_u32 s9, s45, s9
	v_or_b32_e32 v7, v7, v8
	v_add_u32_e32 v6, s56, v2
	v_mov_b32_e32 v9, 0
	v_or_b32_sdwa v7, v7, v4 dst_sel:DWORD dst_unused:UNUSED_PAD src0_sel:DWORD src1_sel:BYTE_0
	v_mov_b32_e32 v8, 2
	v_pk_mov_b32 v[10:11], s[8:9], s[8:9] op_sel:[0,1]
	;;#ASMSTART
	global_store_dwordx4 v[10:11], v[6:9] off	
s_waitcnt vmcnt(0)
	;;#ASMEND
	v_mov_b32_e32 v4, s56
	ds_write_b128 v9, v[2:5] offset:2048
.LBB130_192:
	s_or_b64 exec, exec, s[36:37]
	v_cmp_eq_u32_e32 vcc, 0, v0
	s_and_saveexec_b64 s[8:9], vcc
	s_cbranch_execz .LBB130_194
; %bb.193:
	v_mov_b32_e32 v2, s56
	v_mov_b32_e32 v3, s57
	;; [unrolled: 1-line block ×3, first 2 shown]
	ds_write_b64 v4, v[2:3] offset:2088
.LBB130_194:
	s_or_b64 exec, exec, s[8:9]
	s_mov_b64 s[8:9], -1
	s_mov_b64 s[36:37], 0
.LBB130_195:
	s_and_b64 s[36:37], s[36:37], exec
	s_orn2_b64 s[56:57], s[8:9], exec
.LBB130_196:
	s_or_b64 exec, exec, s[50:51]
                                        ; implicit-def: $vgpr2
                                        ; implicit-def: $vgpr38
                                        ; implicit-def: $vgpr6
                                        ; implicit-def: $vgpr62
                                        ; implicit-def: $vgpr56
                                        ; implicit-def: $vgpr57
                                        ; implicit-def: $vgpr61
                                        ; implicit-def: $vgpr63
                                        ; implicit-def: $vgpr64
                                        ; implicit-def: $vgpr65
                                        ; implicit-def: $vgpr66
                                        ; implicit-def: $vgpr67
                                        ; implicit-def: $vgpr68
                                        ; implicit-def: $vgpr69
                                        ; implicit-def: $vgpr70
                                        ; implicit-def: $vgpr71
                                        ; implicit-def: $vgpr72
                                        ; implicit-def: $vgpr73
	s_and_saveexec_b64 s[8:9], s[56:57]
	s_cbranch_execz .LBB130_199
; %bb.197:
	v_mov_b32_e32 v4, 0
	s_waitcnt lgkmcnt(0)
	s_barrier
	ds_read_b64 v[2:3], v4 offset:2088
	v_cndmask_b32_e64 v5, v80, v55, s[30:31]
	v_cndmask_b32_e64 v6, v79, v54, s[30:31]
	v_cmp_eq_u32_e32 vcc, 0, v6
	s_waitcnt lgkmcnt(0)
	v_add_f32_e32 v7, v5, v3
	v_cndmask_b32_e32 v5, v5, v7, vcc
	v_cmp_eq_u32_e32 vcc, 0, v0
	v_cndmask_b32_e32 v73, v5, v3, vcc
	v_cndmask_b32_e64 v3, v6, 0, vcc
	v_add_u32_e32 v7, v2, v3
	v_add_f32_e32 v2, v50, v73
	v_cmp_eq_u32_e32 vcc, 0, v60
	v_cndmask_b32_e32 v72, v50, v2, vcc
	v_add_f32_e32 v2, v52, v72
	v_cndmask_b32_e64 v71, v52, v2, s[28:29]
	v_add_f32_e32 v2, v51, v71
	v_cndmask_b32_e64 v70, v51, v2, s[26:27]
	;; [unrolled: 2-line block ×11, first 2 shown]
	s_barrier
	ds_read_b128 v[2:5], v4 offset:2048
	v_add_f32_e32 v6, v40, v57
	v_cndmask_b32_e64 v56, v40, v6, s[6:7]
	v_add_f32_e32 v6, v59, v56
	s_mov_b64 s[48:49], exec
	s_waitcnt lgkmcnt(0)
	v_add_f32_e32 v5, v5, v3
	v_cmp_eq_u32_e32 vcc, 0, v2
	v_cndmask_b32_e64 v62, v59, v6, s[4:5]
	v_cndmask_b32_e32 v38, v3, v5, vcc
	v_mov_b32_e32 v6, v4
	v_mov_b32_e32 v5, v7
	s_or_b64 exec, exec, s[8:9]
	s_and_saveexec_b64 s[4:5], s[36:37]
	s_xor_b64 s[4:5], exec, s[4:5]
	s_cbranch_execz .LBB130_200
.LBB130_198:
	s_trap 2
	; divergent unreachable
                                        ; implicit-def: $vgpr62
                                        ; implicit-def: $vgpr56
                                        ; implicit-def: $vgpr57
                                        ; implicit-def: $vgpr61
                                        ; implicit-def: $vgpr63
                                        ; implicit-def: $vgpr64
                                        ; implicit-def: $vgpr65
                                        ; implicit-def: $vgpr66
                                        ; implicit-def: $vgpr67
                                        ; implicit-def: $vgpr68
                                        ; implicit-def: $vgpr69
                                        ; implicit-def: $vgpr70
                                        ; implicit-def: $vgpr71
                                        ; implicit-def: $vgpr72
                                        ; implicit-def: $vgpr73
	s_branch .LBB130_200
.LBB130_199:
	s_or_b64 exec, exec, s[8:9]
	s_and_saveexec_b64 s[4:5], s[36:37]
	s_xor_b64 s[4:5], exec, s[4:5]
	s_cbranch_execnz .LBB130_198
.LBB130_200:
	s_or_b64 exec, exec, s[4:5]
	s_branch .LBB130_103
.LBB130_201:
	s_and_b64 s[4:5], s[46:47], exec
	s_cselect_b32 s5, 0, s61
	s_cselect_b32 s4, 0, s60
	s_cmp_eq_u64 s[4:5], 0
	v_mov_b32_e32 v6, v50
	s_cbranch_scc1 .LBB130_203
; %bb.202:
	v_mov_b32_e32 v2, 0
	global_load_dword v6, v2, s[4:5]
.LBB130_203:
	v_cmp_eq_u32_e64 s[4:5], 0, v39
	v_cndmask_b32_e64 v2, v52, v78, s[4:5]
	v_add_f32_e32 v2, v51, v2
	v_cmp_eq_u32_e64 s[6:7], 0, v36
	v_cndmask_b32_e64 v2, v51, v2, s[6:7]
	v_add_f32_e32 v2, v53, v2
	;; [unrolled: 3-line block ×11, first 2 shown]
	v_cmp_eq_u32_e64 s[26:27], 0, v26
	v_cndmask_b32_e64 v2, v40, v2, s[26:27]
	v_add3_u32 v3, v77, v35, v32
	v_add_f32_e32 v2, v59, v2
	v_cmp_eq_u32_e32 vcc, 0, v27
	v_add3_u32 v3, v3, v33, v30
	v_cndmask_b32_e32 v2, v59, v2, vcc
	v_add3_u32 v3, v3, v31, v28
	v_add_f32_e32 v2, v41, v2
	v_cmp_eq_u32_e64 s[28:29], 0, v58
	v_add3_u32 v3, v3, v29, v26
	v_cndmask_b32_e64 v2, v41, v2, s[28:29]
	v_add3_u32 v3, v3, v27, v58
	v_mbcnt_hi_u32_b32 v7, -1, v76
	v_mov_b32_dpp v8, v2 row_shr:1 row_mask:0xf bank_mask:0xf
	s_waitcnt vmcnt(0) lgkmcnt(0)
	v_and_b32_e32 v4, 15, v7
	v_add_f32_e32 v8, v2, v8
	v_cmp_eq_u32_e64 s[28:29], 0, v3
	v_mov_b32_dpp v5, v3 row_shr:1 row_mask:0xf bank_mask:0xf
	v_cndmask_b32_e64 v8, v2, v8, s[28:29]
	v_cmp_eq_u32_e64 s[28:29], 0, v4
	v_cndmask_b32_e64 v5, v5, 0, s[28:29]
	v_cndmask_b32_e64 v2, v8, v2, s[28:29]
	v_add_u32_e32 v3, v5, v3
	v_cmp_eq_u32_e64 s[28:29], 0, v3
	v_mov_b32_dpp v8, v2 row_shr:2 row_mask:0xf bank_mask:0xf
	v_add_f32_e32 v8, v2, v8
	v_mov_b32_dpp v5, v3 row_shr:2 row_mask:0xf bank_mask:0xf
	v_cndmask_b32_e64 v8, v2, v8, s[28:29]
	v_cmp_lt_u32_e64 s[28:29], 1, v4
	v_cndmask_b32_e64 v2, v2, v8, s[28:29]
	v_cndmask_b32_e64 v5, 0, v5, s[28:29]
	v_add_u32_e32 v3, v3, v5
	v_mov_b32_dpp v8, v2 row_shr:4 row_mask:0xf bank_mask:0xf
	v_add_f32_e32 v8, v2, v8
	v_cmp_eq_u32_e64 s[28:29], 0, v3
	v_mov_b32_dpp v5, v3 row_shr:4 row_mask:0xf bank_mask:0xf
	v_cndmask_b32_e64 v8, v2, v8, s[28:29]
	v_cmp_lt_u32_e64 s[28:29], 3, v4
	v_cndmask_b32_e64 v2, v2, v8, s[28:29]
	v_cndmask_b32_e64 v5, 0, v5, s[28:29]
	v_add_u32_e32 v3, v5, v3
	v_mov_b32_dpp v8, v2 row_shr:8 row_mask:0xf bank_mask:0xf
	v_add_f32_e32 v8, v2, v8
	v_cmp_eq_u32_e64 s[28:29], 0, v3
	v_mov_b32_dpp v5, v3 row_shr:8 row_mask:0xf bank_mask:0xf
	v_cndmask_b32_e64 v8, v2, v8, s[28:29]
	v_cmp_lt_u32_e64 s[28:29], 7, v4
	v_cndmask_b32_e64 v2, v2, v8, s[28:29]
	v_cndmask_b32_e64 v4, 0, v5, s[28:29]
	v_add_u32_e32 v3, v4, v3
	v_mov_b32_dpp v5, v2 row_bcast:15 row_mask:0xf bank_mask:0xf
	v_bfe_i32 v8, v7, 4, 1
	v_mov_b32_dpp v4, v3 row_bcast:15 row_mask:0xf bank_mask:0xf
	v_and_b32_e32 v9, 16, v7
	v_add_f32_e32 v5, v2, v5
	v_cmp_eq_u32_e64 s[28:29], 0, v3
	v_cndmask_b32_e64 v5, v2, v5, s[28:29]
	v_and_b32_e32 v4, v8, v4
	v_cmp_eq_u32_e64 s[28:29], 0, v9
	v_add_u32_e32 v3, v4, v3
	v_cndmask_b32_e64 v4, v5, v2, s[28:29]
	v_cmp_eq_u32_e64 s[28:29], 0, v3
	v_mov_b32_dpp v2, v3 row_bcast:31 row_mask:0xf bank_mask:0xf
	v_mov_b32_dpp v5, v4 row_bcast:31 row_mask:0xf bank_mask:0xf
	v_add_f32_e32 v5, v4, v5
	v_cndmask_b32_e64 v5, v4, v5, s[28:29]
	v_cmp_lt_u32_e64 s[28:29], 31, v7
	v_cndmask_b32_e64 v2, 0, v2, s[28:29]
	v_add_u32_e32 v2, v2, v3
	v_cmp_eq_u32_e64 s[30:31], v75, v0
	v_cndmask_b32_e64 v3, v4, v5, s[28:29]
	s_and_saveexec_b64 s[28:29], s[30:31]
	s_cbranch_execz .LBB130_205
; %bb.204:
	v_lshlrev_b32_e32 v4, 3, v74
	ds_write_b64 v4, v[2:3] offset:2064
.LBB130_205:
	s_or_b64 exec, exec, s[28:29]
	v_cmp_gt_u32_e64 s[28:29], 4, v0
	s_waitcnt lgkmcnt(0)
	s_barrier
	s_and_saveexec_b64 s[34:35], s[28:29]
	s_cbranch_execz .LBB130_207
; %bb.206:
	v_lshlrev_b32_e32 v8, 3, v0
	ds_read_b64 v[4:5], v8 offset:2064
	v_and_b32_e32 v9, 3, v7
	v_cmp_lt_u32_e64 s[30:31], 1, v9
	s_waitcnt lgkmcnt(0)
	v_mov_b32_dpp v11, v5 row_shr:1 row_mask:0xf bank_mask:0xf
	v_add_f32_e32 v11, v5, v11
	v_cmp_eq_u32_e64 s[28:29], 0, v4
	v_mov_b32_dpp v10, v4 row_shr:1 row_mask:0xf bank_mask:0xf
	v_cndmask_b32_e64 v11, v5, v11, s[28:29]
	v_cmp_eq_u32_e64 s[28:29], 0, v9
	v_cndmask_b32_e64 v10, v10, 0, s[28:29]
	v_add_u32_e32 v4, v10, v4
	v_cndmask_b32_e64 v5, v11, v5, s[28:29]
	v_cmp_eq_u32_e64 s[28:29], 0, v4
	v_mov_b32_dpp v10, v4 row_shr:2 row_mask:0xf bank_mask:0xf
	v_mov_b32_dpp v11, v5 row_shr:2 row_mask:0xf bank_mask:0xf
	v_add_f32_e32 v11, v5, v11
	v_cndmask_b32_e64 v9, 0, v10, s[30:31]
	s_and_b64 s[28:29], s[30:31], s[28:29]
	v_add_u32_e32 v4, v9, v4
	v_cndmask_b32_e64 v5, v5, v11, s[28:29]
	ds_write_b64 v8, v[4:5] offset:2064
.LBB130_207:
	s_or_b64 exec, exec, s[34:35]
	v_cmp_lt_u32_e64 s[28:29], 63, v0
	v_mov_b32_e32 v8, 0
	v_mov_b32_e32 v4, 0
	;; [unrolled: 1-line block ×3, first 2 shown]
	s_waitcnt lgkmcnt(0)
	s_barrier
	s_and_saveexec_b64 s[30:31], s[28:29]
	s_cbranch_execz .LBB130_209
; %bb.208:
	v_lshlrev_b32_e32 v4, 3, v74
	ds_read_b64 v[4:5], v4 offset:2056
	s_waitcnt lgkmcnt(0)
	v_add_f32_e32 v9, v6, v5
	v_cmp_eq_u32_e64 s[28:29], 0, v4
	v_cndmask_b32_e64 v9, v5, v9, s[28:29]
.LBB130_209:
	s_or_b64 exec, exec, s[30:31]
	v_add_f32_e32 v10, v3, v9
	v_cmp_eq_u32_e64 s[28:29], 0, v2
	v_add_u32_e32 v5, v4, v2
	v_cndmask_b32_e64 v2, v3, v10, s[28:29]
	v_add_u32_e32 v3, -1, v7
	v_and_b32_e32 v10, 64, v7
	v_cmp_lt_i32_e64 s[28:29], v3, v10
	v_cndmask_b32_e64 v3, v3, v7, s[28:29]
	v_lshlrev_b32_e32 v3, 2, v3
	ds_bpermute_b32 v5, v3, v5
	ds_bpermute_b32 v2, v3, v2
	v_cmp_eq_u32_e64 s[28:29], 0, v7
	v_cmp_eq_u32_e64 s[30:31], 0, v60
	s_waitcnt lgkmcnt(1)
	v_cndmask_b32_e64 v5, v5, v4, s[28:29]
	s_waitcnt lgkmcnt(0)
	v_cndmask_b32_e64 v73, v2, v9, s[28:29]
	v_cmp_eq_u32_e64 s[28:29], 0, v0
	v_cndmask_b32_e64 v2, v73, v6, s[28:29]
	v_add_f32_e32 v2, v50, v2
	v_cndmask_b32_e64 v72, v50, v2, s[30:31]
	v_add_f32_e32 v2, v52, v72
	;; [unrolled: 2-line block ×11, first 2 shown]
	v_cndmask_b32_e64 v61, v45, v2, s[24:25]
	ds_read_b64 v[2:3], v8 offset:2088
	v_add_f32_e32 v4, v43, v61
	v_cndmask_b32_e64 v57, v43, v4, s[22:23]
	v_add_f32_e32 v4, v40, v57
	v_cndmask_b32_e64 v56, v40, v4, s[26:27]
	s_waitcnt lgkmcnt(0)
	v_add_f32_e32 v4, v6, v3
	v_cmp_eq_u32_e64 s[4:5], 0, v2
	v_add_f32_e32 v7, v59, v56
	v_cndmask_b32_e64 v38, v3, v4, s[4:5]
	s_and_saveexec_b64 s[4:5], s[28:29]
	s_cbranch_execz .LBB130_211
; %bb.210:
	s_add_u32 s6, s44, 0x400
	v_and_b32_e32 v3, 0xff000000, v38
	v_and_b32_e32 v4, 0xff0000, v38
	s_addc_u32 s7, s45, 0
	v_or_b32_e32 v3, v4, v3
	v_and_b32_e32 v4, 0xff00, v38
	v_and_b32_e32 v8, 0xff, v38
	v_mov_b32_e32 v5, 0
	v_or3_b32 v3, v3, v4, v8
	v_mov_b32_e32 v4, 2
	v_pk_mov_b32 v[8:9], s[6:7], s[6:7] op_sel:[0,1]
	;;#ASMSTART
	global_store_dwordx4 v[8:9], v[2:5] off	
s_waitcnt vmcnt(0)
	;;#ASMEND
	v_mov_b32_e32 v73, v6
.LBB130_211:
	s_or_b64 exec, exec, s[4:5]
	v_cndmask_b32_e32 v62, v59, v7, vcc
	s_mov_b64 s[48:49], -1
	v_mov_b32_e32 v6, 0
	s_and_saveexec_b64 s[4:5], s[48:49]
	s_cbranch_execz .LBB130_395
.LBB130_212:
	s_and_b64 s[4:5], s[46:47], exec
	s_cselect_b32 s5, 0, s59
	s_cselect_b32 s4, 0, s58
	s_cmp_eq_u64 s[4:5], 0
	v_pk_mov_b32 v[8:9], 0, 0
	s_waitcnt lgkmcnt(0)
	s_barrier
	s_cbranch_scc1 .LBB130_214
; %bb.213:
	v_mov_b32_e32 v3, 0
	global_load_dwordx2 v[8:9], v3, s[4:5]
.LBB130_214:
	s_waitcnt vmcnt(0)
	v_lshlrev_b64 v[10:11], 2, v[8:9]
	v_mov_b32_e32 v7, s43
	v_add_co_u32_e32 v54, vcc, s42, v10
	v_addc_co_u32_e32 v55, vcc, v7, v11, vcc
	v_mov_b32_e32 v7, 0
	v_lshlrev_b64 v[40:41], 2, v[6:7]
	v_add_co_u32_e32 v7, vcc, v54, v40
	v_addc_co_u32_e32 v54, vcc, v55, v41, vcc
	v_cmp_eq_u32_e32 vcc, 0, v60
	v_cndmask_b32_e64 v55, 1, 2, vcc
	v_cmp_eq_u32_e32 vcc, 0, v39
	v_cndmask_b32_e64 v59, 1, 2, vcc
	v_cmp_eq_u32_e32 vcc, 0, v36
	v_add_u32_e32 v53, v5, v60
	v_and_b32_e32 v55, v59, v55
	v_cndmask_b32_e64 v59, 1, 2, vcc
	v_cmp_eq_u32_e32 vcc, 0, v37
	v_add_u32_e32 v52, v53, v39
	v_and_b32_e32 v55, v55, v59
	v_cndmask_b32_e64 v59, 1, 2, vcc
	v_cmp_eq_u32_e32 vcc, 0, v34
	v_add_u32_e32 v51, v52, v36
	v_and_b32_e32 v55, v55, v59
	v_cndmask_b32_e64 v59, 1, 2, vcc
	v_cmp_eq_u32_e32 vcc, 0, v35
	v_add_u32_e32 v50, v51, v37
	v_and_b32_e32 v55, v55, v59
	v_cndmask_b32_e64 v59, 1, 2, vcc
	v_cmp_eq_u32_e32 vcc, 0, v32
	v_add_u32_e32 v49, v50, v34
	v_and_b32_e32 v55, v55, v59
	v_cndmask_b32_e64 v59, 1, 2, vcc
	v_cmp_eq_u32_e32 vcc, 0, v33
	v_add_u32_e32 v48, v49, v35
	v_and_b32_e32 v55, v55, v59
	v_cndmask_b32_e64 v59, 1, 2, vcc
	v_cmp_eq_u32_e32 vcc, 0, v30
	v_add_u32_e32 v47, v48, v32
	v_and_b32_e32 v55, v55, v59
	v_cndmask_b32_e64 v59, 1, 2, vcc
	v_cmp_eq_u32_e32 vcc, 0, v31
	v_add_u32_e32 v46, v47, v33
	v_and_b32_e32 v55, v55, v59
	v_cndmask_b32_e64 v59, 1, 2, vcc
	v_cmp_eq_u32_e32 vcc, 0, v28
	v_add_u32_e32 v45, v46, v30
	v_and_b32_e32 v55, v55, v59
	v_cndmask_b32_e64 v59, 1, 2, vcc
	v_cmp_eq_u32_e32 vcc, 0, v29
	v_add_u32_e32 v44, v45, v31
	v_and_b32_e32 v55, v55, v59
	v_cndmask_b32_e64 v59, 1, 2, vcc
	v_cmp_eq_u32_e32 vcc, 0, v26
	v_add_u32_e32 v43, v44, v28
	v_and_b32_e32 v55, v55, v59
	v_cndmask_b32_e64 v59, 1, 2, vcc
	v_cmp_eq_u32_e32 vcc, 0, v27
	v_add_u32_e32 v42, v43, v29
	v_and_b32_e32 v55, v55, v59
	v_cndmask_b32_e64 v59, 1, 2, vcc
	v_cmp_eq_u32_e32 vcc, 0, v58
	s_movk_i32 s36, 0x100
	v_add_u32_e32 v4, v42, v26
	v_and_b32_e32 v55, v55, v59
	v_cndmask_b32_e64 v59, 1, 2, vcc
	v_cmp_gt_u32_e32 vcc, s36, v2
	v_add_u32_e32 v3, v4, v27
	v_cmp_ne_u32_e64 s[34:35], 0, v60
	v_cmp_ne_u32_e64 s[30:31], 0, v39
	;; [unrolled: 1-line block ×15, first 2 shown]
	v_and_b32_e32 v55, v55, v59
	s_mov_b64 s[36:37], -1
	s_cbranch_vccz .LBB130_251
; %bb.215:
	v_cmp_gt_i16_e32 vcc, 2, v55
	s_and_saveexec_b64 s[36:37], vcc
	s_cbranch_execz .LBB130_250
; %bb.216:
	v_cmp_ne_u16_e32 vcc, 1, v55
	s_mov_b64 s[44:45], 0
	s_and_saveexec_b64 s[42:43], vcc
	s_xor_b64 s[42:43], exec, s[42:43]
	s_cbranch_execz .LBB130_231
; %bb.217:
	s_and_saveexec_b64 s[44:45], s[34:35]
	s_cbranch_execz .LBB130_233
; %bb.218:
	v_sub_u32_e32 v74, v5, v6
	v_mov_b32_e32 v75, 0
	v_lshlrev_b64 v[74:75], 2, v[74:75]
	v_add_co_u32_e32 v74, vcc, v7, v74
	v_addc_co_u32_e32 v75, vcc, v54, v75, vcc
	global_store_dword v[74:75], v24, off
	s_or_b64 exec, exec, s[44:45]
	s_and_saveexec_b64 s[44:45], s[30:31]
	s_cbranch_execnz .LBB130_234
.LBB130_219:
	s_or_b64 exec, exec, s[44:45]
	s_and_saveexec_b64 s[44:45], s[28:29]
	s_cbranch_execz .LBB130_235
.LBB130_220:
	v_sub_u32_e32 v74, v52, v6
	v_mov_b32_e32 v75, 0
	v_lshlrev_b64 v[74:75], 2, v[74:75]
	v_add_co_u32_e32 v74, vcc, v7, v74
	v_addc_co_u32_e32 v75, vcc, v54, v75, vcc
	global_store_dword v[74:75], v22, off
	s_or_b64 exec, exec, s[44:45]
	s_and_saveexec_b64 s[44:45], s[26:27]
	s_cbranch_execnz .LBB130_236
.LBB130_221:
	s_or_b64 exec, exec, s[44:45]
	s_and_saveexec_b64 s[44:45], s[24:25]
	s_cbranch_execz .LBB130_237
.LBB130_222:
	v_sub_u32_e32 v74, v50, v6
	v_mov_b32_e32 v75, 0
	v_lshlrev_b64 v[74:75], 2, v[74:75]
	v_add_co_u32_e32 v74, vcc, v7, v74
	v_addc_co_u32_e32 v75, vcc, v54, v75, vcc
	global_store_dword v[74:75], v20, off
	s_or_b64 exec, exec, s[44:45]
	s_and_saveexec_b64 s[44:45], s[22:23]
	s_cbranch_execnz .LBB130_238
.LBB130_223:
	s_or_b64 exec, exec, s[44:45]
	s_and_saveexec_b64 s[44:45], s[20:21]
	s_cbranch_execz .LBB130_239
.LBB130_224:
	v_sub_u32_e32 v74, v48, v6
	v_mov_b32_e32 v75, 0
	v_lshlrev_b64 v[74:75], 2, v[74:75]
	v_add_co_u32_e32 v74, vcc, v7, v74
	v_addc_co_u32_e32 v75, vcc, v54, v75, vcc
	global_store_dword v[74:75], v18, off
	s_or_b64 exec, exec, s[44:45]
	s_and_saveexec_b64 s[44:45], s[18:19]
	s_cbranch_execnz .LBB130_240
.LBB130_225:
	s_or_b64 exec, exec, s[44:45]
	s_and_saveexec_b64 s[44:45], s[16:17]
	s_cbranch_execz .LBB130_241
.LBB130_226:
	v_sub_u32_e32 v74, v46, v6
	v_mov_b32_e32 v75, 0
	v_lshlrev_b64 v[74:75], 2, v[74:75]
	v_add_co_u32_e32 v74, vcc, v7, v74
	v_addc_co_u32_e32 v75, vcc, v54, v75, vcc
	global_store_dword v[74:75], v16, off
	s_or_b64 exec, exec, s[44:45]
	s_and_saveexec_b64 s[44:45], s[14:15]
	s_cbranch_execnz .LBB130_242
.LBB130_227:
	s_or_b64 exec, exec, s[44:45]
	s_and_saveexec_b64 s[44:45], s[12:13]
	s_cbranch_execz .LBB130_243
.LBB130_228:
	v_sub_u32_e32 v74, v44, v6
	v_mov_b32_e32 v75, 0
	v_lshlrev_b64 v[74:75], 2, v[74:75]
	v_add_co_u32_e32 v74, vcc, v7, v74
	v_addc_co_u32_e32 v75, vcc, v54, v75, vcc
	global_store_dword v[74:75], v14, off
	s_or_b64 exec, exec, s[44:45]
	s_and_saveexec_b64 s[44:45], s[10:11]
	s_cbranch_execnz .LBB130_244
.LBB130_229:
	s_or_b64 exec, exec, s[44:45]
	s_and_saveexec_b64 s[44:45], s[8:9]
	s_cbranch_execz .LBB130_245
.LBB130_230:
	v_sub_u32_e32 v74, v42, v6
	v_mov_b32_e32 v75, 0
	v_lshlrev_b64 v[74:75], 2, v[74:75]
	v_add_co_u32_e32 v74, vcc, v7, v74
	v_addc_co_u32_e32 v75, vcc, v54, v75, vcc
	global_store_dword v[74:75], v12, off
	s_or_b64 exec, exec, s[44:45]
	s_and_saveexec_b64 s[44:45], s[6:7]
	s_cbranch_execnz .LBB130_246
	s_branch .LBB130_247
.LBB130_231:
	s_andn2_saveexec_b64 s[42:43], s[42:43]
	s_cbranch_execz .LBB130_248
.LBB130_232:
	v_sub_u32_e32 v74, v5, v6
	v_mov_b32_e32 v75, 0
	v_lshlrev_b64 v[76:77], 2, v[74:75]
	v_add_co_u32_e32 v76, vcc, v7, v76
	v_addc_co_u32_e32 v77, vcc, v54, v77, vcc
	v_sub_u32_e32 v74, v53, v6
	global_store_dword v[76:77], v24, off
	v_lshlrev_b64 v[76:77], 2, v[74:75]
	v_add_co_u32_e32 v76, vcc, v7, v76
	v_addc_co_u32_e32 v77, vcc, v54, v77, vcc
	v_sub_u32_e32 v74, v52, v6
	global_store_dword v[76:77], v25, off
	;; [unrolled: 5-line block ×12, first 2 shown]
	v_lshlrev_b64 v[76:77], 2, v[74:75]
	v_add_co_u32_e32 v76, vcc, v7, v76
	v_sub_u32_e32 v74, v4, v6
	v_addc_co_u32_e32 v77, vcc, v54, v77, vcc
	v_lshlrev_b64 v[74:75], 2, v[74:75]
	v_add_co_u32_e32 v74, vcc, v7, v74
	v_addc_co_u32_e32 v75, vcc, v54, v75, vcc
	s_or_b64 s[44:45], s[44:45], exec
	global_store_dword v[76:77], v12, off
	global_store_dword v[74:75], v13, off
	s_or_b64 exec, exec, s[42:43]
	s_and_b64 exec, exec, s[44:45]
	s_cbranch_execnz .LBB130_249
	s_branch .LBB130_250
.LBB130_233:
	s_or_b64 exec, exec, s[44:45]
	s_and_saveexec_b64 s[44:45], s[30:31]
	s_cbranch_execz .LBB130_219
.LBB130_234:
	v_sub_u32_e32 v74, v53, v6
	v_mov_b32_e32 v75, 0
	v_lshlrev_b64 v[74:75], 2, v[74:75]
	v_add_co_u32_e32 v74, vcc, v7, v74
	v_addc_co_u32_e32 v75, vcc, v54, v75, vcc
	global_store_dword v[74:75], v25, off
	s_or_b64 exec, exec, s[44:45]
	s_and_saveexec_b64 s[44:45], s[28:29]
	s_cbranch_execnz .LBB130_220
.LBB130_235:
	s_or_b64 exec, exec, s[44:45]
	s_and_saveexec_b64 s[44:45], s[26:27]
	s_cbranch_execz .LBB130_221
.LBB130_236:
	v_sub_u32_e32 v74, v51, v6
	v_mov_b32_e32 v75, 0
	v_lshlrev_b64 v[74:75], 2, v[74:75]
	v_add_co_u32_e32 v74, vcc, v7, v74
	v_addc_co_u32_e32 v75, vcc, v54, v75, vcc
	global_store_dword v[74:75], v23, off
	s_or_b64 exec, exec, s[44:45]
	s_and_saveexec_b64 s[44:45], s[24:25]
	s_cbranch_execnz .LBB130_222
.LBB130_237:
	s_or_b64 exec, exec, s[44:45]
	s_and_saveexec_b64 s[44:45], s[22:23]
	s_cbranch_execz .LBB130_223
.LBB130_238:
	v_sub_u32_e32 v74, v49, v6
	v_mov_b32_e32 v75, 0
	v_lshlrev_b64 v[74:75], 2, v[74:75]
	v_add_co_u32_e32 v74, vcc, v7, v74
	v_addc_co_u32_e32 v75, vcc, v54, v75, vcc
	global_store_dword v[74:75], v21, off
	s_or_b64 exec, exec, s[44:45]
	s_and_saveexec_b64 s[44:45], s[20:21]
	s_cbranch_execnz .LBB130_224
.LBB130_239:
	s_or_b64 exec, exec, s[44:45]
	s_and_saveexec_b64 s[44:45], s[18:19]
	s_cbranch_execz .LBB130_225
.LBB130_240:
	v_sub_u32_e32 v74, v47, v6
	v_mov_b32_e32 v75, 0
	v_lshlrev_b64 v[74:75], 2, v[74:75]
	v_add_co_u32_e32 v74, vcc, v7, v74
	v_addc_co_u32_e32 v75, vcc, v54, v75, vcc
	global_store_dword v[74:75], v19, off
	s_or_b64 exec, exec, s[44:45]
	s_and_saveexec_b64 s[44:45], s[16:17]
	s_cbranch_execnz .LBB130_226
.LBB130_241:
	s_or_b64 exec, exec, s[44:45]
	s_and_saveexec_b64 s[44:45], s[14:15]
	s_cbranch_execz .LBB130_227
.LBB130_242:
	v_sub_u32_e32 v74, v45, v6
	v_mov_b32_e32 v75, 0
	v_lshlrev_b64 v[74:75], 2, v[74:75]
	v_add_co_u32_e32 v74, vcc, v7, v74
	v_addc_co_u32_e32 v75, vcc, v54, v75, vcc
	global_store_dword v[74:75], v17, off
	s_or_b64 exec, exec, s[44:45]
	s_and_saveexec_b64 s[44:45], s[12:13]
	s_cbranch_execnz .LBB130_228
.LBB130_243:
	s_or_b64 exec, exec, s[44:45]
	s_and_saveexec_b64 s[44:45], s[10:11]
	s_cbranch_execz .LBB130_229
.LBB130_244:
	v_sub_u32_e32 v74, v43, v6
	v_mov_b32_e32 v75, 0
	v_lshlrev_b64 v[74:75], 2, v[74:75]
	v_add_co_u32_e32 v74, vcc, v7, v74
	v_addc_co_u32_e32 v75, vcc, v54, v75, vcc
	global_store_dword v[74:75], v15, off
	s_or_b64 exec, exec, s[44:45]
	s_and_saveexec_b64 s[44:45], s[8:9]
	s_cbranch_execnz .LBB130_230
.LBB130_245:
	s_or_b64 exec, exec, s[44:45]
	s_and_saveexec_b64 s[44:45], s[6:7]
	s_cbranch_execz .LBB130_247
.LBB130_246:
	v_sub_u32_e32 v74, v4, v6
	v_mov_b32_e32 v75, 0
	v_lshlrev_b64 v[74:75], 2, v[74:75]
	v_add_co_u32_e32 v74, vcc, v7, v74
	v_addc_co_u32_e32 v75, vcc, v54, v75, vcc
	global_store_dword v[74:75], v13, off
.LBB130_247:
	s_or_b64 exec, exec, s[44:45]
	s_and_b64 s[44:45], s[4:5], exec
	s_andn2_saveexec_b64 s[42:43], s[42:43]
	s_cbranch_execnz .LBB130_232
.LBB130_248:
	s_or_b64 exec, exec, s[42:43]
	s_and_b64 exec, exec, s[44:45]
	s_cbranch_execz .LBB130_250
.LBB130_249:
	v_sub_u32_e32 v74, v3, v6
	v_mov_b32_e32 v75, 0
	v_lshlrev_b64 v[74:75], 2, v[74:75]
	v_add_co_u32_e32 v74, vcc, v7, v74
	v_addc_co_u32_e32 v75, vcc, v54, v75, vcc
	global_store_dword v[74:75], v1, off
.LBB130_250:
	s_or_b64 exec, exec, s[36:37]
	s_mov_b64 s[36:37], 0
.LBB130_251:
	s_and_b64 vcc, exec, s[36:37]
	s_cbranch_vccz .LBB130_303
; %bb.252:
	v_cmp_gt_i16_e32 vcc, 2, v55
	s_and_saveexec_b64 s[36:37], vcc
	s_cbranch_execz .LBB130_287
; %bb.253:
	v_cmp_ne_u16_e32 vcc, 1, v55
	s_mov_b64 s[44:45], 0
	s_and_saveexec_b64 s[42:43], vcc
	s_xor_b64 s[42:43], exec, s[42:43]
	s_cbranch_execz .LBB130_268
; %bb.254:
	s_and_saveexec_b64 s[44:45], s[34:35]
	s_cbranch_execz .LBB130_270
; %bb.255:
	v_sub_u32_e32 v55, v5, v6
	v_lshlrev_b32_e32 v55, 2, v55
	ds_write_b32 v55, v24
	s_or_b64 exec, exec, s[44:45]
	s_and_saveexec_b64 s[34:35], s[30:31]
	s_cbranch_execnz .LBB130_271
.LBB130_256:
	s_or_b64 exec, exec, s[34:35]
	s_and_saveexec_b64 s[30:31], s[28:29]
	s_cbranch_execz .LBB130_272
.LBB130_257:
	v_sub_u32_e32 v24, v52, v6
	v_lshlrev_b32_e32 v24, 2, v24
	ds_write_b32 v24, v22
	s_or_b64 exec, exec, s[30:31]
	s_and_saveexec_b64 s[28:29], s[26:27]
	s_cbranch_execnz .LBB130_273
.LBB130_258:
	s_or_b64 exec, exec, s[28:29]
	s_and_saveexec_b64 s[26:27], s[24:25]
	s_cbranch_execz .LBB130_274
.LBB130_259:
	v_sub_u32_e32 v22, v50, v6
	v_lshlrev_b32_e32 v22, 2, v22
	ds_write_b32 v22, v20
	s_or_b64 exec, exec, s[26:27]
	s_and_saveexec_b64 s[24:25], s[22:23]
	s_cbranch_execnz .LBB130_275
.LBB130_260:
	s_or_b64 exec, exec, s[24:25]
	s_and_saveexec_b64 s[22:23], s[20:21]
	s_cbranch_execz .LBB130_276
.LBB130_261:
	v_sub_u32_e32 v20, v48, v6
	v_lshlrev_b32_e32 v20, 2, v20
	ds_write_b32 v20, v18
	s_or_b64 exec, exec, s[22:23]
	s_and_saveexec_b64 s[20:21], s[18:19]
	s_cbranch_execnz .LBB130_277
.LBB130_262:
	s_or_b64 exec, exec, s[20:21]
	s_and_saveexec_b64 s[18:19], s[16:17]
	s_cbranch_execz .LBB130_278
.LBB130_263:
	v_sub_u32_e32 v18, v46, v6
	v_lshlrev_b32_e32 v18, 2, v18
	ds_write_b32 v18, v16
	s_or_b64 exec, exec, s[18:19]
	s_and_saveexec_b64 s[16:17], s[14:15]
	s_cbranch_execnz .LBB130_279
.LBB130_264:
	s_or_b64 exec, exec, s[16:17]
	s_and_saveexec_b64 s[14:15], s[12:13]
	s_cbranch_execz .LBB130_280
.LBB130_265:
	v_sub_u32_e32 v16, v44, v6
	v_lshlrev_b32_e32 v16, 2, v16
	ds_write_b32 v16, v14
	s_or_b64 exec, exec, s[14:15]
	s_and_saveexec_b64 s[12:13], s[10:11]
	s_cbranch_execnz .LBB130_281
.LBB130_266:
	s_or_b64 exec, exec, s[12:13]
	s_and_saveexec_b64 s[10:11], s[8:9]
	s_cbranch_execz .LBB130_282
.LBB130_267:
	v_sub_u32_e32 v14, v42, v6
	v_lshlrev_b32_e32 v14, 2, v14
	ds_write_b32 v14, v12
	s_or_b64 exec, exec, s[10:11]
	s_and_saveexec_b64 s[8:9], s[6:7]
	s_cbranch_execnz .LBB130_283
	s_branch .LBB130_284
.LBB130_268:
	s_andn2_saveexec_b64 s[4:5], s[42:43]
	s_cbranch_execz .LBB130_285
.LBB130_269:
	v_sub_u32_e32 v55, v5, v6
	v_lshlrev_b32_e32 v55, 2, v55
	ds_write_b32 v55, v24
	v_sub_u32_e32 v24, v53, v6
	v_lshlrev_b32_e32 v24, 2, v24
	ds_write_b32 v24, v25
	v_sub_u32_e32 v24, v52, v6
	v_lshlrev_b32_e32 v24, 2, v24
	ds_write_b32 v24, v22
	v_sub_u32_e32 v22, v51, v6
	v_lshlrev_b32_e32 v22, 2, v22
	ds_write_b32 v22, v23
	v_sub_u32_e32 v22, v50, v6
	v_lshlrev_b32_e32 v22, 2, v22
	ds_write_b32 v22, v20
	v_sub_u32_e32 v20, v49, v6
	v_lshlrev_b32_e32 v20, 2, v20
	ds_write_b32 v20, v21
	v_sub_u32_e32 v20, v48, v6
	v_lshlrev_b32_e32 v20, 2, v20
	ds_write_b32 v20, v18
	v_sub_u32_e32 v18, v47, v6
	v_lshlrev_b32_e32 v18, 2, v18
	ds_write_b32 v18, v19
	v_sub_u32_e32 v18, v46, v6
	v_lshlrev_b32_e32 v18, 2, v18
	ds_write_b32 v18, v16
	v_sub_u32_e32 v16, v45, v6
	v_lshlrev_b32_e32 v16, 2, v16
	ds_write_b32 v16, v17
	v_sub_u32_e32 v16, v44, v6
	v_lshlrev_b32_e32 v16, 2, v16
	ds_write_b32 v16, v14
	v_sub_u32_e32 v14, v43, v6
	v_lshlrev_b32_e32 v14, 2, v14
	ds_write_b32 v14, v15
	v_sub_u32_e32 v14, v42, v6
	v_lshlrev_b32_e32 v14, 2, v14
	ds_write_b32 v14, v12
	v_sub_u32_e32 v12, v4, v6
	v_lshlrev_b32_e32 v12, 2, v12
	s_or_b64 s[44:45], s[44:45], exec
	ds_write_b32 v12, v13
	s_or_b64 exec, exec, s[4:5]
	s_and_b64 exec, exec, s[44:45]
	s_cbranch_execnz .LBB130_286
	s_branch .LBB130_287
.LBB130_270:
	s_or_b64 exec, exec, s[44:45]
	s_and_saveexec_b64 s[34:35], s[30:31]
	s_cbranch_execz .LBB130_256
.LBB130_271:
	v_sub_u32_e32 v24, v53, v6
	v_lshlrev_b32_e32 v24, 2, v24
	ds_write_b32 v24, v25
	s_or_b64 exec, exec, s[34:35]
	s_and_saveexec_b64 s[30:31], s[28:29]
	s_cbranch_execnz .LBB130_257
.LBB130_272:
	s_or_b64 exec, exec, s[30:31]
	s_and_saveexec_b64 s[28:29], s[26:27]
	s_cbranch_execz .LBB130_258
.LBB130_273:
	v_sub_u32_e32 v22, v51, v6
	v_lshlrev_b32_e32 v22, 2, v22
	ds_write_b32 v22, v23
	s_or_b64 exec, exec, s[28:29]
	s_and_saveexec_b64 s[26:27], s[24:25]
	s_cbranch_execnz .LBB130_259
.LBB130_274:
	s_or_b64 exec, exec, s[26:27]
	s_and_saveexec_b64 s[24:25], s[22:23]
	s_cbranch_execz .LBB130_260
.LBB130_275:
	v_sub_u32_e32 v20, v49, v6
	v_lshlrev_b32_e32 v20, 2, v20
	ds_write_b32 v20, v21
	s_or_b64 exec, exec, s[24:25]
	s_and_saveexec_b64 s[22:23], s[20:21]
	s_cbranch_execnz .LBB130_261
.LBB130_276:
	s_or_b64 exec, exec, s[22:23]
	s_and_saveexec_b64 s[20:21], s[18:19]
	s_cbranch_execz .LBB130_262
.LBB130_277:
	v_sub_u32_e32 v18, v47, v6
	v_lshlrev_b32_e32 v18, 2, v18
	ds_write_b32 v18, v19
	s_or_b64 exec, exec, s[20:21]
	s_and_saveexec_b64 s[18:19], s[16:17]
	s_cbranch_execnz .LBB130_263
.LBB130_278:
	s_or_b64 exec, exec, s[18:19]
	s_and_saveexec_b64 s[16:17], s[14:15]
	s_cbranch_execz .LBB130_264
.LBB130_279:
	v_sub_u32_e32 v16, v45, v6
	v_lshlrev_b32_e32 v16, 2, v16
	ds_write_b32 v16, v17
	s_or_b64 exec, exec, s[16:17]
	s_and_saveexec_b64 s[14:15], s[12:13]
	s_cbranch_execnz .LBB130_265
.LBB130_280:
	s_or_b64 exec, exec, s[14:15]
	s_and_saveexec_b64 s[12:13], s[10:11]
	s_cbranch_execz .LBB130_266
.LBB130_281:
	v_sub_u32_e32 v14, v43, v6
	v_lshlrev_b32_e32 v14, 2, v14
	ds_write_b32 v14, v15
	s_or_b64 exec, exec, s[12:13]
	s_and_saveexec_b64 s[10:11], s[8:9]
	s_cbranch_execnz .LBB130_267
.LBB130_282:
	s_or_b64 exec, exec, s[10:11]
	s_and_saveexec_b64 s[8:9], s[6:7]
	s_cbranch_execz .LBB130_284
.LBB130_283:
	v_sub_u32_e32 v12, v4, v6
	v_lshlrev_b32_e32 v12, 2, v12
	ds_write_b32 v12, v13
.LBB130_284:
	s_or_b64 exec, exec, s[8:9]
	s_and_b64 s[44:45], s[4:5], exec
                                        ; implicit-def: $vgpr24_vgpr25
                                        ; implicit-def: $vgpr22_vgpr23
                                        ; implicit-def: $vgpr20_vgpr21
                                        ; implicit-def: $vgpr18_vgpr19
                                        ; implicit-def: $vgpr16_vgpr17
                                        ; implicit-def: $vgpr14_vgpr15
                                        ; implicit-def: $vgpr12_vgpr13
	s_andn2_saveexec_b64 s[4:5], s[42:43]
	s_cbranch_execnz .LBB130_269
.LBB130_285:
	s_or_b64 exec, exec, s[4:5]
	s_and_b64 exec, exec, s[44:45]
	s_cbranch_execz .LBB130_287
.LBB130_286:
	v_sub_u32_e32 v12, v3, v6
	v_lshlrev_b32_e32 v12, 2, v12
	ds_write_b32 v12, v1
.LBB130_287:
	s_or_b64 exec, exec, s[36:37]
	v_cmp_lt_u32_e32 vcc, v0, v2
	s_waitcnt lgkmcnt(0)
	s_barrier
	s_and_saveexec_b64 s[6:7], vcc
	s_cbranch_execz .LBB130_302
; %bb.288:
	v_xad_u32 v1, v0, -1, v2
	s_movk_i32 s4, 0x1700
	v_cmp_gt_u32_e64 s[8:9], s4, v1
	s_movk_i32 s4, 0x16ff
	v_cmp_lt_u32_e32 vcc, s4, v1
	v_mov_b32_e32 v12, v0
	s_and_saveexec_b64 s[10:11], vcc
	s_cbranch_execz .LBB130_299
; %bb.289:
	v_sub_u32_e32 v12, v0, v2
	v_or_b32_e32 v12, 0xff, v12
	v_cmp_ge_u32_e32 vcc, v12, v0
	s_mov_b64 s[4:5], -1
	v_mov_b32_e32 v12, v0
	s_and_saveexec_b64 s[12:13], vcc
	s_cbranch_execz .LBB130_298
; %bb.290:
	v_lshrrev_b32_e32 v16, 8, v1
	v_add_u32_e32 v12, -1, v16
	v_or_b32_e32 v1, 0x100, v0
	v_lshrrev_b32_e32 v13, 1, v12
	v_add_u32_e32 v17, 1, v13
	v_cmp_lt_u32_e32 vcc, 13, v12
	v_mov_b32_e32 v20, 0
	v_pk_mov_b32 v[12:13], v[0:1], v[0:1] op_sel:[0,1]
	s_and_saveexec_b64 s[14:15], vcc
	s_cbranch_execz .LBB130_294
; %bb.291:
	v_and_b32_e32 v18, -8, v17
	v_lshlrev_b32_e32 v19, 2, v0
	s_mov_b32 s18, 0
	s_mov_b64 s[16:17], 0
	v_mov_b32_e32 v15, 0
	v_pk_mov_b32 v[12:13], v[0:1], v[0:1] op_sel:[0,1]
.LBB130_292:                            ; =>This Inner Loop Header: Depth=1
	v_mov_b32_e32 v14, v12
	v_add_u32_e32 v18, -8, v18
	v_lshlrev_b64 v[98:99], 2, v[14:15]
	v_mov_b32_e32 v14, v13
	ds_read2st64_b32 v[22:23], v19 offset1:4
	s_add_i32 s18, s18, 16
	v_cmp_eq_u32_e32 vcc, 0, v18
	v_lshlrev_b64 v[102:103], 2, v[14:15]
	v_add_u32_e32 v14, 0x200, v12
	s_or_b64 s[16:17], vcc, s[16:17]
	v_add_co_u32_e32 v102, vcc, v7, v102
	v_add_u32_e32 v20, 0x200, v13
	v_mov_b32_e32 v21, v15
	ds_read2st64_b32 v[24:25], v19 offset0:8 offset1:12
	ds_read2st64_b32 v[76:77], v19 offset0:16 offset1:20
	v_add_co_u32_e64 v98, s[4:5], v7, v98
	v_addc_co_u32_e32 v103, vcc, v54, v103, vcc
	v_lshlrev_b64 v[104:105], 2, v[14:15]
	v_lshlrev_b64 v[100:101], 2, v[20:21]
	v_addc_co_u32_e64 v99, s[4:5], v54, v99, s[4:5]
	v_add_u32_e32 v14, 0x400, v12
	v_add_co_u32_e32 v104, vcc, v7, v104
	v_add_u32_e32 v74, 0x400, v13
	v_mov_b32_e32 v75, v15
	ds_read2st64_b32 v[80:81], v19 offset0:24 offset1:28
	v_add_co_u32_e64 v100, s[4:5], v7, v100
	v_addc_co_u32_e32 v105, vcc, v54, v105, vcc
	v_lshlrev_b64 v[106:107], 2, v[14:15]
	ds_read2st64_b32 v[84:85], v19 offset0:32 offset1:36
	ds_read2st64_b32 v[88:89], v19 offset0:40 offset1:44
	;; [unrolled: 1-line block ×4, first 2 shown]
	v_lshlrev_b64 v[74:75], 2, v[74:75]
	v_addc_co_u32_e64 v101, s[4:5], v54, v101, s[4:5]
	v_add_u32_e32 v14, 0x600, v12
	s_waitcnt lgkmcnt(7)
	global_store_dword v[98:99], v22, off
	global_store_dword v[102:103], v23, off
	s_waitcnt lgkmcnt(6)
	global_store_dword v[104:105], v24, off
	global_store_dword v[100:101], v25, off
	v_add_co_u32_e32 v22, vcc, v7, v106
	v_add_u32_e32 v78, 0x600, v13
	v_mov_b32_e32 v79, v15
	v_add_co_u32_e64 v74, s[4:5], v7, v74
	v_addc_co_u32_e32 v23, vcc, v54, v107, vcc
	v_lshlrev_b64 v[24:25], 2, v[14:15]
	v_lshlrev_b64 v[78:79], 2, v[78:79]
	v_addc_co_u32_e64 v75, s[4:5], v54, v75, s[4:5]
	v_add_u32_e32 v14, 0x800, v12
	s_waitcnt lgkmcnt(5)
	global_store_dword v[22:23], v76, off
	global_store_dword v[74:75], v77, off
	v_add_co_u32_e32 v22, vcc, v7, v24
	v_add_u32_e32 v82, 0x800, v13
	v_mov_b32_e32 v83, v15
	v_add_co_u32_e64 v78, s[4:5], v7, v78
	v_addc_co_u32_e32 v23, vcc, v54, v25, vcc
	v_lshlrev_b64 v[24:25], 2, v[14:15]
	v_lshlrev_b64 v[82:83], 2, v[82:83]
	v_addc_co_u32_e64 v79, s[4:5], v54, v79, s[4:5]
	v_add_u32_e32 v14, 0xa00, v12
	;; [unrolled: 12-line block ×4, first 2 shown]
	s_waitcnt lgkmcnt(2)
	global_store_dword v[22:23], v88, off
	global_store_dword v[86:87], v89, off
	v_add_co_u32_e32 v22, vcc, v7, v24
	v_add_u32_e32 v94, 0xe00, v13
	v_mov_b32_e32 v95, v15
	v_add_co_u32_e64 v90, s[4:5], v7, v90
	v_addc_co_u32_e32 v23, vcc, v54, v25, vcc
	v_lshlrev_b64 v[24:25], 2, v[14:15]
	v_lshlrev_b64 v[94:95], 2, v[94:95]
	v_addc_co_u32_e64 v91, s[4:5], v54, v91, s[4:5]
	s_waitcnt lgkmcnt(1)
	global_store_dword v[22:23], v92, off
	global_store_dword v[90:91], v93, off
	v_add_co_u32_e32 v22, vcc, v7, v24
	v_add_u32_e32 v19, 0x4000, v19
	v_add_u32_e32 v13, 0x1000, v13
	v_mov_b32_e32 v20, s18
	v_add_co_u32_e64 v94, s[4:5], v7, v94
	v_add_u32_e32 v12, 0x1000, v12
	v_addc_co_u32_e32 v23, vcc, v54, v25, vcc
	v_addc_co_u32_e64 v95, s[4:5], v54, v95, s[4:5]
	s_waitcnt lgkmcnt(0)
	global_store_dword v[22:23], v96, off
	global_store_dword v[94:95], v97, off
	s_andn2_b64 exec, exec, s[16:17]
	s_cbranch_execnz .LBB130_292
; %bb.293:
	s_or_b64 exec, exec, s[16:17]
.LBB130_294:
	s_or_b64 exec, exec, s[14:15]
	v_and_b32_e32 v1, 7, v17
	v_cmp_ne_u32_e32 vcc, 0, v1
	s_and_saveexec_b64 s[14:15], vcc
	s_cbranch_execz .LBB130_297
; %bb.295:
	v_lshlrev_b32_e32 v14, 2, v0
	v_lshl_or_b32 v17, v20, 10, v14
	s_mov_b64 s[16:17], 0
	v_mov_b32_e32 v15, 0
.LBB130_296:                            ; =>This Inner Loop Header: Depth=1
	ds_read2st64_b32 v[18:19], v17 offset1:4
	v_mov_b32_e32 v14, v12
	v_add_u32_e32 v1, -1, v1
	v_lshlrev_b64 v[20:21], 2, v[14:15]
	v_mov_b32_e32 v14, v13
	v_cmp_eq_u32_e32 vcc, 0, v1
	v_add_co_u32_e64 v20, s[4:5], v7, v20
	v_lshlrev_b64 v[22:23], 2, v[14:15]
	v_add_u32_e32 v12, 0x200, v12
	v_add_u32_e32 v17, 0x800, v17
	;; [unrolled: 1-line block ×3, first 2 shown]
	v_addc_co_u32_e64 v21, s[4:5], v54, v21, s[4:5]
	s_or_b64 s[16:17], vcc, s[16:17]
	v_add_co_u32_e32 v22, vcc, v7, v22
	v_addc_co_u32_e32 v23, vcc, v54, v23, vcc
	s_waitcnt lgkmcnt(0)
	global_store_dword v[20:21], v18, off
	global_store_dword v[22:23], v19, off
	s_andn2_b64 exec, exec, s[16:17]
	s_cbranch_execnz .LBB130_296
.LBB130_297:
	s_or_b64 exec, exec, s[14:15]
	v_add_u32_e32 v1, 1, v16
	v_and_b32_e32 v13, 0x1fffffe, v1
	v_cmp_ne_u32_e32 vcc, v1, v13
	v_lshl_or_b32 v12, v13, 8, v0
	s_orn2_b64 s[4:5], vcc, exec
.LBB130_298:
	s_or_b64 exec, exec, s[12:13]
	s_andn2_b64 s[8:9], s[8:9], exec
	s_and_b64 s[4:5], s[4:5], exec
	s_or_b64 s[8:9], s[8:9], s[4:5]
.LBB130_299:
	s_or_b64 exec, exec, s[10:11]
	s_and_b64 exec, exec, s[8:9]
	s_cbranch_execz .LBB130_302
; %bb.300:
	v_lshlrev_b32_e32 v1, 2, v12
	s_mov_b64 s[4:5], 0
	v_mov_b32_e32 v13, 0
.LBB130_301:                            ; =>This Inner Loop Header: Depth=1
	v_lshlrev_b64 v[14:15], 2, v[12:13]
	ds_read_b32 v16, v1
	v_add_co_u32_e32 v14, vcc, v7, v14
	v_add_u32_e32 v12, 0x100, v12
	v_addc_co_u32_e32 v15, vcc, v54, v15, vcc
	v_cmp_ge_u32_e32 vcc, v12, v2
	v_add_u32_e32 v1, 0x400, v1
	s_or_b64 s[4:5], vcc, s[4:5]
	s_waitcnt lgkmcnt(0)
	global_store_dword v[14:15], v16, off
	s_andn2_b64 exec, exec, s[4:5]
	s_cbranch_execnz .LBB130_301
.LBB130_302:
	s_or_b64 exec, exec, s[6:7]
.LBB130_303:
	s_cmpk_lg_i32 s33, 0xf00
	s_cselect_b64 s[4:5], -1, 0
	s_and_b64 s[4:5], s[38:39], s[4:5]
	v_cmp_eq_u32_e32 vcc, 0, v0
	v_cndmask_b32_e64 v16, 0, 1, s[4:5]
	s_and_b64 s[4:5], vcc, s[40:41]
	v_cndmask_b32_e64 v12, v60, 0, s[4:5]
	s_mul_hi_u32 s4, s33, 0x88888889
	s_lshr_b32 s4, s4, 3
	v_mad_i32_i24 v13, v0, -15, s33
	v_cmp_eq_u32_e32 vcc, s4, v0
	v_cmp_ne_u32_e64 s[4:5], 0, v13
	v_cndmask_b32_e64 v14, 1, v12, s[4:5]
	v_cmp_ne_u32_e64 s[4:5], 1, v13
	v_cndmask_b32_e64 v15, 1, v39, s[4:5]
	;; [unrolled: 2-line block ×15, first 2 shown]
	s_and_b64 vcc, s[38:39], vcc
	v_cndmask_b32_e32 v58, v58, v13, vcc
	v_cndmask_b32_e32 v27, v27, v59, vcc
	;; [unrolled: 1-line block ×15, first 2 shown]
	v_mov_b32_e32 v12, s53
	v_add_co_u32_e32 v10, vcc, s52, v10
	v_addc_co_u32_e32 v11, vcc, v12, v11, vcc
	v_cndmask_b32_e64 v1, 0, 1, s[40:41]
	v_add_co_u32_e32 v12, vcc, v10, v40
	v_addc_co_u32_e32 v13, vcc, v11, v41, vcc
	v_lshlrev_b32_e32 v10, 2, v1
	v_add_co_u32_e32 v10, vcc, v10, v12
	v_addc_co_u32_e32 v11, vcc, 0, v13, vcc
	v_add_co_u32_e32 v14, vcc, -4, v10
	v_addc_co_u32_e32 v15, vcc, -1, v11, vcc
	v_cmp_eq_u32_e32 vcc, 0, v30
	v_cndmask_b32_e64 v11, 1, 2, vcc
	v_cmp_eq_u32_e32 vcc, 0, v28
	v_cmp_ne_u32_e64 s[30:31], 0, v28
	v_cndmask_b32_e64 v28, 1, 2, vcc
	v_cmp_eq_u32_e32 vcc, 0, v17
	v_and_b32_e32 v11, v28, v11
	v_cmp_ne_u32_e64 s[28:29], 0, v17
	v_cndmask_b32_e64 v17, 1, 2, vcc
	v_cmp_eq_u32_e32 vcc, 0, v18
	v_and_b32_e32 v11, v11, v17
	v_cndmask_b32_e64 v17, 1, 2, vcc
	v_cmp_eq_u32_e32 vcc, 0, v19
	v_and_b32_e32 v11, v11, v17
	;; [unrolled: 3-line block ×9, first 2 shown]
	v_cndmask_b32_e64 v17, 1, 2, vcc
	v_cmp_eq_u32_e32 vcc, 0, v26
	v_sub_u32_e32 v7, v2, v1
	v_and_b32_e32 v11, v11, v17
	v_cndmask_b32_e64 v17, 1, 2, vcc
	v_cmp_eq_u32_e32 vcc, 0, v27
	v_add_u32_e32 v7, v7, v16
	v_and_b32_e32 v11, v11, v17
	v_cndmask_b32_e64 v17, 1, 2, vcc
	v_cmp_eq_u32_e32 vcc, 0, v58
	s_movk_i32 s36, 0x100
	v_and_b32_e32 v11, v11, v17
	v_cndmask_b32_e64 v17, 1, 2, vcc
	v_cmp_gt_u32_e32 vcc, s36, v7
	v_add_u32_e32 v10, v6, v1
	v_cmp_ne_u32_e64 s[34:35], 0, v30
	v_cmp_ne_u32_e64 s[26:27], 0, v18
	;; [unrolled: 1-line block ×13, first 2 shown]
	v_and_b32_e32 v11, v11, v17
	s_mov_b64 s[36:37], -1
	s_barrier
	s_cbranch_vccz .LBB130_340
; %bb.304:
	v_cmp_gt_i16_e32 vcc, 2, v11
	s_and_saveexec_b64 s[36:37], vcc
	s_cbranch_execz .LBB130_339
; %bb.305:
	v_cmp_ne_u16_e32 vcc, 1, v11
	s_mov_b64 s[42:43], 0
	s_and_saveexec_b64 s[40:41], vcc
	s_xor_b64 s[40:41], exec, s[40:41]
	s_cbranch_execz .LBB130_320
; %bb.306:
	s_and_saveexec_b64 s[42:43], s[34:35]
	s_cbranch_execz .LBB130_322
; %bb.307:
	v_sub_u32_e32 v18, v5, v10
	v_mov_b32_e32 v19, 0
	v_lshlrev_b64 v[18:19], 2, v[18:19]
	v_add_co_u32_e32 v18, vcc, v14, v18
	v_addc_co_u32_e32 v19, vcc, v15, v19, vcc
	global_store_dword v[18:19], v73, off
	s_or_b64 exec, exec, s[42:43]
	s_and_saveexec_b64 s[42:43], s[30:31]
	s_cbranch_execnz .LBB130_323
.LBB130_308:
	s_or_b64 exec, exec, s[42:43]
	s_and_saveexec_b64 s[42:43], s[28:29]
	s_cbranch_execz .LBB130_324
.LBB130_309:
	v_sub_u32_e32 v18, v52, v10
	v_mov_b32_e32 v19, 0
	v_lshlrev_b64 v[18:19], 2, v[18:19]
	v_add_co_u32_e32 v18, vcc, v14, v18
	v_addc_co_u32_e32 v19, vcc, v15, v19, vcc
	global_store_dword v[18:19], v71, off
	s_or_b64 exec, exec, s[42:43]
	s_and_saveexec_b64 s[42:43], s[26:27]
	s_cbranch_execnz .LBB130_325
.LBB130_310:
	s_or_b64 exec, exec, s[42:43]
	s_and_saveexec_b64 s[42:43], s[24:25]
	s_cbranch_execz .LBB130_326
.LBB130_311:
	v_sub_u32_e32 v18, v50, v10
	v_mov_b32_e32 v19, 0
	v_lshlrev_b64 v[18:19], 2, v[18:19]
	v_add_co_u32_e32 v18, vcc, v14, v18
	v_addc_co_u32_e32 v19, vcc, v15, v19, vcc
	global_store_dword v[18:19], v69, off
	s_or_b64 exec, exec, s[42:43]
	s_and_saveexec_b64 s[42:43], s[22:23]
	s_cbranch_execnz .LBB130_327
.LBB130_312:
	s_or_b64 exec, exec, s[42:43]
	s_and_saveexec_b64 s[42:43], s[20:21]
	s_cbranch_execz .LBB130_328
.LBB130_313:
	v_sub_u32_e32 v18, v48, v10
	v_mov_b32_e32 v19, 0
	v_lshlrev_b64 v[18:19], 2, v[18:19]
	v_add_co_u32_e32 v18, vcc, v14, v18
	v_addc_co_u32_e32 v19, vcc, v15, v19, vcc
	global_store_dword v[18:19], v67, off
	s_or_b64 exec, exec, s[42:43]
	s_and_saveexec_b64 s[42:43], s[18:19]
	s_cbranch_execnz .LBB130_329
.LBB130_314:
	s_or_b64 exec, exec, s[42:43]
	s_and_saveexec_b64 s[42:43], s[16:17]
	s_cbranch_execz .LBB130_330
.LBB130_315:
	v_sub_u32_e32 v18, v46, v10
	v_mov_b32_e32 v19, 0
	v_lshlrev_b64 v[18:19], 2, v[18:19]
	v_add_co_u32_e32 v18, vcc, v14, v18
	v_addc_co_u32_e32 v19, vcc, v15, v19, vcc
	global_store_dword v[18:19], v65, off
	s_or_b64 exec, exec, s[42:43]
	s_and_saveexec_b64 s[42:43], s[14:15]
	s_cbranch_execnz .LBB130_331
.LBB130_316:
	s_or_b64 exec, exec, s[42:43]
	s_and_saveexec_b64 s[42:43], s[12:13]
	s_cbranch_execz .LBB130_332
.LBB130_317:
	v_sub_u32_e32 v18, v44, v10
	v_mov_b32_e32 v19, 0
	v_lshlrev_b64 v[18:19], 2, v[18:19]
	v_add_co_u32_e32 v18, vcc, v14, v18
	v_addc_co_u32_e32 v19, vcc, v15, v19, vcc
	global_store_dword v[18:19], v63, off
	s_or_b64 exec, exec, s[42:43]
	s_and_saveexec_b64 s[42:43], s[10:11]
	s_cbranch_execnz .LBB130_333
.LBB130_318:
	s_or_b64 exec, exec, s[42:43]
	s_and_saveexec_b64 s[42:43], s[8:9]
	s_cbranch_execz .LBB130_334
.LBB130_319:
	v_sub_u32_e32 v18, v42, v10
	v_mov_b32_e32 v19, 0
	v_lshlrev_b64 v[18:19], 2, v[18:19]
	v_add_co_u32_e32 v18, vcc, v14, v18
	v_addc_co_u32_e32 v19, vcc, v15, v19, vcc
	global_store_dword v[18:19], v57, off
	s_or_b64 exec, exec, s[42:43]
	s_and_saveexec_b64 s[42:43], s[6:7]
	s_cbranch_execnz .LBB130_335
	s_branch .LBB130_336
.LBB130_320:
	s_andn2_saveexec_b64 s[40:41], s[40:41]
	s_cbranch_execz .LBB130_337
.LBB130_321:
	v_sub_u32_e32 v18, v5, v10
	v_mov_b32_e32 v19, 0
	v_lshlrev_b64 v[20:21], 2, v[18:19]
	v_add_co_u32_e32 v20, vcc, v14, v20
	v_addc_co_u32_e32 v21, vcc, v15, v21, vcc
	v_sub_u32_e32 v18, v53, v10
	global_store_dword v[20:21], v73, off
	v_lshlrev_b64 v[20:21], 2, v[18:19]
	v_add_co_u32_e32 v20, vcc, v14, v20
	v_addc_co_u32_e32 v21, vcc, v15, v21, vcc
	v_sub_u32_e32 v18, v52, v10
	global_store_dword v[20:21], v72, off
	;; [unrolled: 5-line block ×12, first 2 shown]
	v_lshlrev_b64 v[20:21], 2, v[18:19]
	v_add_co_u32_e32 v20, vcc, v14, v20
	v_sub_u32_e32 v18, v4, v10
	v_addc_co_u32_e32 v21, vcc, v15, v21, vcc
	v_lshlrev_b64 v[18:19], 2, v[18:19]
	v_add_co_u32_e32 v18, vcc, v14, v18
	v_addc_co_u32_e32 v19, vcc, v15, v19, vcc
	s_or_b64 s[42:43], s[42:43], exec
	global_store_dword v[20:21], v57, off
	global_store_dword v[18:19], v56, off
	s_or_b64 exec, exec, s[40:41]
	s_and_b64 exec, exec, s[42:43]
	s_cbranch_execnz .LBB130_338
	s_branch .LBB130_339
.LBB130_322:
	s_or_b64 exec, exec, s[42:43]
	s_and_saveexec_b64 s[42:43], s[30:31]
	s_cbranch_execz .LBB130_308
.LBB130_323:
	v_sub_u32_e32 v18, v53, v10
	v_mov_b32_e32 v19, 0
	v_lshlrev_b64 v[18:19], 2, v[18:19]
	v_add_co_u32_e32 v18, vcc, v14, v18
	v_addc_co_u32_e32 v19, vcc, v15, v19, vcc
	global_store_dword v[18:19], v72, off
	s_or_b64 exec, exec, s[42:43]
	s_and_saveexec_b64 s[42:43], s[28:29]
	s_cbranch_execnz .LBB130_309
.LBB130_324:
	s_or_b64 exec, exec, s[42:43]
	s_and_saveexec_b64 s[42:43], s[26:27]
	s_cbranch_execz .LBB130_310
.LBB130_325:
	v_sub_u32_e32 v18, v51, v10
	v_mov_b32_e32 v19, 0
	v_lshlrev_b64 v[18:19], 2, v[18:19]
	v_add_co_u32_e32 v18, vcc, v14, v18
	v_addc_co_u32_e32 v19, vcc, v15, v19, vcc
	global_store_dword v[18:19], v70, off
	s_or_b64 exec, exec, s[42:43]
	s_and_saveexec_b64 s[42:43], s[24:25]
	s_cbranch_execnz .LBB130_311
.LBB130_326:
	s_or_b64 exec, exec, s[42:43]
	s_and_saveexec_b64 s[42:43], s[22:23]
	s_cbranch_execz .LBB130_312
.LBB130_327:
	v_sub_u32_e32 v18, v49, v10
	v_mov_b32_e32 v19, 0
	v_lshlrev_b64 v[18:19], 2, v[18:19]
	v_add_co_u32_e32 v18, vcc, v14, v18
	v_addc_co_u32_e32 v19, vcc, v15, v19, vcc
	global_store_dword v[18:19], v68, off
	s_or_b64 exec, exec, s[42:43]
	s_and_saveexec_b64 s[42:43], s[20:21]
	s_cbranch_execnz .LBB130_313
.LBB130_328:
	s_or_b64 exec, exec, s[42:43]
	s_and_saveexec_b64 s[42:43], s[18:19]
	s_cbranch_execz .LBB130_314
.LBB130_329:
	v_sub_u32_e32 v18, v47, v10
	v_mov_b32_e32 v19, 0
	v_lshlrev_b64 v[18:19], 2, v[18:19]
	v_add_co_u32_e32 v18, vcc, v14, v18
	v_addc_co_u32_e32 v19, vcc, v15, v19, vcc
	global_store_dword v[18:19], v66, off
	s_or_b64 exec, exec, s[42:43]
	s_and_saveexec_b64 s[42:43], s[16:17]
	s_cbranch_execnz .LBB130_315
.LBB130_330:
	s_or_b64 exec, exec, s[42:43]
	s_and_saveexec_b64 s[42:43], s[14:15]
	s_cbranch_execz .LBB130_316
.LBB130_331:
	v_sub_u32_e32 v18, v45, v10
	v_mov_b32_e32 v19, 0
	v_lshlrev_b64 v[18:19], 2, v[18:19]
	v_add_co_u32_e32 v18, vcc, v14, v18
	v_addc_co_u32_e32 v19, vcc, v15, v19, vcc
	global_store_dword v[18:19], v64, off
	s_or_b64 exec, exec, s[42:43]
	s_and_saveexec_b64 s[42:43], s[12:13]
	s_cbranch_execnz .LBB130_317
.LBB130_332:
	s_or_b64 exec, exec, s[42:43]
	s_and_saveexec_b64 s[42:43], s[10:11]
	s_cbranch_execz .LBB130_318
.LBB130_333:
	v_sub_u32_e32 v18, v43, v10
	v_mov_b32_e32 v19, 0
	v_lshlrev_b64 v[18:19], 2, v[18:19]
	v_add_co_u32_e32 v18, vcc, v14, v18
	v_addc_co_u32_e32 v19, vcc, v15, v19, vcc
	global_store_dword v[18:19], v61, off
	s_or_b64 exec, exec, s[42:43]
	s_and_saveexec_b64 s[42:43], s[8:9]
	s_cbranch_execnz .LBB130_319
.LBB130_334:
	s_or_b64 exec, exec, s[42:43]
	s_and_saveexec_b64 s[42:43], s[6:7]
	s_cbranch_execz .LBB130_336
.LBB130_335:
	v_sub_u32_e32 v18, v4, v10
	v_mov_b32_e32 v19, 0
	v_lshlrev_b64 v[18:19], 2, v[18:19]
	v_add_co_u32_e32 v18, vcc, v14, v18
	v_addc_co_u32_e32 v19, vcc, v15, v19, vcc
	global_store_dword v[18:19], v56, off
.LBB130_336:
	s_or_b64 exec, exec, s[42:43]
	s_and_b64 s[42:43], s[4:5], exec
	s_andn2_saveexec_b64 s[40:41], s[40:41]
	s_cbranch_execnz .LBB130_321
.LBB130_337:
	s_or_b64 exec, exec, s[40:41]
	s_and_b64 exec, exec, s[42:43]
	s_cbranch_execz .LBB130_339
.LBB130_338:
	v_sub_u32_e32 v18, v3, v10
	v_mov_b32_e32 v19, 0
	v_lshlrev_b64 v[18:19], 2, v[18:19]
	v_add_co_u32_e32 v18, vcc, v14, v18
	v_addc_co_u32_e32 v19, vcc, v15, v19, vcc
	global_store_dword v[18:19], v62, off
.LBB130_339:
	s_or_b64 exec, exec, s[36:37]
	s_mov_b64 s[36:37], 0
.LBB130_340:
	s_and_b64 vcc, exec, s[36:37]
	s_cbranch_vccz .LBB130_392
; %bb.341:
	v_cmp_gt_i16_e32 vcc, 2, v11
	s_and_saveexec_b64 s[36:37], vcc
	s_cbranch_execz .LBB130_376
; %bb.342:
	v_cmp_ne_u16_e32 vcc, 1, v11
	s_mov_b64 s[42:43], 0
	s_and_saveexec_b64 s[40:41], vcc
	s_xor_b64 s[40:41], exec, s[40:41]
	s_cbranch_execz .LBB130_357
; %bb.343:
	s_and_saveexec_b64 s[42:43], s[34:35]
	s_cbranch_execz .LBB130_359
; %bb.344:
	v_sub_u32_e32 v5, v5, v10
	v_lshlrev_b32_e32 v5, 2, v5
	ds_write_b32 v5, v73
	s_or_b64 exec, exec, s[42:43]
	s_and_saveexec_b64 s[34:35], s[30:31]
	s_cbranch_execnz .LBB130_360
.LBB130_345:
	s_or_b64 exec, exec, s[34:35]
	s_and_saveexec_b64 s[30:31], s[28:29]
	s_cbranch_execz .LBB130_361
.LBB130_346:
	v_sub_u32_e32 v5, v52, v10
	v_lshlrev_b32_e32 v5, 2, v5
	ds_write_b32 v5, v71
	s_or_b64 exec, exec, s[30:31]
	s_and_saveexec_b64 s[28:29], s[26:27]
	s_cbranch_execnz .LBB130_362
.LBB130_347:
	s_or_b64 exec, exec, s[28:29]
	s_and_saveexec_b64 s[26:27], s[24:25]
	s_cbranch_execz .LBB130_363
.LBB130_348:
	v_sub_u32_e32 v5, v50, v10
	v_lshlrev_b32_e32 v5, 2, v5
	ds_write_b32 v5, v69
	s_or_b64 exec, exec, s[26:27]
	s_and_saveexec_b64 s[24:25], s[22:23]
	s_cbranch_execnz .LBB130_364
.LBB130_349:
	s_or_b64 exec, exec, s[24:25]
	s_and_saveexec_b64 s[22:23], s[20:21]
	s_cbranch_execz .LBB130_365
.LBB130_350:
	v_sub_u32_e32 v5, v48, v10
	v_lshlrev_b32_e32 v5, 2, v5
	ds_write_b32 v5, v67
	s_or_b64 exec, exec, s[22:23]
	s_and_saveexec_b64 s[20:21], s[18:19]
	s_cbranch_execnz .LBB130_366
.LBB130_351:
	s_or_b64 exec, exec, s[20:21]
	s_and_saveexec_b64 s[18:19], s[16:17]
	s_cbranch_execz .LBB130_367
.LBB130_352:
	v_sub_u32_e32 v5, v46, v10
	v_lshlrev_b32_e32 v5, 2, v5
	ds_write_b32 v5, v65
	s_or_b64 exec, exec, s[18:19]
	s_and_saveexec_b64 s[16:17], s[14:15]
	s_cbranch_execnz .LBB130_368
.LBB130_353:
	s_or_b64 exec, exec, s[16:17]
	s_and_saveexec_b64 s[14:15], s[12:13]
	s_cbranch_execz .LBB130_369
.LBB130_354:
	v_sub_u32_e32 v5, v44, v10
	v_lshlrev_b32_e32 v5, 2, v5
	ds_write_b32 v5, v63
	s_or_b64 exec, exec, s[14:15]
	s_and_saveexec_b64 s[12:13], s[10:11]
	s_cbranch_execnz .LBB130_370
.LBB130_355:
	s_or_b64 exec, exec, s[12:13]
	s_and_saveexec_b64 s[10:11], s[8:9]
	s_cbranch_execz .LBB130_371
.LBB130_356:
	v_sub_u32_e32 v5, v42, v10
	v_lshlrev_b32_e32 v5, 2, v5
	ds_write_b32 v5, v57
	s_or_b64 exec, exec, s[10:11]
	s_and_saveexec_b64 s[8:9], s[6:7]
	s_cbranch_execnz .LBB130_372
	s_branch .LBB130_373
.LBB130_357:
	s_andn2_saveexec_b64 s[4:5], s[40:41]
	s_cbranch_execz .LBB130_374
.LBB130_358:
	v_sub_u32_e32 v5, v5, v10
	v_lshlrev_b32_e32 v5, 2, v5
	ds_write_b32 v5, v73
	v_sub_u32_e32 v5, v53, v10
	v_lshlrev_b32_e32 v5, 2, v5
	ds_write_b32 v5, v72
	;; [unrolled: 3-line block ×12, first 2 shown]
	v_sub_u32_e32 v5, v42, v10
	v_sub_u32_e32 v4, v4, v10
	v_lshlrev_b32_e32 v5, 2, v5
	v_lshlrev_b32_e32 v4, 2, v4
	s_or_b64 s[42:43], s[42:43], exec
	ds_write_b32 v5, v57
	ds_write_b32 v4, v56
	s_or_b64 exec, exec, s[4:5]
	s_and_b64 exec, exec, s[42:43]
	s_cbranch_execnz .LBB130_375
	s_branch .LBB130_376
.LBB130_359:
	s_or_b64 exec, exec, s[42:43]
	s_and_saveexec_b64 s[34:35], s[30:31]
	s_cbranch_execz .LBB130_345
.LBB130_360:
	v_sub_u32_e32 v5, v53, v10
	v_lshlrev_b32_e32 v5, 2, v5
	ds_write_b32 v5, v72
	s_or_b64 exec, exec, s[34:35]
	s_and_saveexec_b64 s[30:31], s[28:29]
	s_cbranch_execnz .LBB130_346
.LBB130_361:
	s_or_b64 exec, exec, s[30:31]
	s_and_saveexec_b64 s[28:29], s[26:27]
	s_cbranch_execz .LBB130_347
.LBB130_362:
	v_sub_u32_e32 v5, v51, v10
	v_lshlrev_b32_e32 v5, 2, v5
	ds_write_b32 v5, v70
	s_or_b64 exec, exec, s[28:29]
	s_and_saveexec_b64 s[26:27], s[24:25]
	s_cbranch_execnz .LBB130_348
.LBB130_363:
	s_or_b64 exec, exec, s[26:27]
	s_and_saveexec_b64 s[24:25], s[22:23]
	s_cbranch_execz .LBB130_349
.LBB130_364:
	v_sub_u32_e32 v5, v49, v10
	v_lshlrev_b32_e32 v5, 2, v5
	ds_write_b32 v5, v68
	s_or_b64 exec, exec, s[24:25]
	s_and_saveexec_b64 s[22:23], s[20:21]
	s_cbranch_execnz .LBB130_350
.LBB130_365:
	s_or_b64 exec, exec, s[22:23]
	s_and_saveexec_b64 s[20:21], s[18:19]
	s_cbranch_execz .LBB130_351
.LBB130_366:
	v_sub_u32_e32 v5, v47, v10
	v_lshlrev_b32_e32 v5, 2, v5
	ds_write_b32 v5, v66
	s_or_b64 exec, exec, s[20:21]
	s_and_saveexec_b64 s[18:19], s[16:17]
	s_cbranch_execnz .LBB130_352
.LBB130_367:
	s_or_b64 exec, exec, s[18:19]
	s_and_saveexec_b64 s[16:17], s[14:15]
	s_cbranch_execz .LBB130_353
.LBB130_368:
	v_sub_u32_e32 v5, v45, v10
	v_lshlrev_b32_e32 v5, 2, v5
	ds_write_b32 v5, v64
	s_or_b64 exec, exec, s[16:17]
	s_and_saveexec_b64 s[14:15], s[12:13]
	s_cbranch_execnz .LBB130_354
.LBB130_369:
	s_or_b64 exec, exec, s[14:15]
	s_and_saveexec_b64 s[12:13], s[10:11]
	s_cbranch_execz .LBB130_355
.LBB130_370:
	v_sub_u32_e32 v5, v43, v10
	v_lshlrev_b32_e32 v5, 2, v5
	ds_write_b32 v5, v61
	s_or_b64 exec, exec, s[12:13]
	s_and_saveexec_b64 s[10:11], s[8:9]
	s_cbranch_execnz .LBB130_356
.LBB130_371:
	s_or_b64 exec, exec, s[10:11]
	s_and_saveexec_b64 s[8:9], s[6:7]
	s_cbranch_execz .LBB130_373
.LBB130_372:
	v_sub_u32_e32 v4, v4, v10
	v_lshlrev_b32_e32 v4, 2, v4
	ds_write_b32 v4, v56
.LBB130_373:
	s_or_b64 exec, exec, s[8:9]
	s_and_b64 s[42:43], s[4:5], exec
                                        ; implicit-def: $vgpr56
                                        ; implicit-def: $vgpr57
                                        ; implicit-def: $vgpr61
                                        ; implicit-def: $vgpr63
                                        ; implicit-def: $vgpr64
                                        ; implicit-def: $vgpr65
                                        ; implicit-def: $vgpr66
                                        ; implicit-def: $vgpr67
                                        ; implicit-def: $vgpr68
                                        ; implicit-def: $vgpr69
                                        ; implicit-def: $vgpr70
                                        ; implicit-def: $vgpr71
                                        ; implicit-def: $vgpr72
                                        ; implicit-def: $vgpr73
                                        ; implicit-def: $vgpr53
                                        ; implicit-def: $vgpr52
                                        ; implicit-def: $vgpr51
                                        ; implicit-def: $vgpr50
                                        ; implicit-def: $vgpr49
                                        ; implicit-def: $vgpr48
                                        ; implicit-def: $vgpr47
                                        ; implicit-def: $vgpr46
                                        ; implicit-def: $vgpr45
                                        ; implicit-def: $vgpr44
                                        ; implicit-def: $vgpr43
                                        ; implicit-def: $vgpr42
                                        ; implicit-def: $vgpr4
	s_andn2_saveexec_b64 s[4:5], s[40:41]
	s_cbranch_execnz .LBB130_358
.LBB130_374:
	s_or_b64 exec, exec, s[4:5]
	s_and_b64 exec, exec, s[42:43]
	s_cbranch_execz .LBB130_376
.LBB130_375:
	v_sub_u32_e32 v3, v3, v10
	v_lshlrev_b32_e32 v3, 2, v3
	ds_write_b32 v3, v62
.LBB130_376:
	s_or_b64 exec, exec, s[36:37]
	v_cmp_lt_u32_e32 vcc, v0, v7
	s_waitcnt lgkmcnt(0)
	s_barrier
	s_and_saveexec_b64 s[6:7], vcc
	s_cbranch_execz .LBB130_391
; %bb.377:
	v_add_u32_e32 v5, v2, v16
	v_xad_u32 v3, v0, -1, v5
	v_sub_u32_e32 v3, v3, v1
	s_movk_i32 s4, 0x1900
	v_cmp_gt_u32_e64 s[8:9], s4, v3
	s_movk_i32 s4, 0x18ff
	v_cmp_lt_u32_e32 vcc, s4, v3
	v_mov_b32_e32 v4, v0
	s_and_saveexec_b64 s[10:11], vcc
	s_cbranch_execz .LBB130_388
; %bb.378:
	v_sub_u32_e32 v4, v0, v5
	v_add_u32_e32 v1, v4, v1
	v_or_b32_e32 v1, 0xff, v1
	v_cmp_ge_u32_e32 vcc, v1, v0
	s_mov_b64 s[4:5], -1
	v_mov_b32_e32 v4, v0
	s_and_saveexec_b64 s[12:13], vcc
	s_cbranch_execz .LBB130_387
; %bb.379:
	v_lshrrev_b32_e32 v3, 8, v3
	v_add_u32_e32 v4, -1, v3
	v_or_b32_e32 v1, 0x100, v0
	v_lshrrev_b32_e32 v5, 1, v4
	v_add_u32_e32 v17, 1, v5
	v_cmp_lt_u32_e32 vcc, 13, v4
	v_mov_b32_e32 v20, 0
	v_lshlrev_b32_e32 v16, 2, v0
	v_pk_mov_b32 v[4:5], v[0:1], v[0:1] op_sel:[0,1]
	s_and_saveexec_b64 s[14:15], vcc
	s_cbranch_execz .LBB130_383
; %bb.380:
	v_and_b32_e32 v18, -8, v17
	s_mov_b32 s18, 0
	s_mov_b64 s[16:17], 0
	v_mov_b32_e32 v11, 0
	v_mov_b32_e32 v19, v16
	v_pk_mov_b32 v[4:5], v[0:1], v[0:1] op_sel:[0,1]
.LBB130_381:                            ; =>This Inner Loop Header: Depth=1
	v_mov_b32_e32 v10, v4
	v_add_u32_e32 v18, -8, v18
	v_lshlrev_b64 v[52:53], 2, v[10:11]
	v_mov_b32_e32 v10, v5
	ds_read2st64_b32 v[22:23], v19 offset1:4
	s_add_i32 s18, s18, 16
	v_cmp_eq_u32_e32 vcc, 0, v18
	v_lshlrev_b64 v[56:57], 2, v[10:11]
	v_add_u32_e32 v10, 0x200, v4
	s_or_b64 s[16:17], vcc, s[16:17]
	v_add_co_u32_e32 v56, vcc, v14, v56
	v_add_u32_e32 v20, 0x200, v5
	v_mov_b32_e32 v21, v11
	ds_read2st64_b32 v[24:25], v19 offset0:8 offset1:12
	ds_read2st64_b32 v[28:29], v19 offset0:16 offset1:20
	v_add_co_u32_e64 v52, s[4:5], v14, v52
	v_addc_co_u32_e32 v57, vcc, v15, v57, vcc
	v_lshlrev_b64 v[58:59], 2, v[10:11]
	v_lshlrev_b64 v[54:55], 2, v[20:21]
	v_addc_co_u32_e64 v53, s[4:5], v15, v53, s[4:5]
	v_add_u32_e32 v10, 0x400, v4
	v_add_co_u32_e32 v58, vcc, v14, v58
	v_add_u32_e32 v26, 0x400, v5
	v_mov_b32_e32 v27, v11
	ds_read2st64_b32 v[32:33], v19 offset0:24 offset1:28
	v_add_co_u32_e64 v54, s[4:5], v14, v54
	v_addc_co_u32_e32 v59, vcc, v15, v59, vcc
	v_lshlrev_b64 v[60:61], 2, v[10:11]
	ds_read2st64_b32 v[36:37], v19 offset0:32 offset1:36
	ds_read2st64_b32 v[42:43], v19 offset0:40 offset1:44
	;; [unrolled: 1-line block ×4, first 2 shown]
	v_lshlrev_b64 v[26:27], 2, v[26:27]
	v_addc_co_u32_e64 v55, s[4:5], v15, v55, s[4:5]
	v_add_u32_e32 v10, 0x600, v4
	s_waitcnt lgkmcnt(7)
	global_store_dword v[52:53], v22, off
	global_store_dword v[56:57], v23, off
	s_waitcnt lgkmcnt(6)
	global_store_dword v[58:59], v24, off
	global_store_dword v[54:55], v25, off
	v_add_co_u32_e32 v22, vcc, v14, v60
	v_add_u32_e32 v30, 0x600, v5
	v_mov_b32_e32 v31, v11
	v_add_co_u32_e64 v26, s[4:5], v14, v26
	v_addc_co_u32_e32 v23, vcc, v15, v61, vcc
	v_lshlrev_b64 v[24:25], 2, v[10:11]
	v_lshlrev_b64 v[30:31], 2, v[30:31]
	v_addc_co_u32_e64 v27, s[4:5], v15, v27, s[4:5]
	v_add_u32_e32 v10, 0x800, v4
	s_waitcnt lgkmcnt(5)
	global_store_dword v[22:23], v28, off
	global_store_dword v[26:27], v29, off
	v_add_co_u32_e32 v22, vcc, v14, v24
	v_add_u32_e32 v34, 0x800, v5
	v_mov_b32_e32 v35, v11
	v_add_co_u32_e64 v30, s[4:5], v14, v30
	v_addc_co_u32_e32 v23, vcc, v15, v25, vcc
	v_lshlrev_b64 v[24:25], 2, v[10:11]
	v_lshlrev_b64 v[34:35], 2, v[34:35]
	v_addc_co_u32_e64 v31, s[4:5], v15, v31, s[4:5]
	v_add_u32_e32 v10, 0xa00, v4
	;; [unrolled: 12-line block ×4, first 2 shown]
	s_waitcnt lgkmcnt(2)
	global_store_dword v[22:23], v42, off
	global_store_dword v[40:41], v43, off
	v_add_co_u32_e32 v22, vcc, v14, v24
	v_add_u32_e32 v48, 0xe00, v5
	v_mov_b32_e32 v49, v11
	v_add_co_u32_e64 v44, s[4:5], v14, v44
	v_addc_co_u32_e32 v23, vcc, v15, v25, vcc
	v_lshlrev_b64 v[24:25], 2, v[10:11]
	v_lshlrev_b64 v[48:49], 2, v[48:49]
	v_addc_co_u32_e64 v45, s[4:5], v15, v45, s[4:5]
	s_waitcnt lgkmcnt(1)
	global_store_dword v[22:23], v46, off
	global_store_dword v[44:45], v47, off
	v_add_co_u32_e32 v22, vcc, v14, v24
	v_add_u32_e32 v19, 0x4000, v19
	v_add_u32_e32 v5, 0x1000, v5
	v_mov_b32_e32 v20, s18
	v_add_co_u32_e64 v48, s[4:5], v14, v48
	v_add_u32_e32 v4, 0x1000, v4
	v_addc_co_u32_e32 v23, vcc, v15, v25, vcc
	v_addc_co_u32_e64 v49, s[4:5], v15, v49, s[4:5]
	s_waitcnt lgkmcnt(0)
	global_store_dword v[22:23], v50, off
	global_store_dword v[48:49], v51, off
	s_andn2_b64 exec, exec, s[16:17]
	s_cbranch_execnz .LBB130_381
; %bb.382:
	s_or_b64 exec, exec, s[16:17]
.LBB130_383:
	s_or_b64 exec, exec, s[14:15]
	v_and_b32_e32 v1, 7, v17
	v_cmp_ne_u32_e32 vcc, 0, v1
	s_and_saveexec_b64 s[14:15], vcc
	s_cbranch_execz .LBB130_386
; %bb.384:
	v_lshl_or_b32 v16, v20, 10, v16
	s_mov_b64 s[16:17], 0
	v_mov_b32_e32 v11, 0
.LBB130_385:                            ; =>This Inner Loop Header: Depth=1
	ds_read2st64_b32 v[18:19], v16 offset1:4
	v_mov_b32_e32 v10, v4
	v_add_u32_e32 v1, -1, v1
	v_lshlrev_b64 v[20:21], 2, v[10:11]
	v_mov_b32_e32 v10, v5
	v_cmp_eq_u32_e32 vcc, 0, v1
	v_add_co_u32_e64 v20, s[4:5], v14, v20
	v_lshlrev_b64 v[22:23], 2, v[10:11]
	v_add_u32_e32 v4, 0x200, v4
	v_add_u32_e32 v16, 0x800, v16
	;; [unrolled: 1-line block ×3, first 2 shown]
	v_addc_co_u32_e64 v21, s[4:5], v15, v21, s[4:5]
	s_or_b64 s[16:17], vcc, s[16:17]
	v_add_co_u32_e32 v22, vcc, v14, v22
	v_addc_co_u32_e32 v23, vcc, v15, v23, vcc
	s_waitcnt lgkmcnt(0)
	global_store_dword v[20:21], v18, off
	global_store_dword v[22:23], v19, off
	s_andn2_b64 exec, exec, s[16:17]
	s_cbranch_execnz .LBB130_385
.LBB130_386:
	s_or_b64 exec, exec, s[14:15]
	v_add_u32_e32 v1, 1, v3
	v_and_b32_e32 v3, 0x1fffffe, v1
	v_cmp_ne_u32_e32 vcc, v1, v3
	v_lshl_or_b32 v4, v3, 8, v0
	s_orn2_b64 s[4:5], vcc, exec
.LBB130_387:
	s_or_b64 exec, exec, s[12:13]
	s_andn2_b64 s[8:9], s[8:9], exec
	s_and_b64 s[4:5], s[4:5], exec
	s_or_b64 s[8:9], s[8:9], s[4:5]
.LBB130_388:
	s_or_b64 exec, exec, s[10:11]
	s_and_b64 exec, exec, s[8:9]
	s_cbranch_execz .LBB130_391
; %bb.389:
	v_lshlrev_b32_e32 v1, 2, v4
	s_mov_b64 s[4:5], 0
	v_mov_b32_e32 v5, 0
.LBB130_390:                            ; =>This Inner Loop Header: Depth=1
	v_lshlrev_b64 v[10:11], 2, v[4:5]
	ds_read_b32 v3, v1
	v_add_co_u32_e32 v10, vcc, v14, v10
	v_add_u32_e32 v4, 0x100, v4
	v_addc_co_u32_e32 v11, vcc, v15, v11, vcc
	v_cmp_ge_u32_e32 vcc, v4, v7
	v_add_u32_e32 v1, 0x400, v1
	s_or_b64 s[4:5], vcc, s[4:5]
	s_waitcnt lgkmcnt(0)
	global_store_dword v[10:11], v3, off
	s_andn2_b64 exec, exec, s[4:5]
	s_cbranch_execnz .LBB130_390
.LBB130_391:
	s_or_b64 exec, exec, s[6:7]
.LBB130_392:
	s_movk_i32 s4, 0xff
	v_cmp_eq_u32_e32 vcc, s4, v0
	s_and_b64 s[4:5], vcc, s[38:39]
	s_and_b64 exec, exec, s[4:5]
	s_cbranch_execz .LBB130_395
; %bb.393:
	v_add_co_u32_e32 v0, vcc, v2, v6
	v_addc_co_u32_e64 v1, s[4:5], 0, 0, vcc
	v_add_co_u32_e32 v0, vcc, v0, v8
	v_mov_b32_e32 v3, 0
	v_addc_co_u32_e32 v1, vcc, v1, v9, vcc
	s_cmpk_lg_i32 s33, 0xf00
	global_store_dwordx2 v3, v[0:1], s[54:55]
	s_cbranch_scc1 .LBB130_395
; %bb.394:
	v_lshlrev_b64 v[0:1], 2, v[2:3]
	v_add_co_u32_e32 v0, vcc, v12, v0
	v_addc_co_u32_e32 v1, vcc, v13, v1, vcc
	global_store_dword v[0:1], v38, off offset:-4
	s_endpgm
.LBB130_395:
	s_endpgm
	.section	.rodata,"a",@progbits
	.p2align	6, 0x0
	.amdhsa_kernel _ZN7rocprim17ROCPRIM_400000_NS6detail17trampoline_kernelINS0_14default_configENS1_29reduce_by_key_config_selectorIffN6thrust23THRUST_200600_302600_NS4plusIfEEEEZZNS1_33reduce_by_key_impl_wrapped_configILNS1_25lookback_scan_determinismE1ES3_S9_NS6_6detail15normal_iteratorINS6_10device_ptrIfEEEESG_SG_SG_PmS8_22is_equal_div_10_reduceIfEEE10hipError_tPvRmT2_T3_mT4_T5_T6_T7_T8_P12ihipStream_tbENKUlT_T0_E_clISt17integral_constantIbLb0EES11_EEDaSW_SX_EUlSW_E_NS1_11comp_targetILNS1_3genE4ELNS1_11target_archE910ELNS1_3gpuE8ELNS1_3repE0EEENS1_30default_config_static_selectorELNS0_4arch9wavefront6targetE1EEEvT1_
		.amdhsa_group_segment_fixed_size 15360
		.amdhsa_private_segment_fixed_size 48
		.amdhsa_kernarg_size 120
		.amdhsa_user_sgpr_count 8
		.amdhsa_user_sgpr_private_segment_buffer 1
		.amdhsa_user_sgpr_dispatch_ptr 0
		.amdhsa_user_sgpr_queue_ptr 0
		.amdhsa_user_sgpr_kernarg_segment_ptr 1
		.amdhsa_user_sgpr_dispatch_id 0
		.amdhsa_user_sgpr_flat_scratch_init 1
		.amdhsa_user_sgpr_kernarg_preload_length 0
		.amdhsa_user_sgpr_kernarg_preload_offset 0
		.amdhsa_user_sgpr_private_segment_size 0
		.amdhsa_uses_dynamic_stack 0
		.amdhsa_system_sgpr_private_segment_wavefront_offset 1
		.amdhsa_system_sgpr_workgroup_id_x 1
		.amdhsa_system_sgpr_workgroup_id_y 0
		.amdhsa_system_sgpr_workgroup_id_z 0
		.amdhsa_system_sgpr_workgroup_info 0
		.amdhsa_system_vgpr_workitem_id 0
		.amdhsa_next_free_vgpr 108
		.amdhsa_next_free_sgpr 74
		.amdhsa_accum_offset 108
		.amdhsa_reserve_vcc 1
		.amdhsa_reserve_flat_scratch 1
		.amdhsa_float_round_mode_32 0
		.amdhsa_float_round_mode_16_64 0
		.amdhsa_float_denorm_mode_32 3
		.amdhsa_float_denorm_mode_16_64 3
		.amdhsa_dx10_clamp 1
		.amdhsa_ieee_mode 1
		.amdhsa_fp16_overflow 0
		.amdhsa_tg_split 0
		.amdhsa_exception_fp_ieee_invalid_op 0
		.amdhsa_exception_fp_denorm_src 0
		.amdhsa_exception_fp_ieee_div_zero 0
		.amdhsa_exception_fp_ieee_overflow 0
		.amdhsa_exception_fp_ieee_underflow 0
		.amdhsa_exception_fp_ieee_inexact 0
		.amdhsa_exception_int_div_zero 0
	.end_amdhsa_kernel
	.section	.text._ZN7rocprim17ROCPRIM_400000_NS6detail17trampoline_kernelINS0_14default_configENS1_29reduce_by_key_config_selectorIffN6thrust23THRUST_200600_302600_NS4plusIfEEEEZZNS1_33reduce_by_key_impl_wrapped_configILNS1_25lookback_scan_determinismE1ES3_S9_NS6_6detail15normal_iteratorINS6_10device_ptrIfEEEESG_SG_SG_PmS8_22is_equal_div_10_reduceIfEEE10hipError_tPvRmT2_T3_mT4_T5_T6_T7_T8_P12ihipStream_tbENKUlT_T0_E_clISt17integral_constantIbLb0EES11_EEDaSW_SX_EUlSW_E_NS1_11comp_targetILNS1_3genE4ELNS1_11target_archE910ELNS1_3gpuE8ELNS1_3repE0EEENS1_30default_config_static_selectorELNS0_4arch9wavefront6targetE1EEEvT1_,"axG",@progbits,_ZN7rocprim17ROCPRIM_400000_NS6detail17trampoline_kernelINS0_14default_configENS1_29reduce_by_key_config_selectorIffN6thrust23THRUST_200600_302600_NS4plusIfEEEEZZNS1_33reduce_by_key_impl_wrapped_configILNS1_25lookback_scan_determinismE1ES3_S9_NS6_6detail15normal_iteratorINS6_10device_ptrIfEEEESG_SG_SG_PmS8_22is_equal_div_10_reduceIfEEE10hipError_tPvRmT2_T3_mT4_T5_T6_T7_T8_P12ihipStream_tbENKUlT_T0_E_clISt17integral_constantIbLb0EES11_EEDaSW_SX_EUlSW_E_NS1_11comp_targetILNS1_3genE4ELNS1_11target_archE910ELNS1_3gpuE8ELNS1_3repE0EEENS1_30default_config_static_selectorELNS0_4arch9wavefront6targetE1EEEvT1_,comdat
.Lfunc_end130:
	.size	_ZN7rocprim17ROCPRIM_400000_NS6detail17trampoline_kernelINS0_14default_configENS1_29reduce_by_key_config_selectorIffN6thrust23THRUST_200600_302600_NS4plusIfEEEEZZNS1_33reduce_by_key_impl_wrapped_configILNS1_25lookback_scan_determinismE1ES3_S9_NS6_6detail15normal_iteratorINS6_10device_ptrIfEEEESG_SG_SG_PmS8_22is_equal_div_10_reduceIfEEE10hipError_tPvRmT2_T3_mT4_T5_T6_T7_T8_P12ihipStream_tbENKUlT_T0_E_clISt17integral_constantIbLb0EES11_EEDaSW_SX_EUlSW_E_NS1_11comp_targetILNS1_3genE4ELNS1_11target_archE910ELNS1_3gpuE8ELNS1_3repE0EEENS1_30default_config_static_selectorELNS0_4arch9wavefront6targetE1EEEvT1_, .Lfunc_end130-_ZN7rocprim17ROCPRIM_400000_NS6detail17trampoline_kernelINS0_14default_configENS1_29reduce_by_key_config_selectorIffN6thrust23THRUST_200600_302600_NS4plusIfEEEEZZNS1_33reduce_by_key_impl_wrapped_configILNS1_25lookback_scan_determinismE1ES3_S9_NS6_6detail15normal_iteratorINS6_10device_ptrIfEEEESG_SG_SG_PmS8_22is_equal_div_10_reduceIfEEE10hipError_tPvRmT2_T3_mT4_T5_T6_T7_T8_P12ihipStream_tbENKUlT_T0_E_clISt17integral_constantIbLb0EES11_EEDaSW_SX_EUlSW_E_NS1_11comp_targetILNS1_3genE4ELNS1_11target_archE910ELNS1_3gpuE8ELNS1_3repE0EEENS1_30default_config_static_selectorELNS0_4arch9wavefront6targetE1EEEvT1_
                                        ; -- End function
	.section	.AMDGPU.csdata,"",@progbits
; Kernel info:
; codeLenInByte = 20520
; NumSgprs: 80
; NumVgprs: 108
; NumAgprs: 0
; TotalNumVgprs: 108
; ScratchSize: 48
; MemoryBound: 0
; FloatMode: 240
; IeeeMode: 1
; LDSByteSize: 15360 bytes/workgroup (compile time only)
; SGPRBlocks: 9
; VGPRBlocks: 13
; NumSGPRsForWavesPerEU: 80
; NumVGPRsForWavesPerEU: 108
; AccumOffset: 108
; Occupancy: 4
; WaveLimiterHint : 1
; COMPUTE_PGM_RSRC2:SCRATCH_EN: 1
; COMPUTE_PGM_RSRC2:USER_SGPR: 8
; COMPUTE_PGM_RSRC2:TRAP_HANDLER: 0
; COMPUTE_PGM_RSRC2:TGID_X_EN: 1
; COMPUTE_PGM_RSRC2:TGID_Y_EN: 0
; COMPUTE_PGM_RSRC2:TGID_Z_EN: 0
; COMPUTE_PGM_RSRC2:TIDIG_COMP_CNT: 0
; COMPUTE_PGM_RSRC3_GFX90A:ACCUM_OFFSET: 26
; COMPUTE_PGM_RSRC3_GFX90A:TG_SPLIT: 0
	.section	.text._ZN7rocprim17ROCPRIM_400000_NS6detail17trampoline_kernelINS0_14default_configENS1_29reduce_by_key_config_selectorIffN6thrust23THRUST_200600_302600_NS4plusIfEEEEZZNS1_33reduce_by_key_impl_wrapped_configILNS1_25lookback_scan_determinismE1ES3_S9_NS6_6detail15normal_iteratorINS6_10device_ptrIfEEEESG_SG_SG_PmS8_22is_equal_div_10_reduceIfEEE10hipError_tPvRmT2_T3_mT4_T5_T6_T7_T8_P12ihipStream_tbENKUlT_T0_E_clISt17integral_constantIbLb0EES11_EEDaSW_SX_EUlSW_E_NS1_11comp_targetILNS1_3genE3ELNS1_11target_archE908ELNS1_3gpuE7ELNS1_3repE0EEENS1_30default_config_static_selectorELNS0_4arch9wavefront6targetE1EEEvT1_,"axG",@progbits,_ZN7rocprim17ROCPRIM_400000_NS6detail17trampoline_kernelINS0_14default_configENS1_29reduce_by_key_config_selectorIffN6thrust23THRUST_200600_302600_NS4plusIfEEEEZZNS1_33reduce_by_key_impl_wrapped_configILNS1_25lookback_scan_determinismE1ES3_S9_NS6_6detail15normal_iteratorINS6_10device_ptrIfEEEESG_SG_SG_PmS8_22is_equal_div_10_reduceIfEEE10hipError_tPvRmT2_T3_mT4_T5_T6_T7_T8_P12ihipStream_tbENKUlT_T0_E_clISt17integral_constantIbLb0EES11_EEDaSW_SX_EUlSW_E_NS1_11comp_targetILNS1_3genE3ELNS1_11target_archE908ELNS1_3gpuE7ELNS1_3repE0EEENS1_30default_config_static_selectorELNS0_4arch9wavefront6targetE1EEEvT1_,comdat
	.protected	_ZN7rocprim17ROCPRIM_400000_NS6detail17trampoline_kernelINS0_14default_configENS1_29reduce_by_key_config_selectorIffN6thrust23THRUST_200600_302600_NS4plusIfEEEEZZNS1_33reduce_by_key_impl_wrapped_configILNS1_25lookback_scan_determinismE1ES3_S9_NS6_6detail15normal_iteratorINS6_10device_ptrIfEEEESG_SG_SG_PmS8_22is_equal_div_10_reduceIfEEE10hipError_tPvRmT2_T3_mT4_T5_T6_T7_T8_P12ihipStream_tbENKUlT_T0_E_clISt17integral_constantIbLb0EES11_EEDaSW_SX_EUlSW_E_NS1_11comp_targetILNS1_3genE3ELNS1_11target_archE908ELNS1_3gpuE7ELNS1_3repE0EEENS1_30default_config_static_selectorELNS0_4arch9wavefront6targetE1EEEvT1_ ; -- Begin function _ZN7rocprim17ROCPRIM_400000_NS6detail17trampoline_kernelINS0_14default_configENS1_29reduce_by_key_config_selectorIffN6thrust23THRUST_200600_302600_NS4plusIfEEEEZZNS1_33reduce_by_key_impl_wrapped_configILNS1_25lookback_scan_determinismE1ES3_S9_NS6_6detail15normal_iteratorINS6_10device_ptrIfEEEESG_SG_SG_PmS8_22is_equal_div_10_reduceIfEEE10hipError_tPvRmT2_T3_mT4_T5_T6_T7_T8_P12ihipStream_tbENKUlT_T0_E_clISt17integral_constantIbLb0EES11_EEDaSW_SX_EUlSW_E_NS1_11comp_targetILNS1_3genE3ELNS1_11target_archE908ELNS1_3gpuE7ELNS1_3repE0EEENS1_30default_config_static_selectorELNS0_4arch9wavefront6targetE1EEEvT1_
	.globl	_ZN7rocprim17ROCPRIM_400000_NS6detail17trampoline_kernelINS0_14default_configENS1_29reduce_by_key_config_selectorIffN6thrust23THRUST_200600_302600_NS4plusIfEEEEZZNS1_33reduce_by_key_impl_wrapped_configILNS1_25lookback_scan_determinismE1ES3_S9_NS6_6detail15normal_iteratorINS6_10device_ptrIfEEEESG_SG_SG_PmS8_22is_equal_div_10_reduceIfEEE10hipError_tPvRmT2_T3_mT4_T5_T6_T7_T8_P12ihipStream_tbENKUlT_T0_E_clISt17integral_constantIbLb0EES11_EEDaSW_SX_EUlSW_E_NS1_11comp_targetILNS1_3genE3ELNS1_11target_archE908ELNS1_3gpuE7ELNS1_3repE0EEENS1_30default_config_static_selectorELNS0_4arch9wavefront6targetE1EEEvT1_
	.p2align	8
	.type	_ZN7rocprim17ROCPRIM_400000_NS6detail17trampoline_kernelINS0_14default_configENS1_29reduce_by_key_config_selectorIffN6thrust23THRUST_200600_302600_NS4plusIfEEEEZZNS1_33reduce_by_key_impl_wrapped_configILNS1_25lookback_scan_determinismE1ES3_S9_NS6_6detail15normal_iteratorINS6_10device_ptrIfEEEESG_SG_SG_PmS8_22is_equal_div_10_reduceIfEEE10hipError_tPvRmT2_T3_mT4_T5_T6_T7_T8_P12ihipStream_tbENKUlT_T0_E_clISt17integral_constantIbLb0EES11_EEDaSW_SX_EUlSW_E_NS1_11comp_targetILNS1_3genE3ELNS1_11target_archE908ELNS1_3gpuE7ELNS1_3repE0EEENS1_30default_config_static_selectorELNS0_4arch9wavefront6targetE1EEEvT1_,@function
_ZN7rocprim17ROCPRIM_400000_NS6detail17trampoline_kernelINS0_14default_configENS1_29reduce_by_key_config_selectorIffN6thrust23THRUST_200600_302600_NS4plusIfEEEEZZNS1_33reduce_by_key_impl_wrapped_configILNS1_25lookback_scan_determinismE1ES3_S9_NS6_6detail15normal_iteratorINS6_10device_ptrIfEEEESG_SG_SG_PmS8_22is_equal_div_10_reduceIfEEE10hipError_tPvRmT2_T3_mT4_T5_T6_T7_T8_P12ihipStream_tbENKUlT_T0_E_clISt17integral_constantIbLb0EES11_EEDaSW_SX_EUlSW_E_NS1_11comp_targetILNS1_3genE3ELNS1_11target_archE908ELNS1_3gpuE7ELNS1_3repE0EEENS1_30default_config_static_selectorELNS0_4arch9wavefront6targetE1EEEvT1_: ; @_ZN7rocprim17ROCPRIM_400000_NS6detail17trampoline_kernelINS0_14default_configENS1_29reduce_by_key_config_selectorIffN6thrust23THRUST_200600_302600_NS4plusIfEEEEZZNS1_33reduce_by_key_impl_wrapped_configILNS1_25lookback_scan_determinismE1ES3_S9_NS6_6detail15normal_iteratorINS6_10device_ptrIfEEEESG_SG_SG_PmS8_22is_equal_div_10_reduceIfEEE10hipError_tPvRmT2_T3_mT4_T5_T6_T7_T8_P12ihipStream_tbENKUlT_T0_E_clISt17integral_constantIbLb0EES11_EEDaSW_SX_EUlSW_E_NS1_11comp_targetILNS1_3genE3ELNS1_11target_archE908ELNS1_3gpuE7ELNS1_3repE0EEENS1_30default_config_static_selectorELNS0_4arch9wavefront6targetE1EEEvT1_
; %bb.0:
	.section	.rodata,"a",@progbits
	.p2align	6, 0x0
	.amdhsa_kernel _ZN7rocprim17ROCPRIM_400000_NS6detail17trampoline_kernelINS0_14default_configENS1_29reduce_by_key_config_selectorIffN6thrust23THRUST_200600_302600_NS4plusIfEEEEZZNS1_33reduce_by_key_impl_wrapped_configILNS1_25lookback_scan_determinismE1ES3_S9_NS6_6detail15normal_iteratorINS6_10device_ptrIfEEEESG_SG_SG_PmS8_22is_equal_div_10_reduceIfEEE10hipError_tPvRmT2_T3_mT4_T5_T6_T7_T8_P12ihipStream_tbENKUlT_T0_E_clISt17integral_constantIbLb0EES11_EEDaSW_SX_EUlSW_E_NS1_11comp_targetILNS1_3genE3ELNS1_11target_archE908ELNS1_3gpuE7ELNS1_3repE0EEENS1_30default_config_static_selectorELNS0_4arch9wavefront6targetE1EEEvT1_
		.amdhsa_group_segment_fixed_size 0
		.amdhsa_private_segment_fixed_size 0
		.amdhsa_kernarg_size 120
		.amdhsa_user_sgpr_count 6
		.amdhsa_user_sgpr_private_segment_buffer 1
		.amdhsa_user_sgpr_dispatch_ptr 0
		.amdhsa_user_sgpr_queue_ptr 0
		.amdhsa_user_sgpr_kernarg_segment_ptr 1
		.amdhsa_user_sgpr_dispatch_id 0
		.amdhsa_user_sgpr_flat_scratch_init 0
		.amdhsa_user_sgpr_kernarg_preload_length 0
		.amdhsa_user_sgpr_kernarg_preload_offset 0
		.amdhsa_user_sgpr_private_segment_size 0
		.amdhsa_uses_dynamic_stack 0
		.amdhsa_system_sgpr_private_segment_wavefront_offset 0
		.amdhsa_system_sgpr_workgroup_id_x 1
		.amdhsa_system_sgpr_workgroup_id_y 0
		.amdhsa_system_sgpr_workgroup_id_z 0
		.amdhsa_system_sgpr_workgroup_info 0
		.amdhsa_system_vgpr_workitem_id 0
		.amdhsa_next_free_vgpr 1
		.amdhsa_next_free_sgpr 0
		.amdhsa_accum_offset 4
		.amdhsa_reserve_vcc 0
		.amdhsa_reserve_flat_scratch 0
		.amdhsa_float_round_mode_32 0
		.amdhsa_float_round_mode_16_64 0
		.amdhsa_float_denorm_mode_32 3
		.amdhsa_float_denorm_mode_16_64 3
		.amdhsa_dx10_clamp 1
		.amdhsa_ieee_mode 1
		.amdhsa_fp16_overflow 0
		.amdhsa_tg_split 0
		.amdhsa_exception_fp_ieee_invalid_op 0
		.amdhsa_exception_fp_denorm_src 0
		.amdhsa_exception_fp_ieee_div_zero 0
		.amdhsa_exception_fp_ieee_overflow 0
		.amdhsa_exception_fp_ieee_underflow 0
		.amdhsa_exception_fp_ieee_inexact 0
		.amdhsa_exception_int_div_zero 0
	.end_amdhsa_kernel
	.section	.text._ZN7rocprim17ROCPRIM_400000_NS6detail17trampoline_kernelINS0_14default_configENS1_29reduce_by_key_config_selectorIffN6thrust23THRUST_200600_302600_NS4plusIfEEEEZZNS1_33reduce_by_key_impl_wrapped_configILNS1_25lookback_scan_determinismE1ES3_S9_NS6_6detail15normal_iteratorINS6_10device_ptrIfEEEESG_SG_SG_PmS8_22is_equal_div_10_reduceIfEEE10hipError_tPvRmT2_T3_mT4_T5_T6_T7_T8_P12ihipStream_tbENKUlT_T0_E_clISt17integral_constantIbLb0EES11_EEDaSW_SX_EUlSW_E_NS1_11comp_targetILNS1_3genE3ELNS1_11target_archE908ELNS1_3gpuE7ELNS1_3repE0EEENS1_30default_config_static_selectorELNS0_4arch9wavefront6targetE1EEEvT1_,"axG",@progbits,_ZN7rocprim17ROCPRIM_400000_NS6detail17trampoline_kernelINS0_14default_configENS1_29reduce_by_key_config_selectorIffN6thrust23THRUST_200600_302600_NS4plusIfEEEEZZNS1_33reduce_by_key_impl_wrapped_configILNS1_25lookback_scan_determinismE1ES3_S9_NS6_6detail15normal_iteratorINS6_10device_ptrIfEEEESG_SG_SG_PmS8_22is_equal_div_10_reduceIfEEE10hipError_tPvRmT2_T3_mT4_T5_T6_T7_T8_P12ihipStream_tbENKUlT_T0_E_clISt17integral_constantIbLb0EES11_EEDaSW_SX_EUlSW_E_NS1_11comp_targetILNS1_3genE3ELNS1_11target_archE908ELNS1_3gpuE7ELNS1_3repE0EEENS1_30default_config_static_selectorELNS0_4arch9wavefront6targetE1EEEvT1_,comdat
.Lfunc_end131:
	.size	_ZN7rocprim17ROCPRIM_400000_NS6detail17trampoline_kernelINS0_14default_configENS1_29reduce_by_key_config_selectorIffN6thrust23THRUST_200600_302600_NS4plusIfEEEEZZNS1_33reduce_by_key_impl_wrapped_configILNS1_25lookback_scan_determinismE1ES3_S9_NS6_6detail15normal_iteratorINS6_10device_ptrIfEEEESG_SG_SG_PmS8_22is_equal_div_10_reduceIfEEE10hipError_tPvRmT2_T3_mT4_T5_T6_T7_T8_P12ihipStream_tbENKUlT_T0_E_clISt17integral_constantIbLb0EES11_EEDaSW_SX_EUlSW_E_NS1_11comp_targetILNS1_3genE3ELNS1_11target_archE908ELNS1_3gpuE7ELNS1_3repE0EEENS1_30default_config_static_selectorELNS0_4arch9wavefront6targetE1EEEvT1_, .Lfunc_end131-_ZN7rocprim17ROCPRIM_400000_NS6detail17trampoline_kernelINS0_14default_configENS1_29reduce_by_key_config_selectorIffN6thrust23THRUST_200600_302600_NS4plusIfEEEEZZNS1_33reduce_by_key_impl_wrapped_configILNS1_25lookback_scan_determinismE1ES3_S9_NS6_6detail15normal_iteratorINS6_10device_ptrIfEEEESG_SG_SG_PmS8_22is_equal_div_10_reduceIfEEE10hipError_tPvRmT2_T3_mT4_T5_T6_T7_T8_P12ihipStream_tbENKUlT_T0_E_clISt17integral_constantIbLb0EES11_EEDaSW_SX_EUlSW_E_NS1_11comp_targetILNS1_3genE3ELNS1_11target_archE908ELNS1_3gpuE7ELNS1_3repE0EEENS1_30default_config_static_selectorELNS0_4arch9wavefront6targetE1EEEvT1_
                                        ; -- End function
	.section	.AMDGPU.csdata,"",@progbits
; Kernel info:
; codeLenInByte = 0
; NumSgprs: 4
; NumVgprs: 0
; NumAgprs: 0
; TotalNumVgprs: 0
; ScratchSize: 0
; MemoryBound: 0
; FloatMode: 240
; IeeeMode: 1
; LDSByteSize: 0 bytes/workgroup (compile time only)
; SGPRBlocks: 0
; VGPRBlocks: 0
; NumSGPRsForWavesPerEU: 4
; NumVGPRsForWavesPerEU: 1
; AccumOffset: 4
; Occupancy: 8
; WaveLimiterHint : 0
; COMPUTE_PGM_RSRC2:SCRATCH_EN: 0
; COMPUTE_PGM_RSRC2:USER_SGPR: 6
; COMPUTE_PGM_RSRC2:TRAP_HANDLER: 0
; COMPUTE_PGM_RSRC2:TGID_X_EN: 1
; COMPUTE_PGM_RSRC2:TGID_Y_EN: 0
; COMPUTE_PGM_RSRC2:TGID_Z_EN: 0
; COMPUTE_PGM_RSRC2:TIDIG_COMP_CNT: 0
; COMPUTE_PGM_RSRC3_GFX90A:ACCUM_OFFSET: 0
; COMPUTE_PGM_RSRC3_GFX90A:TG_SPLIT: 0
	.section	.text._ZN7rocprim17ROCPRIM_400000_NS6detail17trampoline_kernelINS0_14default_configENS1_29reduce_by_key_config_selectorIffN6thrust23THRUST_200600_302600_NS4plusIfEEEEZZNS1_33reduce_by_key_impl_wrapped_configILNS1_25lookback_scan_determinismE1ES3_S9_NS6_6detail15normal_iteratorINS6_10device_ptrIfEEEESG_SG_SG_PmS8_22is_equal_div_10_reduceIfEEE10hipError_tPvRmT2_T3_mT4_T5_T6_T7_T8_P12ihipStream_tbENKUlT_T0_E_clISt17integral_constantIbLb0EES11_EEDaSW_SX_EUlSW_E_NS1_11comp_targetILNS1_3genE2ELNS1_11target_archE906ELNS1_3gpuE6ELNS1_3repE0EEENS1_30default_config_static_selectorELNS0_4arch9wavefront6targetE1EEEvT1_,"axG",@progbits,_ZN7rocprim17ROCPRIM_400000_NS6detail17trampoline_kernelINS0_14default_configENS1_29reduce_by_key_config_selectorIffN6thrust23THRUST_200600_302600_NS4plusIfEEEEZZNS1_33reduce_by_key_impl_wrapped_configILNS1_25lookback_scan_determinismE1ES3_S9_NS6_6detail15normal_iteratorINS6_10device_ptrIfEEEESG_SG_SG_PmS8_22is_equal_div_10_reduceIfEEE10hipError_tPvRmT2_T3_mT4_T5_T6_T7_T8_P12ihipStream_tbENKUlT_T0_E_clISt17integral_constantIbLb0EES11_EEDaSW_SX_EUlSW_E_NS1_11comp_targetILNS1_3genE2ELNS1_11target_archE906ELNS1_3gpuE6ELNS1_3repE0EEENS1_30default_config_static_selectorELNS0_4arch9wavefront6targetE1EEEvT1_,comdat
	.protected	_ZN7rocprim17ROCPRIM_400000_NS6detail17trampoline_kernelINS0_14default_configENS1_29reduce_by_key_config_selectorIffN6thrust23THRUST_200600_302600_NS4plusIfEEEEZZNS1_33reduce_by_key_impl_wrapped_configILNS1_25lookback_scan_determinismE1ES3_S9_NS6_6detail15normal_iteratorINS6_10device_ptrIfEEEESG_SG_SG_PmS8_22is_equal_div_10_reduceIfEEE10hipError_tPvRmT2_T3_mT4_T5_T6_T7_T8_P12ihipStream_tbENKUlT_T0_E_clISt17integral_constantIbLb0EES11_EEDaSW_SX_EUlSW_E_NS1_11comp_targetILNS1_3genE2ELNS1_11target_archE906ELNS1_3gpuE6ELNS1_3repE0EEENS1_30default_config_static_selectorELNS0_4arch9wavefront6targetE1EEEvT1_ ; -- Begin function _ZN7rocprim17ROCPRIM_400000_NS6detail17trampoline_kernelINS0_14default_configENS1_29reduce_by_key_config_selectorIffN6thrust23THRUST_200600_302600_NS4plusIfEEEEZZNS1_33reduce_by_key_impl_wrapped_configILNS1_25lookback_scan_determinismE1ES3_S9_NS6_6detail15normal_iteratorINS6_10device_ptrIfEEEESG_SG_SG_PmS8_22is_equal_div_10_reduceIfEEE10hipError_tPvRmT2_T3_mT4_T5_T6_T7_T8_P12ihipStream_tbENKUlT_T0_E_clISt17integral_constantIbLb0EES11_EEDaSW_SX_EUlSW_E_NS1_11comp_targetILNS1_3genE2ELNS1_11target_archE906ELNS1_3gpuE6ELNS1_3repE0EEENS1_30default_config_static_selectorELNS0_4arch9wavefront6targetE1EEEvT1_
	.globl	_ZN7rocprim17ROCPRIM_400000_NS6detail17trampoline_kernelINS0_14default_configENS1_29reduce_by_key_config_selectorIffN6thrust23THRUST_200600_302600_NS4plusIfEEEEZZNS1_33reduce_by_key_impl_wrapped_configILNS1_25lookback_scan_determinismE1ES3_S9_NS6_6detail15normal_iteratorINS6_10device_ptrIfEEEESG_SG_SG_PmS8_22is_equal_div_10_reduceIfEEE10hipError_tPvRmT2_T3_mT4_T5_T6_T7_T8_P12ihipStream_tbENKUlT_T0_E_clISt17integral_constantIbLb0EES11_EEDaSW_SX_EUlSW_E_NS1_11comp_targetILNS1_3genE2ELNS1_11target_archE906ELNS1_3gpuE6ELNS1_3repE0EEENS1_30default_config_static_selectorELNS0_4arch9wavefront6targetE1EEEvT1_
	.p2align	8
	.type	_ZN7rocprim17ROCPRIM_400000_NS6detail17trampoline_kernelINS0_14default_configENS1_29reduce_by_key_config_selectorIffN6thrust23THRUST_200600_302600_NS4plusIfEEEEZZNS1_33reduce_by_key_impl_wrapped_configILNS1_25lookback_scan_determinismE1ES3_S9_NS6_6detail15normal_iteratorINS6_10device_ptrIfEEEESG_SG_SG_PmS8_22is_equal_div_10_reduceIfEEE10hipError_tPvRmT2_T3_mT4_T5_T6_T7_T8_P12ihipStream_tbENKUlT_T0_E_clISt17integral_constantIbLb0EES11_EEDaSW_SX_EUlSW_E_NS1_11comp_targetILNS1_3genE2ELNS1_11target_archE906ELNS1_3gpuE6ELNS1_3repE0EEENS1_30default_config_static_selectorELNS0_4arch9wavefront6targetE1EEEvT1_,@function
_ZN7rocprim17ROCPRIM_400000_NS6detail17trampoline_kernelINS0_14default_configENS1_29reduce_by_key_config_selectorIffN6thrust23THRUST_200600_302600_NS4plusIfEEEEZZNS1_33reduce_by_key_impl_wrapped_configILNS1_25lookback_scan_determinismE1ES3_S9_NS6_6detail15normal_iteratorINS6_10device_ptrIfEEEESG_SG_SG_PmS8_22is_equal_div_10_reduceIfEEE10hipError_tPvRmT2_T3_mT4_T5_T6_T7_T8_P12ihipStream_tbENKUlT_T0_E_clISt17integral_constantIbLb0EES11_EEDaSW_SX_EUlSW_E_NS1_11comp_targetILNS1_3genE2ELNS1_11target_archE906ELNS1_3gpuE6ELNS1_3repE0EEENS1_30default_config_static_selectorELNS0_4arch9wavefront6targetE1EEEvT1_: ; @_ZN7rocprim17ROCPRIM_400000_NS6detail17trampoline_kernelINS0_14default_configENS1_29reduce_by_key_config_selectorIffN6thrust23THRUST_200600_302600_NS4plusIfEEEEZZNS1_33reduce_by_key_impl_wrapped_configILNS1_25lookback_scan_determinismE1ES3_S9_NS6_6detail15normal_iteratorINS6_10device_ptrIfEEEESG_SG_SG_PmS8_22is_equal_div_10_reduceIfEEE10hipError_tPvRmT2_T3_mT4_T5_T6_T7_T8_P12ihipStream_tbENKUlT_T0_E_clISt17integral_constantIbLb0EES11_EEDaSW_SX_EUlSW_E_NS1_11comp_targetILNS1_3genE2ELNS1_11target_archE906ELNS1_3gpuE6ELNS1_3repE0EEENS1_30default_config_static_selectorELNS0_4arch9wavefront6targetE1EEEvT1_
; %bb.0:
	.section	.rodata,"a",@progbits
	.p2align	6, 0x0
	.amdhsa_kernel _ZN7rocprim17ROCPRIM_400000_NS6detail17trampoline_kernelINS0_14default_configENS1_29reduce_by_key_config_selectorIffN6thrust23THRUST_200600_302600_NS4plusIfEEEEZZNS1_33reduce_by_key_impl_wrapped_configILNS1_25lookback_scan_determinismE1ES3_S9_NS6_6detail15normal_iteratorINS6_10device_ptrIfEEEESG_SG_SG_PmS8_22is_equal_div_10_reduceIfEEE10hipError_tPvRmT2_T3_mT4_T5_T6_T7_T8_P12ihipStream_tbENKUlT_T0_E_clISt17integral_constantIbLb0EES11_EEDaSW_SX_EUlSW_E_NS1_11comp_targetILNS1_3genE2ELNS1_11target_archE906ELNS1_3gpuE6ELNS1_3repE0EEENS1_30default_config_static_selectorELNS0_4arch9wavefront6targetE1EEEvT1_
		.amdhsa_group_segment_fixed_size 0
		.amdhsa_private_segment_fixed_size 0
		.amdhsa_kernarg_size 120
		.amdhsa_user_sgpr_count 6
		.amdhsa_user_sgpr_private_segment_buffer 1
		.amdhsa_user_sgpr_dispatch_ptr 0
		.amdhsa_user_sgpr_queue_ptr 0
		.amdhsa_user_sgpr_kernarg_segment_ptr 1
		.amdhsa_user_sgpr_dispatch_id 0
		.amdhsa_user_sgpr_flat_scratch_init 0
		.amdhsa_user_sgpr_kernarg_preload_length 0
		.amdhsa_user_sgpr_kernarg_preload_offset 0
		.amdhsa_user_sgpr_private_segment_size 0
		.amdhsa_uses_dynamic_stack 0
		.amdhsa_system_sgpr_private_segment_wavefront_offset 0
		.amdhsa_system_sgpr_workgroup_id_x 1
		.amdhsa_system_sgpr_workgroup_id_y 0
		.amdhsa_system_sgpr_workgroup_id_z 0
		.amdhsa_system_sgpr_workgroup_info 0
		.amdhsa_system_vgpr_workitem_id 0
		.amdhsa_next_free_vgpr 1
		.amdhsa_next_free_sgpr 0
		.amdhsa_accum_offset 4
		.amdhsa_reserve_vcc 0
		.amdhsa_reserve_flat_scratch 0
		.amdhsa_float_round_mode_32 0
		.amdhsa_float_round_mode_16_64 0
		.amdhsa_float_denorm_mode_32 3
		.amdhsa_float_denorm_mode_16_64 3
		.amdhsa_dx10_clamp 1
		.amdhsa_ieee_mode 1
		.amdhsa_fp16_overflow 0
		.amdhsa_tg_split 0
		.amdhsa_exception_fp_ieee_invalid_op 0
		.amdhsa_exception_fp_denorm_src 0
		.amdhsa_exception_fp_ieee_div_zero 0
		.amdhsa_exception_fp_ieee_overflow 0
		.amdhsa_exception_fp_ieee_underflow 0
		.amdhsa_exception_fp_ieee_inexact 0
		.amdhsa_exception_int_div_zero 0
	.end_amdhsa_kernel
	.section	.text._ZN7rocprim17ROCPRIM_400000_NS6detail17trampoline_kernelINS0_14default_configENS1_29reduce_by_key_config_selectorIffN6thrust23THRUST_200600_302600_NS4plusIfEEEEZZNS1_33reduce_by_key_impl_wrapped_configILNS1_25lookback_scan_determinismE1ES3_S9_NS6_6detail15normal_iteratorINS6_10device_ptrIfEEEESG_SG_SG_PmS8_22is_equal_div_10_reduceIfEEE10hipError_tPvRmT2_T3_mT4_T5_T6_T7_T8_P12ihipStream_tbENKUlT_T0_E_clISt17integral_constantIbLb0EES11_EEDaSW_SX_EUlSW_E_NS1_11comp_targetILNS1_3genE2ELNS1_11target_archE906ELNS1_3gpuE6ELNS1_3repE0EEENS1_30default_config_static_selectorELNS0_4arch9wavefront6targetE1EEEvT1_,"axG",@progbits,_ZN7rocprim17ROCPRIM_400000_NS6detail17trampoline_kernelINS0_14default_configENS1_29reduce_by_key_config_selectorIffN6thrust23THRUST_200600_302600_NS4plusIfEEEEZZNS1_33reduce_by_key_impl_wrapped_configILNS1_25lookback_scan_determinismE1ES3_S9_NS6_6detail15normal_iteratorINS6_10device_ptrIfEEEESG_SG_SG_PmS8_22is_equal_div_10_reduceIfEEE10hipError_tPvRmT2_T3_mT4_T5_T6_T7_T8_P12ihipStream_tbENKUlT_T0_E_clISt17integral_constantIbLb0EES11_EEDaSW_SX_EUlSW_E_NS1_11comp_targetILNS1_3genE2ELNS1_11target_archE906ELNS1_3gpuE6ELNS1_3repE0EEENS1_30default_config_static_selectorELNS0_4arch9wavefront6targetE1EEEvT1_,comdat
.Lfunc_end132:
	.size	_ZN7rocprim17ROCPRIM_400000_NS6detail17trampoline_kernelINS0_14default_configENS1_29reduce_by_key_config_selectorIffN6thrust23THRUST_200600_302600_NS4plusIfEEEEZZNS1_33reduce_by_key_impl_wrapped_configILNS1_25lookback_scan_determinismE1ES3_S9_NS6_6detail15normal_iteratorINS6_10device_ptrIfEEEESG_SG_SG_PmS8_22is_equal_div_10_reduceIfEEE10hipError_tPvRmT2_T3_mT4_T5_T6_T7_T8_P12ihipStream_tbENKUlT_T0_E_clISt17integral_constantIbLb0EES11_EEDaSW_SX_EUlSW_E_NS1_11comp_targetILNS1_3genE2ELNS1_11target_archE906ELNS1_3gpuE6ELNS1_3repE0EEENS1_30default_config_static_selectorELNS0_4arch9wavefront6targetE1EEEvT1_, .Lfunc_end132-_ZN7rocprim17ROCPRIM_400000_NS6detail17trampoline_kernelINS0_14default_configENS1_29reduce_by_key_config_selectorIffN6thrust23THRUST_200600_302600_NS4plusIfEEEEZZNS1_33reduce_by_key_impl_wrapped_configILNS1_25lookback_scan_determinismE1ES3_S9_NS6_6detail15normal_iteratorINS6_10device_ptrIfEEEESG_SG_SG_PmS8_22is_equal_div_10_reduceIfEEE10hipError_tPvRmT2_T3_mT4_T5_T6_T7_T8_P12ihipStream_tbENKUlT_T0_E_clISt17integral_constantIbLb0EES11_EEDaSW_SX_EUlSW_E_NS1_11comp_targetILNS1_3genE2ELNS1_11target_archE906ELNS1_3gpuE6ELNS1_3repE0EEENS1_30default_config_static_selectorELNS0_4arch9wavefront6targetE1EEEvT1_
                                        ; -- End function
	.section	.AMDGPU.csdata,"",@progbits
; Kernel info:
; codeLenInByte = 0
; NumSgprs: 4
; NumVgprs: 0
; NumAgprs: 0
; TotalNumVgprs: 0
; ScratchSize: 0
; MemoryBound: 0
; FloatMode: 240
; IeeeMode: 1
; LDSByteSize: 0 bytes/workgroup (compile time only)
; SGPRBlocks: 0
; VGPRBlocks: 0
; NumSGPRsForWavesPerEU: 4
; NumVGPRsForWavesPerEU: 1
; AccumOffset: 4
; Occupancy: 8
; WaveLimiterHint : 0
; COMPUTE_PGM_RSRC2:SCRATCH_EN: 0
; COMPUTE_PGM_RSRC2:USER_SGPR: 6
; COMPUTE_PGM_RSRC2:TRAP_HANDLER: 0
; COMPUTE_PGM_RSRC2:TGID_X_EN: 1
; COMPUTE_PGM_RSRC2:TGID_Y_EN: 0
; COMPUTE_PGM_RSRC2:TGID_Z_EN: 0
; COMPUTE_PGM_RSRC2:TIDIG_COMP_CNT: 0
; COMPUTE_PGM_RSRC3_GFX90A:ACCUM_OFFSET: 0
; COMPUTE_PGM_RSRC3_GFX90A:TG_SPLIT: 0
	.section	.text._ZN7rocprim17ROCPRIM_400000_NS6detail17trampoline_kernelINS0_14default_configENS1_29reduce_by_key_config_selectorIffN6thrust23THRUST_200600_302600_NS4plusIfEEEEZZNS1_33reduce_by_key_impl_wrapped_configILNS1_25lookback_scan_determinismE1ES3_S9_NS6_6detail15normal_iteratorINS6_10device_ptrIfEEEESG_SG_SG_PmS8_22is_equal_div_10_reduceIfEEE10hipError_tPvRmT2_T3_mT4_T5_T6_T7_T8_P12ihipStream_tbENKUlT_T0_E_clISt17integral_constantIbLb0EES11_EEDaSW_SX_EUlSW_E_NS1_11comp_targetILNS1_3genE10ELNS1_11target_archE1201ELNS1_3gpuE5ELNS1_3repE0EEENS1_30default_config_static_selectorELNS0_4arch9wavefront6targetE1EEEvT1_,"axG",@progbits,_ZN7rocprim17ROCPRIM_400000_NS6detail17trampoline_kernelINS0_14default_configENS1_29reduce_by_key_config_selectorIffN6thrust23THRUST_200600_302600_NS4plusIfEEEEZZNS1_33reduce_by_key_impl_wrapped_configILNS1_25lookback_scan_determinismE1ES3_S9_NS6_6detail15normal_iteratorINS6_10device_ptrIfEEEESG_SG_SG_PmS8_22is_equal_div_10_reduceIfEEE10hipError_tPvRmT2_T3_mT4_T5_T6_T7_T8_P12ihipStream_tbENKUlT_T0_E_clISt17integral_constantIbLb0EES11_EEDaSW_SX_EUlSW_E_NS1_11comp_targetILNS1_3genE10ELNS1_11target_archE1201ELNS1_3gpuE5ELNS1_3repE0EEENS1_30default_config_static_selectorELNS0_4arch9wavefront6targetE1EEEvT1_,comdat
	.protected	_ZN7rocprim17ROCPRIM_400000_NS6detail17trampoline_kernelINS0_14default_configENS1_29reduce_by_key_config_selectorIffN6thrust23THRUST_200600_302600_NS4plusIfEEEEZZNS1_33reduce_by_key_impl_wrapped_configILNS1_25lookback_scan_determinismE1ES3_S9_NS6_6detail15normal_iteratorINS6_10device_ptrIfEEEESG_SG_SG_PmS8_22is_equal_div_10_reduceIfEEE10hipError_tPvRmT2_T3_mT4_T5_T6_T7_T8_P12ihipStream_tbENKUlT_T0_E_clISt17integral_constantIbLb0EES11_EEDaSW_SX_EUlSW_E_NS1_11comp_targetILNS1_3genE10ELNS1_11target_archE1201ELNS1_3gpuE5ELNS1_3repE0EEENS1_30default_config_static_selectorELNS0_4arch9wavefront6targetE1EEEvT1_ ; -- Begin function _ZN7rocprim17ROCPRIM_400000_NS6detail17trampoline_kernelINS0_14default_configENS1_29reduce_by_key_config_selectorIffN6thrust23THRUST_200600_302600_NS4plusIfEEEEZZNS1_33reduce_by_key_impl_wrapped_configILNS1_25lookback_scan_determinismE1ES3_S9_NS6_6detail15normal_iteratorINS6_10device_ptrIfEEEESG_SG_SG_PmS8_22is_equal_div_10_reduceIfEEE10hipError_tPvRmT2_T3_mT4_T5_T6_T7_T8_P12ihipStream_tbENKUlT_T0_E_clISt17integral_constantIbLb0EES11_EEDaSW_SX_EUlSW_E_NS1_11comp_targetILNS1_3genE10ELNS1_11target_archE1201ELNS1_3gpuE5ELNS1_3repE0EEENS1_30default_config_static_selectorELNS0_4arch9wavefront6targetE1EEEvT1_
	.globl	_ZN7rocprim17ROCPRIM_400000_NS6detail17trampoline_kernelINS0_14default_configENS1_29reduce_by_key_config_selectorIffN6thrust23THRUST_200600_302600_NS4plusIfEEEEZZNS1_33reduce_by_key_impl_wrapped_configILNS1_25lookback_scan_determinismE1ES3_S9_NS6_6detail15normal_iteratorINS6_10device_ptrIfEEEESG_SG_SG_PmS8_22is_equal_div_10_reduceIfEEE10hipError_tPvRmT2_T3_mT4_T5_T6_T7_T8_P12ihipStream_tbENKUlT_T0_E_clISt17integral_constantIbLb0EES11_EEDaSW_SX_EUlSW_E_NS1_11comp_targetILNS1_3genE10ELNS1_11target_archE1201ELNS1_3gpuE5ELNS1_3repE0EEENS1_30default_config_static_selectorELNS0_4arch9wavefront6targetE1EEEvT1_
	.p2align	8
	.type	_ZN7rocprim17ROCPRIM_400000_NS6detail17trampoline_kernelINS0_14default_configENS1_29reduce_by_key_config_selectorIffN6thrust23THRUST_200600_302600_NS4plusIfEEEEZZNS1_33reduce_by_key_impl_wrapped_configILNS1_25lookback_scan_determinismE1ES3_S9_NS6_6detail15normal_iteratorINS6_10device_ptrIfEEEESG_SG_SG_PmS8_22is_equal_div_10_reduceIfEEE10hipError_tPvRmT2_T3_mT4_T5_T6_T7_T8_P12ihipStream_tbENKUlT_T0_E_clISt17integral_constantIbLb0EES11_EEDaSW_SX_EUlSW_E_NS1_11comp_targetILNS1_3genE10ELNS1_11target_archE1201ELNS1_3gpuE5ELNS1_3repE0EEENS1_30default_config_static_selectorELNS0_4arch9wavefront6targetE1EEEvT1_,@function
_ZN7rocprim17ROCPRIM_400000_NS6detail17trampoline_kernelINS0_14default_configENS1_29reduce_by_key_config_selectorIffN6thrust23THRUST_200600_302600_NS4plusIfEEEEZZNS1_33reduce_by_key_impl_wrapped_configILNS1_25lookback_scan_determinismE1ES3_S9_NS6_6detail15normal_iteratorINS6_10device_ptrIfEEEESG_SG_SG_PmS8_22is_equal_div_10_reduceIfEEE10hipError_tPvRmT2_T3_mT4_T5_T6_T7_T8_P12ihipStream_tbENKUlT_T0_E_clISt17integral_constantIbLb0EES11_EEDaSW_SX_EUlSW_E_NS1_11comp_targetILNS1_3genE10ELNS1_11target_archE1201ELNS1_3gpuE5ELNS1_3repE0EEENS1_30default_config_static_selectorELNS0_4arch9wavefront6targetE1EEEvT1_: ; @_ZN7rocprim17ROCPRIM_400000_NS6detail17trampoline_kernelINS0_14default_configENS1_29reduce_by_key_config_selectorIffN6thrust23THRUST_200600_302600_NS4plusIfEEEEZZNS1_33reduce_by_key_impl_wrapped_configILNS1_25lookback_scan_determinismE1ES3_S9_NS6_6detail15normal_iteratorINS6_10device_ptrIfEEEESG_SG_SG_PmS8_22is_equal_div_10_reduceIfEEE10hipError_tPvRmT2_T3_mT4_T5_T6_T7_T8_P12ihipStream_tbENKUlT_T0_E_clISt17integral_constantIbLb0EES11_EEDaSW_SX_EUlSW_E_NS1_11comp_targetILNS1_3genE10ELNS1_11target_archE1201ELNS1_3gpuE5ELNS1_3repE0EEENS1_30default_config_static_selectorELNS0_4arch9wavefront6targetE1EEEvT1_
; %bb.0:
	.section	.rodata,"a",@progbits
	.p2align	6, 0x0
	.amdhsa_kernel _ZN7rocprim17ROCPRIM_400000_NS6detail17trampoline_kernelINS0_14default_configENS1_29reduce_by_key_config_selectorIffN6thrust23THRUST_200600_302600_NS4plusIfEEEEZZNS1_33reduce_by_key_impl_wrapped_configILNS1_25lookback_scan_determinismE1ES3_S9_NS6_6detail15normal_iteratorINS6_10device_ptrIfEEEESG_SG_SG_PmS8_22is_equal_div_10_reduceIfEEE10hipError_tPvRmT2_T3_mT4_T5_T6_T7_T8_P12ihipStream_tbENKUlT_T0_E_clISt17integral_constantIbLb0EES11_EEDaSW_SX_EUlSW_E_NS1_11comp_targetILNS1_3genE10ELNS1_11target_archE1201ELNS1_3gpuE5ELNS1_3repE0EEENS1_30default_config_static_selectorELNS0_4arch9wavefront6targetE1EEEvT1_
		.amdhsa_group_segment_fixed_size 0
		.amdhsa_private_segment_fixed_size 0
		.amdhsa_kernarg_size 120
		.amdhsa_user_sgpr_count 6
		.amdhsa_user_sgpr_private_segment_buffer 1
		.amdhsa_user_sgpr_dispatch_ptr 0
		.amdhsa_user_sgpr_queue_ptr 0
		.amdhsa_user_sgpr_kernarg_segment_ptr 1
		.amdhsa_user_sgpr_dispatch_id 0
		.amdhsa_user_sgpr_flat_scratch_init 0
		.amdhsa_user_sgpr_kernarg_preload_length 0
		.amdhsa_user_sgpr_kernarg_preload_offset 0
		.amdhsa_user_sgpr_private_segment_size 0
		.amdhsa_uses_dynamic_stack 0
		.amdhsa_system_sgpr_private_segment_wavefront_offset 0
		.amdhsa_system_sgpr_workgroup_id_x 1
		.amdhsa_system_sgpr_workgroup_id_y 0
		.amdhsa_system_sgpr_workgroup_id_z 0
		.amdhsa_system_sgpr_workgroup_info 0
		.amdhsa_system_vgpr_workitem_id 0
		.amdhsa_next_free_vgpr 1
		.amdhsa_next_free_sgpr 0
		.amdhsa_accum_offset 4
		.amdhsa_reserve_vcc 0
		.amdhsa_reserve_flat_scratch 0
		.amdhsa_float_round_mode_32 0
		.amdhsa_float_round_mode_16_64 0
		.amdhsa_float_denorm_mode_32 3
		.amdhsa_float_denorm_mode_16_64 3
		.amdhsa_dx10_clamp 1
		.amdhsa_ieee_mode 1
		.amdhsa_fp16_overflow 0
		.amdhsa_tg_split 0
		.amdhsa_exception_fp_ieee_invalid_op 0
		.amdhsa_exception_fp_denorm_src 0
		.amdhsa_exception_fp_ieee_div_zero 0
		.amdhsa_exception_fp_ieee_overflow 0
		.amdhsa_exception_fp_ieee_underflow 0
		.amdhsa_exception_fp_ieee_inexact 0
		.amdhsa_exception_int_div_zero 0
	.end_amdhsa_kernel
	.section	.text._ZN7rocprim17ROCPRIM_400000_NS6detail17trampoline_kernelINS0_14default_configENS1_29reduce_by_key_config_selectorIffN6thrust23THRUST_200600_302600_NS4plusIfEEEEZZNS1_33reduce_by_key_impl_wrapped_configILNS1_25lookback_scan_determinismE1ES3_S9_NS6_6detail15normal_iteratorINS6_10device_ptrIfEEEESG_SG_SG_PmS8_22is_equal_div_10_reduceIfEEE10hipError_tPvRmT2_T3_mT4_T5_T6_T7_T8_P12ihipStream_tbENKUlT_T0_E_clISt17integral_constantIbLb0EES11_EEDaSW_SX_EUlSW_E_NS1_11comp_targetILNS1_3genE10ELNS1_11target_archE1201ELNS1_3gpuE5ELNS1_3repE0EEENS1_30default_config_static_selectorELNS0_4arch9wavefront6targetE1EEEvT1_,"axG",@progbits,_ZN7rocprim17ROCPRIM_400000_NS6detail17trampoline_kernelINS0_14default_configENS1_29reduce_by_key_config_selectorIffN6thrust23THRUST_200600_302600_NS4plusIfEEEEZZNS1_33reduce_by_key_impl_wrapped_configILNS1_25lookback_scan_determinismE1ES3_S9_NS6_6detail15normal_iteratorINS6_10device_ptrIfEEEESG_SG_SG_PmS8_22is_equal_div_10_reduceIfEEE10hipError_tPvRmT2_T3_mT4_T5_T6_T7_T8_P12ihipStream_tbENKUlT_T0_E_clISt17integral_constantIbLb0EES11_EEDaSW_SX_EUlSW_E_NS1_11comp_targetILNS1_3genE10ELNS1_11target_archE1201ELNS1_3gpuE5ELNS1_3repE0EEENS1_30default_config_static_selectorELNS0_4arch9wavefront6targetE1EEEvT1_,comdat
.Lfunc_end133:
	.size	_ZN7rocprim17ROCPRIM_400000_NS6detail17trampoline_kernelINS0_14default_configENS1_29reduce_by_key_config_selectorIffN6thrust23THRUST_200600_302600_NS4plusIfEEEEZZNS1_33reduce_by_key_impl_wrapped_configILNS1_25lookback_scan_determinismE1ES3_S9_NS6_6detail15normal_iteratorINS6_10device_ptrIfEEEESG_SG_SG_PmS8_22is_equal_div_10_reduceIfEEE10hipError_tPvRmT2_T3_mT4_T5_T6_T7_T8_P12ihipStream_tbENKUlT_T0_E_clISt17integral_constantIbLb0EES11_EEDaSW_SX_EUlSW_E_NS1_11comp_targetILNS1_3genE10ELNS1_11target_archE1201ELNS1_3gpuE5ELNS1_3repE0EEENS1_30default_config_static_selectorELNS0_4arch9wavefront6targetE1EEEvT1_, .Lfunc_end133-_ZN7rocprim17ROCPRIM_400000_NS6detail17trampoline_kernelINS0_14default_configENS1_29reduce_by_key_config_selectorIffN6thrust23THRUST_200600_302600_NS4plusIfEEEEZZNS1_33reduce_by_key_impl_wrapped_configILNS1_25lookback_scan_determinismE1ES3_S9_NS6_6detail15normal_iteratorINS6_10device_ptrIfEEEESG_SG_SG_PmS8_22is_equal_div_10_reduceIfEEE10hipError_tPvRmT2_T3_mT4_T5_T6_T7_T8_P12ihipStream_tbENKUlT_T0_E_clISt17integral_constantIbLb0EES11_EEDaSW_SX_EUlSW_E_NS1_11comp_targetILNS1_3genE10ELNS1_11target_archE1201ELNS1_3gpuE5ELNS1_3repE0EEENS1_30default_config_static_selectorELNS0_4arch9wavefront6targetE1EEEvT1_
                                        ; -- End function
	.section	.AMDGPU.csdata,"",@progbits
; Kernel info:
; codeLenInByte = 0
; NumSgprs: 4
; NumVgprs: 0
; NumAgprs: 0
; TotalNumVgprs: 0
; ScratchSize: 0
; MemoryBound: 0
; FloatMode: 240
; IeeeMode: 1
; LDSByteSize: 0 bytes/workgroup (compile time only)
; SGPRBlocks: 0
; VGPRBlocks: 0
; NumSGPRsForWavesPerEU: 4
; NumVGPRsForWavesPerEU: 1
; AccumOffset: 4
; Occupancy: 8
; WaveLimiterHint : 0
; COMPUTE_PGM_RSRC2:SCRATCH_EN: 0
; COMPUTE_PGM_RSRC2:USER_SGPR: 6
; COMPUTE_PGM_RSRC2:TRAP_HANDLER: 0
; COMPUTE_PGM_RSRC2:TGID_X_EN: 1
; COMPUTE_PGM_RSRC2:TGID_Y_EN: 0
; COMPUTE_PGM_RSRC2:TGID_Z_EN: 0
; COMPUTE_PGM_RSRC2:TIDIG_COMP_CNT: 0
; COMPUTE_PGM_RSRC3_GFX90A:ACCUM_OFFSET: 0
; COMPUTE_PGM_RSRC3_GFX90A:TG_SPLIT: 0
	.section	.text._ZN7rocprim17ROCPRIM_400000_NS6detail17trampoline_kernelINS0_14default_configENS1_29reduce_by_key_config_selectorIffN6thrust23THRUST_200600_302600_NS4plusIfEEEEZZNS1_33reduce_by_key_impl_wrapped_configILNS1_25lookback_scan_determinismE1ES3_S9_NS6_6detail15normal_iteratorINS6_10device_ptrIfEEEESG_SG_SG_PmS8_22is_equal_div_10_reduceIfEEE10hipError_tPvRmT2_T3_mT4_T5_T6_T7_T8_P12ihipStream_tbENKUlT_T0_E_clISt17integral_constantIbLb0EES11_EEDaSW_SX_EUlSW_E_NS1_11comp_targetILNS1_3genE10ELNS1_11target_archE1200ELNS1_3gpuE4ELNS1_3repE0EEENS1_30default_config_static_selectorELNS0_4arch9wavefront6targetE1EEEvT1_,"axG",@progbits,_ZN7rocprim17ROCPRIM_400000_NS6detail17trampoline_kernelINS0_14default_configENS1_29reduce_by_key_config_selectorIffN6thrust23THRUST_200600_302600_NS4plusIfEEEEZZNS1_33reduce_by_key_impl_wrapped_configILNS1_25lookback_scan_determinismE1ES3_S9_NS6_6detail15normal_iteratorINS6_10device_ptrIfEEEESG_SG_SG_PmS8_22is_equal_div_10_reduceIfEEE10hipError_tPvRmT2_T3_mT4_T5_T6_T7_T8_P12ihipStream_tbENKUlT_T0_E_clISt17integral_constantIbLb0EES11_EEDaSW_SX_EUlSW_E_NS1_11comp_targetILNS1_3genE10ELNS1_11target_archE1200ELNS1_3gpuE4ELNS1_3repE0EEENS1_30default_config_static_selectorELNS0_4arch9wavefront6targetE1EEEvT1_,comdat
	.protected	_ZN7rocprim17ROCPRIM_400000_NS6detail17trampoline_kernelINS0_14default_configENS1_29reduce_by_key_config_selectorIffN6thrust23THRUST_200600_302600_NS4plusIfEEEEZZNS1_33reduce_by_key_impl_wrapped_configILNS1_25lookback_scan_determinismE1ES3_S9_NS6_6detail15normal_iteratorINS6_10device_ptrIfEEEESG_SG_SG_PmS8_22is_equal_div_10_reduceIfEEE10hipError_tPvRmT2_T3_mT4_T5_T6_T7_T8_P12ihipStream_tbENKUlT_T0_E_clISt17integral_constantIbLb0EES11_EEDaSW_SX_EUlSW_E_NS1_11comp_targetILNS1_3genE10ELNS1_11target_archE1200ELNS1_3gpuE4ELNS1_3repE0EEENS1_30default_config_static_selectorELNS0_4arch9wavefront6targetE1EEEvT1_ ; -- Begin function _ZN7rocprim17ROCPRIM_400000_NS6detail17trampoline_kernelINS0_14default_configENS1_29reduce_by_key_config_selectorIffN6thrust23THRUST_200600_302600_NS4plusIfEEEEZZNS1_33reduce_by_key_impl_wrapped_configILNS1_25lookback_scan_determinismE1ES3_S9_NS6_6detail15normal_iteratorINS6_10device_ptrIfEEEESG_SG_SG_PmS8_22is_equal_div_10_reduceIfEEE10hipError_tPvRmT2_T3_mT4_T5_T6_T7_T8_P12ihipStream_tbENKUlT_T0_E_clISt17integral_constantIbLb0EES11_EEDaSW_SX_EUlSW_E_NS1_11comp_targetILNS1_3genE10ELNS1_11target_archE1200ELNS1_3gpuE4ELNS1_3repE0EEENS1_30default_config_static_selectorELNS0_4arch9wavefront6targetE1EEEvT1_
	.globl	_ZN7rocprim17ROCPRIM_400000_NS6detail17trampoline_kernelINS0_14default_configENS1_29reduce_by_key_config_selectorIffN6thrust23THRUST_200600_302600_NS4plusIfEEEEZZNS1_33reduce_by_key_impl_wrapped_configILNS1_25lookback_scan_determinismE1ES3_S9_NS6_6detail15normal_iteratorINS6_10device_ptrIfEEEESG_SG_SG_PmS8_22is_equal_div_10_reduceIfEEE10hipError_tPvRmT2_T3_mT4_T5_T6_T7_T8_P12ihipStream_tbENKUlT_T0_E_clISt17integral_constantIbLb0EES11_EEDaSW_SX_EUlSW_E_NS1_11comp_targetILNS1_3genE10ELNS1_11target_archE1200ELNS1_3gpuE4ELNS1_3repE0EEENS1_30default_config_static_selectorELNS0_4arch9wavefront6targetE1EEEvT1_
	.p2align	8
	.type	_ZN7rocprim17ROCPRIM_400000_NS6detail17trampoline_kernelINS0_14default_configENS1_29reduce_by_key_config_selectorIffN6thrust23THRUST_200600_302600_NS4plusIfEEEEZZNS1_33reduce_by_key_impl_wrapped_configILNS1_25lookback_scan_determinismE1ES3_S9_NS6_6detail15normal_iteratorINS6_10device_ptrIfEEEESG_SG_SG_PmS8_22is_equal_div_10_reduceIfEEE10hipError_tPvRmT2_T3_mT4_T5_T6_T7_T8_P12ihipStream_tbENKUlT_T0_E_clISt17integral_constantIbLb0EES11_EEDaSW_SX_EUlSW_E_NS1_11comp_targetILNS1_3genE10ELNS1_11target_archE1200ELNS1_3gpuE4ELNS1_3repE0EEENS1_30default_config_static_selectorELNS0_4arch9wavefront6targetE1EEEvT1_,@function
_ZN7rocprim17ROCPRIM_400000_NS6detail17trampoline_kernelINS0_14default_configENS1_29reduce_by_key_config_selectorIffN6thrust23THRUST_200600_302600_NS4plusIfEEEEZZNS1_33reduce_by_key_impl_wrapped_configILNS1_25lookback_scan_determinismE1ES3_S9_NS6_6detail15normal_iteratorINS6_10device_ptrIfEEEESG_SG_SG_PmS8_22is_equal_div_10_reduceIfEEE10hipError_tPvRmT2_T3_mT4_T5_T6_T7_T8_P12ihipStream_tbENKUlT_T0_E_clISt17integral_constantIbLb0EES11_EEDaSW_SX_EUlSW_E_NS1_11comp_targetILNS1_3genE10ELNS1_11target_archE1200ELNS1_3gpuE4ELNS1_3repE0EEENS1_30default_config_static_selectorELNS0_4arch9wavefront6targetE1EEEvT1_: ; @_ZN7rocprim17ROCPRIM_400000_NS6detail17trampoline_kernelINS0_14default_configENS1_29reduce_by_key_config_selectorIffN6thrust23THRUST_200600_302600_NS4plusIfEEEEZZNS1_33reduce_by_key_impl_wrapped_configILNS1_25lookback_scan_determinismE1ES3_S9_NS6_6detail15normal_iteratorINS6_10device_ptrIfEEEESG_SG_SG_PmS8_22is_equal_div_10_reduceIfEEE10hipError_tPvRmT2_T3_mT4_T5_T6_T7_T8_P12ihipStream_tbENKUlT_T0_E_clISt17integral_constantIbLb0EES11_EEDaSW_SX_EUlSW_E_NS1_11comp_targetILNS1_3genE10ELNS1_11target_archE1200ELNS1_3gpuE4ELNS1_3repE0EEENS1_30default_config_static_selectorELNS0_4arch9wavefront6targetE1EEEvT1_
; %bb.0:
	.section	.rodata,"a",@progbits
	.p2align	6, 0x0
	.amdhsa_kernel _ZN7rocprim17ROCPRIM_400000_NS6detail17trampoline_kernelINS0_14default_configENS1_29reduce_by_key_config_selectorIffN6thrust23THRUST_200600_302600_NS4plusIfEEEEZZNS1_33reduce_by_key_impl_wrapped_configILNS1_25lookback_scan_determinismE1ES3_S9_NS6_6detail15normal_iteratorINS6_10device_ptrIfEEEESG_SG_SG_PmS8_22is_equal_div_10_reduceIfEEE10hipError_tPvRmT2_T3_mT4_T5_T6_T7_T8_P12ihipStream_tbENKUlT_T0_E_clISt17integral_constantIbLb0EES11_EEDaSW_SX_EUlSW_E_NS1_11comp_targetILNS1_3genE10ELNS1_11target_archE1200ELNS1_3gpuE4ELNS1_3repE0EEENS1_30default_config_static_selectorELNS0_4arch9wavefront6targetE1EEEvT1_
		.amdhsa_group_segment_fixed_size 0
		.amdhsa_private_segment_fixed_size 0
		.amdhsa_kernarg_size 120
		.amdhsa_user_sgpr_count 6
		.amdhsa_user_sgpr_private_segment_buffer 1
		.amdhsa_user_sgpr_dispatch_ptr 0
		.amdhsa_user_sgpr_queue_ptr 0
		.amdhsa_user_sgpr_kernarg_segment_ptr 1
		.amdhsa_user_sgpr_dispatch_id 0
		.amdhsa_user_sgpr_flat_scratch_init 0
		.amdhsa_user_sgpr_kernarg_preload_length 0
		.amdhsa_user_sgpr_kernarg_preload_offset 0
		.amdhsa_user_sgpr_private_segment_size 0
		.amdhsa_uses_dynamic_stack 0
		.amdhsa_system_sgpr_private_segment_wavefront_offset 0
		.amdhsa_system_sgpr_workgroup_id_x 1
		.amdhsa_system_sgpr_workgroup_id_y 0
		.amdhsa_system_sgpr_workgroup_id_z 0
		.amdhsa_system_sgpr_workgroup_info 0
		.amdhsa_system_vgpr_workitem_id 0
		.amdhsa_next_free_vgpr 1
		.amdhsa_next_free_sgpr 0
		.amdhsa_accum_offset 4
		.amdhsa_reserve_vcc 0
		.amdhsa_reserve_flat_scratch 0
		.amdhsa_float_round_mode_32 0
		.amdhsa_float_round_mode_16_64 0
		.amdhsa_float_denorm_mode_32 3
		.amdhsa_float_denorm_mode_16_64 3
		.amdhsa_dx10_clamp 1
		.amdhsa_ieee_mode 1
		.amdhsa_fp16_overflow 0
		.amdhsa_tg_split 0
		.amdhsa_exception_fp_ieee_invalid_op 0
		.amdhsa_exception_fp_denorm_src 0
		.amdhsa_exception_fp_ieee_div_zero 0
		.amdhsa_exception_fp_ieee_overflow 0
		.amdhsa_exception_fp_ieee_underflow 0
		.amdhsa_exception_fp_ieee_inexact 0
		.amdhsa_exception_int_div_zero 0
	.end_amdhsa_kernel
	.section	.text._ZN7rocprim17ROCPRIM_400000_NS6detail17trampoline_kernelINS0_14default_configENS1_29reduce_by_key_config_selectorIffN6thrust23THRUST_200600_302600_NS4plusIfEEEEZZNS1_33reduce_by_key_impl_wrapped_configILNS1_25lookback_scan_determinismE1ES3_S9_NS6_6detail15normal_iteratorINS6_10device_ptrIfEEEESG_SG_SG_PmS8_22is_equal_div_10_reduceIfEEE10hipError_tPvRmT2_T3_mT4_T5_T6_T7_T8_P12ihipStream_tbENKUlT_T0_E_clISt17integral_constantIbLb0EES11_EEDaSW_SX_EUlSW_E_NS1_11comp_targetILNS1_3genE10ELNS1_11target_archE1200ELNS1_3gpuE4ELNS1_3repE0EEENS1_30default_config_static_selectorELNS0_4arch9wavefront6targetE1EEEvT1_,"axG",@progbits,_ZN7rocprim17ROCPRIM_400000_NS6detail17trampoline_kernelINS0_14default_configENS1_29reduce_by_key_config_selectorIffN6thrust23THRUST_200600_302600_NS4plusIfEEEEZZNS1_33reduce_by_key_impl_wrapped_configILNS1_25lookback_scan_determinismE1ES3_S9_NS6_6detail15normal_iteratorINS6_10device_ptrIfEEEESG_SG_SG_PmS8_22is_equal_div_10_reduceIfEEE10hipError_tPvRmT2_T3_mT4_T5_T6_T7_T8_P12ihipStream_tbENKUlT_T0_E_clISt17integral_constantIbLb0EES11_EEDaSW_SX_EUlSW_E_NS1_11comp_targetILNS1_3genE10ELNS1_11target_archE1200ELNS1_3gpuE4ELNS1_3repE0EEENS1_30default_config_static_selectorELNS0_4arch9wavefront6targetE1EEEvT1_,comdat
.Lfunc_end134:
	.size	_ZN7rocprim17ROCPRIM_400000_NS6detail17trampoline_kernelINS0_14default_configENS1_29reduce_by_key_config_selectorIffN6thrust23THRUST_200600_302600_NS4plusIfEEEEZZNS1_33reduce_by_key_impl_wrapped_configILNS1_25lookback_scan_determinismE1ES3_S9_NS6_6detail15normal_iteratorINS6_10device_ptrIfEEEESG_SG_SG_PmS8_22is_equal_div_10_reduceIfEEE10hipError_tPvRmT2_T3_mT4_T5_T6_T7_T8_P12ihipStream_tbENKUlT_T0_E_clISt17integral_constantIbLb0EES11_EEDaSW_SX_EUlSW_E_NS1_11comp_targetILNS1_3genE10ELNS1_11target_archE1200ELNS1_3gpuE4ELNS1_3repE0EEENS1_30default_config_static_selectorELNS0_4arch9wavefront6targetE1EEEvT1_, .Lfunc_end134-_ZN7rocprim17ROCPRIM_400000_NS6detail17trampoline_kernelINS0_14default_configENS1_29reduce_by_key_config_selectorIffN6thrust23THRUST_200600_302600_NS4plusIfEEEEZZNS1_33reduce_by_key_impl_wrapped_configILNS1_25lookback_scan_determinismE1ES3_S9_NS6_6detail15normal_iteratorINS6_10device_ptrIfEEEESG_SG_SG_PmS8_22is_equal_div_10_reduceIfEEE10hipError_tPvRmT2_T3_mT4_T5_T6_T7_T8_P12ihipStream_tbENKUlT_T0_E_clISt17integral_constantIbLb0EES11_EEDaSW_SX_EUlSW_E_NS1_11comp_targetILNS1_3genE10ELNS1_11target_archE1200ELNS1_3gpuE4ELNS1_3repE0EEENS1_30default_config_static_selectorELNS0_4arch9wavefront6targetE1EEEvT1_
                                        ; -- End function
	.section	.AMDGPU.csdata,"",@progbits
; Kernel info:
; codeLenInByte = 0
; NumSgprs: 4
; NumVgprs: 0
; NumAgprs: 0
; TotalNumVgprs: 0
; ScratchSize: 0
; MemoryBound: 0
; FloatMode: 240
; IeeeMode: 1
; LDSByteSize: 0 bytes/workgroup (compile time only)
; SGPRBlocks: 0
; VGPRBlocks: 0
; NumSGPRsForWavesPerEU: 4
; NumVGPRsForWavesPerEU: 1
; AccumOffset: 4
; Occupancy: 8
; WaveLimiterHint : 0
; COMPUTE_PGM_RSRC2:SCRATCH_EN: 0
; COMPUTE_PGM_RSRC2:USER_SGPR: 6
; COMPUTE_PGM_RSRC2:TRAP_HANDLER: 0
; COMPUTE_PGM_RSRC2:TGID_X_EN: 1
; COMPUTE_PGM_RSRC2:TGID_Y_EN: 0
; COMPUTE_PGM_RSRC2:TGID_Z_EN: 0
; COMPUTE_PGM_RSRC2:TIDIG_COMP_CNT: 0
; COMPUTE_PGM_RSRC3_GFX90A:ACCUM_OFFSET: 0
; COMPUTE_PGM_RSRC3_GFX90A:TG_SPLIT: 0
	.section	.text._ZN7rocprim17ROCPRIM_400000_NS6detail17trampoline_kernelINS0_14default_configENS1_29reduce_by_key_config_selectorIffN6thrust23THRUST_200600_302600_NS4plusIfEEEEZZNS1_33reduce_by_key_impl_wrapped_configILNS1_25lookback_scan_determinismE1ES3_S9_NS6_6detail15normal_iteratorINS6_10device_ptrIfEEEESG_SG_SG_PmS8_22is_equal_div_10_reduceIfEEE10hipError_tPvRmT2_T3_mT4_T5_T6_T7_T8_P12ihipStream_tbENKUlT_T0_E_clISt17integral_constantIbLb0EES11_EEDaSW_SX_EUlSW_E_NS1_11comp_targetILNS1_3genE9ELNS1_11target_archE1100ELNS1_3gpuE3ELNS1_3repE0EEENS1_30default_config_static_selectorELNS0_4arch9wavefront6targetE1EEEvT1_,"axG",@progbits,_ZN7rocprim17ROCPRIM_400000_NS6detail17trampoline_kernelINS0_14default_configENS1_29reduce_by_key_config_selectorIffN6thrust23THRUST_200600_302600_NS4plusIfEEEEZZNS1_33reduce_by_key_impl_wrapped_configILNS1_25lookback_scan_determinismE1ES3_S9_NS6_6detail15normal_iteratorINS6_10device_ptrIfEEEESG_SG_SG_PmS8_22is_equal_div_10_reduceIfEEE10hipError_tPvRmT2_T3_mT4_T5_T6_T7_T8_P12ihipStream_tbENKUlT_T0_E_clISt17integral_constantIbLb0EES11_EEDaSW_SX_EUlSW_E_NS1_11comp_targetILNS1_3genE9ELNS1_11target_archE1100ELNS1_3gpuE3ELNS1_3repE0EEENS1_30default_config_static_selectorELNS0_4arch9wavefront6targetE1EEEvT1_,comdat
	.protected	_ZN7rocprim17ROCPRIM_400000_NS6detail17trampoline_kernelINS0_14default_configENS1_29reduce_by_key_config_selectorIffN6thrust23THRUST_200600_302600_NS4plusIfEEEEZZNS1_33reduce_by_key_impl_wrapped_configILNS1_25lookback_scan_determinismE1ES3_S9_NS6_6detail15normal_iteratorINS6_10device_ptrIfEEEESG_SG_SG_PmS8_22is_equal_div_10_reduceIfEEE10hipError_tPvRmT2_T3_mT4_T5_T6_T7_T8_P12ihipStream_tbENKUlT_T0_E_clISt17integral_constantIbLb0EES11_EEDaSW_SX_EUlSW_E_NS1_11comp_targetILNS1_3genE9ELNS1_11target_archE1100ELNS1_3gpuE3ELNS1_3repE0EEENS1_30default_config_static_selectorELNS0_4arch9wavefront6targetE1EEEvT1_ ; -- Begin function _ZN7rocprim17ROCPRIM_400000_NS6detail17trampoline_kernelINS0_14default_configENS1_29reduce_by_key_config_selectorIffN6thrust23THRUST_200600_302600_NS4plusIfEEEEZZNS1_33reduce_by_key_impl_wrapped_configILNS1_25lookback_scan_determinismE1ES3_S9_NS6_6detail15normal_iteratorINS6_10device_ptrIfEEEESG_SG_SG_PmS8_22is_equal_div_10_reduceIfEEE10hipError_tPvRmT2_T3_mT4_T5_T6_T7_T8_P12ihipStream_tbENKUlT_T0_E_clISt17integral_constantIbLb0EES11_EEDaSW_SX_EUlSW_E_NS1_11comp_targetILNS1_3genE9ELNS1_11target_archE1100ELNS1_3gpuE3ELNS1_3repE0EEENS1_30default_config_static_selectorELNS0_4arch9wavefront6targetE1EEEvT1_
	.globl	_ZN7rocprim17ROCPRIM_400000_NS6detail17trampoline_kernelINS0_14default_configENS1_29reduce_by_key_config_selectorIffN6thrust23THRUST_200600_302600_NS4plusIfEEEEZZNS1_33reduce_by_key_impl_wrapped_configILNS1_25lookback_scan_determinismE1ES3_S9_NS6_6detail15normal_iteratorINS6_10device_ptrIfEEEESG_SG_SG_PmS8_22is_equal_div_10_reduceIfEEE10hipError_tPvRmT2_T3_mT4_T5_T6_T7_T8_P12ihipStream_tbENKUlT_T0_E_clISt17integral_constantIbLb0EES11_EEDaSW_SX_EUlSW_E_NS1_11comp_targetILNS1_3genE9ELNS1_11target_archE1100ELNS1_3gpuE3ELNS1_3repE0EEENS1_30default_config_static_selectorELNS0_4arch9wavefront6targetE1EEEvT1_
	.p2align	8
	.type	_ZN7rocprim17ROCPRIM_400000_NS6detail17trampoline_kernelINS0_14default_configENS1_29reduce_by_key_config_selectorIffN6thrust23THRUST_200600_302600_NS4plusIfEEEEZZNS1_33reduce_by_key_impl_wrapped_configILNS1_25lookback_scan_determinismE1ES3_S9_NS6_6detail15normal_iteratorINS6_10device_ptrIfEEEESG_SG_SG_PmS8_22is_equal_div_10_reduceIfEEE10hipError_tPvRmT2_T3_mT4_T5_T6_T7_T8_P12ihipStream_tbENKUlT_T0_E_clISt17integral_constantIbLb0EES11_EEDaSW_SX_EUlSW_E_NS1_11comp_targetILNS1_3genE9ELNS1_11target_archE1100ELNS1_3gpuE3ELNS1_3repE0EEENS1_30default_config_static_selectorELNS0_4arch9wavefront6targetE1EEEvT1_,@function
_ZN7rocprim17ROCPRIM_400000_NS6detail17trampoline_kernelINS0_14default_configENS1_29reduce_by_key_config_selectorIffN6thrust23THRUST_200600_302600_NS4plusIfEEEEZZNS1_33reduce_by_key_impl_wrapped_configILNS1_25lookback_scan_determinismE1ES3_S9_NS6_6detail15normal_iteratorINS6_10device_ptrIfEEEESG_SG_SG_PmS8_22is_equal_div_10_reduceIfEEE10hipError_tPvRmT2_T3_mT4_T5_T6_T7_T8_P12ihipStream_tbENKUlT_T0_E_clISt17integral_constantIbLb0EES11_EEDaSW_SX_EUlSW_E_NS1_11comp_targetILNS1_3genE9ELNS1_11target_archE1100ELNS1_3gpuE3ELNS1_3repE0EEENS1_30default_config_static_selectorELNS0_4arch9wavefront6targetE1EEEvT1_: ; @_ZN7rocprim17ROCPRIM_400000_NS6detail17trampoline_kernelINS0_14default_configENS1_29reduce_by_key_config_selectorIffN6thrust23THRUST_200600_302600_NS4plusIfEEEEZZNS1_33reduce_by_key_impl_wrapped_configILNS1_25lookback_scan_determinismE1ES3_S9_NS6_6detail15normal_iteratorINS6_10device_ptrIfEEEESG_SG_SG_PmS8_22is_equal_div_10_reduceIfEEE10hipError_tPvRmT2_T3_mT4_T5_T6_T7_T8_P12ihipStream_tbENKUlT_T0_E_clISt17integral_constantIbLb0EES11_EEDaSW_SX_EUlSW_E_NS1_11comp_targetILNS1_3genE9ELNS1_11target_archE1100ELNS1_3gpuE3ELNS1_3repE0EEENS1_30default_config_static_selectorELNS0_4arch9wavefront6targetE1EEEvT1_
; %bb.0:
	.section	.rodata,"a",@progbits
	.p2align	6, 0x0
	.amdhsa_kernel _ZN7rocprim17ROCPRIM_400000_NS6detail17trampoline_kernelINS0_14default_configENS1_29reduce_by_key_config_selectorIffN6thrust23THRUST_200600_302600_NS4plusIfEEEEZZNS1_33reduce_by_key_impl_wrapped_configILNS1_25lookback_scan_determinismE1ES3_S9_NS6_6detail15normal_iteratorINS6_10device_ptrIfEEEESG_SG_SG_PmS8_22is_equal_div_10_reduceIfEEE10hipError_tPvRmT2_T3_mT4_T5_T6_T7_T8_P12ihipStream_tbENKUlT_T0_E_clISt17integral_constantIbLb0EES11_EEDaSW_SX_EUlSW_E_NS1_11comp_targetILNS1_3genE9ELNS1_11target_archE1100ELNS1_3gpuE3ELNS1_3repE0EEENS1_30default_config_static_selectorELNS0_4arch9wavefront6targetE1EEEvT1_
		.amdhsa_group_segment_fixed_size 0
		.amdhsa_private_segment_fixed_size 0
		.amdhsa_kernarg_size 120
		.amdhsa_user_sgpr_count 6
		.amdhsa_user_sgpr_private_segment_buffer 1
		.amdhsa_user_sgpr_dispatch_ptr 0
		.amdhsa_user_sgpr_queue_ptr 0
		.amdhsa_user_sgpr_kernarg_segment_ptr 1
		.amdhsa_user_sgpr_dispatch_id 0
		.amdhsa_user_sgpr_flat_scratch_init 0
		.amdhsa_user_sgpr_kernarg_preload_length 0
		.amdhsa_user_sgpr_kernarg_preload_offset 0
		.amdhsa_user_sgpr_private_segment_size 0
		.amdhsa_uses_dynamic_stack 0
		.amdhsa_system_sgpr_private_segment_wavefront_offset 0
		.amdhsa_system_sgpr_workgroup_id_x 1
		.amdhsa_system_sgpr_workgroup_id_y 0
		.amdhsa_system_sgpr_workgroup_id_z 0
		.amdhsa_system_sgpr_workgroup_info 0
		.amdhsa_system_vgpr_workitem_id 0
		.amdhsa_next_free_vgpr 1
		.amdhsa_next_free_sgpr 0
		.amdhsa_accum_offset 4
		.amdhsa_reserve_vcc 0
		.amdhsa_reserve_flat_scratch 0
		.amdhsa_float_round_mode_32 0
		.amdhsa_float_round_mode_16_64 0
		.amdhsa_float_denorm_mode_32 3
		.amdhsa_float_denorm_mode_16_64 3
		.amdhsa_dx10_clamp 1
		.amdhsa_ieee_mode 1
		.amdhsa_fp16_overflow 0
		.amdhsa_tg_split 0
		.amdhsa_exception_fp_ieee_invalid_op 0
		.amdhsa_exception_fp_denorm_src 0
		.amdhsa_exception_fp_ieee_div_zero 0
		.amdhsa_exception_fp_ieee_overflow 0
		.amdhsa_exception_fp_ieee_underflow 0
		.amdhsa_exception_fp_ieee_inexact 0
		.amdhsa_exception_int_div_zero 0
	.end_amdhsa_kernel
	.section	.text._ZN7rocprim17ROCPRIM_400000_NS6detail17trampoline_kernelINS0_14default_configENS1_29reduce_by_key_config_selectorIffN6thrust23THRUST_200600_302600_NS4plusIfEEEEZZNS1_33reduce_by_key_impl_wrapped_configILNS1_25lookback_scan_determinismE1ES3_S9_NS6_6detail15normal_iteratorINS6_10device_ptrIfEEEESG_SG_SG_PmS8_22is_equal_div_10_reduceIfEEE10hipError_tPvRmT2_T3_mT4_T5_T6_T7_T8_P12ihipStream_tbENKUlT_T0_E_clISt17integral_constantIbLb0EES11_EEDaSW_SX_EUlSW_E_NS1_11comp_targetILNS1_3genE9ELNS1_11target_archE1100ELNS1_3gpuE3ELNS1_3repE0EEENS1_30default_config_static_selectorELNS0_4arch9wavefront6targetE1EEEvT1_,"axG",@progbits,_ZN7rocprim17ROCPRIM_400000_NS6detail17trampoline_kernelINS0_14default_configENS1_29reduce_by_key_config_selectorIffN6thrust23THRUST_200600_302600_NS4plusIfEEEEZZNS1_33reduce_by_key_impl_wrapped_configILNS1_25lookback_scan_determinismE1ES3_S9_NS6_6detail15normal_iteratorINS6_10device_ptrIfEEEESG_SG_SG_PmS8_22is_equal_div_10_reduceIfEEE10hipError_tPvRmT2_T3_mT4_T5_T6_T7_T8_P12ihipStream_tbENKUlT_T0_E_clISt17integral_constantIbLb0EES11_EEDaSW_SX_EUlSW_E_NS1_11comp_targetILNS1_3genE9ELNS1_11target_archE1100ELNS1_3gpuE3ELNS1_3repE0EEENS1_30default_config_static_selectorELNS0_4arch9wavefront6targetE1EEEvT1_,comdat
.Lfunc_end135:
	.size	_ZN7rocprim17ROCPRIM_400000_NS6detail17trampoline_kernelINS0_14default_configENS1_29reduce_by_key_config_selectorIffN6thrust23THRUST_200600_302600_NS4plusIfEEEEZZNS1_33reduce_by_key_impl_wrapped_configILNS1_25lookback_scan_determinismE1ES3_S9_NS6_6detail15normal_iteratorINS6_10device_ptrIfEEEESG_SG_SG_PmS8_22is_equal_div_10_reduceIfEEE10hipError_tPvRmT2_T3_mT4_T5_T6_T7_T8_P12ihipStream_tbENKUlT_T0_E_clISt17integral_constantIbLb0EES11_EEDaSW_SX_EUlSW_E_NS1_11comp_targetILNS1_3genE9ELNS1_11target_archE1100ELNS1_3gpuE3ELNS1_3repE0EEENS1_30default_config_static_selectorELNS0_4arch9wavefront6targetE1EEEvT1_, .Lfunc_end135-_ZN7rocprim17ROCPRIM_400000_NS6detail17trampoline_kernelINS0_14default_configENS1_29reduce_by_key_config_selectorIffN6thrust23THRUST_200600_302600_NS4plusIfEEEEZZNS1_33reduce_by_key_impl_wrapped_configILNS1_25lookback_scan_determinismE1ES3_S9_NS6_6detail15normal_iteratorINS6_10device_ptrIfEEEESG_SG_SG_PmS8_22is_equal_div_10_reduceIfEEE10hipError_tPvRmT2_T3_mT4_T5_T6_T7_T8_P12ihipStream_tbENKUlT_T0_E_clISt17integral_constantIbLb0EES11_EEDaSW_SX_EUlSW_E_NS1_11comp_targetILNS1_3genE9ELNS1_11target_archE1100ELNS1_3gpuE3ELNS1_3repE0EEENS1_30default_config_static_selectorELNS0_4arch9wavefront6targetE1EEEvT1_
                                        ; -- End function
	.section	.AMDGPU.csdata,"",@progbits
; Kernel info:
; codeLenInByte = 0
; NumSgprs: 4
; NumVgprs: 0
; NumAgprs: 0
; TotalNumVgprs: 0
; ScratchSize: 0
; MemoryBound: 0
; FloatMode: 240
; IeeeMode: 1
; LDSByteSize: 0 bytes/workgroup (compile time only)
; SGPRBlocks: 0
; VGPRBlocks: 0
; NumSGPRsForWavesPerEU: 4
; NumVGPRsForWavesPerEU: 1
; AccumOffset: 4
; Occupancy: 8
; WaveLimiterHint : 0
; COMPUTE_PGM_RSRC2:SCRATCH_EN: 0
; COMPUTE_PGM_RSRC2:USER_SGPR: 6
; COMPUTE_PGM_RSRC2:TRAP_HANDLER: 0
; COMPUTE_PGM_RSRC2:TGID_X_EN: 1
; COMPUTE_PGM_RSRC2:TGID_Y_EN: 0
; COMPUTE_PGM_RSRC2:TGID_Z_EN: 0
; COMPUTE_PGM_RSRC2:TIDIG_COMP_CNT: 0
; COMPUTE_PGM_RSRC3_GFX90A:ACCUM_OFFSET: 0
; COMPUTE_PGM_RSRC3_GFX90A:TG_SPLIT: 0
	.section	.text._ZN7rocprim17ROCPRIM_400000_NS6detail17trampoline_kernelINS0_14default_configENS1_29reduce_by_key_config_selectorIffN6thrust23THRUST_200600_302600_NS4plusIfEEEEZZNS1_33reduce_by_key_impl_wrapped_configILNS1_25lookback_scan_determinismE1ES3_S9_NS6_6detail15normal_iteratorINS6_10device_ptrIfEEEESG_SG_SG_PmS8_22is_equal_div_10_reduceIfEEE10hipError_tPvRmT2_T3_mT4_T5_T6_T7_T8_P12ihipStream_tbENKUlT_T0_E_clISt17integral_constantIbLb0EES11_EEDaSW_SX_EUlSW_E_NS1_11comp_targetILNS1_3genE8ELNS1_11target_archE1030ELNS1_3gpuE2ELNS1_3repE0EEENS1_30default_config_static_selectorELNS0_4arch9wavefront6targetE1EEEvT1_,"axG",@progbits,_ZN7rocprim17ROCPRIM_400000_NS6detail17trampoline_kernelINS0_14default_configENS1_29reduce_by_key_config_selectorIffN6thrust23THRUST_200600_302600_NS4plusIfEEEEZZNS1_33reduce_by_key_impl_wrapped_configILNS1_25lookback_scan_determinismE1ES3_S9_NS6_6detail15normal_iteratorINS6_10device_ptrIfEEEESG_SG_SG_PmS8_22is_equal_div_10_reduceIfEEE10hipError_tPvRmT2_T3_mT4_T5_T6_T7_T8_P12ihipStream_tbENKUlT_T0_E_clISt17integral_constantIbLb0EES11_EEDaSW_SX_EUlSW_E_NS1_11comp_targetILNS1_3genE8ELNS1_11target_archE1030ELNS1_3gpuE2ELNS1_3repE0EEENS1_30default_config_static_selectorELNS0_4arch9wavefront6targetE1EEEvT1_,comdat
	.protected	_ZN7rocprim17ROCPRIM_400000_NS6detail17trampoline_kernelINS0_14default_configENS1_29reduce_by_key_config_selectorIffN6thrust23THRUST_200600_302600_NS4plusIfEEEEZZNS1_33reduce_by_key_impl_wrapped_configILNS1_25lookback_scan_determinismE1ES3_S9_NS6_6detail15normal_iteratorINS6_10device_ptrIfEEEESG_SG_SG_PmS8_22is_equal_div_10_reduceIfEEE10hipError_tPvRmT2_T3_mT4_T5_T6_T7_T8_P12ihipStream_tbENKUlT_T0_E_clISt17integral_constantIbLb0EES11_EEDaSW_SX_EUlSW_E_NS1_11comp_targetILNS1_3genE8ELNS1_11target_archE1030ELNS1_3gpuE2ELNS1_3repE0EEENS1_30default_config_static_selectorELNS0_4arch9wavefront6targetE1EEEvT1_ ; -- Begin function _ZN7rocprim17ROCPRIM_400000_NS6detail17trampoline_kernelINS0_14default_configENS1_29reduce_by_key_config_selectorIffN6thrust23THRUST_200600_302600_NS4plusIfEEEEZZNS1_33reduce_by_key_impl_wrapped_configILNS1_25lookback_scan_determinismE1ES3_S9_NS6_6detail15normal_iteratorINS6_10device_ptrIfEEEESG_SG_SG_PmS8_22is_equal_div_10_reduceIfEEE10hipError_tPvRmT2_T3_mT4_T5_T6_T7_T8_P12ihipStream_tbENKUlT_T0_E_clISt17integral_constantIbLb0EES11_EEDaSW_SX_EUlSW_E_NS1_11comp_targetILNS1_3genE8ELNS1_11target_archE1030ELNS1_3gpuE2ELNS1_3repE0EEENS1_30default_config_static_selectorELNS0_4arch9wavefront6targetE1EEEvT1_
	.globl	_ZN7rocprim17ROCPRIM_400000_NS6detail17trampoline_kernelINS0_14default_configENS1_29reduce_by_key_config_selectorIffN6thrust23THRUST_200600_302600_NS4plusIfEEEEZZNS1_33reduce_by_key_impl_wrapped_configILNS1_25lookback_scan_determinismE1ES3_S9_NS6_6detail15normal_iteratorINS6_10device_ptrIfEEEESG_SG_SG_PmS8_22is_equal_div_10_reduceIfEEE10hipError_tPvRmT2_T3_mT4_T5_T6_T7_T8_P12ihipStream_tbENKUlT_T0_E_clISt17integral_constantIbLb0EES11_EEDaSW_SX_EUlSW_E_NS1_11comp_targetILNS1_3genE8ELNS1_11target_archE1030ELNS1_3gpuE2ELNS1_3repE0EEENS1_30default_config_static_selectorELNS0_4arch9wavefront6targetE1EEEvT1_
	.p2align	8
	.type	_ZN7rocprim17ROCPRIM_400000_NS6detail17trampoline_kernelINS0_14default_configENS1_29reduce_by_key_config_selectorIffN6thrust23THRUST_200600_302600_NS4plusIfEEEEZZNS1_33reduce_by_key_impl_wrapped_configILNS1_25lookback_scan_determinismE1ES3_S9_NS6_6detail15normal_iteratorINS6_10device_ptrIfEEEESG_SG_SG_PmS8_22is_equal_div_10_reduceIfEEE10hipError_tPvRmT2_T3_mT4_T5_T6_T7_T8_P12ihipStream_tbENKUlT_T0_E_clISt17integral_constantIbLb0EES11_EEDaSW_SX_EUlSW_E_NS1_11comp_targetILNS1_3genE8ELNS1_11target_archE1030ELNS1_3gpuE2ELNS1_3repE0EEENS1_30default_config_static_selectorELNS0_4arch9wavefront6targetE1EEEvT1_,@function
_ZN7rocprim17ROCPRIM_400000_NS6detail17trampoline_kernelINS0_14default_configENS1_29reduce_by_key_config_selectorIffN6thrust23THRUST_200600_302600_NS4plusIfEEEEZZNS1_33reduce_by_key_impl_wrapped_configILNS1_25lookback_scan_determinismE1ES3_S9_NS6_6detail15normal_iteratorINS6_10device_ptrIfEEEESG_SG_SG_PmS8_22is_equal_div_10_reduceIfEEE10hipError_tPvRmT2_T3_mT4_T5_T6_T7_T8_P12ihipStream_tbENKUlT_T0_E_clISt17integral_constantIbLb0EES11_EEDaSW_SX_EUlSW_E_NS1_11comp_targetILNS1_3genE8ELNS1_11target_archE1030ELNS1_3gpuE2ELNS1_3repE0EEENS1_30default_config_static_selectorELNS0_4arch9wavefront6targetE1EEEvT1_: ; @_ZN7rocprim17ROCPRIM_400000_NS6detail17trampoline_kernelINS0_14default_configENS1_29reduce_by_key_config_selectorIffN6thrust23THRUST_200600_302600_NS4plusIfEEEEZZNS1_33reduce_by_key_impl_wrapped_configILNS1_25lookback_scan_determinismE1ES3_S9_NS6_6detail15normal_iteratorINS6_10device_ptrIfEEEESG_SG_SG_PmS8_22is_equal_div_10_reduceIfEEE10hipError_tPvRmT2_T3_mT4_T5_T6_T7_T8_P12ihipStream_tbENKUlT_T0_E_clISt17integral_constantIbLb0EES11_EEDaSW_SX_EUlSW_E_NS1_11comp_targetILNS1_3genE8ELNS1_11target_archE1030ELNS1_3gpuE2ELNS1_3repE0EEENS1_30default_config_static_selectorELNS0_4arch9wavefront6targetE1EEEvT1_
; %bb.0:
	.section	.rodata,"a",@progbits
	.p2align	6, 0x0
	.amdhsa_kernel _ZN7rocprim17ROCPRIM_400000_NS6detail17trampoline_kernelINS0_14default_configENS1_29reduce_by_key_config_selectorIffN6thrust23THRUST_200600_302600_NS4plusIfEEEEZZNS1_33reduce_by_key_impl_wrapped_configILNS1_25lookback_scan_determinismE1ES3_S9_NS6_6detail15normal_iteratorINS6_10device_ptrIfEEEESG_SG_SG_PmS8_22is_equal_div_10_reduceIfEEE10hipError_tPvRmT2_T3_mT4_T5_T6_T7_T8_P12ihipStream_tbENKUlT_T0_E_clISt17integral_constantIbLb0EES11_EEDaSW_SX_EUlSW_E_NS1_11comp_targetILNS1_3genE8ELNS1_11target_archE1030ELNS1_3gpuE2ELNS1_3repE0EEENS1_30default_config_static_selectorELNS0_4arch9wavefront6targetE1EEEvT1_
		.amdhsa_group_segment_fixed_size 0
		.amdhsa_private_segment_fixed_size 0
		.amdhsa_kernarg_size 120
		.amdhsa_user_sgpr_count 6
		.amdhsa_user_sgpr_private_segment_buffer 1
		.amdhsa_user_sgpr_dispatch_ptr 0
		.amdhsa_user_sgpr_queue_ptr 0
		.amdhsa_user_sgpr_kernarg_segment_ptr 1
		.amdhsa_user_sgpr_dispatch_id 0
		.amdhsa_user_sgpr_flat_scratch_init 0
		.amdhsa_user_sgpr_kernarg_preload_length 0
		.amdhsa_user_sgpr_kernarg_preload_offset 0
		.amdhsa_user_sgpr_private_segment_size 0
		.amdhsa_uses_dynamic_stack 0
		.amdhsa_system_sgpr_private_segment_wavefront_offset 0
		.amdhsa_system_sgpr_workgroup_id_x 1
		.amdhsa_system_sgpr_workgroup_id_y 0
		.amdhsa_system_sgpr_workgroup_id_z 0
		.amdhsa_system_sgpr_workgroup_info 0
		.amdhsa_system_vgpr_workitem_id 0
		.amdhsa_next_free_vgpr 1
		.amdhsa_next_free_sgpr 0
		.amdhsa_accum_offset 4
		.amdhsa_reserve_vcc 0
		.amdhsa_reserve_flat_scratch 0
		.amdhsa_float_round_mode_32 0
		.amdhsa_float_round_mode_16_64 0
		.amdhsa_float_denorm_mode_32 3
		.amdhsa_float_denorm_mode_16_64 3
		.amdhsa_dx10_clamp 1
		.amdhsa_ieee_mode 1
		.amdhsa_fp16_overflow 0
		.amdhsa_tg_split 0
		.amdhsa_exception_fp_ieee_invalid_op 0
		.amdhsa_exception_fp_denorm_src 0
		.amdhsa_exception_fp_ieee_div_zero 0
		.amdhsa_exception_fp_ieee_overflow 0
		.amdhsa_exception_fp_ieee_underflow 0
		.amdhsa_exception_fp_ieee_inexact 0
		.amdhsa_exception_int_div_zero 0
	.end_amdhsa_kernel
	.section	.text._ZN7rocprim17ROCPRIM_400000_NS6detail17trampoline_kernelINS0_14default_configENS1_29reduce_by_key_config_selectorIffN6thrust23THRUST_200600_302600_NS4plusIfEEEEZZNS1_33reduce_by_key_impl_wrapped_configILNS1_25lookback_scan_determinismE1ES3_S9_NS6_6detail15normal_iteratorINS6_10device_ptrIfEEEESG_SG_SG_PmS8_22is_equal_div_10_reduceIfEEE10hipError_tPvRmT2_T3_mT4_T5_T6_T7_T8_P12ihipStream_tbENKUlT_T0_E_clISt17integral_constantIbLb0EES11_EEDaSW_SX_EUlSW_E_NS1_11comp_targetILNS1_3genE8ELNS1_11target_archE1030ELNS1_3gpuE2ELNS1_3repE0EEENS1_30default_config_static_selectorELNS0_4arch9wavefront6targetE1EEEvT1_,"axG",@progbits,_ZN7rocprim17ROCPRIM_400000_NS6detail17trampoline_kernelINS0_14default_configENS1_29reduce_by_key_config_selectorIffN6thrust23THRUST_200600_302600_NS4plusIfEEEEZZNS1_33reduce_by_key_impl_wrapped_configILNS1_25lookback_scan_determinismE1ES3_S9_NS6_6detail15normal_iteratorINS6_10device_ptrIfEEEESG_SG_SG_PmS8_22is_equal_div_10_reduceIfEEE10hipError_tPvRmT2_T3_mT4_T5_T6_T7_T8_P12ihipStream_tbENKUlT_T0_E_clISt17integral_constantIbLb0EES11_EEDaSW_SX_EUlSW_E_NS1_11comp_targetILNS1_3genE8ELNS1_11target_archE1030ELNS1_3gpuE2ELNS1_3repE0EEENS1_30default_config_static_selectorELNS0_4arch9wavefront6targetE1EEEvT1_,comdat
.Lfunc_end136:
	.size	_ZN7rocprim17ROCPRIM_400000_NS6detail17trampoline_kernelINS0_14default_configENS1_29reduce_by_key_config_selectorIffN6thrust23THRUST_200600_302600_NS4plusIfEEEEZZNS1_33reduce_by_key_impl_wrapped_configILNS1_25lookback_scan_determinismE1ES3_S9_NS6_6detail15normal_iteratorINS6_10device_ptrIfEEEESG_SG_SG_PmS8_22is_equal_div_10_reduceIfEEE10hipError_tPvRmT2_T3_mT4_T5_T6_T7_T8_P12ihipStream_tbENKUlT_T0_E_clISt17integral_constantIbLb0EES11_EEDaSW_SX_EUlSW_E_NS1_11comp_targetILNS1_3genE8ELNS1_11target_archE1030ELNS1_3gpuE2ELNS1_3repE0EEENS1_30default_config_static_selectorELNS0_4arch9wavefront6targetE1EEEvT1_, .Lfunc_end136-_ZN7rocprim17ROCPRIM_400000_NS6detail17trampoline_kernelINS0_14default_configENS1_29reduce_by_key_config_selectorIffN6thrust23THRUST_200600_302600_NS4plusIfEEEEZZNS1_33reduce_by_key_impl_wrapped_configILNS1_25lookback_scan_determinismE1ES3_S9_NS6_6detail15normal_iteratorINS6_10device_ptrIfEEEESG_SG_SG_PmS8_22is_equal_div_10_reduceIfEEE10hipError_tPvRmT2_T3_mT4_T5_T6_T7_T8_P12ihipStream_tbENKUlT_T0_E_clISt17integral_constantIbLb0EES11_EEDaSW_SX_EUlSW_E_NS1_11comp_targetILNS1_3genE8ELNS1_11target_archE1030ELNS1_3gpuE2ELNS1_3repE0EEENS1_30default_config_static_selectorELNS0_4arch9wavefront6targetE1EEEvT1_
                                        ; -- End function
	.section	.AMDGPU.csdata,"",@progbits
; Kernel info:
; codeLenInByte = 0
; NumSgprs: 4
; NumVgprs: 0
; NumAgprs: 0
; TotalNumVgprs: 0
; ScratchSize: 0
; MemoryBound: 0
; FloatMode: 240
; IeeeMode: 1
; LDSByteSize: 0 bytes/workgroup (compile time only)
; SGPRBlocks: 0
; VGPRBlocks: 0
; NumSGPRsForWavesPerEU: 4
; NumVGPRsForWavesPerEU: 1
; AccumOffset: 4
; Occupancy: 8
; WaveLimiterHint : 0
; COMPUTE_PGM_RSRC2:SCRATCH_EN: 0
; COMPUTE_PGM_RSRC2:USER_SGPR: 6
; COMPUTE_PGM_RSRC2:TRAP_HANDLER: 0
; COMPUTE_PGM_RSRC2:TGID_X_EN: 1
; COMPUTE_PGM_RSRC2:TGID_Y_EN: 0
; COMPUTE_PGM_RSRC2:TGID_Z_EN: 0
; COMPUTE_PGM_RSRC2:TIDIG_COMP_CNT: 0
; COMPUTE_PGM_RSRC3_GFX90A:ACCUM_OFFSET: 0
; COMPUTE_PGM_RSRC3_GFX90A:TG_SPLIT: 0
	.section	.text._ZN7rocprim17ROCPRIM_400000_NS6detail17trampoline_kernelINS0_14default_configENS1_29reduce_by_key_config_selectorIffN6thrust23THRUST_200600_302600_NS4plusIfEEEEZZNS1_33reduce_by_key_impl_wrapped_configILNS1_25lookback_scan_determinismE1ES3_S9_NS6_6detail15normal_iteratorINS6_10device_ptrIfEEEESG_SG_SG_PmS8_22is_equal_div_10_reduceIfEEE10hipError_tPvRmT2_T3_mT4_T5_T6_T7_T8_P12ihipStream_tbENKUlT_T0_E_clISt17integral_constantIbLb1EES11_EEDaSW_SX_EUlSW_E_NS1_11comp_targetILNS1_3genE0ELNS1_11target_archE4294967295ELNS1_3gpuE0ELNS1_3repE0EEENS1_30default_config_static_selectorELNS0_4arch9wavefront6targetE1EEEvT1_,"axG",@progbits,_ZN7rocprim17ROCPRIM_400000_NS6detail17trampoline_kernelINS0_14default_configENS1_29reduce_by_key_config_selectorIffN6thrust23THRUST_200600_302600_NS4plusIfEEEEZZNS1_33reduce_by_key_impl_wrapped_configILNS1_25lookback_scan_determinismE1ES3_S9_NS6_6detail15normal_iteratorINS6_10device_ptrIfEEEESG_SG_SG_PmS8_22is_equal_div_10_reduceIfEEE10hipError_tPvRmT2_T3_mT4_T5_T6_T7_T8_P12ihipStream_tbENKUlT_T0_E_clISt17integral_constantIbLb1EES11_EEDaSW_SX_EUlSW_E_NS1_11comp_targetILNS1_3genE0ELNS1_11target_archE4294967295ELNS1_3gpuE0ELNS1_3repE0EEENS1_30default_config_static_selectorELNS0_4arch9wavefront6targetE1EEEvT1_,comdat
	.protected	_ZN7rocprim17ROCPRIM_400000_NS6detail17trampoline_kernelINS0_14default_configENS1_29reduce_by_key_config_selectorIffN6thrust23THRUST_200600_302600_NS4plusIfEEEEZZNS1_33reduce_by_key_impl_wrapped_configILNS1_25lookback_scan_determinismE1ES3_S9_NS6_6detail15normal_iteratorINS6_10device_ptrIfEEEESG_SG_SG_PmS8_22is_equal_div_10_reduceIfEEE10hipError_tPvRmT2_T3_mT4_T5_T6_T7_T8_P12ihipStream_tbENKUlT_T0_E_clISt17integral_constantIbLb1EES11_EEDaSW_SX_EUlSW_E_NS1_11comp_targetILNS1_3genE0ELNS1_11target_archE4294967295ELNS1_3gpuE0ELNS1_3repE0EEENS1_30default_config_static_selectorELNS0_4arch9wavefront6targetE1EEEvT1_ ; -- Begin function _ZN7rocprim17ROCPRIM_400000_NS6detail17trampoline_kernelINS0_14default_configENS1_29reduce_by_key_config_selectorIffN6thrust23THRUST_200600_302600_NS4plusIfEEEEZZNS1_33reduce_by_key_impl_wrapped_configILNS1_25lookback_scan_determinismE1ES3_S9_NS6_6detail15normal_iteratorINS6_10device_ptrIfEEEESG_SG_SG_PmS8_22is_equal_div_10_reduceIfEEE10hipError_tPvRmT2_T3_mT4_T5_T6_T7_T8_P12ihipStream_tbENKUlT_T0_E_clISt17integral_constantIbLb1EES11_EEDaSW_SX_EUlSW_E_NS1_11comp_targetILNS1_3genE0ELNS1_11target_archE4294967295ELNS1_3gpuE0ELNS1_3repE0EEENS1_30default_config_static_selectorELNS0_4arch9wavefront6targetE1EEEvT1_
	.globl	_ZN7rocprim17ROCPRIM_400000_NS6detail17trampoline_kernelINS0_14default_configENS1_29reduce_by_key_config_selectorIffN6thrust23THRUST_200600_302600_NS4plusIfEEEEZZNS1_33reduce_by_key_impl_wrapped_configILNS1_25lookback_scan_determinismE1ES3_S9_NS6_6detail15normal_iteratorINS6_10device_ptrIfEEEESG_SG_SG_PmS8_22is_equal_div_10_reduceIfEEE10hipError_tPvRmT2_T3_mT4_T5_T6_T7_T8_P12ihipStream_tbENKUlT_T0_E_clISt17integral_constantIbLb1EES11_EEDaSW_SX_EUlSW_E_NS1_11comp_targetILNS1_3genE0ELNS1_11target_archE4294967295ELNS1_3gpuE0ELNS1_3repE0EEENS1_30default_config_static_selectorELNS0_4arch9wavefront6targetE1EEEvT1_
	.p2align	8
	.type	_ZN7rocprim17ROCPRIM_400000_NS6detail17trampoline_kernelINS0_14default_configENS1_29reduce_by_key_config_selectorIffN6thrust23THRUST_200600_302600_NS4plusIfEEEEZZNS1_33reduce_by_key_impl_wrapped_configILNS1_25lookback_scan_determinismE1ES3_S9_NS6_6detail15normal_iteratorINS6_10device_ptrIfEEEESG_SG_SG_PmS8_22is_equal_div_10_reduceIfEEE10hipError_tPvRmT2_T3_mT4_T5_T6_T7_T8_P12ihipStream_tbENKUlT_T0_E_clISt17integral_constantIbLb1EES11_EEDaSW_SX_EUlSW_E_NS1_11comp_targetILNS1_3genE0ELNS1_11target_archE4294967295ELNS1_3gpuE0ELNS1_3repE0EEENS1_30default_config_static_selectorELNS0_4arch9wavefront6targetE1EEEvT1_,@function
_ZN7rocprim17ROCPRIM_400000_NS6detail17trampoline_kernelINS0_14default_configENS1_29reduce_by_key_config_selectorIffN6thrust23THRUST_200600_302600_NS4plusIfEEEEZZNS1_33reduce_by_key_impl_wrapped_configILNS1_25lookback_scan_determinismE1ES3_S9_NS6_6detail15normal_iteratorINS6_10device_ptrIfEEEESG_SG_SG_PmS8_22is_equal_div_10_reduceIfEEE10hipError_tPvRmT2_T3_mT4_T5_T6_T7_T8_P12ihipStream_tbENKUlT_T0_E_clISt17integral_constantIbLb1EES11_EEDaSW_SX_EUlSW_E_NS1_11comp_targetILNS1_3genE0ELNS1_11target_archE4294967295ELNS1_3gpuE0ELNS1_3repE0EEENS1_30default_config_static_selectorELNS0_4arch9wavefront6targetE1EEEvT1_: ; @_ZN7rocprim17ROCPRIM_400000_NS6detail17trampoline_kernelINS0_14default_configENS1_29reduce_by_key_config_selectorIffN6thrust23THRUST_200600_302600_NS4plusIfEEEEZZNS1_33reduce_by_key_impl_wrapped_configILNS1_25lookback_scan_determinismE1ES3_S9_NS6_6detail15normal_iteratorINS6_10device_ptrIfEEEESG_SG_SG_PmS8_22is_equal_div_10_reduceIfEEE10hipError_tPvRmT2_T3_mT4_T5_T6_T7_T8_P12ihipStream_tbENKUlT_T0_E_clISt17integral_constantIbLb1EES11_EEDaSW_SX_EUlSW_E_NS1_11comp_targetILNS1_3genE0ELNS1_11target_archE4294967295ELNS1_3gpuE0ELNS1_3repE0EEENS1_30default_config_static_selectorELNS0_4arch9wavefront6targetE1EEEvT1_
; %bb.0:
	.section	.rodata,"a",@progbits
	.p2align	6, 0x0
	.amdhsa_kernel _ZN7rocprim17ROCPRIM_400000_NS6detail17trampoline_kernelINS0_14default_configENS1_29reduce_by_key_config_selectorIffN6thrust23THRUST_200600_302600_NS4plusIfEEEEZZNS1_33reduce_by_key_impl_wrapped_configILNS1_25lookback_scan_determinismE1ES3_S9_NS6_6detail15normal_iteratorINS6_10device_ptrIfEEEESG_SG_SG_PmS8_22is_equal_div_10_reduceIfEEE10hipError_tPvRmT2_T3_mT4_T5_T6_T7_T8_P12ihipStream_tbENKUlT_T0_E_clISt17integral_constantIbLb1EES11_EEDaSW_SX_EUlSW_E_NS1_11comp_targetILNS1_3genE0ELNS1_11target_archE4294967295ELNS1_3gpuE0ELNS1_3repE0EEENS1_30default_config_static_selectorELNS0_4arch9wavefront6targetE1EEEvT1_
		.amdhsa_group_segment_fixed_size 0
		.amdhsa_private_segment_fixed_size 0
		.amdhsa_kernarg_size 120
		.amdhsa_user_sgpr_count 6
		.amdhsa_user_sgpr_private_segment_buffer 1
		.amdhsa_user_sgpr_dispatch_ptr 0
		.amdhsa_user_sgpr_queue_ptr 0
		.amdhsa_user_sgpr_kernarg_segment_ptr 1
		.amdhsa_user_sgpr_dispatch_id 0
		.amdhsa_user_sgpr_flat_scratch_init 0
		.amdhsa_user_sgpr_kernarg_preload_length 0
		.amdhsa_user_sgpr_kernarg_preload_offset 0
		.amdhsa_user_sgpr_private_segment_size 0
		.amdhsa_uses_dynamic_stack 0
		.amdhsa_system_sgpr_private_segment_wavefront_offset 0
		.amdhsa_system_sgpr_workgroup_id_x 1
		.amdhsa_system_sgpr_workgroup_id_y 0
		.amdhsa_system_sgpr_workgroup_id_z 0
		.amdhsa_system_sgpr_workgroup_info 0
		.amdhsa_system_vgpr_workitem_id 0
		.amdhsa_next_free_vgpr 1
		.amdhsa_next_free_sgpr 0
		.amdhsa_accum_offset 4
		.amdhsa_reserve_vcc 0
		.amdhsa_reserve_flat_scratch 0
		.amdhsa_float_round_mode_32 0
		.amdhsa_float_round_mode_16_64 0
		.amdhsa_float_denorm_mode_32 3
		.amdhsa_float_denorm_mode_16_64 3
		.amdhsa_dx10_clamp 1
		.amdhsa_ieee_mode 1
		.amdhsa_fp16_overflow 0
		.amdhsa_tg_split 0
		.amdhsa_exception_fp_ieee_invalid_op 0
		.amdhsa_exception_fp_denorm_src 0
		.amdhsa_exception_fp_ieee_div_zero 0
		.amdhsa_exception_fp_ieee_overflow 0
		.amdhsa_exception_fp_ieee_underflow 0
		.amdhsa_exception_fp_ieee_inexact 0
		.amdhsa_exception_int_div_zero 0
	.end_amdhsa_kernel
	.section	.text._ZN7rocprim17ROCPRIM_400000_NS6detail17trampoline_kernelINS0_14default_configENS1_29reduce_by_key_config_selectorIffN6thrust23THRUST_200600_302600_NS4plusIfEEEEZZNS1_33reduce_by_key_impl_wrapped_configILNS1_25lookback_scan_determinismE1ES3_S9_NS6_6detail15normal_iteratorINS6_10device_ptrIfEEEESG_SG_SG_PmS8_22is_equal_div_10_reduceIfEEE10hipError_tPvRmT2_T3_mT4_T5_T6_T7_T8_P12ihipStream_tbENKUlT_T0_E_clISt17integral_constantIbLb1EES11_EEDaSW_SX_EUlSW_E_NS1_11comp_targetILNS1_3genE0ELNS1_11target_archE4294967295ELNS1_3gpuE0ELNS1_3repE0EEENS1_30default_config_static_selectorELNS0_4arch9wavefront6targetE1EEEvT1_,"axG",@progbits,_ZN7rocprim17ROCPRIM_400000_NS6detail17trampoline_kernelINS0_14default_configENS1_29reduce_by_key_config_selectorIffN6thrust23THRUST_200600_302600_NS4plusIfEEEEZZNS1_33reduce_by_key_impl_wrapped_configILNS1_25lookback_scan_determinismE1ES3_S9_NS6_6detail15normal_iteratorINS6_10device_ptrIfEEEESG_SG_SG_PmS8_22is_equal_div_10_reduceIfEEE10hipError_tPvRmT2_T3_mT4_T5_T6_T7_T8_P12ihipStream_tbENKUlT_T0_E_clISt17integral_constantIbLb1EES11_EEDaSW_SX_EUlSW_E_NS1_11comp_targetILNS1_3genE0ELNS1_11target_archE4294967295ELNS1_3gpuE0ELNS1_3repE0EEENS1_30default_config_static_selectorELNS0_4arch9wavefront6targetE1EEEvT1_,comdat
.Lfunc_end137:
	.size	_ZN7rocprim17ROCPRIM_400000_NS6detail17trampoline_kernelINS0_14default_configENS1_29reduce_by_key_config_selectorIffN6thrust23THRUST_200600_302600_NS4plusIfEEEEZZNS1_33reduce_by_key_impl_wrapped_configILNS1_25lookback_scan_determinismE1ES3_S9_NS6_6detail15normal_iteratorINS6_10device_ptrIfEEEESG_SG_SG_PmS8_22is_equal_div_10_reduceIfEEE10hipError_tPvRmT2_T3_mT4_T5_T6_T7_T8_P12ihipStream_tbENKUlT_T0_E_clISt17integral_constantIbLb1EES11_EEDaSW_SX_EUlSW_E_NS1_11comp_targetILNS1_3genE0ELNS1_11target_archE4294967295ELNS1_3gpuE0ELNS1_3repE0EEENS1_30default_config_static_selectorELNS0_4arch9wavefront6targetE1EEEvT1_, .Lfunc_end137-_ZN7rocprim17ROCPRIM_400000_NS6detail17trampoline_kernelINS0_14default_configENS1_29reduce_by_key_config_selectorIffN6thrust23THRUST_200600_302600_NS4plusIfEEEEZZNS1_33reduce_by_key_impl_wrapped_configILNS1_25lookback_scan_determinismE1ES3_S9_NS6_6detail15normal_iteratorINS6_10device_ptrIfEEEESG_SG_SG_PmS8_22is_equal_div_10_reduceIfEEE10hipError_tPvRmT2_T3_mT4_T5_T6_T7_T8_P12ihipStream_tbENKUlT_T0_E_clISt17integral_constantIbLb1EES11_EEDaSW_SX_EUlSW_E_NS1_11comp_targetILNS1_3genE0ELNS1_11target_archE4294967295ELNS1_3gpuE0ELNS1_3repE0EEENS1_30default_config_static_selectorELNS0_4arch9wavefront6targetE1EEEvT1_
                                        ; -- End function
	.section	.AMDGPU.csdata,"",@progbits
; Kernel info:
; codeLenInByte = 0
; NumSgprs: 4
; NumVgprs: 0
; NumAgprs: 0
; TotalNumVgprs: 0
; ScratchSize: 0
; MemoryBound: 0
; FloatMode: 240
; IeeeMode: 1
; LDSByteSize: 0 bytes/workgroup (compile time only)
; SGPRBlocks: 0
; VGPRBlocks: 0
; NumSGPRsForWavesPerEU: 4
; NumVGPRsForWavesPerEU: 1
; AccumOffset: 4
; Occupancy: 8
; WaveLimiterHint : 0
; COMPUTE_PGM_RSRC2:SCRATCH_EN: 0
; COMPUTE_PGM_RSRC2:USER_SGPR: 6
; COMPUTE_PGM_RSRC2:TRAP_HANDLER: 0
; COMPUTE_PGM_RSRC2:TGID_X_EN: 1
; COMPUTE_PGM_RSRC2:TGID_Y_EN: 0
; COMPUTE_PGM_RSRC2:TGID_Z_EN: 0
; COMPUTE_PGM_RSRC2:TIDIG_COMP_CNT: 0
; COMPUTE_PGM_RSRC3_GFX90A:ACCUM_OFFSET: 0
; COMPUTE_PGM_RSRC3_GFX90A:TG_SPLIT: 0
	.section	.text._ZN7rocprim17ROCPRIM_400000_NS6detail17trampoline_kernelINS0_14default_configENS1_29reduce_by_key_config_selectorIffN6thrust23THRUST_200600_302600_NS4plusIfEEEEZZNS1_33reduce_by_key_impl_wrapped_configILNS1_25lookback_scan_determinismE1ES3_S9_NS6_6detail15normal_iteratorINS6_10device_ptrIfEEEESG_SG_SG_PmS8_22is_equal_div_10_reduceIfEEE10hipError_tPvRmT2_T3_mT4_T5_T6_T7_T8_P12ihipStream_tbENKUlT_T0_E_clISt17integral_constantIbLb1EES11_EEDaSW_SX_EUlSW_E_NS1_11comp_targetILNS1_3genE5ELNS1_11target_archE942ELNS1_3gpuE9ELNS1_3repE0EEENS1_30default_config_static_selectorELNS0_4arch9wavefront6targetE1EEEvT1_,"axG",@progbits,_ZN7rocprim17ROCPRIM_400000_NS6detail17trampoline_kernelINS0_14default_configENS1_29reduce_by_key_config_selectorIffN6thrust23THRUST_200600_302600_NS4plusIfEEEEZZNS1_33reduce_by_key_impl_wrapped_configILNS1_25lookback_scan_determinismE1ES3_S9_NS6_6detail15normal_iteratorINS6_10device_ptrIfEEEESG_SG_SG_PmS8_22is_equal_div_10_reduceIfEEE10hipError_tPvRmT2_T3_mT4_T5_T6_T7_T8_P12ihipStream_tbENKUlT_T0_E_clISt17integral_constantIbLb1EES11_EEDaSW_SX_EUlSW_E_NS1_11comp_targetILNS1_3genE5ELNS1_11target_archE942ELNS1_3gpuE9ELNS1_3repE0EEENS1_30default_config_static_selectorELNS0_4arch9wavefront6targetE1EEEvT1_,comdat
	.protected	_ZN7rocprim17ROCPRIM_400000_NS6detail17trampoline_kernelINS0_14default_configENS1_29reduce_by_key_config_selectorIffN6thrust23THRUST_200600_302600_NS4plusIfEEEEZZNS1_33reduce_by_key_impl_wrapped_configILNS1_25lookback_scan_determinismE1ES3_S9_NS6_6detail15normal_iteratorINS6_10device_ptrIfEEEESG_SG_SG_PmS8_22is_equal_div_10_reduceIfEEE10hipError_tPvRmT2_T3_mT4_T5_T6_T7_T8_P12ihipStream_tbENKUlT_T0_E_clISt17integral_constantIbLb1EES11_EEDaSW_SX_EUlSW_E_NS1_11comp_targetILNS1_3genE5ELNS1_11target_archE942ELNS1_3gpuE9ELNS1_3repE0EEENS1_30default_config_static_selectorELNS0_4arch9wavefront6targetE1EEEvT1_ ; -- Begin function _ZN7rocprim17ROCPRIM_400000_NS6detail17trampoline_kernelINS0_14default_configENS1_29reduce_by_key_config_selectorIffN6thrust23THRUST_200600_302600_NS4plusIfEEEEZZNS1_33reduce_by_key_impl_wrapped_configILNS1_25lookback_scan_determinismE1ES3_S9_NS6_6detail15normal_iteratorINS6_10device_ptrIfEEEESG_SG_SG_PmS8_22is_equal_div_10_reduceIfEEE10hipError_tPvRmT2_T3_mT4_T5_T6_T7_T8_P12ihipStream_tbENKUlT_T0_E_clISt17integral_constantIbLb1EES11_EEDaSW_SX_EUlSW_E_NS1_11comp_targetILNS1_3genE5ELNS1_11target_archE942ELNS1_3gpuE9ELNS1_3repE0EEENS1_30default_config_static_selectorELNS0_4arch9wavefront6targetE1EEEvT1_
	.globl	_ZN7rocprim17ROCPRIM_400000_NS6detail17trampoline_kernelINS0_14default_configENS1_29reduce_by_key_config_selectorIffN6thrust23THRUST_200600_302600_NS4plusIfEEEEZZNS1_33reduce_by_key_impl_wrapped_configILNS1_25lookback_scan_determinismE1ES3_S9_NS6_6detail15normal_iteratorINS6_10device_ptrIfEEEESG_SG_SG_PmS8_22is_equal_div_10_reduceIfEEE10hipError_tPvRmT2_T3_mT4_T5_T6_T7_T8_P12ihipStream_tbENKUlT_T0_E_clISt17integral_constantIbLb1EES11_EEDaSW_SX_EUlSW_E_NS1_11comp_targetILNS1_3genE5ELNS1_11target_archE942ELNS1_3gpuE9ELNS1_3repE0EEENS1_30default_config_static_selectorELNS0_4arch9wavefront6targetE1EEEvT1_
	.p2align	8
	.type	_ZN7rocprim17ROCPRIM_400000_NS6detail17trampoline_kernelINS0_14default_configENS1_29reduce_by_key_config_selectorIffN6thrust23THRUST_200600_302600_NS4plusIfEEEEZZNS1_33reduce_by_key_impl_wrapped_configILNS1_25lookback_scan_determinismE1ES3_S9_NS6_6detail15normal_iteratorINS6_10device_ptrIfEEEESG_SG_SG_PmS8_22is_equal_div_10_reduceIfEEE10hipError_tPvRmT2_T3_mT4_T5_T6_T7_T8_P12ihipStream_tbENKUlT_T0_E_clISt17integral_constantIbLb1EES11_EEDaSW_SX_EUlSW_E_NS1_11comp_targetILNS1_3genE5ELNS1_11target_archE942ELNS1_3gpuE9ELNS1_3repE0EEENS1_30default_config_static_selectorELNS0_4arch9wavefront6targetE1EEEvT1_,@function
_ZN7rocprim17ROCPRIM_400000_NS6detail17trampoline_kernelINS0_14default_configENS1_29reduce_by_key_config_selectorIffN6thrust23THRUST_200600_302600_NS4plusIfEEEEZZNS1_33reduce_by_key_impl_wrapped_configILNS1_25lookback_scan_determinismE1ES3_S9_NS6_6detail15normal_iteratorINS6_10device_ptrIfEEEESG_SG_SG_PmS8_22is_equal_div_10_reduceIfEEE10hipError_tPvRmT2_T3_mT4_T5_T6_T7_T8_P12ihipStream_tbENKUlT_T0_E_clISt17integral_constantIbLb1EES11_EEDaSW_SX_EUlSW_E_NS1_11comp_targetILNS1_3genE5ELNS1_11target_archE942ELNS1_3gpuE9ELNS1_3repE0EEENS1_30default_config_static_selectorELNS0_4arch9wavefront6targetE1EEEvT1_: ; @_ZN7rocprim17ROCPRIM_400000_NS6detail17trampoline_kernelINS0_14default_configENS1_29reduce_by_key_config_selectorIffN6thrust23THRUST_200600_302600_NS4plusIfEEEEZZNS1_33reduce_by_key_impl_wrapped_configILNS1_25lookback_scan_determinismE1ES3_S9_NS6_6detail15normal_iteratorINS6_10device_ptrIfEEEESG_SG_SG_PmS8_22is_equal_div_10_reduceIfEEE10hipError_tPvRmT2_T3_mT4_T5_T6_T7_T8_P12ihipStream_tbENKUlT_T0_E_clISt17integral_constantIbLb1EES11_EEDaSW_SX_EUlSW_E_NS1_11comp_targetILNS1_3genE5ELNS1_11target_archE942ELNS1_3gpuE9ELNS1_3repE0EEENS1_30default_config_static_selectorELNS0_4arch9wavefront6targetE1EEEvT1_
; %bb.0:
	.section	.rodata,"a",@progbits
	.p2align	6, 0x0
	.amdhsa_kernel _ZN7rocprim17ROCPRIM_400000_NS6detail17trampoline_kernelINS0_14default_configENS1_29reduce_by_key_config_selectorIffN6thrust23THRUST_200600_302600_NS4plusIfEEEEZZNS1_33reduce_by_key_impl_wrapped_configILNS1_25lookback_scan_determinismE1ES3_S9_NS6_6detail15normal_iteratorINS6_10device_ptrIfEEEESG_SG_SG_PmS8_22is_equal_div_10_reduceIfEEE10hipError_tPvRmT2_T3_mT4_T5_T6_T7_T8_P12ihipStream_tbENKUlT_T0_E_clISt17integral_constantIbLb1EES11_EEDaSW_SX_EUlSW_E_NS1_11comp_targetILNS1_3genE5ELNS1_11target_archE942ELNS1_3gpuE9ELNS1_3repE0EEENS1_30default_config_static_selectorELNS0_4arch9wavefront6targetE1EEEvT1_
		.amdhsa_group_segment_fixed_size 0
		.amdhsa_private_segment_fixed_size 0
		.amdhsa_kernarg_size 120
		.amdhsa_user_sgpr_count 6
		.amdhsa_user_sgpr_private_segment_buffer 1
		.amdhsa_user_sgpr_dispatch_ptr 0
		.amdhsa_user_sgpr_queue_ptr 0
		.amdhsa_user_sgpr_kernarg_segment_ptr 1
		.amdhsa_user_sgpr_dispatch_id 0
		.amdhsa_user_sgpr_flat_scratch_init 0
		.amdhsa_user_sgpr_kernarg_preload_length 0
		.amdhsa_user_sgpr_kernarg_preload_offset 0
		.amdhsa_user_sgpr_private_segment_size 0
		.amdhsa_uses_dynamic_stack 0
		.amdhsa_system_sgpr_private_segment_wavefront_offset 0
		.amdhsa_system_sgpr_workgroup_id_x 1
		.amdhsa_system_sgpr_workgroup_id_y 0
		.amdhsa_system_sgpr_workgroup_id_z 0
		.amdhsa_system_sgpr_workgroup_info 0
		.amdhsa_system_vgpr_workitem_id 0
		.amdhsa_next_free_vgpr 1
		.amdhsa_next_free_sgpr 0
		.amdhsa_accum_offset 4
		.amdhsa_reserve_vcc 0
		.amdhsa_reserve_flat_scratch 0
		.amdhsa_float_round_mode_32 0
		.amdhsa_float_round_mode_16_64 0
		.amdhsa_float_denorm_mode_32 3
		.amdhsa_float_denorm_mode_16_64 3
		.amdhsa_dx10_clamp 1
		.amdhsa_ieee_mode 1
		.amdhsa_fp16_overflow 0
		.amdhsa_tg_split 0
		.amdhsa_exception_fp_ieee_invalid_op 0
		.amdhsa_exception_fp_denorm_src 0
		.amdhsa_exception_fp_ieee_div_zero 0
		.amdhsa_exception_fp_ieee_overflow 0
		.amdhsa_exception_fp_ieee_underflow 0
		.amdhsa_exception_fp_ieee_inexact 0
		.amdhsa_exception_int_div_zero 0
	.end_amdhsa_kernel
	.section	.text._ZN7rocprim17ROCPRIM_400000_NS6detail17trampoline_kernelINS0_14default_configENS1_29reduce_by_key_config_selectorIffN6thrust23THRUST_200600_302600_NS4plusIfEEEEZZNS1_33reduce_by_key_impl_wrapped_configILNS1_25lookback_scan_determinismE1ES3_S9_NS6_6detail15normal_iteratorINS6_10device_ptrIfEEEESG_SG_SG_PmS8_22is_equal_div_10_reduceIfEEE10hipError_tPvRmT2_T3_mT4_T5_T6_T7_T8_P12ihipStream_tbENKUlT_T0_E_clISt17integral_constantIbLb1EES11_EEDaSW_SX_EUlSW_E_NS1_11comp_targetILNS1_3genE5ELNS1_11target_archE942ELNS1_3gpuE9ELNS1_3repE0EEENS1_30default_config_static_selectorELNS0_4arch9wavefront6targetE1EEEvT1_,"axG",@progbits,_ZN7rocprim17ROCPRIM_400000_NS6detail17trampoline_kernelINS0_14default_configENS1_29reduce_by_key_config_selectorIffN6thrust23THRUST_200600_302600_NS4plusIfEEEEZZNS1_33reduce_by_key_impl_wrapped_configILNS1_25lookback_scan_determinismE1ES3_S9_NS6_6detail15normal_iteratorINS6_10device_ptrIfEEEESG_SG_SG_PmS8_22is_equal_div_10_reduceIfEEE10hipError_tPvRmT2_T3_mT4_T5_T6_T7_T8_P12ihipStream_tbENKUlT_T0_E_clISt17integral_constantIbLb1EES11_EEDaSW_SX_EUlSW_E_NS1_11comp_targetILNS1_3genE5ELNS1_11target_archE942ELNS1_3gpuE9ELNS1_3repE0EEENS1_30default_config_static_selectorELNS0_4arch9wavefront6targetE1EEEvT1_,comdat
.Lfunc_end138:
	.size	_ZN7rocprim17ROCPRIM_400000_NS6detail17trampoline_kernelINS0_14default_configENS1_29reduce_by_key_config_selectorIffN6thrust23THRUST_200600_302600_NS4plusIfEEEEZZNS1_33reduce_by_key_impl_wrapped_configILNS1_25lookback_scan_determinismE1ES3_S9_NS6_6detail15normal_iteratorINS6_10device_ptrIfEEEESG_SG_SG_PmS8_22is_equal_div_10_reduceIfEEE10hipError_tPvRmT2_T3_mT4_T5_T6_T7_T8_P12ihipStream_tbENKUlT_T0_E_clISt17integral_constantIbLb1EES11_EEDaSW_SX_EUlSW_E_NS1_11comp_targetILNS1_3genE5ELNS1_11target_archE942ELNS1_3gpuE9ELNS1_3repE0EEENS1_30default_config_static_selectorELNS0_4arch9wavefront6targetE1EEEvT1_, .Lfunc_end138-_ZN7rocprim17ROCPRIM_400000_NS6detail17trampoline_kernelINS0_14default_configENS1_29reduce_by_key_config_selectorIffN6thrust23THRUST_200600_302600_NS4plusIfEEEEZZNS1_33reduce_by_key_impl_wrapped_configILNS1_25lookback_scan_determinismE1ES3_S9_NS6_6detail15normal_iteratorINS6_10device_ptrIfEEEESG_SG_SG_PmS8_22is_equal_div_10_reduceIfEEE10hipError_tPvRmT2_T3_mT4_T5_T6_T7_T8_P12ihipStream_tbENKUlT_T0_E_clISt17integral_constantIbLb1EES11_EEDaSW_SX_EUlSW_E_NS1_11comp_targetILNS1_3genE5ELNS1_11target_archE942ELNS1_3gpuE9ELNS1_3repE0EEENS1_30default_config_static_selectorELNS0_4arch9wavefront6targetE1EEEvT1_
                                        ; -- End function
	.section	.AMDGPU.csdata,"",@progbits
; Kernel info:
; codeLenInByte = 0
; NumSgprs: 4
; NumVgprs: 0
; NumAgprs: 0
; TotalNumVgprs: 0
; ScratchSize: 0
; MemoryBound: 0
; FloatMode: 240
; IeeeMode: 1
; LDSByteSize: 0 bytes/workgroup (compile time only)
; SGPRBlocks: 0
; VGPRBlocks: 0
; NumSGPRsForWavesPerEU: 4
; NumVGPRsForWavesPerEU: 1
; AccumOffset: 4
; Occupancy: 8
; WaveLimiterHint : 0
; COMPUTE_PGM_RSRC2:SCRATCH_EN: 0
; COMPUTE_PGM_RSRC2:USER_SGPR: 6
; COMPUTE_PGM_RSRC2:TRAP_HANDLER: 0
; COMPUTE_PGM_RSRC2:TGID_X_EN: 1
; COMPUTE_PGM_RSRC2:TGID_Y_EN: 0
; COMPUTE_PGM_RSRC2:TGID_Z_EN: 0
; COMPUTE_PGM_RSRC2:TIDIG_COMP_CNT: 0
; COMPUTE_PGM_RSRC3_GFX90A:ACCUM_OFFSET: 0
; COMPUTE_PGM_RSRC3_GFX90A:TG_SPLIT: 0
	.section	.text._ZN7rocprim17ROCPRIM_400000_NS6detail17trampoline_kernelINS0_14default_configENS1_29reduce_by_key_config_selectorIffN6thrust23THRUST_200600_302600_NS4plusIfEEEEZZNS1_33reduce_by_key_impl_wrapped_configILNS1_25lookback_scan_determinismE1ES3_S9_NS6_6detail15normal_iteratorINS6_10device_ptrIfEEEESG_SG_SG_PmS8_22is_equal_div_10_reduceIfEEE10hipError_tPvRmT2_T3_mT4_T5_T6_T7_T8_P12ihipStream_tbENKUlT_T0_E_clISt17integral_constantIbLb1EES11_EEDaSW_SX_EUlSW_E_NS1_11comp_targetILNS1_3genE4ELNS1_11target_archE910ELNS1_3gpuE8ELNS1_3repE0EEENS1_30default_config_static_selectorELNS0_4arch9wavefront6targetE1EEEvT1_,"axG",@progbits,_ZN7rocprim17ROCPRIM_400000_NS6detail17trampoline_kernelINS0_14default_configENS1_29reduce_by_key_config_selectorIffN6thrust23THRUST_200600_302600_NS4plusIfEEEEZZNS1_33reduce_by_key_impl_wrapped_configILNS1_25lookback_scan_determinismE1ES3_S9_NS6_6detail15normal_iteratorINS6_10device_ptrIfEEEESG_SG_SG_PmS8_22is_equal_div_10_reduceIfEEE10hipError_tPvRmT2_T3_mT4_T5_T6_T7_T8_P12ihipStream_tbENKUlT_T0_E_clISt17integral_constantIbLb1EES11_EEDaSW_SX_EUlSW_E_NS1_11comp_targetILNS1_3genE4ELNS1_11target_archE910ELNS1_3gpuE8ELNS1_3repE0EEENS1_30default_config_static_selectorELNS0_4arch9wavefront6targetE1EEEvT1_,comdat
	.protected	_ZN7rocprim17ROCPRIM_400000_NS6detail17trampoline_kernelINS0_14default_configENS1_29reduce_by_key_config_selectorIffN6thrust23THRUST_200600_302600_NS4plusIfEEEEZZNS1_33reduce_by_key_impl_wrapped_configILNS1_25lookback_scan_determinismE1ES3_S9_NS6_6detail15normal_iteratorINS6_10device_ptrIfEEEESG_SG_SG_PmS8_22is_equal_div_10_reduceIfEEE10hipError_tPvRmT2_T3_mT4_T5_T6_T7_T8_P12ihipStream_tbENKUlT_T0_E_clISt17integral_constantIbLb1EES11_EEDaSW_SX_EUlSW_E_NS1_11comp_targetILNS1_3genE4ELNS1_11target_archE910ELNS1_3gpuE8ELNS1_3repE0EEENS1_30default_config_static_selectorELNS0_4arch9wavefront6targetE1EEEvT1_ ; -- Begin function _ZN7rocprim17ROCPRIM_400000_NS6detail17trampoline_kernelINS0_14default_configENS1_29reduce_by_key_config_selectorIffN6thrust23THRUST_200600_302600_NS4plusIfEEEEZZNS1_33reduce_by_key_impl_wrapped_configILNS1_25lookback_scan_determinismE1ES3_S9_NS6_6detail15normal_iteratorINS6_10device_ptrIfEEEESG_SG_SG_PmS8_22is_equal_div_10_reduceIfEEE10hipError_tPvRmT2_T3_mT4_T5_T6_T7_T8_P12ihipStream_tbENKUlT_T0_E_clISt17integral_constantIbLb1EES11_EEDaSW_SX_EUlSW_E_NS1_11comp_targetILNS1_3genE4ELNS1_11target_archE910ELNS1_3gpuE8ELNS1_3repE0EEENS1_30default_config_static_selectorELNS0_4arch9wavefront6targetE1EEEvT1_
	.globl	_ZN7rocprim17ROCPRIM_400000_NS6detail17trampoline_kernelINS0_14default_configENS1_29reduce_by_key_config_selectorIffN6thrust23THRUST_200600_302600_NS4plusIfEEEEZZNS1_33reduce_by_key_impl_wrapped_configILNS1_25lookback_scan_determinismE1ES3_S9_NS6_6detail15normal_iteratorINS6_10device_ptrIfEEEESG_SG_SG_PmS8_22is_equal_div_10_reduceIfEEE10hipError_tPvRmT2_T3_mT4_T5_T6_T7_T8_P12ihipStream_tbENKUlT_T0_E_clISt17integral_constantIbLb1EES11_EEDaSW_SX_EUlSW_E_NS1_11comp_targetILNS1_3genE4ELNS1_11target_archE910ELNS1_3gpuE8ELNS1_3repE0EEENS1_30default_config_static_selectorELNS0_4arch9wavefront6targetE1EEEvT1_
	.p2align	8
	.type	_ZN7rocprim17ROCPRIM_400000_NS6detail17trampoline_kernelINS0_14default_configENS1_29reduce_by_key_config_selectorIffN6thrust23THRUST_200600_302600_NS4plusIfEEEEZZNS1_33reduce_by_key_impl_wrapped_configILNS1_25lookback_scan_determinismE1ES3_S9_NS6_6detail15normal_iteratorINS6_10device_ptrIfEEEESG_SG_SG_PmS8_22is_equal_div_10_reduceIfEEE10hipError_tPvRmT2_T3_mT4_T5_T6_T7_T8_P12ihipStream_tbENKUlT_T0_E_clISt17integral_constantIbLb1EES11_EEDaSW_SX_EUlSW_E_NS1_11comp_targetILNS1_3genE4ELNS1_11target_archE910ELNS1_3gpuE8ELNS1_3repE0EEENS1_30default_config_static_selectorELNS0_4arch9wavefront6targetE1EEEvT1_,@function
_ZN7rocprim17ROCPRIM_400000_NS6detail17trampoline_kernelINS0_14default_configENS1_29reduce_by_key_config_selectorIffN6thrust23THRUST_200600_302600_NS4plusIfEEEEZZNS1_33reduce_by_key_impl_wrapped_configILNS1_25lookback_scan_determinismE1ES3_S9_NS6_6detail15normal_iteratorINS6_10device_ptrIfEEEESG_SG_SG_PmS8_22is_equal_div_10_reduceIfEEE10hipError_tPvRmT2_T3_mT4_T5_T6_T7_T8_P12ihipStream_tbENKUlT_T0_E_clISt17integral_constantIbLb1EES11_EEDaSW_SX_EUlSW_E_NS1_11comp_targetILNS1_3genE4ELNS1_11target_archE910ELNS1_3gpuE8ELNS1_3repE0EEENS1_30default_config_static_selectorELNS0_4arch9wavefront6targetE1EEEvT1_: ; @_ZN7rocprim17ROCPRIM_400000_NS6detail17trampoline_kernelINS0_14default_configENS1_29reduce_by_key_config_selectorIffN6thrust23THRUST_200600_302600_NS4plusIfEEEEZZNS1_33reduce_by_key_impl_wrapped_configILNS1_25lookback_scan_determinismE1ES3_S9_NS6_6detail15normal_iteratorINS6_10device_ptrIfEEEESG_SG_SG_PmS8_22is_equal_div_10_reduceIfEEE10hipError_tPvRmT2_T3_mT4_T5_T6_T7_T8_P12ihipStream_tbENKUlT_T0_E_clISt17integral_constantIbLb1EES11_EEDaSW_SX_EUlSW_E_NS1_11comp_targetILNS1_3genE4ELNS1_11target_archE910ELNS1_3gpuE8ELNS1_3repE0EEENS1_30default_config_static_selectorELNS0_4arch9wavefront6targetE1EEEvT1_
; %bb.0:
	s_load_dwordx8 s[40:47], s[4:5], 0x0
	s_load_dwordx4 s[56:59], s[4:5], 0x20
	s_load_dwordx8 s[48:55], s[4:5], 0x38
	s_load_dwordx2 s[64:65], s[4:5], 0x68
	s_load_dwordx4 s[60:63], s[4:5], 0x58
	s_add_u32 flat_scratch_lo, s6, s9
	s_addc_u32 flat_scratch_hi, s7, 0
	s_add_u32 s0, s0, s9
	s_addc_u32 s1, s1, 0
	v_cmp_ne_u32_e64 s[6:7], 0, v0
	v_cmp_eq_u32_e64 s[38:39], 0, v0
	s_and_saveexec_b64 s[8:9], s[38:39]
	s_cbranch_execz .LBB139_4
; %bb.1:
	s_mov_b64 s[12:13], exec
	v_mbcnt_lo_u32_b32 v1, s12, 0
	v_mbcnt_hi_u32_b32 v1, s13, v1
	v_cmp_eq_u32_e32 vcc, 0, v1
                                        ; implicit-def: $vgpr2
	s_and_saveexec_b64 s[10:11], vcc
	s_cbranch_execz .LBB139_3
; %bb.2:
	s_load_dwordx2 s[4:5], s[4:5], 0x70
	s_bcnt1_i32_b64 s12, s[12:13]
	v_mov_b32_e32 v2, 0
	v_mov_b32_e32 v3, s12
	s_waitcnt lgkmcnt(0)
	global_atomic_add v2, v2, v3, s[4:5] glc
.LBB139_3:
	s_or_b64 exec, exec, s[10:11]
	s_waitcnt vmcnt(0)
	v_readfirstlane_b32 s4, v2
	v_add_u32_e32 v1, s4, v1
	v_mov_b32_e32 v2, 0
	ds_write_b32 v2, v1
.LBB139_4:
	s_or_b64 exec, exec, s[8:9]
	v_mov_b32_e32 v3, 0
	s_waitcnt lgkmcnt(0)
	s_lshl_b64 s[4:5], s[42:43], 2
	s_barrier
	ds_read_b32 v1, v3
	s_add_u32 s8, s40, s4
	s_addc_u32 s9, s41, s5
	s_add_u32 s4, s44, s4
	s_mul_i32 s10, s52, s51
	s_mul_hi_u32 s11, s52, s50
	s_addc_u32 s5, s45, s5
	s_add_i32 s10, s11, s10
	s_mul_i32 s11, s53, s50
	s_add_i32 s10, s10, s11
	s_mul_i32 s11, s52, s50
	s_waitcnt lgkmcnt(0)
	v_readfirstlane_b32 s66, v1
	s_movk_i32 s12, 0xf00
	v_mul_lo_u32 v2, v1, s12
	s_add_u32 s44, s11, s66
	v_lshlrev_b64 v[4:5], 2, v[2:3]
	s_addc_u32 s45, s10, 0
	v_mov_b32_e32 v1, s9
	v_add_co_u32_e32 v2, vcc, s8, v4
	s_add_u32 s8, s54, -1
	v_addc_co_u32_e32 v3, vcc, v1, v5, vcc
	s_addc_u32 s9, s55, -1
	v_mov_b32_e32 v1, s5
	v_add_co_u32_e32 v4, vcc, s4, v4
	s_cmp_eq_u64 s[44:45], s[8:9]
	v_addc_co_u32_e32 v5, vcc, v1, v5, vcc
	s_cselect_b64 s[40:41], -1, 0
	s_cmp_lg_u64 s[44:45], s[8:9]
	s_mov_b64 s[4:5], -1
	s_cselect_b64 s[52:53], -1, 0
	s_mul_i32 s33, s8, 0xfffff100
	s_and_b64 vcc, exec, s[40:41]
	s_barrier
	s_cbranch_vccnz .LBB139_6
; %bb.5:
	v_lshlrev_b32_e32 v30, 2, v0
	v_add_co_u32_e32 v6, vcc, v2, v30
	v_addc_co_u32_e32 v7, vcc, 0, v3, vcc
	v_add_co_u32_e32 v8, vcc, 0x1000, v6
	v_addc_co_u32_e32 v9, vcc, 0, v7, vcc
	flat_load_dword v1, v[6:7]
	flat_load_dword v12, v[6:7] offset:1024
	flat_load_dword v13, v[6:7] offset:2048
	;; [unrolled: 1-line block ×3, first 2 shown]
	flat_load_dword v15, v[8:9]
	flat_load_dword v16, v[8:9] offset:1024
	flat_load_dword v17, v[8:9] offset:2048
	flat_load_dword v18, v[8:9] offset:3072
	v_add_co_u32_e32 v8, vcc, 0x2000, v6
	v_addc_co_u32_e32 v9, vcc, 0, v7, vcc
	v_add_co_u32_e32 v6, vcc, 0x3000, v6
	v_addc_co_u32_e32 v7, vcc, 0, v7, vcc
	flat_load_dword v19, v[8:9]
	flat_load_dword v20, v[8:9] offset:1024
	flat_load_dword v21, v[8:9] offset:2048
	;; [unrolled: 1-line block ×3, first 2 shown]
	flat_load_dword v23, v[6:7]
	flat_load_dword v24, v[6:7] offset:1024
	flat_load_dword v25, v[6:7] offset:2048
	v_add_co_u32_e32 v8, vcc, v4, v30
	s_movk_i32 s4, 0x1000
	v_addc_co_u32_e32 v9, vcc, 0, v5, vcc
	v_add_co_u32_e32 v10, vcc, s4, v8
	s_movk_i32 s5, 0x2000
	v_addc_co_u32_e32 v11, vcc, 0, v9, vcc
	;; [unrolled: 3-line block ×3, first 2 shown]
	v_mad_u32_u24 v6, v0, 56, v30
	v_add_co_u32_e32 v28, vcc, s8, v8
	v_addc_co_u32_e32 v29, vcc, 0, v9, vcc
	s_waitcnt vmcnt(0) lgkmcnt(0)
	ds_write2st64_b32 v30, v1, v12 offset1:4
	ds_write2st64_b32 v30, v13, v14 offset0:8 offset1:12
	ds_write2st64_b32 v30, v15, v16 offset0:16 offset1:20
	;; [unrolled: 1-line block ×6, first 2 shown]
	ds_write_b32 v30, v25 offset:14336
	s_waitcnt lgkmcnt(0)
	s_barrier
	ds_read2_b32 v[24:25], v6 offset1:1
	ds_read2_b32 v[22:23], v6 offset0:2 offset1:3
	ds_read2_b32 v[20:21], v6 offset0:4 offset1:5
	ds_read2_b32 v[18:19], v6 offset0:6 offset1:7
	ds_read2_b32 v[16:17], v6 offset0:8 offset1:9
	ds_read2_b32 v[14:15], v6 offset0:10 offset1:11
	ds_read2_b32 v[12:13], v6 offset0:12 offset1:13
	ds_read_b32 v1, v6 offset:56
	s_waitcnt lgkmcnt(0)
	s_barrier
	flat_load_dword v7, v[8:9]
	flat_load_dword v31, v[8:9] offset:1024
	flat_load_dword v32, v[8:9] offset:2048
	flat_load_dword v33, v[8:9] offset:3072
	flat_load_dword v34, v[10:11]
	flat_load_dword v35, v[10:11] offset:1024
	flat_load_dword v36, v[10:11] offset:2048
	flat_load_dword v37, v[10:11] offset:3072
	;; [unrolled: 4-line block ×3, first 2 shown]
	flat_load_dword v42, v[28:29]
	flat_load_dword v43, v[28:29] offset:1024
	flat_load_dword v44, v[28:29] offset:2048
	v_mul_u32_u24_e32 v26, 15, v0
	s_waitcnt vmcnt(0) lgkmcnt(0)
	ds_write2st64_b32 v30, v7, v31 offset1:4
	ds_write2st64_b32 v30, v32, v33 offset0:8 offset1:12
	ds_write2st64_b32 v30, v34, v35 offset0:16 offset1:20
	;; [unrolled: 1-line block ×6, first 2 shown]
	ds_write_b32 v30, v44 offset:14336
	s_waitcnt lgkmcnt(0)
	s_barrier
	s_add_i32 s33, s33, s60
	s_cbranch_execz .LBB139_7
	s_branch .LBB139_54
.LBB139_6:
                                        ; implicit-def: $vgpr12_vgpr13
                                        ; implicit-def: $vgpr14_vgpr15
                                        ; implicit-def: $vgpr16_vgpr17
                                        ; implicit-def: $vgpr18_vgpr19
                                        ; implicit-def: $vgpr20_vgpr21
                                        ; implicit-def: $vgpr22_vgpr23
                                        ; implicit-def: $vgpr24_vgpr25
                                        ; implicit-def: $vgpr26
                                        ; implicit-def: $vgpr6
                                        ; implicit-def: $vgpr1
	s_andn2_b64 vcc, exec, s[4:5]
	s_add_i32 s33, s33, s60
	s_cbranch_vccnz .LBB139_54
.LBB139_7:
	v_cmp_gt_u32_e32 vcc, s33, v0
                                        ; implicit-def: $vgpr1
	s_and_saveexec_b64 s[8:9], vcc
	s_cbranch_execz .LBB139_9
; %bb.8:
	v_lshlrev_b32_e32 v1, 2, v0
	v_add_co_u32_e64 v6, s[4:5], v2, v1
	v_addc_co_u32_e64 v7, s[4:5], 0, v3, s[4:5]
	flat_load_dword v1, v[6:7]
.LBB139_9:
	s_or_b64 exec, exec, s[8:9]
	v_or_b32_e32 v6, 0x100, v0
	v_cmp_gt_u32_e64 s[8:9], s33, v6
                                        ; implicit-def: $vgpr6
	s_and_saveexec_b64 s[10:11], s[8:9]
	s_cbranch_execz .LBB139_11
; %bb.10:
	v_lshlrev_b32_e32 v6, 2, v0
	v_add_co_u32_e64 v6, s[4:5], v2, v6
	v_addc_co_u32_e64 v7, s[4:5], 0, v3, s[4:5]
	flat_load_dword v6, v[6:7] offset:1024
.LBB139_11:
	s_or_b64 exec, exec, s[10:11]
	v_or_b32_e32 v7, 0x200, v0
	v_cmp_gt_u32_e64 s[10:11], s33, v7
                                        ; implicit-def: $vgpr12
	s_and_saveexec_b64 s[12:13], s[10:11]
	s_cbranch_execz .LBB139_13
; %bb.12:
	v_lshlrev_b32_e32 v7, 2, v0
	v_add_co_u32_e64 v8, s[4:5], v2, v7
	v_addc_co_u32_e64 v9, s[4:5], 0, v3, s[4:5]
	flat_load_dword v12, v[8:9] offset:2048
.LBB139_13:
	s_or_b64 exec, exec, s[12:13]
	v_or_b32_e32 v7, 0x300, v0
	v_cmp_gt_u32_e64 s[12:13], s33, v7
                                        ; implicit-def: $vgpr13
	s_and_saveexec_b64 s[14:15], s[12:13]
	s_cbranch_execz .LBB139_15
; %bb.14:
	v_lshlrev_b32_e32 v7, 2, v0
	v_add_co_u32_e64 v8, s[4:5], v2, v7
	v_addc_co_u32_e64 v9, s[4:5], 0, v3, s[4:5]
	flat_load_dword v13, v[8:9] offset:3072
.LBB139_15:
	s_or_b64 exec, exec, s[14:15]
	v_or_b32_e32 v7, 0x400, v0
	v_cmp_gt_u32_e64 s[14:15], s33, v7
                                        ; implicit-def: $vgpr14
	s_and_saveexec_b64 s[16:17], s[14:15]
	s_cbranch_execz .LBB139_17
; %bb.16:
	v_lshlrev_b32_e32 v8, 2, v7
	v_add_co_u32_e64 v8, s[4:5], v2, v8
	v_addc_co_u32_e64 v9, s[4:5], 0, v3, s[4:5]
	flat_load_dword v14, v[8:9]
.LBB139_17:
	s_or_b64 exec, exec, s[16:17]
	v_or_b32_e32 v8, 0x500, v0
	v_cmp_gt_u32_e64 s[16:17], s33, v8
                                        ; implicit-def: $vgpr15
	s_and_saveexec_b64 s[18:19], s[16:17]
	s_cbranch_execz .LBB139_19
; %bb.18:
	v_lshlrev_b32_e32 v9, 2, v8
	v_add_co_u32_e64 v10, s[4:5], v2, v9
	v_addc_co_u32_e64 v11, s[4:5], 0, v3, s[4:5]
	flat_load_dword v15, v[10:11]
.LBB139_19:
	s_or_b64 exec, exec, s[18:19]
	v_or_b32_e32 v9, 0x600, v0
	v_cmp_gt_u32_e64 s[18:19], s33, v9
                                        ; implicit-def: $vgpr16
	s_and_saveexec_b64 s[20:21], s[18:19]
	s_cbranch_execz .LBB139_21
; %bb.20:
	v_lshlrev_b32_e32 v10, 2, v9
	v_add_co_u32_e64 v10, s[4:5], v2, v10
	v_addc_co_u32_e64 v11, s[4:5], 0, v3, s[4:5]
	flat_load_dword v16, v[10:11]
.LBB139_21:
	s_or_b64 exec, exec, s[20:21]
	v_or_b32_e32 v10, 0x700, v0
	v_cmp_gt_u32_e64 s[20:21], s33, v10
                                        ; implicit-def: $vgpr17
	s_and_saveexec_b64 s[22:23], s[20:21]
	s_cbranch_execz .LBB139_23
; %bb.22:
	v_lshlrev_b32_e32 v11, 2, v10
	v_add_co_u32_e64 v18, s[4:5], v2, v11
	v_addc_co_u32_e64 v19, s[4:5], 0, v3, s[4:5]
	flat_load_dword v17, v[18:19]
.LBB139_23:
	s_or_b64 exec, exec, s[22:23]
	v_or_b32_e32 v11, 0x800, v0
	v_cmp_gt_u32_e64 s[22:23], s33, v11
                                        ; implicit-def: $vgpr18
	s_and_saveexec_b64 s[24:25], s[22:23]
	s_cbranch_execz .LBB139_25
; %bb.24:
	v_lshlrev_b32_e32 v18, 2, v11
	v_add_co_u32_e64 v18, s[4:5], v2, v18
	v_addc_co_u32_e64 v19, s[4:5], 0, v3, s[4:5]
	flat_load_dword v18, v[18:19]
.LBB139_25:
	s_or_b64 exec, exec, s[24:25]
	v_or_b32_e32 v26, 0x900, v0
	v_cmp_gt_u32_e64 s[24:25], s33, v26
                                        ; implicit-def: $vgpr19
	s_and_saveexec_b64 s[26:27], s[24:25]
	s_cbranch_execz .LBB139_27
; %bb.26:
	v_lshlrev_b32_e32 v19, 2, v26
	v_add_co_u32_e64 v20, s[4:5], v2, v19
	v_addc_co_u32_e64 v21, s[4:5], 0, v3, s[4:5]
	flat_load_dword v19, v[20:21]
.LBB139_27:
	s_or_b64 exec, exec, s[26:27]
	v_or_b32_e32 v27, 0xa00, v0
	v_cmp_gt_u32_e64 s[26:27], s33, v27
                                        ; implicit-def: $vgpr20
	s_and_saveexec_b64 s[28:29], s[26:27]
	s_cbranch_execz .LBB139_29
; %bb.28:
	v_lshlrev_b32_e32 v20, 2, v27
	v_add_co_u32_e64 v20, s[4:5], v2, v20
	v_addc_co_u32_e64 v21, s[4:5], 0, v3, s[4:5]
	flat_load_dword v20, v[20:21]
.LBB139_29:
	s_or_b64 exec, exec, s[28:29]
	v_or_b32_e32 v28, 0xb00, v0
	v_cmp_gt_u32_e64 s[28:29], s33, v28
                                        ; implicit-def: $vgpr21
	s_and_saveexec_b64 s[30:31], s[28:29]
	s_cbranch_execz .LBB139_31
; %bb.30:
	v_lshlrev_b32_e32 v21, 2, v28
	v_add_co_u32_e64 v22, s[4:5], v2, v21
	v_addc_co_u32_e64 v23, s[4:5], 0, v3, s[4:5]
	flat_load_dword v21, v[22:23]
.LBB139_31:
	s_or_b64 exec, exec, s[30:31]
	v_or_b32_e32 v29, 0xc00, v0
	v_cmp_gt_u32_e64 s[30:31], s33, v29
                                        ; implicit-def: $vgpr22
	s_and_saveexec_b64 s[34:35], s[30:31]
	s_cbranch_execz .LBB139_33
; %bb.32:
	v_lshlrev_b32_e32 v22, 2, v29
	v_add_co_u32_e64 v22, s[4:5], v2, v22
	v_addc_co_u32_e64 v23, s[4:5], 0, v3, s[4:5]
	flat_load_dword v22, v[22:23]
.LBB139_33:
	s_or_b64 exec, exec, s[34:35]
	v_or_b32_e32 v30, 0xd00, v0
	v_cmp_gt_u32_e64 s[34:35], s33, v30
                                        ; implicit-def: $vgpr23
	s_and_saveexec_b64 s[36:37], s[34:35]
	s_cbranch_execz .LBB139_35
; %bb.34:
	v_lshlrev_b32_e32 v23, 2, v30
	v_add_co_u32_e64 v24, s[4:5], v2, v23
	v_addc_co_u32_e64 v25, s[4:5], 0, v3, s[4:5]
	flat_load_dword v23, v[24:25]
.LBB139_35:
	s_or_b64 exec, exec, s[36:37]
	v_or_b32_e32 v31, 0xe00, v0
	v_cmp_gt_u32_e64 s[36:37], s33, v31
                                        ; implicit-def: $vgpr24
	s_and_saveexec_b64 s[42:43], s[36:37]
	s_cbranch_execz .LBB139_37
; %bb.36:
	v_lshlrev_b32_e32 v24, 2, v31
	v_add_co_u32_e64 v24, s[4:5], v2, v24
	v_addc_co_u32_e64 v25, s[4:5], 0, v3, s[4:5]
	flat_load_dword v24, v[24:25]
.LBB139_37:
	s_or_b64 exec, exec, s[42:43]
	v_lshlrev_b32_e32 v32, 2, v0
	s_waitcnt vmcnt(0) lgkmcnt(0)
	ds_write2st64_b32 v32, v1, v6 offset1:4
	ds_write2st64_b32 v32, v12, v13 offset0:8 offset1:12
	ds_write2st64_b32 v32, v14, v15 offset0:16 offset1:20
	;; [unrolled: 1-line block ×6, first 2 shown]
	ds_write_b32 v32, v24 offset:14336
	v_mad_u32_u24 v6, v0, 56, v32
	s_waitcnt lgkmcnt(0)
	s_barrier
	ds_read2_b32 v[24:25], v6 offset1:1
	ds_read2_b32 v[22:23], v6 offset0:2 offset1:3
	ds_read2_b32 v[20:21], v6 offset0:4 offset1:5
	;; [unrolled: 1-line block ×6, first 2 shown]
	ds_read_b32 v1, v6 offset:56
	s_waitcnt lgkmcnt(0)
	s_barrier
	s_waitcnt lgkmcnt(0)
                                        ; implicit-def: $vgpr33
	s_and_saveexec_b64 s[4:5], vcc
	s_cbranch_execz .LBB139_60
; %bb.38:
	v_add_co_u32_e32 v34, vcc, v4, v32
	v_addc_co_u32_e32 v35, vcc, 0, v5, vcc
	flat_load_dword v33, v[34:35]
	s_or_b64 exec, exec, s[4:5]
                                        ; implicit-def: $vgpr34
	s_and_saveexec_b64 s[4:5], s[8:9]
	s_cbranch_execnz .LBB139_61
.LBB139_39:
	s_or_b64 exec, exec, s[4:5]
                                        ; implicit-def: $vgpr35
	s_and_saveexec_b64 s[4:5], s[10:11]
	s_cbranch_execz .LBB139_62
.LBB139_40:
	v_add_co_u32_e32 v36, vcc, v4, v32
	v_addc_co_u32_e32 v37, vcc, 0, v5, vcc
	flat_load_dword v35, v[36:37] offset:2048
	s_or_b64 exec, exec, s[4:5]
                                        ; implicit-def: $vgpr36
	s_and_saveexec_b64 s[4:5], s[12:13]
	s_cbranch_execnz .LBB139_63
.LBB139_41:
	s_or_b64 exec, exec, s[4:5]
                                        ; implicit-def: $vgpr37
	s_and_saveexec_b64 s[4:5], s[14:15]
	s_cbranch_execz .LBB139_64
.LBB139_42:
	v_lshlrev_b32_e32 v7, 2, v7
	v_add_co_u32_e32 v38, vcc, v4, v7
	v_addc_co_u32_e32 v39, vcc, 0, v5, vcc
	flat_load_dword v37, v[38:39]
	s_or_b64 exec, exec, s[4:5]
                                        ; implicit-def: $vgpr7
	s_and_saveexec_b64 s[4:5], s[16:17]
	s_cbranch_execnz .LBB139_65
.LBB139_43:
	s_or_b64 exec, exec, s[4:5]
                                        ; implicit-def: $vgpr8
	s_and_saveexec_b64 s[4:5], s[18:19]
	s_cbranch_execz .LBB139_66
.LBB139_44:
	v_lshlrev_b32_e32 v8, 2, v9
	v_add_co_u32_e32 v8, vcc, v4, v8
	v_addc_co_u32_e32 v9, vcc, 0, v5, vcc
	flat_load_dword v8, v[8:9]
	s_or_b64 exec, exec, s[4:5]
                                        ; implicit-def: $vgpr9
	s_and_saveexec_b64 s[4:5], s[20:21]
	s_cbranch_execnz .LBB139_67
.LBB139_45:
	s_or_b64 exec, exec, s[4:5]
                                        ; implicit-def: $vgpr10
	s_and_saveexec_b64 s[4:5], s[22:23]
	s_cbranch_execz .LBB139_68
.LBB139_46:
	v_lshlrev_b32_e32 v10, 2, v11
	v_add_co_u32_e32 v10, vcc, v4, v10
	v_addc_co_u32_e32 v11, vcc, 0, v5, vcc
	flat_load_dword v10, v[10:11]
	s_or_b64 exec, exec, s[4:5]
                                        ; implicit-def: $vgpr11
	s_and_saveexec_b64 s[4:5], s[24:25]
	s_cbranch_execnz .LBB139_69
.LBB139_47:
	s_or_b64 exec, exec, s[4:5]
                                        ; implicit-def: $vgpr38
	s_and_saveexec_b64 s[4:5], s[26:27]
	s_cbranch_execz .LBB139_70
.LBB139_48:
	v_lshlrev_b32_e32 v26, 2, v27
	v_add_co_u32_e32 v26, vcc, v4, v26
	v_addc_co_u32_e32 v27, vcc, 0, v5, vcc
	flat_load_dword v38, v[26:27]
	s_or_b64 exec, exec, s[4:5]
                                        ; implicit-def: $vgpr27
	s_and_saveexec_b64 s[4:5], s[28:29]
	s_cbranch_execnz .LBB139_71
.LBB139_49:
	s_or_b64 exec, exec, s[4:5]
                                        ; implicit-def: $vgpr28
	s_and_saveexec_b64 s[4:5], s[30:31]
	s_cbranch_execz .LBB139_72
.LBB139_50:
	v_lshlrev_b32_e32 v26, 2, v29
	v_add_co_u32_e32 v28, vcc, v4, v26
	v_addc_co_u32_e32 v29, vcc, 0, v5, vcc
	flat_load_dword v28, v[28:29]
	s_or_b64 exec, exec, s[4:5]
                                        ; implicit-def: $vgpr29
	s_and_saveexec_b64 s[4:5], s[34:35]
	s_cbranch_execnz .LBB139_73
.LBB139_51:
	s_or_b64 exec, exec, s[4:5]
                                        ; implicit-def: $vgpr30
	s_and_saveexec_b64 s[4:5], s[36:37]
	s_cbranch_execz .LBB139_53
.LBB139_52:
	v_lshlrev_b32_e32 v26, 2, v31
	v_add_co_u32_e32 v4, vcc, v4, v26
	v_addc_co_u32_e32 v5, vcc, 0, v5, vcc
	flat_load_dword v30, v[4:5]
.LBB139_53:
	s_or_b64 exec, exec, s[4:5]
	v_mul_u32_u24_e32 v26, 15, v0
	s_waitcnt vmcnt(0) lgkmcnt(0)
	ds_write2st64_b32 v32, v33, v34 offset1:4
	ds_write2st64_b32 v32, v35, v36 offset0:8 offset1:12
	ds_write2st64_b32 v32, v37, v7 offset0:16 offset1:20
	;; [unrolled: 1-line block ×6, first 2 shown]
	ds_write_b32 v32, v30 offset:14336
	s_waitcnt lgkmcnt(0)
	s_barrier
.LBB139_54:
	v_lshlrev_b32_e32 v4, 2, v26
	ds_read2_b32 v[50:51], v6 offset1:2
	ds_read2_b32 v[46:47], v6 offset0:4 offset1:6
	ds_read2_b32 v[44:45], v6 offset0:8 offset1:10
	;; [unrolled: 1-line block ×6, first 2 shown]
	ds_read_b32 v59, v4 offset:52
	s_cmp_eq_u64 s[44:45], 0
	s_cselect_b64 s[42:43], -1, 0
	s_cmp_lg_u64 s[44:45], 0
	s_mov_b64 s[4:5], 0
	s_cselect_b64 s[10:11], -1, 0
	s_and_b64 vcc, exec, s[52:53]
	s_waitcnt lgkmcnt(0)
	s_barrier
	s_cbranch_vccz .LBB139_74
; %bb.55:
	s_and_b64 vcc, exec, s[10:11]
	s_cbranch_vccz .LBB139_114
; %bb.56:
	v_add_co_u32_e32 v4, vcc, -4, v2
	v_addc_co_u32_e32 v5, vcc, -1, v3, vcc
	flat_load_dword v4, v[4:5]
	v_lshlrev_b32_e32 v5, 2, v0
	ds_write_b32 v5, v1
	s_waitcnt lgkmcnt(0)
	s_barrier
	s_and_saveexec_b64 s[4:5], s[6:7]
	s_cbranch_execz .LBB139_58
; %bb.57:
	s_waitcnt vmcnt(0)
	v_add_u32_e32 v4, -4, v5
	ds_read_b32 v4, v4
.LBB139_58:
	s_or_b64 exec, exec, s[4:5]
	v_cvt_i32_f32_e32 v5, v13
	s_mov_b32 s4, 0x66666667
	v_cvt_i32_f32_e32 v6, v12
	v_cvt_i32_f32_e32 v11, v16
	v_mul_hi_i32 v5, v5, s4
	v_lshrrev_b32_e32 v7, 31, v5
	v_ashrrev_i32_e32 v5, 2, v5
	v_add_u32_e32 v5, v5, v7
	v_cvt_i32_f32_e32 v7, v1
	v_mul_hi_i32 v6, v6, s4
	v_lshrrev_b32_e32 v8, 31, v6
	v_ashrrev_i32_e32 v6, 2, v6
	v_mul_hi_i32 v7, v7, s4
	v_add_u32_e32 v6, v6, v8
	v_cvt_i32_f32_e32 v8, v15
	v_lshrrev_b32_e32 v9, 31, v7
	v_ashrrev_i32_e32 v7, 2, v7
	v_add_u32_e32 v7, v7, v9
	v_cvt_i32_f32_e32 v9, v17
	v_mul_hi_i32 v8, v8, s4
	v_lshrrev_b32_e32 v10, 31, v8
	v_ashrrev_i32_e32 v8, 2, v8
	v_mul_hi_i32 v9, v9, s4
	v_add_u32_e32 v8, v8, v10
	v_lshrrev_b32_e32 v10, 31, v9
	v_ashrrev_i32_e32 v9, 2, v9
	v_add_u32_e32 v9, v9, v10
	v_cvt_i32_f32_e32 v10, v14
	v_mul_hi_i32 v11, v11, s4
	v_lshrrev_b32_e32 v26, 31, v11
	v_ashrrev_i32_e32 v11, 2, v11
	v_mul_hi_i32 v10, v10, s4
	v_add_u32_e32 v11, v11, v26
	v_cvt_i32_f32_e32 v26, v19
	v_lshrrev_b32_e32 v27, 31, v10
	v_ashrrev_i32_e32 v10, 2, v10
	v_add_u32_e32 v10, v10, v27
	v_cvt_i32_f32_e32 v27, v21
	v_mul_hi_i32 v26, v26, s4
	v_lshrrev_b32_e32 v28, 31, v26
	v_ashrrev_i32_e32 v26, 2, v26
	v_mul_hi_i32 v27, v27, s4
	v_add_u32_e32 v26, v26, v28
	v_lshrrev_b32_e32 v28, 31, v27
	v_cvt_i32_f32_e32 v29, v20
	v_ashrrev_i32_e32 v27, 2, v27
	v_add_u32_e32 v27, v27, v28
	v_cvt_i32_f32_e32 v28, v18
	v_mul_hi_i32 v29, v29, s4
	v_lshrrev_b32_e32 v30, 31, v29
	v_ashrrev_i32_e32 v29, 2, v29
	v_mul_hi_i32 v28, v28, s4
	v_add_u32_e32 v29, v29, v30
	v_cvt_i32_f32_e32 v30, v23
	v_lshrrev_b32_e32 v31, 31, v28
	v_ashrrev_i32_e32 v28, 2, v28
	v_add_u32_e32 v28, v28, v31
	v_cvt_i32_f32_e32 v31, v25
	v_mul_hi_i32 v30, v30, s4
	v_lshrrev_b32_e32 v32, 31, v30
	v_ashrrev_i32_e32 v30, 2, v30
	v_mul_hi_i32 v31, v31, s4
	v_add_u32_e32 v30, v30, v32
	v_lshrrev_b32_e32 v32, 31, v31
	v_cvt_i32_f32_e32 v33, v24
	v_ashrrev_i32_e32 v31, 2, v31
	v_add_u32_e32 v31, v31, v32
	v_cvt_i32_f32_e32 v32, v22
	v_mul_hi_i32 v33, v33, s4
	v_lshrrev_b32_e32 v34, 31, v33
	v_ashrrev_i32_e32 v33, 2, v33
	v_mul_hi_i32 v32, v32, s4
	v_add_u32_e32 v38, v33, v34
	v_lshrrev_b32_e32 v33, 31, v32
	v_ashrrev_i32_e32 v32, 2, v32
	v_add_u32_e32 v32, v32, v33
	v_cmp_ne_u32_e32 vcc, v31, v38
	v_cndmask_b32_e64 v39, 0, 1, vcc
	v_cmp_ne_u32_e32 vcc, v31, v32
	v_cndmask_b32_e64 v36, 0, 1, vcc
	;; [unrolled: 2-line block ×8, first 2 shown]
	v_cmp_ne_u32_e32 vcc, v9, v11
	s_waitcnt vmcnt(0) lgkmcnt(0)
	v_cvt_i32_f32_e32 v4, v4
	v_cndmask_b32_e64 v31, 0, 1, vcc
	v_cmp_ne_u32_e32 vcc, v9, v10
	v_cndmask_b32_e64 v28, 0, 1, vcc
	v_cmp_ne_u32_e32 vcc, v10, v8
	;; [unrolled: 2-line block ×4, first 2 shown]
	v_mul_hi_i32 v4, v4, s4
	v_cndmask_b32_e64 v27, 0, 1, vcc
	v_cmp_ne_u32_e32 vcc, v5, v7
	v_lshrrev_b32_e32 v5, 31, v4
	v_ashrrev_i32_e32 v4, 2, v4
	v_add_u32_e32 v4, v4, v5
	v_cndmask_b32_e64 v58, 0, 1, vcc
	v_cmp_ne_u32_e64 s[12:13], v4, v38
	s_mov_b64 s[4:5], -1
.LBB139_59:
                                        ; implicit-def: $sgpr14
	s_branch .LBB139_75
.LBB139_60:
	s_or_b64 exec, exec, s[4:5]
                                        ; implicit-def: $vgpr34
	s_and_saveexec_b64 s[4:5], s[8:9]
	s_cbranch_execz .LBB139_39
.LBB139_61:
	v_add_co_u32_e32 v34, vcc, v4, v32
	v_addc_co_u32_e32 v35, vcc, 0, v5, vcc
	flat_load_dword v34, v[34:35] offset:1024
	s_or_b64 exec, exec, s[4:5]
                                        ; implicit-def: $vgpr35
	s_and_saveexec_b64 s[4:5], s[10:11]
	s_cbranch_execnz .LBB139_40
.LBB139_62:
	s_or_b64 exec, exec, s[4:5]
                                        ; implicit-def: $vgpr36
	s_and_saveexec_b64 s[4:5], s[12:13]
	s_cbranch_execz .LBB139_41
.LBB139_63:
	v_add_co_u32_e32 v36, vcc, v4, v32
	v_addc_co_u32_e32 v37, vcc, 0, v5, vcc
	flat_load_dword v36, v[36:37] offset:3072
	s_or_b64 exec, exec, s[4:5]
                                        ; implicit-def: $vgpr37
	s_and_saveexec_b64 s[4:5], s[14:15]
	s_cbranch_execnz .LBB139_42
.LBB139_64:
	s_or_b64 exec, exec, s[4:5]
                                        ; implicit-def: $vgpr7
	s_and_saveexec_b64 s[4:5], s[16:17]
	s_cbranch_execz .LBB139_43
.LBB139_65:
	v_lshlrev_b32_e32 v7, 2, v8
	v_add_co_u32_e32 v38, vcc, v4, v7
	v_addc_co_u32_e32 v39, vcc, 0, v5, vcc
	flat_load_dword v7, v[38:39]
	s_or_b64 exec, exec, s[4:5]
                                        ; implicit-def: $vgpr8
	s_and_saveexec_b64 s[4:5], s[18:19]
	s_cbranch_execnz .LBB139_44
.LBB139_66:
	s_or_b64 exec, exec, s[4:5]
                                        ; implicit-def: $vgpr9
	s_and_saveexec_b64 s[4:5], s[20:21]
	s_cbranch_execz .LBB139_45
.LBB139_67:
	v_lshlrev_b32_e32 v9, 2, v10
	v_add_co_u32_e32 v38, vcc, v4, v9
	v_addc_co_u32_e32 v39, vcc, 0, v5, vcc
	flat_load_dword v9, v[38:39]
	s_or_b64 exec, exec, s[4:5]
                                        ; implicit-def: $vgpr10
	s_and_saveexec_b64 s[4:5], s[22:23]
	s_cbranch_execnz .LBB139_46
.LBB139_68:
	s_or_b64 exec, exec, s[4:5]
                                        ; implicit-def: $vgpr11
	s_and_saveexec_b64 s[4:5], s[24:25]
	s_cbranch_execz .LBB139_47
.LBB139_69:
	v_lshlrev_b32_e32 v11, 2, v26
	v_add_co_u32_e32 v38, vcc, v4, v11
	v_addc_co_u32_e32 v39, vcc, 0, v5, vcc
	flat_load_dword v11, v[38:39]
	s_or_b64 exec, exec, s[4:5]
                                        ; implicit-def: $vgpr38
	s_and_saveexec_b64 s[4:5], s[26:27]
	s_cbranch_execnz .LBB139_48
.LBB139_70:
	s_or_b64 exec, exec, s[4:5]
                                        ; implicit-def: $vgpr27
	s_and_saveexec_b64 s[4:5], s[28:29]
	s_cbranch_execz .LBB139_49
.LBB139_71:
	v_lshlrev_b32_e32 v26, 2, v28
	v_add_co_u32_e32 v26, vcc, v4, v26
	v_addc_co_u32_e32 v27, vcc, 0, v5, vcc
	flat_load_dword v27, v[26:27]
	s_or_b64 exec, exec, s[4:5]
                                        ; implicit-def: $vgpr28
	s_and_saveexec_b64 s[4:5], s[30:31]
	s_cbranch_execnz .LBB139_50
.LBB139_72:
	s_or_b64 exec, exec, s[4:5]
                                        ; implicit-def: $vgpr29
	s_and_saveexec_b64 s[4:5], s[34:35]
	s_cbranch_execz .LBB139_51
.LBB139_73:
	v_lshlrev_b32_e32 v26, 2, v30
	v_add_co_u32_e32 v40, vcc, v4, v26
	v_addc_co_u32_e32 v41, vcc, 0, v5, vcc
	flat_load_dword v29, v[40:41]
	s_or_b64 exec, exec, s[4:5]
                                        ; implicit-def: $vgpr30
	s_and_saveexec_b64 s[4:5], s[36:37]
	s_cbranch_execnz .LBB139_52
	s_branch .LBB139_53
.LBB139_74:
                                        ; implicit-def: $sgpr12_sgpr13
                                        ; implicit-def: $vgpr58
                                        ; implicit-def: $vgpr27
                                        ; implicit-def: $vgpr26
                                        ; implicit-def: $vgpr29
                                        ; implicit-def: $vgpr28
                                        ; implicit-def: $vgpr31
                                        ; implicit-def: $vgpr30
                                        ; implicit-def: $vgpr33
                                        ; implicit-def: $vgpr32
                                        ; implicit-def: $vgpr35
                                        ; implicit-def: $vgpr34
                                        ; implicit-def: $vgpr37
                                        ; implicit-def: $vgpr36
                                        ; implicit-def: $vgpr39
                                        ; implicit-def: $sgpr14
	s_cbranch_execnz .LBB139_118
.LBB139_75:
	v_mov_b32_e32 v38, s14
	s_and_saveexec_b64 s[6:7], s[4:5]
.LBB139_76:
	v_cndmask_b32_e64 v38, 0, 1, s[12:13]
.LBB139_77:
	s_or_b64 exec, exec, s[6:7]
	s_cmp_eq_u64 s[50:51], 0
	v_add3_u32 v2, v39, v38, v36
	s_mov_b64 s[44:45], 0
	s_cselect_b64 s[36:37], -1, 0
	s_cmp_lg_u32 s66, 0
	v_add_f32_e32 v78, v50, v52
	v_cmp_eq_u32_e64 s[30:31], 0, v39
	v_cmp_eq_u32_e64 s[28:29], 0, v36
	;; [unrolled: 1-line block ×3, first 2 shown]
	v_add3_u32 v77, v2, v37, v34
	v_cmp_eq_u32_e64 s[26:27], 0, v34
	v_cmp_eq_u32_e64 s[22:23], 0, v35
	;; [unrolled: 1-line block ×10, first 2 shown]
	v_cmp_eq_u32_e32 vcc, 0, v58
	v_mbcnt_lo_u32_b32 v76, -1, 0
	v_lshrrev_b32_e32 v74, 6, v0
	v_or_b32_e32 v75, 63, v0
	s_cbranch_scc0 .LBB139_112
; %bb.78:
	v_cndmask_b32_e64 v2, v52, v78, s[30:31]
	v_add_f32_e32 v2, v51, v2
	v_cndmask_b32_e64 v2, v51, v2, s[28:29]
	v_add_f32_e32 v2, v53, v2
	;; [unrolled: 2-line block ×11, first 2 shown]
	v_cndmask_b32_e64 v2, v40, v2, s[8:9]
	v_add3_u32 v3, v77, v35, v32
	v_add_f32_e32 v2, v59, v2
	v_add3_u32 v3, v3, v33, v30
	v_cndmask_b32_e64 v2, v59, v2, s[6:7]
	v_add3_u32 v3, v3, v31, v28
	v_add_f32_e32 v2, v41, v2
	v_add3_u32 v3, v3, v29, v26
	v_cndmask_b32_e32 v2, v41, v2, vcc
	v_add3_u32 v3, v3, v27, v58
	v_mbcnt_hi_u32_b32 v8, -1, v76
	v_mov_b32_dpp v6, v2 row_shr:1 row_mask:0xf bank_mask:0xf
	s_waitcnt vmcnt(0) lgkmcnt(0)
	v_and_b32_e32 v4, 15, v8
	v_add_f32_e32 v6, v2, v6
	v_cmp_eq_u32_e32 vcc, 0, v3
	v_mov_b32_dpp v5, v3 row_shr:1 row_mask:0xf bank_mask:0xf
	v_cndmask_b32_e32 v6, v2, v6, vcc
	v_cmp_eq_u32_e32 vcc, 0, v4
	v_cndmask_b32_e64 v5, v5, 0, vcc
	v_cndmask_b32_e32 v2, v6, v2, vcc
	v_add_u32_e32 v3, v5, v3
	v_cmp_eq_u32_e32 vcc, 0, v3
	v_mov_b32_dpp v6, v2 row_shr:2 row_mask:0xf bank_mask:0xf
	v_add_f32_e32 v6, v2, v6
	v_mov_b32_dpp v5, v3 row_shr:2 row_mask:0xf bank_mask:0xf
	v_cndmask_b32_e32 v6, v2, v6, vcc
	v_cmp_lt_u32_e32 vcc, 1, v4
	v_cndmask_b32_e32 v2, v2, v6, vcc
	v_cndmask_b32_e32 v5, 0, v5, vcc
	v_add_u32_e32 v3, v3, v5
	v_mov_b32_dpp v6, v2 row_shr:4 row_mask:0xf bank_mask:0xf
	v_add_f32_e32 v6, v2, v6
	v_cmp_eq_u32_e32 vcc, 0, v3
	v_mov_b32_dpp v5, v3 row_shr:4 row_mask:0xf bank_mask:0xf
	v_cndmask_b32_e32 v6, v2, v6, vcc
	v_cmp_lt_u32_e32 vcc, 3, v4
	v_cndmask_b32_e32 v2, v2, v6, vcc
	v_cndmask_b32_e32 v5, 0, v5, vcc
	v_add_u32_e32 v3, v5, v3
	v_mov_b32_dpp v6, v2 row_shr:8 row_mask:0xf bank_mask:0xf
	v_add_f32_e32 v6, v2, v6
	v_cmp_eq_u32_e32 vcc, 0, v3
	v_mov_b32_dpp v5, v3 row_shr:8 row_mask:0xf bank_mask:0xf
	v_cndmask_b32_e32 v6, v2, v6, vcc
	v_cmp_lt_u32_e32 vcc, 7, v4
	v_cndmask_b32_e32 v2, v2, v6, vcc
	v_cndmask_b32_e32 v4, 0, v5, vcc
	v_add_u32_e32 v3, v4, v3
	v_mov_b32_dpp v5, v2 row_bcast:15 row_mask:0xf bank_mask:0xf
	v_bfe_i32 v6, v8, 4, 1
	v_mov_b32_dpp v4, v3 row_bcast:15 row_mask:0xf bank_mask:0xf
	v_and_b32_e32 v7, 16, v8
	v_add_f32_e32 v5, v2, v5
	v_cmp_eq_u32_e32 vcc, 0, v3
	v_cndmask_b32_e32 v5, v2, v5, vcc
	v_and_b32_e32 v4, v6, v4
	v_cmp_eq_u32_e32 vcc, 0, v7
	v_add_u32_e32 v4, v4, v3
	v_cndmask_b32_e32 v3, v5, v2, vcc
	v_cmp_eq_u32_e32 vcc, 0, v4
	v_mov_b32_dpp v2, v4 row_bcast:31 row_mask:0xf bank_mask:0xf
	v_mov_b32_dpp v5, v3 row_bcast:31 row_mask:0xf bank_mask:0xf
	v_add_f32_e32 v5, v3, v5
	v_cndmask_b32_e32 v6, v3, v5, vcc
	v_cmp_lt_u32_e32 vcc, 31, v8
	v_cndmask_b32_e32 v2, 0, v2, vcc
	v_add_u32_e32 v2, v2, v4
	v_cmp_eq_u32_e64 s[4:5], v75, v0
	v_lshlrev_b32_e32 v5, 3, v74
	v_cndmask_b32_e32 v4, v3, v6, vcc
	s_and_saveexec_b64 s[34:35], s[4:5]
	s_cbranch_execz .LBB139_80
; %bb.79:
	v_cndmask_b32_e32 v3, v3, v6, vcc
	ds_write_b64 v5, v[2:3] offset:2064
.LBB139_80:
	s_or_b64 exec, exec, s[34:35]
	v_cmp_gt_u32_e32 vcc, 4, v0
	s_waitcnt lgkmcnt(0)
	s_barrier
	s_and_saveexec_b64 s[34:35], vcc
	s_cbranch_execz .LBB139_82
; %bb.81:
	v_lshlrev_b32_e32 v3, 3, v0
	ds_read_b64 v[6:7], v3 offset:2064
	v_and_b32_e32 v9, 3, v8
	v_cmp_lt_u32_e64 s[4:5], 1, v9
	s_waitcnt lgkmcnt(0)
	v_mov_b32_dpp v11, v7 row_shr:1 row_mask:0xf bank_mask:0xf
	v_add_f32_e32 v11, v7, v11
	v_cmp_eq_u32_e32 vcc, 0, v6
	v_mov_b32_dpp v10, v6 row_shr:1 row_mask:0xf bank_mask:0xf
	v_cndmask_b32_e32 v11, v7, v11, vcc
	v_cmp_eq_u32_e32 vcc, 0, v9
	v_cndmask_b32_e64 v10, v10, 0, vcc
	v_add_u32_e32 v6, v10, v6
	v_cndmask_b32_e32 v7, v11, v7, vcc
	v_cmp_eq_u32_e32 vcc, 0, v6
	v_mov_b32_dpp v10, v6 row_shr:2 row_mask:0xf bank_mask:0xf
	v_mov_b32_dpp v11, v7 row_shr:2 row_mask:0xf bank_mask:0xf
	v_add_f32_e32 v11, v7, v11
	v_cndmask_b32_e64 v9, 0, v10, s[4:5]
	s_and_b64 vcc, s[4:5], vcc
	v_add_u32_e32 v6, v9, v6
	v_cndmask_b32_e32 v7, v7, v11, vcc
	ds_write_b64 v3, v[6:7] offset:2064
.LBB139_82:
	s_or_b64 exec, exec, s[34:35]
	v_cmp_gt_u32_e32 vcc, 64, v0
	v_cmp_lt_u32_e64 s[4:5], 63, v0
	v_mov_b32_e32 v54, 0
	v_mov_b32_e32 v55, 0
	s_waitcnt lgkmcnt(0)
	s_barrier
	s_and_saveexec_b64 s[34:35], s[4:5]
	s_cbranch_execz .LBB139_84
; %bb.83:
	ds_read_b64 v[54:55], v5 offset:2056
	v_cmp_eq_u32_e64 s[4:5], 0, v2
	s_waitcnt lgkmcnt(0)
	v_add_u32_e32 v3, v54, v2
	v_add_f32_e32 v5, v4, v55
	v_cndmask_b32_e64 v4, v4, v5, s[4:5]
	v_mov_b32_e32 v2, v3
.LBB139_84:
	s_or_b64 exec, exec, s[34:35]
	v_add_u32_e32 v3, -1, v8
	v_and_b32_e32 v5, 64, v8
	v_cmp_lt_i32_e64 s[4:5], v3, v5
	v_cndmask_b32_e64 v3, v3, v8, s[4:5]
	v_lshlrev_b32_e32 v3, 2, v3
	ds_bpermute_b32 v79, v3, v2
	ds_bpermute_b32 v80, v3, v4
	v_cmp_eq_u32_e64 s[34:35], 0, v8
	s_mov_b64 s[52:53], -1
	s_mov_b64 s[4:5], 0
	s_and_saveexec_b64 s[50:51], vcc
                                        ; implicit-def: $vgpr3_vgpr4_vgpr5
	s_cbranch_execz .LBB139_206
; %bb.85:
	v_mov_b32_e32 v7, 0
	ds_read_b64 v[2:3], v7 offset:2088
	s_waitcnt lgkmcnt(0)
	v_readfirstlane_b32 s60, v3
	s_and_saveexec_b64 s[4:5], s[34:35]
	s_cbranch_execz .LBB139_87
; %bb.86:
	s_add_i32 s52, s66, 64
	s_mov_b32 s53, 0
	s_lshl_b64 s[54:55], s[52:53], 4
	s_add_u32 s54, s48, s54
	s_addc_u32 s55, s49, s55
	s_and_b32 s69, s60, 0xff000000
	s_mov_b32 s68, s53
	s_and_b32 s71, s60, 0xff0000
	s_mov_b32 s70, s53
	s_or_b64 s[68:69], s[70:71], s[68:69]
	s_and_b32 s71, s60, 0xff00
	s_or_b64 s[68:69], s[68:69], s[70:71]
	s_and_b32 s71, s60, 0xff
	s_or_b64 s[52:53], s[68:69], s[70:71]
	v_mov_b32_e32 v5, s53
	v_mov_b32_e32 v6, 1
	;; [unrolled: 1-line block ×3, first 2 shown]
	v_pk_mov_b32 v[10:11], s[54:55], s[54:55] op_sel:[0,1]
	;;#ASMSTART
	global_store_dwordx4 v[10:11], v[4:7] off	
s_waitcnt vmcnt(0)
	;;#ASMEND
.LBB139_87:
	s_or_b64 exec, exec, s[4:5]
	v_xad_u32 v56, v8, -1, s66
	v_add_u32_e32 v6, 64, v56
	v_lshlrev_b64 v[4:5], 4, v[6:7]
	buffer_store_dword v7, off, s[0:3], 0
	buffer_store_dword v7, off, s[0:3], 0 offset:4
	buffer_store_dword v7, off, s[0:3], 0 offset:8
	;; [unrolled: 1-line block ×7, first 2 shown]
	v_mov_b32_e32 v6, s49
	v_add_co_u32_e32 v4, vcc, s48, v4
	s_mov_b32 s4, 0x70605
	v_addc_co_u32_e32 v5, vcc, v6, v5, vcc
	;;#ASMSTART
	global_load_dwordx4 v[8:11], v[4:5] off glc	
s_waitcnt vmcnt(0)
	;;#ASMEND
	v_perm_b32 v6, v9, v10, s4
	s_mov_b32 s4, 0x1000706
	v_perm_b32 v57, v9, v10, s4
	s_mov_b32 s4, 0x2010007
	v_perm_b32 v60, v9, v10, s4
	v_lshlrev_b32_e32 v6, 8, v6
	s_mov_b32 s4, 0xc0c0500
	v_alignbit_b32 v11, v9, v8, 8
	v_alignbit_b32 v63, v9, v8, 16
	;; [unrolled: 1-line block ×3, first 2 shown]
	v_perm_b32 v6, v6, v9, s4
	v_lshlrev_b32_e32 v9, 16, v57
	v_and_b32_e32 v9, 0xff0000, v9
	v_lshlrev_b32_e32 v57, 24, v60
	v_or3_b32 v9, v6, v9, v57
	v_cmp_eq_u16_sdwa s[52:53], v10, v7 src0_sel:BYTE_0 src1_sel:DWORD
	s_and_saveexec_b64 s[4:5], s[52:53]
	s_cbranch_execz .LBB139_93
; %bb.88:
	s_mov_b32 s54, 1
	s_mov_b64 s[52:53], 0
	v_mov_b32_e32 v6, 0
.LBB139_89:                             ; =>This Loop Header: Depth=1
                                        ;     Child Loop BB139_90 Depth 2
	s_max_u32 s55, s54, 1
.LBB139_90:                             ;   Parent Loop BB139_89 Depth=1
                                        ; =>  This Inner Loop Header: Depth=2
	s_add_i32 s55, s55, -1
	s_cmp_eq_u32 s55, 0
	s_sleep 1
	s_cbranch_scc0 .LBB139_90
; %bb.91:                               ;   in Loop: Header=BB139_89 Depth=1
	s_cmp_lt_u32 s54, 32
	s_cselect_b64 s[68:69], -1, 0
	s_cmp_lg_u64 s[68:69], 0
	s_addc_u32 s54, s54, 0
	;;#ASMSTART
	global_load_dwordx4 v[8:11], v[4:5] off glc	
s_waitcnt vmcnt(0)
	;;#ASMEND
	v_cmp_ne_u16_sdwa s[68:69], v10, v6 src0_sel:BYTE_0 src1_sel:DWORD
	s_or_b64 s[52:53], s[68:69], s[52:53]
	s_andn2_b64 exec, exec, s[52:53]
	s_cbranch_execnz .LBB139_89
; %bb.92:
	s_or_b64 exec, exec, s[52:53]
	s_mov_b32 s52, 0x70605
	v_perm_b32 v4, v9, v10, s52
	s_mov_b32 s52, 0x1000706
	v_perm_b32 v5, v9, v10, s52
	;; [unrolled: 2-line block ×3, first 2 shown]
	v_lshlrev_b32_e32 v4, 8, v4
	s_mov_b32 s52, 0xc0c0500
	v_lshlrev_b32_e32 v5, 16, v5
	v_perm_b32 v4, v4, v9, s52
	v_lshlrev_b32_e32 v6, 24, v6
	v_and_b32_e32 v5, 0xff0000, v5
	v_alignbit_b32 v11, v9, v8, 8
	v_alignbit_b32 v63, v9, v8, 16
	;; [unrolled: 1-line block ×3, first 2 shown]
	v_or3_b32 v9, v4, v5, v6
.LBB139_93:
	s_or_b64 exec, exec, s[4:5]
	s_mov_b32 s54, 0
	s_mov_b32 s67, 0x4020c0c
	s_movk_i32 s68, 0xff
	v_mov_b32_e32 v61, 0
	v_mov_b32_e32 v5, 0
	s_mov_b32 s69, 0x70605
	s_mov_b32 s70, 0x1000706
	s_mov_b32 s71, 0x2010007
	s_mov_b32 s72, 0xc0c0500
	v_mov_b32_e32 v62, 2
	s_branch .LBB139_95
.LBB139_94:                             ;   in Loop: Header=BB139_95 Depth=1
	s_or_b64 exec, exec, s[52:53]
	s_add_i32 s54, s61, 1
	v_subrev_u32_e32 v56, 64, v4
	s_cbranch_execz .LBB139_103
.LBB139_95:                             ; =>This Loop Header: Depth=1
                                        ;     Child Loop BB139_98 Depth 2
                                        ;       Child Loop BB139_99 Depth 3
	v_mov_b32_e32 v6, v10
	v_cmp_ne_u16_sdwa s[4:5], v6, v62 src0_sel:BYTE_0 src1_sel:DWORD
	v_cmp_ne_u16_sdwa s[52:53], v6, s68 src0_sel:BYTE_0 src1_sel:DWORD
	s_and_b64 s[52:53], s[4:5], s[52:53]
	v_lshlrev_b32_e32 v10, 8, v11
	v_cndmask_b32_e64 v11, 0, 1, s[52:53]
	;;#ASMSTART
	;;#ASMEND
	v_cmp_ne_u32_e32 vcc, 0, v11
	s_cmp_eq_u64 vcc, exec
	s_cselect_b64 s[52:53], -1, 0
	s_cmp_lt_u32 s54, 4
	s_mov_b32 s61, s54
	v_mov_b32_e32 v7, v9
	v_lshlrev_b32_e32 v9, 16, v63
	s_cselect_b64 s[54:55], -1, 0
	v_perm_b32 v9, v64, v9, s67
	v_and_b32_e32 v10, 0xff00, v10
	v_and_b32_e32 v8, 0xff, v8
	s_and_b64 s[52:53], s[52:53], s[54:55]
	v_mov_b32_e32 v4, v56
	s_andn2_b64 vcc, exec, s[52:53]
	v_or3_b32 v60, v9, v10, v8
	s_cbranch_vccnz .LBB139_102
; %bb.96:                               ;   in Loop: Header=BB139_95 Depth=1
	s_lshl_b32 s52, s61, 3
	v_add_u32_e32 v8, s52, v61
	buffer_store_dword v60, v8, s[0:3], 0 offen
	buffer_store_dword v7, v8, s[0:3], 0 offen offset:4
	v_lshlrev_b64 v[8:9], 4, v[4:5]
	v_mov_b32_e32 v10, s49
	v_add_co_u32_e32 v56, vcc, s48, v8
	v_addc_co_u32_e32 v57, vcc, v10, v9, vcc
	;;#ASMSTART
	global_load_dwordx4 v[8:11], v[56:57] off glc	
s_waitcnt vmcnt(0)
	;;#ASMEND
	v_perm_b32 v65, v9, v10, s69
	v_perm_b32 v66, v9, v10, s70
	v_lshlrev_b32_e32 v65, 8, v65
	v_alignbit_b32 v11, v9, v8, 8
	v_alignbit_b32 v63, v9, v8, 16
	;; [unrolled: 1-line block ×3, first 2 shown]
	v_perm_b32 v67, v9, v10, s71
	v_perm_b32 v9, v65, v9, s72
	v_lshlrev_b32_e32 v65, 16, v66
	v_and_b32_e32 v65, 0xff0000, v65
	v_lshlrev_b32_e32 v66, 24, v67
	v_or3_b32 v9, v9, v65, v66
	v_cmp_eq_u16_sdwa s[54:55], v10, v5 src0_sel:BYTE_0 src1_sel:DWORD
	s_and_saveexec_b64 s[52:53], s[54:55]
	s_cbranch_execz .LBB139_94
; %bb.97:                               ;   in Loop: Header=BB139_95 Depth=1
	s_mov_b32 s73, 1
	s_mov_b64 s[54:55], 0
.LBB139_98:                             ;   Parent Loop BB139_95 Depth=1
                                        ; =>  This Loop Header: Depth=2
                                        ;       Child Loop BB139_99 Depth 3
	s_max_u32 s74, s73, 1
.LBB139_99:                             ;   Parent Loop BB139_95 Depth=1
                                        ;     Parent Loop BB139_98 Depth=2
                                        ; =>    This Inner Loop Header: Depth=3
	s_add_i32 s74, s74, -1
	s_cmp_eq_u32 s74, 0
	s_sleep 1
	s_cbranch_scc0 .LBB139_99
; %bb.100:                              ;   in Loop: Header=BB139_98 Depth=2
	s_cmp_lt_u32 s73, 32
	s_cselect_b64 s[74:75], -1, 0
	s_cmp_lg_u64 s[74:75], 0
	s_addc_u32 s73, s73, 0
	;;#ASMSTART
	global_load_dwordx4 v[8:11], v[56:57] off glc	
s_waitcnt vmcnt(0)
	;;#ASMEND
	v_cmp_ne_u16_sdwa s[74:75], v10, v5 src0_sel:BYTE_0 src1_sel:DWORD
	s_or_b64 s[54:55], s[74:75], s[54:55]
	s_andn2_b64 exec, exec, s[54:55]
	s_cbranch_execnz .LBB139_98
; %bb.101:                              ;   in Loop: Header=BB139_95 Depth=1
	s_or_b64 exec, exec, s[54:55]
	v_perm_b32 v56, v9, v10, s69
	v_perm_b32 v57, v9, v10, s70
	v_lshlrev_b32_e32 v56, 8, v56
	v_alignbit_b32 v11, v9, v8, 8
	v_alignbit_b32 v63, v9, v8, 16
	;; [unrolled: 1-line block ×3, first 2 shown]
	v_perm_b32 v65, v9, v10, s71
	v_perm_b32 v9, v56, v9, s72
	v_lshlrev_b32_e32 v56, 16, v57
	v_lshlrev_b32_e32 v57, 24, v65
	v_and_b32_e32 v56, 0xff0000, v56
	v_or3_b32 v9, v9, v56, v57
	s_branch .LBB139_94
.LBB139_102:
                                        ; implicit-def: $vgpr56
                                        ; implicit-def: $sgpr54
                                        ; implicit-def: $vgpr10
                                        ; implicit-def: $vgpr9
                                        ; implicit-def: $vgpr11
                                        ; implicit-def: $vgpr63
                                        ; implicit-def: $vgpr64
.LBB139_103:
	v_cndmask_b32_e64 v5, 0, 1, s[4:5]
	;;#ASMSTART
	;;#ASMEND
	v_cmp_ne_u32_e32 vcc, 0, v5
	s_cmp_lg_u64 vcc, exec
	s_cbranch_scc1 .LBB139_188
; %bb.104:
	s_movk_i32 s4, 0xff
	v_cmp_eq_u16_sdwa s[4:5], v6, s4 src0_sel:BYTE_0 src1_sel:DWORD
	v_cndmask_b32_e64 v5, 0, 1, s[4:5]
	;;#ASMSTART
	;;#ASMEND
	v_cmp_ne_u32_e32 vcc, 0, v5
	s_cmp_eq_u64 vcc, exec
	v_add_u32_e32 v5, 64, v4
	s_cselect_b64 vcc, -1, 0
	v_cndmask_b32_e32 v4, v4, v5, vcc
	v_add_u32_e32 v8, 64, v4
	v_mov_b32_e32 v9, 0
	v_lshlrev_b64 v[4:5], 4, v[8:9]
	v_mov_b32_e32 v6, s49
	v_add_co_u32_e64 v10, s[4:5], s48, v4
	v_addc_co_u32_e64 v11, s[4:5], v6, v5, s[4:5]
	s_mov_b32 s54, 0x70605
	s_mov_b32 s55, 0x1000706
	;; [unrolled: 1-line block ×4, first 2 shown]
	v_mov_b32_e32 v8, 2
	s_branch .LBB139_106
.LBB139_105:                            ;   in Loop: Header=BB139_106 Depth=1
	s_or_b64 exec, exec, s[4:5]
	v_cmp_ne_u16_sdwa s[4:5], v6, v8 src0_sel:BYTE_0 src1_sel:DWORD
	v_cndmask_b32_e64 v5, 0, 1, s[4:5]
	;;#ASMSTART
	;;#ASMEND
	v_cmp_ne_u32_e64 s[4:5], 0, v5
	s_cmp_eq_u64 s[4:5], exec
	s_cbranch_scc0 .LBB139_187
.LBB139_106:                            ; =>This Loop Header: Depth=1
                                        ;     Child Loop BB139_108 Depth 2
                                        ;       Child Loop BB139_109 Depth 3
	;;#ASMSTART
	global_load_dwordx4 v[4:7], v[10:11] off glc	
s_waitcnt vmcnt(0)
	;;#ASMEND
	v_perm_b32 v7, v5, v6, s54
	v_perm_b32 v61, v5, v6, s55
	v_lshlrev_b32_e32 v7, 8, v7
	v_alignbit_b32 v56, v5, v4, 8
	v_alignbit_b32 v60, v5, v4, 16
	;; [unrolled: 1-line block ×3, first 2 shown]
	v_perm_b32 v62, v5, v6, s67
	v_perm_b32 v5, v7, v5, s68
	v_lshlrev_b32_e32 v7, 16, v61
	v_and_b32_e32 v7, 0xff0000, v7
	v_lshlrev_b32_e32 v61, 24, v62
	v_or3_b32 v7, v5, v7, v61
	v_cmp_eq_u16_sdwa s[52:53], v6, v9 src0_sel:BYTE_0 src1_sel:DWORD
	s_and_saveexec_b64 s[4:5], s[52:53]
	s_cbranch_execz .LBB139_105
; %bb.107:                              ;   in Loop: Header=BB139_106 Depth=1
	s_mov_b32 s69, 1
	s_mov_b64 s[52:53], 0
.LBB139_108:                            ;   Parent Loop BB139_106 Depth=1
                                        ; =>  This Loop Header: Depth=2
                                        ;       Child Loop BB139_109 Depth 3
	s_max_u32 s70, s69, 1
.LBB139_109:                            ;   Parent Loop BB139_106 Depth=1
                                        ;     Parent Loop BB139_108 Depth=2
                                        ; =>    This Inner Loop Header: Depth=3
	s_add_i32 s70, s70, -1
	s_cmp_eq_u32 s70, 0
	s_sleep 1
	s_cbranch_scc0 .LBB139_109
; %bb.110:                              ;   in Loop: Header=BB139_108 Depth=2
	s_cmp_lt_u32 s69, 32
	s_cselect_b64 s[70:71], -1, 0
	s_cmp_lg_u64 s[70:71], 0
	s_addc_u32 s69, s69, 0
	;;#ASMSTART
	global_load_dwordx4 v[4:7], v[10:11] off glc	
s_waitcnt vmcnt(0)
	;;#ASMEND
	v_cmp_ne_u16_sdwa s[70:71], v6, v9 src0_sel:BYTE_0 src1_sel:DWORD
	s_or_b64 s[52:53], s[70:71], s[52:53]
	s_andn2_b64 exec, exec, s[52:53]
	s_cbranch_execnz .LBB139_108
; %bb.111:                              ;   in Loop: Header=BB139_106 Depth=1
	s_or_b64 exec, exec, s[52:53]
	v_perm_b32 v7, v5, v6, s54
	v_perm_b32 v61, v5, v6, s55
	v_lshlrev_b32_e32 v7, 8, v7
	v_alignbit_b32 v56, v5, v4, 8
	v_alignbit_b32 v60, v5, v4, 16
	;; [unrolled: 1-line block ×3, first 2 shown]
	v_perm_b32 v62, v5, v6, s67
	v_perm_b32 v5, v7, v5, s68
	v_lshlrev_b32_e32 v7, 16, v61
	v_lshlrev_b32_e32 v61, 24, v62
	v_and_b32_e32 v7, 0xff0000, v7
	v_or3_b32 v7, v5, v7, v61
	s_branch .LBB139_105
.LBB139_112:
                                        ; implicit-def: $vgpr2
                                        ; implicit-def: $vgpr56
                                        ; implicit-def: $vgpr6
                                        ; implicit-def: $vgpr62
                                        ; implicit-def: $vgpr57
                                        ; implicit-def: $vgpr60
                                        ; implicit-def: $vgpr61
                                        ; implicit-def: $vgpr63
                                        ; implicit-def: $vgpr64
                                        ; implicit-def: $vgpr65
                                        ; implicit-def: $vgpr66
                                        ; implicit-def: $vgpr67
                                        ; implicit-def: $vgpr68
                                        ; implicit-def: $vgpr69
                                        ; implicit-def: $vgpr70
                                        ; implicit-def: $vgpr71
                                        ; implicit-def: $vgpr72
                                        ; implicit-def: $vgpr73
	s_cbranch_execnz .LBB139_211
.LBB139_113:
	s_and_saveexec_b64 s[4:5], s[44:45]
	s_cbranch_execnz .LBB139_222
	s_branch .LBB139_405
.LBB139_114:
                                        ; implicit-def: $sgpr12_sgpr13
                                        ; implicit-def: $vgpr58
                                        ; implicit-def: $vgpr27
                                        ; implicit-def: $vgpr26
                                        ; implicit-def: $vgpr29
                                        ; implicit-def: $vgpr28
                                        ; implicit-def: $vgpr31
                                        ; implicit-def: $vgpr30
                                        ; implicit-def: $vgpr33
                                        ; implicit-def: $vgpr32
                                        ; implicit-def: $vgpr35
                                        ; implicit-def: $vgpr34
                                        ; implicit-def: $vgpr37
                                        ; implicit-def: $vgpr36
                                        ; implicit-def: $vgpr39
	s_cbranch_execz .LBB139_59
; %bb.115:
	v_cvt_i32_f32_e32 v5, v13
	v_cvt_i32_f32_e32 v7, v12
	s_mov_b32 s14, 0x66666667
	v_cvt_i32_f32_e32 v11, v16
	v_mul_hi_i32 v5, v5, s14
	v_lshrrev_b32_e32 v6, 31, v5
	v_ashrrev_i32_e32 v5, 2, v5
	v_add_u32_e32 v6, v5, v6
	v_cvt_i32_f32_e32 v5, v1
	v_mul_hi_i32 v7, v7, s14
	v_lshrrev_b32_e32 v8, 31, v7
	v_ashrrev_i32_e32 v7, 2, v7
	v_add_u32_e32 v7, v7, v8
	;; [unrolled: 5-line block ×3, first 2 shown]
	v_mul_hi_i32 v5, v8, s14
	v_cvt_i32_f32_e32 v8, v17
	v_lshrrev_b32_e32 v10, 31, v5
	v_ashrrev_i32_e32 v5, 2, v5
	v_add_u32_e32 v10, v5, v10
	v_mul_hi_i32 v5, v8, s14
	v_lshrrev_b32_e32 v8, 31, v5
	v_ashrrev_i32_e32 v5, 2, v5
	v_add_u32_e32 v8, v5, v8
	v_cvt_i32_f32_e32 v5, v14
	v_mul_hi_i32 v11, v11, s14
	v_lshrrev_b32_e32 v26, 31, v11
	v_ashrrev_i32_e32 v11, 2, v11
	v_add_u32_e32 v11, v11, v26
	v_cvt_i32_f32_e32 v26, v19
	v_mul_hi_i32 v5, v5, s14
	v_lshrrev_b32_e32 v27, 31, v5
	v_ashrrev_i32_e32 v5, 2, v5
	v_add_u32_e32 v27, v5, v27
	v_mul_hi_i32 v5, v26, s14
	v_cvt_i32_f32_e32 v26, v21
	v_cvt_i32_f32_e32 v29, v20
	v_lshrrev_b32_e32 v28, 31, v5
	v_ashrrev_i32_e32 v5, 2, v5
	v_add_u32_e32 v28, v5, v28
	v_mul_hi_i32 v5, v26, s14
	v_lshrrev_b32_e32 v26, 31, v5
	v_ashrrev_i32_e32 v5, 2, v5
	v_add_u32_e32 v26, v5, v26
	v_cvt_i32_f32_e32 v5, v18
	v_mul_hi_i32 v29, v29, s14
	v_lshrrev_b32_e32 v30, 31, v29
	v_ashrrev_i32_e32 v29, 2, v29
	v_add_u32_e32 v29, v29, v30
	v_cvt_i32_f32_e32 v30, v23
	v_mul_hi_i32 v5, v5, s14
	v_lshrrev_b32_e32 v31, 31, v5
	v_ashrrev_i32_e32 v5, 2, v5
	v_add_u32_e32 v31, v5, v31
	v_mul_hi_i32 v5, v30, s14
	v_cvt_i32_f32_e32 v30, v25
	v_cvt_i32_f32_e32 v33, v24
	v_lshrrev_b32_e32 v32, 31, v5
	v_ashrrev_i32_e32 v5, 2, v5
	v_add_u32_e32 v32, v5, v32
	v_mul_hi_i32 v5, v30, s14
	v_cvt_i32_f32_e32 v34, v22
	v_lshrrev_b32_e32 v30, 31, v5
	v_ashrrev_i32_e32 v5, 2, v5
	v_add_u32_e32 v30, v5, v30
	v_mul_hi_i32 v5, v33, s14
	v_lshrrev_b32_e32 v33, 31, v5
	v_ashrrev_i32_e32 v5, 2, v5
	v_add_u32_e32 v5, v5, v33
	v_mul_hi_i32 v33, v34, s14
	v_lshrrev_b32_e32 v34, 31, v33
	v_ashrrev_i32_e32 v33, 2, v33
	v_add_u32_e32 v33, v33, v34
	v_cmp_ne_u32_e32 vcc, v30, v5
	v_cndmask_b32_e64 v39, 0, 1, vcc
	v_cmp_ne_u32_e32 vcc, v30, v33
	v_cndmask_b32_e64 v36, 0, 1, vcc
	;; [unrolled: 2-line block ×13, first 2 shown]
	v_cmp_ne_u32_e32 vcc, v6, v9
	v_lshlrev_b32_e32 v4, 2, v0
	v_cndmask_b32_e64 v58, 0, 1, vcc
	ds_write_b32 v4, v1
	s_waitcnt lgkmcnt(0)
	s_barrier
	s_waitcnt lgkmcnt(0)
                                        ; implicit-def: $sgpr12_sgpr13
	s_and_saveexec_b64 s[8:9], s[6:7]
	s_xor_b64 s[8:9], exec, s[8:9]
	s_cbranch_execz .LBB139_117
; %bb.116:
	v_add_u32_e32 v4, -4, v4
	ds_read_b32 v4, v4
	s_or_b64 s[4:5], s[4:5], exec
	s_waitcnt lgkmcnt(0)
	v_cvt_i32_f32_e32 v4, v4
	v_mul_hi_i32 v4, v4, s14
	v_lshrrev_b32_e32 v6, 31, v4
	v_ashrrev_i32_e32 v4, 2, v4
	v_add_u32_e32 v4, v4, v6
	v_cmp_ne_u32_e32 vcc, v4, v5
	s_and_b64 s[12:13], vcc, exec
.LBB139_117:
	s_or_b64 exec, exec, s[8:9]
	s_mov_b32 s14, 1
	s_branch .LBB139_75
.LBB139_118:
	s_mul_hi_u32 s9, s44, 0xfffff100
	s_mul_i32 s8, s45, 0xfffff100
	s_sub_i32 s9, s9, s44
	s_add_i32 s9, s9, s8
	s_mul_i32 s8, s44, 0xfffff100
	s_add_u32 s8, s8, s60
	s_addc_u32 s9, s9, s61
	s_and_b64 vcc, exec, s[10:11]
	s_cbranch_vccz .LBB139_153
; %bb.119:
	v_add_co_u32_e32 v2, vcc, -4, v2
	v_addc_co_u32_e32 v3, vcc, -1, v3, vcc
	flat_load_dword v4, v[2:3]
	v_mad_u32_u24 v26, v0, 15, 14
	v_mov_b32_e32 v27, 0
	v_lshlrev_b32_e32 v3, 2, v0
	v_mul_u32_u24_e32 v2, 15, v0
	v_cmp_gt_u64_e32 vcc, s[8:9], v[26:27]
	v_mov_b32_e32 v58, 0
	ds_write_b32 v3, v1
	s_and_saveexec_b64 s[4:5], vcc
	s_cbranch_execz .LBB139_121
; %bb.120:
	v_cvt_i32_f32_e32 v5, v13
	v_cvt_i32_f32_e32 v6, v1
	s_mov_b32 s10, 0x66666667
	v_mul_hi_i32 v5, v5, s10
	v_lshrrev_b32_e32 v7, 31, v5
	v_ashrrev_i32_e32 v5, 2, v5
	v_mul_hi_i32 v6, v6, s10
	v_add_u32_e32 v5, v5, v7
	v_lshrrev_b32_e32 v7, 31, v6
	v_ashrrev_i32_e32 v6, 2, v6
	v_add_u32_e32 v6, v6, v7
	v_cmp_ne_u32_e32 vcc, v5, v6
	v_cndmask_b32_e64 v58, 0, 1, vcc
.LBB139_121:
	s_or_b64 exec, exec, s[4:5]
	v_add_u32_e32 v26, 13, v2
	v_cmp_gt_u64_e32 vcc, s[8:9], v[26:27]
	s_and_saveexec_b64 s[4:5], vcc
	s_cbranch_execz .LBB139_123
; %bb.122:
	v_cvt_i32_f32_e32 v5, v12
	v_cvt_i32_f32_e32 v6, v13
	s_mov_b32 s10, 0x66666667
	v_mul_hi_i32 v5, v5, s10
	v_lshrrev_b32_e32 v7, 31, v5
	v_ashrrev_i32_e32 v5, 2, v5
	v_mul_hi_i32 v6, v6, s10
	v_add_u32_e32 v5, v5, v7
	v_lshrrev_b32_e32 v7, 31, v6
	v_ashrrev_i32_e32 v6, 2, v6
	v_add_u32_e32 v6, v6, v7
	v_cmp_ne_u32_e32 vcc, v5, v6
	v_cndmask_b32_e64 v27, 0, 1, vcc
.LBB139_123:
	s_or_b64 exec, exec, s[4:5]
	v_add_u32_e32 v28, 12, v2
	v_mov_b32_e32 v29, 0
	v_cmp_gt_u64_e32 vcc, s[8:9], v[28:29]
	v_mov_b32_e32 v26, 0
	s_and_saveexec_b64 s[4:5], vcc
	s_cbranch_execz .LBB139_125
; %bb.124:
	v_cvt_i32_f32_e32 v5, v15
	v_cvt_i32_f32_e32 v6, v12
	s_mov_b32 s10, 0x66666667
	v_mul_hi_i32 v5, v5, s10
	v_lshrrev_b32_e32 v7, 31, v5
	v_ashrrev_i32_e32 v5, 2, v5
	v_mul_hi_i32 v6, v6, s10
	v_add_u32_e32 v5, v5, v7
	v_lshrrev_b32_e32 v7, 31, v6
	v_ashrrev_i32_e32 v6, 2, v6
	v_add_u32_e32 v6, v6, v7
	v_cmp_ne_u32_e32 vcc, v5, v6
	v_cndmask_b32_e64 v26, 0, 1, vcc
.LBB139_125:
	s_or_b64 exec, exec, s[4:5]
	v_add_u32_e32 v28, 11, v2
	v_cmp_gt_u64_e32 vcc, s[8:9], v[28:29]
	s_and_saveexec_b64 s[4:5], vcc
	s_cbranch_execz .LBB139_127
; %bb.126:
	v_cvt_i32_f32_e32 v5, v14
	v_cvt_i32_f32_e32 v6, v15
	s_mov_b32 s10, 0x66666667
	v_mul_hi_i32 v5, v5, s10
	v_lshrrev_b32_e32 v7, 31, v5
	v_ashrrev_i32_e32 v5, 2, v5
	v_mul_hi_i32 v6, v6, s10
	v_add_u32_e32 v5, v5, v7
	v_lshrrev_b32_e32 v7, 31, v6
	v_ashrrev_i32_e32 v6, 2, v6
	v_add_u32_e32 v6, v6, v7
	v_cmp_ne_u32_e32 vcc, v5, v6
	v_cndmask_b32_e64 v29, 0, 1, vcc
.LBB139_127:
	s_or_b64 exec, exec, s[4:5]
	v_add_u32_e32 v30, 10, v2
	v_mov_b32_e32 v31, 0
	v_cmp_gt_u64_e32 vcc, s[8:9], v[30:31]
	v_mov_b32_e32 v28, 0
	;; [unrolled: 42-line block ×6, first 2 shown]
	s_and_saveexec_b64 s[4:5], vcc
	s_cbranch_execz .LBB139_145
; %bb.144:
	v_cvt_i32_f32_e32 v5, v25
	v_cvt_i32_f32_e32 v6, v22
	s_mov_b32 s10, 0x66666667
	v_mul_hi_i32 v5, v5, s10
	v_lshrrev_b32_e32 v7, 31, v5
	v_ashrrev_i32_e32 v5, 2, v5
	v_mul_hi_i32 v6, v6, s10
	v_add_u32_e32 v5, v5, v7
	v_lshrrev_b32_e32 v7, 31, v6
	v_ashrrev_i32_e32 v6, 2, v6
	v_add_u32_e32 v6, v6, v7
	v_cmp_ne_u32_e32 vcc, v5, v6
	v_cndmask_b32_e64 v36, 0, 1, vcc
.LBB139_145:
	s_or_b64 exec, exec, s[4:5]
	v_add_u32_e32 v38, 1, v2
	v_cmp_gt_u64_e32 vcc, s[8:9], v[38:39]
	s_and_saveexec_b64 s[4:5], vcc
	s_cbranch_execz .LBB139_147
; %bb.146:
	v_cvt_i32_f32_e32 v5, v24
	v_cvt_i32_f32_e32 v6, v25
	s_mov_b32 s10, 0x66666667
	v_mul_hi_i32 v5, v5, s10
	v_lshrrev_b32_e32 v7, 31, v5
	v_ashrrev_i32_e32 v5, 2, v5
	v_mul_hi_i32 v6, v6, s10
	v_add_u32_e32 v5, v5, v7
	v_lshrrev_b32_e32 v7, 31, v6
	v_ashrrev_i32_e32 v6, 2, v6
	v_add_u32_e32 v6, v6, v7
	v_cmp_ne_u32_e32 vcc, v5, v6
	v_cndmask_b32_e64 v39, 0, 1, vcc
.LBB139_147:
	s_or_b64 exec, exec, s[4:5]
	s_waitcnt lgkmcnt(0)
	s_barrier
	s_and_saveexec_b64 s[4:5], s[6:7]
	s_cbranch_execz .LBB139_149
; %bb.148:
	v_add_u32_e32 v3, -4, v3
	s_waitcnt vmcnt(0)
	ds_read_b32 v4, v3
.LBB139_149:
	s_or_b64 exec, exec, s[4:5]
	v_mov_b32_e32 v3, 0
	v_cmp_gt_u64_e32 vcc, s[8:9], v[2:3]
	s_mov_b64 s[10:11], 0
	s_mov_b64 s[12:13], 0
	s_and_saveexec_b64 s[4:5], vcc
	s_cbranch_execz .LBB139_151
; %bb.150:
	s_waitcnt vmcnt(0) lgkmcnt(0)
	v_cvt_i32_f32_e32 v2, v4
	v_cvt_i32_f32_e32 v3, v24
	s_mov_b32 s12, 0x66666667
	v_mul_hi_i32 v2, v2, s12
	v_lshrrev_b32_e32 v4, 31, v2
	v_ashrrev_i32_e32 v2, 2, v2
	v_mul_hi_i32 v3, v3, s12
	v_add_u32_e32 v2, v2, v4
	v_lshrrev_b32_e32 v4, 31, v3
	v_ashrrev_i32_e32 v3, 2, v3
	v_add_u32_e32 v3, v3, v4
	v_cmp_ne_u32_e32 vcc, v2, v3
	s_and_b64 s[12:13], vcc, exec
.LBB139_151:
	s_or_b64 exec, exec, s[4:5]
	s_mov_b64 s[4:5], -1
	s_and_b64 vcc, exec, s[10:11]
	s_cbranch_vccnz .LBB139_154
.LBB139_152:
                                        ; implicit-def: $sgpr14
	v_mov_b32_e32 v38, s14
	s_and_saveexec_b64 s[6:7], s[4:5]
	s_cbranch_execz .LBB139_77
	s_branch .LBB139_76
.LBB139_153:
                                        ; implicit-def: $sgpr12_sgpr13
                                        ; implicit-def: $vgpr58
                                        ; implicit-def: $vgpr27
                                        ; implicit-def: $vgpr26
                                        ; implicit-def: $vgpr29
                                        ; implicit-def: $vgpr28
                                        ; implicit-def: $vgpr31
                                        ; implicit-def: $vgpr30
                                        ; implicit-def: $vgpr33
                                        ; implicit-def: $vgpr32
                                        ; implicit-def: $vgpr35
                                        ; implicit-def: $vgpr34
                                        ; implicit-def: $vgpr37
                                        ; implicit-def: $vgpr36
                                        ; implicit-def: $vgpr39
	s_cbranch_execz .LBB139_152
.LBB139_154:
	v_mad_u32_u24 v26, v0, 15, 14
	v_mov_b32_e32 v27, 0
	s_waitcnt vmcnt(0) lgkmcnt(0)
	v_lshlrev_b32_e32 v4, 2, v0
	v_mul_u32_u24_e32 v2, 15, v0
	v_cmp_gt_u64_e32 vcc, s[8:9], v[26:27]
	v_mov_b32_e32 v58, 0
	ds_write_b32 v4, v1
	s_and_saveexec_b64 s[10:11], vcc
	s_cbranch_execz .LBB139_156
; %bb.155:
	v_cvt_i32_f32_e32 v3, v13
	v_cvt_i32_f32_e32 v5, v1
	s_mov_b32 s12, 0x66666667
	v_mul_hi_i32 v3, v3, s12
	v_lshrrev_b32_e32 v6, 31, v3
	v_ashrrev_i32_e32 v3, 2, v3
	v_mul_hi_i32 v5, v5, s12
	v_add_u32_e32 v3, v3, v6
	v_lshrrev_b32_e32 v6, 31, v5
	v_ashrrev_i32_e32 v5, 2, v5
	v_add_u32_e32 v5, v5, v6
	v_cmp_ne_u32_e32 vcc, v3, v5
	v_cndmask_b32_e64 v58, 0, 1, vcc
.LBB139_156:
	s_or_b64 exec, exec, s[10:11]
	v_add_u32_e32 v26, 13, v2
	v_cmp_gt_u64_e32 vcc, s[8:9], v[26:27]
	s_and_saveexec_b64 s[10:11], vcc
	s_cbranch_execz .LBB139_158
; %bb.157:
	v_cvt_i32_f32_e32 v3, v12
	v_cvt_i32_f32_e32 v5, v13
	s_mov_b32 s12, 0x66666667
	v_mul_hi_i32 v3, v3, s12
	v_lshrrev_b32_e32 v6, 31, v3
	v_ashrrev_i32_e32 v3, 2, v3
	v_mul_hi_i32 v5, v5, s12
	v_add_u32_e32 v3, v3, v6
	v_lshrrev_b32_e32 v6, 31, v5
	v_ashrrev_i32_e32 v5, 2, v5
	v_add_u32_e32 v5, v5, v6
	v_cmp_ne_u32_e32 vcc, v3, v5
	v_cndmask_b32_e64 v27, 0, 1, vcc
.LBB139_158:
	s_or_b64 exec, exec, s[10:11]
	v_add_u32_e32 v28, 12, v2
	v_mov_b32_e32 v29, 0
	v_cmp_gt_u64_e32 vcc, s[8:9], v[28:29]
	v_mov_b32_e32 v26, 0
	s_and_saveexec_b64 s[10:11], vcc
	s_cbranch_execz .LBB139_160
; %bb.159:
	v_cvt_i32_f32_e32 v3, v15
	v_cvt_i32_f32_e32 v5, v12
	s_mov_b32 s12, 0x66666667
	v_mul_hi_i32 v3, v3, s12
	v_lshrrev_b32_e32 v6, 31, v3
	v_ashrrev_i32_e32 v3, 2, v3
	v_mul_hi_i32 v5, v5, s12
	v_add_u32_e32 v3, v3, v6
	v_lshrrev_b32_e32 v6, 31, v5
	v_ashrrev_i32_e32 v5, 2, v5
	v_add_u32_e32 v5, v5, v6
	v_cmp_ne_u32_e32 vcc, v3, v5
	v_cndmask_b32_e64 v26, 0, 1, vcc
.LBB139_160:
	s_or_b64 exec, exec, s[10:11]
	v_add_u32_e32 v28, 11, v2
	v_cmp_gt_u64_e32 vcc, s[8:9], v[28:29]
	s_and_saveexec_b64 s[10:11], vcc
	s_cbranch_execz .LBB139_162
; %bb.161:
	v_cvt_i32_f32_e32 v3, v14
	v_cvt_i32_f32_e32 v5, v15
	s_mov_b32 s12, 0x66666667
	v_mul_hi_i32 v3, v3, s12
	v_lshrrev_b32_e32 v6, 31, v3
	v_ashrrev_i32_e32 v3, 2, v3
	v_mul_hi_i32 v5, v5, s12
	v_add_u32_e32 v3, v3, v6
	v_lshrrev_b32_e32 v6, 31, v5
	v_ashrrev_i32_e32 v5, 2, v5
	v_add_u32_e32 v5, v5, v6
	v_cmp_ne_u32_e32 vcc, v3, v5
	v_cndmask_b32_e64 v29, 0, 1, vcc
.LBB139_162:
	s_or_b64 exec, exec, s[10:11]
	v_add_u32_e32 v30, 10, v2
	v_mov_b32_e32 v31, 0
	v_cmp_gt_u64_e32 vcc, s[8:9], v[30:31]
	v_mov_b32_e32 v28, 0
	;; [unrolled: 42-line block ×6, first 2 shown]
	s_and_saveexec_b64 s[10:11], vcc
	s_cbranch_execz .LBB139_180
; %bb.179:
	v_cvt_i32_f32_e32 v3, v25
	v_cvt_i32_f32_e32 v5, v22
	s_mov_b32 s12, 0x66666667
	v_mul_hi_i32 v3, v3, s12
	v_lshrrev_b32_e32 v6, 31, v3
	v_ashrrev_i32_e32 v3, 2, v3
	v_mul_hi_i32 v5, v5, s12
	v_add_u32_e32 v3, v3, v6
	v_lshrrev_b32_e32 v6, 31, v5
	v_ashrrev_i32_e32 v5, 2, v5
	v_add_u32_e32 v5, v5, v6
	v_cmp_ne_u32_e32 vcc, v3, v5
	v_cndmask_b32_e64 v36, 0, 1, vcc
.LBB139_180:
	s_or_b64 exec, exec, s[10:11]
	v_add_u32_e32 v38, 1, v2
	v_cmp_gt_u64_e32 vcc, s[8:9], v[38:39]
	s_and_saveexec_b64 s[10:11], vcc
	s_cbranch_execz .LBB139_182
; %bb.181:
	v_cvt_i32_f32_e32 v3, v24
	v_cvt_i32_f32_e32 v5, v25
	s_mov_b32 s12, 0x66666667
	v_mul_hi_i32 v3, v3, s12
	v_lshrrev_b32_e32 v6, 31, v3
	v_ashrrev_i32_e32 v3, 2, v3
	v_mul_hi_i32 v5, v5, s12
	v_add_u32_e32 v3, v3, v6
	v_lshrrev_b32_e32 v6, 31, v5
	v_ashrrev_i32_e32 v5, 2, v5
	v_add_u32_e32 v5, v5, v6
	v_cmp_ne_u32_e32 vcc, v3, v5
	v_cndmask_b32_e64 v39, 0, 1, vcc
.LBB139_182:
	s_or_b64 exec, exec, s[10:11]
	s_waitcnt lgkmcnt(0)
	s_barrier
	s_waitcnt lgkmcnt(0)
                                        ; implicit-def: $sgpr12_sgpr13
	s_and_saveexec_b64 s[10:11], s[6:7]
	s_cbranch_execz .LBB139_186
; %bb.183:
	v_mov_b32_e32 v3, 0
	v_cmp_gt_u64_e32 vcc, s[8:9], v[2:3]
	s_mov_b64 s[8:9], 0
	s_and_saveexec_b64 s[6:7], vcc
	s_cbranch_execz .LBB139_185
; %bb.184:
	v_add_u32_e32 v2, -4, v4
	ds_read_b32 v2, v2
	v_cvt_i32_f32_e32 v3, v24
	s_mov_b32 s8, 0x66666667
	v_mul_hi_i32 v3, v3, s8
	s_waitcnt lgkmcnt(0)
	v_cvt_i32_f32_e32 v2, v2
	v_lshrrev_b32_e32 v4, 31, v3
	v_ashrrev_i32_e32 v3, 2, v3
	v_add_u32_e32 v3, v3, v4
	v_mul_hi_i32 v2, v2, s8
	v_lshrrev_b32_e32 v5, 31, v2
	v_ashrrev_i32_e32 v2, 2, v2
	v_add_u32_e32 v2, v2, v5
	v_cmp_ne_u32_e32 vcc, v2, v3
	s_and_b64 s[8:9], vcc, exec
.LBB139_185:
	s_or_b64 exec, exec, s[6:7]
	s_and_b64 s[12:13], s[8:9], exec
	s_or_b64 s[4:5], s[4:5], exec
.LBB139_186:
	s_or_b64 exec, exec, s[10:11]
	s_mov_b32 s14, 1
	v_mov_b32_e32 v38, s14
	s_and_saveexec_b64 s[6:7], s[4:5]
	s_cbranch_execnz .LBB139_76
	s_branch .LBB139_77
.LBB139_187:
	v_cndmask_b32_e64 v5, 0, 1, vcc
	v_readfirstlane_b32 s4, v5
	s_sub_i32 s61, s61, s4
	v_lshlrev_b32_e32 v5, 16, v60
	s_mov_b32 s4, 0x4020c0c
	v_lshlrev_b32_e32 v8, 8, v56
	v_perm_b32 v5, v57, v5, s4
	v_and_b32_e32 v8, 0xff00, v8
	v_and_b32_e32 v4, 0xff, v4
	v_or3_b32 v60, v5, v8, v4
.LBB139_188:
	v_mov_b32_e32 v4, 2
	v_cmp_eq_u16_sdwa vcc, v6, v4 src0_sel:BYTE_0 src1_sel:DWORD
	s_cbranch_vccz .LBB139_193
; %bb.189:
	s_ff1_i32_b64 s4, vcc
	s_cmp_eq_u32 s4, 0
	s_cbranch_scc1 .LBB139_194
; %bb.190:
	v_cmp_eq_u32_e32 vcc, 0, v60
	v_mov_b32_e32 v9, v7
	v_mov_b32_e32 v8, v60
.LBB139_191:                            ; =>This Inner Loop Header: Depth=1
	s_nop 1
	v_mov_b32_dpp v4, v8 wave_rol:1 row_mask:0xf bank_mask:0xf
	v_mov_b32_dpp v5, v9 wave_rol:1 row_mask:0xf bank_mask:0xf
	v_add_u32_e32 v8, v4, v60
	v_add_f32_e32 v4, v7, v5
	s_add_i32 s4, s4, -1
	s_cmp_lg_u32 s4, 0
	v_cndmask_b32_e32 v9, v7, v4, vcc
	s_cbranch_scc1 .LBB139_191
; %bb.192:
	s_cmp_lt_i32 s61, 1
	s_cbranch_scc0 .LBB139_195
	s_branch .LBB139_200
.LBB139_193:
	s_mov_b64 s[52:53], 0
	s_mov_b64 s[4:5], -1
	s_branch .LBB139_205
.LBB139_194:
	v_mov_b32_e32 v9, v7
	v_mov_b32_e32 v8, v60
	s_cmp_lt_i32 s61, 1
	s_cbranch_scc1 .LBB139_200
.LBB139_195:
	v_mov_b32_e32 v4, 0
.LBB139_196:                            ; =>This Loop Header: Depth=1
                                        ;     Child Loop BB139_197 Depth 2
	s_add_i32 s4, s61, -1
	s_lshl_b32 s5, s4, 3
	v_add_u32_e32 v6, s5, v4
	buffer_load_dword v5, v6, s[0:3], 0 offen
	s_nop 0
	buffer_load_dword v6, v6, s[0:3], 0 offen offset:4
	s_mov_b32 s5, 64
	s_waitcnt vmcnt(1)
	v_cmp_eq_u32_e32 vcc, 0, v5
.LBB139_197:                            ;   Parent Loop BB139_196 Depth=1
                                        ; =>  This Inner Loop Header: Depth=2
	v_mov_b32_dpp v7, v8 wave_rol:1 row_mask:0xf bank_mask:0xf
	v_mov_b32_dpp v8, v9 wave_rol:1 row_mask:0xf bank_mask:0xf
	s_waitcnt vmcnt(0)
	v_add_f32_e32 v8, v6, v8
	v_cndmask_b32_e32 v8, v6, v8, vcc
	v_add_u32_e32 v7, v7, v5
	s_add_i32 s5, s5, -16
	v_mov_b32_dpp v8, v8 wave_rol:1 row_mask:0xf bank_mask:0xf
	v_add_f32_e32 v8, v6, v8
	v_cndmask_b32_e32 v8, v6, v8, vcc
	v_mov_b32_dpp v7, v7 wave_rol:1 row_mask:0xf bank_mask:0xf
	v_add_u32_e32 v7, v7, v5
	v_mov_b32_dpp v8, v8 wave_rol:1 row_mask:0xf bank_mask:0xf
	v_add_f32_e32 v8, v6, v8
	v_cndmask_b32_e32 v8, v6, v8, vcc
	v_mov_b32_dpp v7, v7 wave_rol:1 row_mask:0xf bank_mask:0xf
	v_add_u32_e32 v7, v7, v5
	;; [unrolled: 5-line block ×12, first 2 shown]
	v_mov_b32_dpp v8, v8 wave_rol:1 row_mask:0xf bank_mask:0xf
	v_add_f32_e32 v8, v6, v8
	v_mov_b32_dpp v7, v7 wave_rol:1 row_mask:0xf bank_mask:0xf
	v_cndmask_b32_e32 v8, v6, v8, vcc
	v_add_u32_e32 v7, v7, v5
	s_cmp_lg_u32 s5, 0
	v_mov_b32_dpp v8, v8 wave_rol:1 row_mask:0xf bank_mask:0xf
	v_mov_b32_dpp v7, v7 wave_rol:1 row_mask:0xf bank_mask:0xf
	v_add_f32_e32 v8, v6, v8
	v_add_u32_e32 v7, v7, v5
	v_cndmask_b32_e32 v8, v6, v8, vcc
	s_nop 0
	v_mov_b32_dpp v7, v7 wave_rol:1 row_mask:0xf bank_mask:0xf
	v_mov_b32_dpp v9, v8 wave_rol:1 row_mask:0xf bank_mask:0xf
	v_add_u32_e32 v8, v7, v5
	v_add_f32_e32 v7, v6, v9
	v_cndmask_b32_e32 v9, v6, v7, vcc
	s_cbranch_scc1 .LBB139_197
; %bb.198:                              ;   in Loop: Header=BB139_196 Depth=1
	s_cmp_gt_i32 s61, 1
	s_cbranch_scc0 .LBB139_200
; %bb.199:                              ;   in Loop: Header=BB139_196 Depth=1
	s_mov_b32 s61, s4
	s_branch .LBB139_196
.LBB139_200:
	v_readfirstlane_b32 s52, v8
	v_readfirstlane_b32 s53, v9
	s_and_saveexec_b64 s[4:5], s[34:35]
	s_cbranch_execz .LBB139_202
; %bb.201:
	v_mov_b32_e32 v5, s53
	v_add_f32_e32 v4, s60, v5
	v_mov_b32_e32 v7, s60
	v_cmp_eq_u32_e32 vcc, 0, v2
	s_mov_b32 s55, 0
	v_cndmask_b32_e32 v4, v7, v4, vcc
	s_add_i32 s54, s66, 64
	s_lshl_b64 s[54:55], s[54:55], 4
	v_and_b32_e32 v7, 0xff000000, v4
	v_and_b32_e32 v8, 0xff0000, v4
	s_add_u32 s54, s48, s54
	v_or_b32_e32 v7, v8, v7
	v_and_b32_e32 v8, 0xff00, v4
	s_addc_u32 s55, s49, s55
	v_or_b32_e32 v7, v7, v8
	v_add_u32_e32 v6, s52, v2
	v_mov_b32_e32 v9, 0
	v_or_b32_sdwa v7, v7, v4 dst_sel:DWORD dst_unused:UNUSED_PAD src0_sel:DWORD src1_sel:BYTE_0
	v_mov_b32_e32 v8, 2
	v_pk_mov_b32 v[10:11], s[54:55], s[54:55] op_sel:[0,1]
	;;#ASMSTART
	global_store_dwordx4 v[10:11], v[6:9] off	
s_waitcnt vmcnt(0)
	;;#ASMEND
	v_mov_b32_e32 v4, s52
	ds_write_b128 v9, v[2:5] offset:2048
.LBB139_202:
	s_or_b64 exec, exec, s[4:5]
	s_and_saveexec_b64 s[4:5], s[38:39]
	s_cbranch_execz .LBB139_204
; %bb.203:
	v_mov_b32_e32 v2, s52
	v_mov_b32_e32 v3, s53
	v_mov_b32_e32 v4, 0
	ds_write_b64 v4, v[2:3] offset:2088
.LBB139_204:
	s_or_b64 exec, exec, s[4:5]
	s_mov_b64 s[52:53], -1
	s_mov_b64 s[4:5], 0
.LBB139_205:
	s_and_b64 s[4:5], s[4:5], exec
	s_orn2_b64 s[52:53], s[52:53], exec
.LBB139_206:
	s_or_b64 exec, exec, s[50:51]
                                        ; implicit-def: $vgpr2
                                        ; implicit-def: $vgpr56
                                        ; implicit-def: $vgpr6
                                        ; implicit-def: $vgpr62
                                        ; implicit-def: $vgpr57
                                        ; implicit-def: $vgpr60
                                        ; implicit-def: $vgpr61
                                        ; implicit-def: $vgpr63
                                        ; implicit-def: $vgpr64
                                        ; implicit-def: $vgpr65
                                        ; implicit-def: $vgpr66
                                        ; implicit-def: $vgpr67
                                        ; implicit-def: $vgpr68
                                        ; implicit-def: $vgpr69
                                        ; implicit-def: $vgpr70
                                        ; implicit-def: $vgpr71
                                        ; implicit-def: $vgpr72
                                        ; implicit-def: $vgpr73
	s_and_saveexec_b64 s[50:51], s[52:53]
	s_cbranch_execz .LBB139_209
; %bb.207:
	v_mov_b32_e32 v4, 0
	s_waitcnt lgkmcnt(0)
	s_barrier
	ds_read_b64 v[2:3], v4 offset:2088
	v_cndmask_b32_e64 v5, v80, v55, s[34:35]
	v_cndmask_b32_e64 v6, v79, v54, s[34:35]
	v_cmp_eq_u32_e32 vcc, 0, v6
	s_waitcnt lgkmcnt(0)
	v_add_f32_e32 v7, v5, v3
	v_cndmask_b32_e32 v5, v5, v7, vcc
	v_cndmask_b32_e64 v73, v5, v3, s[38:39]
	v_cndmask_b32_e64 v3, v6, 0, s[38:39]
	v_add_u32_e32 v7, v2, v3
	v_add_f32_e32 v2, v50, v73
	v_cmp_eq_u32_e32 vcc, 0, v38
	v_cndmask_b32_e32 v72, v50, v2, vcc
	v_add_f32_e32 v2, v52, v72
	v_cndmask_b32_e64 v71, v52, v2, s[30:31]
	v_add_f32_e32 v2, v51, v71
	v_cndmask_b32_e64 v70, v51, v2, s[28:29]
	;; [unrolled: 2-line block ×11, first 2 shown]
	s_barrier
	ds_read_b128 v[2:5], v4 offset:2048
	v_add_f32_e32 v6, v40, v60
	v_cndmask_b32_e64 v57, v40, v6, s[8:9]
	v_add_f32_e32 v6, v59, v57
	s_mov_b64 s[44:45], exec
	s_waitcnt lgkmcnt(0)
	v_add_f32_e32 v5, v5, v3
	v_cmp_eq_u32_e32 vcc, 0, v2
	v_cndmask_b32_e64 v62, v59, v6, s[6:7]
	v_cndmask_b32_e32 v56, v3, v5, vcc
	v_mov_b32_e32 v6, v4
	v_mov_b32_e32 v5, v7
	s_or_b64 exec, exec, s[50:51]
	s_and_saveexec_b64 s[6:7], s[4:5]
	s_xor_b64 s[4:5], exec, s[6:7]
	s_cbranch_execz .LBB139_210
.LBB139_208:
	s_trap 2
	; divergent unreachable
                                        ; implicit-def: $vgpr62
                                        ; implicit-def: $vgpr57
                                        ; implicit-def: $vgpr60
                                        ; implicit-def: $vgpr61
                                        ; implicit-def: $vgpr63
                                        ; implicit-def: $vgpr64
                                        ; implicit-def: $vgpr65
                                        ; implicit-def: $vgpr66
                                        ; implicit-def: $vgpr67
                                        ; implicit-def: $vgpr68
                                        ; implicit-def: $vgpr69
                                        ; implicit-def: $vgpr70
                                        ; implicit-def: $vgpr71
                                        ; implicit-def: $vgpr72
                                        ; implicit-def: $vgpr73
	s_branch .LBB139_210
.LBB139_209:
	s_or_b64 exec, exec, s[50:51]
	s_and_saveexec_b64 s[6:7], s[4:5]
	s_xor_b64 s[4:5], exec, s[6:7]
	s_cbranch_execnz .LBB139_208
.LBB139_210:
	s_or_b64 exec, exec, s[4:5]
	s_branch .LBB139_113
.LBB139_211:
	s_and_b64 s[4:5], s[36:37], exec
	s_cselect_b32 s5, 0, s65
	s_cselect_b32 s4, 0, s64
	s_cmp_eq_u64 s[4:5], 0
	v_mov_b32_e32 v6, v50
	s_cbranch_scc1 .LBB139_213
; %bb.212:
	v_mov_b32_e32 v2, 0
	global_load_dword v6, v2, s[4:5]
.LBB139_213:
	v_cmp_eq_u32_e64 s[6:7], 0, v39
	v_cndmask_b32_e64 v2, v52, v78, s[6:7]
	v_add_f32_e32 v2, v51, v2
	v_cmp_eq_u32_e64 s[8:9], 0, v36
	v_cndmask_b32_e64 v2, v51, v2, s[8:9]
	v_add_f32_e32 v2, v53, v2
	;; [unrolled: 3-line block ×11, first 2 shown]
	v_cmp_eq_u32_e64 s[28:29], 0, v26
	v_cndmask_b32_e64 v2, v40, v2, s[28:29]
	v_add3_u32 v3, v77, v35, v32
	v_add_f32_e32 v2, v59, v2
	v_cmp_eq_u32_e32 vcc, 0, v27
	v_add3_u32 v3, v3, v33, v30
	v_cndmask_b32_e32 v2, v59, v2, vcc
	v_add3_u32 v3, v3, v31, v28
	v_add_f32_e32 v2, v41, v2
	v_cmp_eq_u32_e64 s[4:5], 0, v58
	v_add3_u32 v3, v3, v29, v26
	v_cndmask_b32_e64 v2, v41, v2, s[4:5]
	v_add3_u32 v3, v3, v27, v58
	v_mbcnt_hi_u32_b32 v7, -1, v76
	v_mov_b32_dpp v8, v2 row_shr:1 row_mask:0xf bank_mask:0xf
	s_waitcnt vmcnt(0) lgkmcnt(0)
	v_and_b32_e32 v4, 15, v7
	v_add_f32_e32 v8, v2, v8
	v_cmp_eq_u32_e64 s[4:5], 0, v3
	v_mov_b32_dpp v5, v3 row_shr:1 row_mask:0xf bank_mask:0xf
	v_cndmask_b32_e64 v8, v2, v8, s[4:5]
	v_cmp_eq_u32_e64 s[4:5], 0, v4
	v_cndmask_b32_e64 v5, v5, 0, s[4:5]
	v_cndmask_b32_e64 v2, v8, v2, s[4:5]
	v_add_u32_e32 v3, v5, v3
	v_cmp_eq_u32_e64 s[4:5], 0, v3
	v_mov_b32_dpp v8, v2 row_shr:2 row_mask:0xf bank_mask:0xf
	v_add_f32_e32 v8, v2, v8
	v_mov_b32_dpp v5, v3 row_shr:2 row_mask:0xf bank_mask:0xf
	v_cndmask_b32_e64 v8, v2, v8, s[4:5]
	v_cmp_lt_u32_e64 s[4:5], 1, v4
	v_cndmask_b32_e64 v2, v2, v8, s[4:5]
	v_cndmask_b32_e64 v5, 0, v5, s[4:5]
	v_add_u32_e32 v3, v3, v5
	v_mov_b32_dpp v8, v2 row_shr:4 row_mask:0xf bank_mask:0xf
	v_add_f32_e32 v8, v2, v8
	v_cmp_eq_u32_e64 s[4:5], 0, v3
	v_mov_b32_dpp v5, v3 row_shr:4 row_mask:0xf bank_mask:0xf
	v_cndmask_b32_e64 v8, v2, v8, s[4:5]
	v_cmp_lt_u32_e64 s[4:5], 3, v4
	v_cndmask_b32_e64 v2, v2, v8, s[4:5]
	v_cndmask_b32_e64 v5, 0, v5, s[4:5]
	v_add_u32_e32 v3, v5, v3
	v_mov_b32_dpp v8, v2 row_shr:8 row_mask:0xf bank_mask:0xf
	v_add_f32_e32 v8, v2, v8
	v_cmp_eq_u32_e64 s[4:5], 0, v3
	v_mov_b32_dpp v5, v3 row_shr:8 row_mask:0xf bank_mask:0xf
	v_cndmask_b32_e64 v8, v2, v8, s[4:5]
	v_cmp_lt_u32_e64 s[4:5], 7, v4
	v_cndmask_b32_e64 v2, v2, v8, s[4:5]
	v_cndmask_b32_e64 v4, 0, v5, s[4:5]
	v_add_u32_e32 v3, v4, v3
	v_mov_b32_dpp v5, v2 row_bcast:15 row_mask:0xf bank_mask:0xf
	v_bfe_i32 v8, v7, 4, 1
	v_mov_b32_dpp v4, v3 row_bcast:15 row_mask:0xf bank_mask:0xf
	v_and_b32_e32 v9, 16, v7
	v_add_f32_e32 v5, v2, v5
	v_cmp_eq_u32_e64 s[4:5], 0, v3
	v_cndmask_b32_e64 v5, v2, v5, s[4:5]
	v_and_b32_e32 v4, v8, v4
	v_cmp_eq_u32_e64 s[4:5], 0, v9
	v_add_u32_e32 v3, v4, v3
	v_cndmask_b32_e64 v4, v5, v2, s[4:5]
	v_cmp_eq_u32_e64 s[4:5], 0, v3
	v_mov_b32_dpp v2, v3 row_bcast:31 row_mask:0xf bank_mask:0xf
	v_mov_b32_dpp v5, v4 row_bcast:31 row_mask:0xf bank_mask:0xf
	v_add_f32_e32 v5, v4, v5
	v_cndmask_b32_e64 v5, v4, v5, s[4:5]
	v_cmp_lt_u32_e64 s[4:5], 31, v7
	v_cndmask_b32_e64 v2, 0, v2, s[4:5]
	v_add_u32_e32 v2, v2, v3
	v_cmp_eq_u32_e64 s[30:31], v75, v0
	v_cndmask_b32_e64 v3, v4, v5, s[4:5]
	s_and_saveexec_b64 s[4:5], s[30:31]
	s_cbranch_execz .LBB139_215
; %bb.214:
	v_lshlrev_b32_e32 v4, 3, v74
	ds_write_b64 v4, v[2:3] offset:2064
.LBB139_215:
	s_or_b64 exec, exec, s[4:5]
	v_cmp_gt_u32_e64 s[4:5], 4, v0
	s_waitcnt lgkmcnt(0)
	s_barrier
	s_and_saveexec_b64 s[34:35], s[4:5]
	s_cbranch_execz .LBB139_217
; %bb.216:
	v_lshlrev_b32_e32 v8, 3, v0
	ds_read_b64 v[4:5], v8 offset:2064
	v_and_b32_e32 v9, 3, v7
	v_cmp_lt_u32_e64 s[30:31], 1, v9
	s_waitcnt lgkmcnt(0)
	v_mov_b32_dpp v11, v5 row_shr:1 row_mask:0xf bank_mask:0xf
	v_add_f32_e32 v11, v5, v11
	v_cmp_eq_u32_e64 s[4:5], 0, v4
	v_mov_b32_dpp v10, v4 row_shr:1 row_mask:0xf bank_mask:0xf
	v_cndmask_b32_e64 v11, v5, v11, s[4:5]
	v_cmp_eq_u32_e64 s[4:5], 0, v9
	v_cndmask_b32_e64 v10, v10, 0, s[4:5]
	v_add_u32_e32 v4, v10, v4
	v_cndmask_b32_e64 v5, v11, v5, s[4:5]
	v_cmp_eq_u32_e64 s[4:5], 0, v4
	v_mov_b32_dpp v10, v4 row_shr:2 row_mask:0xf bank_mask:0xf
	v_mov_b32_dpp v11, v5 row_shr:2 row_mask:0xf bank_mask:0xf
	v_add_f32_e32 v11, v5, v11
	v_cndmask_b32_e64 v9, 0, v10, s[30:31]
	s_and_b64 s[4:5], s[30:31], s[4:5]
	v_add_u32_e32 v4, v9, v4
	v_cndmask_b32_e64 v5, v5, v11, s[4:5]
	ds_write_b64 v8, v[4:5] offset:2064
.LBB139_217:
	s_or_b64 exec, exec, s[34:35]
	v_cmp_lt_u32_e64 s[4:5], 63, v0
	v_mov_b32_e32 v8, 0
	v_mov_b32_e32 v4, 0
	;; [unrolled: 1-line block ×3, first 2 shown]
	s_waitcnt lgkmcnt(0)
	s_barrier
	s_and_saveexec_b64 s[30:31], s[4:5]
	s_cbranch_execz .LBB139_219
; %bb.218:
	v_lshlrev_b32_e32 v4, 3, v74
	ds_read_b64 v[4:5], v4 offset:2056
	s_waitcnt lgkmcnt(0)
	v_add_f32_e32 v9, v6, v5
	v_cmp_eq_u32_e64 s[4:5], 0, v4
	v_cndmask_b32_e64 v9, v5, v9, s[4:5]
.LBB139_219:
	s_or_b64 exec, exec, s[30:31]
	v_add_f32_e32 v10, v3, v9
	v_cmp_eq_u32_e64 s[4:5], 0, v2
	v_add_u32_e32 v5, v4, v2
	v_cndmask_b32_e64 v2, v3, v10, s[4:5]
	v_add_u32_e32 v3, -1, v7
	v_and_b32_e32 v10, 64, v7
	v_cmp_lt_i32_e64 s[4:5], v3, v10
	v_cndmask_b32_e64 v3, v3, v7, s[4:5]
	v_lshlrev_b32_e32 v3, 2, v3
	ds_bpermute_b32 v2, v3, v2
	ds_bpermute_b32 v5, v3, v5
	v_cmp_eq_u32_e64 s[4:5], 0, v7
	s_waitcnt lgkmcnt(1)
	v_cndmask_b32_e64 v73, v2, v9, s[4:5]
	v_cndmask_b32_e64 v2, v73, v6, s[38:39]
	s_waitcnt lgkmcnt(0)
	v_cndmask_b32_e64 v5, v5, v4, s[4:5]
	v_add_f32_e32 v2, v50, v2
	v_cmp_eq_u32_e64 s[4:5], 0, v38
	v_cndmask_b32_e64 v72, v50, v2, s[4:5]
	v_add_f32_e32 v2, v52, v72
	v_cndmask_b32_e64 v71, v52, v2, s[6:7]
	v_add_f32_e32 v2, v51, v71
	v_cndmask_b32_e64 v70, v51, v2, s[8:9]
	v_add_f32_e32 v2, v53, v70
	v_cndmask_b32_e64 v69, v53, v2, s[10:11]
	v_add_f32_e32 v2, v46, v69
	v_cndmask_b32_e64 v68, v46, v2, s[12:13]
	v_add_f32_e32 v2, v48, v68
	v_cndmask_b32_e64 v67, v48, v2, s[14:15]
	v_add_f32_e32 v2, v47, v67
	v_cndmask_b32_e64 v66, v47, v2, s[16:17]
	v_add_f32_e32 v2, v49, v66
	v_cndmask_b32_e64 v65, v49, v2, s[18:19]
	v_add_f32_e32 v2, v44, v65
	v_cndmask_b32_e64 v64, v44, v2, s[20:21]
	v_add_f32_e32 v2, v42, v64
	v_cndmask_b32_e64 v63, v42, v2, s[22:23]
	v_add_f32_e32 v2, v45, v63
	v_cndmask_b32_e64 v61, v45, v2, s[26:27]
	ds_read_b64 v[2:3], v8 offset:2088
	v_add_f32_e32 v4, v43, v61
	v_cndmask_b32_e64 v60, v43, v4, s[24:25]
	v_add_f32_e32 v4, v40, v60
	v_cndmask_b32_e64 v57, v40, v4, s[28:29]
	s_waitcnt lgkmcnt(0)
	v_add_f32_e32 v4, v6, v3
	v_cmp_eq_u32_e64 s[4:5], 0, v2
	v_add_f32_e32 v7, v59, v57
	v_cndmask_b32_e64 v56, v3, v4, s[4:5]
	s_and_saveexec_b64 s[4:5], s[38:39]
	s_cbranch_execz .LBB139_221
; %bb.220:
	s_add_u32 s6, s48, 0x400
	v_and_b32_e32 v3, 0xff000000, v56
	v_and_b32_e32 v4, 0xff0000, v56
	s_addc_u32 s7, s49, 0
	v_or_b32_e32 v3, v4, v3
	v_and_b32_e32 v4, 0xff00, v56
	v_and_b32_e32 v8, 0xff, v56
	v_mov_b32_e32 v5, 0
	v_or3_b32 v3, v3, v4, v8
	v_mov_b32_e32 v4, 2
	v_pk_mov_b32 v[8:9], s[6:7], s[6:7] op_sel:[0,1]
	;;#ASMSTART
	global_store_dwordx4 v[8:9], v[2:5] off	
s_waitcnt vmcnt(0)
	;;#ASMEND
	v_mov_b32_e32 v73, v6
.LBB139_221:
	s_or_b64 exec, exec, s[4:5]
	v_cndmask_b32_e32 v62, v59, v7, vcc
	s_mov_b64 s[44:45], -1
	v_mov_b32_e32 v6, 0
	s_and_saveexec_b64 s[4:5], s[44:45]
	s_cbranch_execz .LBB139_405
.LBB139_222:
	s_and_b64 s[4:5], s[36:37], exec
	s_cselect_b32 s5, 0, s63
	s_cselect_b32 s4, 0, s62
	s_cmp_eq_u64 s[4:5], 0
	v_pk_mov_b32 v[8:9], 0, 0
	s_waitcnt lgkmcnt(0)
	s_barrier
	s_cbranch_scc1 .LBB139_224
; %bb.223:
	v_mov_b32_e32 v3, 0
	global_load_dwordx2 v[8:9], v3, s[4:5]
.LBB139_224:
	s_waitcnt vmcnt(0)
	v_lshlrev_b64 v[10:11], 2, v[8:9]
	v_mov_b32_e32 v7, s47
	v_add_co_u32_e32 v54, vcc, s46, v10
	v_addc_co_u32_e32 v55, vcc, v7, v11, vcc
	v_mov_b32_e32 v7, 0
	v_lshlrev_b64 v[40:41], 2, v[6:7]
	v_add_co_u32_e32 v7, vcc, v54, v40
	v_addc_co_u32_e32 v54, vcc, v55, v41, vcc
	v_cmp_eq_u32_e32 vcc, 0, v38
	v_cndmask_b32_e64 v55, 1, 2, vcc
	v_cmp_eq_u32_e32 vcc, 0, v39
	v_cndmask_b32_e64 v59, 1, 2, vcc
	v_cmp_eq_u32_e32 vcc, 0, v36
	v_add_u32_e32 v53, v5, v38
	v_and_b32_e32 v55, v59, v55
	v_cndmask_b32_e64 v59, 1, 2, vcc
	v_cmp_eq_u32_e32 vcc, 0, v37
	v_add_u32_e32 v52, v53, v39
	v_and_b32_e32 v55, v55, v59
	;; [unrolled: 4-line block ×12, first 2 shown]
	v_cndmask_b32_e64 v59, 1, 2, vcc
	v_cmp_eq_u32_e32 vcc, 0, v58
	s_movk_i32 s4, 0x100
	v_add_u32_e32 v4, v42, v26
	v_and_b32_e32 v55, v55, v59
	v_cndmask_b32_e64 v59, 1, 2, vcc
	v_cmp_gt_u32_e32 vcc, s4, v2
	v_add_u32_e32 v3, v4, v27
	v_cmp_ne_u32_e64 s[36:37], 0, v38
	v_cmp_ne_u32_e64 s[34:35], 0, v39
	;; [unrolled: 1-line block ×15, first 2 shown]
	v_and_b32_e32 v55, v55, v59
	s_mov_b64 s[4:5], -1
	s_cbranch_vccz .LBB139_261
; %bb.225:
	v_cmp_gt_i16_e32 vcc, 2, v55
	s_and_saveexec_b64 s[4:5], vcc
	s_cbranch_execz .LBB139_260
; %bb.226:
	v_cmp_ne_u16_e32 vcc, 1, v55
	s_mov_b64 s[46:47], 0
	s_and_saveexec_b64 s[44:45], vcc
	s_xor_b64 s[44:45], exec, s[44:45]
	s_cbranch_execz .LBB139_241
; %bb.227:
	s_and_saveexec_b64 s[46:47], s[36:37]
	s_cbranch_execz .LBB139_243
; %bb.228:
	v_sub_u32_e32 v74, v5, v6
	v_mov_b32_e32 v75, 0
	v_lshlrev_b64 v[74:75], 2, v[74:75]
	v_add_co_u32_e32 v74, vcc, v7, v74
	v_addc_co_u32_e32 v75, vcc, v54, v75, vcc
	global_store_dword v[74:75], v24, off
	s_or_b64 exec, exec, s[46:47]
	s_and_saveexec_b64 s[46:47], s[34:35]
	s_cbranch_execnz .LBB139_244
.LBB139_229:
	s_or_b64 exec, exec, s[46:47]
	s_and_saveexec_b64 s[46:47], s[30:31]
	s_cbranch_execz .LBB139_245
.LBB139_230:
	v_sub_u32_e32 v74, v52, v6
	v_mov_b32_e32 v75, 0
	v_lshlrev_b64 v[74:75], 2, v[74:75]
	v_add_co_u32_e32 v74, vcc, v7, v74
	v_addc_co_u32_e32 v75, vcc, v54, v75, vcc
	global_store_dword v[74:75], v22, off
	s_or_b64 exec, exec, s[46:47]
	s_and_saveexec_b64 s[46:47], s[28:29]
	s_cbranch_execnz .LBB139_246
.LBB139_231:
	s_or_b64 exec, exec, s[46:47]
	s_and_saveexec_b64 s[46:47], s[26:27]
	s_cbranch_execz .LBB139_247
.LBB139_232:
	v_sub_u32_e32 v74, v50, v6
	v_mov_b32_e32 v75, 0
	v_lshlrev_b64 v[74:75], 2, v[74:75]
	v_add_co_u32_e32 v74, vcc, v7, v74
	v_addc_co_u32_e32 v75, vcc, v54, v75, vcc
	global_store_dword v[74:75], v20, off
	s_or_b64 exec, exec, s[46:47]
	s_and_saveexec_b64 s[46:47], s[24:25]
	s_cbranch_execnz .LBB139_248
.LBB139_233:
	s_or_b64 exec, exec, s[46:47]
	s_and_saveexec_b64 s[46:47], s[22:23]
	s_cbranch_execz .LBB139_249
.LBB139_234:
	v_sub_u32_e32 v74, v48, v6
	v_mov_b32_e32 v75, 0
	v_lshlrev_b64 v[74:75], 2, v[74:75]
	v_add_co_u32_e32 v74, vcc, v7, v74
	v_addc_co_u32_e32 v75, vcc, v54, v75, vcc
	global_store_dword v[74:75], v18, off
	s_or_b64 exec, exec, s[46:47]
	s_and_saveexec_b64 s[46:47], s[20:21]
	s_cbranch_execnz .LBB139_250
.LBB139_235:
	s_or_b64 exec, exec, s[46:47]
	s_and_saveexec_b64 s[46:47], s[18:19]
	s_cbranch_execz .LBB139_251
.LBB139_236:
	v_sub_u32_e32 v74, v46, v6
	v_mov_b32_e32 v75, 0
	v_lshlrev_b64 v[74:75], 2, v[74:75]
	v_add_co_u32_e32 v74, vcc, v7, v74
	v_addc_co_u32_e32 v75, vcc, v54, v75, vcc
	global_store_dword v[74:75], v16, off
	s_or_b64 exec, exec, s[46:47]
	s_and_saveexec_b64 s[46:47], s[16:17]
	s_cbranch_execnz .LBB139_252
.LBB139_237:
	s_or_b64 exec, exec, s[46:47]
	s_and_saveexec_b64 s[46:47], s[14:15]
	s_cbranch_execz .LBB139_253
.LBB139_238:
	v_sub_u32_e32 v74, v44, v6
	v_mov_b32_e32 v75, 0
	v_lshlrev_b64 v[74:75], 2, v[74:75]
	v_add_co_u32_e32 v74, vcc, v7, v74
	v_addc_co_u32_e32 v75, vcc, v54, v75, vcc
	global_store_dword v[74:75], v14, off
	s_or_b64 exec, exec, s[46:47]
	s_and_saveexec_b64 s[46:47], s[12:13]
	s_cbranch_execnz .LBB139_254
.LBB139_239:
	s_or_b64 exec, exec, s[46:47]
	s_and_saveexec_b64 s[46:47], s[10:11]
	s_cbranch_execz .LBB139_255
.LBB139_240:
	v_sub_u32_e32 v74, v42, v6
	v_mov_b32_e32 v75, 0
	v_lshlrev_b64 v[74:75], 2, v[74:75]
	v_add_co_u32_e32 v74, vcc, v7, v74
	v_addc_co_u32_e32 v75, vcc, v54, v75, vcc
	global_store_dword v[74:75], v12, off
	s_or_b64 exec, exec, s[46:47]
	s_and_saveexec_b64 s[46:47], s[8:9]
	s_cbranch_execnz .LBB139_256
	s_branch .LBB139_257
.LBB139_241:
	s_andn2_saveexec_b64 s[44:45], s[44:45]
	s_cbranch_execz .LBB139_258
.LBB139_242:
	v_sub_u32_e32 v74, v5, v6
	v_mov_b32_e32 v75, 0
	v_lshlrev_b64 v[76:77], 2, v[74:75]
	v_add_co_u32_e32 v76, vcc, v7, v76
	v_addc_co_u32_e32 v77, vcc, v54, v77, vcc
	v_sub_u32_e32 v74, v53, v6
	global_store_dword v[76:77], v24, off
	v_lshlrev_b64 v[76:77], 2, v[74:75]
	v_add_co_u32_e32 v76, vcc, v7, v76
	v_addc_co_u32_e32 v77, vcc, v54, v77, vcc
	v_sub_u32_e32 v74, v52, v6
	global_store_dword v[76:77], v25, off
	;; [unrolled: 5-line block ×12, first 2 shown]
	v_lshlrev_b64 v[76:77], 2, v[74:75]
	v_add_co_u32_e32 v76, vcc, v7, v76
	v_sub_u32_e32 v74, v4, v6
	v_addc_co_u32_e32 v77, vcc, v54, v77, vcc
	v_lshlrev_b64 v[74:75], 2, v[74:75]
	v_add_co_u32_e32 v74, vcc, v7, v74
	v_addc_co_u32_e32 v75, vcc, v54, v75, vcc
	s_or_b64 s[46:47], s[46:47], exec
	global_store_dword v[76:77], v12, off
	global_store_dword v[74:75], v13, off
	s_or_b64 exec, exec, s[44:45]
	s_and_b64 exec, exec, s[46:47]
	s_cbranch_execnz .LBB139_259
	s_branch .LBB139_260
.LBB139_243:
	s_or_b64 exec, exec, s[46:47]
	s_and_saveexec_b64 s[46:47], s[34:35]
	s_cbranch_execz .LBB139_229
.LBB139_244:
	v_sub_u32_e32 v74, v53, v6
	v_mov_b32_e32 v75, 0
	v_lshlrev_b64 v[74:75], 2, v[74:75]
	v_add_co_u32_e32 v74, vcc, v7, v74
	v_addc_co_u32_e32 v75, vcc, v54, v75, vcc
	global_store_dword v[74:75], v25, off
	s_or_b64 exec, exec, s[46:47]
	s_and_saveexec_b64 s[46:47], s[30:31]
	s_cbranch_execnz .LBB139_230
.LBB139_245:
	s_or_b64 exec, exec, s[46:47]
	s_and_saveexec_b64 s[46:47], s[28:29]
	s_cbranch_execz .LBB139_231
.LBB139_246:
	v_sub_u32_e32 v74, v51, v6
	v_mov_b32_e32 v75, 0
	v_lshlrev_b64 v[74:75], 2, v[74:75]
	v_add_co_u32_e32 v74, vcc, v7, v74
	v_addc_co_u32_e32 v75, vcc, v54, v75, vcc
	global_store_dword v[74:75], v23, off
	s_or_b64 exec, exec, s[46:47]
	s_and_saveexec_b64 s[46:47], s[26:27]
	s_cbranch_execnz .LBB139_232
.LBB139_247:
	s_or_b64 exec, exec, s[46:47]
	s_and_saveexec_b64 s[46:47], s[24:25]
	s_cbranch_execz .LBB139_233
.LBB139_248:
	v_sub_u32_e32 v74, v49, v6
	v_mov_b32_e32 v75, 0
	v_lshlrev_b64 v[74:75], 2, v[74:75]
	v_add_co_u32_e32 v74, vcc, v7, v74
	v_addc_co_u32_e32 v75, vcc, v54, v75, vcc
	global_store_dword v[74:75], v21, off
	s_or_b64 exec, exec, s[46:47]
	s_and_saveexec_b64 s[46:47], s[22:23]
	s_cbranch_execnz .LBB139_234
.LBB139_249:
	s_or_b64 exec, exec, s[46:47]
	s_and_saveexec_b64 s[46:47], s[20:21]
	s_cbranch_execz .LBB139_235
.LBB139_250:
	v_sub_u32_e32 v74, v47, v6
	v_mov_b32_e32 v75, 0
	v_lshlrev_b64 v[74:75], 2, v[74:75]
	v_add_co_u32_e32 v74, vcc, v7, v74
	v_addc_co_u32_e32 v75, vcc, v54, v75, vcc
	global_store_dword v[74:75], v19, off
	s_or_b64 exec, exec, s[46:47]
	s_and_saveexec_b64 s[46:47], s[18:19]
	s_cbranch_execnz .LBB139_236
.LBB139_251:
	s_or_b64 exec, exec, s[46:47]
	s_and_saveexec_b64 s[46:47], s[16:17]
	s_cbranch_execz .LBB139_237
.LBB139_252:
	v_sub_u32_e32 v74, v45, v6
	v_mov_b32_e32 v75, 0
	v_lshlrev_b64 v[74:75], 2, v[74:75]
	v_add_co_u32_e32 v74, vcc, v7, v74
	v_addc_co_u32_e32 v75, vcc, v54, v75, vcc
	global_store_dword v[74:75], v17, off
	s_or_b64 exec, exec, s[46:47]
	s_and_saveexec_b64 s[46:47], s[14:15]
	s_cbranch_execnz .LBB139_238
.LBB139_253:
	s_or_b64 exec, exec, s[46:47]
	s_and_saveexec_b64 s[46:47], s[12:13]
	s_cbranch_execz .LBB139_239
.LBB139_254:
	v_sub_u32_e32 v74, v43, v6
	v_mov_b32_e32 v75, 0
	v_lshlrev_b64 v[74:75], 2, v[74:75]
	v_add_co_u32_e32 v74, vcc, v7, v74
	v_addc_co_u32_e32 v75, vcc, v54, v75, vcc
	global_store_dword v[74:75], v15, off
	s_or_b64 exec, exec, s[46:47]
	s_and_saveexec_b64 s[46:47], s[10:11]
	s_cbranch_execnz .LBB139_240
.LBB139_255:
	s_or_b64 exec, exec, s[46:47]
	s_and_saveexec_b64 s[46:47], s[8:9]
	s_cbranch_execz .LBB139_257
.LBB139_256:
	v_sub_u32_e32 v74, v4, v6
	v_mov_b32_e32 v75, 0
	v_lshlrev_b64 v[74:75], 2, v[74:75]
	v_add_co_u32_e32 v74, vcc, v7, v74
	v_addc_co_u32_e32 v75, vcc, v54, v75, vcc
	global_store_dword v[74:75], v13, off
.LBB139_257:
	s_or_b64 exec, exec, s[46:47]
	s_and_b64 s[46:47], s[6:7], exec
	s_andn2_saveexec_b64 s[44:45], s[44:45]
	s_cbranch_execnz .LBB139_242
.LBB139_258:
	s_or_b64 exec, exec, s[44:45]
	s_and_b64 exec, exec, s[46:47]
	s_cbranch_execz .LBB139_260
.LBB139_259:
	v_sub_u32_e32 v74, v3, v6
	v_mov_b32_e32 v75, 0
	v_lshlrev_b64 v[74:75], 2, v[74:75]
	v_add_co_u32_e32 v74, vcc, v7, v74
	v_addc_co_u32_e32 v75, vcc, v54, v75, vcc
	global_store_dword v[74:75], v1, off
.LBB139_260:
	s_or_b64 exec, exec, s[4:5]
	s_mov_b64 s[4:5], 0
.LBB139_261:
	s_and_b64 vcc, exec, s[4:5]
	s_cbranch_vccz .LBB139_313
; %bb.262:
	v_cmp_gt_i16_e32 vcc, 2, v55
	s_and_saveexec_b64 s[4:5], vcc
	s_cbranch_execz .LBB139_297
; %bb.263:
	v_cmp_ne_u16_e32 vcc, 1, v55
	s_mov_b64 s[46:47], 0
	s_and_saveexec_b64 s[44:45], vcc
	s_xor_b64 s[44:45], exec, s[44:45]
	s_cbranch_execz .LBB139_278
; %bb.264:
	s_and_saveexec_b64 s[46:47], s[36:37]
	s_cbranch_execz .LBB139_280
; %bb.265:
	v_sub_u32_e32 v55, v5, v6
	v_lshlrev_b32_e32 v55, 2, v55
	ds_write_b32 v55, v24
	s_or_b64 exec, exec, s[46:47]
	s_and_saveexec_b64 s[36:37], s[34:35]
	s_cbranch_execnz .LBB139_281
.LBB139_266:
	s_or_b64 exec, exec, s[36:37]
	s_and_saveexec_b64 s[34:35], s[30:31]
	s_cbranch_execz .LBB139_282
.LBB139_267:
	v_sub_u32_e32 v24, v52, v6
	v_lshlrev_b32_e32 v24, 2, v24
	ds_write_b32 v24, v22
	s_or_b64 exec, exec, s[34:35]
	s_and_saveexec_b64 s[30:31], s[28:29]
	s_cbranch_execnz .LBB139_283
.LBB139_268:
	s_or_b64 exec, exec, s[30:31]
	s_and_saveexec_b64 s[28:29], s[26:27]
	s_cbranch_execz .LBB139_284
.LBB139_269:
	v_sub_u32_e32 v22, v50, v6
	v_lshlrev_b32_e32 v22, 2, v22
	ds_write_b32 v22, v20
	s_or_b64 exec, exec, s[28:29]
	s_and_saveexec_b64 s[26:27], s[24:25]
	s_cbranch_execnz .LBB139_285
.LBB139_270:
	s_or_b64 exec, exec, s[26:27]
	s_and_saveexec_b64 s[24:25], s[22:23]
	s_cbranch_execz .LBB139_286
.LBB139_271:
	v_sub_u32_e32 v20, v48, v6
	v_lshlrev_b32_e32 v20, 2, v20
	ds_write_b32 v20, v18
	s_or_b64 exec, exec, s[24:25]
	s_and_saveexec_b64 s[22:23], s[20:21]
	s_cbranch_execnz .LBB139_287
.LBB139_272:
	s_or_b64 exec, exec, s[22:23]
	s_and_saveexec_b64 s[20:21], s[18:19]
	s_cbranch_execz .LBB139_288
.LBB139_273:
	v_sub_u32_e32 v18, v46, v6
	v_lshlrev_b32_e32 v18, 2, v18
	ds_write_b32 v18, v16
	s_or_b64 exec, exec, s[20:21]
	s_and_saveexec_b64 s[18:19], s[16:17]
	s_cbranch_execnz .LBB139_289
.LBB139_274:
	s_or_b64 exec, exec, s[18:19]
	s_and_saveexec_b64 s[16:17], s[14:15]
	s_cbranch_execz .LBB139_290
.LBB139_275:
	v_sub_u32_e32 v16, v44, v6
	v_lshlrev_b32_e32 v16, 2, v16
	ds_write_b32 v16, v14
	s_or_b64 exec, exec, s[16:17]
	s_and_saveexec_b64 s[14:15], s[12:13]
	s_cbranch_execnz .LBB139_291
.LBB139_276:
	s_or_b64 exec, exec, s[14:15]
	s_and_saveexec_b64 s[12:13], s[10:11]
	s_cbranch_execz .LBB139_292
.LBB139_277:
	v_sub_u32_e32 v14, v42, v6
	v_lshlrev_b32_e32 v14, 2, v14
	ds_write_b32 v14, v12
	s_or_b64 exec, exec, s[12:13]
	s_and_saveexec_b64 s[10:11], s[8:9]
	s_cbranch_execnz .LBB139_293
	s_branch .LBB139_294
.LBB139_278:
	s_andn2_saveexec_b64 s[6:7], s[44:45]
	s_cbranch_execz .LBB139_295
.LBB139_279:
	v_sub_u32_e32 v55, v5, v6
	v_lshlrev_b32_e32 v55, 2, v55
	ds_write_b32 v55, v24
	v_sub_u32_e32 v24, v53, v6
	v_lshlrev_b32_e32 v24, 2, v24
	ds_write_b32 v24, v25
	;; [unrolled: 3-line block ×13, first 2 shown]
	v_sub_u32_e32 v12, v4, v6
	v_lshlrev_b32_e32 v12, 2, v12
	s_or_b64 s[46:47], s[46:47], exec
	ds_write_b32 v12, v13
	s_or_b64 exec, exec, s[6:7]
	s_and_b64 exec, exec, s[46:47]
	s_cbranch_execnz .LBB139_296
	s_branch .LBB139_297
.LBB139_280:
	s_or_b64 exec, exec, s[46:47]
	s_and_saveexec_b64 s[36:37], s[34:35]
	s_cbranch_execz .LBB139_266
.LBB139_281:
	v_sub_u32_e32 v24, v53, v6
	v_lshlrev_b32_e32 v24, 2, v24
	ds_write_b32 v24, v25
	s_or_b64 exec, exec, s[36:37]
	s_and_saveexec_b64 s[34:35], s[30:31]
	s_cbranch_execnz .LBB139_267
.LBB139_282:
	s_or_b64 exec, exec, s[34:35]
	s_and_saveexec_b64 s[30:31], s[28:29]
	s_cbranch_execz .LBB139_268
.LBB139_283:
	v_sub_u32_e32 v22, v51, v6
	v_lshlrev_b32_e32 v22, 2, v22
	ds_write_b32 v22, v23
	s_or_b64 exec, exec, s[30:31]
	s_and_saveexec_b64 s[28:29], s[26:27]
	s_cbranch_execnz .LBB139_269
.LBB139_284:
	s_or_b64 exec, exec, s[28:29]
	s_and_saveexec_b64 s[26:27], s[24:25]
	s_cbranch_execz .LBB139_270
.LBB139_285:
	v_sub_u32_e32 v20, v49, v6
	v_lshlrev_b32_e32 v20, 2, v20
	ds_write_b32 v20, v21
	s_or_b64 exec, exec, s[26:27]
	s_and_saveexec_b64 s[24:25], s[22:23]
	s_cbranch_execnz .LBB139_271
.LBB139_286:
	s_or_b64 exec, exec, s[24:25]
	s_and_saveexec_b64 s[22:23], s[20:21]
	s_cbranch_execz .LBB139_272
.LBB139_287:
	v_sub_u32_e32 v18, v47, v6
	v_lshlrev_b32_e32 v18, 2, v18
	ds_write_b32 v18, v19
	s_or_b64 exec, exec, s[22:23]
	s_and_saveexec_b64 s[20:21], s[18:19]
	s_cbranch_execnz .LBB139_273
.LBB139_288:
	s_or_b64 exec, exec, s[20:21]
	s_and_saveexec_b64 s[18:19], s[16:17]
	s_cbranch_execz .LBB139_274
.LBB139_289:
	v_sub_u32_e32 v16, v45, v6
	v_lshlrev_b32_e32 v16, 2, v16
	ds_write_b32 v16, v17
	s_or_b64 exec, exec, s[18:19]
	s_and_saveexec_b64 s[16:17], s[14:15]
	s_cbranch_execnz .LBB139_275
.LBB139_290:
	s_or_b64 exec, exec, s[16:17]
	s_and_saveexec_b64 s[14:15], s[12:13]
	s_cbranch_execz .LBB139_276
.LBB139_291:
	v_sub_u32_e32 v14, v43, v6
	v_lshlrev_b32_e32 v14, 2, v14
	ds_write_b32 v14, v15
	s_or_b64 exec, exec, s[14:15]
	s_and_saveexec_b64 s[12:13], s[10:11]
	s_cbranch_execnz .LBB139_277
.LBB139_292:
	s_or_b64 exec, exec, s[12:13]
	s_and_saveexec_b64 s[10:11], s[8:9]
	s_cbranch_execz .LBB139_294
.LBB139_293:
	v_sub_u32_e32 v12, v4, v6
	v_lshlrev_b32_e32 v12, 2, v12
	ds_write_b32 v12, v13
.LBB139_294:
	s_or_b64 exec, exec, s[10:11]
	s_and_b64 s[46:47], s[6:7], exec
                                        ; implicit-def: $vgpr24_vgpr25
                                        ; implicit-def: $vgpr22_vgpr23
                                        ; implicit-def: $vgpr20_vgpr21
                                        ; implicit-def: $vgpr18_vgpr19
                                        ; implicit-def: $vgpr16_vgpr17
                                        ; implicit-def: $vgpr14_vgpr15
                                        ; implicit-def: $vgpr12_vgpr13
	s_andn2_saveexec_b64 s[6:7], s[44:45]
	s_cbranch_execnz .LBB139_279
.LBB139_295:
	s_or_b64 exec, exec, s[6:7]
	s_and_b64 exec, exec, s[46:47]
	s_cbranch_execz .LBB139_297
.LBB139_296:
	v_sub_u32_e32 v12, v3, v6
	v_lshlrev_b32_e32 v12, 2, v12
	ds_write_b32 v12, v1
.LBB139_297:
	s_or_b64 exec, exec, s[4:5]
	v_cmp_lt_u32_e32 vcc, v0, v2
	s_waitcnt lgkmcnt(0)
	s_barrier
	s_and_saveexec_b64 s[6:7], vcc
	s_cbranch_execz .LBB139_312
; %bb.298:
	v_xad_u32 v1, v0, -1, v2
	s_movk_i32 s4, 0x1700
	v_cmp_gt_u32_e64 s[8:9], s4, v1
	s_movk_i32 s4, 0x16ff
	v_cmp_lt_u32_e32 vcc, s4, v1
	v_mov_b32_e32 v12, v0
	s_and_saveexec_b64 s[10:11], vcc
	s_cbranch_execz .LBB139_309
; %bb.299:
	v_sub_u32_e32 v12, v0, v2
	v_or_b32_e32 v12, 0xff, v12
	v_cmp_ge_u32_e32 vcc, v12, v0
	s_mov_b64 s[4:5], -1
	v_mov_b32_e32 v12, v0
	s_and_saveexec_b64 s[12:13], vcc
	s_cbranch_execz .LBB139_308
; %bb.300:
	v_lshrrev_b32_e32 v16, 8, v1
	v_add_u32_e32 v12, -1, v16
	v_or_b32_e32 v1, 0x100, v0
	v_lshrrev_b32_e32 v13, 1, v12
	v_add_u32_e32 v17, 1, v13
	v_cmp_lt_u32_e32 vcc, 13, v12
	v_mov_b32_e32 v20, 0
	v_pk_mov_b32 v[12:13], v[0:1], v[0:1] op_sel:[0,1]
	s_and_saveexec_b64 s[14:15], vcc
	s_cbranch_execz .LBB139_304
; %bb.301:
	v_and_b32_e32 v18, -8, v17
	v_lshlrev_b32_e32 v19, 2, v0
	s_mov_b32 s18, 0
	s_mov_b64 s[16:17], 0
	v_mov_b32_e32 v15, 0
	v_pk_mov_b32 v[12:13], v[0:1], v[0:1] op_sel:[0,1]
.LBB139_302:                            ; =>This Inner Loop Header: Depth=1
	v_mov_b32_e32 v14, v12
	v_add_u32_e32 v18, -8, v18
	v_lshlrev_b64 v[98:99], 2, v[14:15]
	v_mov_b32_e32 v14, v13
	ds_read2st64_b32 v[22:23], v19 offset1:4
	s_add_i32 s18, s18, 16
	v_cmp_eq_u32_e32 vcc, 0, v18
	v_lshlrev_b64 v[102:103], 2, v[14:15]
	v_add_u32_e32 v14, 0x200, v12
	s_or_b64 s[16:17], vcc, s[16:17]
	v_add_co_u32_e32 v102, vcc, v7, v102
	v_add_u32_e32 v20, 0x200, v13
	v_mov_b32_e32 v21, v15
	ds_read2st64_b32 v[24:25], v19 offset0:8 offset1:12
	ds_read2st64_b32 v[76:77], v19 offset0:16 offset1:20
	v_add_co_u32_e64 v98, s[4:5], v7, v98
	v_addc_co_u32_e32 v103, vcc, v54, v103, vcc
	v_lshlrev_b64 v[104:105], 2, v[14:15]
	v_lshlrev_b64 v[100:101], 2, v[20:21]
	v_addc_co_u32_e64 v99, s[4:5], v54, v99, s[4:5]
	v_add_u32_e32 v14, 0x400, v12
	v_add_co_u32_e32 v104, vcc, v7, v104
	v_add_u32_e32 v74, 0x400, v13
	v_mov_b32_e32 v75, v15
	ds_read2st64_b32 v[80:81], v19 offset0:24 offset1:28
	v_add_co_u32_e64 v100, s[4:5], v7, v100
	v_addc_co_u32_e32 v105, vcc, v54, v105, vcc
	v_lshlrev_b64 v[106:107], 2, v[14:15]
	ds_read2st64_b32 v[84:85], v19 offset0:32 offset1:36
	ds_read2st64_b32 v[88:89], v19 offset0:40 offset1:44
	;; [unrolled: 1-line block ×4, first 2 shown]
	v_lshlrev_b64 v[74:75], 2, v[74:75]
	v_addc_co_u32_e64 v101, s[4:5], v54, v101, s[4:5]
	v_add_u32_e32 v14, 0x600, v12
	s_waitcnt lgkmcnt(7)
	global_store_dword v[98:99], v22, off
	global_store_dword v[102:103], v23, off
	s_waitcnt lgkmcnt(6)
	global_store_dword v[104:105], v24, off
	global_store_dword v[100:101], v25, off
	v_add_co_u32_e32 v22, vcc, v7, v106
	v_add_u32_e32 v78, 0x600, v13
	v_mov_b32_e32 v79, v15
	v_add_co_u32_e64 v74, s[4:5], v7, v74
	v_addc_co_u32_e32 v23, vcc, v54, v107, vcc
	v_lshlrev_b64 v[24:25], 2, v[14:15]
	v_lshlrev_b64 v[78:79], 2, v[78:79]
	v_addc_co_u32_e64 v75, s[4:5], v54, v75, s[4:5]
	v_add_u32_e32 v14, 0x800, v12
	s_waitcnt lgkmcnt(5)
	global_store_dword v[22:23], v76, off
	global_store_dword v[74:75], v77, off
	v_add_co_u32_e32 v22, vcc, v7, v24
	v_add_u32_e32 v82, 0x800, v13
	v_mov_b32_e32 v83, v15
	v_add_co_u32_e64 v78, s[4:5], v7, v78
	v_addc_co_u32_e32 v23, vcc, v54, v25, vcc
	v_lshlrev_b64 v[24:25], 2, v[14:15]
	v_lshlrev_b64 v[82:83], 2, v[82:83]
	v_addc_co_u32_e64 v79, s[4:5], v54, v79, s[4:5]
	v_add_u32_e32 v14, 0xa00, v12
	;; [unrolled: 12-line block ×4, first 2 shown]
	s_waitcnt lgkmcnt(2)
	global_store_dword v[22:23], v88, off
	global_store_dword v[86:87], v89, off
	v_add_co_u32_e32 v22, vcc, v7, v24
	v_add_u32_e32 v94, 0xe00, v13
	v_mov_b32_e32 v95, v15
	v_add_co_u32_e64 v90, s[4:5], v7, v90
	v_addc_co_u32_e32 v23, vcc, v54, v25, vcc
	v_lshlrev_b64 v[24:25], 2, v[14:15]
	v_lshlrev_b64 v[94:95], 2, v[94:95]
	v_addc_co_u32_e64 v91, s[4:5], v54, v91, s[4:5]
	s_waitcnt lgkmcnt(1)
	global_store_dword v[22:23], v92, off
	global_store_dword v[90:91], v93, off
	v_add_co_u32_e32 v22, vcc, v7, v24
	v_add_u32_e32 v19, 0x4000, v19
	v_add_u32_e32 v13, 0x1000, v13
	v_mov_b32_e32 v20, s18
	v_add_co_u32_e64 v94, s[4:5], v7, v94
	v_add_u32_e32 v12, 0x1000, v12
	v_addc_co_u32_e32 v23, vcc, v54, v25, vcc
	v_addc_co_u32_e64 v95, s[4:5], v54, v95, s[4:5]
	s_waitcnt lgkmcnt(0)
	global_store_dword v[22:23], v96, off
	global_store_dword v[94:95], v97, off
	s_andn2_b64 exec, exec, s[16:17]
	s_cbranch_execnz .LBB139_302
; %bb.303:
	s_or_b64 exec, exec, s[16:17]
.LBB139_304:
	s_or_b64 exec, exec, s[14:15]
	v_and_b32_e32 v1, 7, v17
	v_cmp_ne_u32_e32 vcc, 0, v1
	s_and_saveexec_b64 s[14:15], vcc
	s_cbranch_execz .LBB139_307
; %bb.305:
	v_lshlrev_b32_e32 v14, 2, v0
	v_lshl_or_b32 v17, v20, 10, v14
	s_mov_b64 s[16:17], 0
	v_mov_b32_e32 v15, 0
.LBB139_306:                            ; =>This Inner Loop Header: Depth=1
	ds_read2st64_b32 v[18:19], v17 offset1:4
	v_mov_b32_e32 v14, v12
	v_add_u32_e32 v1, -1, v1
	v_lshlrev_b64 v[20:21], 2, v[14:15]
	v_mov_b32_e32 v14, v13
	v_cmp_eq_u32_e32 vcc, 0, v1
	v_add_co_u32_e64 v20, s[4:5], v7, v20
	v_lshlrev_b64 v[22:23], 2, v[14:15]
	v_add_u32_e32 v12, 0x200, v12
	v_add_u32_e32 v17, 0x800, v17
	;; [unrolled: 1-line block ×3, first 2 shown]
	v_addc_co_u32_e64 v21, s[4:5], v54, v21, s[4:5]
	s_or_b64 s[16:17], vcc, s[16:17]
	v_add_co_u32_e32 v22, vcc, v7, v22
	v_addc_co_u32_e32 v23, vcc, v54, v23, vcc
	s_waitcnt lgkmcnt(0)
	global_store_dword v[20:21], v18, off
	global_store_dword v[22:23], v19, off
	s_andn2_b64 exec, exec, s[16:17]
	s_cbranch_execnz .LBB139_306
.LBB139_307:
	s_or_b64 exec, exec, s[14:15]
	v_add_u32_e32 v1, 1, v16
	v_and_b32_e32 v13, 0x1fffffe, v1
	v_cmp_ne_u32_e32 vcc, v1, v13
	v_lshl_or_b32 v12, v13, 8, v0
	s_orn2_b64 s[4:5], vcc, exec
.LBB139_308:
	s_or_b64 exec, exec, s[12:13]
	s_andn2_b64 s[8:9], s[8:9], exec
	s_and_b64 s[4:5], s[4:5], exec
	s_or_b64 s[8:9], s[8:9], s[4:5]
.LBB139_309:
	s_or_b64 exec, exec, s[10:11]
	s_and_b64 exec, exec, s[8:9]
	s_cbranch_execz .LBB139_312
; %bb.310:
	v_lshlrev_b32_e32 v1, 2, v12
	s_mov_b64 s[4:5], 0
	v_mov_b32_e32 v13, 0
.LBB139_311:                            ; =>This Inner Loop Header: Depth=1
	v_lshlrev_b64 v[14:15], 2, v[12:13]
	ds_read_b32 v16, v1
	v_add_co_u32_e32 v14, vcc, v7, v14
	v_add_u32_e32 v12, 0x100, v12
	v_addc_co_u32_e32 v15, vcc, v54, v15, vcc
	v_cmp_ge_u32_e32 vcc, v12, v2
	v_add_u32_e32 v1, 0x400, v1
	s_or_b64 s[4:5], vcc, s[4:5]
	s_waitcnt lgkmcnt(0)
	global_store_dword v[14:15], v16, off
	s_andn2_b64 exec, exec, s[4:5]
	s_cbranch_execnz .LBB139_311
.LBB139_312:
	s_or_b64 exec, exec, s[6:7]
.LBB139_313:
	s_cmpk_lg_i32 s33, 0xf00
	s_cselect_b64 s[4:5], -1, 0
	s_and_b64 s[4:5], s[4:5], s[40:41]
	v_cndmask_b32_e64 v16, 0, 1, s[4:5]
	s_and_b64 s[4:5], s[38:39], s[42:43]
	v_cndmask_b32_e64 v12, v38, 0, s[4:5]
	s_mul_hi_u32 s4, s33, 0x88888889
	s_lshr_b32 s4, s4, 3
	v_mad_i32_i24 v13, v0, -15, s33
	v_cmp_eq_u32_e32 vcc, s4, v0
	v_cmp_ne_u32_e64 s[4:5], 0, v13
	v_cndmask_b32_e64 v14, 1, v12, s[4:5]
	v_cmp_ne_u32_e64 s[4:5], 1, v13
	v_cndmask_b32_e64 v15, 1, v39, s[4:5]
	;; [unrolled: 2-line block ×15, first 2 shown]
	s_and_b64 vcc, vcc, s[40:41]
	v_cndmask_b32_e32 v58, v58, v13, vcc
	v_cndmask_b32_e32 v27, v27, v55, vcc
	;; [unrolled: 1-line block ×15, first 2 shown]
	v_mov_b32_e32 v12, s57
	v_add_co_u32_e32 v10, vcc, s56, v10
	v_addc_co_u32_e32 v11, vcc, v12, v11, vcc
	v_cndmask_b32_e64 v1, 0, 1, s[42:43]
	v_add_co_u32_e32 v12, vcc, v10, v40
	v_addc_co_u32_e32 v13, vcc, v11, v41, vcc
	v_lshlrev_b32_e32 v10, 2, v1
	v_add_co_u32_e32 v10, vcc, v10, v12
	v_addc_co_u32_e32 v11, vcc, 0, v13, vcc
	v_add_co_u32_e32 v14, vcc, -4, v10
	v_addc_co_u32_e32 v15, vcc, -1, v11, vcc
	v_cmp_eq_u32_e32 vcc, 0, v30
	v_cndmask_b32_e64 v11, 1, 2, vcc
	v_cmp_eq_u32_e32 vcc, 0, v28
	v_cmp_ne_u32_e64 s[30:31], 0, v28
	v_cndmask_b32_e64 v28, 1, 2, vcc
	v_cmp_eq_u32_e32 vcc, 0, v17
	v_and_b32_e32 v11, v28, v11
	v_cmp_ne_u32_e64 s[28:29], 0, v17
	v_cndmask_b32_e64 v17, 1, 2, vcc
	v_cmp_eq_u32_e32 vcc, 0, v18
	v_and_b32_e32 v11, v11, v17
	v_cndmask_b32_e64 v17, 1, 2, vcc
	v_cmp_eq_u32_e32 vcc, 0, v19
	v_and_b32_e32 v11, v11, v17
	;; [unrolled: 3-line block ×9, first 2 shown]
	v_cndmask_b32_e64 v17, 1, 2, vcc
	v_cmp_eq_u32_e32 vcc, 0, v26
	v_sub_u32_e32 v7, v2, v1
	v_and_b32_e32 v11, v11, v17
	v_cndmask_b32_e64 v17, 1, 2, vcc
	v_cmp_eq_u32_e32 vcc, 0, v27
	v_add_u32_e32 v7, v7, v16
	v_and_b32_e32 v11, v11, v17
	v_cndmask_b32_e64 v17, 1, 2, vcc
	v_cmp_eq_u32_e32 vcc, 0, v58
	s_movk_i32 s36, 0x100
	v_and_b32_e32 v11, v11, v17
	v_cndmask_b32_e64 v17, 1, 2, vcc
	v_cmp_gt_u32_e32 vcc, s36, v7
	v_add_u32_e32 v10, v6, v1
	v_cmp_ne_u32_e64 s[34:35], 0, v30
	v_cmp_ne_u32_e64 s[26:27], 0, v18
	;; [unrolled: 1-line block ×13, first 2 shown]
	v_and_b32_e32 v11, v11, v17
	s_mov_b64 s[36:37], -1
	s_barrier
	s_cbranch_vccz .LBB139_350
; %bb.314:
	v_cmp_gt_i16_e32 vcc, 2, v11
	s_and_saveexec_b64 s[36:37], vcc
	s_cbranch_execz .LBB139_349
; %bb.315:
	v_cmp_ne_u16_e32 vcc, 1, v11
	s_mov_b64 s[42:43], 0
	s_and_saveexec_b64 s[38:39], vcc
	s_xor_b64 s[38:39], exec, s[38:39]
	s_cbranch_execz .LBB139_330
; %bb.316:
	s_and_saveexec_b64 s[42:43], s[34:35]
	s_cbranch_execz .LBB139_332
; %bb.317:
	v_sub_u32_e32 v18, v5, v10
	v_mov_b32_e32 v19, 0
	v_lshlrev_b64 v[18:19], 2, v[18:19]
	v_add_co_u32_e32 v18, vcc, v14, v18
	v_addc_co_u32_e32 v19, vcc, v15, v19, vcc
	global_store_dword v[18:19], v73, off
	s_or_b64 exec, exec, s[42:43]
	s_and_saveexec_b64 s[42:43], s[30:31]
	s_cbranch_execnz .LBB139_333
.LBB139_318:
	s_or_b64 exec, exec, s[42:43]
	s_and_saveexec_b64 s[42:43], s[28:29]
	s_cbranch_execz .LBB139_334
.LBB139_319:
	v_sub_u32_e32 v18, v52, v10
	v_mov_b32_e32 v19, 0
	v_lshlrev_b64 v[18:19], 2, v[18:19]
	v_add_co_u32_e32 v18, vcc, v14, v18
	v_addc_co_u32_e32 v19, vcc, v15, v19, vcc
	global_store_dword v[18:19], v71, off
	s_or_b64 exec, exec, s[42:43]
	s_and_saveexec_b64 s[42:43], s[26:27]
	s_cbranch_execnz .LBB139_335
.LBB139_320:
	s_or_b64 exec, exec, s[42:43]
	s_and_saveexec_b64 s[42:43], s[24:25]
	s_cbranch_execz .LBB139_336
.LBB139_321:
	v_sub_u32_e32 v18, v50, v10
	v_mov_b32_e32 v19, 0
	v_lshlrev_b64 v[18:19], 2, v[18:19]
	v_add_co_u32_e32 v18, vcc, v14, v18
	v_addc_co_u32_e32 v19, vcc, v15, v19, vcc
	global_store_dword v[18:19], v69, off
	s_or_b64 exec, exec, s[42:43]
	s_and_saveexec_b64 s[42:43], s[22:23]
	s_cbranch_execnz .LBB139_337
.LBB139_322:
	s_or_b64 exec, exec, s[42:43]
	s_and_saveexec_b64 s[42:43], s[20:21]
	s_cbranch_execz .LBB139_338
.LBB139_323:
	v_sub_u32_e32 v18, v48, v10
	v_mov_b32_e32 v19, 0
	v_lshlrev_b64 v[18:19], 2, v[18:19]
	v_add_co_u32_e32 v18, vcc, v14, v18
	v_addc_co_u32_e32 v19, vcc, v15, v19, vcc
	global_store_dword v[18:19], v67, off
	s_or_b64 exec, exec, s[42:43]
	s_and_saveexec_b64 s[42:43], s[18:19]
	s_cbranch_execnz .LBB139_339
.LBB139_324:
	s_or_b64 exec, exec, s[42:43]
	s_and_saveexec_b64 s[42:43], s[16:17]
	s_cbranch_execz .LBB139_340
.LBB139_325:
	v_sub_u32_e32 v18, v46, v10
	v_mov_b32_e32 v19, 0
	v_lshlrev_b64 v[18:19], 2, v[18:19]
	v_add_co_u32_e32 v18, vcc, v14, v18
	v_addc_co_u32_e32 v19, vcc, v15, v19, vcc
	global_store_dword v[18:19], v65, off
	s_or_b64 exec, exec, s[42:43]
	s_and_saveexec_b64 s[42:43], s[14:15]
	s_cbranch_execnz .LBB139_341
.LBB139_326:
	s_or_b64 exec, exec, s[42:43]
	s_and_saveexec_b64 s[42:43], s[12:13]
	s_cbranch_execz .LBB139_342
.LBB139_327:
	v_sub_u32_e32 v18, v44, v10
	v_mov_b32_e32 v19, 0
	v_lshlrev_b64 v[18:19], 2, v[18:19]
	v_add_co_u32_e32 v18, vcc, v14, v18
	v_addc_co_u32_e32 v19, vcc, v15, v19, vcc
	global_store_dword v[18:19], v63, off
	s_or_b64 exec, exec, s[42:43]
	s_and_saveexec_b64 s[42:43], s[10:11]
	s_cbranch_execnz .LBB139_343
.LBB139_328:
	s_or_b64 exec, exec, s[42:43]
	s_and_saveexec_b64 s[42:43], s[8:9]
	s_cbranch_execz .LBB139_344
.LBB139_329:
	v_sub_u32_e32 v18, v42, v10
	v_mov_b32_e32 v19, 0
	v_lshlrev_b64 v[18:19], 2, v[18:19]
	v_add_co_u32_e32 v18, vcc, v14, v18
	v_addc_co_u32_e32 v19, vcc, v15, v19, vcc
	global_store_dword v[18:19], v60, off
	s_or_b64 exec, exec, s[42:43]
	s_and_saveexec_b64 s[42:43], s[6:7]
	s_cbranch_execnz .LBB139_345
	s_branch .LBB139_346
.LBB139_330:
	s_andn2_saveexec_b64 s[38:39], s[38:39]
	s_cbranch_execz .LBB139_347
.LBB139_331:
	v_sub_u32_e32 v18, v5, v10
	v_mov_b32_e32 v19, 0
	v_lshlrev_b64 v[20:21], 2, v[18:19]
	v_add_co_u32_e32 v20, vcc, v14, v20
	v_addc_co_u32_e32 v21, vcc, v15, v21, vcc
	v_sub_u32_e32 v18, v53, v10
	global_store_dword v[20:21], v73, off
	v_lshlrev_b64 v[20:21], 2, v[18:19]
	v_add_co_u32_e32 v20, vcc, v14, v20
	v_addc_co_u32_e32 v21, vcc, v15, v21, vcc
	v_sub_u32_e32 v18, v52, v10
	global_store_dword v[20:21], v72, off
	;; [unrolled: 5-line block ×12, first 2 shown]
	v_lshlrev_b64 v[20:21], 2, v[18:19]
	v_add_co_u32_e32 v20, vcc, v14, v20
	v_sub_u32_e32 v18, v4, v10
	v_addc_co_u32_e32 v21, vcc, v15, v21, vcc
	v_lshlrev_b64 v[18:19], 2, v[18:19]
	v_add_co_u32_e32 v18, vcc, v14, v18
	v_addc_co_u32_e32 v19, vcc, v15, v19, vcc
	s_or_b64 s[42:43], s[42:43], exec
	global_store_dword v[20:21], v60, off
	global_store_dword v[18:19], v57, off
	s_or_b64 exec, exec, s[38:39]
	s_and_b64 exec, exec, s[42:43]
	s_cbranch_execnz .LBB139_348
	s_branch .LBB139_349
.LBB139_332:
	s_or_b64 exec, exec, s[42:43]
	s_and_saveexec_b64 s[42:43], s[30:31]
	s_cbranch_execz .LBB139_318
.LBB139_333:
	v_sub_u32_e32 v18, v53, v10
	v_mov_b32_e32 v19, 0
	v_lshlrev_b64 v[18:19], 2, v[18:19]
	v_add_co_u32_e32 v18, vcc, v14, v18
	v_addc_co_u32_e32 v19, vcc, v15, v19, vcc
	global_store_dword v[18:19], v72, off
	s_or_b64 exec, exec, s[42:43]
	s_and_saveexec_b64 s[42:43], s[28:29]
	s_cbranch_execnz .LBB139_319
.LBB139_334:
	s_or_b64 exec, exec, s[42:43]
	s_and_saveexec_b64 s[42:43], s[26:27]
	s_cbranch_execz .LBB139_320
.LBB139_335:
	v_sub_u32_e32 v18, v51, v10
	v_mov_b32_e32 v19, 0
	v_lshlrev_b64 v[18:19], 2, v[18:19]
	v_add_co_u32_e32 v18, vcc, v14, v18
	v_addc_co_u32_e32 v19, vcc, v15, v19, vcc
	global_store_dword v[18:19], v70, off
	s_or_b64 exec, exec, s[42:43]
	s_and_saveexec_b64 s[42:43], s[24:25]
	s_cbranch_execnz .LBB139_321
.LBB139_336:
	s_or_b64 exec, exec, s[42:43]
	s_and_saveexec_b64 s[42:43], s[22:23]
	s_cbranch_execz .LBB139_322
.LBB139_337:
	v_sub_u32_e32 v18, v49, v10
	v_mov_b32_e32 v19, 0
	v_lshlrev_b64 v[18:19], 2, v[18:19]
	v_add_co_u32_e32 v18, vcc, v14, v18
	v_addc_co_u32_e32 v19, vcc, v15, v19, vcc
	global_store_dword v[18:19], v68, off
	s_or_b64 exec, exec, s[42:43]
	s_and_saveexec_b64 s[42:43], s[20:21]
	s_cbranch_execnz .LBB139_323
.LBB139_338:
	s_or_b64 exec, exec, s[42:43]
	s_and_saveexec_b64 s[42:43], s[18:19]
	s_cbranch_execz .LBB139_324
.LBB139_339:
	v_sub_u32_e32 v18, v47, v10
	v_mov_b32_e32 v19, 0
	v_lshlrev_b64 v[18:19], 2, v[18:19]
	v_add_co_u32_e32 v18, vcc, v14, v18
	v_addc_co_u32_e32 v19, vcc, v15, v19, vcc
	global_store_dword v[18:19], v66, off
	s_or_b64 exec, exec, s[42:43]
	s_and_saveexec_b64 s[42:43], s[16:17]
	s_cbranch_execnz .LBB139_325
.LBB139_340:
	s_or_b64 exec, exec, s[42:43]
	s_and_saveexec_b64 s[42:43], s[14:15]
	s_cbranch_execz .LBB139_326
.LBB139_341:
	v_sub_u32_e32 v18, v45, v10
	v_mov_b32_e32 v19, 0
	v_lshlrev_b64 v[18:19], 2, v[18:19]
	v_add_co_u32_e32 v18, vcc, v14, v18
	v_addc_co_u32_e32 v19, vcc, v15, v19, vcc
	global_store_dword v[18:19], v64, off
	s_or_b64 exec, exec, s[42:43]
	s_and_saveexec_b64 s[42:43], s[12:13]
	s_cbranch_execnz .LBB139_327
.LBB139_342:
	s_or_b64 exec, exec, s[42:43]
	s_and_saveexec_b64 s[42:43], s[10:11]
	s_cbranch_execz .LBB139_328
.LBB139_343:
	v_sub_u32_e32 v18, v43, v10
	v_mov_b32_e32 v19, 0
	v_lshlrev_b64 v[18:19], 2, v[18:19]
	v_add_co_u32_e32 v18, vcc, v14, v18
	v_addc_co_u32_e32 v19, vcc, v15, v19, vcc
	global_store_dword v[18:19], v61, off
	s_or_b64 exec, exec, s[42:43]
	s_and_saveexec_b64 s[42:43], s[8:9]
	s_cbranch_execnz .LBB139_329
.LBB139_344:
	s_or_b64 exec, exec, s[42:43]
	s_and_saveexec_b64 s[42:43], s[6:7]
	s_cbranch_execz .LBB139_346
.LBB139_345:
	v_sub_u32_e32 v18, v4, v10
	v_mov_b32_e32 v19, 0
	v_lshlrev_b64 v[18:19], 2, v[18:19]
	v_add_co_u32_e32 v18, vcc, v14, v18
	v_addc_co_u32_e32 v19, vcc, v15, v19, vcc
	global_store_dword v[18:19], v57, off
.LBB139_346:
	s_or_b64 exec, exec, s[42:43]
	s_and_b64 s[42:43], s[4:5], exec
	s_andn2_saveexec_b64 s[38:39], s[38:39]
	s_cbranch_execnz .LBB139_331
.LBB139_347:
	s_or_b64 exec, exec, s[38:39]
	s_and_b64 exec, exec, s[42:43]
	s_cbranch_execz .LBB139_349
.LBB139_348:
	v_sub_u32_e32 v18, v3, v10
	v_mov_b32_e32 v19, 0
	v_lshlrev_b64 v[18:19], 2, v[18:19]
	v_add_co_u32_e32 v18, vcc, v14, v18
	v_addc_co_u32_e32 v19, vcc, v15, v19, vcc
	global_store_dword v[18:19], v62, off
.LBB139_349:
	s_or_b64 exec, exec, s[36:37]
	s_mov_b64 s[36:37], 0
.LBB139_350:
	s_and_b64 vcc, exec, s[36:37]
	s_cbranch_vccz .LBB139_402
; %bb.351:
	v_cmp_gt_i16_e32 vcc, 2, v11
	s_and_saveexec_b64 s[36:37], vcc
	s_cbranch_execz .LBB139_386
; %bb.352:
	v_cmp_ne_u16_e32 vcc, 1, v11
	s_mov_b64 s[42:43], 0
	s_and_saveexec_b64 s[38:39], vcc
	s_xor_b64 s[38:39], exec, s[38:39]
	s_cbranch_execz .LBB139_367
; %bb.353:
	s_and_saveexec_b64 s[42:43], s[34:35]
	s_cbranch_execz .LBB139_369
; %bb.354:
	v_sub_u32_e32 v5, v5, v10
	v_lshlrev_b32_e32 v5, 2, v5
	ds_write_b32 v5, v73
	s_or_b64 exec, exec, s[42:43]
	s_and_saveexec_b64 s[34:35], s[30:31]
	s_cbranch_execnz .LBB139_370
.LBB139_355:
	s_or_b64 exec, exec, s[34:35]
	s_and_saveexec_b64 s[30:31], s[28:29]
	s_cbranch_execz .LBB139_371
.LBB139_356:
	v_sub_u32_e32 v5, v52, v10
	v_lshlrev_b32_e32 v5, 2, v5
	ds_write_b32 v5, v71
	s_or_b64 exec, exec, s[30:31]
	s_and_saveexec_b64 s[28:29], s[26:27]
	s_cbranch_execnz .LBB139_372
.LBB139_357:
	s_or_b64 exec, exec, s[28:29]
	s_and_saveexec_b64 s[26:27], s[24:25]
	s_cbranch_execz .LBB139_373
.LBB139_358:
	v_sub_u32_e32 v5, v50, v10
	v_lshlrev_b32_e32 v5, 2, v5
	ds_write_b32 v5, v69
	s_or_b64 exec, exec, s[26:27]
	s_and_saveexec_b64 s[24:25], s[22:23]
	s_cbranch_execnz .LBB139_374
.LBB139_359:
	s_or_b64 exec, exec, s[24:25]
	s_and_saveexec_b64 s[22:23], s[20:21]
	s_cbranch_execz .LBB139_375
.LBB139_360:
	v_sub_u32_e32 v5, v48, v10
	v_lshlrev_b32_e32 v5, 2, v5
	ds_write_b32 v5, v67
	s_or_b64 exec, exec, s[22:23]
	s_and_saveexec_b64 s[20:21], s[18:19]
	s_cbranch_execnz .LBB139_376
.LBB139_361:
	s_or_b64 exec, exec, s[20:21]
	s_and_saveexec_b64 s[18:19], s[16:17]
	s_cbranch_execz .LBB139_377
.LBB139_362:
	v_sub_u32_e32 v5, v46, v10
	v_lshlrev_b32_e32 v5, 2, v5
	ds_write_b32 v5, v65
	s_or_b64 exec, exec, s[18:19]
	s_and_saveexec_b64 s[16:17], s[14:15]
	s_cbranch_execnz .LBB139_378
.LBB139_363:
	s_or_b64 exec, exec, s[16:17]
	s_and_saveexec_b64 s[14:15], s[12:13]
	s_cbranch_execz .LBB139_379
.LBB139_364:
	v_sub_u32_e32 v5, v44, v10
	v_lshlrev_b32_e32 v5, 2, v5
	ds_write_b32 v5, v63
	s_or_b64 exec, exec, s[14:15]
	s_and_saveexec_b64 s[12:13], s[10:11]
	s_cbranch_execnz .LBB139_380
.LBB139_365:
	s_or_b64 exec, exec, s[12:13]
	s_and_saveexec_b64 s[10:11], s[8:9]
	s_cbranch_execz .LBB139_381
.LBB139_366:
	v_sub_u32_e32 v5, v42, v10
	v_lshlrev_b32_e32 v5, 2, v5
	ds_write_b32 v5, v60
	s_or_b64 exec, exec, s[10:11]
	s_and_saveexec_b64 s[8:9], s[6:7]
	s_cbranch_execnz .LBB139_382
	s_branch .LBB139_383
.LBB139_367:
	s_andn2_saveexec_b64 s[4:5], s[38:39]
	s_cbranch_execz .LBB139_384
.LBB139_368:
	v_sub_u32_e32 v5, v5, v10
	v_lshlrev_b32_e32 v5, 2, v5
	ds_write_b32 v5, v73
	v_sub_u32_e32 v5, v53, v10
	v_lshlrev_b32_e32 v5, 2, v5
	ds_write_b32 v5, v72
	;; [unrolled: 3-line block ×12, first 2 shown]
	v_sub_u32_e32 v5, v42, v10
	v_sub_u32_e32 v4, v4, v10
	v_lshlrev_b32_e32 v5, 2, v5
	v_lshlrev_b32_e32 v4, 2, v4
	s_or_b64 s[42:43], s[42:43], exec
	ds_write_b32 v5, v60
	ds_write_b32 v4, v57
	s_or_b64 exec, exec, s[4:5]
	s_and_b64 exec, exec, s[42:43]
	s_cbranch_execnz .LBB139_385
	s_branch .LBB139_386
.LBB139_369:
	s_or_b64 exec, exec, s[42:43]
	s_and_saveexec_b64 s[34:35], s[30:31]
	s_cbranch_execz .LBB139_355
.LBB139_370:
	v_sub_u32_e32 v5, v53, v10
	v_lshlrev_b32_e32 v5, 2, v5
	ds_write_b32 v5, v72
	s_or_b64 exec, exec, s[34:35]
	s_and_saveexec_b64 s[30:31], s[28:29]
	s_cbranch_execnz .LBB139_356
.LBB139_371:
	s_or_b64 exec, exec, s[30:31]
	s_and_saveexec_b64 s[28:29], s[26:27]
	s_cbranch_execz .LBB139_357
.LBB139_372:
	v_sub_u32_e32 v5, v51, v10
	v_lshlrev_b32_e32 v5, 2, v5
	ds_write_b32 v5, v70
	s_or_b64 exec, exec, s[28:29]
	s_and_saveexec_b64 s[26:27], s[24:25]
	s_cbranch_execnz .LBB139_358
.LBB139_373:
	s_or_b64 exec, exec, s[26:27]
	s_and_saveexec_b64 s[24:25], s[22:23]
	s_cbranch_execz .LBB139_359
.LBB139_374:
	v_sub_u32_e32 v5, v49, v10
	v_lshlrev_b32_e32 v5, 2, v5
	ds_write_b32 v5, v68
	s_or_b64 exec, exec, s[24:25]
	s_and_saveexec_b64 s[22:23], s[20:21]
	s_cbranch_execnz .LBB139_360
.LBB139_375:
	s_or_b64 exec, exec, s[22:23]
	s_and_saveexec_b64 s[20:21], s[18:19]
	s_cbranch_execz .LBB139_361
.LBB139_376:
	v_sub_u32_e32 v5, v47, v10
	v_lshlrev_b32_e32 v5, 2, v5
	ds_write_b32 v5, v66
	s_or_b64 exec, exec, s[20:21]
	s_and_saveexec_b64 s[18:19], s[16:17]
	s_cbranch_execnz .LBB139_362
.LBB139_377:
	s_or_b64 exec, exec, s[18:19]
	s_and_saveexec_b64 s[16:17], s[14:15]
	s_cbranch_execz .LBB139_363
.LBB139_378:
	v_sub_u32_e32 v5, v45, v10
	v_lshlrev_b32_e32 v5, 2, v5
	ds_write_b32 v5, v64
	s_or_b64 exec, exec, s[16:17]
	s_and_saveexec_b64 s[14:15], s[12:13]
	s_cbranch_execnz .LBB139_364
.LBB139_379:
	s_or_b64 exec, exec, s[14:15]
	s_and_saveexec_b64 s[12:13], s[10:11]
	s_cbranch_execz .LBB139_365
.LBB139_380:
	v_sub_u32_e32 v5, v43, v10
	v_lshlrev_b32_e32 v5, 2, v5
	ds_write_b32 v5, v61
	s_or_b64 exec, exec, s[12:13]
	s_and_saveexec_b64 s[10:11], s[8:9]
	s_cbranch_execnz .LBB139_366
.LBB139_381:
	s_or_b64 exec, exec, s[10:11]
	s_and_saveexec_b64 s[8:9], s[6:7]
	s_cbranch_execz .LBB139_383
.LBB139_382:
	v_sub_u32_e32 v4, v4, v10
	v_lshlrev_b32_e32 v4, 2, v4
	ds_write_b32 v4, v57
.LBB139_383:
	s_or_b64 exec, exec, s[8:9]
	s_and_b64 s[42:43], s[4:5], exec
                                        ; implicit-def: $vgpr57
                                        ; implicit-def: $vgpr60
                                        ; implicit-def: $vgpr61
                                        ; implicit-def: $vgpr63
                                        ; implicit-def: $vgpr64
                                        ; implicit-def: $vgpr65
                                        ; implicit-def: $vgpr66
                                        ; implicit-def: $vgpr67
                                        ; implicit-def: $vgpr68
                                        ; implicit-def: $vgpr69
                                        ; implicit-def: $vgpr70
                                        ; implicit-def: $vgpr71
                                        ; implicit-def: $vgpr72
                                        ; implicit-def: $vgpr73
                                        ; implicit-def: $vgpr53
                                        ; implicit-def: $vgpr52
                                        ; implicit-def: $vgpr51
                                        ; implicit-def: $vgpr50
                                        ; implicit-def: $vgpr49
                                        ; implicit-def: $vgpr48
                                        ; implicit-def: $vgpr47
                                        ; implicit-def: $vgpr46
                                        ; implicit-def: $vgpr45
                                        ; implicit-def: $vgpr44
                                        ; implicit-def: $vgpr43
                                        ; implicit-def: $vgpr42
                                        ; implicit-def: $vgpr4
	s_andn2_saveexec_b64 s[4:5], s[38:39]
	s_cbranch_execnz .LBB139_368
.LBB139_384:
	s_or_b64 exec, exec, s[4:5]
	s_and_b64 exec, exec, s[42:43]
	s_cbranch_execz .LBB139_386
.LBB139_385:
	v_sub_u32_e32 v3, v3, v10
	v_lshlrev_b32_e32 v3, 2, v3
	ds_write_b32 v3, v62
.LBB139_386:
	s_or_b64 exec, exec, s[36:37]
	v_cmp_lt_u32_e32 vcc, v0, v7
	s_waitcnt lgkmcnt(0)
	s_barrier
	s_and_saveexec_b64 s[6:7], vcc
	s_cbranch_execz .LBB139_401
; %bb.387:
	v_add_u32_e32 v5, v2, v16
	v_xad_u32 v3, v0, -1, v5
	v_sub_u32_e32 v3, v3, v1
	s_movk_i32 s4, 0x1900
	v_cmp_gt_u32_e64 s[8:9], s4, v3
	s_movk_i32 s4, 0x18ff
	v_cmp_lt_u32_e32 vcc, s4, v3
	v_mov_b32_e32 v4, v0
	s_and_saveexec_b64 s[10:11], vcc
	s_cbranch_execz .LBB139_398
; %bb.388:
	v_sub_u32_e32 v4, v0, v5
	v_add_u32_e32 v1, v4, v1
	v_or_b32_e32 v1, 0xff, v1
	v_cmp_ge_u32_e32 vcc, v1, v0
	s_mov_b64 s[4:5], -1
	v_mov_b32_e32 v4, v0
	s_and_saveexec_b64 s[12:13], vcc
	s_cbranch_execz .LBB139_397
; %bb.389:
	v_lshrrev_b32_e32 v3, 8, v3
	v_add_u32_e32 v4, -1, v3
	v_or_b32_e32 v1, 0x100, v0
	v_lshrrev_b32_e32 v5, 1, v4
	v_add_u32_e32 v16, 1, v5
	v_cmp_lt_u32_e32 vcc, 13, v4
	v_mov_b32_e32 v19, 0
	v_pk_mov_b32 v[4:5], v[0:1], v[0:1] op_sel:[0,1]
	s_and_saveexec_b64 s[14:15], vcc
	s_cbranch_execz .LBB139_393
; %bb.390:
	v_and_b32_e32 v17, -8, v16
	v_lshlrev_b32_e32 v18, 2, v0
	s_mov_b32 s18, 0
	s_mov_b64 s[16:17], 0
	v_mov_b32_e32 v11, 0
	v_pk_mov_b32 v[4:5], v[0:1], v[0:1] op_sel:[0,1]
.LBB139_391:                            ; =>This Inner Loop Header: Depth=1
	v_mov_b32_e32 v10, v4
	v_add_u32_e32 v17, -8, v17
	v_lshlrev_b64 v[50:51], 2, v[10:11]
	v_mov_b32_e32 v10, v5
	ds_read2st64_b32 v[20:21], v18 offset1:4
	s_add_i32 s18, s18, 16
	v_cmp_eq_u32_e32 vcc, 0, v17
	v_lshlrev_b64 v[52:53], 2, v[10:11]
	v_add_u32_e32 v10, 0x200, v4
	s_or_b64 s[16:17], vcc, s[16:17]
	v_add_co_u32_e32 v52, vcc, v14, v52
	v_add_u32_e32 v22, 0x200, v5
	v_mov_b32_e32 v23, v11
	ds_read2st64_b32 v[24:25], v18 offset0:8 offset1:12
	ds_read2st64_b32 v[28:29], v18 offset0:16 offset1:20
	v_add_co_u32_e64 v50, s[4:5], v14, v50
	v_addc_co_u32_e32 v53, vcc, v15, v53, vcc
	v_lshlrev_b64 v[54:55], 2, v[10:11]
	v_lshlrev_b64 v[22:23], 2, v[22:23]
	v_addc_co_u32_e64 v51, s[4:5], v15, v51, s[4:5]
	v_add_u32_e32 v10, 0x400, v4
	v_add_co_u32_e32 v54, vcc, v14, v54
	v_add_u32_e32 v26, 0x400, v5
	v_mov_b32_e32 v27, v11
	ds_read2st64_b32 v[32:33], v18 offset0:24 offset1:28
	v_add_co_u32_e64 v22, s[4:5], v14, v22
	v_addc_co_u32_e32 v55, vcc, v15, v55, vcc
	v_lshlrev_b64 v[58:59], 2, v[10:11]
	ds_read2st64_b32 v[36:37], v18 offset0:32 offset1:36
	ds_read2st64_b32 v[40:41], v18 offset0:40 offset1:44
	;; [unrolled: 1-line block ×4, first 2 shown]
	v_lshlrev_b64 v[26:27], 2, v[26:27]
	v_addc_co_u32_e64 v23, s[4:5], v15, v23, s[4:5]
	v_add_u32_e32 v10, 0x600, v4
	s_waitcnt lgkmcnt(7)
	global_store_dword v[50:51], v20, off
	global_store_dword v[52:53], v21, off
	s_waitcnt lgkmcnt(6)
	global_store_dword v[54:55], v24, off
	global_store_dword v[22:23], v25, off
	v_add_co_u32_e32 v20, vcc, v14, v58
	v_add_u32_e32 v30, 0x600, v5
	v_mov_b32_e32 v31, v11
	v_add_co_u32_e64 v26, s[4:5], v14, v26
	v_addc_co_u32_e32 v21, vcc, v15, v59, vcc
	v_lshlrev_b64 v[22:23], 2, v[10:11]
	v_lshlrev_b64 v[30:31], 2, v[30:31]
	v_addc_co_u32_e64 v27, s[4:5], v15, v27, s[4:5]
	v_add_u32_e32 v10, 0x800, v4
	s_waitcnt lgkmcnt(5)
	global_store_dword v[20:21], v28, off
	global_store_dword v[26:27], v29, off
	v_add_co_u32_e32 v20, vcc, v14, v22
	v_add_u32_e32 v34, 0x800, v5
	v_mov_b32_e32 v35, v11
	v_add_co_u32_e64 v30, s[4:5], v14, v30
	v_addc_co_u32_e32 v21, vcc, v15, v23, vcc
	v_lshlrev_b64 v[22:23], 2, v[10:11]
	v_lshlrev_b64 v[34:35], 2, v[34:35]
	v_addc_co_u32_e64 v31, s[4:5], v15, v31, s[4:5]
	v_add_u32_e32 v10, 0xa00, v4
	;; [unrolled: 12-line block ×4, first 2 shown]
	s_waitcnt lgkmcnt(2)
	global_store_dword v[20:21], v40, off
	global_store_dword v[38:39], v41, off
	v_add_co_u32_e32 v20, vcc, v14, v22
	v_add_u32_e32 v46, 0xe00, v5
	v_mov_b32_e32 v47, v11
	v_add_co_u32_e64 v42, s[4:5], v14, v42
	v_addc_co_u32_e32 v21, vcc, v15, v23, vcc
	v_lshlrev_b64 v[22:23], 2, v[10:11]
	v_lshlrev_b64 v[46:47], 2, v[46:47]
	v_addc_co_u32_e64 v43, s[4:5], v15, v43, s[4:5]
	s_waitcnt lgkmcnt(1)
	global_store_dword v[20:21], v44, off
	global_store_dword v[42:43], v45, off
	v_add_co_u32_e32 v20, vcc, v14, v22
	v_add_u32_e32 v18, 0x4000, v18
	v_add_u32_e32 v5, 0x1000, v5
	v_mov_b32_e32 v19, s18
	v_add_co_u32_e64 v46, s[4:5], v14, v46
	v_add_u32_e32 v4, 0x1000, v4
	v_addc_co_u32_e32 v21, vcc, v15, v23, vcc
	v_addc_co_u32_e64 v47, s[4:5], v15, v47, s[4:5]
	s_waitcnt lgkmcnt(0)
	global_store_dword v[20:21], v48, off
	global_store_dword v[46:47], v49, off
	s_andn2_b64 exec, exec, s[16:17]
	s_cbranch_execnz .LBB139_391
; %bb.392:
	s_or_b64 exec, exec, s[16:17]
.LBB139_393:
	s_or_b64 exec, exec, s[14:15]
	v_and_b32_e32 v1, 7, v16
	v_cmp_ne_u32_e32 vcc, 0, v1
	s_and_saveexec_b64 s[14:15], vcc
	s_cbranch_execz .LBB139_396
; %bb.394:
	v_lshlrev_b32_e32 v10, 2, v0
	v_lshl_or_b32 v16, v19, 10, v10
	s_mov_b64 s[16:17], 0
	v_mov_b32_e32 v11, 0
.LBB139_395:                            ; =>This Inner Loop Header: Depth=1
	ds_read2st64_b32 v[18:19], v16 offset1:4
	v_mov_b32_e32 v10, v4
	v_add_u32_e32 v1, -1, v1
	v_lshlrev_b64 v[20:21], 2, v[10:11]
	v_mov_b32_e32 v10, v5
	v_cmp_eq_u32_e32 vcc, 0, v1
	v_add_co_u32_e64 v20, s[4:5], v14, v20
	v_lshlrev_b64 v[22:23], 2, v[10:11]
	v_add_u32_e32 v4, 0x200, v4
	v_add_u32_e32 v16, 0x800, v16
	;; [unrolled: 1-line block ×3, first 2 shown]
	v_addc_co_u32_e64 v21, s[4:5], v15, v21, s[4:5]
	s_or_b64 s[16:17], vcc, s[16:17]
	v_add_co_u32_e32 v22, vcc, v14, v22
	v_addc_co_u32_e32 v23, vcc, v15, v23, vcc
	s_waitcnt lgkmcnt(0)
	global_store_dword v[20:21], v18, off
	global_store_dword v[22:23], v19, off
	s_andn2_b64 exec, exec, s[16:17]
	s_cbranch_execnz .LBB139_395
.LBB139_396:
	s_or_b64 exec, exec, s[14:15]
	v_add_u32_e32 v1, 1, v3
	v_and_b32_e32 v3, 0x1fffffe, v1
	v_cmp_ne_u32_e32 vcc, v1, v3
	v_lshl_or_b32 v4, v3, 8, v0
	s_orn2_b64 s[4:5], vcc, exec
.LBB139_397:
	s_or_b64 exec, exec, s[12:13]
	s_andn2_b64 s[8:9], s[8:9], exec
	s_and_b64 s[4:5], s[4:5], exec
	s_or_b64 s[8:9], s[8:9], s[4:5]
.LBB139_398:
	s_or_b64 exec, exec, s[10:11]
	s_and_b64 exec, exec, s[8:9]
	s_cbranch_execz .LBB139_401
; %bb.399:
	v_lshlrev_b32_e32 v1, 2, v4
	s_mov_b64 s[4:5], 0
	v_mov_b32_e32 v5, 0
.LBB139_400:                            ; =>This Inner Loop Header: Depth=1
	v_lshlrev_b64 v[10:11], 2, v[4:5]
	ds_read_b32 v3, v1
	v_add_co_u32_e32 v10, vcc, v14, v10
	v_add_u32_e32 v4, 0x100, v4
	v_addc_co_u32_e32 v11, vcc, v15, v11, vcc
	v_cmp_ge_u32_e32 vcc, v4, v7
	v_add_u32_e32 v1, 0x400, v1
	s_or_b64 s[4:5], vcc, s[4:5]
	s_waitcnt lgkmcnt(0)
	global_store_dword v[10:11], v3, off
	s_andn2_b64 exec, exec, s[4:5]
	s_cbranch_execnz .LBB139_400
.LBB139_401:
	s_or_b64 exec, exec, s[6:7]
.LBB139_402:
	s_movk_i32 s4, 0xff
	v_cmp_eq_u32_e32 vcc, s4, v0
	s_and_b64 s[4:5], vcc, s[40:41]
	s_and_b64 exec, exec, s[4:5]
	s_cbranch_execz .LBB139_405
; %bb.403:
	v_add_co_u32_e32 v0, vcc, v2, v6
	v_addc_co_u32_e64 v1, s[4:5], 0, 0, vcc
	v_add_co_u32_e32 v0, vcc, v0, v8
	v_mov_b32_e32 v3, 0
	v_addc_co_u32_e32 v1, vcc, v1, v9, vcc
	s_cmpk_lg_i32 s33, 0xf00
	global_store_dwordx2 v3, v[0:1], s[58:59]
	s_cbranch_scc1 .LBB139_405
; %bb.404:
	v_lshlrev_b64 v[0:1], 2, v[2:3]
	v_add_co_u32_e32 v0, vcc, v12, v0
	v_addc_co_u32_e32 v1, vcc, v13, v1, vcc
	global_store_dword v[0:1], v56, off offset:-4
	s_endpgm
.LBB139_405:
	s_endpgm
	.section	.rodata,"a",@progbits
	.p2align	6, 0x0
	.amdhsa_kernel _ZN7rocprim17ROCPRIM_400000_NS6detail17trampoline_kernelINS0_14default_configENS1_29reduce_by_key_config_selectorIffN6thrust23THRUST_200600_302600_NS4plusIfEEEEZZNS1_33reduce_by_key_impl_wrapped_configILNS1_25lookback_scan_determinismE1ES3_S9_NS6_6detail15normal_iteratorINS6_10device_ptrIfEEEESG_SG_SG_PmS8_22is_equal_div_10_reduceIfEEE10hipError_tPvRmT2_T3_mT4_T5_T6_T7_T8_P12ihipStream_tbENKUlT_T0_E_clISt17integral_constantIbLb1EES11_EEDaSW_SX_EUlSW_E_NS1_11comp_targetILNS1_3genE4ELNS1_11target_archE910ELNS1_3gpuE8ELNS1_3repE0EEENS1_30default_config_static_selectorELNS0_4arch9wavefront6targetE1EEEvT1_
		.amdhsa_group_segment_fixed_size 15360
		.amdhsa_private_segment_fixed_size 48
		.amdhsa_kernarg_size 120
		.amdhsa_user_sgpr_count 8
		.amdhsa_user_sgpr_private_segment_buffer 1
		.amdhsa_user_sgpr_dispatch_ptr 0
		.amdhsa_user_sgpr_queue_ptr 0
		.amdhsa_user_sgpr_kernarg_segment_ptr 1
		.amdhsa_user_sgpr_dispatch_id 0
		.amdhsa_user_sgpr_flat_scratch_init 1
		.amdhsa_user_sgpr_kernarg_preload_length 0
		.amdhsa_user_sgpr_kernarg_preload_offset 0
		.amdhsa_user_sgpr_private_segment_size 0
		.amdhsa_uses_dynamic_stack 0
		.amdhsa_system_sgpr_private_segment_wavefront_offset 1
		.amdhsa_system_sgpr_workgroup_id_x 1
		.amdhsa_system_sgpr_workgroup_id_y 0
		.amdhsa_system_sgpr_workgroup_id_z 0
		.amdhsa_system_sgpr_workgroup_info 0
		.amdhsa_system_vgpr_workitem_id 0
		.amdhsa_next_free_vgpr 108
		.amdhsa_next_free_sgpr 76
		.amdhsa_accum_offset 108
		.amdhsa_reserve_vcc 1
		.amdhsa_reserve_flat_scratch 1
		.amdhsa_float_round_mode_32 0
		.amdhsa_float_round_mode_16_64 0
		.amdhsa_float_denorm_mode_32 3
		.amdhsa_float_denorm_mode_16_64 3
		.amdhsa_dx10_clamp 1
		.amdhsa_ieee_mode 1
		.amdhsa_fp16_overflow 0
		.amdhsa_tg_split 0
		.amdhsa_exception_fp_ieee_invalid_op 0
		.amdhsa_exception_fp_denorm_src 0
		.amdhsa_exception_fp_ieee_div_zero 0
		.amdhsa_exception_fp_ieee_overflow 0
		.amdhsa_exception_fp_ieee_underflow 0
		.amdhsa_exception_fp_ieee_inexact 0
		.amdhsa_exception_int_div_zero 0
	.end_amdhsa_kernel
	.section	.text._ZN7rocprim17ROCPRIM_400000_NS6detail17trampoline_kernelINS0_14default_configENS1_29reduce_by_key_config_selectorIffN6thrust23THRUST_200600_302600_NS4plusIfEEEEZZNS1_33reduce_by_key_impl_wrapped_configILNS1_25lookback_scan_determinismE1ES3_S9_NS6_6detail15normal_iteratorINS6_10device_ptrIfEEEESG_SG_SG_PmS8_22is_equal_div_10_reduceIfEEE10hipError_tPvRmT2_T3_mT4_T5_T6_T7_T8_P12ihipStream_tbENKUlT_T0_E_clISt17integral_constantIbLb1EES11_EEDaSW_SX_EUlSW_E_NS1_11comp_targetILNS1_3genE4ELNS1_11target_archE910ELNS1_3gpuE8ELNS1_3repE0EEENS1_30default_config_static_selectorELNS0_4arch9wavefront6targetE1EEEvT1_,"axG",@progbits,_ZN7rocprim17ROCPRIM_400000_NS6detail17trampoline_kernelINS0_14default_configENS1_29reduce_by_key_config_selectorIffN6thrust23THRUST_200600_302600_NS4plusIfEEEEZZNS1_33reduce_by_key_impl_wrapped_configILNS1_25lookback_scan_determinismE1ES3_S9_NS6_6detail15normal_iteratorINS6_10device_ptrIfEEEESG_SG_SG_PmS8_22is_equal_div_10_reduceIfEEE10hipError_tPvRmT2_T3_mT4_T5_T6_T7_T8_P12ihipStream_tbENKUlT_T0_E_clISt17integral_constantIbLb1EES11_EEDaSW_SX_EUlSW_E_NS1_11comp_targetILNS1_3genE4ELNS1_11target_archE910ELNS1_3gpuE8ELNS1_3repE0EEENS1_30default_config_static_selectorELNS0_4arch9wavefront6targetE1EEEvT1_,comdat
.Lfunc_end139:
	.size	_ZN7rocprim17ROCPRIM_400000_NS6detail17trampoline_kernelINS0_14default_configENS1_29reduce_by_key_config_selectorIffN6thrust23THRUST_200600_302600_NS4plusIfEEEEZZNS1_33reduce_by_key_impl_wrapped_configILNS1_25lookback_scan_determinismE1ES3_S9_NS6_6detail15normal_iteratorINS6_10device_ptrIfEEEESG_SG_SG_PmS8_22is_equal_div_10_reduceIfEEE10hipError_tPvRmT2_T3_mT4_T5_T6_T7_T8_P12ihipStream_tbENKUlT_T0_E_clISt17integral_constantIbLb1EES11_EEDaSW_SX_EUlSW_E_NS1_11comp_targetILNS1_3genE4ELNS1_11target_archE910ELNS1_3gpuE8ELNS1_3repE0EEENS1_30default_config_static_selectorELNS0_4arch9wavefront6targetE1EEEvT1_, .Lfunc_end139-_ZN7rocprim17ROCPRIM_400000_NS6detail17trampoline_kernelINS0_14default_configENS1_29reduce_by_key_config_selectorIffN6thrust23THRUST_200600_302600_NS4plusIfEEEEZZNS1_33reduce_by_key_impl_wrapped_configILNS1_25lookback_scan_determinismE1ES3_S9_NS6_6detail15normal_iteratorINS6_10device_ptrIfEEEESG_SG_SG_PmS8_22is_equal_div_10_reduceIfEEE10hipError_tPvRmT2_T3_mT4_T5_T6_T7_T8_P12ihipStream_tbENKUlT_T0_E_clISt17integral_constantIbLb1EES11_EEDaSW_SX_EUlSW_E_NS1_11comp_targetILNS1_3genE4ELNS1_11target_archE910ELNS1_3gpuE8ELNS1_3repE0EEENS1_30default_config_static_selectorELNS0_4arch9wavefront6targetE1EEEvT1_
                                        ; -- End function
	.section	.AMDGPU.csdata,"",@progbits
; Kernel info:
; codeLenInByte = 20620
; NumSgprs: 82
; NumVgprs: 108
; NumAgprs: 0
; TotalNumVgprs: 108
; ScratchSize: 48
; MemoryBound: 0
; FloatMode: 240
; IeeeMode: 1
; LDSByteSize: 15360 bytes/workgroup (compile time only)
; SGPRBlocks: 10
; VGPRBlocks: 13
; NumSGPRsForWavesPerEU: 82
; NumVGPRsForWavesPerEU: 108
; AccumOffset: 108
; Occupancy: 4
; WaveLimiterHint : 1
; COMPUTE_PGM_RSRC2:SCRATCH_EN: 1
; COMPUTE_PGM_RSRC2:USER_SGPR: 8
; COMPUTE_PGM_RSRC2:TRAP_HANDLER: 0
; COMPUTE_PGM_RSRC2:TGID_X_EN: 1
; COMPUTE_PGM_RSRC2:TGID_Y_EN: 0
; COMPUTE_PGM_RSRC2:TGID_Z_EN: 0
; COMPUTE_PGM_RSRC2:TIDIG_COMP_CNT: 0
; COMPUTE_PGM_RSRC3_GFX90A:ACCUM_OFFSET: 26
; COMPUTE_PGM_RSRC3_GFX90A:TG_SPLIT: 0
	.section	.text._ZN7rocprim17ROCPRIM_400000_NS6detail17trampoline_kernelINS0_14default_configENS1_29reduce_by_key_config_selectorIffN6thrust23THRUST_200600_302600_NS4plusIfEEEEZZNS1_33reduce_by_key_impl_wrapped_configILNS1_25lookback_scan_determinismE1ES3_S9_NS6_6detail15normal_iteratorINS6_10device_ptrIfEEEESG_SG_SG_PmS8_22is_equal_div_10_reduceIfEEE10hipError_tPvRmT2_T3_mT4_T5_T6_T7_T8_P12ihipStream_tbENKUlT_T0_E_clISt17integral_constantIbLb1EES11_EEDaSW_SX_EUlSW_E_NS1_11comp_targetILNS1_3genE3ELNS1_11target_archE908ELNS1_3gpuE7ELNS1_3repE0EEENS1_30default_config_static_selectorELNS0_4arch9wavefront6targetE1EEEvT1_,"axG",@progbits,_ZN7rocprim17ROCPRIM_400000_NS6detail17trampoline_kernelINS0_14default_configENS1_29reduce_by_key_config_selectorIffN6thrust23THRUST_200600_302600_NS4plusIfEEEEZZNS1_33reduce_by_key_impl_wrapped_configILNS1_25lookback_scan_determinismE1ES3_S9_NS6_6detail15normal_iteratorINS6_10device_ptrIfEEEESG_SG_SG_PmS8_22is_equal_div_10_reduceIfEEE10hipError_tPvRmT2_T3_mT4_T5_T6_T7_T8_P12ihipStream_tbENKUlT_T0_E_clISt17integral_constantIbLb1EES11_EEDaSW_SX_EUlSW_E_NS1_11comp_targetILNS1_3genE3ELNS1_11target_archE908ELNS1_3gpuE7ELNS1_3repE0EEENS1_30default_config_static_selectorELNS0_4arch9wavefront6targetE1EEEvT1_,comdat
	.protected	_ZN7rocprim17ROCPRIM_400000_NS6detail17trampoline_kernelINS0_14default_configENS1_29reduce_by_key_config_selectorIffN6thrust23THRUST_200600_302600_NS4plusIfEEEEZZNS1_33reduce_by_key_impl_wrapped_configILNS1_25lookback_scan_determinismE1ES3_S9_NS6_6detail15normal_iteratorINS6_10device_ptrIfEEEESG_SG_SG_PmS8_22is_equal_div_10_reduceIfEEE10hipError_tPvRmT2_T3_mT4_T5_T6_T7_T8_P12ihipStream_tbENKUlT_T0_E_clISt17integral_constantIbLb1EES11_EEDaSW_SX_EUlSW_E_NS1_11comp_targetILNS1_3genE3ELNS1_11target_archE908ELNS1_3gpuE7ELNS1_3repE0EEENS1_30default_config_static_selectorELNS0_4arch9wavefront6targetE1EEEvT1_ ; -- Begin function _ZN7rocprim17ROCPRIM_400000_NS6detail17trampoline_kernelINS0_14default_configENS1_29reduce_by_key_config_selectorIffN6thrust23THRUST_200600_302600_NS4plusIfEEEEZZNS1_33reduce_by_key_impl_wrapped_configILNS1_25lookback_scan_determinismE1ES3_S9_NS6_6detail15normal_iteratorINS6_10device_ptrIfEEEESG_SG_SG_PmS8_22is_equal_div_10_reduceIfEEE10hipError_tPvRmT2_T3_mT4_T5_T6_T7_T8_P12ihipStream_tbENKUlT_T0_E_clISt17integral_constantIbLb1EES11_EEDaSW_SX_EUlSW_E_NS1_11comp_targetILNS1_3genE3ELNS1_11target_archE908ELNS1_3gpuE7ELNS1_3repE0EEENS1_30default_config_static_selectorELNS0_4arch9wavefront6targetE1EEEvT1_
	.globl	_ZN7rocprim17ROCPRIM_400000_NS6detail17trampoline_kernelINS0_14default_configENS1_29reduce_by_key_config_selectorIffN6thrust23THRUST_200600_302600_NS4plusIfEEEEZZNS1_33reduce_by_key_impl_wrapped_configILNS1_25lookback_scan_determinismE1ES3_S9_NS6_6detail15normal_iteratorINS6_10device_ptrIfEEEESG_SG_SG_PmS8_22is_equal_div_10_reduceIfEEE10hipError_tPvRmT2_T3_mT4_T5_T6_T7_T8_P12ihipStream_tbENKUlT_T0_E_clISt17integral_constantIbLb1EES11_EEDaSW_SX_EUlSW_E_NS1_11comp_targetILNS1_3genE3ELNS1_11target_archE908ELNS1_3gpuE7ELNS1_3repE0EEENS1_30default_config_static_selectorELNS0_4arch9wavefront6targetE1EEEvT1_
	.p2align	8
	.type	_ZN7rocprim17ROCPRIM_400000_NS6detail17trampoline_kernelINS0_14default_configENS1_29reduce_by_key_config_selectorIffN6thrust23THRUST_200600_302600_NS4plusIfEEEEZZNS1_33reduce_by_key_impl_wrapped_configILNS1_25lookback_scan_determinismE1ES3_S9_NS6_6detail15normal_iteratorINS6_10device_ptrIfEEEESG_SG_SG_PmS8_22is_equal_div_10_reduceIfEEE10hipError_tPvRmT2_T3_mT4_T5_T6_T7_T8_P12ihipStream_tbENKUlT_T0_E_clISt17integral_constantIbLb1EES11_EEDaSW_SX_EUlSW_E_NS1_11comp_targetILNS1_3genE3ELNS1_11target_archE908ELNS1_3gpuE7ELNS1_3repE0EEENS1_30default_config_static_selectorELNS0_4arch9wavefront6targetE1EEEvT1_,@function
_ZN7rocprim17ROCPRIM_400000_NS6detail17trampoline_kernelINS0_14default_configENS1_29reduce_by_key_config_selectorIffN6thrust23THRUST_200600_302600_NS4plusIfEEEEZZNS1_33reduce_by_key_impl_wrapped_configILNS1_25lookback_scan_determinismE1ES3_S9_NS6_6detail15normal_iteratorINS6_10device_ptrIfEEEESG_SG_SG_PmS8_22is_equal_div_10_reduceIfEEE10hipError_tPvRmT2_T3_mT4_T5_T6_T7_T8_P12ihipStream_tbENKUlT_T0_E_clISt17integral_constantIbLb1EES11_EEDaSW_SX_EUlSW_E_NS1_11comp_targetILNS1_3genE3ELNS1_11target_archE908ELNS1_3gpuE7ELNS1_3repE0EEENS1_30default_config_static_selectorELNS0_4arch9wavefront6targetE1EEEvT1_: ; @_ZN7rocprim17ROCPRIM_400000_NS6detail17trampoline_kernelINS0_14default_configENS1_29reduce_by_key_config_selectorIffN6thrust23THRUST_200600_302600_NS4plusIfEEEEZZNS1_33reduce_by_key_impl_wrapped_configILNS1_25lookback_scan_determinismE1ES3_S9_NS6_6detail15normal_iteratorINS6_10device_ptrIfEEEESG_SG_SG_PmS8_22is_equal_div_10_reduceIfEEE10hipError_tPvRmT2_T3_mT4_T5_T6_T7_T8_P12ihipStream_tbENKUlT_T0_E_clISt17integral_constantIbLb1EES11_EEDaSW_SX_EUlSW_E_NS1_11comp_targetILNS1_3genE3ELNS1_11target_archE908ELNS1_3gpuE7ELNS1_3repE0EEENS1_30default_config_static_selectorELNS0_4arch9wavefront6targetE1EEEvT1_
; %bb.0:
	.section	.rodata,"a",@progbits
	.p2align	6, 0x0
	.amdhsa_kernel _ZN7rocprim17ROCPRIM_400000_NS6detail17trampoline_kernelINS0_14default_configENS1_29reduce_by_key_config_selectorIffN6thrust23THRUST_200600_302600_NS4plusIfEEEEZZNS1_33reduce_by_key_impl_wrapped_configILNS1_25lookback_scan_determinismE1ES3_S9_NS6_6detail15normal_iteratorINS6_10device_ptrIfEEEESG_SG_SG_PmS8_22is_equal_div_10_reduceIfEEE10hipError_tPvRmT2_T3_mT4_T5_T6_T7_T8_P12ihipStream_tbENKUlT_T0_E_clISt17integral_constantIbLb1EES11_EEDaSW_SX_EUlSW_E_NS1_11comp_targetILNS1_3genE3ELNS1_11target_archE908ELNS1_3gpuE7ELNS1_3repE0EEENS1_30default_config_static_selectorELNS0_4arch9wavefront6targetE1EEEvT1_
		.amdhsa_group_segment_fixed_size 0
		.amdhsa_private_segment_fixed_size 0
		.amdhsa_kernarg_size 120
		.amdhsa_user_sgpr_count 6
		.amdhsa_user_sgpr_private_segment_buffer 1
		.amdhsa_user_sgpr_dispatch_ptr 0
		.amdhsa_user_sgpr_queue_ptr 0
		.amdhsa_user_sgpr_kernarg_segment_ptr 1
		.amdhsa_user_sgpr_dispatch_id 0
		.amdhsa_user_sgpr_flat_scratch_init 0
		.amdhsa_user_sgpr_kernarg_preload_length 0
		.amdhsa_user_sgpr_kernarg_preload_offset 0
		.amdhsa_user_sgpr_private_segment_size 0
		.amdhsa_uses_dynamic_stack 0
		.amdhsa_system_sgpr_private_segment_wavefront_offset 0
		.amdhsa_system_sgpr_workgroup_id_x 1
		.amdhsa_system_sgpr_workgroup_id_y 0
		.amdhsa_system_sgpr_workgroup_id_z 0
		.amdhsa_system_sgpr_workgroup_info 0
		.amdhsa_system_vgpr_workitem_id 0
		.amdhsa_next_free_vgpr 1
		.amdhsa_next_free_sgpr 0
		.amdhsa_accum_offset 4
		.amdhsa_reserve_vcc 0
		.amdhsa_reserve_flat_scratch 0
		.amdhsa_float_round_mode_32 0
		.amdhsa_float_round_mode_16_64 0
		.amdhsa_float_denorm_mode_32 3
		.amdhsa_float_denorm_mode_16_64 3
		.amdhsa_dx10_clamp 1
		.amdhsa_ieee_mode 1
		.amdhsa_fp16_overflow 0
		.amdhsa_tg_split 0
		.amdhsa_exception_fp_ieee_invalid_op 0
		.amdhsa_exception_fp_denorm_src 0
		.amdhsa_exception_fp_ieee_div_zero 0
		.amdhsa_exception_fp_ieee_overflow 0
		.amdhsa_exception_fp_ieee_underflow 0
		.amdhsa_exception_fp_ieee_inexact 0
		.amdhsa_exception_int_div_zero 0
	.end_amdhsa_kernel
	.section	.text._ZN7rocprim17ROCPRIM_400000_NS6detail17trampoline_kernelINS0_14default_configENS1_29reduce_by_key_config_selectorIffN6thrust23THRUST_200600_302600_NS4plusIfEEEEZZNS1_33reduce_by_key_impl_wrapped_configILNS1_25lookback_scan_determinismE1ES3_S9_NS6_6detail15normal_iteratorINS6_10device_ptrIfEEEESG_SG_SG_PmS8_22is_equal_div_10_reduceIfEEE10hipError_tPvRmT2_T3_mT4_T5_T6_T7_T8_P12ihipStream_tbENKUlT_T0_E_clISt17integral_constantIbLb1EES11_EEDaSW_SX_EUlSW_E_NS1_11comp_targetILNS1_3genE3ELNS1_11target_archE908ELNS1_3gpuE7ELNS1_3repE0EEENS1_30default_config_static_selectorELNS0_4arch9wavefront6targetE1EEEvT1_,"axG",@progbits,_ZN7rocprim17ROCPRIM_400000_NS6detail17trampoline_kernelINS0_14default_configENS1_29reduce_by_key_config_selectorIffN6thrust23THRUST_200600_302600_NS4plusIfEEEEZZNS1_33reduce_by_key_impl_wrapped_configILNS1_25lookback_scan_determinismE1ES3_S9_NS6_6detail15normal_iteratorINS6_10device_ptrIfEEEESG_SG_SG_PmS8_22is_equal_div_10_reduceIfEEE10hipError_tPvRmT2_T3_mT4_T5_T6_T7_T8_P12ihipStream_tbENKUlT_T0_E_clISt17integral_constantIbLb1EES11_EEDaSW_SX_EUlSW_E_NS1_11comp_targetILNS1_3genE3ELNS1_11target_archE908ELNS1_3gpuE7ELNS1_3repE0EEENS1_30default_config_static_selectorELNS0_4arch9wavefront6targetE1EEEvT1_,comdat
.Lfunc_end140:
	.size	_ZN7rocprim17ROCPRIM_400000_NS6detail17trampoline_kernelINS0_14default_configENS1_29reduce_by_key_config_selectorIffN6thrust23THRUST_200600_302600_NS4plusIfEEEEZZNS1_33reduce_by_key_impl_wrapped_configILNS1_25lookback_scan_determinismE1ES3_S9_NS6_6detail15normal_iteratorINS6_10device_ptrIfEEEESG_SG_SG_PmS8_22is_equal_div_10_reduceIfEEE10hipError_tPvRmT2_T3_mT4_T5_T6_T7_T8_P12ihipStream_tbENKUlT_T0_E_clISt17integral_constantIbLb1EES11_EEDaSW_SX_EUlSW_E_NS1_11comp_targetILNS1_3genE3ELNS1_11target_archE908ELNS1_3gpuE7ELNS1_3repE0EEENS1_30default_config_static_selectorELNS0_4arch9wavefront6targetE1EEEvT1_, .Lfunc_end140-_ZN7rocprim17ROCPRIM_400000_NS6detail17trampoline_kernelINS0_14default_configENS1_29reduce_by_key_config_selectorIffN6thrust23THRUST_200600_302600_NS4plusIfEEEEZZNS1_33reduce_by_key_impl_wrapped_configILNS1_25lookback_scan_determinismE1ES3_S9_NS6_6detail15normal_iteratorINS6_10device_ptrIfEEEESG_SG_SG_PmS8_22is_equal_div_10_reduceIfEEE10hipError_tPvRmT2_T3_mT4_T5_T6_T7_T8_P12ihipStream_tbENKUlT_T0_E_clISt17integral_constantIbLb1EES11_EEDaSW_SX_EUlSW_E_NS1_11comp_targetILNS1_3genE3ELNS1_11target_archE908ELNS1_3gpuE7ELNS1_3repE0EEENS1_30default_config_static_selectorELNS0_4arch9wavefront6targetE1EEEvT1_
                                        ; -- End function
	.section	.AMDGPU.csdata,"",@progbits
; Kernel info:
; codeLenInByte = 0
; NumSgprs: 4
; NumVgprs: 0
; NumAgprs: 0
; TotalNumVgprs: 0
; ScratchSize: 0
; MemoryBound: 0
; FloatMode: 240
; IeeeMode: 1
; LDSByteSize: 0 bytes/workgroup (compile time only)
; SGPRBlocks: 0
; VGPRBlocks: 0
; NumSGPRsForWavesPerEU: 4
; NumVGPRsForWavesPerEU: 1
; AccumOffset: 4
; Occupancy: 8
; WaveLimiterHint : 0
; COMPUTE_PGM_RSRC2:SCRATCH_EN: 0
; COMPUTE_PGM_RSRC2:USER_SGPR: 6
; COMPUTE_PGM_RSRC2:TRAP_HANDLER: 0
; COMPUTE_PGM_RSRC2:TGID_X_EN: 1
; COMPUTE_PGM_RSRC2:TGID_Y_EN: 0
; COMPUTE_PGM_RSRC2:TGID_Z_EN: 0
; COMPUTE_PGM_RSRC2:TIDIG_COMP_CNT: 0
; COMPUTE_PGM_RSRC3_GFX90A:ACCUM_OFFSET: 0
; COMPUTE_PGM_RSRC3_GFX90A:TG_SPLIT: 0
	.section	.text._ZN7rocprim17ROCPRIM_400000_NS6detail17trampoline_kernelINS0_14default_configENS1_29reduce_by_key_config_selectorIffN6thrust23THRUST_200600_302600_NS4plusIfEEEEZZNS1_33reduce_by_key_impl_wrapped_configILNS1_25lookback_scan_determinismE1ES3_S9_NS6_6detail15normal_iteratorINS6_10device_ptrIfEEEESG_SG_SG_PmS8_22is_equal_div_10_reduceIfEEE10hipError_tPvRmT2_T3_mT4_T5_T6_T7_T8_P12ihipStream_tbENKUlT_T0_E_clISt17integral_constantIbLb1EES11_EEDaSW_SX_EUlSW_E_NS1_11comp_targetILNS1_3genE2ELNS1_11target_archE906ELNS1_3gpuE6ELNS1_3repE0EEENS1_30default_config_static_selectorELNS0_4arch9wavefront6targetE1EEEvT1_,"axG",@progbits,_ZN7rocprim17ROCPRIM_400000_NS6detail17trampoline_kernelINS0_14default_configENS1_29reduce_by_key_config_selectorIffN6thrust23THRUST_200600_302600_NS4plusIfEEEEZZNS1_33reduce_by_key_impl_wrapped_configILNS1_25lookback_scan_determinismE1ES3_S9_NS6_6detail15normal_iteratorINS6_10device_ptrIfEEEESG_SG_SG_PmS8_22is_equal_div_10_reduceIfEEE10hipError_tPvRmT2_T3_mT4_T5_T6_T7_T8_P12ihipStream_tbENKUlT_T0_E_clISt17integral_constantIbLb1EES11_EEDaSW_SX_EUlSW_E_NS1_11comp_targetILNS1_3genE2ELNS1_11target_archE906ELNS1_3gpuE6ELNS1_3repE0EEENS1_30default_config_static_selectorELNS0_4arch9wavefront6targetE1EEEvT1_,comdat
	.protected	_ZN7rocprim17ROCPRIM_400000_NS6detail17trampoline_kernelINS0_14default_configENS1_29reduce_by_key_config_selectorIffN6thrust23THRUST_200600_302600_NS4plusIfEEEEZZNS1_33reduce_by_key_impl_wrapped_configILNS1_25lookback_scan_determinismE1ES3_S9_NS6_6detail15normal_iteratorINS6_10device_ptrIfEEEESG_SG_SG_PmS8_22is_equal_div_10_reduceIfEEE10hipError_tPvRmT2_T3_mT4_T5_T6_T7_T8_P12ihipStream_tbENKUlT_T0_E_clISt17integral_constantIbLb1EES11_EEDaSW_SX_EUlSW_E_NS1_11comp_targetILNS1_3genE2ELNS1_11target_archE906ELNS1_3gpuE6ELNS1_3repE0EEENS1_30default_config_static_selectorELNS0_4arch9wavefront6targetE1EEEvT1_ ; -- Begin function _ZN7rocprim17ROCPRIM_400000_NS6detail17trampoline_kernelINS0_14default_configENS1_29reduce_by_key_config_selectorIffN6thrust23THRUST_200600_302600_NS4plusIfEEEEZZNS1_33reduce_by_key_impl_wrapped_configILNS1_25lookback_scan_determinismE1ES3_S9_NS6_6detail15normal_iteratorINS6_10device_ptrIfEEEESG_SG_SG_PmS8_22is_equal_div_10_reduceIfEEE10hipError_tPvRmT2_T3_mT4_T5_T6_T7_T8_P12ihipStream_tbENKUlT_T0_E_clISt17integral_constantIbLb1EES11_EEDaSW_SX_EUlSW_E_NS1_11comp_targetILNS1_3genE2ELNS1_11target_archE906ELNS1_3gpuE6ELNS1_3repE0EEENS1_30default_config_static_selectorELNS0_4arch9wavefront6targetE1EEEvT1_
	.globl	_ZN7rocprim17ROCPRIM_400000_NS6detail17trampoline_kernelINS0_14default_configENS1_29reduce_by_key_config_selectorIffN6thrust23THRUST_200600_302600_NS4plusIfEEEEZZNS1_33reduce_by_key_impl_wrapped_configILNS1_25lookback_scan_determinismE1ES3_S9_NS6_6detail15normal_iteratorINS6_10device_ptrIfEEEESG_SG_SG_PmS8_22is_equal_div_10_reduceIfEEE10hipError_tPvRmT2_T3_mT4_T5_T6_T7_T8_P12ihipStream_tbENKUlT_T0_E_clISt17integral_constantIbLb1EES11_EEDaSW_SX_EUlSW_E_NS1_11comp_targetILNS1_3genE2ELNS1_11target_archE906ELNS1_3gpuE6ELNS1_3repE0EEENS1_30default_config_static_selectorELNS0_4arch9wavefront6targetE1EEEvT1_
	.p2align	8
	.type	_ZN7rocprim17ROCPRIM_400000_NS6detail17trampoline_kernelINS0_14default_configENS1_29reduce_by_key_config_selectorIffN6thrust23THRUST_200600_302600_NS4plusIfEEEEZZNS1_33reduce_by_key_impl_wrapped_configILNS1_25lookback_scan_determinismE1ES3_S9_NS6_6detail15normal_iteratorINS6_10device_ptrIfEEEESG_SG_SG_PmS8_22is_equal_div_10_reduceIfEEE10hipError_tPvRmT2_T3_mT4_T5_T6_T7_T8_P12ihipStream_tbENKUlT_T0_E_clISt17integral_constantIbLb1EES11_EEDaSW_SX_EUlSW_E_NS1_11comp_targetILNS1_3genE2ELNS1_11target_archE906ELNS1_3gpuE6ELNS1_3repE0EEENS1_30default_config_static_selectorELNS0_4arch9wavefront6targetE1EEEvT1_,@function
_ZN7rocprim17ROCPRIM_400000_NS6detail17trampoline_kernelINS0_14default_configENS1_29reduce_by_key_config_selectorIffN6thrust23THRUST_200600_302600_NS4plusIfEEEEZZNS1_33reduce_by_key_impl_wrapped_configILNS1_25lookback_scan_determinismE1ES3_S9_NS6_6detail15normal_iteratorINS6_10device_ptrIfEEEESG_SG_SG_PmS8_22is_equal_div_10_reduceIfEEE10hipError_tPvRmT2_T3_mT4_T5_T6_T7_T8_P12ihipStream_tbENKUlT_T0_E_clISt17integral_constantIbLb1EES11_EEDaSW_SX_EUlSW_E_NS1_11comp_targetILNS1_3genE2ELNS1_11target_archE906ELNS1_3gpuE6ELNS1_3repE0EEENS1_30default_config_static_selectorELNS0_4arch9wavefront6targetE1EEEvT1_: ; @_ZN7rocprim17ROCPRIM_400000_NS6detail17trampoline_kernelINS0_14default_configENS1_29reduce_by_key_config_selectorIffN6thrust23THRUST_200600_302600_NS4plusIfEEEEZZNS1_33reduce_by_key_impl_wrapped_configILNS1_25lookback_scan_determinismE1ES3_S9_NS6_6detail15normal_iteratorINS6_10device_ptrIfEEEESG_SG_SG_PmS8_22is_equal_div_10_reduceIfEEE10hipError_tPvRmT2_T3_mT4_T5_T6_T7_T8_P12ihipStream_tbENKUlT_T0_E_clISt17integral_constantIbLb1EES11_EEDaSW_SX_EUlSW_E_NS1_11comp_targetILNS1_3genE2ELNS1_11target_archE906ELNS1_3gpuE6ELNS1_3repE0EEENS1_30default_config_static_selectorELNS0_4arch9wavefront6targetE1EEEvT1_
; %bb.0:
	.section	.rodata,"a",@progbits
	.p2align	6, 0x0
	.amdhsa_kernel _ZN7rocprim17ROCPRIM_400000_NS6detail17trampoline_kernelINS0_14default_configENS1_29reduce_by_key_config_selectorIffN6thrust23THRUST_200600_302600_NS4plusIfEEEEZZNS1_33reduce_by_key_impl_wrapped_configILNS1_25lookback_scan_determinismE1ES3_S9_NS6_6detail15normal_iteratorINS6_10device_ptrIfEEEESG_SG_SG_PmS8_22is_equal_div_10_reduceIfEEE10hipError_tPvRmT2_T3_mT4_T5_T6_T7_T8_P12ihipStream_tbENKUlT_T0_E_clISt17integral_constantIbLb1EES11_EEDaSW_SX_EUlSW_E_NS1_11comp_targetILNS1_3genE2ELNS1_11target_archE906ELNS1_3gpuE6ELNS1_3repE0EEENS1_30default_config_static_selectorELNS0_4arch9wavefront6targetE1EEEvT1_
		.amdhsa_group_segment_fixed_size 0
		.amdhsa_private_segment_fixed_size 0
		.amdhsa_kernarg_size 120
		.amdhsa_user_sgpr_count 6
		.amdhsa_user_sgpr_private_segment_buffer 1
		.amdhsa_user_sgpr_dispatch_ptr 0
		.amdhsa_user_sgpr_queue_ptr 0
		.amdhsa_user_sgpr_kernarg_segment_ptr 1
		.amdhsa_user_sgpr_dispatch_id 0
		.amdhsa_user_sgpr_flat_scratch_init 0
		.amdhsa_user_sgpr_kernarg_preload_length 0
		.amdhsa_user_sgpr_kernarg_preload_offset 0
		.amdhsa_user_sgpr_private_segment_size 0
		.amdhsa_uses_dynamic_stack 0
		.amdhsa_system_sgpr_private_segment_wavefront_offset 0
		.amdhsa_system_sgpr_workgroup_id_x 1
		.amdhsa_system_sgpr_workgroup_id_y 0
		.amdhsa_system_sgpr_workgroup_id_z 0
		.amdhsa_system_sgpr_workgroup_info 0
		.amdhsa_system_vgpr_workitem_id 0
		.amdhsa_next_free_vgpr 1
		.amdhsa_next_free_sgpr 0
		.amdhsa_accum_offset 4
		.amdhsa_reserve_vcc 0
		.amdhsa_reserve_flat_scratch 0
		.amdhsa_float_round_mode_32 0
		.amdhsa_float_round_mode_16_64 0
		.amdhsa_float_denorm_mode_32 3
		.amdhsa_float_denorm_mode_16_64 3
		.amdhsa_dx10_clamp 1
		.amdhsa_ieee_mode 1
		.amdhsa_fp16_overflow 0
		.amdhsa_tg_split 0
		.amdhsa_exception_fp_ieee_invalid_op 0
		.amdhsa_exception_fp_denorm_src 0
		.amdhsa_exception_fp_ieee_div_zero 0
		.amdhsa_exception_fp_ieee_overflow 0
		.amdhsa_exception_fp_ieee_underflow 0
		.amdhsa_exception_fp_ieee_inexact 0
		.amdhsa_exception_int_div_zero 0
	.end_amdhsa_kernel
	.section	.text._ZN7rocprim17ROCPRIM_400000_NS6detail17trampoline_kernelINS0_14default_configENS1_29reduce_by_key_config_selectorIffN6thrust23THRUST_200600_302600_NS4plusIfEEEEZZNS1_33reduce_by_key_impl_wrapped_configILNS1_25lookback_scan_determinismE1ES3_S9_NS6_6detail15normal_iteratorINS6_10device_ptrIfEEEESG_SG_SG_PmS8_22is_equal_div_10_reduceIfEEE10hipError_tPvRmT2_T3_mT4_T5_T6_T7_T8_P12ihipStream_tbENKUlT_T0_E_clISt17integral_constantIbLb1EES11_EEDaSW_SX_EUlSW_E_NS1_11comp_targetILNS1_3genE2ELNS1_11target_archE906ELNS1_3gpuE6ELNS1_3repE0EEENS1_30default_config_static_selectorELNS0_4arch9wavefront6targetE1EEEvT1_,"axG",@progbits,_ZN7rocprim17ROCPRIM_400000_NS6detail17trampoline_kernelINS0_14default_configENS1_29reduce_by_key_config_selectorIffN6thrust23THRUST_200600_302600_NS4plusIfEEEEZZNS1_33reduce_by_key_impl_wrapped_configILNS1_25lookback_scan_determinismE1ES3_S9_NS6_6detail15normal_iteratorINS6_10device_ptrIfEEEESG_SG_SG_PmS8_22is_equal_div_10_reduceIfEEE10hipError_tPvRmT2_T3_mT4_T5_T6_T7_T8_P12ihipStream_tbENKUlT_T0_E_clISt17integral_constantIbLb1EES11_EEDaSW_SX_EUlSW_E_NS1_11comp_targetILNS1_3genE2ELNS1_11target_archE906ELNS1_3gpuE6ELNS1_3repE0EEENS1_30default_config_static_selectorELNS0_4arch9wavefront6targetE1EEEvT1_,comdat
.Lfunc_end141:
	.size	_ZN7rocprim17ROCPRIM_400000_NS6detail17trampoline_kernelINS0_14default_configENS1_29reduce_by_key_config_selectorIffN6thrust23THRUST_200600_302600_NS4plusIfEEEEZZNS1_33reduce_by_key_impl_wrapped_configILNS1_25lookback_scan_determinismE1ES3_S9_NS6_6detail15normal_iteratorINS6_10device_ptrIfEEEESG_SG_SG_PmS8_22is_equal_div_10_reduceIfEEE10hipError_tPvRmT2_T3_mT4_T5_T6_T7_T8_P12ihipStream_tbENKUlT_T0_E_clISt17integral_constantIbLb1EES11_EEDaSW_SX_EUlSW_E_NS1_11comp_targetILNS1_3genE2ELNS1_11target_archE906ELNS1_3gpuE6ELNS1_3repE0EEENS1_30default_config_static_selectorELNS0_4arch9wavefront6targetE1EEEvT1_, .Lfunc_end141-_ZN7rocprim17ROCPRIM_400000_NS6detail17trampoline_kernelINS0_14default_configENS1_29reduce_by_key_config_selectorIffN6thrust23THRUST_200600_302600_NS4plusIfEEEEZZNS1_33reduce_by_key_impl_wrapped_configILNS1_25lookback_scan_determinismE1ES3_S9_NS6_6detail15normal_iteratorINS6_10device_ptrIfEEEESG_SG_SG_PmS8_22is_equal_div_10_reduceIfEEE10hipError_tPvRmT2_T3_mT4_T5_T6_T7_T8_P12ihipStream_tbENKUlT_T0_E_clISt17integral_constantIbLb1EES11_EEDaSW_SX_EUlSW_E_NS1_11comp_targetILNS1_3genE2ELNS1_11target_archE906ELNS1_3gpuE6ELNS1_3repE0EEENS1_30default_config_static_selectorELNS0_4arch9wavefront6targetE1EEEvT1_
                                        ; -- End function
	.section	.AMDGPU.csdata,"",@progbits
; Kernel info:
; codeLenInByte = 0
; NumSgprs: 4
; NumVgprs: 0
; NumAgprs: 0
; TotalNumVgprs: 0
; ScratchSize: 0
; MemoryBound: 0
; FloatMode: 240
; IeeeMode: 1
; LDSByteSize: 0 bytes/workgroup (compile time only)
; SGPRBlocks: 0
; VGPRBlocks: 0
; NumSGPRsForWavesPerEU: 4
; NumVGPRsForWavesPerEU: 1
; AccumOffset: 4
; Occupancy: 8
; WaveLimiterHint : 0
; COMPUTE_PGM_RSRC2:SCRATCH_EN: 0
; COMPUTE_PGM_RSRC2:USER_SGPR: 6
; COMPUTE_PGM_RSRC2:TRAP_HANDLER: 0
; COMPUTE_PGM_RSRC2:TGID_X_EN: 1
; COMPUTE_PGM_RSRC2:TGID_Y_EN: 0
; COMPUTE_PGM_RSRC2:TGID_Z_EN: 0
; COMPUTE_PGM_RSRC2:TIDIG_COMP_CNT: 0
; COMPUTE_PGM_RSRC3_GFX90A:ACCUM_OFFSET: 0
; COMPUTE_PGM_RSRC3_GFX90A:TG_SPLIT: 0
	.section	.text._ZN7rocprim17ROCPRIM_400000_NS6detail17trampoline_kernelINS0_14default_configENS1_29reduce_by_key_config_selectorIffN6thrust23THRUST_200600_302600_NS4plusIfEEEEZZNS1_33reduce_by_key_impl_wrapped_configILNS1_25lookback_scan_determinismE1ES3_S9_NS6_6detail15normal_iteratorINS6_10device_ptrIfEEEESG_SG_SG_PmS8_22is_equal_div_10_reduceIfEEE10hipError_tPvRmT2_T3_mT4_T5_T6_T7_T8_P12ihipStream_tbENKUlT_T0_E_clISt17integral_constantIbLb1EES11_EEDaSW_SX_EUlSW_E_NS1_11comp_targetILNS1_3genE10ELNS1_11target_archE1201ELNS1_3gpuE5ELNS1_3repE0EEENS1_30default_config_static_selectorELNS0_4arch9wavefront6targetE1EEEvT1_,"axG",@progbits,_ZN7rocprim17ROCPRIM_400000_NS6detail17trampoline_kernelINS0_14default_configENS1_29reduce_by_key_config_selectorIffN6thrust23THRUST_200600_302600_NS4plusIfEEEEZZNS1_33reduce_by_key_impl_wrapped_configILNS1_25lookback_scan_determinismE1ES3_S9_NS6_6detail15normal_iteratorINS6_10device_ptrIfEEEESG_SG_SG_PmS8_22is_equal_div_10_reduceIfEEE10hipError_tPvRmT2_T3_mT4_T5_T6_T7_T8_P12ihipStream_tbENKUlT_T0_E_clISt17integral_constantIbLb1EES11_EEDaSW_SX_EUlSW_E_NS1_11comp_targetILNS1_3genE10ELNS1_11target_archE1201ELNS1_3gpuE5ELNS1_3repE0EEENS1_30default_config_static_selectorELNS0_4arch9wavefront6targetE1EEEvT1_,comdat
	.protected	_ZN7rocprim17ROCPRIM_400000_NS6detail17trampoline_kernelINS0_14default_configENS1_29reduce_by_key_config_selectorIffN6thrust23THRUST_200600_302600_NS4plusIfEEEEZZNS1_33reduce_by_key_impl_wrapped_configILNS1_25lookback_scan_determinismE1ES3_S9_NS6_6detail15normal_iteratorINS6_10device_ptrIfEEEESG_SG_SG_PmS8_22is_equal_div_10_reduceIfEEE10hipError_tPvRmT2_T3_mT4_T5_T6_T7_T8_P12ihipStream_tbENKUlT_T0_E_clISt17integral_constantIbLb1EES11_EEDaSW_SX_EUlSW_E_NS1_11comp_targetILNS1_3genE10ELNS1_11target_archE1201ELNS1_3gpuE5ELNS1_3repE0EEENS1_30default_config_static_selectorELNS0_4arch9wavefront6targetE1EEEvT1_ ; -- Begin function _ZN7rocprim17ROCPRIM_400000_NS6detail17trampoline_kernelINS0_14default_configENS1_29reduce_by_key_config_selectorIffN6thrust23THRUST_200600_302600_NS4plusIfEEEEZZNS1_33reduce_by_key_impl_wrapped_configILNS1_25lookback_scan_determinismE1ES3_S9_NS6_6detail15normal_iteratorINS6_10device_ptrIfEEEESG_SG_SG_PmS8_22is_equal_div_10_reduceIfEEE10hipError_tPvRmT2_T3_mT4_T5_T6_T7_T8_P12ihipStream_tbENKUlT_T0_E_clISt17integral_constantIbLb1EES11_EEDaSW_SX_EUlSW_E_NS1_11comp_targetILNS1_3genE10ELNS1_11target_archE1201ELNS1_3gpuE5ELNS1_3repE0EEENS1_30default_config_static_selectorELNS0_4arch9wavefront6targetE1EEEvT1_
	.globl	_ZN7rocprim17ROCPRIM_400000_NS6detail17trampoline_kernelINS0_14default_configENS1_29reduce_by_key_config_selectorIffN6thrust23THRUST_200600_302600_NS4plusIfEEEEZZNS1_33reduce_by_key_impl_wrapped_configILNS1_25lookback_scan_determinismE1ES3_S9_NS6_6detail15normal_iteratorINS6_10device_ptrIfEEEESG_SG_SG_PmS8_22is_equal_div_10_reduceIfEEE10hipError_tPvRmT2_T3_mT4_T5_T6_T7_T8_P12ihipStream_tbENKUlT_T0_E_clISt17integral_constantIbLb1EES11_EEDaSW_SX_EUlSW_E_NS1_11comp_targetILNS1_3genE10ELNS1_11target_archE1201ELNS1_3gpuE5ELNS1_3repE0EEENS1_30default_config_static_selectorELNS0_4arch9wavefront6targetE1EEEvT1_
	.p2align	8
	.type	_ZN7rocprim17ROCPRIM_400000_NS6detail17trampoline_kernelINS0_14default_configENS1_29reduce_by_key_config_selectorIffN6thrust23THRUST_200600_302600_NS4plusIfEEEEZZNS1_33reduce_by_key_impl_wrapped_configILNS1_25lookback_scan_determinismE1ES3_S9_NS6_6detail15normal_iteratorINS6_10device_ptrIfEEEESG_SG_SG_PmS8_22is_equal_div_10_reduceIfEEE10hipError_tPvRmT2_T3_mT4_T5_T6_T7_T8_P12ihipStream_tbENKUlT_T0_E_clISt17integral_constantIbLb1EES11_EEDaSW_SX_EUlSW_E_NS1_11comp_targetILNS1_3genE10ELNS1_11target_archE1201ELNS1_3gpuE5ELNS1_3repE0EEENS1_30default_config_static_selectorELNS0_4arch9wavefront6targetE1EEEvT1_,@function
_ZN7rocprim17ROCPRIM_400000_NS6detail17trampoline_kernelINS0_14default_configENS1_29reduce_by_key_config_selectorIffN6thrust23THRUST_200600_302600_NS4plusIfEEEEZZNS1_33reduce_by_key_impl_wrapped_configILNS1_25lookback_scan_determinismE1ES3_S9_NS6_6detail15normal_iteratorINS6_10device_ptrIfEEEESG_SG_SG_PmS8_22is_equal_div_10_reduceIfEEE10hipError_tPvRmT2_T3_mT4_T5_T6_T7_T8_P12ihipStream_tbENKUlT_T0_E_clISt17integral_constantIbLb1EES11_EEDaSW_SX_EUlSW_E_NS1_11comp_targetILNS1_3genE10ELNS1_11target_archE1201ELNS1_3gpuE5ELNS1_3repE0EEENS1_30default_config_static_selectorELNS0_4arch9wavefront6targetE1EEEvT1_: ; @_ZN7rocprim17ROCPRIM_400000_NS6detail17trampoline_kernelINS0_14default_configENS1_29reduce_by_key_config_selectorIffN6thrust23THRUST_200600_302600_NS4plusIfEEEEZZNS1_33reduce_by_key_impl_wrapped_configILNS1_25lookback_scan_determinismE1ES3_S9_NS6_6detail15normal_iteratorINS6_10device_ptrIfEEEESG_SG_SG_PmS8_22is_equal_div_10_reduceIfEEE10hipError_tPvRmT2_T3_mT4_T5_T6_T7_T8_P12ihipStream_tbENKUlT_T0_E_clISt17integral_constantIbLb1EES11_EEDaSW_SX_EUlSW_E_NS1_11comp_targetILNS1_3genE10ELNS1_11target_archE1201ELNS1_3gpuE5ELNS1_3repE0EEENS1_30default_config_static_selectorELNS0_4arch9wavefront6targetE1EEEvT1_
; %bb.0:
	.section	.rodata,"a",@progbits
	.p2align	6, 0x0
	.amdhsa_kernel _ZN7rocprim17ROCPRIM_400000_NS6detail17trampoline_kernelINS0_14default_configENS1_29reduce_by_key_config_selectorIffN6thrust23THRUST_200600_302600_NS4plusIfEEEEZZNS1_33reduce_by_key_impl_wrapped_configILNS1_25lookback_scan_determinismE1ES3_S9_NS6_6detail15normal_iteratorINS6_10device_ptrIfEEEESG_SG_SG_PmS8_22is_equal_div_10_reduceIfEEE10hipError_tPvRmT2_T3_mT4_T5_T6_T7_T8_P12ihipStream_tbENKUlT_T0_E_clISt17integral_constantIbLb1EES11_EEDaSW_SX_EUlSW_E_NS1_11comp_targetILNS1_3genE10ELNS1_11target_archE1201ELNS1_3gpuE5ELNS1_3repE0EEENS1_30default_config_static_selectorELNS0_4arch9wavefront6targetE1EEEvT1_
		.amdhsa_group_segment_fixed_size 0
		.amdhsa_private_segment_fixed_size 0
		.amdhsa_kernarg_size 120
		.amdhsa_user_sgpr_count 6
		.amdhsa_user_sgpr_private_segment_buffer 1
		.amdhsa_user_sgpr_dispatch_ptr 0
		.amdhsa_user_sgpr_queue_ptr 0
		.amdhsa_user_sgpr_kernarg_segment_ptr 1
		.amdhsa_user_sgpr_dispatch_id 0
		.amdhsa_user_sgpr_flat_scratch_init 0
		.amdhsa_user_sgpr_kernarg_preload_length 0
		.amdhsa_user_sgpr_kernarg_preload_offset 0
		.amdhsa_user_sgpr_private_segment_size 0
		.amdhsa_uses_dynamic_stack 0
		.amdhsa_system_sgpr_private_segment_wavefront_offset 0
		.amdhsa_system_sgpr_workgroup_id_x 1
		.amdhsa_system_sgpr_workgroup_id_y 0
		.amdhsa_system_sgpr_workgroup_id_z 0
		.amdhsa_system_sgpr_workgroup_info 0
		.amdhsa_system_vgpr_workitem_id 0
		.amdhsa_next_free_vgpr 1
		.amdhsa_next_free_sgpr 0
		.amdhsa_accum_offset 4
		.amdhsa_reserve_vcc 0
		.amdhsa_reserve_flat_scratch 0
		.amdhsa_float_round_mode_32 0
		.amdhsa_float_round_mode_16_64 0
		.amdhsa_float_denorm_mode_32 3
		.amdhsa_float_denorm_mode_16_64 3
		.amdhsa_dx10_clamp 1
		.amdhsa_ieee_mode 1
		.amdhsa_fp16_overflow 0
		.amdhsa_tg_split 0
		.amdhsa_exception_fp_ieee_invalid_op 0
		.amdhsa_exception_fp_denorm_src 0
		.amdhsa_exception_fp_ieee_div_zero 0
		.amdhsa_exception_fp_ieee_overflow 0
		.amdhsa_exception_fp_ieee_underflow 0
		.amdhsa_exception_fp_ieee_inexact 0
		.amdhsa_exception_int_div_zero 0
	.end_amdhsa_kernel
	.section	.text._ZN7rocprim17ROCPRIM_400000_NS6detail17trampoline_kernelINS0_14default_configENS1_29reduce_by_key_config_selectorIffN6thrust23THRUST_200600_302600_NS4plusIfEEEEZZNS1_33reduce_by_key_impl_wrapped_configILNS1_25lookback_scan_determinismE1ES3_S9_NS6_6detail15normal_iteratorINS6_10device_ptrIfEEEESG_SG_SG_PmS8_22is_equal_div_10_reduceIfEEE10hipError_tPvRmT2_T3_mT4_T5_T6_T7_T8_P12ihipStream_tbENKUlT_T0_E_clISt17integral_constantIbLb1EES11_EEDaSW_SX_EUlSW_E_NS1_11comp_targetILNS1_3genE10ELNS1_11target_archE1201ELNS1_3gpuE5ELNS1_3repE0EEENS1_30default_config_static_selectorELNS0_4arch9wavefront6targetE1EEEvT1_,"axG",@progbits,_ZN7rocprim17ROCPRIM_400000_NS6detail17trampoline_kernelINS0_14default_configENS1_29reduce_by_key_config_selectorIffN6thrust23THRUST_200600_302600_NS4plusIfEEEEZZNS1_33reduce_by_key_impl_wrapped_configILNS1_25lookback_scan_determinismE1ES3_S9_NS6_6detail15normal_iteratorINS6_10device_ptrIfEEEESG_SG_SG_PmS8_22is_equal_div_10_reduceIfEEE10hipError_tPvRmT2_T3_mT4_T5_T6_T7_T8_P12ihipStream_tbENKUlT_T0_E_clISt17integral_constantIbLb1EES11_EEDaSW_SX_EUlSW_E_NS1_11comp_targetILNS1_3genE10ELNS1_11target_archE1201ELNS1_3gpuE5ELNS1_3repE0EEENS1_30default_config_static_selectorELNS0_4arch9wavefront6targetE1EEEvT1_,comdat
.Lfunc_end142:
	.size	_ZN7rocprim17ROCPRIM_400000_NS6detail17trampoline_kernelINS0_14default_configENS1_29reduce_by_key_config_selectorIffN6thrust23THRUST_200600_302600_NS4plusIfEEEEZZNS1_33reduce_by_key_impl_wrapped_configILNS1_25lookback_scan_determinismE1ES3_S9_NS6_6detail15normal_iteratorINS6_10device_ptrIfEEEESG_SG_SG_PmS8_22is_equal_div_10_reduceIfEEE10hipError_tPvRmT2_T3_mT4_T5_T6_T7_T8_P12ihipStream_tbENKUlT_T0_E_clISt17integral_constantIbLb1EES11_EEDaSW_SX_EUlSW_E_NS1_11comp_targetILNS1_3genE10ELNS1_11target_archE1201ELNS1_3gpuE5ELNS1_3repE0EEENS1_30default_config_static_selectorELNS0_4arch9wavefront6targetE1EEEvT1_, .Lfunc_end142-_ZN7rocprim17ROCPRIM_400000_NS6detail17trampoline_kernelINS0_14default_configENS1_29reduce_by_key_config_selectorIffN6thrust23THRUST_200600_302600_NS4plusIfEEEEZZNS1_33reduce_by_key_impl_wrapped_configILNS1_25lookback_scan_determinismE1ES3_S9_NS6_6detail15normal_iteratorINS6_10device_ptrIfEEEESG_SG_SG_PmS8_22is_equal_div_10_reduceIfEEE10hipError_tPvRmT2_T3_mT4_T5_T6_T7_T8_P12ihipStream_tbENKUlT_T0_E_clISt17integral_constantIbLb1EES11_EEDaSW_SX_EUlSW_E_NS1_11comp_targetILNS1_3genE10ELNS1_11target_archE1201ELNS1_3gpuE5ELNS1_3repE0EEENS1_30default_config_static_selectorELNS0_4arch9wavefront6targetE1EEEvT1_
                                        ; -- End function
	.section	.AMDGPU.csdata,"",@progbits
; Kernel info:
; codeLenInByte = 0
; NumSgprs: 4
; NumVgprs: 0
; NumAgprs: 0
; TotalNumVgprs: 0
; ScratchSize: 0
; MemoryBound: 0
; FloatMode: 240
; IeeeMode: 1
; LDSByteSize: 0 bytes/workgroup (compile time only)
; SGPRBlocks: 0
; VGPRBlocks: 0
; NumSGPRsForWavesPerEU: 4
; NumVGPRsForWavesPerEU: 1
; AccumOffset: 4
; Occupancy: 8
; WaveLimiterHint : 0
; COMPUTE_PGM_RSRC2:SCRATCH_EN: 0
; COMPUTE_PGM_RSRC2:USER_SGPR: 6
; COMPUTE_PGM_RSRC2:TRAP_HANDLER: 0
; COMPUTE_PGM_RSRC2:TGID_X_EN: 1
; COMPUTE_PGM_RSRC2:TGID_Y_EN: 0
; COMPUTE_PGM_RSRC2:TGID_Z_EN: 0
; COMPUTE_PGM_RSRC2:TIDIG_COMP_CNT: 0
; COMPUTE_PGM_RSRC3_GFX90A:ACCUM_OFFSET: 0
; COMPUTE_PGM_RSRC3_GFX90A:TG_SPLIT: 0
	.section	.text._ZN7rocprim17ROCPRIM_400000_NS6detail17trampoline_kernelINS0_14default_configENS1_29reduce_by_key_config_selectorIffN6thrust23THRUST_200600_302600_NS4plusIfEEEEZZNS1_33reduce_by_key_impl_wrapped_configILNS1_25lookback_scan_determinismE1ES3_S9_NS6_6detail15normal_iteratorINS6_10device_ptrIfEEEESG_SG_SG_PmS8_22is_equal_div_10_reduceIfEEE10hipError_tPvRmT2_T3_mT4_T5_T6_T7_T8_P12ihipStream_tbENKUlT_T0_E_clISt17integral_constantIbLb1EES11_EEDaSW_SX_EUlSW_E_NS1_11comp_targetILNS1_3genE10ELNS1_11target_archE1200ELNS1_3gpuE4ELNS1_3repE0EEENS1_30default_config_static_selectorELNS0_4arch9wavefront6targetE1EEEvT1_,"axG",@progbits,_ZN7rocprim17ROCPRIM_400000_NS6detail17trampoline_kernelINS0_14default_configENS1_29reduce_by_key_config_selectorIffN6thrust23THRUST_200600_302600_NS4plusIfEEEEZZNS1_33reduce_by_key_impl_wrapped_configILNS1_25lookback_scan_determinismE1ES3_S9_NS6_6detail15normal_iteratorINS6_10device_ptrIfEEEESG_SG_SG_PmS8_22is_equal_div_10_reduceIfEEE10hipError_tPvRmT2_T3_mT4_T5_T6_T7_T8_P12ihipStream_tbENKUlT_T0_E_clISt17integral_constantIbLb1EES11_EEDaSW_SX_EUlSW_E_NS1_11comp_targetILNS1_3genE10ELNS1_11target_archE1200ELNS1_3gpuE4ELNS1_3repE0EEENS1_30default_config_static_selectorELNS0_4arch9wavefront6targetE1EEEvT1_,comdat
	.protected	_ZN7rocprim17ROCPRIM_400000_NS6detail17trampoline_kernelINS0_14default_configENS1_29reduce_by_key_config_selectorIffN6thrust23THRUST_200600_302600_NS4plusIfEEEEZZNS1_33reduce_by_key_impl_wrapped_configILNS1_25lookback_scan_determinismE1ES3_S9_NS6_6detail15normal_iteratorINS6_10device_ptrIfEEEESG_SG_SG_PmS8_22is_equal_div_10_reduceIfEEE10hipError_tPvRmT2_T3_mT4_T5_T6_T7_T8_P12ihipStream_tbENKUlT_T0_E_clISt17integral_constantIbLb1EES11_EEDaSW_SX_EUlSW_E_NS1_11comp_targetILNS1_3genE10ELNS1_11target_archE1200ELNS1_3gpuE4ELNS1_3repE0EEENS1_30default_config_static_selectorELNS0_4arch9wavefront6targetE1EEEvT1_ ; -- Begin function _ZN7rocprim17ROCPRIM_400000_NS6detail17trampoline_kernelINS0_14default_configENS1_29reduce_by_key_config_selectorIffN6thrust23THRUST_200600_302600_NS4plusIfEEEEZZNS1_33reduce_by_key_impl_wrapped_configILNS1_25lookback_scan_determinismE1ES3_S9_NS6_6detail15normal_iteratorINS6_10device_ptrIfEEEESG_SG_SG_PmS8_22is_equal_div_10_reduceIfEEE10hipError_tPvRmT2_T3_mT4_T5_T6_T7_T8_P12ihipStream_tbENKUlT_T0_E_clISt17integral_constantIbLb1EES11_EEDaSW_SX_EUlSW_E_NS1_11comp_targetILNS1_3genE10ELNS1_11target_archE1200ELNS1_3gpuE4ELNS1_3repE0EEENS1_30default_config_static_selectorELNS0_4arch9wavefront6targetE1EEEvT1_
	.globl	_ZN7rocprim17ROCPRIM_400000_NS6detail17trampoline_kernelINS0_14default_configENS1_29reduce_by_key_config_selectorIffN6thrust23THRUST_200600_302600_NS4plusIfEEEEZZNS1_33reduce_by_key_impl_wrapped_configILNS1_25lookback_scan_determinismE1ES3_S9_NS6_6detail15normal_iteratorINS6_10device_ptrIfEEEESG_SG_SG_PmS8_22is_equal_div_10_reduceIfEEE10hipError_tPvRmT2_T3_mT4_T5_T6_T7_T8_P12ihipStream_tbENKUlT_T0_E_clISt17integral_constantIbLb1EES11_EEDaSW_SX_EUlSW_E_NS1_11comp_targetILNS1_3genE10ELNS1_11target_archE1200ELNS1_3gpuE4ELNS1_3repE0EEENS1_30default_config_static_selectorELNS0_4arch9wavefront6targetE1EEEvT1_
	.p2align	8
	.type	_ZN7rocprim17ROCPRIM_400000_NS6detail17trampoline_kernelINS0_14default_configENS1_29reduce_by_key_config_selectorIffN6thrust23THRUST_200600_302600_NS4plusIfEEEEZZNS1_33reduce_by_key_impl_wrapped_configILNS1_25lookback_scan_determinismE1ES3_S9_NS6_6detail15normal_iteratorINS6_10device_ptrIfEEEESG_SG_SG_PmS8_22is_equal_div_10_reduceIfEEE10hipError_tPvRmT2_T3_mT4_T5_T6_T7_T8_P12ihipStream_tbENKUlT_T0_E_clISt17integral_constantIbLb1EES11_EEDaSW_SX_EUlSW_E_NS1_11comp_targetILNS1_3genE10ELNS1_11target_archE1200ELNS1_3gpuE4ELNS1_3repE0EEENS1_30default_config_static_selectorELNS0_4arch9wavefront6targetE1EEEvT1_,@function
_ZN7rocprim17ROCPRIM_400000_NS6detail17trampoline_kernelINS0_14default_configENS1_29reduce_by_key_config_selectorIffN6thrust23THRUST_200600_302600_NS4plusIfEEEEZZNS1_33reduce_by_key_impl_wrapped_configILNS1_25lookback_scan_determinismE1ES3_S9_NS6_6detail15normal_iteratorINS6_10device_ptrIfEEEESG_SG_SG_PmS8_22is_equal_div_10_reduceIfEEE10hipError_tPvRmT2_T3_mT4_T5_T6_T7_T8_P12ihipStream_tbENKUlT_T0_E_clISt17integral_constantIbLb1EES11_EEDaSW_SX_EUlSW_E_NS1_11comp_targetILNS1_3genE10ELNS1_11target_archE1200ELNS1_3gpuE4ELNS1_3repE0EEENS1_30default_config_static_selectorELNS0_4arch9wavefront6targetE1EEEvT1_: ; @_ZN7rocprim17ROCPRIM_400000_NS6detail17trampoline_kernelINS0_14default_configENS1_29reduce_by_key_config_selectorIffN6thrust23THRUST_200600_302600_NS4plusIfEEEEZZNS1_33reduce_by_key_impl_wrapped_configILNS1_25lookback_scan_determinismE1ES3_S9_NS6_6detail15normal_iteratorINS6_10device_ptrIfEEEESG_SG_SG_PmS8_22is_equal_div_10_reduceIfEEE10hipError_tPvRmT2_T3_mT4_T5_T6_T7_T8_P12ihipStream_tbENKUlT_T0_E_clISt17integral_constantIbLb1EES11_EEDaSW_SX_EUlSW_E_NS1_11comp_targetILNS1_3genE10ELNS1_11target_archE1200ELNS1_3gpuE4ELNS1_3repE0EEENS1_30default_config_static_selectorELNS0_4arch9wavefront6targetE1EEEvT1_
; %bb.0:
	.section	.rodata,"a",@progbits
	.p2align	6, 0x0
	.amdhsa_kernel _ZN7rocprim17ROCPRIM_400000_NS6detail17trampoline_kernelINS0_14default_configENS1_29reduce_by_key_config_selectorIffN6thrust23THRUST_200600_302600_NS4plusIfEEEEZZNS1_33reduce_by_key_impl_wrapped_configILNS1_25lookback_scan_determinismE1ES3_S9_NS6_6detail15normal_iteratorINS6_10device_ptrIfEEEESG_SG_SG_PmS8_22is_equal_div_10_reduceIfEEE10hipError_tPvRmT2_T3_mT4_T5_T6_T7_T8_P12ihipStream_tbENKUlT_T0_E_clISt17integral_constantIbLb1EES11_EEDaSW_SX_EUlSW_E_NS1_11comp_targetILNS1_3genE10ELNS1_11target_archE1200ELNS1_3gpuE4ELNS1_3repE0EEENS1_30default_config_static_selectorELNS0_4arch9wavefront6targetE1EEEvT1_
		.amdhsa_group_segment_fixed_size 0
		.amdhsa_private_segment_fixed_size 0
		.amdhsa_kernarg_size 120
		.amdhsa_user_sgpr_count 6
		.amdhsa_user_sgpr_private_segment_buffer 1
		.amdhsa_user_sgpr_dispatch_ptr 0
		.amdhsa_user_sgpr_queue_ptr 0
		.amdhsa_user_sgpr_kernarg_segment_ptr 1
		.amdhsa_user_sgpr_dispatch_id 0
		.amdhsa_user_sgpr_flat_scratch_init 0
		.amdhsa_user_sgpr_kernarg_preload_length 0
		.amdhsa_user_sgpr_kernarg_preload_offset 0
		.amdhsa_user_sgpr_private_segment_size 0
		.amdhsa_uses_dynamic_stack 0
		.amdhsa_system_sgpr_private_segment_wavefront_offset 0
		.amdhsa_system_sgpr_workgroup_id_x 1
		.amdhsa_system_sgpr_workgroup_id_y 0
		.amdhsa_system_sgpr_workgroup_id_z 0
		.amdhsa_system_sgpr_workgroup_info 0
		.amdhsa_system_vgpr_workitem_id 0
		.amdhsa_next_free_vgpr 1
		.amdhsa_next_free_sgpr 0
		.amdhsa_accum_offset 4
		.amdhsa_reserve_vcc 0
		.amdhsa_reserve_flat_scratch 0
		.amdhsa_float_round_mode_32 0
		.amdhsa_float_round_mode_16_64 0
		.amdhsa_float_denorm_mode_32 3
		.amdhsa_float_denorm_mode_16_64 3
		.amdhsa_dx10_clamp 1
		.amdhsa_ieee_mode 1
		.amdhsa_fp16_overflow 0
		.amdhsa_tg_split 0
		.amdhsa_exception_fp_ieee_invalid_op 0
		.amdhsa_exception_fp_denorm_src 0
		.amdhsa_exception_fp_ieee_div_zero 0
		.amdhsa_exception_fp_ieee_overflow 0
		.amdhsa_exception_fp_ieee_underflow 0
		.amdhsa_exception_fp_ieee_inexact 0
		.amdhsa_exception_int_div_zero 0
	.end_amdhsa_kernel
	.section	.text._ZN7rocprim17ROCPRIM_400000_NS6detail17trampoline_kernelINS0_14default_configENS1_29reduce_by_key_config_selectorIffN6thrust23THRUST_200600_302600_NS4plusIfEEEEZZNS1_33reduce_by_key_impl_wrapped_configILNS1_25lookback_scan_determinismE1ES3_S9_NS6_6detail15normal_iteratorINS6_10device_ptrIfEEEESG_SG_SG_PmS8_22is_equal_div_10_reduceIfEEE10hipError_tPvRmT2_T3_mT4_T5_T6_T7_T8_P12ihipStream_tbENKUlT_T0_E_clISt17integral_constantIbLb1EES11_EEDaSW_SX_EUlSW_E_NS1_11comp_targetILNS1_3genE10ELNS1_11target_archE1200ELNS1_3gpuE4ELNS1_3repE0EEENS1_30default_config_static_selectorELNS0_4arch9wavefront6targetE1EEEvT1_,"axG",@progbits,_ZN7rocprim17ROCPRIM_400000_NS6detail17trampoline_kernelINS0_14default_configENS1_29reduce_by_key_config_selectorIffN6thrust23THRUST_200600_302600_NS4plusIfEEEEZZNS1_33reduce_by_key_impl_wrapped_configILNS1_25lookback_scan_determinismE1ES3_S9_NS6_6detail15normal_iteratorINS6_10device_ptrIfEEEESG_SG_SG_PmS8_22is_equal_div_10_reduceIfEEE10hipError_tPvRmT2_T3_mT4_T5_T6_T7_T8_P12ihipStream_tbENKUlT_T0_E_clISt17integral_constantIbLb1EES11_EEDaSW_SX_EUlSW_E_NS1_11comp_targetILNS1_3genE10ELNS1_11target_archE1200ELNS1_3gpuE4ELNS1_3repE0EEENS1_30default_config_static_selectorELNS0_4arch9wavefront6targetE1EEEvT1_,comdat
.Lfunc_end143:
	.size	_ZN7rocprim17ROCPRIM_400000_NS6detail17trampoline_kernelINS0_14default_configENS1_29reduce_by_key_config_selectorIffN6thrust23THRUST_200600_302600_NS4plusIfEEEEZZNS1_33reduce_by_key_impl_wrapped_configILNS1_25lookback_scan_determinismE1ES3_S9_NS6_6detail15normal_iteratorINS6_10device_ptrIfEEEESG_SG_SG_PmS8_22is_equal_div_10_reduceIfEEE10hipError_tPvRmT2_T3_mT4_T5_T6_T7_T8_P12ihipStream_tbENKUlT_T0_E_clISt17integral_constantIbLb1EES11_EEDaSW_SX_EUlSW_E_NS1_11comp_targetILNS1_3genE10ELNS1_11target_archE1200ELNS1_3gpuE4ELNS1_3repE0EEENS1_30default_config_static_selectorELNS0_4arch9wavefront6targetE1EEEvT1_, .Lfunc_end143-_ZN7rocprim17ROCPRIM_400000_NS6detail17trampoline_kernelINS0_14default_configENS1_29reduce_by_key_config_selectorIffN6thrust23THRUST_200600_302600_NS4plusIfEEEEZZNS1_33reduce_by_key_impl_wrapped_configILNS1_25lookback_scan_determinismE1ES3_S9_NS6_6detail15normal_iteratorINS6_10device_ptrIfEEEESG_SG_SG_PmS8_22is_equal_div_10_reduceIfEEE10hipError_tPvRmT2_T3_mT4_T5_T6_T7_T8_P12ihipStream_tbENKUlT_T0_E_clISt17integral_constantIbLb1EES11_EEDaSW_SX_EUlSW_E_NS1_11comp_targetILNS1_3genE10ELNS1_11target_archE1200ELNS1_3gpuE4ELNS1_3repE0EEENS1_30default_config_static_selectorELNS0_4arch9wavefront6targetE1EEEvT1_
                                        ; -- End function
	.section	.AMDGPU.csdata,"",@progbits
; Kernel info:
; codeLenInByte = 0
; NumSgprs: 4
; NumVgprs: 0
; NumAgprs: 0
; TotalNumVgprs: 0
; ScratchSize: 0
; MemoryBound: 0
; FloatMode: 240
; IeeeMode: 1
; LDSByteSize: 0 bytes/workgroup (compile time only)
; SGPRBlocks: 0
; VGPRBlocks: 0
; NumSGPRsForWavesPerEU: 4
; NumVGPRsForWavesPerEU: 1
; AccumOffset: 4
; Occupancy: 8
; WaveLimiterHint : 0
; COMPUTE_PGM_RSRC2:SCRATCH_EN: 0
; COMPUTE_PGM_RSRC2:USER_SGPR: 6
; COMPUTE_PGM_RSRC2:TRAP_HANDLER: 0
; COMPUTE_PGM_RSRC2:TGID_X_EN: 1
; COMPUTE_PGM_RSRC2:TGID_Y_EN: 0
; COMPUTE_PGM_RSRC2:TGID_Z_EN: 0
; COMPUTE_PGM_RSRC2:TIDIG_COMP_CNT: 0
; COMPUTE_PGM_RSRC3_GFX90A:ACCUM_OFFSET: 0
; COMPUTE_PGM_RSRC3_GFX90A:TG_SPLIT: 0
	.section	.text._ZN7rocprim17ROCPRIM_400000_NS6detail17trampoline_kernelINS0_14default_configENS1_29reduce_by_key_config_selectorIffN6thrust23THRUST_200600_302600_NS4plusIfEEEEZZNS1_33reduce_by_key_impl_wrapped_configILNS1_25lookback_scan_determinismE1ES3_S9_NS6_6detail15normal_iteratorINS6_10device_ptrIfEEEESG_SG_SG_PmS8_22is_equal_div_10_reduceIfEEE10hipError_tPvRmT2_T3_mT4_T5_T6_T7_T8_P12ihipStream_tbENKUlT_T0_E_clISt17integral_constantIbLb1EES11_EEDaSW_SX_EUlSW_E_NS1_11comp_targetILNS1_3genE9ELNS1_11target_archE1100ELNS1_3gpuE3ELNS1_3repE0EEENS1_30default_config_static_selectorELNS0_4arch9wavefront6targetE1EEEvT1_,"axG",@progbits,_ZN7rocprim17ROCPRIM_400000_NS6detail17trampoline_kernelINS0_14default_configENS1_29reduce_by_key_config_selectorIffN6thrust23THRUST_200600_302600_NS4plusIfEEEEZZNS1_33reduce_by_key_impl_wrapped_configILNS1_25lookback_scan_determinismE1ES3_S9_NS6_6detail15normal_iteratorINS6_10device_ptrIfEEEESG_SG_SG_PmS8_22is_equal_div_10_reduceIfEEE10hipError_tPvRmT2_T3_mT4_T5_T6_T7_T8_P12ihipStream_tbENKUlT_T0_E_clISt17integral_constantIbLb1EES11_EEDaSW_SX_EUlSW_E_NS1_11comp_targetILNS1_3genE9ELNS1_11target_archE1100ELNS1_3gpuE3ELNS1_3repE0EEENS1_30default_config_static_selectorELNS0_4arch9wavefront6targetE1EEEvT1_,comdat
	.protected	_ZN7rocprim17ROCPRIM_400000_NS6detail17trampoline_kernelINS0_14default_configENS1_29reduce_by_key_config_selectorIffN6thrust23THRUST_200600_302600_NS4plusIfEEEEZZNS1_33reduce_by_key_impl_wrapped_configILNS1_25lookback_scan_determinismE1ES3_S9_NS6_6detail15normal_iteratorINS6_10device_ptrIfEEEESG_SG_SG_PmS8_22is_equal_div_10_reduceIfEEE10hipError_tPvRmT2_T3_mT4_T5_T6_T7_T8_P12ihipStream_tbENKUlT_T0_E_clISt17integral_constantIbLb1EES11_EEDaSW_SX_EUlSW_E_NS1_11comp_targetILNS1_3genE9ELNS1_11target_archE1100ELNS1_3gpuE3ELNS1_3repE0EEENS1_30default_config_static_selectorELNS0_4arch9wavefront6targetE1EEEvT1_ ; -- Begin function _ZN7rocprim17ROCPRIM_400000_NS6detail17trampoline_kernelINS0_14default_configENS1_29reduce_by_key_config_selectorIffN6thrust23THRUST_200600_302600_NS4plusIfEEEEZZNS1_33reduce_by_key_impl_wrapped_configILNS1_25lookback_scan_determinismE1ES3_S9_NS6_6detail15normal_iteratorINS6_10device_ptrIfEEEESG_SG_SG_PmS8_22is_equal_div_10_reduceIfEEE10hipError_tPvRmT2_T3_mT4_T5_T6_T7_T8_P12ihipStream_tbENKUlT_T0_E_clISt17integral_constantIbLb1EES11_EEDaSW_SX_EUlSW_E_NS1_11comp_targetILNS1_3genE9ELNS1_11target_archE1100ELNS1_3gpuE3ELNS1_3repE0EEENS1_30default_config_static_selectorELNS0_4arch9wavefront6targetE1EEEvT1_
	.globl	_ZN7rocprim17ROCPRIM_400000_NS6detail17trampoline_kernelINS0_14default_configENS1_29reduce_by_key_config_selectorIffN6thrust23THRUST_200600_302600_NS4plusIfEEEEZZNS1_33reduce_by_key_impl_wrapped_configILNS1_25lookback_scan_determinismE1ES3_S9_NS6_6detail15normal_iteratorINS6_10device_ptrIfEEEESG_SG_SG_PmS8_22is_equal_div_10_reduceIfEEE10hipError_tPvRmT2_T3_mT4_T5_T6_T7_T8_P12ihipStream_tbENKUlT_T0_E_clISt17integral_constantIbLb1EES11_EEDaSW_SX_EUlSW_E_NS1_11comp_targetILNS1_3genE9ELNS1_11target_archE1100ELNS1_3gpuE3ELNS1_3repE0EEENS1_30default_config_static_selectorELNS0_4arch9wavefront6targetE1EEEvT1_
	.p2align	8
	.type	_ZN7rocprim17ROCPRIM_400000_NS6detail17trampoline_kernelINS0_14default_configENS1_29reduce_by_key_config_selectorIffN6thrust23THRUST_200600_302600_NS4plusIfEEEEZZNS1_33reduce_by_key_impl_wrapped_configILNS1_25lookback_scan_determinismE1ES3_S9_NS6_6detail15normal_iteratorINS6_10device_ptrIfEEEESG_SG_SG_PmS8_22is_equal_div_10_reduceIfEEE10hipError_tPvRmT2_T3_mT4_T5_T6_T7_T8_P12ihipStream_tbENKUlT_T0_E_clISt17integral_constantIbLb1EES11_EEDaSW_SX_EUlSW_E_NS1_11comp_targetILNS1_3genE9ELNS1_11target_archE1100ELNS1_3gpuE3ELNS1_3repE0EEENS1_30default_config_static_selectorELNS0_4arch9wavefront6targetE1EEEvT1_,@function
_ZN7rocprim17ROCPRIM_400000_NS6detail17trampoline_kernelINS0_14default_configENS1_29reduce_by_key_config_selectorIffN6thrust23THRUST_200600_302600_NS4plusIfEEEEZZNS1_33reduce_by_key_impl_wrapped_configILNS1_25lookback_scan_determinismE1ES3_S9_NS6_6detail15normal_iteratorINS6_10device_ptrIfEEEESG_SG_SG_PmS8_22is_equal_div_10_reduceIfEEE10hipError_tPvRmT2_T3_mT4_T5_T6_T7_T8_P12ihipStream_tbENKUlT_T0_E_clISt17integral_constantIbLb1EES11_EEDaSW_SX_EUlSW_E_NS1_11comp_targetILNS1_3genE9ELNS1_11target_archE1100ELNS1_3gpuE3ELNS1_3repE0EEENS1_30default_config_static_selectorELNS0_4arch9wavefront6targetE1EEEvT1_: ; @_ZN7rocprim17ROCPRIM_400000_NS6detail17trampoline_kernelINS0_14default_configENS1_29reduce_by_key_config_selectorIffN6thrust23THRUST_200600_302600_NS4plusIfEEEEZZNS1_33reduce_by_key_impl_wrapped_configILNS1_25lookback_scan_determinismE1ES3_S9_NS6_6detail15normal_iteratorINS6_10device_ptrIfEEEESG_SG_SG_PmS8_22is_equal_div_10_reduceIfEEE10hipError_tPvRmT2_T3_mT4_T5_T6_T7_T8_P12ihipStream_tbENKUlT_T0_E_clISt17integral_constantIbLb1EES11_EEDaSW_SX_EUlSW_E_NS1_11comp_targetILNS1_3genE9ELNS1_11target_archE1100ELNS1_3gpuE3ELNS1_3repE0EEENS1_30default_config_static_selectorELNS0_4arch9wavefront6targetE1EEEvT1_
; %bb.0:
	.section	.rodata,"a",@progbits
	.p2align	6, 0x0
	.amdhsa_kernel _ZN7rocprim17ROCPRIM_400000_NS6detail17trampoline_kernelINS0_14default_configENS1_29reduce_by_key_config_selectorIffN6thrust23THRUST_200600_302600_NS4plusIfEEEEZZNS1_33reduce_by_key_impl_wrapped_configILNS1_25lookback_scan_determinismE1ES3_S9_NS6_6detail15normal_iteratorINS6_10device_ptrIfEEEESG_SG_SG_PmS8_22is_equal_div_10_reduceIfEEE10hipError_tPvRmT2_T3_mT4_T5_T6_T7_T8_P12ihipStream_tbENKUlT_T0_E_clISt17integral_constantIbLb1EES11_EEDaSW_SX_EUlSW_E_NS1_11comp_targetILNS1_3genE9ELNS1_11target_archE1100ELNS1_3gpuE3ELNS1_3repE0EEENS1_30default_config_static_selectorELNS0_4arch9wavefront6targetE1EEEvT1_
		.amdhsa_group_segment_fixed_size 0
		.amdhsa_private_segment_fixed_size 0
		.amdhsa_kernarg_size 120
		.amdhsa_user_sgpr_count 6
		.amdhsa_user_sgpr_private_segment_buffer 1
		.amdhsa_user_sgpr_dispatch_ptr 0
		.amdhsa_user_sgpr_queue_ptr 0
		.amdhsa_user_sgpr_kernarg_segment_ptr 1
		.amdhsa_user_sgpr_dispatch_id 0
		.amdhsa_user_sgpr_flat_scratch_init 0
		.amdhsa_user_sgpr_kernarg_preload_length 0
		.amdhsa_user_sgpr_kernarg_preload_offset 0
		.amdhsa_user_sgpr_private_segment_size 0
		.amdhsa_uses_dynamic_stack 0
		.amdhsa_system_sgpr_private_segment_wavefront_offset 0
		.amdhsa_system_sgpr_workgroup_id_x 1
		.amdhsa_system_sgpr_workgroup_id_y 0
		.amdhsa_system_sgpr_workgroup_id_z 0
		.amdhsa_system_sgpr_workgroup_info 0
		.amdhsa_system_vgpr_workitem_id 0
		.amdhsa_next_free_vgpr 1
		.amdhsa_next_free_sgpr 0
		.amdhsa_accum_offset 4
		.amdhsa_reserve_vcc 0
		.amdhsa_reserve_flat_scratch 0
		.amdhsa_float_round_mode_32 0
		.amdhsa_float_round_mode_16_64 0
		.amdhsa_float_denorm_mode_32 3
		.amdhsa_float_denorm_mode_16_64 3
		.amdhsa_dx10_clamp 1
		.amdhsa_ieee_mode 1
		.amdhsa_fp16_overflow 0
		.amdhsa_tg_split 0
		.amdhsa_exception_fp_ieee_invalid_op 0
		.amdhsa_exception_fp_denorm_src 0
		.amdhsa_exception_fp_ieee_div_zero 0
		.amdhsa_exception_fp_ieee_overflow 0
		.amdhsa_exception_fp_ieee_underflow 0
		.amdhsa_exception_fp_ieee_inexact 0
		.amdhsa_exception_int_div_zero 0
	.end_amdhsa_kernel
	.section	.text._ZN7rocprim17ROCPRIM_400000_NS6detail17trampoline_kernelINS0_14default_configENS1_29reduce_by_key_config_selectorIffN6thrust23THRUST_200600_302600_NS4plusIfEEEEZZNS1_33reduce_by_key_impl_wrapped_configILNS1_25lookback_scan_determinismE1ES3_S9_NS6_6detail15normal_iteratorINS6_10device_ptrIfEEEESG_SG_SG_PmS8_22is_equal_div_10_reduceIfEEE10hipError_tPvRmT2_T3_mT4_T5_T6_T7_T8_P12ihipStream_tbENKUlT_T0_E_clISt17integral_constantIbLb1EES11_EEDaSW_SX_EUlSW_E_NS1_11comp_targetILNS1_3genE9ELNS1_11target_archE1100ELNS1_3gpuE3ELNS1_3repE0EEENS1_30default_config_static_selectorELNS0_4arch9wavefront6targetE1EEEvT1_,"axG",@progbits,_ZN7rocprim17ROCPRIM_400000_NS6detail17trampoline_kernelINS0_14default_configENS1_29reduce_by_key_config_selectorIffN6thrust23THRUST_200600_302600_NS4plusIfEEEEZZNS1_33reduce_by_key_impl_wrapped_configILNS1_25lookback_scan_determinismE1ES3_S9_NS6_6detail15normal_iteratorINS6_10device_ptrIfEEEESG_SG_SG_PmS8_22is_equal_div_10_reduceIfEEE10hipError_tPvRmT2_T3_mT4_T5_T6_T7_T8_P12ihipStream_tbENKUlT_T0_E_clISt17integral_constantIbLb1EES11_EEDaSW_SX_EUlSW_E_NS1_11comp_targetILNS1_3genE9ELNS1_11target_archE1100ELNS1_3gpuE3ELNS1_3repE0EEENS1_30default_config_static_selectorELNS0_4arch9wavefront6targetE1EEEvT1_,comdat
.Lfunc_end144:
	.size	_ZN7rocprim17ROCPRIM_400000_NS6detail17trampoline_kernelINS0_14default_configENS1_29reduce_by_key_config_selectorIffN6thrust23THRUST_200600_302600_NS4plusIfEEEEZZNS1_33reduce_by_key_impl_wrapped_configILNS1_25lookback_scan_determinismE1ES3_S9_NS6_6detail15normal_iteratorINS6_10device_ptrIfEEEESG_SG_SG_PmS8_22is_equal_div_10_reduceIfEEE10hipError_tPvRmT2_T3_mT4_T5_T6_T7_T8_P12ihipStream_tbENKUlT_T0_E_clISt17integral_constantIbLb1EES11_EEDaSW_SX_EUlSW_E_NS1_11comp_targetILNS1_3genE9ELNS1_11target_archE1100ELNS1_3gpuE3ELNS1_3repE0EEENS1_30default_config_static_selectorELNS0_4arch9wavefront6targetE1EEEvT1_, .Lfunc_end144-_ZN7rocprim17ROCPRIM_400000_NS6detail17trampoline_kernelINS0_14default_configENS1_29reduce_by_key_config_selectorIffN6thrust23THRUST_200600_302600_NS4plusIfEEEEZZNS1_33reduce_by_key_impl_wrapped_configILNS1_25lookback_scan_determinismE1ES3_S9_NS6_6detail15normal_iteratorINS6_10device_ptrIfEEEESG_SG_SG_PmS8_22is_equal_div_10_reduceIfEEE10hipError_tPvRmT2_T3_mT4_T5_T6_T7_T8_P12ihipStream_tbENKUlT_T0_E_clISt17integral_constantIbLb1EES11_EEDaSW_SX_EUlSW_E_NS1_11comp_targetILNS1_3genE9ELNS1_11target_archE1100ELNS1_3gpuE3ELNS1_3repE0EEENS1_30default_config_static_selectorELNS0_4arch9wavefront6targetE1EEEvT1_
                                        ; -- End function
	.section	.AMDGPU.csdata,"",@progbits
; Kernel info:
; codeLenInByte = 0
; NumSgprs: 4
; NumVgprs: 0
; NumAgprs: 0
; TotalNumVgprs: 0
; ScratchSize: 0
; MemoryBound: 0
; FloatMode: 240
; IeeeMode: 1
; LDSByteSize: 0 bytes/workgroup (compile time only)
; SGPRBlocks: 0
; VGPRBlocks: 0
; NumSGPRsForWavesPerEU: 4
; NumVGPRsForWavesPerEU: 1
; AccumOffset: 4
; Occupancy: 8
; WaveLimiterHint : 0
; COMPUTE_PGM_RSRC2:SCRATCH_EN: 0
; COMPUTE_PGM_RSRC2:USER_SGPR: 6
; COMPUTE_PGM_RSRC2:TRAP_HANDLER: 0
; COMPUTE_PGM_RSRC2:TGID_X_EN: 1
; COMPUTE_PGM_RSRC2:TGID_Y_EN: 0
; COMPUTE_PGM_RSRC2:TGID_Z_EN: 0
; COMPUTE_PGM_RSRC2:TIDIG_COMP_CNT: 0
; COMPUTE_PGM_RSRC3_GFX90A:ACCUM_OFFSET: 0
; COMPUTE_PGM_RSRC3_GFX90A:TG_SPLIT: 0
	.section	.text._ZN7rocprim17ROCPRIM_400000_NS6detail17trampoline_kernelINS0_14default_configENS1_29reduce_by_key_config_selectorIffN6thrust23THRUST_200600_302600_NS4plusIfEEEEZZNS1_33reduce_by_key_impl_wrapped_configILNS1_25lookback_scan_determinismE1ES3_S9_NS6_6detail15normal_iteratorINS6_10device_ptrIfEEEESG_SG_SG_PmS8_22is_equal_div_10_reduceIfEEE10hipError_tPvRmT2_T3_mT4_T5_T6_T7_T8_P12ihipStream_tbENKUlT_T0_E_clISt17integral_constantIbLb1EES11_EEDaSW_SX_EUlSW_E_NS1_11comp_targetILNS1_3genE8ELNS1_11target_archE1030ELNS1_3gpuE2ELNS1_3repE0EEENS1_30default_config_static_selectorELNS0_4arch9wavefront6targetE1EEEvT1_,"axG",@progbits,_ZN7rocprim17ROCPRIM_400000_NS6detail17trampoline_kernelINS0_14default_configENS1_29reduce_by_key_config_selectorIffN6thrust23THRUST_200600_302600_NS4plusIfEEEEZZNS1_33reduce_by_key_impl_wrapped_configILNS1_25lookback_scan_determinismE1ES3_S9_NS6_6detail15normal_iteratorINS6_10device_ptrIfEEEESG_SG_SG_PmS8_22is_equal_div_10_reduceIfEEE10hipError_tPvRmT2_T3_mT4_T5_T6_T7_T8_P12ihipStream_tbENKUlT_T0_E_clISt17integral_constantIbLb1EES11_EEDaSW_SX_EUlSW_E_NS1_11comp_targetILNS1_3genE8ELNS1_11target_archE1030ELNS1_3gpuE2ELNS1_3repE0EEENS1_30default_config_static_selectorELNS0_4arch9wavefront6targetE1EEEvT1_,comdat
	.protected	_ZN7rocprim17ROCPRIM_400000_NS6detail17trampoline_kernelINS0_14default_configENS1_29reduce_by_key_config_selectorIffN6thrust23THRUST_200600_302600_NS4plusIfEEEEZZNS1_33reduce_by_key_impl_wrapped_configILNS1_25lookback_scan_determinismE1ES3_S9_NS6_6detail15normal_iteratorINS6_10device_ptrIfEEEESG_SG_SG_PmS8_22is_equal_div_10_reduceIfEEE10hipError_tPvRmT2_T3_mT4_T5_T6_T7_T8_P12ihipStream_tbENKUlT_T0_E_clISt17integral_constantIbLb1EES11_EEDaSW_SX_EUlSW_E_NS1_11comp_targetILNS1_3genE8ELNS1_11target_archE1030ELNS1_3gpuE2ELNS1_3repE0EEENS1_30default_config_static_selectorELNS0_4arch9wavefront6targetE1EEEvT1_ ; -- Begin function _ZN7rocprim17ROCPRIM_400000_NS6detail17trampoline_kernelINS0_14default_configENS1_29reduce_by_key_config_selectorIffN6thrust23THRUST_200600_302600_NS4plusIfEEEEZZNS1_33reduce_by_key_impl_wrapped_configILNS1_25lookback_scan_determinismE1ES3_S9_NS6_6detail15normal_iteratorINS6_10device_ptrIfEEEESG_SG_SG_PmS8_22is_equal_div_10_reduceIfEEE10hipError_tPvRmT2_T3_mT4_T5_T6_T7_T8_P12ihipStream_tbENKUlT_T0_E_clISt17integral_constantIbLb1EES11_EEDaSW_SX_EUlSW_E_NS1_11comp_targetILNS1_3genE8ELNS1_11target_archE1030ELNS1_3gpuE2ELNS1_3repE0EEENS1_30default_config_static_selectorELNS0_4arch9wavefront6targetE1EEEvT1_
	.globl	_ZN7rocprim17ROCPRIM_400000_NS6detail17trampoline_kernelINS0_14default_configENS1_29reduce_by_key_config_selectorIffN6thrust23THRUST_200600_302600_NS4plusIfEEEEZZNS1_33reduce_by_key_impl_wrapped_configILNS1_25lookback_scan_determinismE1ES3_S9_NS6_6detail15normal_iteratorINS6_10device_ptrIfEEEESG_SG_SG_PmS8_22is_equal_div_10_reduceIfEEE10hipError_tPvRmT2_T3_mT4_T5_T6_T7_T8_P12ihipStream_tbENKUlT_T0_E_clISt17integral_constantIbLb1EES11_EEDaSW_SX_EUlSW_E_NS1_11comp_targetILNS1_3genE8ELNS1_11target_archE1030ELNS1_3gpuE2ELNS1_3repE0EEENS1_30default_config_static_selectorELNS0_4arch9wavefront6targetE1EEEvT1_
	.p2align	8
	.type	_ZN7rocprim17ROCPRIM_400000_NS6detail17trampoline_kernelINS0_14default_configENS1_29reduce_by_key_config_selectorIffN6thrust23THRUST_200600_302600_NS4plusIfEEEEZZNS1_33reduce_by_key_impl_wrapped_configILNS1_25lookback_scan_determinismE1ES3_S9_NS6_6detail15normal_iteratorINS6_10device_ptrIfEEEESG_SG_SG_PmS8_22is_equal_div_10_reduceIfEEE10hipError_tPvRmT2_T3_mT4_T5_T6_T7_T8_P12ihipStream_tbENKUlT_T0_E_clISt17integral_constantIbLb1EES11_EEDaSW_SX_EUlSW_E_NS1_11comp_targetILNS1_3genE8ELNS1_11target_archE1030ELNS1_3gpuE2ELNS1_3repE0EEENS1_30default_config_static_selectorELNS0_4arch9wavefront6targetE1EEEvT1_,@function
_ZN7rocprim17ROCPRIM_400000_NS6detail17trampoline_kernelINS0_14default_configENS1_29reduce_by_key_config_selectorIffN6thrust23THRUST_200600_302600_NS4plusIfEEEEZZNS1_33reduce_by_key_impl_wrapped_configILNS1_25lookback_scan_determinismE1ES3_S9_NS6_6detail15normal_iteratorINS6_10device_ptrIfEEEESG_SG_SG_PmS8_22is_equal_div_10_reduceIfEEE10hipError_tPvRmT2_T3_mT4_T5_T6_T7_T8_P12ihipStream_tbENKUlT_T0_E_clISt17integral_constantIbLb1EES11_EEDaSW_SX_EUlSW_E_NS1_11comp_targetILNS1_3genE8ELNS1_11target_archE1030ELNS1_3gpuE2ELNS1_3repE0EEENS1_30default_config_static_selectorELNS0_4arch9wavefront6targetE1EEEvT1_: ; @_ZN7rocprim17ROCPRIM_400000_NS6detail17trampoline_kernelINS0_14default_configENS1_29reduce_by_key_config_selectorIffN6thrust23THRUST_200600_302600_NS4plusIfEEEEZZNS1_33reduce_by_key_impl_wrapped_configILNS1_25lookback_scan_determinismE1ES3_S9_NS6_6detail15normal_iteratorINS6_10device_ptrIfEEEESG_SG_SG_PmS8_22is_equal_div_10_reduceIfEEE10hipError_tPvRmT2_T3_mT4_T5_T6_T7_T8_P12ihipStream_tbENKUlT_T0_E_clISt17integral_constantIbLb1EES11_EEDaSW_SX_EUlSW_E_NS1_11comp_targetILNS1_3genE8ELNS1_11target_archE1030ELNS1_3gpuE2ELNS1_3repE0EEENS1_30default_config_static_selectorELNS0_4arch9wavefront6targetE1EEEvT1_
; %bb.0:
	.section	.rodata,"a",@progbits
	.p2align	6, 0x0
	.amdhsa_kernel _ZN7rocprim17ROCPRIM_400000_NS6detail17trampoline_kernelINS0_14default_configENS1_29reduce_by_key_config_selectorIffN6thrust23THRUST_200600_302600_NS4plusIfEEEEZZNS1_33reduce_by_key_impl_wrapped_configILNS1_25lookback_scan_determinismE1ES3_S9_NS6_6detail15normal_iteratorINS6_10device_ptrIfEEEESG_SG_SG_PmS8_22is_equal_div_10_reduceIfEEE10hipError_tPvRmT2_T3_mT4_T5_T6_T7_T8_P12ihipStream_tbENKUlT_T0_E_clISt17integral_constantIbLb1EES11_EEDaSW_SX_EUlSW_E_NS1_11comp_targetILNS1_3genE8ELNS1_11target_archE1030ELNS1_3gpuE2ELNS1_3repE0EEENS1_30default_config_static_selectorELNS0_4arch9wavefront6targetE1EEEvT1_
		.amdhsa_group_segment_fixed_size 0
		.amdhsa_private_segment_fixed_size 0
		.amdhsa_kernarg_size 120
		.amdhsa_user_sgpr_count 6
		.amdhsa_user_sgpr_private_segment_buffer 1
		.amdhsa_user_sgpr_dispatch_ptr 0
		.amdhsa_user_sgpr_queue_ptr 0
		.amdhsa_user_sgpr_kernarg_segment_ptr 1
		.amdhsa_user_sgpr_dispatch_id 0
		.amdhsa_user_sgpr_flat_scratch_init 0
		.amdhsa_user_sgpr_kernarg_preload_length 0
		.amdhsa_user_sgpr_kernarg_preload_offset 0
		.amdhsa_user_sgpr_private_segment_size 0
		.amdhsa_uses_dynamic_stack 0
		.amdhsa_system_sgpr_private_segment_wavefront_offset 0
		.amdhsa_system_sgpr_workgroup_id_x 1
		.amdhsa_system_sgpr_workgroup_id_y 0
		.amdhsa_system_sgpr_workgroup_id_z 0
		.amdhsa_system_sgpr_workgroup_info 0
		.amdhsa_system_vgpr_workitem_id 0
		.amdhsa_next_free_vgpr 1
		.amdhsa_next_free_sgpr 0
		.amdhsa_accum_offset 4
		.amdhsa_reserve_vcc 0
		.amdhsa_reserve_flat_scratch 0
		.amdhsa_float_round_mode_32 0
		.amdhsa_float_round_mode_16_64 0
		.amdhsa_float_denorm_mode_32 3
		.amdhsa_float_denorm_mode_16_64 3
		.amdhsa_dx10_clamp 1
		.amdhsa_ieee_mode 1
		.amdhsa_fp16_overflow 0
		.amdhsa_tg_split 0
		.amdhsa_exception_fp_ieee_invalid_op 0
		.amdhsa_exception_fp_denorm_src 0
		.amdhsa_exception_fp_ieee_div_zero 0
		.amdhsa_exception_fp_ieee_overflow 0
		.amdhsa_exception_fp_ieee_underflow 0
		.amdhsa_exception_fp_ieee_inexact 0
		.amdhsa_exception_int_div_zero 0
	.end_amdhsa_kernel
	.section	.text._ZN7rocprim17ROCPRIM_400000_NS6detail17trampoline_kernelINS0_14default_configENS1_29reduce_by_key_config_selectorIffN6thrust23THRUST_200600_302600_NS4plusIfEEEEZZNS1_33reduce_by_key_impl_wrapped_configILNS1_25lookback_scan_determinismE1ES3_S9_NS6_6detail15normal_iteratorINS6_10device_ptrIfEEEESG_SG_SG_PmS8_22is_equal_div_10_reduceIfEEE10hipError_tPvRmT2_T3_mT4_T5_T6_T7_T8_P12ihipStream_tbENKUlT_T0_E_clISt17integral_constantIbLb1EES11_EEDaSW_SX_EUlSW_E_NS1_11comp_targetILNS1_3genE8ELNS1_11target_archE1030ELNS1_3gpuE2ELNS1_3repE0EEENS1_30default_config_static_selectorELNS0_4arch9wavefront6targetE1EEEvT1_,"axG",@progbits,_ZN7rocprim17ROCPRIM_400000_NS6detail17trampoline_kernelINS0_14default_configENS1_29reduce_by_key_config_selectorIffN6thrust23THRUST_200600_302600_NS4plusIfEEEEZZNS1_33reduce_by_key_impl_wrapped_configILNS1_25lookback_scan_determinismE1ES3_S9_NS6_6detail15normal_iteratorINS6_10device_ptrIfEEEESG_SG_SG_PmS8_22is_equal_div_10_reduceIfEEE10hipError_tPvRmT2_T3_mT4_T5_T6_T7_T8_P12ihipStream_tbENKUlT_T0_E_clISt17integral_constantIbLb1EES11_EEDaSW_SX_EUlSW_E_NS1_11comp_targetILNS1_3genE8ELNS1_11target_archE1030ELNS1_3gpuE2ELNS1_3repE0EEENS1_30default_config_static_selectorELNS0_4arch9wavefront6targetE1EEEvT1_,comdat
.Lfunc_end145:
	.size	_ZN7rocprim17ROCPRIM_400000_NS6detail17trampoline_kernelINS0_14default_configENS1_29reduce_by_key_config_selectorIffN6thrust23THRUST_200600_302600_NS4plusIfEEEEZZNS1_33reduce_by_key_impl_wrapped_configILNS1_25lookback_scan_determinismE1ES3_S9_NS6_6detail15normal_iteratorINS6_10device_ptrIfEEEESG_SG_SG_PmS8_22is_equal_div_10_reduceIfEEE10hipError_tPvRmT2_T3_mT4_T5_T6_T7_T8_P12ihipStream_tbENKUlT_T0_E_clISt17integral_constantIbLb1EES11_EEDaSW_SX_EUlSW_E_NS1_11comp_targetILNS1_3genE8ELNS1_11target_archE1030ELNS1_3gpuE2ELNS1_3repE0EEENS1_30default_config_static_selectorELNS0_4arch9wavefront6targetE1EEEvT1_, .Lfunc_end145-_ZN7rocprim17ROCPRIM_400000_NS6detail17trampoline_kernelINS0_14default_configENS1_29reduce_by_key_config_selectorIffN6thrust23THRUST_200600_302600_NS4plusIfEEEEZZNS1_33reduce_by_key_impl_wrapped_configILNS1_25lookback_scan_determinismE1ES3_S9_NS6_6detail15normal_iteratorINS6_10device_ptrIfEEEESG_SG_SG_PmS8_22is_equal_div_10_reduceIfEEE10hipError_tPvRmT2_T3_mT4_T5_T6_T7_T8_P12ihipStream_tbENKUlT_T0_E_clISt17integral_constantIbLb1EES11_EEDaSW_SX_EUlSW_E_NS1_11comp_targetILNS1_3genE8ELNS1_11target_archE1030ELNS1_3gpuE2ELNS1_3repE0EEENS1_30default_config_static_selectorELNS0_4arch9wavefront6targetE1EEEvT1_
                                        ; -- End function
	.section	.AMDGPU.csdata,"",@progbits
; Kernel info:
; codeLenInByte = 0
; NumSgprs: 4
; NumVgprs: 0
; NumAgprs: 0
; TotalNumVgprs: 0
; ScratchSize: 0
; MemoryBound: 0
; FloatMode: 240
; IeeeMode: 1
; LDSByteSize: 0 bytes/workgroup (compile time only)
; SGPRBlocks: 0
; VGPRBlocks: 0
; NumSGPRsForWavesPerEU: 4
; NumVGPRsForWavesPerEU: 1
; AccumOffset: 4
; Occupancy: 8
; WaveLimiterHint : 0
; COMPUTE_PGM_RSRC2:SCRATCH_EN: 0
; COMPUTE_PGM_RSRC2:USER_SGPR: 6
; COMPUTE_PGM_RSRC2:TRAP_HANDLER: 0
; COMPUTE_PGM_RSRC2:TGID_X_EN: 1
; COMPUTE_PGM_RSRC2:TGID_Y_EN: 0
; COMPUTE_PGM_RSRC2:TGID_Z_EN: 0
; COMPUTE_PGM_RSRC2:TIDIG_COMP_CNT: 0
; COMPUTE_PGM_RSRC3_GFX90A:ACCUM_OFFSET: 0
; COMPUTE_PGM_RSRC3_GFX90A:TG_SPLIT: 0
	.section	.text._ZN7rocprim17ROCPRIM_400000_NS6detail17trampoline_kernelINS0_14default_configENS1_29reduce_by_key_config_selectorIffN6thrust23THRUST_200600_302600_NS4plusIfEEEEZZNS1_33reduce_by_key_impl_wrapped_configILNS1_25lookback_scan_determinismE1ES3_S9_NS6_6detail15normal_iteratorINS6_10device_ptrIfEEEESG_SG_SG_PmS8_22is_equal_div_10_reduceIfEEE10hipError_tPvRmT2_T3_mT4_T5_T6_T7_T8_P12ihipStream_tbENKUlT_T0_E_clISt17integral_constantIbLb1EES10_IbLb0EEEEDaSW_SX_EUlSW_E_NS1_11comp_targetILNS1_3genE0ELNS1_11target_archE4294967295ELNS1_3gpuE0ELNS1_3repE0EEENS1_30default_config_static_selectorELNS0_4arch9wavefront6targetE1EEEvT1_,"axG",@progbits,_ZN7rocprim17ROCPRIM_400000_NS6detail17trampoline_kernelINS0_14default_configENS1_29reduce_by_key_config_selectorIffN6thrust23THRUST_200600_302600_NS4plusIfEEEEZZNS1_33reduce_by_key_impl_wrapped_configILNS1_25lookback_scan_determinismE1ES3_S9_NS6_6detail15normal_iteratorINS6_10device_ptrIfEEEESG_SG_SG_PmS8_22is_equal_div_10_reduceIfEEE10hipError_tPvRmT2_T3_mT4_T5_T6_T7_T8_P12ihipStream_tbENKUlT_T0_E_clISt17integral_constantIbLb1EES10_IbLb0EEEEDaSW_SX_EUlSW_E_NS1_11comp_targetILNS1_3genE0ELNS1_11target_archE4294967295ELNS1_3gpuE0ELNS1_3repE0EEENS1_30default_config_static_selectorELNS0_4arch9wavefront6targetE1EEEvT1_,comdat
	.protected	_ZN7rocprim17ROCPRIM_400000_NS6detail17trampoline_kernelINS0_14default_configENS1_29reduce_by_key_config_selectorIffN6thrust23THRUST_200600_302600_NS4plusIfEEEEZZNS1_33reduce_by_key_impl_wrapped_configILNS1_25lookback_scan_determinismE1ES3_S9_NS6_6detail15normal_iteratorINS6_10device_ptrIfEEEESG_SG_SG_PmS8_22is_equal_div_10_reduceIfEEE10hipError_tPvRmT2_T3_mT4_T5_T6_T7_T8_P12ihipStream_tbENKUlT_T0_E_clISt17integral_constantIbLb1EES10_IbLb0EEEEDaSW_SX_EUlSW_E_NS1_11comp_targetILNS1_3genE0ELNS1_11target_archE4294967295ELNS1_3gpuE0ELNS1_3repE0EEENS1_30default_config_static_selectorELNS0_4arch9wavefront6targetE1EEEvT1_ ; -- Begin function _ZN7rocprim17ROCPRIM_400000_NS6detail17trampoline_kernelINS0_14default_configENS1_29reduce_by_key_config_selectorIffN6thrust23THRUST_200600_302600_NS4plusIfEEEEZZNS1_33reduce_by_key_impl_wrapped_configILNS1_25lookback_scan_determinismE1ES3_S9_NS6_6detail15normal_iteratorINS6_10device_ptrIfEEEESG_SG_SG_PmS8_22is_equal_div_10_reduceIfEEE10hipError_tPvRmT2_T3_mT4_T5_T6_T7_T8_P12ihipStream_tbENKUlT_T0_E_clISt17integral_constantIbLb1EES10_IbLb0EEEEDaSW_SX_EUlSW_E_NS1_11comp_targetILNS1_3genE0ELNS1_11target_archE4294967295ELNS1_3gpuE0ELNS1_3repE0EEENS1_30default_config_static_selectorELNS0_4arch9wavefront6targetE1EEEvT1_
	.globl	_ZN7rocprim17ROCPRIM_400000_NS6detail17trampoline_kernelINS0_14default_configENS1_29reduce_by_key_config_selectorIffN6thrust23THRUST_200600_302600_NS4plusIfEEEEZZNS1_33reduce_by_key_impl_wrapped_configILNS1_25lookback_scan_determinismE1ES3_S9_NS6_6detail15normal_iteratorINS6_10device_ptrIfEEEESG_SG_SG_PmS8_22is_equal_div_10_reduceIfEEE10hipError_tPvRmT2_T3_mT4_T5_T6_T7_T8_P12ihipStream_tbENKUlT_T0_E_clISt17integral_constantIbLb1EES10_IbLb0EEEEDaSW_SX_EUlSW_E_NS1_11comp_targetILNS1_3genE0ELNS1_11target_archE4294967295ELNS1_3gpuE0ELNS1_3repE0EEENS1_30default_config_static_selectorELNS0_4arch9wavefront6targetE1EEEvT1_
	.p2align	8
	.type	_ZN7rocprim17ROCPRIM_400000_NS6detail17trampoline_kernelINS0_14default_configENS1_29reduce_by_key_config_selectorIffN6thrust23THRUST_200600_302600_NS4plusIfEEEEZZNS1_33reduce_by_key_impl_wrapped_configILNS1_25lookback_scan_determinismE1ES3_S9_NS6_6detail15normal_iteratorINS6_10device_ptrIfEEEESG_SG_SG_PmS8_22is_equal_div_10_reduceIfEEE10hipError_tPvRmT2_T3_mT4_T5_T6_T7_T8_P12ihipStream_tbENKUlT_T0_E_clISt17integral_constantIbLb1EES10_IbLb0EEEEDaSW_SX_EUlSW_E_NS1_11comp_targetILNS1_3genE0ELNS1_11target_archE4294967295ELNS1_3gpuE0ELNS1_3repE0EEENS1_30default_config_static_selectorELNS0_4arch9wavefront6targetE1EEEvT1_,@function
_ZN7rocprim17ROCPRIM_400000_NS6detail17trampoline_kernelINS0_14default_configENS1_29reduce_by_key_config_selectorIffN6thrust23THRUST_200600_302600_NS4plusIfEEEEZZNS1_33reduce_by_key_impl_wrapped_configILNS1_25lookback_scan_determinismE1ES3_S9_NS6_6detail15normal_iteratorINS6_10device_ptrIfEEEESG_SG_SG_PmS8_22is_equal_div_10_reduceIfEEE10hipError_tPvRmT2_T3_mT4_T5_T6_T7_T8_P12ihipStream_tbENKUlT_T0_E_clISt17integral_constantIbLb1EES10_IbLb0EEEEDaSW_SX_EUlSW_E_NS1_11comp_targetILNS1_3genE0ELNS1_11target_archE4294967295ELNS1_3gpuE0ELNS1_3repE0EEENS1_30default_config_static_selectorELNS0_4arch9wavefront6targetE1EEEvT1_: ; @_ZN7rocprim17ROCPRIM_400000_NS6detail17trampoline_kernelINS0_14default_configENS1_29reduce_by_key_config_selectorIffN6thrust23THRUST_200600_302600_NS4plusIfEEEEZZNS1_33reduce_by_key_impl_wrapped_configILNS1_25lookback_scan_determinismE1ES3_S9_NS6_6detail15normal_iteratorINS6_10device_ptrIfEEEESG_SG_SG_PmS8_22is_equal_div_10_reduceIfEEE10hipError_tPvRmT2_T3_mT4_T5_T6_T7_T8_P12ihipStream_tbENKUlT_T0_E_clISt17integral_constantIbLb1EES10_IbLb0EEEEDaSW_SX_EUlSW_E_NS1_11comp_targetILNS1_3genE0ELNS1_11target_archE4294967295ELNS1_3gpuE0ELNS1_3repE0EEENS1_30default_config_static_selectorELNS0_4arch9wavefront6targetE1EEEvT1_
; %bb.0:
	.section	.rodata,"a",@progbits
	.p2align	6, 0x0
	.amdhsa_kernel _ZN7rocprim17ROCPRIM_400000_NS6detail17trampoline_kernelINS0_14default_configENS1_29reduce_by_key_config_selectorIffN6thrust23THRUST_200600_302600_NS4plusIfEEEEZZNS1_33reduce_by_key_impl_wrapped_configILNS1_25lookback_scan_determinismE1ES3_S9_NS6_6detail15normal_iteratorINS6_10device_ptrIfEEEESG_SG_SG_PmS8_22is_equal_div_10_reduceIfEEE10hipError_tPvRmT2_T3_mT4_T5_T6_T7_T8_P12ihipStream_tbENKUlT_T0_E_clISt17integral_constantIbLb1EES10_IbLb0EEEEDaSW_SX_EUlSW_E_NS1_11comp_targetILNS1_3genE0ELNS1_11target_archE4294967295ELNS1_3gpuE0ELNS1_3repE0EEENS1_30default_config_static_selectorELNS0_4arch9wavefront6targetE1EEEvT1_
		.amdhsa_group_segment_fixed_size 0
		.amdhsa_private_segment_fixed_size 0
		.amdhsa_kernarg_size 120
		.amdhsa_user_sgpr_count 6
		.amdhsa_user_sgpr_private_segment_buffer 1
		.amdhsa_user_sgpr_dispatch_ptr 0
		.amdhsa_user_sgpr_queue_ptr 0
		.amdhsa_user_sgpr_kernarg_segment_ptr 1
		.amdhsa_user_sgpr_dispatch_id 0
		.amdhsa_user_sgpr_flat_scratch_init 0
		.amdhsa_user_sgpr_kernarg_preload_length 0
		.amdhsa_user_sgpr_kernarg_preload_offset 0
		.amdhsa_user_sgpr_private_segment_size 0
		.amdhsa_uses_dynamic_stack 0
		.amdhsa_system_sgpr_private_segment_wavefront_offset 0
		.amdhsa_system_sgpr_workgroup_id_x 1
		.amdhsa_system_sgpr_workgroup_id_y 0
		.amdhsa_system_sgpr_workgroup_id_z 0
		.amdhsa_system_sgpr_workgroup_info 0
		.amdhsa_system_vgpr_workitem_id 0
		.amdhsa_next_free_vgpr 1
		.amdhsa_next_free_sgpr 0
		.amdhsa_accum_offset 4
		.amdhsa_reserve_vcc 0
		.amdhsa_reserve_flat_scratch 0
		.amdhsa_float_round_mode_32 0
		.amdhsa_float_round_mode_16_64 0
		.amdhsa_float_denorm_mode_32 3
		.amdhsa_float_denorm_mode_16_64 3
		.amdhsa_dx10_clamp 1
		.amdhsa_ieee_mode 1
		.amdhsa_fp16_overflow 0
		.amdhsa_tg_split 0
		.amdhsa_exception_fp_ieee_invalid_op 0
		.amdhsa_exception_fp_denorm_src 0
		.amdhsa_exception_fp_ieee_div_zero 0
		.amdhsa_exception_fp_ieee_overflow 0
		.amdhsa_exception_fp_ieee_underflow 0
		.amdhsa_exception_fp_ieee_inexact 0
		.amdhsa_exception_int_div_zero 0
	.end_amdhsa_kernel
	.section	.text._ZN7rocprim17ROCPRIM_400000_NS6detail17trampoline_kernelINS0_14default_configENS1_29reduce_by_key_config_selectorIffN6thrust23THRUST_200600_302600_NS4plusIfEEEEZZNS1_33reduce_by_key_impl_wrapped_configILNS1_25lookback_scan_determinismE1ES3_S9_NS6_6detail15normal_iteratorINS6_10device_ptrIfEEEESG_SG_SG_PmS8_22is_equal_div_10_reduceIfEEE10hipError_tPvRmT2_T3_mT4_T5_T6_T7_T8_P12ihipStream_tbENKUlT_T0_E_clISt17integral_constantIbLb1EES10_IbLb0EEEEDaSW_SX_EUlSW_E_NS1_11comp_targetILNS1_3genE0ELNS1_11target_archE4294967295ELNS1_3gpuE0ELNS1_3repE0EEENS1_30default_config_static_selectorELNS0_4arch9wavefront6targetE1EEEvT1_,"axG",@progbits,_ZN7rocprim17ROCPRIM_400000_NS6detail17trampoline_kernelINS0_14default_configENS1_29reduce_by_key_config_selectorIffN6thrust23THRUST_200600_302600_NS4plusIfEEEEZZNS1_33reduce_by_key_impl_wrapped_configILNS1_25lookback_scan_determinismE1ES3_S9_NS6_6detail15normal_iteratorINS6_10device_ptrIfEEEESG_SG_SG_PmS8_22is_equal_div_10_reduceIfEEE10hipError_tPvRmT2_T3_mT4_T5_T6_T7_T8_P12ihipStream_tbENKUlT_T0_E_clISt17integral_constantIbLb1EES10_IbLb0EEEEDaSW_SX_EUlSW_E_NS1_11comp_targetILNS1_3genE0ELNS1_11target_archE4294967295ELNS1_3gpuE0ELNS1_3repE0EEENS1_30default_config_static_selectorELNS0_4arch9wavefront6targetE1EEEvT1_,comdat
.Lfunc_end146:
	.size	_ZN7rocprim17ROCPRIM_400000_NS6detail17trampoline_kernelINS0_14default_configENS1_29reduce_by_key_config_selectorIffN6thrust23THRUST_200600_302600_NS4plusIfEEEEZZNS1_33reduce_by_key_impl_wrapped_configILNS1_25lookback_scan_determinismE1ES3_S9_NS6_6detail15normal_iteratorINS6_10device_ptrIfEEEESG_SG_SG_PmS8_22is_equal_div_10_reduceIfEEE10hipError_tPvRmT2_T3_mT4_T5_T6_T7_T8_P12ihipStream_tbENKUlT_T0_E_clISt17integral_constantIbLb1EES10_IbLb0EEEEDaSW_SX_EUlSW_E_NS1_11comp_targetILNS1_3genE0ELNS1_11target_archE4294967295ELNS1_3gpuE0ELNS1_3repE0EEENS1_30default_config_static_selectorELNS0_4arch9wavefront6targetE1EEEvT1_, .Lfunc_end146-_ZN7rocprim17ROCPRIM_400000_NS6detail17trampoline_kernelINS0_14default_configENS1_29reduce_by_key_config_selectorIffN6thrust23THRUST_200600_302600_NS4plusIfEEEEZZNS1_33reduce_by_key_impl_wrapped_configILNS1_25lookback_scan_determinismE1ES3_S9_NS6_6detail15normal_iteratorINS6_10device_ptrIfEEEESG_SG_SG_PmS8_22is_equal_div_10_reduceIfEEE10hipError_tPvRmT2_T3_mT4_T5_T6_T7_T8_P12ihipStream_tbENKUlT_T0_E_clISt17integral_constantIbLb1EES10_IbLb0EEEEDaSW_SX_EUlSW_E_NS1_11comp_targetILNS1_3genE0ELNS1_11target_archE4294967295ELNS1_3gpuE0ELNS1_3repE0EEENS1_30default_config_static_selectorELNS0_4arch9wavefront6targetE1EEEvT1_
                                        ; -- End function
	.section	.AMDGPU.csdata,"",@progbits
; Kernel info:
; codeLenInByte = 0
; NumSgprs: 4
; NumVgprs: 0
; NumAgprs: 0
; TotalNumVgprs: 0
; ScratchSize: 0
; MemoryBound: 0
; FloatMode: 240
; IeeeMode: 1
; LDSByteSize: 0 bytes/workgroup (compile time only)
; SGPRBlocks: 0
; VGPRBlocks: 0
; NumSGPRsForWavesPerEU: 4
; NumVGPRsForWavesPerEU: 1
; AccumOffset: 4
; Occupancy: 8
; WaveLimiterHint : 0
; COMPUTE_PGM_RSRC2:SCRATCH_EN: 0
; COMPUTE_PGM_RSRC2:USER_SGPR: 6
; COMPUTE_PGM_RSRC2:TRAP_HANDLER: 0
; COMPUTE_PGM_RSRC2:TGID_X_EN: 1
; COMPUTE_PGM_RSRC2:TGID_Y_EN: 0
; COMPUTE_PGM_RSRC2:TGID_Z_EN: 0
; COMPUTE_PGM_RSRC2:TIDIG_COMP_CNT: 0
; COMPUTE_PGM_RSRC3_GFX90A:ACCUM_OFFSET: 0
; COMPUTE_PGM_RSRC3_GFX90A:TG_SPLIT: 0
	.section	.text._ZN7rocprim17ROCPRIM_400000_NS6detail17trampoline_kernelINS0_14default_configENS1_29reduce_by_key_config_selectorIffN6thrust23THRUST_200600_302600_NS4plusIfEEEEZZNS1_33reduce_by_key_impl_wrapped_configILNS1_25lookback_scan_determinismE1ES3_S9_NS6_6detail15normal_iteratorINS6_10device_ptrIfEEEESG_SG_SG_PmS8_22is_equal_div_10_reduceIfEEE10hipError_tPvRmT2_T3_mT4_T5_T6_T7_T8_P12ihipStream_tbENKUlT_T0_E_clISt17integral_constantIbLb1EES10_IbLb0EEEEDaSW_SX_EUlSW_E_NS1_11comp_targetILNS1_3genE5ELNS1_11target_archE942ELNS1_3gpuE9ELNS1_3repE0EEENS1_30default_config_static_selectorELNS0_4arch9wavefront6targetE1EEEvT1_,"axG",@progbits,_ZN7rocprim17ROCPRIM_400000_NS6detail17trampoline_kernelINS0_14default_configENS1_29reduce_by_key_config_selectorIffN6thrust23THRUST_200600_302600_NS4plusIfEEEEZZNS1_33reduce_by_key_impl_wrapped_configILNS1_25lookback_scan_determinismE1ES3_S9_NS6_6detail15normal_iteratorINS6_10device_ptrIfEEEESG_SG_SG_PmS8_22is_equal_div_10_reduceIfEEE10hipError_tPvRmT2_T3_mT4_T5_T6_T7_T8_P12ihipStream_tbENKUlT_T0_E_clISt17integral_constantIbLb1EES10_IbLb0EEEEDaSW_SX_EUlSW_E_NS1_11comp_targetILNS1_3genE5ELNS1_11target_archE942ELNS1_3gpuE9ELNS1_3repE0EEENS1_30default_config_static_selectorELNS0_4arch9wavefront6targetE1EEEvT1_,comdat
	.protected	_ZN7rocprim17ROCPRIM_400000_NS6detail17trampoline_kernelINS0_14default_configENS1_29reduce_by_key_config_selectorIffN6thrust23THRUST_200600_302600_NS4plusIfEEEEZZNS1_33reduce_by_key_impl_wrapped_configILNS1_25lookback_scan_determinismE1ES3_S9_NS6_6detail15normal_iteratorINS6_10device_ptrIfEEEESG_SG_SG_PmS8_22is_equal_div_10_reduceIfEEE10hipError_tPvRmT2_T3_mT4_T5_T6_T7_T8_P12ihipStream_tbENKUlT_T0_E_clISt17integral_constantIbLb1EES10_IbLb0EEEEDaSW_SX_EUlSW_E_NS1_11comp_targetILNS1_3genE5ELNS1_11target_archE942ELNS1_3gpuE9ELNS1_3repE0EEENS1_30default_config_static_selectorELNS0_4arch9wavefront6targetE1EEEvT1_ ; -- Begin function _ZN7rocprim17ROCPRIM_400000_NS6detail17trampoline_kernelINS0_14default_configENS1_29reduce_by_key_config_selectorIffN6thrust23THRUST_200600_302600_NS4plusIfEEEEZZNS1_33reduce_by_key_impl_wrapped_configILNS1_25lookback_scan_determinismE1ES3_S9_NS6_6detail15normal_iteratorINS6_10device_ptrIfEEEESG_SG_SG_PmS8_22is_equal_div_10_reduceIfEEE10hipError_tPvRmT2_T3_mT4_T5_T6_T7_T8_P12ihipStream_tbENKUlT_T0_E_clISt17integral_constantIbLb1EES10_IbLb0EEEEDaSW_SX_EUlSW_E_NS1_11comp_targetILNS1_3genE5ELNS1_11target_archE942ELNS1_3gpuE9ELNS1_3repE0EEENS1_30default_config_static_selectorELNS0_4arch9wavefront6targetE1EEEvT1_
	.globl	_ZN7rocprim17ROCPRIM_400000_NS6detail17trampoline_kernelINS0_14default_configENS1_29reduce_by_key_config_selectorIffN6thrust23THRUST_200600_302600_NS4plusIfEEEEZZNS1_33reduce_by_key_impl_wrapped_configILNS1_25lookback_scan_determinismE1ES3_S9_NS6_6detail15normal_iteratorINS6_10device_ptrIfEEEESG_SG_SG_PmS8_22is_equal_div_10_reduceIfEEE10hipError_tPvRmT2_T3_mT4_T5_T6_T7_T8_P12ihipStream_tbENKUlT_T0_E_clISt17integral_constantIbLb1EES10_IbLb0EEEEDaSW_SX_EUlSW_E_NS1_11comp_targetILNS1_3genE5ELNS1_11target_archE942ELNS1_3gpuE9ELNS1_3repE0EEENS1_30default_config_static_selectorELNS0_4arch9wavefront6targetE1EEEvT1_
	.p2align	8
	.type	_ZN7rocprim17ROCPRIM_400000_NS6detail17trampoline_kernelINS0_14default_configENS1_29reduce_by_key_config_selectorIffN6thrust23THRUST_200600_302600_NS4plusIfEEEEZZNS1_33reduce_by_key_impl_wrapped_configILNS1_25lookback_scan_determinismE1ES3_S9_NS6_6detail15normal_iteratorINS6_10device_ptrIfEEEESG_SG_SG_PmS8_22is_equal_div_10_reduceIfEEE10hipError_tPvRmT2_T3_mT4_T5_T6_T7_T8_P12ihipStream_tbENKUlT_T0_E_clISt17integral_constantIbLb1EES10_IbLb0EEEEDaSW_SX_EUlSW_E_NS1_11comp_targetILNS1_3genE5ELNS1_11target_archE942ELNS1_3gpuE9ELNS1_3repE0EEENS1_30default_config_static_selectorELNS0_4arch9wavefront6targetE1EEEvT1_,@function
_ZN7rocprim17ROCPRIM_400000_NS6detail17trampoline_kernelINS0_14default_configENS1_29reduce_by_key_config_selectorIffN6thrust23THRUST_200600_302600_NS4plusIfEEEEZZNS1_33reduce_by_key_impl_wrapped_configILNS1_25lookback_scan_determinismE1ES3_S9_NS6_6detail15normal_iteratorINS6_10device_ptrIfEEEESG_SG_SG_PmS8_22is_equal_div_10_reduceIfEEE10hipError_tPvRmT2_T3_mT4_T5_T6_T7_T8_P12ihipStream_tbENKUlT_T0_E_clISt17integral_constantIbLb1EES10_IbLb0EEEEDaSW_SX_EUlSW_E_NS1_11comp_targetILNS1_3genE5ELNS1_11target_archE942ELNS1_3gpuE9ELNS1_3repE0EEENS1_30default_config_static_selectorELNS0_4arch9wavefront6targetE1EEEvT1_: ; @_ZN7rocprim17ROCPRIM_400000_NS6detail17trampoline_kernelINS0_14default_configENS1_29reduce_by_key_config_selectorIffN6thrust23THRUST_200600_302600_NS4plusIfEEEEZZNS1_33reduce_by_key_impl_wrapped_configILNS1_25lookback_scan_determinismE1ES3_S9_NS6_6detail15normal_iteratorINS6_10device_ptrIfEEEESG_SG_SG_PmS8_22is_equal_div_10_reduceIfEEE10hipError_tPvRmT2_T3_mT4_T5_T6_T7_T8_P12ihipStream_tbENKUlT_T0_E_clISt17integral_constantIbLb1EES10_IbLb0EEEEDaSW_SX_EUlSW_E_NS1_11comp_targetILNS1_3genE5ELNS1_11target_archE942ELNS1_3gpuE9ELNS1_3repE0EEENS1_30default_config_static_selectorELNS0_4arch9wavefront6targetE1EEEvT1_
; %bb.0:
	.section	.rodata,"a",@progbits
	.p2align	6, 0x0
	.amdhsa_kernel _ZN7rocprim17ROCPRIM_400000_NS6detail17trampoline_kernelINS0_14default_configENS1_29reduce_by_key_config_selectorIffN6thrust23THRUST_200600_302600_NS4plusIfEEEEZZNS1_33reduce_by_key_impl_wrapped_configILNS1_25lookback_scan_determinismE1ES3_S9_NS6_6detail15normal_iteratorINS6_10device_ptrIfEEEESG_SG_SG_PmS8_22is_equal_div_10_reduceIfEEE10hipError_tPvRmT2_T3_mT4_T5_T6_T7_T8_P12ihipStream_tbENKUlT_T0_E_clISt17integral_constantIbLb1EES10_IbLb0EEEEDaSW_SX_EUlSW_E_NS1_11comp_targetILNS1_3genE5ELNS1_11target_archE942ELNS1_3gpuE9ELNS1_3repE0EEENS1_30default_config_static_selectorELNS0_4arch9wavefront6targetE1EEEvT1_
		.amdhsa_group_segment_fixed_size 0
		.amdhsa_private_segment_fixed_size 0
		.amdhsa_kernarg_size 120
		.amdhsa_user_sgpr_count 6
		.amdhsa_user_sgpr_private_segment_buffer 1
		.amdhsa_user_sgpr_dispatch_ptr 0
		.amdhsa_user_sgpr_queue_ptr 0
		.amdhsa_user_sgpr_kernarg_segment_ptr 1
		.amdhsa_user_sgpr_dispatch_id 0
		.amdhsa_user_sgpr_flat_scratch_init 0
		.amdhsa_user_sgpr_kernarg_preload_length 0
		.amdhsa_user_sgpr_kernarg_preload_offset 0
		.amdhsa_user_sgpr_private_segment_size 0
		.amdhsa_uses_dynamic_stack 0
		.amdhsa_system_sgpr_private_segment_wavefront_offset 0
		.amdhsa_system_sgpr_workgroup_id_x 1
		.amdhsa_system_sgpr_workgroup_id_y 0
		.amdhsa_system_sgpr_workgroup_id_z 0
		.amdhsa_system_sgpr_workgroup_info 0
		.amdhsa_system_vgpr_workitem_id 0
		.amdhsa_next_free_vgpr 1
		.amdhsa_next_free_sgpr 0
		.amdhsa_accum_offset 4
		.amdhsa_reserve_vcc 0
		.amdhsa_reserve_flat_scratch 0
		.amdhsa_float_round_mode_32 0
		.amdhsa_float_round_mode_16_64 0
		.amdhsa_float_denorm_mode_32 3
		.amdhsa_float_denorm_mode_16_64 3
		.amdhsa_dx10_clamp 1
		.amdhsa_ieee_mode 1
		.amdhsa_fp16_overflow 0
		.amdhsa_tg_split 0
		.amdhsa_exception_fp_ieee_invalid_op 0
		.amdhsa_exception_fp_denorm_src 0
		.amdhsa_exception_fp_ieee_div_zero 0
		.amdhsa_exception_fp_ieee_overflow 0
		.amdhsa_exception_fp_ieee_underflow 0
		.amdhsa_exception_fp_ieee_inexact 0
		.amdhsa_exception_int_div_zero 0
	.end_amdhsa_kernel
	.section	.text._ZN7rocprim17ROCPRIM_400000_NS6detail17trampoline_kernelINS0_14default_configENS1_29reduce_by_key_config_selectorIffN6thrust23THRUST_200600_302600_NS4plusIfEEEEZZNS1_33reduce_by_key_impl_wrapped_configILNS1_25lookback_scan_determinismE1ES3_S9_NS6_6detail15normal_iteratorINS6_10device_ptrIfEEEESG_SG_SG_PmS8_22is_equal_div_10_reduceIfEEE10hipError_tPvRmT2_T3_mT4_T5_T6_T7_T8_P12ihipStream_tbENKUlT_T0_E_clISt17integral_constantIbLb1EES10_IbLb0EEEEDaSW_SX_EUlSW_E_NS1_11comp_targetILNS1_3genE5ELNS1_11target_archE942ELNS1_3gpuE9ELNS1_3repE0EEENS1_30default_config_static_selectorELNS0_4arch9wavefront6targetE1EEEvT1_,"axG",@progbits,_ZN7rocprim17ROCPRIM_400000_NS6detail17trampoline_kernelINS0_14default_configENS1_29reduce_by_key_config_selectorIffN6thrust23THRUST_200600_302600_NS4plusIfEEEEZZNS1_33reduce_by_key_impl_wrapped_configILNS1_25lookback_scan_determinismE1ES3_S9_NS6_6detail15normal_iteratorINS6_10device_ptrIfEEEESG_SG_SG_PmS8_22is_equal_div_10_reduceIfEEE10hipError_tPvRmT2_T3_mT4_T5_T6_T7_T8_P12ihipStream_tbENKUlT_T0_E_clISt17integral_constantIbLb1EES10_IbLb0EEEEDaSW_SX_EUlSW_E_NS1_11comp_targetILNS1_3genE5ELNS1_11target_archE942ELNS1_3gpuE9ELNS1_3repE0EEENS1_30default_config_static_selectorELNS0_4arch9wavefront6targetE1EEEvT1_,comdat
.Lfunc_end147:
	.size	_ZN7rocprim17ROCPRIM_400000_NS6detail17trampoline_kernelINS0_14default_configENS1_29reduce_by_key_config_selectorIffN6thrust23THRUST_200600_302600_NS4plusIfEEEEZZNS1_33reduce_by_key_impl_wrapped_configILNS1_25lookback_scan_determinismE1ES3_S9_NS6_6detail15normal_iteratorINS6_10device_ptrIfEEEESG_SG_SG_PmS8_22is_equal_div_10_reduceIfEEE10hipError_tPvRmT2_T3_mT4_T5_T6_T7_T8_P12ihipStream_tbENKUlT_T0_E_clISt17integral_constantIbLb1EES10_IbLb0EEEEDaSW_SX_EUlSW_E_NS1_11comp_targetILNS1_3genE5ELNS1_11target_archE942ELNS1_3gpuE9ELNS1_3repE0EEENS1_30default_config_static_selectorELNS0_4arch9wavefront6targetE1EEEvT1_, .Lfunc_end147-_ZN7rocprim17ROCPRIM_400000_NS6detail17trampoline_kernelINS0_14default_configENS1_29reduce_by_key_config_selectorIffN6thrust23THRUST_200600_302600_NS4plusIfEEEEZZNS1_33reduce_by_key_impl_wrapped_configILNS1_25lookback_scan_determinismE1ES3_S9_NS6_6detail15normal_iteratorINS6_10device_ptrIfEEEESG_SG_SG_PmS8_22is_equal_div_10_reduceIfEEE10hipError_tPvRmT2_T3_mT4_T5_T6_T7_T8_P12ihipStream_tbENKUlT_T0_E_clISt17integral_constantIbLb1EES10_IbLb0EEEEDaSW_SX_EUlSW_E_NS1_11comp_targetILNS1_3genE5ELNS1_11target_archE942ELNS1_3gpuE9ELNS1_3repE0EEENS1_30default_config_static_selectorELNS0_4arch9wavefront6targetE1EEEvT1_
                                        ; -- End function
	.section	.AMDGPU.csdata,"",@progbits
; Kernel info:
; codeLenInByte = 0
; NumSgprs: 4
; NumVgprs: 0
; NumAgprs: 0
; TotalNumVgprs: 0
; ScratchSize: 0
; MemoryBound: 0
; FloatMode: 240
; IeeeMode: 1
; LDSByteSize: 0 bytes/workgroup (compile time only)
; SGPRBlocks: 0
; VGPRBlocks: 0
; NumSGPRsForWavesPerEU: 4
; NumVGPRsForWavesPerEU: 1
; AccumOffset: 4
; Occupancy: 8
; WaveLimiterHint : 0
; COMPUTE_PGM_RSRC2:SCRATCH_EN: 0
; COMPUTE_PGM_RSRC2:USER_SGPR: 6
; COMPUTE_PGM_RSRC2:TRAP_HANDLER: 0
; COMPUTE_PGM_RSRC2:TGID_X_EN: 1
; COMPUTE_PGM_RSRC2:TGID_Y_EN: 0
; COMPUTE_PGM_RSRC2:TGID_Z_EN: 0
; COMPUTE_PGM_RSRC2:TIDIG_COMP_CNT: 0
; COMPUTE_PGM_RSRC3_GFX90A:ACCUM_OFFSET: 0
; COMPUTE_PGM_RSRC3_GFX90A:TG_SPLIT: 0
	.section	.text._ZN7rocprim17ROCPRIM_400000_NS6detail17trampoline_kernelINS0_14default_configENS1_29reduce_by_key_config_selectorIffN6thrust23THRUST_200600_302600_NS4plusIfEEEEZZNS1_33reduce_by_key_impl_wrapped_configILNS1_25lookback_scan_determinismE1ES3_S9_NS6_6detail15normal_iteratorINS6_10device_ptrIfEEEESG_SG_SG_PmS8_22is_equal_div_10_reduceIfEEE10hipError_tPvRmT2_T3_mT4_T5_T6_T7_T8_P12ihipStream_tbENKUlT_T0_E_clISt17integral_constantIbLb1EES10_IbLb0EEEEDaSW_SX_EUlSW_E_NS1_11comp_targetILNS1_3genE4ELNS1_11target_archE910ELNS1_3gpuE8ELNS1_3repE0EEENS1_30default_config_static_selectorELNS0_4arch9wavefront6targetE1EEEvT1_,"axG",@progbits,_ZN7rocprim17ROCPRIM_400000_NS6detail17trampoline_kernelINS0_14default_configENS1_29reduce_by_key_config_selectorIffN6thrust23THRUST_200600_302600_NS4plusIfEEEEZZNS1_33reduce_by_key_impl_wrapped_configILNS1_25lookback_scan_determinismE1ES3_S9_NS6_6detail15normal_iteratorINS6_10device_ptrIfEEEESG_SG_SG_PmS8_22is_equal_div_10_reduceIfEEE10hipError_tPvRmT2_T3_mT4_T5_T6_T7_T8_P12ihipStream_tbENKUlT_T0_E_clISt17integral_constantIbLb1EES10_IbLb0EEEEDaSW_SX_EUlSW_E_NS1_11comp_targetILNS1_3genE4ELNS1_11target_archE910ELNS1_3gpuE8ELNS1_3repE0EEENS1_30default_config_static_selectorELNS0_4arch9wavefront6targetE1EEEvT1_,comdat
	.protected	_ZN7rocprim17ROCPRIM_400000_NS6detail17trampoline_kernelINS0_14default_configENS1_29reduce_by_key_config_selectorIffN6thrust23THRUST_200600_302600_NS4plusIfEEEEZZNS1_33reduce_by_key_impl_wrapped_configILNS1_25lookback_scan_determinismE1ES3_S9_NS6_6detail15normal_iteratorINS6_10device_ptrIfEEEESG_SG_SG_PmS8_22is_equal_div_10_reduceIfEEE10hipError_tPvRmT2_T3_mT4_T5_T6_T7_T8_P12ihipStream_tbENKUlT_T0_E_clISt17integral_constantIbLb1EES10_IbLb0EEEEDaSW_SX_EUlSW_E_NS1_11comp_targetILNS1_3genE4ELNS1_11target_archE910ELNS1_3gpuE8ELNS1_3repE0EEENS1_30default_config_static_selectorELNS0_4arch9wavefront6targetE1EEEvT1_ ; -- Begin function _ZN7rocprim17ROCPRIM_400000_NS6detail17trampoline_kernelINS0_14default_configENS1_29reduce_by_key_config_selectorIffN6thrust23THRUST_200600_302600_NS4plusIfEEEEZZNS1_33reduce_by_key_impl_wrapped_configILNS1_25lookback_scan_determinismE1ES3_S9_NS6_6detail15normal_iteratorINS6_10device_ptrIfEEEESG_SG_SG_PmS8_22is_equal_div_10_reduceIfEEE10hipError_tPvRmT2_T3_mT4_T5_T6_T7_T8_P12ihipStream_tbENKUlT_T0_E_clISt17integral_constantIbLb1EES10_IbLb0EEEEDaSW_SX_EUlSW_E_NS1_11comp_targetILNS1_3genE4ELNS1_11target_archE910ELNS1_3gpuE8ELNS1_3repE0EEENS1_30default_config_static_selectorELNS0_4arch9wavefront6targetE1EEEvT1_
	.globl	_ZN7rocprim17ROCPRIM_400000_NS6detail17trampoline_kernelINS0_14default_configENS1_29reduce_by_key_config_selectorIffN6thrust23THRUST_200600_302600_NS4plusIfEEEEZZNS1_33reduce_by_key_impl_wrapped_configILNS1_25lookback_scan_determinismE1ES3_S9_NS6_6detail15normal_iteratorINS6_10device_ptrIfEEEESG_SG_SG_PmS8_22is_equal_div_10_reduceIfEEE10hipError_tPvRmT2_T3_mT4_T5_T6_T7_T8_P12ihipStream_tbENKUlT_T0_E_clISt17integral_constantIbLb1EES10_IbLb0EEEEDaSW_SX_EUlSW_E_NS1_11comp_targetILNS1_3genE4ELNS1_11target_archE910ELNS1_3gpuE8ELNS1_3repE0EEENS1_30default_config_static_selectorELNS0_4arch9wavefront6targetE1EEEvT1_
	.p2align	8
	.type	_ZN7rocprim17ROCPRIM_400000_NS6detail17trampoline_kernelINS0_14default_configENS1_29reduce_by_key_config_selectorIffN6thrust23THRUST_200600_302600_NS4plusIfEEEEZZNS1_33reduce_by_key_impl_wrapped_configILNS1_25lookback_scan_determinismE1ES3_S9_NS6_6detail15normal_iteratorINS6_10device_ptrIfEEEESG_SG_SG_PmS8_22is_equal_div_10_reduceIfEEE10hipError_tPvRmT2_T3_mT4_T5_T6_T7_T8_P12ihipStream_tbENKUlT_T0_E_clISt17integral_constantIbLb1EES10_IbLb0EEEEDaSW_SX_EUlSW_E_NS1_11comp_targetILNS1_3genE4ELNS1_11target_archE910ELNS1_3gpuE8ELNS1_3repE0EEENS1_30default_config_static_selectorELNS0_4arch9wavefront6targetE1EEEvT1_,@function
_ZN7rocprim17ROCPRIM_400000_NS6detail17trampoline_kernelINS0_14default_configENS1_29reduce_by_key_config_selectorIffN6thrust23THRUST_200600_302600_NS4plusIfEEEEZZNS1_33reduce_by_key_impl_wrapped_configILNS1_25lookback_scan_determinismE1ES3_S9_NS6_6detail15normal_iteratorINS6_10device_ptrIfEEEESG_SG_SG_PmS8_22is_equal_div_10_reduceIfEEE10hipError_tPvRmT2_T3_mT4_T5_T6_T7_T8_P12ihipStream_tbENKUlT_T0_E_clISt17integral_constantIbLb1EES10_IbLb0EEEEDaSW_SX_EUlSW_E_NS1_11comp_targetILNS1_3genE4ELNS1_11target_archE910ELNS1_3gpuE8ELNS1_3repE0EEENS1_30default_config_static_selectorELNS0_4arch9wavefront6targetE1EEEvT1_: ; @_ZN7rocprim17ROCPRIM_400000_NS6detail17trampoline_kernelINS0_14default_configENS1_29reduce_by_key_config_selectorIffN6thrust23THRUST_200600_302600_NS4plusIfEEEEZZNS1_33reduce_by_key_impl_wrapped_configILNS1_25lookback_scan_determinismE1ES3_S9_NS6_6detail15normal_iteratorINS6_10device_ptrIfEEEESG_SG_SG_PmS8_22is_equal_div_10_reduceIfEEE10hipError_tPvRmT2_T3_mT4_T5_T6_T7_T8_P12ihipStream_tbENKUlT_T0_E_clISt17integral_constantIbLb1EES10_IbLb0EEEEDaSW_SX_EUlSW_E_NS1_11comp_targetILNS1_3genE4ELNS1_11target_archE910ELNS1_3gpuE8ELNS1_3repE0EEENS1_30default_config_static_selectorELNS0_4arch9wavefront6targetE1EEEvT1_
; %bb.0:
	s_add_u32 flat_scratch_lo, s6, s9
	s_addc_u32 flat_scratch_hi, s7, 0
	s_add_u32 s0, s0, s9
	s_load_dwordx8 s[36:43], s[4:5], 0x0
	s_load_dwordx4 s[52:55], s[4:5], 0x20
	s_load_dwordx8 s[44:51], s[4:5], 0x38
	s_load_dwordx2 s[60:61], s[4:5], 0x68
	s_load_dwordx4 s[56:59], s[4:5], 0x58
	s_addc_u32 s1, s1, 0
	s_waitcnt lgkmcnt(0)
	s_lshl_b64 s[4:5], s[38:39], 2
	s_add_u32 s6, s36, s4
	s_addc_u32 s7, s37, s5
	s_add_u32 s10, s40, s4
	s_addc_u32 s11, s41, s5
	s_mul_i32 s4, s48, s47
	s_mul_hi_u32 s5, s48, s46
	s_add_i32 s4, s5, s4
	s_mul_i32 s5, s49, s46
	s_add_i32 s12, s4, s5
	s_mul_i32 s4, s8, 0xf00
	s_mov_b32 s5, 0
	s_lshl_b64 s[4:5], s[4:5], 2
	s_add_u32 s9, s6, s4
	s_addc_u32 s62, s7, s5
	s_add_u32 s63, s10, s4
	s_mul_i32 s13, s48, s46
	s_addc_u32 s64, s11, s5
	s_add_u32 s48, s13, s8
	s_addc_u32 s49, s12, 0
	s_add_u32 s6, s50, -1
	s_addc_u32 s7, s51, -1
	s_cmp_eq_u64 s[48:49], s[6:7]
	s_cselect_b64 s[38:39], -1, 0
	s_cmp_lg_u64 s[48:49], s[6:7]
	s_mov_b64 s[4:5], -1
	s_cselect_b64 s[50:51], -1, 0
	s_mul_i32 s33, s6, 0xfffff100
	s_and_b64 vcc, exec, s[38:39]
	s_cbranch_vccnz .LBB148_2
; %bb.1:
	v_lshlrev_b32_e32 v26, 2, v0
	v_mov_b32_e32 v1, s62
	v_add_co_u32_e32 v2, vcc, s9, v26
	v_addc_co_u32_e32 v3, vcc, 0, v1, vcc
	v_add_co_u32_e32 v4, vcc, 0x1000, v2
	v_addc_co_u32_e32 v5, vcc, 0, v3, vcc
	flat_load_dword v1, v[2:3]
	flat_load_dword v12, v[2:3] offset:1024
	flat_load_dword v13, v[2:3] offset:2048
	;; [unrolled: 1-line block ×3, first 2 shown]
	flat_load_dword v15, v[4:5]
	flat_load_dword v16, v[4:5] offset:1024
	flat_load_dword v17, v[4:5] offset:2048
	;; [unrolled: 1-line block ×3, first 2 shown]
	v_add_co_u32_e32 v4, vcc, 0x2000, v2
	v_addc_co_u32_e32 v5, vcc, 0, v3, vcc
	v_add_co_u32_e32 v2, vcc, 0x3000, v2
	v_addc_co_u32_e32 v3, vcc, 0, v3, vcc
	flat_load_dword v19, v[4:5]
	flat_load_dword v20, v[4:5] offset:1024
	flat_load_dword v21, v[4:5] offset:2048
	;; [unrolled: 1-line block ×3, first 2 shown]
	flat_load_dword v23, v[2:3]
	flat_load_dword v24, v[2:3] offset:1024
	flat_load_dword v25, v[2:3] offset:2048
	v_mov_b32_e32 v3, s64
	v_add_co_u32_e32 v4, vcc, s63, v26
	s_movk_i32 s4, 0x1000
	v_addc_co_u32_e32 v5, vcc, 0, v3, vcc
	v_add_co_u32_e32 v6, vcc, s4, v4
	s_movk_i32 s5, 0x2000
	v_addc_co_u32_e32 v7, vcc, 0, v5, vcc
	;; [unrolled: 3-line block ×3, first 2 shown]
	v_mad_u32_u24 v2, v0, 56, v26
	v_add_co_u32_e32 v10, vcc, s6, v4
	v_addc_co_u32_e32 v11, vcc, 0, v5, vcc
	s_waitcnt vmcnt(0) lgkmcnt(0)
	ds_write2st64_b32 v26, v1, v12 offset1:4
	ds_write2st64_b32 v26, v13, v14 offset0:8 offset1:12
	ds_write2st64_b32 v26, v15, v16 offset0:16 offset1:20
	;; [unrolled: 1-line block ×6, first 2 shown]
	ds_write_b32 v26, v25 offset:14336
	s_waitcnt lgkmcnt(0)
	s_barrier
	ds_read2_b32 v[24:25], v2 offset1:1
	ds_read2_b32 v[22:23], v2 offset0:2 offset1:3
	ds_read2_b32 v[20:21], v2 offset0:4 offset1:5
	;; [unrolled: 1-line block ×6, first 2 shown]
	ds_read_b32 v1, v2 offset:56
	s_waitcnt lgkmcnt(0)
	s_barrier
	flat_load_dword v3, v[4:5]
	flat_load_dword v27, v[4:5] offset:1024
	flat_load_dword v28, v[4:5] offset:2048
	flat_load_dword v29, v[4:5] offset:3072
	flat_load_dword v30, v[6:7]
	flat_load_dword v31, v[6:7] offset:1024
	flat_load_dword v32, v[6:7] offset:2048
	flat_load_dword v33, v[6:7] offset:3072
	;; [unrolled: 4-line block ×3, first 2 shown]
	flat_load_dword v38, v[10:11]
	flat_load_dword v39, v[10:11] offset:1024
	flat_load_dword v40, v[10:11] offset:2048
	v_mul_u32_u24_e32 v8, 15, v0
	s_waitcnt vmcnt(0) lgkmcnt(0)
	ds_write2st64_b32 v26, v3, v27 offset1:4
	ds_write2st64_b32 v26, v28, v29 offset0:8 offset1:12
	ds_write2st64_b32 v26, v30, v31 offset0:16 offset1:20
	;; [unrolled: 1-line block ×6, first 2 shown]
	ds_write_b32 v26, v40 offset:14336
	s_waitcnt lgkmcnt(0)
	s_barrier
	s_add_i32 s33, s33, s56
	s_cbranch_execz .LBB148_3
	s_branch .LBB148_50
.LBB148_2:
                                        ; implicit-def: $vgpr12_vgpr13
                                        ; implicit-def: $vgpr14_vgpr15
                                        ; implicit-def: $vgpr16_vgpr17
                                        ; implicit-def: $vgpr18_vgpr19
                                        ; implicit-def: $vgpr20_vgpr21
                                        ; implicit-def: $vgpr22_vgpr23
                                        ; implicit-def: $vgpr24_vgpr25
                                        ; implicit-def: $vgpr8
                                        ; implicit-def: $vgpr2
                                        ; implicit-def: $vgpr1
	s_andn2_b64 vcc, exec, s[4:5]
	s_add_i32 s33, s33, s56
	s_cbranch_vccnz .LBB148_50
.LBB148_3:
	v_cmp_gt_u32_e32 vcc, s33, v0
                                        ; implicit-def: $vgpr1
	s_and_saveexec_b64 s[6:7], vcc
	s_cbranch_execz .LBB148_5
; %bb.4:
	v_lshlrev_b32_e32 v1, 2, v0
	v_mov_b32_e32 v3, s62
	v_add_co_u32_e64 v2, s[4:5], s9, v1
	v_addc_co_u32_e64 v3, s[4:5], 0, v3, s[4:5]
	flat_load_dword v1, v[2:3]
.LBB148_5:
	s_or_b64 exec, exec, s[6:7]
	v_or_b32_e32 v2, 0x100, v0
	v_cmp_gt_u32_e64 s[4:5], s33, v2
                                        ; implicit-def: $vgpr2
	s_and_saveexec_b64 s[10:11], s[4:5]
	s_cbranch_execz .LBB148_7
; %bb.6:
	v_lshlrev_b32_e32 v2, 2, v0
	v_mov_b32_e32 v3, s62
	v_add_co_u32_e64 v2, s[6:7], s9, v2
	v_addc_co_u32_e64 v3, s[6:7], 0, v3, s[6:7]
	flat_load_dword v2, v[2:3] offset:1024
.LBB148_7:
	s_or_b64 exec, exec, s[10:11]
	v_or_b32_e32 v3, 0x200, v0
	v_cmp_gt_u32_e64 s[6:7], s33, v3
                                        ; implicit-def: $vgpr12
	s_and_saveexec_b64 s[12:13], s[6:7]
	s_cbranch_execz .LBB148_9
; %bb.8:
	v_lshlrev_b32_e32 v3, 2, v0
	v_mov_b32_e32 v5, s62
	v_add_co_u32_e64 v4, s[10:11], s9, v3
	v_addc_co_u32_e64 v5, s[10:11], 0, v5, s[10:11]
	flat_load_dword v12, v[4:5] offset:2048
.LBB148_9:
	s_or_b64 exec, exec, s[12:13]
	v_or_b32_e32 v3, 0x300, v0
	v_cmp_gt_u32_e64 s[34:35], s33, v3
                                        ; implicit-def: $vgpr13
	s_and_saveexec_b64 s[12:13], s[34:35]
	s_cbranch_execz .LBB148_11
; %bb.10:
	v_lshlrev_b32_e32 v3, 2, v0
	v_mov_b32_e32 v5, s62
	v_add_co_u32_e64 v4, s[10:11], s9, v3
	v_addc_co_u32_e64 v5, s[10:11], 0, v5, s[10:11]
	flat_load_dword v13, v[4:5] offset:3072
.LBB148_11:
	s_or_b64 exec, exec, s[12:13]
	v_or_b32_e32 v3, 0x400, v0
	v_cmp_gt_u32_e64 s[10:11], s33, v3
                                        ; implicit-def: $vgpr14
	s_and_saveexec_b64 s[14:15], s[10:11]
	s_cbranch_execz .LBB148_13
; %bb.12:
	v_lshlrev_b32_e32 v4, 2, v3
	v_mov_b32_e32 v5, s62
	v_add_co_u32_e64 v4, s[12:13], s9, v4
	v_addc_co_u32_e64 v5, s[12:13], 0, v5, s[12:13]
	flat_load_dword v14, v[4:5]
.LBB148_13:
	s_or_b64 exec, exec, s[14:15]
	v_or_b32_e32 v4, 0x500, v0
	v_cmp_gt_u32_e64 s[12:13], s33, v4
                                        ; implicit-def: $vgpr15
	s_and_saveexec_b64 s[16:17], s[12:13]
	s_cbranch_execz .LBB148_15
; %bb.14:
	v_lshlrev_b32_e32 v5, 2, v4
	v_mov_b32_e32 v7, s62
	v_add_co_u32_e64 v6, s[14:15], s9, v5
	v_addc_co_u32_e64 v7, s[14:15], 0, v7, s[14:15]
	flat_load_dword v15, v[6:7]
.LBB148_15:
	s_or_b64 exec, exec, s[16:17]
	v_or_b32_e32 v5, 0x600, v0
	v_cmp_gt_u32_e64 s[14:15], s33, v5
                                        ; implicit-def: $vgpr16
	s_and_saveexec_b64 s[18:19], s[14:15]
	s_cbranch_execz .LBB148_17
; %bb.16:
	v_lshlrev_b32_e32 v6, 2, v5
	v_mov_b32_e32 v7, s62
	v_add_co_u32_e64 v6, s[16:17], s9, v6
	v_addc_co_u32_e64 v7, s[16:17], 0, v7, s[16:17]
	flat_load_dword v16, v[6:7]
.LBB148_17:
	s_or_b64 exec, exec, s[18:19]
	v_or_b32_e32 v6, 0x700, v0
	v_cmp_gt_u32_e64 s[16:17], s33, v6
                                        ; implicit-def: $vgpr17
	s_and_saveexec_b64 s[20:21], s[16:17]
	s_cbranch_execz .LBB148_19
; %bb.18:
	v_lshlrev_b32_e32 v7, 2, v6
	v_mov_b32_e32 v9, s62
	v_add_co_u32_e64 v8, s[18:19], s9, v7
	v_addc_co_u32_e64 v9, s[18:19], 0, v9, s[18:19]
	flat_load_dword v17, v[8:9]
.LBB148_19:
	s_or_b64 exec, exec, s[20:21]
	v_or_b32_e32 v7, 0x800, v0
	v_cmp_gt_u32_e64 s[18:19], s33, v7
                                        ; implicit-def: $vgpr18
	s_and_saveexec_b64 s[22:23], s[18:19]
	s_cbranch_execz .LBB148_21
; %bb.20:
	v_lshlrev_b32_e32 v8, 2, v7
	v_mov_b32_e32 v9, s62
	v_add_co_u32_e64 v8, s[20:21], s9, v8
	v_addc_co_u32_e64 v9, s[20:21], 0, v9, s[20:21]
	flat_load_dword v18, v[8:9]
.LBB148_21:
	s_or_b64 exec, exec, s[22:23]
	v_or_b32_e32 v8, 0x900, v0
	v_cmp_gt_u32_e64 s[20:21], s33, v8
                                        ; implicit-def: $vgpr19
	s_and_saveexec_b64 s[24:25], s[20:21]
	s_cbranch_execz .LBB148_23
; %bb.22:
	v_lshlrev_b32_e32 v9, 2, v8
	v_mov_b32_e32 v11, s62
	v_add_co_u32_e64 v10, s[22:23], s9, v9
	v_addc_co_u32_e64 v11, s[22:23], 0, v11, s[22:23]
	flat_load_dword v19, v[10:11]
.LBB148_23:
	s_or_b64 exec, exec, s[24:25]
	v_or_b32_e32 v9, 0xa00, v0
	v_cmp_gt_u32_e64 s[22:23], s33, v9
                                        ; implicit-def: $vgpr20
	s_and_saveexec_b64 s[26:27], s[22:23]
	s_cbranch_execz .LBB148_25
; %bb.24:
	v_lshlrev_b32_e32 v10, 2, v9
	v_mov_b32_e32 v11, s62
	v_add_co_u32_e64 v10, s[24:25], s9, v10
	v_addc_co_u32_e64 v11, s[24:25], 0, v11, s[24:25]
	flat_load_dword v20, v[10:11]
.LBB148_25:
	s_or_b64 exec, exec, s[26:27]
	v_or_b32_e32 v10, 0xb00, v0
	v_cmp_gt_u32_e64 s[24:25], s33, v10
                                        ; implicit-def: $vgpr21
	s_and_saveexec_b64 s[28:29], s[24:25]
	s_cbranch_execz .LBB148_27
; %bb.26:
	v_lshlrev_b32_e32 v11, 2, v10
	v_mov_b32_e32 v21, s62
	v_add_co_u32_e64 v22, s[26:27], s9, v11
	v_addc_co_u32_e64 v23, s[26:27], 0, v21, s[26:27]
	flat_load_dword v21, v[22:23]
.LBB148_27:
	s_or_b64 exec, exec, s[28:29]
	v_or_b32_e32 v11, 0xc00, v0
	v_cmp_gt_u32_e64 s[26:27], s33, v11
                                        ; implicit-def: $vgpr22
	s_and_saveexec_b64 s[30:31], s[26:27]
	s_cbranch_execz .LBB148_29
; %bb.28:
	v_lshlrev_b32_e32 v22, 2, v11
	v_mov_b32_e32 v23, s62
	v_add_co_u32_e64 v22, s[28:29], s9, v22
	v_addc_co_u32_e64 v23, s[28:29], 0, v23, s[28:29]
	flat_load_dword v22, v[22:23]
.LBB148_29:
	s_or_b64 exec, exec, s[30:31]
	v_or_b32_e32 v26, 0xd00, v0
	v_cmp_gt_u32_e64 s[28:29], s33, v26
                                        ; implicit-def: $vgpr23
	s_and_saveexec_b64 s[36:37], s[28:29]
	s_cbranch_execz .LBB148_31
; %bb.30:
	v_lshlrev_b32_e32 v23, 2, v26
	v_mov_b32_e32 v25, s62
	v_add_co_u32_e64 v24, s[30:31], s9, v23
	v_addc_co_u32_e64 v25, s[30:31], 0, v25, s[30:31]
	flat_load_dword v23, v[24:25]
.LBB148_31:
	s_or_b64 exec, exec, s[36:37]
	v_or_b32_e32 v27, 0xe00, v0
	v_cmp_gt_u32_e64 s[30:31], s33, v27
                                        ; implicit-def: $vgpr24
	s_and_saveexec_b64 s[40:41], s[30:31]
	s_cbranch_execz .LBB148_33
; %bb.32:
	v_lshlrev_b32_e32 v24, 2, v27
	v_mov_b32_e32 v25, s62
	v_add_co_u32_e64 v24, s[36:37], s9, v24
	v_addc_co_u32_e64 v25, s[36:37], 0, v25, s[36:37]
	flat_load_dword v24, v[24:25]
.LBB148_33:
	s_or_b64 exec, exec, s[40:41]
	v_lshlrev_b32_e32 v28, 2, v0
	s_waitcnt vmcnt(0) lgkmcnt(0)
	ds_write2st64_b32 v28, v1, v2 offset1:4
	ds_write2st64_b32 v28, v12, v13 offset0:8 offset1:12
	ds_write2st64_b32 v28, v14, v15 offset0:16 offset1:20
	;; [unrolled: 1-line block ×6, first 2 shown]
	ds_write_b32 v28, v24 offset:14336
	v_mad_u32_u24 v2, v0, 56, v28
	s_waitcnt lgkmcnt(0)
	s_barrier
	ds_read2_b32 v[24:25], v2 offset1:1
	ds_read2_b32 v[22:23], v2 offset0:2 offset1:3
	ds_read2_b32 v[20:21], v2 offset0:4 offset1:5
	;; [unrolled: 1-line block ×6, first 2 shown]
	ds_read_b32 v1, v2 offset:56
	s_waitcnt lgkmcnt(0)
	s_barrier
	s_waitcnt lgkmcnt(0)
                                        ; implicit-def: $vgpr29
	s_and_saveexec_b64 s[36:37], vcc
	s_cbranch_execz .LBB148_56
; %bb.34:
	v_mov_b32_e32 v29, s64
	v_add_co_u32_e32 v30, vcc, s63, v28
	v_addc_co_u32_e32 v31, vcc, 0, v29, vcc
	flat_load_dword v29, v[30:31]
	s_or_b64 exec, exec, s[36:37]
                                        ; implicit-def: $vgpr30
	s_and_saveexec_b64 s[36:37], s[4:5]
	s_cbranch_execnz .LBB148_57
.LBB148_35:
	s_or_b64 exec, exec, s[36:37]
                                        ; implicit-def: $vgpr31
	s_and_saveexec_b64 s[4:5], s[6:7]
	s_cbranch_execz .LBB148_58
.LBB148_36:
	v_mov_b32_e32 v31, s64
	v_add_co_u32_e32 v32, vcc, s63, v28
	v_addc_co_u32_e32 v33, vcc, 0, v31, vcc
	flat_load_dword v31, v[32:33] offset:2048
	s_or_b64 exec, exec, s[4:5]
                                        ; implicit-def: $vgpr32
	s_and_saveexec_b64 s[4:5], s[34:35]
	s_cbranch_execnz .LBB148_59
.LBB148_37:
	s_or_b64 exec, exec, s[4:5]
                                        ; implicit-def: $vgpr33
	s_and_saveexec_b64 s[4:5], s[10:11]
	s_cbranch_execz .LBB148_60
.LBB148_38:
	v_lshlrev_b32_e32 v3, 2, v3
	v_mov_b32_e32 v33, s64
	v_add_co_u32_e32 v34, vcc, s63, v3
	v_addc_co_u32_e32 v35, vcc, 0, v33, vcc
	flat_load_dword v33, v[34:35]
	s_or_b64 exec, exec, s[4:5]
                                        ; implicit-def: $vgpr3
	s_and_saveexec_b64 s[4:5], s[12:13]
	s_cbranch_execnz .LBB148_61
.LBB148_39:
	s_or_b64 exec, exec, s[4:5]
                                        ; implicit-def: $vgpr4
	s_and_saveexec_b64 s[4:5], s[14:15]
	s_cbranch_execz .LBB148_62
.LBB148_40:
	v_lshlrev_b32_e32 v4, 2, v5
	v_mov_b32_e32 v5, s64
	v_add_co_u32_e32 v4, vcc, s63, v4
	v_addc_co_u32_e32 v5, vcc, 0, v5, vcc
	flat_load_dword v4, v[4:5]
	s_or_b64 exec, exec, s[4:5]
                                        ; implicit-def: $vgpr5
	s_and_saveexec_b64 s[4:5], s[16:17]
	s_cbranch_execnz .LBB148_63
.LBB148_41:
	s_or_b64 exec, exec, s[4:5]
                                        ; implicit-def: $vgpr6
	s_and_saveexec_b64 s[4:5], s[18:19]
	s_cbranch_execz .LBB148_64
.LBB148_42:
	v_lshlrev_b32_e32 v6, 2, v7
	v_mov_b32_e32 v7, s64
	v_add_co_u32_e32 v6, vcc, s63, v6
	v_addc_co_u32_e32 v7, vcc, 0, v7, vcc
	flat_load_dword v6, v[6:7]
	s_or_b64 exec, exec, s[4:5]
                                        ; implicit-def: $vgpr7
	s_and_saveexec_b64 s[4:5], s[20:21]
	s_cbranch_execnz .LBB148_65
.LBB148_43:
	s_or_b64 exec, exec, s[4:5]
                                        ; implicit-def: $vgpr34
	s_and_saveexec_b64 s[4:5], s[22:23]
	s_cbranch_execz .LBB148_66
.LBB148_44:
	v_lshlrev_b32_e32 v8, 2, v9
	v_mov_b32_e32 v9, s64
	v_add_co_u32_e32 v8, vcc, s63, v8
	v_addc_co_u32_e32 v9, vcc, 0, v9, vcc
	flat_load_dword v34, v[8:9]
	s_or_b64 exec, exec, s[4:5]
                                        ; implicit-def: $vgpr9
	s_and_saveexec_b64 s[4:5], s[24:25]
	s_cbranch_execnz .LBB148_67
.LBB148_45:
	s_or_b64 exec, exec, s[4:5]
                                        ; implicit-def: $vgpr10
	s_and_saveexec_b64 s[4:5], s[26:27]
	s_cbranch_execz .LBB148_68
.LBB148_46:
	v_lshlrev_b32_e32 v8, 2, v11
	v_mov_b32_e32 v11, s64
	v_add_co_u32_e32 v10, vcc, s63, v8
	v_addc_co_u32_e32 v11, vcc, 0, v11, vcc
	flat_load_dword v10, v[10:11]
	s_or_b64 exec, exec, s[4:5]
                                        ; implicit-def: $vgpr11
	s_and_saveexec_b64 s[4:5], s[28:29]
	s_cbranch_execnz .LBB148_69
.LBB148_47:
	s_or_b64 exec, exec, s[4:5]
                                        ; implicit-def: $vgpr26
	s_and_saveexec_b64 s[4:5], s[30:31]
	s_cbranch_execz .LBB148_49
.LBB148_48:
	v_lshlrev_b32_e32 v8, 2, v27
	v_mov_b32_e32 v27, s64
	v_add_co_u32_e32 v26, vcc, s63, v8
	v_addc_co_u32_e32 v27, vcc, 0, v27, vcc
	flat_load_dword v26, v[26:27]
.LBB148_49:
	s_or_b64 exec, exec, s[4:5]
	v_mul_u32_u24_e32 v8, 15, v0
	s_waitcnt vmcnt(0) lgkmcnt(0)
	ds_write2st64_b32 v28, v29, v30 offset1:4
	ds_write2st64_b32 v28, v31, v32 offset0:8 offset1:12
	ds_write2st64_b32 v28, v33, v3 offset0:16 offset1:20
	;; [unrolled: 1-line block ×6, first 2 shown]
	ds_write_b32 v28, v26 offset:14336
	s_waitcnt lgkmcnt(0)
	s_barrier
.LBB148_50:
	v_lshlrev_b32_e32 v3, 2, v8
	ds_read2_b32 v[50:51], v2 offset1:2
	ds_read2_b32 v[46:47], v2 offset0:4 offset1:6
	ds_read2_b32 v[44:45], v2 offset0:8 offset1:10
	;; [unrolled: 1-line block ×6, first 2 shown]
	ds_read_b32 v59, v3 offset:52
	s_cmp_eq_u64 s[48:49], 0
	s_cselect_b64 s[40:41], -1, 0
	s_cmp_lg_u64 s[48:49], 0
	s_mov_b64 s[4:5], 0
	s_cselect_b64 s[10:11], -1, 0
	s_and_b64 vcc, exec, s[50:51]
	s_waitcnt lgkmcnt(0)
	s_barrier
	s_cbranch_vccz .LBB148_70
; %bb.51:
	s_and_b64 vcc, exec, s[10:11]
	s_cbranch_vccz .LBB148_110
; %bb.52:
	v_mov_b32_e32 v3, s62
	v_add_co_u32_e64 v2, vcc, -4, s9
	v_addc_co_u32_e32 v3, vcc, -1, v3, vcc
	flat_load_dword v2, v[2:3]
	v_lshlrev_b32_e32 v3, 2, v0
	v_cmp_ne_u32_e32 vcc, 0, v0
	ds_write_b32 v3, v1
	s_waitcnt lgkmcnt(0)
	s_barrier
	s_and_saveexec_b64 s[4:5], vcc
	s_cbranch_execz .LBB148_54
; %bb.53:
	s_waitcnt vmcnt(0)
	v_add_u32_e32 v2, -4, v3
	ds_read_b32 v2, v2
.LBB148_54:
	s_or_b64 exec, exec, s[4:5]
	v_cvt_i32_f32_e32 v3, v13
	s_mov_b32 s4, 0x66666667
	v_cvt_i32_f32_e32 v4, v12
	v_cvt_i32_f32_e32 v9, v16
	v_mul_hi_i32 v3, v3, s4
	v_lshrrev_b32_e32 v5, 31, v3
	v_ashrrev_i32_e32 v3, 2, v3
	v_add_u32_e32 v3, v3, v5
	v_cvt_i32_f32_e32 v5, v1
	v_mul_hi_i32 v4, v4, s4
	v_lshrrev_b32_e32 v6, 31, v4
	v_ashrrev_i32_e32 v4, 2, v4
	v_mul_hi_i32 v5, v5, s4
	v_add_u32_e32 v4, v4, v6
	v_cvt_i32_f32_e32 v6, v15
	v_lshrrev_b32_e32 v7, 31, v5
	v_ashrrev_i32_e32 v5, 2, v5
	v_add_u32_e32 v5, v5, v7
	v_cvt_i32_f32_e32 v7, v17
	v_mul_hi_i32 v6, v6, s4
	v_lshrrev_b32_e32 v8, 31, v6
	v_ashrrev_i32_e32 v6, 2, v6
	v_mul_hi_i32 v7, v7, s4
	v_add_u32_e32 v6, v6, v8
	v_lshrrev_b32_e32 v8, 31, v7
	v_ashrrev_i32_e32 v7, 2, v7
	v_add_u32_e32 v7, v7, v8
	v_cvt_i32_f32_e32 v8, v14
	v_mul_hi_i32 v9, v9, s4
	v_lshrrev_b32_e32 v10, 31, v9
	v_ashrrev_i32_e32 v9, 2, v9
	v_mul_hi_i32 v8, v8, s4
	v_add_u32_e32 v9, v9, v10
	v_cvt_i32_f32_e32 v10, v19
	v_lshrrev_b32_e32 v11, 31, v8
	v_ashrrev_i32_e32 v8, 2, v8
	v_add_u32_e32 v8, v8, v11
	v_cvt_i32_f32_e32 v11, v21
	v_mul_hi_i32 v10, v10, s4
	v_lshrrev_b32_e32 v26, 31, v10
	v_ashrrev_i32_e32 v10, 2, v10
	v_mul_hi_i32 v11, v11, s4
	v_add_u32_e32 v10, v10, v26
	v_lshrrev_b32_e32 v26, 31, v11
	v_cvt_i32_f32_e32 v27, v20
	v_ashrrev_i32_e32 v11, 2, v11
	v_add_u32_e32 v11, v11, v26
	v_cvt_i32_f32_e32 v26, v18
	v_mul_hi_i32 v27, v27, s4
	v_lshrrev_b32_e32 v28, 31, v27
	v_ashrrev_i32_e32 v27, 2, v27
	v_mul_hi_i32 v26, v26, s4
	v_add_u32_e32 v27, v27, v28
	v_cvt_i32_f32_e32 v28, v23
	v_lshrrev_b32_e32 v29, 31, v26
	v_ashrrev_i32_e32 v26, 2, v26
	v_add_u32_e32 v26, v26, v29
	v_cvt_i32_f32_e32 v29, v25
	v_mul_hi_i32 v28, v28, s4
	v_lshrrev_b32_e32 v30, 31, v28
	v_ashrrev_i32_e32 v28, 2, v28
	v_mul_hi_i32 v29, v29, s4
	v_add_u32_e32 v28, v28, v30
	v_lshrrev_b32_e32 v30, 31, v29
	v_cvt_i32_f32_e32 v31, v24
	v_ashrrev_i32_e32 v29, 2, v29
	v_add_u32_e32 v29, v29, v30
	v_cvt_i32_f32_e32 v30, v22
	v_mul_hi_i32 v31, v31, s4
	v_lshrrev_b32_e32 v32, 31, v31
	v_ashrrev_i32_e32 v31, 2, v31
	v_mul_hi_i32 v30, v30, s4
	v_add_u32_e32 v38, v31, v32
	v_lshrrev_b32_e32 v31, 31, v30
	v_ashrrev_i32_e32 v30, 2, v30
	v_add_u32_e32 v30, v30, v31
	v_cmp_ne_u32_e32 vcc, v29, v38
	v_cndmask_b32_e64 v39, 0, 1, vcc
	v_cmp_ne_u32_e32 vcc, v29, v30
	v_cndmask_b32_e64 v36, 0, 1, vcc
	;; [unrolled: 2-line block ×8, first 2 shown]
	v_cmp_ne_u32_e32 vcc, v7, v9
	s_waitcnt vmcnt(0) lgkmcnt(0)
	v_cvt_i32_f32_e32 v2, v2
	v_cndmask_b32_e64 v31, 0, 1, vcc
	v_cmp_ne_u32_e32 vcc, v7, v8
	v_cndmask_b32_e64 v28, 0, 1, vcc
	v_cmp_ne_u32_e32 vcc, v8, v6
	;; [unrolled: 2-line block ×4, first 2 shown]
	v_mul_hi_i32 v2, v2, s4
	v_cndmask_b32_e64 v27, 0, 1, vcc
	v_cmp_ne_u32_e32 vcc, v3, v5
	v_lshrrev_b32_e32 v3, 31, v2
	v_ashrrev_i32_e32 v2, 2, v2
	v_add_u32_e32 v2, v2, v3
	v_cndmask_b32_e64 v58, 0, 1, vcc
	v_cmp_ne_u32_e64 s[12:13], v2, v38
	s_mov_b64 s[4:5], -1
.LBB148_55:
                                        ; implicit-def: $sgpr14
	s_branch .LBB148_71
.LBB148_56:
	s_or_b64 exec, exec, s[36:37]
                                        ; implicit-def: $vgpr30
	s_and_saveexec_b64 s[36:37], s[4:5]
	s_cbranch_execz .LBB148_35
.LBB148_57:
	v_mov_b32_e32 v31, s64
	v_add_co_u32_e32 v30, vcc, s63, v28
	v_addc_co_u32_e32 v31, vcc, 0, v31, vcc
	flat_load_dword v30, v[30:31] offset:1024
	s_or_b64 exec, exec, s[36:37]
                                        ; implicit-def: $vgpr31
	s_and_saveexec_b64 s[4:5], s[6:7]
	s_cbranch_execnz .LBB148_36
.LBB148_58:
	s_or_b64 exec, exec, s[4:5]
                                        ; implicit-def: $vgpr32
	s_and_saveexec_b64 s[4:5], s[34:35]
	s_cbranch_execz .LBB148_37
.LBB148_59:
	v_mov_b32_e32 v33, s64
	v_add_co_u32_e32 v32, vcc, s63, v28
	v_addc_co_u32_e32 v33, vcc, 0, v33, vcc
	flat_load_dword v32, v[32:33] offset:3072
	s_or_b64 exec, exec, s[4:5]
                                        ; implicit-def: $vgpr33
	s_and_saveexec_b64 s[4:5], s[10:11]
	s_cbranch_execnz .LBB148_38
.LBB148_60:
	s_or_b64 exec, exec, s[4:5]
                                        ; implicit-def: $vgpr3
	s_and_saveexec_b64 s[4:5], s[12:13]
	s_cbranch_execz .LBB148_39
.LBB148_61:
	v_lshlrev_b32_e32 v3, 2, v4
	v_mov_b32_e32 v4, s64
	v_add_co_u32_e32 v34, vcc, s63, v3
	v_addc_co_u32_e32 v35, vcc, 0, v4, vcc
	flat_load_dword v3, v[34:35]
	s_or_b64 exec, exec, s[4:5]
                                        ; implicit-def: $vgpr4
	s_and_saveexec_b64 s[4:5], s[14:15]
	s_cbranch_execnz .LBB148_40
.LBB148_62:
	s_or_b64 exec, exec, s[4:5]
                                        ; implicit-def: $vgpr5
	s_and_saveexec_b64 s[4:5], s[16:17]
	s_cbranch_execz .LBB148_41
.LBB148_63:
	v_lshlrev_b32_e32 v5, 2, v6
	v_mov_b32_e32 v6, s64
	v_add_co_u32_e32 v34, vcc, s63, v5
	v_addc_co_u32_e32 v35, vcc, 0, v6, vcc
	flat_load_dword v5, v[34:35]
	s_or_b64 exec, exec, s[4:5]
                                        ; implicit-def: $vgpr6
	s_and_saveexec_b64 s[4:5], s[18:19]
	s_cbranch_execnz .LBB148_42
.LBB148_64:
	s_or_b64 exec, exec, s[4:5]
                                        ; implicit-def: $vgpr7
	s_and_saveexec_b64 s[4:5], s[20:21]
	s_cbranch_execz .LBB148_43
.LBB148_65:
	v_lshlrev_b32_e32 v7, 2, v8
	v_mov_b32_e32 v8, s64
	v_add_co_u32_e32 v34, vcc, s63, v7
	v_addc_co_u32_e32 v35, vcc, 0, v8, vcc
	flat_load_dword v7, v[34:35]
	s_or_b64 exec, exec, s[4:5]
                                        ; implicit-def: $vgpr34
	s_and_saveexec_b64 s[4:5], s[22:23]
	s_cbranch_execnz .LBB148_44
.LBB148_66:
	s_or_b64 exec, exec, s[4:5]
                                        ; implicit-def: $vgpr9
	s_and_saveexec_b64 s[4:5], s[24:25]
	s_cbranch_execz .LBB148_45
.LBB148_67:
	v_lshlrev_b32_e32 v8, 2, v10
	v_mov_b32_e32 v9, s64
	v_add_co_u32_e32 v8, vcc, s63, v8
	v_addc_co_u32_e32 v9, vcc, 0, v9, vcc
	flat_load_dword v9, v[8:9]
	s_or_b64 exec, exec, s[4:5]
                                        ; implicit-def: $vgpr10
	s_and_saveexec_b64 s[4:5], s[26:27]
	s_cbranch_execnz .LBB148_46
.LBB148_68:
	s_or_b64 exec, exec, s[4:5]
                                        ; implicit-def: $vgpr11
	s_and_saveexec_b64 s[4:5], s[28:29]
	s_cbranch_execz .LBB148_47
.LBB148_69:
	v_lshlrev_b32_e32 v8, 2, v26
	v_mov_b32_e32 v11, s64
	v_add_co_u32_e32 v36, vcc, s63, v8
	v_addc_co_u32_e32 v37, vcc, 0, v11, vcc
	flat_load_dword v11, v[36:37]
	s_or_b64 exec, exec, s[4:5]
                                        ; implicit-def: $vgpr26
	s_and_saveexec_b64 s[4:5], s[30:31]
	s_cbranch_execnz .LBB148_48
	s_branch .LBB148_49
.LBB148_70:
                                        ; implicit-def: $sgpr12_sgpr13
                                        ; implicit-def: $vgpr58
                                        ; implicit-def: $vgpr27
                                        ; implicit-def: $vgpr26
                                        ; implicit-def: $vgpr29
                                        ; implicit-def: $vgpr28
                                        ; implicit-def: $vgpr31
                                        ; implicit-def: $vgpr30
                                        ; implicit-def: $vgpr33
                                        ; implicit-def: $vgpr32
                                        ; implicit-def: $vgpr35
                                        ; implicit-def: $vgpr34
                                        ; implicit-def: $vgpr37
                                        ; implicit-def: $vgpr36
                                        ; implicit-def: $vgpr39
                                        ; implicit-def: $sgpr14
	s_cbranch_execnz .LBB148_114
.LBB148_71:
	v_mov_b32_e32 v38, s14
	s_and_saveexec_b64 s[6:7], s[4:5]
.LBB148_72:
	v_cndmask_b32_e64 v38, 0, 1, s[12:13]
.LBB148_73:
	s_or_b64 exec, exec, s[6:7]
	s_cmp_eq_u64 s[46:47], 0
	v_add3_u32 v2, v39, v38, v36
	s_mov_b64 s[48:49], 0
	s_cselect_b64 s[46:47], -1, 0
	s_cmp_lg_u32 s8, 0
	v_add_f32_e32 v78, v50, v52
	v_cmp_eq_u32_e64 s[28:29], 0, v39
	v_cmp_eq_u32_e64 s[26:27], 0, v36
	;; [unrolled: 1-line block ×3, first 2 shown]
	v_add3_u32 v77, v2, v37, v34
	v_cmp_eq_u32_e64 s[24:25], 0, v34
	v_cmp_eq_u32_e64 s[20:21], 0, v35
	;; [unrolled: 1-line block ×10, first 2 shown]
	v_cmp_eq_u32_e32 vcc, 0, v58
	v_mbcnt_lo_u32_b32 v76, -1, 0
	v_lshrrev_b32_e32 v74, 6, v0
	v_or_b32_e32 v75, 63, v0
	s_cbranch_scc0 .LBB148_108
; %bb.74:
	v_cndmask_b32_e64 v2, v52, v78, s[28:29]
	v_add_f32_e32 v2, v51, v2
	v_cndmask_b32_e64 v2, v51, v2, s[26:27]
	v_add_f32_e32 v2, v53, v2
	;; [unrolled: 2-line block ×11, first 2 shown]
	v_cndmask_b32_e64 v2, v40, v2, s[6:7]
	v_add3_u32 v3, v77, v35, v32
	v_add_f32_e32 v2, v59, v2
	v_add3_u32 v3, v3, v33, v30
	v_cndmask_b32_e64 v2, v59, v2, s[4:5]
	v_add3_u32 v3, v3, v31, v28
	v_add_f32_e32 v2, v41, v2
	v_add3_u32 v3, v3, v29, v26
	v_cndmask_b32_e32 v2, v41, v2, vcc
	v_add3_u32 v3, v3, v27, v58
	v_mbcnt_hi_u32_b32 v8, -1, v76
	v_mov_b32_dpp v6, v2 row_shr:1 row_mask:0xf bank_mask:0xf
	s_waitcnt vmcnt(0) lgkmcnt(0)
	v_and_b32_e32 v4, 15, v8
	v_add_f32_e32 v6, v2, v6
	v_cmp_eq_u32_e32 vcc, 0, v3
	v_mov_b32_dpp v5, v3 row_shr:1 row_mask:0xf bank_mask:0xf
	v_cndmask_b32_e32 v6, v2, v6, vcc
	v_cmp_eq_u32_e32 vcc, 0, v4
	v_cndmask_b32_e64 v5, v5, 0, vcc
	v_cndmask_b32_e32 v2, v6, v2, vcc
	v_add_u32_e32 v3, v5, v3
	v_cmp_eq_u32_e32 vcc, 0, v3
	v_mov_b32_dpp v6, v2 row_shr:2 row_mask:0xf bank_mask:0xf
	v_add_f32_e32 v6, v2, v6
	v_mov_b32_dpp v5, v3 row_shr:2 row_mask:0xf bank_mask:0xf
	v_cndmask_b32_e32 v6, v2, v6, vcc
	v_cmp_lt_u32_e32 vcc, 1, v4
	v_cndmask_b32_e32 v2, v2, v6, vcc
	v_cndmask_b32_e32 v5, 0, v5, vcc
	v_add_u32_e32 v3, v3, v5
	v_mov_b32_dpp v6, v2 row_shr:4 row_mask:0xf bank_mask:0xf
	v_add_f32_e32 v6, v2, v6
	v_cmp_eq_u32_e32 vcc, 0, v3
	v_mov_b32_dpp v5, v3 row_shr:4 row_mask:0xf bank_mask:0xf
	v_cndmask_b32_e32 v6, v2, v6, vcc
	v_cmp_lt_u32_e32 vcc, 3, v4
	v_cndmask_b32_e32 v2, v2, v6, vcc
	v_cndmask_b32_e32 v5, 0, v5, vcc
	v_add_u32_e32 v3, v5, v3
	v_mov_b32_dpp v6, v2 row_shr:8 row_mask:0xf bank_mask:0xf
	v_add_f32_e32 v6, v2, v6
	v_cmp_eq_u32_e32 vcc, 0, v3
	v_mov_b32_dpp v5, v3 row_shr:8 row_mask:0xf bank_mask:0xf
	v_cndmask_b32_e32 v6, v2, v6, vcc
	v_cmp_lt_u32_e32 vcc, 7, v4
	v_cndmask_b32_e32 v2, v2, v6, vcc
	v_cndmask_b32_e32 v4, 0, v5, vcc
	v_add_u32_e32 v3, v4, v3
	v_mov_b32_dpp v5, v2 row_bcast:15 row_mask:0xf bank_mask:0xf
	v_bfe_i32 v6, v8, 4, 1
	v_mov_b32_dpp v4, v3 row_bcast:15 row_mask:0xf bank_mask:0xf
	v_and_b32_e32 v7, 16, v8
	v_add_f32_e32 v5, v2, v5
	v_cmp_eq_u32_e32 vcc, 0, v3
	v_cndmask_b32_e32 v5, v2, v5, vcc
	v_and_b32_e32 v4, v6, v4
	v_cmp_eq_u32_e32 vcc, 0, v7
	v_add_u32_e32 v4, v4, v3
	v_cndmask_b32_e32 v3, v5, v2, vcc
	v_cmp_eq_u32_e32 vcc, 0, v4
	v_mov_b32_dpp v2, v4 row_bcast:31 row_mask:0xf bank_mask:0xf
	v_mov_b32_dpp v5, v3 row_bcast:31 row_mask:0xf bank_mask:0xf
	v_add_f32_e32 v5, v3, v5
	v_cndmask_b32_e32 v6, v3, v5, vcc
	v_cmp_lt_u32_e32 vcc, 31, v8
	v_cndmask_b32_e32 v2, 0, v2, vcc
	v_add_u32_e32 v2, v2, v4
	v_cmp_eq_u32_e64 s[30:31], v75, v0
	v_lshlrev_b32_e32 v5, 3, v74
	v_cndmask_b32_e32 v4, v3, v6, vcc
	s_and_saveexec_b64 s[36:37], s[30:31]
	s_cbranch_execz .LBB148_76
; %bb.75:
	v_cndmask_b32_e32 v3, v3, v6, vcc
	ds_write_b64 v5, v[2:3] offset:2064
.LBB148_76:
	s_or_b64 exec, exec, s[36:37]
	v_cmp_gt_u32_e32 vcc, 4, v0
	s_waitcnt lgkmcnt(0)
	s_barrier
	s_and_saveexec_b64 s[36:37], vcc
	s_cbranch_execz .LBB148_78
; %bb.77:
	v_lshlrev_b32_e32 v3, 3, v0
	ds_read_b64 v[6:7], v3 offset:2064
	v_and_b32_e32 v9, 3, v8
	v_cmp_lt_u32_e64 s[30:31], 1, v9
	s_waitcnt lgkmcnt(0)
	v_mov_b32_dpp v11, v7 row_shr:1 row_mask:0xf bank_mask:0xf
	v_add_f32_e32 v11, v7, v11
	v_cmp_eq_u32_e32 vcc, 0, v6
	v_mov_b32_dpp v10, v6 row_shr:1 row_mask:0xf bank_mask:0xf
	v_cndmask_b32_e32 v11, v7, v11, vcc
	v_cmp_eq_u32_e32 vcc, 0, v9
	v_cndmask_b32_e64 v10, v10, 0, vcc
	v_add_u32_e32 v6, v10, v6
	v_cndmask_b32_e32 v7, v11, v7, vcc
	v_cmp_eq_u32_e32 vcc, 0, v6
	v_mov_b32_dpp v10, v6 row_shr:2 row_mask:0xf bank_mask:0xf
	v_mov_b32_dpp v11, v7 row_shr:2 row_mask:0xf bank_mask:0xf
	v_add_f32_e32 v11, v7, v11
	v_cndmask_b32_e64 v9, 0, v10, s[30:31]
	s_and_b64 vcc, s[30:31], vcc
	v_add_u32_e32 v6, v9, v6
	v_cndmask_b32_e32 v7, v7, v11, vcc
	ds_write_b64 v3, v[6:7] offset:2064
.LBB148_78:
	s_or_b64 exec, exec, s[36:37]
	v_cmp_gt_u32_e32 vcc, 64, v0
	v_cmp_lt_u32_e64 s[30:31], 63, v0
	v_mov_b32_e32 v54, 0
	v_mov_b32_e32 v55, 0
	s_waitcnt lgkmcnt(0)
	s_barrier
	s_and_saveexec_b64 s[36:37], s[30:31]
	s_cbranch_execz .LBB148_80
; %bb.79:
	ds_read_b64 v[54:55], v5 offset:2056
	v_cmp_eq_u32_e64 s[30:31], 0, v2
	s_waitcnt lgkmcnt(0)
	v_add_u32_e32 v3, v54, v2
	v_add_f32_e32 v5, v4, v55
	v_cndmask_b32_e64 v4, v4, v5, s[30:31]
	v_mov_b32_e32 v2, v3
.LBB148_80:
	s_or_b64 exec, exec, s[36:37]
	v_add_u32_e32 v3, -1, v8
	v_and_b32_e32 v5, 64, v8
	v_cmp_lt_i32_e64 s[30:31], v3, v5
	v_cndmask_b32_e64 v3, v3, v8, s[30:31]
	v_lshlrev_b32_e32 v3, 2, v3
	ds_bpermute_b32 v79, v3, v2
	ds_bpermute_b32 v80, v3, v4
	v_cmp_eq_u32_e64 s[30:31], 0, v8
	s_mov_b64 s[56:57], -1
	s_mov_b64 s[36:37], 0
	s_and_saveexec_b64 s[50:51], vcc
                                        ; implicit-def: $vgpr3_vgpr4_vgpr5
	s_cbranch_execz .LBB148_202
; %bb.81:
	v_mov_b32_e32 v7, 0
	ds_read_b64 v[2:3], v7 offset:2088
	s_waitcnt lgkmcnt(0)
	v_readfirstlane_b32 s9, v3
	s_and_saveexec_b64 s[36:37], s[30:31]
	s_cbranch_execz .LBB148_83
; %bb.82:
	s_add_i32 s56, s8, 64
	s_mov_b32 s57, 0
	s_lshl_b64 s[62:63], s[56:57], 4
	s_add_u32 s62, s44, s62
	s_addc_u32 s63, s45, s63
	s_and_b32 s65, s9, 0xff000000
	s_mov_b32 s64, s57
	s_and_b32 s67, s9, 0xff0000
	s_mov_b32 s66, s57
	s_or_b64 s[64:65], s[66:67], s[64:65]
	s_and_b32 s67, s9, 0xff00
	s_or_b64 s[64:65], s[64:65], s[66:67]
	s_and_b32 s67, s9, 0xff
	s_or_b64 s[56:57], s[64:65], s[66:67]
	v_mov_b32_e32 v5, s57
	v_mov_b32_e32 v6, 1
	;; [unrolled: 1-line block ×3, first 2 shown]
	v_pk_mov_b32 v[10:11], s[62:63], s[62:63] op_sel:[0,1]
	;;#ASMSTART
	global_store_dwordx4 v[10:11], v[4:7] off	
s_waitcnt vmcnt(0)
	;;#ASMEND
.LBB148_83:
	s_or_b64 exec, exec, s[36:37]
	v_xad_u32 v56, v8, -1, s8
	v_add_u32_e32 v6, 64, v56
	v_lshlrev_b64 v[4:5], 4, v[6:7]
	buffer_store_dword v7, off, s[0:3], 0
	buffer_store_dword v7, off, s[0:3], 0 offset:4
	buffer_store_dword v7, off, s[0:3], 0 offset:8
	;; [unrolled: 1-line block ×7, first 2 shown]
	v_mov_b32_e32 v6, s45
	v_add_co_u32_e32 v4, vcc, s44, v4
	s_mov_b32 s36, 0x70605
	v_addc_co_u32_e32 v5, vcc, v6, v5, vcc
	;;#ASMSTART
	global_load_dwordx4 v[8:11], v[4:5] off glc	
s_waitcnt vmcnt(0)
	;;#ASMEND
	v_perm_b32 v6, v9, v10, s36
	s_mov_b32 s36, 0x1000706
	v_perm_b32 v57, v9, v10, s36
	s_mov_b32 s36, 0x2010007
	v_perm_b32 v60, v9, v10, s36
	v_lshlrev_b32_e32 v6, 8, v6
	s_mov_b32 s36, 0xc0c0500
	v_alignbit_b32 v11, v9, v8, 8
	v_alignbit_b32 v63, v9, v8, 16
	;; [unrolled: 1-line block ×3, first 2 shown]
	v_perm_b32 v6, v6, v9, s36
	v_lshlrev_b32_e32 v9, 16, v57
	v_and_b32_e32 v9, 0xff0000, v9
	v_lshlrev_b32_e32 v57, 24, v60
	v_or3_b32 v9, v6, v9, v57
	v_cmp_eq_u16_sdwa s[56:57], v10, v7 src0_sel:BYTE_0 src1_sel:DWORD
	s_and_saveexec_b64 s[36:37], s[56:57]
	s_cbranch_execz .LBB148_89
; %bb.84:
	s_mov_b32 s62, 1
	s_mov_b64 s[56:57], 0
	v_mov_b32_e32 v6, 0
.LBB148_85:                             ; =>This Loop Header: Depth=1
                                        ;     Child Loop BB148_86 Depth 2
	s_max_u32 s63, s62, 1
.LBB148_86:                             ;   Parent Loop BB148_85 Depth=1
                                        ; =>  This Inner Loop Header: Depth=2
	s_add_i32 s63, s63, -1
	s_cmp_eq_u32 s63, 0
	s_sleep 1
	s_cbranch_scc0 .LBB148_86
; %bb.87:                               ;   in Loop: Header=BB148_85 Depth=1
	s_cmp_lt_u32 s62, 32
	s_cselect_b64 s[64:65], -1, 0
	s_cmp_lg_u64 s[64:65], 0
	s_addc_u32 s62, s62, 0
	;;#ASMSTART
	global_load_dwordx4 v[8:11], v[4:5] off glc	
s_waitcnt vmcnt(0)
	;;#ASMEND
	v_cmp_ne_u16_sdwa s[64:65], v10, v6 src0_sel:BYTE_0 src1_sel:DWORD
	s_or_b64 s[56:57], s[64:65], s[56:57]
	s_andn2_b64 exec, exec, s[56:57]
	s_cbranch_execnz .LBB148_85
; %bb.88:
	s_or_b64 exec, exec, s[56:57]
	s_mov_b32 s56, 0x70605
	v_perm_b32 v4, v9, v10, s56
	s_mov_b32 s56, 0x1000706
	v_perm_b32 v5, v9, v10, s56
	;; [unrolled: 2-line block ×3, first 2 shown]
	v_lshlrev_b32_e32 v4, 8, v4
	s_mov_b32 s56, 0xc0c0500
	v_lshlrev_b32_e32 v5, 16, v5
	v_perm_b32 v4, v4, v9, s56
	v_lshlrev_b32_e32 v6, 24, v6
	v_and_b32_e32 v5, 0xff0000, v5
	v_alignbit_b32 v11, v9, v8, 8
	v_alignbit_b32 v63, v9, v8, 16
	;; [unrolled: 1-line block ×3, first 2 shown]
	v_or3_b32 v9, v4, v5, v6
.LBB148_89:
	s_or_b64 exec, exec, s[36:37]
	s_mov_b32 s62, 0
	s_mov_b32 s65, 0x4020c0c
	s_movk_i32 s66, 0xff
	v_mov_b32_e32 v61, 0
	v_mov_b32_e32 v5, 0
	s_mov_b32 s67, 0x70605
	s_mov_b32 s68, 0x1000706
	;; [unrolled: 1-line block ×4, first 2 shown]
	v_mov_b32_e32 v62, 2
	s_branch .LBB148_91
.LBB148_90:                             ;   in Loop: Header=BB148_91 Depth=1
	s_or_b64 exec, exec, s[56:57]
	s_add_i32 s62, s64, 1
	v_subrev_u32_e32 v56, 64, v4
	s_cbranch_execz .LBB148_99
.LBB148_91:                             ; =>This Loop Header: Depth=1
                                        ;     Child Loop BB148_94 Depth 2
                                        ;       Child Loop BB148_95 Depth 3
	v_mov_b32_e32 v6, v10
	v_cmp_ne_u16_sdwa s[36:37], v6, v62 src0_sel:BYTE_0 src1_sel:DWORD
	v_cmp_ne_u16_sdwa s[56:57], v6, s66 src0_sel:BYTE_0 src1_sel:DWORD
	s_and_b64 s[56:57], s[36:37], s[56:57]
	v_lshlrev_b32_e32 v10, 8, v11
	v_cndmask_b32_e64 v11, 0, 1, s[56:57]
	;;#ASMSTART
	;;#ASMEND
	v_cmp_ne_u32_e32 vcc, 0, v11
	s_cmp_eq_u64 vcc, exec
	s_cselect_b64 s[56:57], -1, 0
	s_cmp_lt_u32 s62, 4
	s_mov_b32 s64, s62
	v_mov_b32_e32 v7, v9
	v_lshlrev_b32_e32 v9, 16, v63
	s_cselect_b64 s[62:63], -1, 0
	v_perm_b32 v9, v64, v9, s65
	v_and_b32_e32 v10, 0xff00, v10
	v_and_b32_e32 v8, 0xff, v8
	s_and_b64 s[56:57], s[56:57], s[62:63]
	v_mov_b32_e32 v4, v56
	s_andn2_b64 vcc, exec, s[56:57]
	v_or3_b32 v60, v9, v10, v8
	s_cbranch_vccnz .LBB148_98
; %bb.92:                               ;   in Loop: Header=BB148_91 Depth=1
	s_lshl_b32 s56, s64, 3
	v_add_u32_e32 v8, s56, v61
	buffer_store_dword v60, v8, s[0:3], 0 offen
	buffer_store_dword v7, v8, s[0:3], 0 offen offset:4
	v_lshlrev_b64 v[8:9], 4, v[4:5]
	v_mov_b32_e32 v10, s45
	v_add_co_u32_e32 v56, vcc, s44, v8
	v_addc_co_u32_e32 v57, vcc, v10, v9, vcc
	;;#ASMSTART
	global_load_dwordx4 v[8:11], v[56:57] off glc	
s_waitcnt vmcnt(0)
	;;#ASMEND
	v_perm_b32 v65, v9, v10, s67
	v_perm_b32 v66, v9, v10, s68
	v_lshlrev_b32_e32 v65, 8, v65
	v_alignbit_b32 v11, v9, v8, 8
	v_alignbit_b32 v63, v9, v8, 16
	v_alignbit_b32 v64, v9, v8, 24
	v_perm_b32 v67, v9, v10, s69
	v_perm_b32 v9, v65, v9, s70
	v_lshlrev_b32_e32 v65, 16, v66
	v_and_b32_e32 v65, 0xff0000, v65
	v_lshlrev_b32_e32 v66, 24, v67
	v_or3_b32 v9, v9, v65, v66
	v_cmp_eq_u16_sdwa s[62:63], v10, v5 src0_sel:BYTE_0 src1_sel:DWORD
	s_and_saveexec_b64 s[56:57], s[62:63]
	s_cbranch_execz .LBB148_90
; %bb.93:                               ;   in Loop: Header=BB148_91 Depth=1
	s_mov_b32 s71, 1
	s_mov_b64 s[62:63], 0
.LBB148_94:                             ;   Parent Loop BB148_91 Depth=1
                                        ; =>  This Loop Header: Depth=2
                                        ;       Child Loop BB148_95 Depth 3
	s_max_u32 s72, s71, 1
.LBB148_95:                             ;   Parent Loop BB148_91 Depth=1
                                        ;     Parent Loop BB148_94 Depth=2
                                        ; =>    This Inner Loop Header: Depth=3
	s_add_i32 s72, s72, -1
	s_cmp_eq_u32 s72, 0
	s_sleep 1
	s_cbranch_scc0 .LBB148_95
; %bb.96:                               ;   in Loop: Header=BB148_94 Depth=2
	s_cmp_lt_u32 s71, 32
	s_cselect_b64 s[72:73], -1, 0
	s_cmp_lg_u64 s[72:73], 0
	s_addc_u32 s71, s71, 0
	;;#ASMSTART
	global_load_dwordx4 v[8:11], v[56:57] off glc	
s_waitcnt vmcnt(0)
	;;#ASMEND
	v_cmp_ne_u16_sdwa s[72:73], v10, v5 src0_sel:BYTE_0 src1_sel:DWORD
	s_or_b64 s[62:63], s[72:73], s[62:63]
	s_andn2_b64 exec, exec, s[62:63]
	s_cbranch_execnz .LBB148_94
; %bb.97:                               ;   in Loop: Header=BB148_91 Depth=1
	s_or_b64 exec, exec, s[62:63]
	v_perm_b32 v56, v9, v10, s67
	v_perm_b32 v57, v9, v10, s68
	v_lshlrev_b32_e32 v56, 8, v56
	v_alignbit_b32 v11, v9, v8, 8
	v_alignbit_b32 v63, v9, v8, 16
	;; [unrolled: 1-line block ×3, first 2 shown]
	v_perm_b32 v65, v9, v10, s69
	v_perm_b32 v9, v56, v9, s70
	v_lshlrev_b32_e32 v56, 16, v57
	v_lshlrev_b32_e32 v57, 24, v65
	v_and_b32_e32 v56, 0xff0000, v56
	v_or3_b32 v9, v9, v56, v57
	s_branch .LBB148_90
.LBB148_98:
                                        ; implicit-def: $vgpr56
                                        ; implicit-def: $sgpr62
                                        ; implicit-def: $vgpr10
                                        ; implicit-def: $vgpr9
                                        ; implicit-def: $vgpr11
                                        ; implicit-def: $vgpr63
                                        ; implicit-def: $vgpr64
.LBB148_99:
	v_cndmask_b32_e64 v5, 0, 1, s[36:37]
	;;#ASMSTART
	;;#ASMEND
	v_cmp_ne_u32_e32 vcc, 0, v5
	s_cmp_lg_u64 vcc, exec
	s_cbranch_scc1 .LBB148_184
; %bb.100:
	s_movk_i32 s36, 0xff
	v_cmp_eq_u16_sdwa s[36:37], v6, s36 src0_sel:BYTE_0 src1_sel:DWORD
	v_cndmask_b32_e64 v5, 0, 1, s[36:37]
	;;#ASMSTART
	;;#ASMEND
	v_cmp_ne_u32_e32 vcc, 0, v5
	s_cmp_eq_u64 vcc, exec
	v_add_u32_e32 v5, 64, v4
	s_cselect_b64 vcc, -1, 0
	v_cndmask_b32_e32 v4, v4, v5, vcc
	v_add_u32_e32 v8, 64, v4
	v_mov_b32_e32 v9, 0
	v_lshlrev_b64 v[4:5], 4, v[8:9]
	v_mov_b32_e32 v6, s45
	v_add_co_u32_e64 v10, s[36:37], s44, v4
	v_addc_co_u32_e64 v11, s[36:37], v6, v5, s[36:37]
	s_mov_b32 s62, 0x70605
	s_mov_b32 s63, 0x1000706
	;; [unrolled: 1-line block ×4, first 2 shown]
	v_mov_b32_e32 v8, 2
	s_branch .LBB148_102
.LBB148_101:                            ;   in Loop: Header=BB148_102 Depth=1
	s_or_b64 exec, exec, s[36:37]
	v_cmp_ne_u16_sdwa s[36:37], v6, v8 src0_sel:BYTE_0 src1_sel:DWORD
	v_cndmask_b32_e64 v5, 0, 1, s[36:37]
	;;#ASMSTART
	;;#ASMEND
	v_cmp_ne_u32_e64 s[36:37], 0, v5
	s_cmp_eq_u64 s[36:37], exec
	s_cbranch_scc0 .LBB148_183
.LBB148_102:                            ; =>This Loop Header: Depth=1
                                        ;     Child Loop BB148_104 Depth 2
                                        ;       Child Loop BB148_105 Depth 3
	;;#ASMSTART
	global_load_dwordx4 v[4:7], v[10:11] off glc	
s_waitcnt vmcnt(0)
	;;#ASMEND
	v_perm_b32 v7, v5, v6, s62
	v_perm_b32 v61, v5, v6, s63
	v_lshlrev_b32_e32 v7, 8, v7
	v_alignbit_b32 v56, v5, v4, 8
	v_alignbit_b32 v60, v5, v4, 16
	;; [unrolled: 1-line block ×3, first 2 shown]
	v_perm_b32 v62, v5, v6, s65
	v_perm_b32 v5, v7, v5, s66
	v_lshlrev_b32_e32 v7, 16, v61
	v_and_b32_e32 v7, 0xff0000, v7
	v_lshlrev_b32_e32 v61, 24, v62
	v_or3_b32 v7, v5, v7, v61
	v_cmp_eq_u16_sdwa s[56:57], v6, v9 src0_sel:BYTE_0 src1_sel:DWORD
	s_and_saveexec_b64 s[36:37], s[56:57]
	s_cbranch_execz .LBB148_101
; %bb.103:                              ;   in Loop: Header=BB148_102 Depth=1
	s_mov_b32 s67, 1
	s_mov_b64 s[56:57], 0
.LBB148_104:                            ;   Parent Loop BB148_102 Depth=1
                                        ; =>  This Loop Header: Depth=2
                                        ;       Child Loop BB148_105 Depth 3
	s_max_u32 s68, s67, 1
.LBB148_105:                            ;   Parent Loop BB148_102 Depth=1
                                        ;     Parent Loop BB148_104 Depth=2
                                        ; =>    This Inner Loop Header: Depth=3
	s_add_i32 s68, s68, -1
	s_cmp_eq_u32 s68, 0
	s_sleep 1
	s_cbranch_scc0 .LBB148_105
; %bb.106:                              ;   in Loop: Header=BB148_104 Depth=2
	s_cmp_lt_u32 s67, 32
	s_cselect_b64 s[68:69], -1, 0
	s_cmp_lg_u64 s[68:69], 0
	s_addc_u32 s67, s67, 0
	;;#ASMSTART
	global_load_dwordx4 v[4:7], v[10:11] off glc	
s_waitcnt vmcnt(0)
	;;#ASMEND
	v_cmp_ne_u16_sdwa s[68:69], v6, v9 src0_sel:BYTE_0 src1_sel:DWORD
	s_or_b64 s[56:57], s[68:69], s[56:57]
	s_andn2_b64 exec, exec, s[56:57]
	s_cbranch_execnz .LBB148_104
; %bb.107:                              ;   in Loop: Header=BB148_102 Depth=1
	s_or_b64 exec, exec, s[56:57]
	v_perm_b32 v7, v5, v6, s62
	v_perm_b32 v61, v5, v6, s63
	v_lshlrev_b32_e32 v7, 8, v7
	v_alignbit_b32 v56, v5, v4, 8
	v_alignbit_b32 v60, v5, v4, 16
	;; [unrolled: 1-line block ×3, first 2 shown]
	v_perm_b32 v62, v5, v6, s65
	v_perm_b32 v5, v7, v5, s66
	v_lshlrev_b32_e32 v7, 16, v61
	v_lshlrev_b32_e32 v61, 24, v62
	v_and_b32_e32 v7, 0xff0000, v7
	v_or3_b32 v7, v5, v7, v61
	s_branch .LBB148_101
.LBB148_108:
                                        ; implicit-def: $vgpr2
                                        ; implicit-def: $vgpr56
                                        ; implicit-def: $vgpr6
                                        ; implicit-def: $vgpr62
                                        ; implicit-def: $vgpr57
                                        ; implicit-def: $vgpr60
                                        ; implicit-def: $vgpr61
                                        ; implicit-def: $vgpr63
                                        ; implicit-def: $vgpr64
                                        ; implicit-def: $vgpr65
                                        ; implicit-def: $vgpr66
                                        ; implicit-def: $vgpr67
                                        ; implicit-def: $vgpr68
                                        ; implicit-def: $vgpr69
                                        ; implicit-def: $vgpr70
                                        ; implicit-def: $vgpr71
                                        ; implicit-def: $vgpr72
                                        ; implicit-def: $vgpr73
	s_cbranch_execnz .LBB148_207
.LBB148_109:
	s_and_saveexec_b64 s[4:5], s[48:49]
	s_cbranch_execnz .LBB148_218
	s_branch .LBB148_401
.LBB148_110:
                                        ; implicit-def: $sgpr12_sgpr13
                                        ; implicit-def: $vgpr58
                                        ; implicit-def: $vgpr27
                                        ; implicit-def: $vgpr26
                                        ; implicit-def: $vgpr29
                                        ; implicit-def: $vgpr28
                                        ; implicit-def: $vgpr31
                                        ; implicit-def: $vgpr30
                                        ; implicit-def: $vgpr33
                                        ; implicit-def: $vgpr32
                                        ; implicit-def: $vgpr35
                                        ; implicit-def: $vgpr34
                                        ; implicit-def: $vgpr37
                                        ; implicit-def: $vgpr36
                                        ; implicit-def: $vgpr39
	s_cbranch_execz .LBB148_55
; %bb.111:
	v_cvt_i32_f32_e32 v3, v13
	v_cvt_i32_f32_e32 v5, v12
	s_mov_b32 s14, 0x66666667
	v_cvt_i32_f32_e32 v9, v16
	v_mul_hi_i32 v3, v3, s14
	v_lshrrev_b32_e32 v4, 31, v3
	v_ashrrev_i32_e32 v3, 2, v3
	v_add_u32_e32 v4, v3, v4
	v_cvt_i32_f32_e32 v3, v1
	v_mul_hi_i32 v5, v5, s14
	v_lshrrev_b32_e32 v6, 31, v5
	v_ashrrev_i32_e32 v5, 2, v5
	v_add_u32_e32 v5, v5, v6
	;; [unrolled: 5-line block ×3, first 2 shown]
	v_mul_hi_i32 v3, v6, s14
	v_cvt_i32_f32_e32 v6, v17
	v_lshrrev_b32_e32 v8, 31, v3
	v_ashrrev_i32_e32 v3, 2, v3
	v_add_u32_e32 v8, v3, v8
	v_mul_hi_i32 v3, v6, s14
	v_lshrrev_b32_e32 v6, 31, v3
	v_ashrrev_i32_e32 v3, 2, v3
	v_add_u32_e32 v6, v3, v6
	v_cvt_i32_f32_e32 v3, v14
	v_mul_hi_i32 v9, v9, s14
	v_lshrrev_b32_e32 v10, 31, v9
	v_ashrrev_i32_e32 v9, 2, v9
	v_add_u32_e32 v9, v9, v10
	v_cvt_i32_f32_e32 v10, v19
	v_mul_hi_i32 v3, v3, s14
	v_lshrrev_b32_e32 v11, 31, v3
	v_ashrrev_i32_e32 v3, 2, v3
	v_add_u32_e32 v11, v3, v11
	v_mul_hi_i32 v3, v10, s14
	v_cvt_i32_f32_e32 v10, v21
	v_cvt_i32_f32_e32 v27, v20
	v_lshrrev_b32_e32 v26, 31, v3
	v_ashrrev_i32_e32 v3, 2, v3
	v_add_u32_e32 v26, v3, v26
	v_mul_hi_i32 v3, v10, s14
	v_lshrrev_b32_e32 v10, 31, v3
	v_ashrrev_i32_e32 v3, 2, v3
	v_add_u32_e32 v10, v3, v10
	v_cvt_i32_f32_e32 v3, v18
	v_mul_hi_i32 v27, v27, s14
	v_lshrrev_b32_e32 v28, 31, v27
	v_ashrrev_i32_e32 v27, 2, v27
	v_add_u32_e32 v27, v27, v28
	v_cvt_i32_f32_e32 v28, v23
	v_mul_hi_i32 v3, v3, s14
	v_lshrrev_b32_e32 v29, 31, v3
	v_ashrrev_i32_e32 v3, 2, v3
	v_add_u32_e32 v29, v3, v29
	v_mul_hi_i32 v3, v28, s14
	v_cvt_i32_f32_e32 v28, v25
	v_cvt_i32_f32_e32 v31, v24
	v_lshrrev_b32_e32 v30, 31, v3
	v_ashrrev_i32_e32 v3, 2, v3
	v_add_u32_e32 v30, v3, v30
	v_mul_hi_i32 v3, v28, s14
	v_cvt_i32_f32_e32 v32, v22
	v_lshrrev_b32_e32 v28, 31, v3
	v_ashrrev_i32_e32 v3, 2, v3
	v_add_u32_e32 v28, v3, v28
	v_mul_hi_i32 v3, v31, s14
	v_lshrrev_b32_e32 v31, 31, v3
	v_ashrrev_i32_e32 v3, 2, v3
	v_add_u32_e32 v3, v3, v31
	v_mul_hi_i32 v31, v32, s14
	v_lshrrev_b32_e32 v32, 31, v31
	v_ashrrev_i32_e32 v31, 2, v31
	v_add_u32_e32 v31, v31, v32
	v_cmp_ne_u32_e32 vcc, v28, v3
	v_cndmask_b32_e64 v39, 0, 1, vcc
	v_cmp_ne_u32_e32 vcc, v28, v31
	v_cndmask_b32_e64 v36, 0, 1, vcc
	;; [unrolled: 2-line block ×13, first 2 shown]
	v_cmp_ne_u32_e32 vcc, v4, v7
	v_lshlrev_b32_e32 v2, 2, v0
	v_cndmask_b32_e64 v58, 0, 1, vcc
	v_cmp_ne_u32_e32 vcc, 0, v0
	ds_write_b32 v2, v1
	s_waitcnt lgkmcnt(0)
	s_barrier
	s_waitcnt lgkmcnt(0)
                                        ; implicit-def: $sgpr12_sgpr13
	s_and_saveexec_b64 s[6:7], vcc
	s_xor_b64 s[6:7], exec, s[6:7]
	s_cbranch_execz .LBB148_113
; %bb.112:
	v_add_u32_e32 v2, -4, v2
	ds_read_b32 v2, v2
	s_or_b64 s[4:5], s[4:5], exec
	s_waitcnt lgkmcnt(0)
	v_cvt_i32_f32_e32 v2, v2
	v_mul_hi_i32 v2, v2, s14
	v_lshrrev_b32_e32 v4, 31, v2
	v_ashrrev_i32_e32 v2, 2, v2
	v_add_u32_e32 v2, v2, v4
	v_cmp_ne_u32_e32 vcc, v2, v3
	s_and_b64 s[12:13], vcc, exec
.LBB148_113:
	s_or_b64 exec, exec, s[6:7]
	s_mov_b32 s14, 1
	s_branch .LBB148_71
.LBB148_114:
	s_mul_hi_u32 s7, s48, 0xfffff100
	s_mul_i32 s6, s49, 0xfffff100
	s_sub_i32 s7, s7, s48
	s_add_i32 s7, s7, s6
	s_mul_i32 s6, s48, 0xfffff100
	s_add_u32 s6, s6, s56
	s_addc_u32 s7, s7, s57
	s_and_b64 vcc, exec, s[10:11]
	s_cbranch_vccz .LBB148_149
; %bb.115:
	v_mov_b32_e32 v3, s62
	v_add_co_u32_e64 v2, vcc, -4, s9
	v_addc_co_u32_e32 v3, vcc, -1, v3, vcc
	flat_load_dword v4, v[2:3]
	v_mad_u32_u24 v26, v0, 15, 14
	v_mov_b32_e32 v27, 0
	v_lshlrev_b32_e32 v3, 2, v0
	v_mul_u32_u24_e32 v2, 15, v0
	v_cmp_gt_u64_e32 vcc, s[6:7], v[26:27]
	v_mov_b32_e32 v58, 0
	ds_write_b32 v3, v1
	s_and_saveexec_b64 s[4:5], vcc
	s_cbranch_execz .LBB148_117
; %bb.116:
	v_cvt_i32_f32_e32 v5, v13
	v_cvt_i32_f32_e32 v6, v1
	s_mov_b32 s9, 0x66666667
	v_mul_hi_i32 v5, v5, s9
	v_lshrrev_b32_e32 v7, 31, v5
	v_ashrrev_i32_e32 v5, 2, v5
	v_mul_hi_i32 v6, v6, s9
	v_add_u32_e32 v5, v5, v7
	v_lshrrev_b32_e32 v7, 31, v6
	v_ashrrev_i32_e32 v6, 2, v6
	v_add_u32_e32 v6, v6, v7
	v_cmp_ne_u32_e32 vcc, v5, v6
	v_cndmask_b32_e64 v58, 0, 1, vcc
.LBB148_117:
	s_or_b64 exec, exec, s[4:5]
	v_add_u32_e32 v26, 13, v2
	v_cmp_gt_u64_e32 vcc, s[6:7], v[26:27]
	s_and_saveexec_b64 s[4:5], vcc
	s_cbranch_execz .LBB148_119
; %bb.118:
	v_cvt_i32_f32_e32 v5, v12
	v_cvt_i32_f32_e32 v6, v13
	s_mov_b32 s9, 0x66666667
	v_mul_hi_i32 v5, v5, s9
	v_lshrrev_b32_e32 v7, 31, v5
	v_ashrrev_i32_e32 v5, 2, v5
	v_mul_hi_i32 v6, v6, s9
	v_add_u32_e32 v5, v5, v7
	v_lshrrev_b32_e32 v7, 31, v6
	v_ashrrev_i32_e32 v6, 2, v6
	v_add_u32_e32 v6, v6, v7
	v_cmp_ne_u32_e32 vcc, v5, v6
	v_cndmask_b32_e64 v27, 0, 1, vcc
.LBB148_119:
	s_or_b64 exec, exec, s[4:5]
	v_add_u32_e32 v28, 12, v2
	v_mov_b32_e32 v29, 0
	v_cmp_gt_u64_e32 vcc, s[6:7], v[28:29]
	v_mov_b32_e32 v26, 0
	s_and_saveexec_b64 s[4:5], vcc
	s_cbranch_execz .LBB148_121
; %bb.120:
	v_cvt_i32_f32_e32 v5, v15
	v_cvt_i32_f32_e32 v6, v12
	s_mov_b32 s9, 0x66666667
	v_mul_hi_i32 v5, v5, s9
	v_lshrrev_b32_e32 v7, 31, v5
	v_ashrrev_i32_e32 v5, 2, v5
	v_mul_hi_i32 v6, v6, s9
	v_add_u32_e32 v5, v5, v7
	v_lshrrev_b32_e32 v7, 31, v6
	v_ashrrev_i32_e32 v6, 2, v6
	v_add_u32_e32 v6, v6, v7
	v_cmp_ne_u32_e32 vcc, v5, v6
	v_cndmask_b32_e64 v26, 0, 1, vcc
.LBB148_121:
	s_or_b64 exec, exec, s[4:5]
	v_add_u32_e32 v28, 11, v2
	v_cmp_gt_u64_e32 vcc, s[6:7], v[28:29]
	s_and_saveexec_b64 s[4:5], vcc
	s_cbranch_execz .LBB148_123
; %bb.122:
	v_cvt_i32_f32_e32 v5, v14
	v_cvt_i32_f32_e32 v6, v15
	s_mov_b32 s9, 0x66666667
	v_mul_hi_i32 v5, v5, s9
	v_lshrrev_b32_e32 v7, 31, v5
	v_ashrrev_i32_e32 v5, 2, v5
	v_mul_hi_i32 v6, v6, s9
	v_add_u32_e32 v5, v5, v7
	v_lshrrev_b32_e32 v7, 31, v6
	v_ashrrev_i32_e32 v6, 2, v6
	v_add_u32_e32 v6, v6, v7
	v_cmp_ne_u32_e32 vcc, v5, v6
	v_cndmask_b32_e64 v29, 0, 1, vcc
.LBB148_123:
	s_or_b64 exec, exec, s[4:5]
	v_add_u32_e32 v30, 10, v2
	v_mov_b32_e32 v31, 0
	v_cmp_gt_u64_e32 vcc, s[6:7], v[30:31]
	v_mov_b32_e32 v28, 0
	;; [unrolled: 42-line block ×6, first 2 shown]
	s_and_saveexec_b64 s[4:5], vcc
	s_cbranch_execz .LBB148_141
; %bb.140:
	v_cvt_i32_f32_e32 v5, v25
	v_cvt_i32_f32_e32 v6, v22
	s_mov_b32 s9, 0x66666667
	v_mul_hi_i32 v5, v5, s9
	v_lshrrev_b32_e32 v7, 31, v5
	v_ashrrev_i32_e32 v5, 2, v5
	v_mul_hi_i32 v6, v6, s9
	v_add_u32_e32 v5, v5, v7
	v_lshrrev_b32_e32 v7, 31, v6
	v_ashrrev_i32_e32 v6, 2, v6
	v_add_u32_e32 v6, v6, v7
	v_cmp_ne_u32_e32 vcc, v5, v6
	v_cndmask_b32_e64 v36, 0, 1, vcc
.LBB148_141:
	s_or_b64 exec, exec, s[4:5]
	v_add_u32_e32 v38, 1, v2
	v_cmp_gt_u64_e32 vcc, s[6:7], v[38:39]
	s_and_saveexec_b64 s[4:5], vcc
	s_cbranch_execz .LBB148_143
; %bb.142:
	v_cvt_i32_f32_e32 v5, v24
	v_cvt_i32_f32_e32 v6, v25
	s_mov_b32 s9, 0x66666667
	v_mul_hi_i32 v5, v5, s9
	v_lshrrev_b32_e32 v7, 31, v5
	v_ashrrev_i32_e32 v5, 2, v5
	v_mul_hi_i32 v6, v6, s9
	v_add_u32_e32 v5, v5, v7
	v_lshrrev_b32_e32 v7, 31, v6
	v_ashrrev_i32_e32 v6, 2, v6
	v_add_u32_e32 v6, v6, v7
	v_cmp_ne_u32_e32 vcc, v5, v6
	v_cndmask_b32_e64 v39, 0, 1, vcc
.LBB148_143:
	s_or_b64 exec, exec, s[4:5]
	v_cmp_ne_u32_e32 vcc, 0, v0
	s_waitcnt lgkmcnt(0)
	s_barrier
	s_and_saveexec_b64 s[4:5], vcc
	s_cbranch_execz .LBB148_145
; %bb.144:
	v_add_u32_e32 v3, -4, v3
	s_waitcnt vmcnt(0)
	ds_read_b32 v4, v3
.LBB148_145:
	s_or_b64 exec, exec, s[4:5]
	v_mov_b32_e32 v3, 0
	v_cmp_gt_u64_e32 vcc, s[6:7], v[2:3]
	s_mov_b64 s[10:11], 0
	s_mov_b64 s[12:13], 0
	s_and_saveexec_b64 s[4:5], vcc
	s_cbranch_execz .LBB148_147
; %bb.146:
	s_waitcnt vmcnt(0) lgkmcnt(0)
	v_cvt_i32_f32_e32 v2, v4
	v_cvt_i32_f32_e32 v3, v24
	s_mov_b32 s9, 0x66666667
	v_mul_hi_i32 v2, v2, s9
	v_lshrrev_b32_e32 v4, 31, v2
	v_ashrrev_i32_e32 v2, 2, v2
	v_mul_hi_i32 v3, v3, s9
	v_add_u32_e32 v2, v2, v4
	v_lshrrev_b32_e32 v4, 31, v3
	v_ashrrev_i32_e32 v3, 2, v3
	v_add_u32_e32 v3, v3, v4
	v_cmp_ne_u32_e32 vcc, v2, v3
	s_and_b64 s[12:13], vcc, exec
.LBB148_147:
	s_or_b64 exec, exec, s[4:5]
	s_mov_b64 s[4:5], -1
	s_and_b64 vcc, exec, s[10:11]
	s_cbranch_vccnz .LBB148_150
.LBB148_148:
                                        ; implicit-def: $sgpr14
	v_mov_b32_e32 v38, s14
	s_and_saveexec_b64 s[6:7], s[4:5]
	s_cbranch_execz .LBB148_73
	s_branch .LBB148_72
.LBB148_149:
                                        ; implicit-def: $sgpr12_sgpr13
                                        ; implicit-def: $vgpr58
                                        ; implicit-def: $vgpr27
                                        ; implicit-def: $vgpr26
                                        ; implicit-def: $vgpr29
                                        ; implicit-def: $vgpr28
                                        ; implicit-def: $vgpr31
                                        ; implicit-def: $vgpr30
                                        ; implicit-def: $vgpr33
                                        ; implicit-def: $vgpr32
                                        ; implicit-def: $vgpr35
                                        ; implicit-def: $vgpr34
                                        ; implicit-def: $vgpr37
                                        ; implicit-def: $vgpr36
                                        ; implicit-def: $vgpr39
	s_cbranch_execz .LBB148_148
.LBB148_150:
	v_mad_u32_u24 v26, v0, 15, 14
	v_mov_b32_e32 v27, 0
	s_waitcnt vmcnt(0) lgkmcnt(0)
	v_lshlrev_b32_e32 v4, 2, v0
	v_mul_u32_u24_e32 v2, 15, v0
	v_cmp_gt_u64_e32 vcc, s[6:7], v[26:27]
	v_mov_b32_e32 v58, 0
	ds_write_b32 v4, v1
	s_and_saveexec_b64 s[10:11], vcc
	s_cbranch_execz .LBB148_152
; %bb.151:
	v_cvt_i32_f32_e32 v3, v13
	v_cvt_i32_f32_e32 v5, v1
	s_mov_b32 s9, 0x66666667
	v_mul_hi_i32 v3, v3, s9
	v_lshrrev_b32_e32 v6, 31, v3
	v_ashrrev_i32_e32 v3, 2, v3
	v_mul_hi_i32 v5, v5, s9
	v_add_u32_e32 v3, v3, v6
	v_lshrrev_b32_e32 v6, 31, v5
	v_ashrrev_i32_e32 v5, 2, v5
	v_add_u32_e32 v5, v5, v6
	v_cmp_ne_u32_e32 vcc, v3, v5
	v_cndmask_b32_e64 v58, 0, 1, vcc
.LBB148_152:
	s_or_b64 exec, exec, s[10:11]
	v_add_u32_e32 v26, 13, v2
	v_cmp_gt_u64_e32 vcc, s[6:7], v[26:27]
	s_and_saveexec_b64 s[10:11], vcc
	s_cbranch_execz .LBB148_154
; %bb.153:
	v_cvt_i32_f32_e32 v3, v12
	v_cvt_i32_f32_e32 v5, v13
	s_mov_b32 s9, 0x66666667
	v_mul_hi_i32 v3, v3, s9
	v_lshrrev_b32_e32 v6, 31, v3
	v_ashrrev_i32_e32 v3, 2, v3
	v_mul_hi_i32 v5, v5, s9
	v_add_u32_e32 v3, v3, v6
	v_lshrrev_b32_e32 v6, 31, v5
	v_ashrrev_i32_e32 v5, 2, v5
	v_add_u32_e32 v5, v5, v6
	v_cmp_ne_u32_e32 vcc, v3, v5
	v_cndmask_b32_e64 v27, 0, 1, vcc
.LBB148_154:
	s_or_b64 exec, exec, s[10:11]
	v_add_u32_e32 v28, 12, v2
	v_mov_b32_e32 v29, 0
	v_cmp_gt_u64_e32 vcc, s[6:7], v[28:29]
	v_mov_b32_e32 v26, 0
	s_and_saveexec_b64 s[10:11], vcc
	s_cbranch_execz .LBB148_156
; %bb.155:
	v_cvt_i32_f32_e32 v3, v15
	v_cvt_i32_f32_e32 v5, v12
	s_mov_b32 s9, 0x66666667
	v_mul_hi_i32 v3, v3, s9
	v_lshrrev_b32_e32 v6, 31, v3
	v_ashrrev_i32_e32 v3, 2, v3
	v_mul_hi_i32 v5, v5, s9
	v_add_u32_e32 v3, v3, v6
	v_lshrrev_b32_e32 v6, 31, v5
	v_ashrrev_i32_e32 v5, 2, v5
	v_add_u32_e32 v5, v5, v6
	v_cmp_ne_u32_e32 vcc, v3, v5
	v_cndmask_b32_e64 v26, 0, 1, vcc
.LBB148_156:
	s_or_b64 exec, exec, s[10:11]
	v_add_u32_e32 v28, 11, v2
	v_cmp_gt_u64_e32 vcc, s[6:7], v[28:29]
	s_and_saveexec_b64 s[10:11], vcc
	s_cbranch_execz .LBB148_158
; %bb.157:
	v_cvt_i32_f32_e32 v3, v14
	v_cvt_i32_f32_e32 v5, v15
	s_mov_b32 s9, 0x66666667
	v_mul_hi_i32 v3, v3, s9
	v_lshrrev_b32_e32 v6, 31, v3
	v_ashrrev_i32_e32 v3, 2, v3
	v_mul_hi_i32 v5, v5, s9
	v_add_u32_e32 v3, v3, v6
	v_lshrrev_b32_e32 v6, 31, v5
	v_ashrrev_i32_e32 v5, 2, v5
	v_add_u32_e32 v5, v5, v6
	v_cmp_ne_u32_e32 vcc, v3, v5
	v_cndmask_b32_e64 v29, 0, 1, vcc
.LBB148_158:
	s_or_b64 exec, exec, s[10:11]
	v_add_u32_e32 v30, 10, v2
	v_mov_b32_e32 v31, 0
	v_cmp_gt_u64_e32 vcc, s[6:7], v[30:31]
	v_mov_b32_e32 v28, 0
	;; [unrolled: 42-line block ×6, first 2 shown]
	s_and_saveexec_b64 s[10:11], vcc
	s_cbranch_execz .LBB148_176
; %bb.175:
	v_cvt_i32_f32_e32 v3, v25
	v_cvt_i32_f32_e32 v5, v22
	s_mov_b32 s9, 0x66666667
	v_mul_hi_i32 v3, v3, s9
	v_lshrrev_b32_e32 v6, 31, v3
	v_ashrrev_i32_e32 v3, 2, v3
	v_mul_hi_i32 v5, v5, s9
	v_add_u32_e32 v3, v3, v6
	v_lshrrev_b32_e32 v6, 31, v5
	v_ashrrev_i32_e32 v5, 2, v5
	v_add_u32_e32 v5, v5, v6
	v_cmp_ne_u32_e32 vcc, v3, v5
	v_cndmask_b32_e64 v36, 0, 1, vcc
.LBB148_176:
	s_or_b64 exec, exec, s[10:11]
	v_add_u32_e32 v38, 1, v2
	v_cmp_gt_u64_e32 vcc, s[6:7], v[38:39]
	s_and_saveexec_b64 s[10:11], vcc
	s_cbranch_execz .LBB148_178
; %bb.177:
	v_cvt_i32_f32_e32 v3, v24
	v_cvt_i32_f32_e32 v5, v25
	s_mov_b32 s9, 0x66666667
	v_mul_hi_i32 v3, v3, s9
	v_lshrrev_b32_e32 v6, 31, v3
	v_ashrrev_i32_e32 v3, 2, v3
	v_mul_hi_i32 v5, v5, s9
	v_add_u32_e32 v3, v3, v6
	v_lshrrev_b32_e32 v6, 31, v5
	v_ashrrev_i32_e32 v5, 2, v5
	v_add_u32_e32 v5, v5, v6
	v_cmp_ne_u32_e32 vcc, v3, v5
	v_cndmask_b32_e64 v39, 0, 1, vcc
.LBB148_178:
	s_or_b64 exec, exec, s[10:11]
	v_cmp_ne_u32_e32 vcc, 0, v0
	s_waitcnt lgkmcnt(0)
	s_barrier
	s_waitcnt lgkmcnt(0)
                                        ; implicit-def: $sgpr12_sgpr13
	s_and_saveexec_b64 s[10:11], vcc
	s_cbranch_execz .LBB148_182
; %bb.179:
	v_mov_b32_e32 v3, 0
	v_cmp_gt_u64_e32 vcc, s[6:7], v[2:3]
	s_mov_b64 s[12:13], 0
	s_and_saveexec_b64 s[6:7], vcc
	s_cbranch_execz .LBB148_181
; %bb.180:
	v_add_u32_e32 v2, -4, v4
	ds_read_b32 v2, v2
	v_cvt_i32_f32_e32 v3, v24
	s_mov_b32 s9, 0x66666667
	v_mul_hi_i32 v3, v3, s9
	s_waitcnt lgkmcnt(0)
	v_cvt_i32_f32_e32 v2, v2
	v_lshrrev_b32_e32 v4, 31, v3
	v_ashrrev_i32_e32 v3, 2, v3
	v_add_u32_e32 v3, v3, v4
	v_mul_hi_i32 v2, v2, s9
	v_lshrrev_b32_e32 v5, 31, v2
	v_ashrrev_i32_e32 v2, 2, v2
	v_add_u32_e32 v2, v2, v5
	v_cmp_ne_u32_e32 vcc, v2, v3
	s_and_b64 s[12:13], vcc, exec
.LBB148_181:
	s_or_b64 exec, exec, s[6:7]
	s_and_b64 s[12:13], s[12:13], exec
	s_or_b64 s[4:5], s[4:5], exec
.LBB148_182:
	s_or_b64 exec, exec, s[10:11]
	s_mov_b32 s14, 1
	v_mov_b32_e32 v38, s14
	s_and_saveexec_b64 s[6:7], s[4:5]
	s_cbranch_execnz .LBB148_72
	s_branch .LBB148_73
.LBB148_183:
	v_cndmask_b32_e64 v5, 0, 1, vcc
	v_readfirstlane_b32 s36, v5
	s_sub_i32 s64, s64, s36
	v_lshlrev_b32_e32 v5, 16, v60
	s_mov_b32 s36, 0x4020c0c
	v_lshlrev_b32_e32 v8, 8, v56
	v_perm_b32 v5, v57, v5, s36
	v_and_b32_e32 v8, 0xff00, v8
	v_and_b32_e32 v4, 0xff, v4
	v_or3_b32 v60, v5, v8, v4
.LBB148_184:
	v_mov_b32_e32 v4, 2
	v_cmp_eq_u16_sdwa vcc, v6, v4 src0_sel:BYTE_0 src1_sel:DWORD
	s_cbranch_vccz .LBB148_189
; %bb.185:
	s_ff1_i32_b64 s36, vcc
	s_cmp_eq_u32 s36, 0
	s_cbranch_scc1 .LBB148_190
; %bb.186:
	v_cmp_eq_u32_e32 vcc, 0, v60
	v_mov_b32_e32 v9, v7
	v_mov_b32_e32 v8, v60
.LBB148_187:                            ; =>This Inner Loop Header: Depth=1
	s_nop 1
	v_mov_b32_dpp v4, v8 wave_rol:1 row_mask:0xf bank_mask:0xf
	v_mov_b32_dpp v5, v9 wave_rol:1 row_mask:0xf bank_mask:0xf
	v_add_u32_e32 v8, v4, v60
	v_add_f32_e32 v4, v7, v5
	s_add_i32 s36, s36, -1
	s_cmp_lg_u32 s36, 0
	v_cndmask_b32_e32 v9, v7, v4, vcc
	s_cbranch_scc1 .LBB148_187
; %bb.188:
	s_cmp_lt_i32 s64, 1
	s_cbranch_scc0 .LBB148_191
	s_branch .LBB148_196
.LBB148_189:
	s_mov_b64 s[8:9], 0
	s_mov_b64 s[36:37], -1
	s_branch .LBB148_201
.LBB148_190:
	v_mov_b32_e32 v9, v7
	v_mov_b32_e32 v8, v60
	s_cmp_lt_i32 s64, 1
	s_cbranch_scc1 .LBB148_196
.LBB148_191:
	v_mov_b32_e32 v4, 0
.LBB148_192:                            ; =>This Loop Header: Depth=1
                                        ;     Child Loop BB148_193 Depth 2
	s_add_i32 s36, s64, -1
	s_lshl_b32 s37, s36, 3
	v_add_u32_e32 v6, s37, v4
	buffer_load_dword v5, v6, s[0:3], 0 offen
	s_nop 0
	buffer_load_dword v6, v6, s[0:3], 0 offen offset:4
	s_mov_b32 s37, 64
	s_waitcnt vmcnt(1)
	v_cmp_eq_u32_e32 vcc, 0, v5
.LBB148_193:                            ;   Parent Loop BB148_192 Depth=1
                                        ; =>  This Inner Loop Header: Depth=2
	v_mov_b32_dpp v7, v8 wave_rol:1 row_mask:0xf bank_mask:0xf
	v_mov_b32_dpp v8, v9 wave_rol:1 row_mask:0xf bank_mask:0xf
	s_waitcnt vmcnt(0)
	v_add_f32_e32 v8, v6, v8
	v_cndmask_b32_e32 v8, v6, v8, vcc
	v_add_u32_e32 v7, v7, v5
	s_add_i32 s37, s37, -16
	v_mov_b32_dpp v8, v8 wave_rol:1 row_mask:0xf bank_mask:0xf
	v_add_f32_e32 v8, v6, v8
	v_cndmask_b32_e32 v8, v6, v8, vcc
	v_mov_b32_dpp v7, v7 wave_rol:1 row_mask:0xf bank_mask:0xf
	v_add_u32_e32 v7, v7, v5
	v_mov_b32_dpp v8, v8 wave_rol:1 row_mask:0xf bank_mask:0xf
	v_add_f32_e32 v8, v6, v8
	v_cndmask_b32_e32 v8, v6, v8, vcc
	v_mov_b32_dpp v7, v7 wave_rol:1 row_mask:0xf bank_mask:0xf
	v_add_u32_e32 v7, v7, v5
	;; [unrolled: 5-line block ×12, first 2 shown]
	v_mov_b32_dpp v8, v8 wave_rol:1 row_mask:0xf bank_mask:0xf
	v_add_f32_e32 v8, v6, v8
	v_mov_b32_dpp v7, v7 wave_rol:1 row_mask:0xf bank_mask:0xf
	v_cndmask_b32_e32 v8, v6, v8, vcc
	v_add_u32_e32 v7, v7, v5
	s_cmp_lg_u32 s37, 0
	v_mov_b32_dpp v8, v8 wave_rol:1 row_mask:0xf bank_mask:0xf
	v_mov_b32_dpp v7, v7 wave_rol:1 row_mask:0xf bank_mask:0xf
	v_add_f32_e32 v8, v6, v8
	v_add_u32_e32 v7, v7, v5
	v_cndmask_b32_e32 v8, v6, v8, vcc
	s_nop 0
	v_mov_b32_dpp v7, v7 wave_rol:1 row_mask:0xf bank_mask:0xf
	v_mov_b32_dpp v9, v8 wave_rol:1 row_mask:0xf bank_mask:0xf
	v_add_u32_e32 v8, v7, v5
	v_add_f32_e32 v7, v6, v9
	v_cndmask_b32_e32 v9, v6, v7, vcc
	s_cbranch_scc1 .LBB148_193
; %bb.194:                              ;   in Loop: Header=BB148_192 Depth=1
	s_cmp_gt_i32 s64, 1
	s_cbranch_scc0 .LBB148_196
; %bb.195:                              ;   in Loop: Header=BB148_192 Depth=1
	s_mov_b32 s64, s36
	s_branch .LBB148_192
.LBB148_196:
	v_readfirstlane_b32 s56, v8
	v_readfirstlane_b32 s57, v9
	s_and_saveexec_b64 s[36:37], s[30:31]
	s_cbranch_execz .LBB148_198
; %bb.197:
	v_mov_b32_e32 v5, s57
	v_add_f32_e32 v4, s9, v5
	v_mov_b32_e32 v7, s9
	v_cmp_eq_u32_e32 vcc, 0, v2
	s_mov_b32 s63, 0
	v_cndmask_b32_e32 v4, v7, v4, vcc
	s_add_i32 s62, s8, 64
	s_lshl_b64 s[8:9], s[62:63], 4
	v_and_b32_e32 v7, 0xff000000, v4
	v_and_b32_e32 v8, 0xff0000, v4
	s_add_u32 s8, s44, s8
	v_or_b32_e32 v7, v8, v7
	v_and_b32_e32 v8, 0xff00, v4
	s_addc_u32 s9, s45, s9
	v_or_b32_e32 v7, v7, v8
	v_add_u32_e32 v6, s56, v2
	v_mov_b32_e32 v9, 0
	v_or_b32_sdwa v7, v7, v4 dst_sel:DWORD dst_unused:UNUSED_PAD src0_sel:DWORD src1_sel:BYTE_0
	v_mov_b32_e32 v8, 2
	v_pk_mov_b32 v[10:11], s[8:9], s[8:9] op_sel:[0,1]
	;;#ASMSTART
	global_store_dwordx4 v[10:11], v[6:9] off	
s_waitcnt vmcnt(0)
	;;#ASMEND
	v_mov_b32_e32 v4, s56
	ds_write_b128 v9, v[2:5] offset:2048
.LBB148_198:
	s_or_b64 exec, exec, s[36:37]
	v_cmp_eq_u32_e32 vcc, 0, v0
	s_and_saveexec_b64 s[8:9], vcc
	s_cbranch_execz .LBB148_200
; %bb.199:
	v_mov_b32_e32 v2, s56
	v_mov_b32_e32 v3, s57
	;; [unrolled: 1-line block ×3, first 2 shown]
	ds_write_b64 v4, v[2:3] offset:2088
.LBB148_200:
	s_or_b64 exec, exec, s[8:9]
	s_mov_b64 s[8:9], -1
	s_mov_b64 s[36:37], 0
.LBB148_201:
	s_and_b64 s[36:37], s[36:37], exec
	s_orn2_b64 s[56:57], s[8:9], exec
.LBB148_202:
	s_or_b64 exec, exec, s[50:51]
                                        ; implicit-def: $vgpr2
                                        ; implicit-def: $vgpr56
                                        ; implicit-def: $vgpr6
                                        ; implicit-def: $vgpr62
                                        ; implicit-def: $vgpr57
                                        ; implicit-def: $vgpr60
                                        ; implicit-def: $vgpr61
                                        ; implicit-def: $vgpr63
                                        ; implicit-def: $vgpr64
                                        ; implicit-def: $vgpr65
                                        ; implicit-def: $vgpr66
                                        ; implicit-def: $vgpr67
                                        ; implicit-def: $vgpr68
                                        ; implicit-def: $vgpr69
                                        ; implicit-def: $vgpr70
                                        ; implicit-def: $vgpr71
                                        ; implicit-def: $vgpr72
                                        ; implicit-def: $vgpr73
	s_and_saveexec_b64 s[8:9], s[56:57]
	s_cbranch_execz .LBB148_205
; %bb.203:
	v_mov_b32_e32 v4, 0
	s_waitcnt lgkmcnt(0)
	s_barrier
	ds_read_b64 v[2:3], v4 offset:2088
	v_cndmask_b32_e64 v5, v80, v55, s[30:31]
	v_cndmask_b32_e64 v6, v79, v54, s[30:31]
	v_cmp_eq_u32_e32 vcc, 0, v6
	s_waitcnt lgkmcnt(0)
	v_add_f32_e32 v7, v5, v3
	v_cndmask_b32_e32 v5, v5, v7, vcc
	v_cmp_eq_u32_e32 vcc, 0, v0
	v_cndmask_b32_e32 v73, v5, v3, vcc
	v_cndmask_b32_e64 v3, v6, 0, vcc
	v_add_u32_e32 v7, v2, v3
	v_add_f32_e32 v2, v50, v73
	v_cmp_eq_u32_e32 vcc, 0, v38
	v_cndmask_b32_e32 v72, v50, v2, vcc
	v_add_f32_e32 v2, v52, v72
	v_cndmask_b32_e64 v71, v52, v2, s[28:29]
	v_add_f32_e32 v2, v51, v71
	v_cndmask_b32_e64 v70, v51, v2, s[26:27]
	;; [unrolled: 2-line block ×11, first 2 shown]
	s_barrier
	ds_read_b128 v[2:5], v4 offset:2048
	v_add_f32_e32 v6, v40, v60
	v_cndmask_b32_e64 v57, v40, v6, s[6:7]
	v_add_f32_e32 v6, v59, v57
	s_mov_b64 s[48:49], exec
	s_waitcnt lgkmcnt(0)
	v_add_f32_e32 v5, v5, v3
	v_cmp_eq_u32_e32 vcc, 0, v2
	v_cndmask_b32_e64 v62, v59, v6, s[4:5]
	v_cndmask_b32_e32 v56, v3, v5, vcc
	v_mov_b32_e32 v6, v4
	v_mov_b32_e32 v5, v7
	s_or_b64 exec, exec, s[8:9]
	s_and_saveexec_b64 s[4:5], s[36:37]
	s_xor_b64 s[4:5], exec, s[4:5]
	s_cbranch_execz .LBB148_206
.LBB148_204:
	s_trap 2
	; divergent unreachable
                                        ; implicit-def: $vgpr62
                                        ; implicit-def: $vgpr57
                                        ; implicit-def: $vgpr60
                                        ; implicit-def: $vgpr61
                                        ; implicit-def: $vgpr63
                                        ; implicit-def: $vgpr64
                                        ; implicit-def: $vgpr65
                                        ; implicit-def: $vgpr66
                                        ; implicit-def: $vgpr67
                                        ; implicit-def: $vgpr68
                                        ; implicit-def: $vgpr69
                                        ; implicit-def: $vgpr70
                                        ; implicit-def: $vgpr71
                                        ; implicit-def: $vgpr72
                                        ; implicit-def: $vgpr73
	s_branch .LBB148_206
.LBB148_205:
	s_or_b64 exec, exec, s[8:9]
	s_and_saveexec_b64 s[4:5], s[36:37]
	s_xor_b64 s[4:5], exec, s[4:5]
	s_cbranch_execnz .LBB148_204
.LBB148_206:
	s_or_b64 exec, exec, s[4:5]
	s_branch .LBB148_109
.LBB148_207:
	s_and_b64 s[4:5], s[46:47], exec
	s_cselect_b32 s5, 0, s61
	s_cselect_b32 s4, 0, s60
	s_cmp_eq_u64 s[4:5], 0
	v_mov_b32_e32 v6, v50
	s_cbranch_scc1 .LBB148_209
; %bb.208:
	v_mov_b32_e32 v2, 0
	global_load_dword v6, v2, s[4:5]
.LBB148_209:
	v_cmp_eq_u32_e64 s[4:5], 0, v39
	v_cndmask_b32_e64 v2, v52, v78, s[4:5]
	v_add_f32_e32 v2, v51, v2
	v_cmp_eq_u32_e64 s[6:7], 0, v36
	v_cndmask_b32_e64 v2, v51, v2, s[6:7]
	v_add_f32_e32 v2, v53, v2
	;; [unrolled: 3-line block ×11, first 2 shown]
	v_cmp_eq_u32_e64 s[26:27], 0, v26
	v_cndmask_b32_e64 v2, v40, v2, s[26:27]
	v_add3_u32 v3, v77, v35, v32
	v_add_f32_e32 v2, v59, v2
	v_cmp_eq_u32_e32 vcc, 0, v27
	v_add3_u32 v3, v3, v33, v30
	v_cndmask_b32_e32 v2, v59, v2, vcc
	v_add3_u32 v3, v3, v31, v28
	v_add_f32_e32 v2, v41, v2
	v_cmp_eq_u32_e64 s[28:29], 0, v58
	v_add3_u32 v3, v3, v29, v26
	v_cndmask_b32_e64 v2, v41, v2, s[28:29]
	v_add3_u32 v3, v3, v27, v58
	v_mbcnt_hi_u32_b32 v7, -1, v76
	v_mov_b32_dpp v8, v2 row_shr:1 row_mask:0xf bank_mask:0xf
	s_waitcnt vmcnt(0) lgkmcnt(0)
	v_and_b32_e32 v4, 15, v7
	v_add_f32_e32 v8, v2, v8
	v_cmp_eq_u32_e64 s[28:29], 0, v3
	v_mov_b32_dpp v5, v3 row_shr:1 row_mask:0xf bank_mask:0xf
	v_cndmask_b32_e64 v8, v2, v8, s[28:29]
	v_cmp_eq_u32_e64 s[28:29], 0, v4
	v_cndmask_b32_e64 v5, v5, 0, s[28:29]
	v_cndmask_b32_e64 v2, v8, v2, s[28:29]
	v_add_u32_e32 v3, v5, v3
	v_cmp_eq_u32_e64 s[28:29], 0, v3
	v_mov_b32_dpp v8, v2 row_shr:2 row_mask:0xf bank_mask:0xf
	v_add_f32_e32 v8, v2, v8
	v_mov_b32_dpp v5, v3 row_shr:2 row_mask:0xf bank_mask:0xf
	v_cndmask_b32_e64 v8, v2, v8, s[28:29]
	v_cmp_lt_u32_e64 s[28:29], 1, v4
	v_cndmask_b32_e64 v2, v2, v8, s[28:29]
	v_cndmask_b32_e64 v5, 0, v5, s[28:29]
	v_add_u32_e32 v3, v3, v5
	v_mov_b32_dpp v8, v2 row_shr:4 row_mask:0xf bank_mask:0xf
	v_add_f32_e32 v8, v2, v8
	v_cmp_eq_u32_e64 s[28:29], 0, v3
	v_mov_b32_dpp v5, v3 row_shr:4 row_mask:0xf bank_mask:0xf
	v_cndmask_b32_e64 v8, v2, v8, s[28:29]
	v_cmp_lt_u32_e64 s[28:29], 3, v4
	v_cndmask_b32_e64 v2, v2, v8, s[28:29]
	v_cndmask_b32_e64 v5, 0, v5, s[28:29]
	v_add_u32_e32 v3, v5, v3
	v_mov_b32_dpp v8, v2 row_shr:8 row_mask:0xf bank_mask:0xf
	v_add_f32_e32 v8, v2, v8
	v_cmp_eq_u32_e64 s[28:29], 0, v3
	v_mov_b32_dpp v5, v3 row_shr:8 row_mask:0xf bank_mask:0xf
	v_cndmask_b32_e64 v8, v2, v8, s[28:29]
	v_cmp_lt_u32_e64 s[28:29], 7, v4
	v_cndmask_b32_e64 v2, v2, v8, s[28:29]
	v_cndmask_b32_e64 v4, 0, v5, s[28:29]
	v_add_u32_e32 v3, v4, v3
	v_mov_b32_dpp v5, v2 row_bcast:15 row_mask:0xf bank_mask:0xf
	v_bfe_i32 v8, v7, 4, 1
	v_mov_b32_dpp v4, v3 row_bcast:15 row_mask:0xf bank_mask:0xf
	v_and_b32_e32 v9, 16, v7
	v_add_f32_e32 v5, v2, v5
	v_cmp_eq_u32_e64 s[28:29], 0, v3
	v_cndmask_b32_e64 v5, v2, v5, s[28:29]
	v_and_b32_e32 v4, v8, v4
	v_cmp_eq_u32_e64 s[28:29], 0, v9
	v_add_u32_e32 v3, v4, v3
	v_cndmask_b32_e64 v4, v5, v2, s[28:29]
	v_cmp_eq_u32_e64 s[28:29], 0, v3
	v_mov_b32_dpp v2, v3 row_bcast:31 row_mask:0xf bank_mask:0xf
	v_mov_b32_dpp v5, v4 row_bcast:31 row_mask:0xf bank_mask:0xf
	v_add_f32_e32 v5, v4, v5
	v_cndmask_b32_e64 v5, v4, v5, s[28:29]
	v_cmp_lt_u32_e64 s[28:29], 31, v7
	v_cndmask_b32_e64 v2, 0, v2, s[28:29]
	v_add_u32_e32 v2, v2, v3
	v_cmp_eq_u32_e64 s[30:31], v75, v0
	v_cndmask_b32_e64 v3, v4, v5, s[28:29]
	s_and_saveexec_b64 s[28:29], s[30:31]
	s_cbranch_execz .LBB148_211
; %bb.210:
	v_lshlrev_b32_e32 v4, 3, v74
	ds_write_b64 v4, v[2:3] offset:2064
.LBB148_211:
	s_or_b64 exec, exec, s[28:29]
	v_cmp_gt_u32_e64 s[28:29], 4, v0
	s_waitcnt lgkmcnt(0)
	s_barrier
	s_and_saveexec_b64 s[34:35], s[28:29]
	s_cbranch_execz .LBB148_213
; %bb.212:
	v_lshlrev_b32_e32 v8, 3, v0
	ds_read_b64 v[4:5], v8 offset:2064
	v_and_b32_e32 v9, 3, v7
	v_cmp_lt_u32_e64 s[30:31], 1, v9
	s_waitcnt lgkmcnt(0)
	v_mov_b32_dpp v11, v5 row_shr:1 row_mask:0xf bank_mask:0xf
	v_add_f32_e32 v11, v5, v11
	v_cmp_eq_u32_e64 s[28:29], 0, v4
	v_mov_b32_dpp v10, v4 row_shr:1 row_mask:0xf bank_mask:0xf
	v_cndmask_b32_e64 v11, v5, v11, s[28:29]
	v_cmp_eq_u32_e64 s[28:29], 0, v9
	v_cndmask_b32_e64 v10, v10, 0, s[28:29]
	v_add_u32_e32 v4, v10, v4
	v_cndmask_b32_e64 v5, v11, v5, s[28:29]
	v_cmp_eq_u32_e64 s[28:29], 0, v4
	v_mov_b32_dpp v10, v4 row_shr:2 row_mask:0xf bank_mask:0xf
	v_mov_b32_dpp v11, v5 row_shr:2 row_mask:0xf bank_mask:0xf
	v_add_f32_e32 v11, v5, v11
	v_cndmask_b32_e64 v9, 0, v10, s[30:31]
	s_and_b64 s[28:29], s[30:31], s[28:29]
	v_add_u32_e32 v4, v9, v4
	v_cndmask_b32_e64 v5, v5, v11, s[28:29]
	ds_write_b64 v8, v[4:5] offset:2064
.LBB148_213:
	s_or_b64 exec, exec, s[34:35]
	v_cmp_lt_u32_e64 s[28:29], 63, v0
	v_mov_b32_e32 v8, 0
	v_mov_b32_e32 v4, 0
	;; [unrolled: 1-line block ×3, first 2 shown]
	s_waitcnt lgkmcnt(0)
	s_barrier
	s_and_saveexec_b64 s[30:31], s[28:29]
	s_cbranch_execz .LBB148_215
; %bb.214:
	v_lshlrev_b32_e32 v4, 3, v74
	ds_read_b64 v[4:5], v4 offset:2056
	s_waitcnt lgkmcnt(0)
	v_add_f32_e32 v9, v6, v5
	v_cmp_eq_u32_e64 s[28:29], 0, v4
	v_cndmask_b32_e64 v9, v5, v9, s[28:29]
.LBB148_215:
	s_or_b64 exec, exec, s[30:31]
	v_add_f32_e32 v10, v3, v9
	v_cmp_eq_u32_e64 s[28:29], 0, v2
	v_add_u32_e32 v5, v4, v2
	v_cndmask_b32_e64 v2, v3, v10, s[28:29]
	v_add_u32_e32 v3, -1, v7
	v_and_b32_e32 v10, 64, v7
	v_cmp_lt_i32_e64 s[28:29], v3, v10
	v_cndmask_b32_e64 v3, v3, v7, s[28:29]
	v_lshlrev_b32_e32 v3, 2, v3
	ds_bpermute_b32 v5, v3, v5
	ds_bpermute_b32 v2, v3, v2
	v_cmp_eq_u32_e64 s[28:29], 0, v7
	v_cmp_eq_u32_e64 s[30:31], 0, v38
	s_waitcnt lgkmcnt(1)
	v_cndmask_b32_e64 v5, v5, v4, s[28:29]
	s_waitcnt lgkmcnt(0)
	v_cndmask_b32_e64 v73, v2, v9, s[28:29]
	v_cmp_eq_u32_e64 s[28:29], 0, v0
	v_cndmask_b32_e64 v2, v73, v6, s[28:29]
	v_add_f32_e32 v2, v50, v2
	v_cndmask_b32_e64 v72, v50, v2, s[30:31]
	v_add_f32_e32 v2, v52, v72
	;; [unrolled: 2-line block ×11, first 2 shown]
	v_cndmask_b32_e64 v61, v45, v2, s[24:25]
	ds_read_b64 v[2:3], v8 offset:2088
	v_add_f32_e32 v4, v43, v61
	v_cndmask_b32_e64 v60, v43, v4, s[22:23]
	v_add_f32_e32 v4, v40, v60
	v_cndmask_b32_e64 v57, v40, v4, s[26:27]
	s_waitcnt lgkmcnt(0)
	v_add_f32_e32 v4, v6, v3
	v_cmp_eq_u32_e64 s[4:5], 0, v2
	v_add_f32_e32 v7, v59, v57
	v_cndmask_b32_e64 v56, v3, v4, s[4:5]
	s_and_saveexec_b64 s[4:5], s[28:29]
	s_cbranch_execz .LBB148_217
; %bb.216:
	s_add_u32 s6, s44, 0x400
	v_and_b32_e32 v3, 0xff000000, v56
	v_and_b32_e32 v4, 0xff0000, v56
	s_addc_u32 s7, s45, 0
	v_or_b32_e32 v3, v4, v3
	v_and_b32_e32 v4, 0xff00, v56
	v_and_b32_e32 v8, 0xff, v56
	v_mov_b32_e32 v5, 0
	v_or3_b32 v3, v3, v4, v8
	v_mov_b32_e32 v4, 2
	v_pk_mov_b32 v[8:9], s[6:7], s[6:7] op_sel:[0,1]
	;;#ASMSTART
	global_store_dwordx4 v[8:9], v[2:5] off	
s_waitcnt vmcnt(0)
	;;#ASMEND
	v_mov_b32_e32 v73, v6
.LBB148_217:
	s_or_b64 exec, exec, s[4:5]
	v_cndmask_b32_e32 v62, v59, v7, vcc
	s_mov_b64 s[48:49], -1
	v_mov_b32_e32 v6, 0
	s_and_saveexec_b64 s[4:5], s[48:49]
	s_cbranch_execz .LBB148_401
.LBB148_218:
	s_and_b64 s[4:5], s[46:47], exec
	s_cselect_b32 s5, 0, s59
	s_cselect_b32 s4, 0, s58
	s_cmp_eq_u64 s[4:5], 0
	v_pk_mov_b32 v[8:9], 0, 0
	s_waitcnt lgkmcnt(0)
	s_barrier
	s_cbranch_scc1 .LBB148_220
; %bb.219:
	v_mov_b32_e32 v3, 0
	global_load_dwordx2 v[8:9], v3, s[4:5]
.LBB148_220:
	s_waitcnt vmcnt(0)
	v_lshlrev_b64 v[10:11], 2, v[8:9]
	v_mov_b32_e32 v7, s43
	v_add_co_u32_e32 v54, vcc, s42, v10
	v_addc_co_u32_e32 v55, vcc, v7, v11, vcc
	v_mov_b32_e32 v7, 0
	v_lshlrev_b64 v[40:41], 2, v[6:7]
	v_add_co_u32_e32 v7, vcc, v54, v40
	v_addc_co_u32_e32 v54, vcc, v55, v41, vcc
	v_cmp_eq_u32_e32 vcc, 0, v38
	v_cndmask_b32_e64 v55, 1, 2, vcc
	v_cmp_eq_u32_e32 vcc, 0, v39
	v_cndmask_b32_e64 v59, 1, 2, vcc
	v_cmp_eq_u32_e32 vcc, 0, v36
	v_add_u32_e32 v53, v5, v38
	v_and_b32_e32 v55, v59, v55
	v_cndmask_b32_e64 v59, 1, 2, vcc
	v_cmp_eq_u32_e32 vcc, 0, v37
	v_add_u32_e32 v52, v53, v39
	v_and_b32_e32 v55, v55, v59
	;; [unrolled: 4-line block ×12, first 2 shown]
	v_cndmask_b32_e64 v59, 1, 2, vcc
	v_cmp_eq_u32_e32 vcc, 0, v58
	s_movk_i32 s36, 0x100
	v_add_u32_e32 v4, v42, v26
	v_and_b32_e32 v55, v55, v59
	v_cndmask_b32_e64 v59, 1, 2, vcc
	v_cmp_gt_u32_e32 vcc, s36, v2
	v_add_u32_e32 v3, v4, v27
	v_cmp_ne_u32_e64 s[34:35], 0, v38
	v_cmp_ne_u32_e64 s[30:31], 0, v39
	;; [unrolled: 1-line block ×15, first 2 shown]
	v_and_b32_e32 v55, v55, v59
	s_mov_b64 s[36:37], -1
	s_cbranch_vccz .LBB148_257
; %bb.221:
	v_cmp_gt_i16_e32 vcc, 2, v55
	s_and_saveexec_b64 s[36:37], vcc
	s_cbranch_execz .LBB148_256
; %bb.222:
	v_cmp_ne_u16_e32 vcc, 1, v55
	s_mov_b64 s[44:45], 0
	s_and_saveexec_b64 s[42:43], vcc
	s_xor_b64 s[42:43], exec, s[42:43]
	s_cbranch_execz .LBB148_237
; %bb.223:
	s_and_saveexec_b64 s[44:45], s[34:35]
	s_cbranch_execz .LBB148_239
; %bb.224:
	v_sub_u32_e32 v74, v5, v6
	v_mov_b32_e32 v75, 0
	v_lshlrev_b64 v[74:75], 2, v[74:75]
	v_add_co_u32_e32 v74, vcc, v7, v74
	v_addc_co_u32_e32 v75, vcc, v54, v75, vcc
	global_store_dword v[74:75], v24, off
	s_or_b64 exec, exec, s[44:45]
	s_and_saveexec_b64 s[44:45], s[30:31]
	s_cbranch_execnz .LBB148_240
.LBB148_225:
	s_or_b64 exec, exec, s[44:45]
	s_and_saveexec_b64 s[44:45], s[28:29]
	s_cbranch_execz .LBB148_241
.LBB148_226:
	v_sub_u32_e32 v74, v52, v6
	v_mov_b32_e32 v75, 0
	v_lshlrev_b64 v[74:75], 2, v[74:75]
	v_add_co_u32_e32 v74, vcc, v7, v74
	v_addc_co_u32_e32 v75, vcc, v54, v75, vcc
	global_store_dword v[74:75], v22, off
	s_or_b64 exec, exec, s[44:45]
	s_and_saveexec_b64 s[44:45], s[26:27]
	s_cbranch_execnz .LBB148_242
.LBB148_227:
	s_or_b64 exec, exec, s[44:45]
	s_and_saveexec_b64 s[44:45], s[24:25]
	s_cbranch_execz .LBB148_243
.LBB148_228:
	v_sub_u32_e32 v74, v50, v6
	v_mov_b32_e32 v75, 0
	v_lshlrev_b64 v[74:75], 2, v[74:75]
	v_add_co_u32_e32 v74, vcc, v7, v74
	v_addc_co_u32_e32 v75, vcc, v54, v75, vcc
	global_store_dword v[74:75], v20, off
	s_or_b64 exec, exec, s[44:45]
	s_and_saveexec_b64 s[44:45], s[22:23]
	s_cbranch_execnz .LBB148_244
.LBB148_229:
	s_or_b64 exec, exec, s[44:45]
	s_and_saveexec_b64 s[44:45], s[20:21]
	s_cbranch_execz .LBB148_245
.LBB148_230:
	v_sub_u32_e32 v74, v48, v6
	v_mov_b32_e32 v75, 0
	v_lshlrev_b64 v[74:75], 2, v[74:75]
	v_add_co_u32_e32 v74, vcc, v7, v74
	v_addc_co_u32_e32 v75, vcc, v54, v75, vcc
	global_store_dword v[74:75], v18, off
	s_or_b64 exec, exec, s[44:45]
	s_and_saveexec_b64 s[44:45], s[18:19]
	s_cbranch_execnz .LBB148_246
.LBB148_231:
	s_or_b64 exec, exec, s[44:45]
	s_and_saveexec_b64 s[44:45], s[16:17]
	s_cbranch_execz .LBB148_247
.LBB148_232:
	v_sub_u32_e32 v74, v46, v6
	v_mov_b32_e32 v75, 0
	v_lshlrev_b64 v[74:75], 2, v[74:75]
	v_add_co_u32_e32 v74, vcc, v7, v74
	v_addc_co_u32_e32 v75, vcc, v54, v75, vcc
	global_store_dword v[74:75], v16, off
	s_or_b64 exec, exec, s[44:45]
	s_and_saveexec_b64 s[44:45], s[14:15]
	s_cbranch_execnz .LBB148_248
.LBB148_233:
	s_or_b64 exec, exec, s[44:45]
	s_and_saveexec_b64 s[44:45], s[12:13]
	s_cbranch_execz .LBB148_249
.LBB148_234:
	v_sub_u32_e32 v74, v44, v6
	v_mov_b32_e32 v75, 0
	v_lshlrev_b64 v[74:75], 2, v[74:75]
	v_add_co_u32_e32 v74, vcc, v7, v74
	v_addc_co_u32_e32 v75, vcc, v54, v75, vcc
	global_store_dword v[74:75], v14, off
	s_or_b64 exec, exec, s[44:45]
	s_and_saveexec_b64 s[44:45], s[10:11]
	s_cbranch_execnz .LBB148_250
.LBB148_235:
	s_or_b64 exec, exec, s[44:45]
	s_and_saveexec_b64 s[44:45], s[8:9]
	s_cbranch_execz .LBB148_251
.LBB148_236:
	v_sub_u32_e32 v74, v42, v6
	v_mov_b32_e32 v75, 0
	v_lshlrev_b64 v[74:75], 2, v[74:75]
	v_add_co_u32_e32 v74, vcc, v7, v74
	v_addc_co_u32_e32 v75, vcc, v54, v75, vcc
	global_store_dword v[74:75], v12, off
	s_or_b64 exec, exec, s[44:45]
	s_and_saveexec_b64 s[44:45], s[6:7]
	s_cbranch_execnz .LBB148_252
	s_branch .LBB148_253
.LBB148_237:
	s_andn2_saveexec_b64 s[42:43], s[42:43]
	s_cbranch_execz .LBB148_254
.LBB148_238:
	v_sub_u32_e32 v74, v5, v6
	v_mov_b32_e32 v75, 0
	v_lshlrev_b64 v[76:77], 2, v[74:75]
	v_add_co_u32_e32 v76, vcc, v7, v76
	v_addc_co_u32_e32 v77, vcc, v54, v77, vcc
	v_sub_u32_e32 v74, v53, v6
	global_store_dword v[76:77], v24, off
	v_lshlrev_b64 v[76:77], 2, v[74:75]
	v_add_co_u32_e32 v76, vcc, v7, v76
	v_addc_co_u32_e32 v77, vcc, v54, v77, vcc
	v_sub_u32_e32 v74, v52, v6
	global_store_dword v[76:77], v25, off
	;; [unrolled: 5-line block ×12, first 2 shown]
	v_lshlrev_b64 v[76:77], 2, v[74:75]
	v_add_co_u32_e32 v76, vcc, v7, v76
	v_sub_u32_e32 v74, v4, v6
	v_addc_co_u32_e32 v77, vcc, v54, v77, vcc
	v_lshlrev_b64 v[74:75], 2, v[74:75]
	v_add_co_u32_e32 v74, vcc, v7, v74
	v_addc_co_u32_e32 v75, vcc, v54, v75, vcc
	s_or_b64 s[44:45], s[44:45], exec
	global_store_dword v[76:77], v12, off
	global_store_dword v[74:75], v13, off
	s_or_b64 exec, exec, s[42:43]
	s_and_b64 exec, exec, s[44:45]
	s_cbranch_execnz .LBB148_255
	s_branch .LBB148_256
.LBB148_239:
	s_or_b64 exec, exec, s[44:45]
	s_and_saveexec_b64 s[44:45], s[30:31]
	s_cbranch_execz .LBB148_225
.LBB148_240:
	v_sub_u32_e32 v74, v53, v6
	v_mov_b32_e32 v75, 0
	v_lshlrev_b64 v[74:75], 2, v[74:75]
	v_add_co_u32_e32 v74, vcc, v7, v74
	v_addc_co_u32_e32 v75, vcc, v54, v75, vcc
	global_store_dword v[74:75], v25, off
	s_or_b64 exec, exec, s[44:45]
	s_and_saveexec_b64 s[44:45], s[28:29]
	s_cbranch_execnz .LBB148_226
.LBB148_241:
	s_or_b64 exec, exec, s[44:45]
	s_and_saveexec_b64 s[44:45], s[26:27]
	s_cbranch_execz .LBB148_227
.LBB148_242:
	v_sub_u32_e32 v74, v51, v6
	v_mov_b32_e32 v75, 0
	v_lshlrev_b64 v[74:75], 2, v[74:75]
	v_add_co_u32_e32 v74, vcc, v7, v74
	v_addc_co_u32_e32 v75, vcc, v54, v75, vcc
	global_store_dword v[74:75], v23, off
	s_or_b64 exec, exec, s[44:45]
	s_and_saveexec_b64 s[44:45], s[24:25]
	s_cbranch_execnz .LBB148_228
.LBB148_243:
	s_or_b64 exec, exec, s[44:45]
	s_and_saveexec_b64 s[44:45], s[22:23]
	s_cbranch_execz .LBB148_229
.LBB148_244:
	v_sub_u32_e32 v74, v49, v6
	v_mov_b32_e32 v75, 0
	v_lshlrev_b64 v[74:75], 2, v[74:75]
	v_add_co_u32_e32 v74, vcc, v7, v74
	v_addc_co_u32_e32 v75, vcc, v54, v75, vcc
	global_store_dword v[74:75], v21, off
	s_or_b64 exec, exec, s[44:45]
	s_and_saveexec_b64 s[44:45], s[20:21]
	s_cbranch_execnz .LBB148_230
.LBB148_245:
	s_or_b64 exec, exec, s[44:45]
	s_and_saveexec_b64 s[44:45], s[18:19]
	s_cbranch_execz .LBB148_231
.LBB148_246:
	v_sub_u32_e32 v74, v47, v6
	v_mov_b32_e32 v75, 0
	v_lshlrev_b64 v[74:75], 2, v[74:75]
	v_add_co_u32_e32 v74, vcc, v7, v74
	v_addc_co_u32_e32 v75, vcc, v54, v75, vcc
	global_store_dword v[74:75], v19, off
	s_or_b64 exec, exec, s[44:45]
	s_and_saveexec_b64 s[44:45], s[16:17]
	s_cbranch_execnz .LBB148_232
.LBB148_247:
	s_or_b64 exec, exec, s[44:45]
	s_and_saveexec_b64 s[44:45], s[14:15]
	s_cbranch_execz .LBB148_233
.LBB148_248:
	v_sub_u32_e32 v74, v45, v6
	v_mov_b32_e32 v75, 0
	v_lshlrev_b64 v[74:75], 2, v[74:75]
	v_add_co_u32_e32 v74, vcc, v7, v74
	v_addc_co_u32_e32 v75, vcc, v54, v75, vcc
	global_store_dword v[74:75], v17, off
	s_or_b64 exec, exec, s[44:45]
	s_and_saveexec_b64 s[44:45], s[12:13]
	s_cbranch_execnz .LBB148_234
.LBB148_249:
	s_or_b64 exec, exec, s[44:45]
	s_and_saveexec_b64 s[44:45], s[10:11]
	s_cbranch_execz .LBB148_235
.LBB148_250:
	v_sub_u32_e32 v74, v43, v6
	v_mov_b32_e32 v75, 0
	v_lshlrev_b64 v[74:75], 2, v[74:75]
	v_add_co_u32_e32 v74, vcc, v7, v74
	v_addc_co_u32_e32 v75, vcc, v54, v75, vcc
	global_store_dword v[74:75], v15, off
	s_or_b64 exec, exec, s[44:45]
	s_and_saveexec_b64 s[44:45], s[8:9]
	s_cbranch_execnz .LBB148_236
.LBB148_251:
	s_or_b64 exec, exec, s[44:45]
	s_and_saveexec_b64 s[44:45], s[6:7]
	s_cbranch_execz .LBB148_253
.LBB148_252:
	v_sub_u32_e32 v74, v4, v6
	v_mov_b32_e32 v75, 0
	v_lshlrev_b64 v[74:75], 2, v[74:75]
	v_add_co_u32_e32 v74, vcc, v7, v74
	v_addc_co_u32_e32 v75, vcc, v54, v75, vcc
	global_store_dword v[74:75], v13, off
.LBB148_253:
	s_or_b64 exec, exec, s[44:45]
	s_and_b64 s[44:45], s[4:5], exec
	s_andn2_saveexec_b64 s[42:43], s[42:43]
	s_cbranch_execnz .LBB148_238
.LBB148_254:
	s_or_b64 exec, exec, s[42:43]
	s_and_b64 exec, exec, s[44:45]
	s_cbranch_execz .LBB148_256
.LBB148_255:
	v_sub_u32_e32 v74, v3, v6
	v_mov_b32_e32 v75, 0
	v_lshlrev_b64 v[74:75], 2, v[74:75]
	v_add_co_u32_e32 v74, vcc, v7, v74
	v_addc_co_u32_e32 v75, vcc, v54, v75, vcc
	global_store_dword v[74:75], v1, off
.LBB148_256:
	s_or_b64 exec, exec, s[36:37]
	s_mov_b64 s[36:37], 0
.LBB148_257:
	s_and_b64 vcc, exec, s[36:37]
	s_cbranch_vccz .LBB148_309
; %bb.258:
	v_cmp_gt_i16_e32 vcc, 2, v55
	s_and_saveexec_b64 s[36:37], vcc
	s_cbranch_execz .LBB148_293
; %bb.259:
	v_cmp_ne_u16_e32 vcc, 1, v55
	s_mov_b64 s[44:45], 0
	s_and_saveexec_b64 s[42:43], vcc
	s_xor_b64 s[42:43], exec, s[42:43]
	s_cbranch_execz .LBB148_274
; %bb.260:
	s_and_saveexec_b64 s[44:45], s[34:35]
	s_cbranch_execz .LBB148_276
; %bb.261:
	v_sub_u32_e32 v55, v5, v6
	v_lshlrev_b32_e32 v55, 2, v55
	ds_write_b32 v55, v24
	s_or_b64 exec, exec, s[44:45]
	s_and_saveexec_b64 s[34:35], s[30:31]
	s_cbranch_execnz .LBB148_277
.LBB148_262:
	s_or_b64 exec, exec, s[34:35]
	s_and_saveexec_b64 s[30:31], s[28:29]
	s_cbranch_execz .LBB148_278
.LBB148_263:
	v_sub_u32_e32 v24, v52, v6
	v_lshlrev_b32_e32 v24, 2, v24
	ds_write_b32 v24, v22
	s_or_b64 exec, exec, s[30:31]
	s_and_saveexec_b64 s[28:29], s[26:27]
	s_cbranch_execnz .LBB148_279
.LBB148_264:
	s_or_b64 exec, exec, s[28:29]
	s_and_saveexec_b64 s[26:27], s[24:25]
	s_cbranch_execz .LBB148_280
.LBB148_265:
	v_sub_u32_e32 v22, v50, v6
	v_lshlrev_b32_e32 v22, 2, v22
	ds_write_b32 v22, v20
	s_or_b64 exec, exec, s[26:27]
	s_and_saveexec_b64 s[24:25], s[22:23]
	s_cbranch_execnz .LBB148_281
.LBB148_266:
	s_or_b64 exec, exec, s[24:25]
	s_and_saveexec_b64 s[22:23], s[20:21]
	s_cbranch_execz .LBB148_282
.LBB148_267:
	v_sub_u32_e32 v20, v48, v6
	v_lshlrev_b32_e32 v20, 2, v20
	ds_write_b32 v20, v18
	s_or_b64 exec, exec, s[22:23]
	s_and_saveexec_b64 s[20:21], s[18:19]
	s_cbranch_execnz .LBB148_283
.LBB148_268:
	s_or_b64 exec, exec, s[20:21]
	s_and_saveexec_b64 s[18:19], s[16:17]
	s_cbranch_execz .LBB148_284
.LBB148_269:
	v_sub_u32_e32 v18, v46, v6
	v_lshlrev_b32_e32 v18, 2, v18
	ds_write_b32 v18, v16
	s_or_b64 exec, exec, s[18:19]
	s_and_saveexec_b64 s[16:17], s[14:15]
	s_cbranch_execnz .LBB148_285
.LBB148_270:
	s_or_b64 exec, exec, s[16:17]
	s_and_saveexec_b64 s[14:15], s[12:13]
	s_cbranch_execz .LBB148_286
.LBB148_271:
	v_sub_u32_e32 v16, v44, v6
	v_lshlrev_b32_e32 v16, 2, v16
	ds_write_b32 v16, v14
	s_or_b64 exec, exec, s[14:15]
	s_and_saveexec_b64 s[12:13], s[10:11]
	s_cbranch_execnz .LBB148_287
.LBB148_272:
	s_or_b64 exec, exec, s[12:13]
	s_and_saveexec_b64 s[10:11], s[8:9]
	s_cbranch_execz .LBB148_288
.LBB148_273:
	v_sub_u32_e32 v14, v42, v6
	v_lshlrev_b32_e32 v14, 2, v14
	ds_write_b32 v14, v12
	s_or_b64 exec, exec, s[10:11]
	s_and_saveexec_b64 s[8:9], s[6:7]
	s_cbranch_execnz .LBB148_289
	s_branch .LBB148_290
.LBB148_274:
	s_andn2_saveexec_b64 s[4:5], s[42:43]
	s_cbranch_execz .LBB148_291
.LBB148_275:
	v_sub_u32_e32 v55, v5, v6
	v_lshlrev_b32_e32 v55, 2, v55
	ds_write_b32 v55, v24
	v_sub_u32_e32 v24, v53, v6
	v_lshlrev_b32_e32 v24, 2, v24
	ds_write_b32 v24, v25
	;; [unrolled: 3-line block ×13, first 2 shown]
	v_sub_u32_e32 v12, v4, v6
	v_lshlrev_b32_e32 v12, 2, v12
	s_or_b64 s[44:45], s[44:45], exec
	ds_write_b32 v12, v13
	s_or_b64 exec, exec, s[4:5]
	s_and_b64 exec, exec, s[44:45]
	s_cbranch_execnz .LBB148_292
	s_branch .LBB148_293
.LBB148_276:
	s_or_b64 exec, exec, s[44:45]
	s_and_saveexec_b64 s[34:35], s[30:31]
	s_cbranch_execz .LBB148_262
.LBB148_277:
	v_sub_u32_e32 v24, v53, v6
	v_lshlrev_b32_e32 v24, 2, v24
	ds_write_b32 v24, v25
	s_or_b64 exec, exec, s[34:35]
	s_and_saveexec_b64 s[30:31], s[28:29]
	s_cbranch_execnz .LBB148_263
.LBB148_278:
	s_or_b64 exec, exec, s[30:31]
	s_and_saveexec_b64 s[28:29], s[26:27]
	s_cbranch_execz .LBB148_264
.LBB148_279:
	v_sub_u32_e32 v22, v51, v6
	v_lshlrev_b32_e32 v22, 2, v22
	ds_write_b32 v22, v23
	s_or_b64 exec, exec, s[28:29]
	s_and_saveexec_b64 s[26:27], s[24:25]
	s_cbranch_execnz .LBB148_265
.LBB148_280:
	s_or_b64 exec, exec, s[26:27]
	s_and_saveexec_b64 s[24:25], s[22:23]
	s_cbranch_execz .LBB148_266
.LBB148_281:
	v_sub_u32_e32 v20, v49, v6
	v_lshlrev_b32_e32 v20, 2, v20
	ds_write_b32 v20, v21
	s_or_b64 exec, exec, s[24:25]
	s_and_saveexec_b64 s[22:23], s[20:21]
	s_cbranch_execnz .LBB148_267
.LBB148_282:
	s_or_b64 exec, exec, s[22:23]
	s_and_saveexec_b64 s[20:21], s[18:19]
	s_cbranch_execz .LBB148_268
.LBB148_283:
	v_sub_u32_e32 v18, v47, v6
	v_lshlrev_b32_e32 v18, 2, v18
	ds_write_b32 v18, v19
	s_or_b64 exec, exec, s[20:21]
	s_and_saveexec_b64 s[18:19], s[16:17]
	s_cbranch_execnz .LBB148_269
.LBB148_284:
	s_or_b64 exec, exec, s[18:19]
	s_and_saveexec_b64 s[16:17], s[14:15]
	s_cbranch_execz .LBB148_270
.LBB148_285:
	v_sub_u32_e32 v16, v45, v6
	v_lshlrev_b32_e32 v16, 2, v16
	ds_write_b32 v16, v17
	s_or_b64 exec, exec, s[16:17]
	s_and_saveexec_b64 s[14:15], s[12:13]
	s_cbranch_execnz .LBB148_271
.LBB148_286:
	s_or_b64 exec, exec, s[14:15]
	s_and_saveexec_b64 s[12:13], s[10:11]
	s_cbranch_execz .LBB148_272
.LBB148_287:
	v_sub_u32_e32 v14, v43, v6
	v_lshlrev_b32_e32 v14, 2, v14
	ds_write_b32 v14, v15
	s_or_b64 exec, exec, s[12:13]
	s_and_saveexec_b64 s[10:11], s[8:9]
	s_cbranch_execnz .LBB148_273
.LBB148_288:
	s_or_b64 exec, exec, s[10:11]
	s_and_saveexec_b64 s[8:9], s[6:7]
	s_cbranch_execz .LBB148_290
.LBB148_289:
	v_sub_u32_e32 v12, v4, v6
	v_lshlrev_b32_e32 v12, 2, v12
	ds_write_b32 v12, v13
.LBB148_290:
	s_or_b64 exec, exec, s[8:9]
	s_and_b64 s[44:45], s[4:5], exec
                                        ; implicit-def: $vgpr24_vgpr25
                                        ; implicit-def: $vgpr22_vgpr23
                                        ; implicit-def: $vgpr20_vgpr21
                                        ; implicit-def: $vgpr18_vgpr19
                                        ; implicit-def: $vgpr16_vgpr17
                                        ; implicit-def: $vgpr14_vgpr15
                                        ; implicit-def: $vgpr12_vgpr13
	s_andn2_saveexec_b64 s[4:5], s[42:43]
	s_cbranch_execnz .LBB148_275
.LBB148_291:
	s_or_b64 exec, exec, s[4:5]
	s_and_b64 exec, exec, s[44:45]
	s_cbranch_execz .LBB148_293
.LBB148_292:
	v_sub_u32_e32 v12, v3, v6
	v_lshlrev_b32_e32 v12, 2, v12
	ds_write_b32 v12, v1
.LBB148_293:
	s_or_b64 exec, exec, s[36:37]
	v_cmp_lt_u32_e32 vcc, v0, v2
	s_waitcnt lgkmcnt(0)
	s_barrier
	s_and_saveexec_b64 s[6:7], vcc
	s_cbranch_execz .LBB148_308
; %bb.294:
	v_xad_u32 v1, v0, -1, v2
	s_movk_i32 s4, 0x1700
	v_cmp_gt_u32_e64 s[8:9], s4, v1
	s_movk_i32 s4, 0x16ff
	v_cmp_lt_u32_e32 vcc, s4, v1
	v_mov_b32_e32 v12, v0
	s_and_saveexec_b64 s[10:11], vcc
	s_cbranch_execz .LBB148_305
; %bb.295:
	v_sub_u32_e32 v12, v0, v2
	v_or_b32_e32 v12, 0xff, v12
	v_cmp_ge_u32_e32 vcc, v12, v0
	s_mov_b64 s[4:5], -1
	v_mov_b32_e32 v12, v0
	s_and_saveexec_b64 s[12:13], vcc
	s_cbranch_execz .LBB148_304
; %bb.296:
	v_lshrrev_b32_e32 v16, 8, v1
	v_add_u32_e32 v12, -1, v16
	v_or_b32_e32 v1, 0x100, v0
	v_lshrrev_b32_e32 v13, 1, v12
	v_add_u32_e32 v17, 1, v13
	v_cmp_lt_u32_e32 vcc, 13, v12
	v_mov_b32_e32 v20, 0
	v_pk_mov_b32 v[12:13], v[0:1], v[0:1] op_sel:[0,1]
	s_and_saveexec_b64 s[14:15], vcc
	s_cbranch_execz .LBB148_300
; %bb.297:
	v_and_b32_e32 v18, -8, v17
	v_lshlrev_b32_e32 v19, 2, v0
	s_mov_b32 s18, 0
	s_mov_b64 s[16:17], 0
	v_mov_b32_e32 v15, 0
	v_pk_mov_b32 v[12:13], v[0:1], v[0:1] op_sel:[0,1]
.LBB148_298:                            ; =>This Inner Loop Header: Depth=1
	v_mov_b32_e32 v14, v12
	v_add_u32_e32 v18, -8, v18
	v_lshlrev_b64 v[98:99], 2, v[14:15]
	v_mov_b32_e32 v14, v13
	ds_read2st64_b32 v[22:23], v19 offset1:4
	s_add_i32 s18, s18, 16
	v_cmp_eq_u32_e32 vcc, 0, v18
	v_lshlrev_b64 v[102:103], 2, v[14:15]
	v_add_u32_e32 v14, 0x200, v12
	s_or_b64 s[16:17], vcc, s[16:17]
	v_add_co_u32_e32 v102, vcc, v7, v102
	v_add_u32_e32 v20, 0x200, v13
	v_mov_b32_e32 v21, v15
	ds_read2st64_b32 v[24:25], v19 offset0:8 offset1:12
	ds_read2st64_b32 v[76:77], v19 offset0:16 offset1:20
	v_add_co_u32_e64 v98, s[4:5], v7, v98
	v_addc_co_u32_e32 v103, vcc, v54, v103, vcc
	v_lshlrev_b64 v[104:105], 2, v[14:15]
	v_lshlrev_b64 v[100:101], 2, v[20:21]
	v_addc_co_u32_e64 v99, s[4:5], v54, v99, s[4:5]
	v_add_u32_e32 v14, 0x400, v12
	v_add_co_u32_e32 v104, vcc, v7, v104
	v_add_u32_e32 v74, 0x400, v13
	v_mov_b32_e32 v75, v15
	ds_read2st64_b32 v[80:81], v19 offset0:24 offset1:28
	v_add_co_u32_e64 v100, s[4:5], v7, v100
	v_addc_co_u32_e32 v105, vcc, v54, v105, vcc
	v_lshlrev_b64 v[106:107], 2, v[14:15]
	ds_read2st64_b32 v[84:85], v19 offset0:32 offset1:36
	ds_read2st64_b32 v[88:89], v19 offset0:40 offset1:44
	;; [unrolled: 1-line block ×4, first 2 shown]
	v_lshlrev_b64 v[74:75], 2, v[74:75]
	v_addc_co_u32_e64 v101, s[4:5], v54, v101, s[4:5]
	v_add_u32_e32 v14, 0x600, v12
	s_waitcnt lgkmcnt(7)
	global_store_dword v[98:99], v22, off
	global_store_dword v[102:103], v23, off
	s_waitcnt lgkmcnt(6)
	global_store_dword v[104:105], v24, off
	global_store_dword v[100:101], v25, off
	v_add_co_u32_e32 v22, vcc, v7, v106
	v_add_u32_e32 v78, 0x600, v13
	v_mov_b32_e32 v79, v15
	v_add_co_u32_e64 v74, s[4:5], v7, v74
	v_addc_co_u32_e32 v23, vcc, v54, v107, vcc
	v_lshlrev_b64 v[24:25], 2, v[14:15]
	v_lshlrev_b64 v[78:79], 2, v[78:79]
	v_addc_co_u32_e64 v75, s[4:5], v54, v75, s[4:5]
	v_add_u32_e32 v14, 0x800, v12
	s_waitcnt lgkmcnt(5)
	global_store_dword v[22:23], v76, off
	global_store_dword v[74:75], v77, off
	v_add_co_u32_e32 v22, vcc, v7, v24
	v_add_u32_e32 v82, 0x800, v13
	v_mov_b32_e32 v83, v15
	v_add_co_u32_e64 v78, s[4:5], v7, v78
	v_addc_co_u32_e32 v23, vcc, v54, v25, vcc
	v_lshlrev_b64 v[24:25], 2, v[14:15]
	v_lshlrev_b64 v[82:83], 2, v[82:83]
	v_addc_co_u32_e64 v79, s[4:5], v54, v79, s[4:5]
	v_add_u32_e32 v14, 0xa00, v12
	;; [unrolled: 12-line block ×4, first 2 shown]
	s_waitcnt lgkmcnt(2)
	global_store_dword v[22:23], v88, off
	global_store_dword v[86:87], v89, off
	v_add_co_u32_e32 v22, vcc, v7, v24
	v_add_u32_e32 v94, 0xe00, v13
	v_mov_b32_e32 v95, v15
	v_add_co_u32_e64 v90, s[4:5], v7, v90
	v_addc_co_u32_e32 v23, vcc, v54, v25, vcc
	v_lshlrev_b64 v[24:25], 2, v[14:15]
	v_lshlrev_b64 v[94:95], 2, v[94:95]
	v_addc_co_u32_e64 v91, s[4:5], v54, v91, s[4:5]
	s_waitcnt lgkmcnt(1)
	global_store_dword v[22:23], v92, off
	global_store_dword v[90:91], v93, off
	v_add_co_u32_e32 v22, vcc, v7, v24
	v_add_u32_e32 v19, 0x4000, v19
	v_add_u32_e32 v13, 0x1000, v13
	v_mov_b32_e32 v20, s18
	v_add_co_u32_e64 v94, s[4:5], v7, v94
	v_add_u32_e32 v12, 0x1000, v12
	v_addc_co_u32_e32 v23, vcc, v54, v25, vcc
	v_addc_co_u32_e64 v95, s[4:5], v54, v95, s[4:5]
	s_waitcnt lgkmcnt(0)
	global_store_dword v[22:23], v96, off
	global_store_dword v[94:95], v97, off
	s_andn2_b64 exec, exec, s[16:17]
	s_cbranch_execnz .LBB148_298
; %bb.299:
	s_or_b64 exec, exec, s[16:17]
.LBB148_300:
	s_or_b64 exec, exec, s[14:15]
	v_and_b32_e32 v1, 7, v17
	v_cmp_ne_u32_e32 vcc, 0, v1
	s_and_saveexec_b64 s[14:15], vcc
	s_cbranch_execz .LBB148_303
; %bb.301:
	v_lshlrev_b32_e32 v14, 2, v0
	v_lshl_or_b32 v17, v20, 10, v14
	s_mov_b64 s[16:17], 0
	v_mov_b32_e32 v15, 0
.LBB148_302:                            ; =>This Inner Loop Header: Depth=1
	ds_read2st64_b32 v[18:19], v17 offset1:4
	v_mov_b32_e32 v14, v12
	v_add_u32_e32 v1, -1, v1
	v_lshlrev_b64 v[20:21], 2, v[14:15]
	v_mov_b32_e32 v14, v13
	v_cmp_eq_u32_e32 vcc, 0, v1
	v_add_co_u32_e64 v20, s[4:5], v7, v20
	v_lshlrev_b64 v[22:23], 2, v[14:15]
	v_add_u32_e32 v12, 0x200, v12
	v_add_u32_e32 v17, 0x800, v17
	;; [unrolled: 1-line block ×3, first 2 shown]
	v_addc_co_u32_e64 v21, s[4:5], v54, v21, s[4:5]
	s_or_b64 s[16:17], vcc, s[16:17]
	v_add_co_u32_e32 v22, vcc, v7, v22
	v_addc_co_u32_e32 v23, vcc, v54, v23, vcc
	s_waitcnt lgkmcnt(0)
	global_store_dword v[20:21], v18, off
	global_store_dword v[22:23], v19, off
	s_andn2_b64 exec, exec, s[16:17]
	s_cbranch_execnz .LBB148_302
.LBB148_303:
	s_or_b64 exec, exec, s[14:15]
	v_add_u32_e32 v1, 1, v16
	v_and_b32_e32 v13, 0x1fffffe, v1
	v_cmp_ne_u32_e32 vcc, v1, v13
	v_lshl_or_b32 v12, v13, 8, v0
	s_orn2_b64 s[4:5], vcc, exec
.LBB148_304:
	s_or_b64 exec, exec, s[12:13]
	s_andn2_b64 s[8:9], s[8:9], exec
	s_and_b64 s[4:5], s[4:5], exec
	s_or_b64 s[8:9], s[8:9], s[4:5]
.LBB148_305:
	s_or_b64 exec, exec, s[10:11]
	s_and_b64 exec, exec, s[8:9]
	s_cbranch_execz .LBB148_308
; %bb.306:
	v_lshlrev_b32_e32 v1, 2, v12
	s_mov_b64 s[4:5], 0
	v_mov_b32_e32 v13, 0
.LBB148_307:                            ; =>This Inner Loop Header: Depth=1
	v_lshlrev_b64 v[14:15], 2, v[12:13]
	ds_read_b32 v16, v1
	v_add_co_u32_e32 v14, vcc, v7, v14
	v_add_u32_e32 v12, 0x100, v12
	v_addc_co_u32_e32 v15, vcc, v54, v15, vcc
	v_cmp_ge_u32_e32 vcc, v12, v2
	v_add_u32_e32 v1, 0x400, v1
	s_or_b64 s[4:5], vcc, s[4:5]
	s_waitcnt lgkmcnt(0)
	global_store_dword v[14:15], v16, off
	s_andn2_b64 exec, exec, s[4:5]
	s_cbranch_execnz .LBB148_307
.LBB148_308:
	s_or_b64 exec, exec, s[6:7]
.LBB148_309:
	s_cmpk_lg_i32 s33, 0xf00
	s_cselect_b64 s[4:5], -1, 0
	s_and_b64 s[4:5], s[38:39], s[4:5]
	v_cmp_eq_u32_e32 vcc, 0, v0
	v_cndmask_b32_e64 v16, 0, 1, s[4:5]
	s_and_b64 s[4:5], vcc, s[40:41]
	v_cndmask_b32_e64 v12, v38, 0, s[4:5]
	s_mul_hi_u32 s4, s33, 0x88888889
	s_lshr_b32 s4, s4, 3
	v_mad_i32_i24 v13, v0, -15, s33
	v_cmp_eq_u32_e32 vcc, s4, v0
	v_cmp_ne_u32_e64 s[4:5], 0, v13
	v_cndmask_b32_e64 v14, 1, v12, s[4:5]
	v_cmp_ne_u32_e64 s[4:5], 1, v13
	v_cndmask_b32_e64 v15, 1, v39, s[4:5]
	;; [unrolled: 2-line block ×15, first 2 shown]
	s_and_b64 vcc, s[38:39], vcc
	v_cndmask_b32_e32 v58, v58, v13, vcc
	v_cndmask_b32_e32 v27, v27, v55, vcc
	;; [unrolled: 1-line block ×15, first 2 shown]
	v_mov_b32_e32 v12, s53
	v_add_co_u32_e32 v10, vcc, s52, v10
	v_addc_co_u32_e32 v11, vcc, v12, v11, vcc
	v_cndmask_b32_e64 v1, 0, 1, s[40:41]
	v_add_co_u32_e32 v12, vcc, v10, v40
	v_addc_co_u32_e32 v13, vcc, v11, v41, vcc
	v_lshlrev_b32_e32 v10, 2, v1
	v_add_co_u32_e32 v10, vcc, v10, v12
	v_addc_co_u32_e32 v11, vcc, 0, v13, vcc
	v_add_co_u32_e32 v14, vcc, -4, v10
	v_addc_co_u32_e32 v15, vcc, -1, v11, vcc
	v_cmp_eq_u32_e32 vcc, 0, v30
	v_cndmask_b32_e64 v11, 1, 2, vcc
	v_cmp_eq_u32_e32 vcc, 0, v28
	v_cmp_ne_u32_e64 s[30:31], 0, v28
	v_cndmask_b32_e64 v28, 1, 2, vcc
	v_cmp_eq_u32_e32 vcc, 0, v17
	v_and_b32_e32 v11, v28, v11
	v_cmp_ne_u32_e64 s[28:29], 0, v17
	v_cndmask_b32_e64 v17, 1, 2, vcc
	v_cmp_eq_u32_e32 vcc, 0, v18
	v_and_b32_e32 v11, v11, v17
	v_cndmask_b32_e64 v17, 1, 2, vcc
	v_cmp_eq_u32_e32 vcc, 0, v19
	v_and_b32_e32 v11, v11, v17
	;; [unrolled: 3-line block ×9, first 2 shown]
	v_cndmask_b32_e64 v17, 1, 2, vcc
	v_cmp_eq_u32_e32 vcc, 0, v26
	v_sub_u32_e32 v7, v2, v1
	v_and_b32_e32 v11, v11, v17
	v_cndmask_b32_e64 v17, 1, 2, vcc
	v_cmp_eq_u32_e32 vcc, 0, v27
	v_add_u32_e32 v7, v7, v16
	v_and_b32_e32 v11, v11, v17
	v_cndmask_b32_e64 v17, 1, 2, vcc
	v_cmp_eq_u32_e32 vcc, 0, v58
	s_movk_i32 s36, 0x100
	v_and_b32_e32 v11, v11, v17
	v_cndmask_b32_e64 v17, 1, 2, vcc
	v_cmp_gt_u32_e32 vcc, s36, v7
	v_add_u32_e32 v10, v6, v1
	v_cmp_ne_u32_e64 s[34:35], 0, v30
	v_cmp_ne_u32_e64 s[26:27], 0, v18
	;; [unrolled: 1-line block ×13, first 2 shown]
	v_and_b32_e32 v11, v11, v17
	s_mov_b64 s[36:37], -1
	s_barrier
	s_cbranch_vccz .LBB148_346
; %bb.310:
	v_cmp_gt_i16_e32 vcc, 2, v11
	s_and_saveexec_b64 s[36:37], vcc
	s_cbranch_execz .LBB148_345
; %bb.311:
	v_cmp_ne_u16_e32 vcc, 1, v11
	s_mov_b64 s[42:43], 0
	s_and_saveexec_b64 s[40:41], vcc
	s_xor_b64 s[40:41], exec, s[40:41]
	s_cbranch_execz .LBB148_326
; %bb.312:
	s_and_saveexec_b64 s[42:43], s[34:35]
	s_cbranch_execz .LBB148_328
; %bb.313:
	v_sub_u32_e32 v18, v5, v10
	v_mov_b32_e32 v19, 0
	v_lshlrev_b64 v[18:19], 2, v[18:19]
	v_add_co_u32_e32 v18, vcc, v14, v18
	v_addc_co_u32_e32 v19, vcc, v15, v19, vcc
	global_store_dword v[18:19], v73, off
	s_or_b64 exec, exec, s[42:43]
	s_and_saveexec_b64 s[42:43], s[30:31]
	s_cbranch_execnz .LBB148_329
.LBB148_314:
	s_or_b64 exec, exec, s[42:43]
	s_and_saveexec_b64 s[42:43], s[28:29]
	s_cbranch_execz .LBB148_330
.LBB148_315:
	v_sub_u32_e32 v18, v52, v10
	v_mov_b32_e32 v19, 0
	v_lshlrev_b64 v[18:19], 2, v[18:19]
	v_add_co_u32_e32 v18, vcc, v14, v18
	v_addc_co_u32_e32 v19, vcc, v15, v19, vcc
	global_store_dword v[18:19], v71, off
	s_or_b64 exec, exec, s[42:43]
	s_and_saveexec_b64 s[42:43], s[26:27]
	s_cbranch_execnz .LBB148_331
.LBB148_316:
	s_or_b64 exec, exec, s[42:43]
	s_and_saveexec_b64 s[42:43], s[24:25]
	s_cbranch_execz .LBB148_332
.LBB148_317:
	v_sub_u32_e32 v18, v50, v10
	v_mov_b32_e32 v19, 0
	v_lshlrev_b64 v[18:19], 2, v[18:19]
	v_add_co_u32_e32 v18, vcc, v14, v18
	v_addc_co_u32_e32 v19, vcc, v15, v19, vcc
	global_store_dword v[18:19], v69, off
	s_or_b64 exec, exec, s[42:43]
	s_and_saveexec_b64 s[42:43], s[22:23]
	s_cbranch_execnz .LBB148_333
.LBB148_318:
	s_or_b64 exec, exec, s[42:43]
	s_and_saveexec_b64 s[42:43], s[20:21]
	s_cbranch_execz .LBB148_334
.LBB148_319:
	v_sub_u32_e32 v18, v48, v10
	v_mov_b32_e32 v19, 0
	v_lshlrev_b64 v[18:19], 2, v[18:19]
	v_add_co_u32_e32 v18, vcc, v14, v18
	v_addc_co_u32_e32 v19, vcc, v15, v19, vcc
	global_store_dword v[18:19], v67, off
	s_or_b64 exec, exec, s[42:43]
	s_and_saveexec_b64 s[42:43], s[18:19]
	s_cbranch_execnz .LBB148_335
.LBB148_320:
	s_or_b64 exec, exec, s[42:43]
	s_and_saveexec_b64 s[42:43], s[16:17]
	s_cbranch_execz .LBB148_336
.LBB148_321:
	v_sub_u32_e32 v18, v46, v10
	v_mov_b32_e32 v19, 0
	v_lshlrev_b64 v[18:19], 2, v[18:19]
	v_add_co_u32_e32 v18, vcc, v14, v18
	v_addc_co_u32_e32 v19, vcc, v15, v19, vcc
	global_store_dword v[18:19], v65, off
	s_or_b64 exec, exec, s[42:43]
	s_and_saveexec_b64 s[42:43], s[14:15]
	s_cbranch_execnz .LBB148_337
.LBB148_322:
	s_or_b64 exec, exec, s[42:43]
	s_and_saveexec_b64 s[42:43], s[12:13]
	s_cbranch_execz .LBB148_338
.LBB148_323:
	v_sub_u32_e32 v18, v44, v10
	v_mov_b32_e32 v19, 0
	v_lshlrev_b64 v[18:19], 2, v[18:19]
	v_add_co_u32_e32 v18, vcc, v14, v18
	v_addc_co_u32_e32 v19, vcc, v15, v19, vcc
	global_store_dword v[18:19], v63, off
	s_or_b64 exec, exec, s[42:43]
	s_and_saveexec_b64 s[42:43], s[10:11]
	s_cbranch_execnz .LBB148_339
.LBB148_324:
	s_or_b64 exec, exec, s[42:43]
	s_and_saveexec_b64 s[42:43], s[8:9]
	s_cbranch_execz .LBB148_340
.LBB148_325:
	v_sub_u32_e32 v18, v42, v10
	v_mov_b32_e32 v19, 0
	v_lshlrev_b64 v[18:19], 2, v[18:19]
	v_add_co_u32_e32 v18, vcc, v14, v18
	v_addc_co_u32_e32 v19, vcc, v15, v19, vcc
	global_store_dword v[18:19], v60, off
	s_or_b64 exec, exec, s[42:43]
	s_and_saveexec_b64 s[42:43], s[6:7]
	s_cbranch_execnz .LBB148_341
	s_branch .LBB148_342
.LBB148_326:
	s_andn2_saveexec_b64 s[40:41], s[40:41]
	s_cbranch_execz .LBB148_343
.LBB148_327:
	v_sub_u32_e32 v18, v5, v10
	v_mov_b32_e32 v19, 0
	v_lshlrev_b64 v[20:21], 2, v[18:19]
	v_add_co_u32_e32 v20, vcc, v14, v20
	v_addc_co_u32_e32 v21, vcc, v15, v21, vcc
	v_sub_u32_e32 v18, v53, v10
	global_store_dword v[20:21], v73, off
	v_lshlrev_b64 v[20:21], 2, v[18:19]
	v_add_co_u32_e32 v20, vcc, v14, v20
	v_addc_co_u32_e32 v21, vcc, v15, v21, vcc
	v_sub_u32_e32 v18, v52, v10
	global_store_dword v[20:21], v72, off
	;; [unrolled: 5-line block ×12, first 2 shown]
	v_lshlrev_b64 v[20:21], 2, v[18:19]
	v_add_co_u32_e32 v20, vcc, v14, v20
	v_sub_u32_e32 v18, v4, v10
	v_addc_co_u32_e32 v21, vcc, v15, v21, vcc
	v_lshlrev_b64 v[18:19], 2, v[18:19]
	v_add_co_u32_e32 v18, vcc, v14, v18
	v_addc_co_u32_e32 v19, vcc, v15, v19, vcc
	s_or_b64 s[42:43], s[42:43], exec
	global_store_dword v[20:21], v60, off
	global_store_dword v[18:19], v57, off
	s_or_b64 exec, exec, s[40:41]
	s_and_b64 exec, exec, s[42:43]
	s_cbranch_execnz .LBB148_344
	s_branch .LBB148_345
.LBB148_328:
	s_or_b64 exec, exec, s[42:43]
	s_and_saveexec_b64 s[42:43], s[30:31]
	s_cbranch_execz .LBB148_314
.LBB148_329:
	v_sub_u32_e32 v18, v53, v10
	v_mov_b32_e32 v19, 0
	v_lshlrev_b64 v[18:19], 2, v[18:19]
	v_add_co_u32_e32 v18, vcc, v14, v18
	v_addc_co_u32_e32 v19, vcc, v15, v19, vcc
	global_store_dword v[18:19], v72, off
	s_or_b64 exec, exec, s[42:43]
	s_and_saveexec_b64 s[42:43], s[28:29]
	s_cbranch_execnz .LBB148_315
.LBB148_330:
	s_or_b64 exec, exec, s[42:43]
	s_and_saveexec_b64 s[42:43], s[26:27]
	s_cbranch_execz .LBB148_316
.LBB148_331:
	v_sub_u32_e32 v18, v51, v10
	v_mov_b32_e32 v19, 0
	v_lshlrev_b64 v[18:19], 2, v[18:19]
	v_add_co_u32_e32 v18, vcc, v14, v18
	v_addc_co_u32_e32 v19, vcc, v15, v19, vcc
	global_store_dword v[18:19], v70, off
	s_or_b64 exec, exec, s[42:43]
	s_and_saveexec_b64 s[42:43], s[24:25]
	s_cbranch_execnz .LBB148_317
.LBB148_332:
	s_or_b64 exec, exec, s[42:43]
	s_and_saveexec_b64 s[42:43], s[22:23]
	s_cbranch_execz .LBB148_318
.LBB148_333:
	v_sub_u32_e32 v18, v49, v10
	v_mov_b32_e32 v19, 0
	v_lshlrev_b64 v[18:19], 2, v[18:19]
	v_add_co_u32_e32 v18, vcc, v14, v18
	v_addc_co_u32_e32 v19, vcc, v15, v19, vcc
	global_store_dword v[18:19], v68, off
	s_or_b64 exec, exec, s[42:43]
	s_and_saveexec_b64 s[42:43], s[20:21]
	s_cbranch_execnz .LBB148_319
.LBB148_334:
	s_or_b64 exec, exec, s[42:43]
	s_and_saveexec_b64 s[42:43], s[18:19]
	s_cbranch_execz .LBB148_320
.LBB148_335:
	v_sub_u32_e32 v18, v47, v10
	v_mov_b32_e32 v19, 0
	v_lshlrev_b64 v[18:19], 2, v[18:19]
	v_add_co_u32_e32 v18, vcc, v14, v18
	v_addc_co_u32_e32 v19, vcc, v15, v19, vcc
	global_store_dword v[18:19], v66, off
	s_or_b64 exec, exec, s[42:43]
	s_and_saveexec_b64 s[42:43], s[16:17]
	s_cbranch_execnz .LBB148_321
.LBB148_336:
	s_or_b64 exec, exec, s[42:43]
	s_and_saveexec_b64 s[42:43], s[14:15]
	s_cbranch_execz .LBB148_322
.LBB148_337:
	v_sub_u32_e32 v18, v45, v10
	v_mov_b32_e32 v19, 0
	v_lshlrev_b64 v[18:19], 2, v[18:19]
	v_add_co_u32_e32 v18, vcc, v14, v18
	v_addc_co_u32_e32 v19, vcc, v15, v19, vcc
	global_store_dword v[18:19], v64, off
	s_or_b64 exec, exec, s[42:43]
	s_and_saveexec_b64 s[42:43], s[12:13]
	s_cbranch_execnz .LBB148_323
.LBB148_338:
	s_or_b64 exec, exec, s[42:43]
	s_and_saveexec_b64 s[42:43], s[10:11]
	s_cbranch_execz .LBB148_324
.LBB148_339:
	v_sub_u32_e32 v18, v43, v10
	v_mov_b32_e32 v19, 0
	v_lshlrev_b64 v[18:19], 2, v[18:19]
	v_add_co_u32_e32 v18, vcc, v14, v18
	v_addc_co_u32_e32 v19, vcc, v15, v19, vcc
	global_store_dword v[18:19], v61, off
	s_or_b64 exec, exec, s[42:43]
	s_and_saveexec_b64 s[42:43], s[8:9]
	s_cbranch_execnz .LBB148_325
.LBB148_340:
	s_or_b64 exec, exec, s[42:43]
	s_and_saveexec_b64 s[42:43], s[6:7]
	s_cbranch_execz .LBB148_342
.LBB148_341:
	v_sub_u32_e32 v18, v4, v10
	v_mov_b32_e32 v19, 0
	v_lshlrev_b64 v[18:19], 2, v[18:19]
	v_add_co_u32_e32 v18, vcc, v14, v18
	v_addc_co_u32_e32 v19, vcc, v15, v19, vcc
	global_store_dword v[18:19], v57, off
.LBB148_342:
	s_or_b64 exec, exec, s[42:43]
	s_and_b64 s[42:43], s[4:5], exec
	s_andn2_saveexec_b64 s[40:41], s[40:41]
	s_cbranch_execnz .LBB148_327
.LBB148_343:
	s_or_b64 exec, exec, s[40:41]
	s_and_b64 exec, exec, s[42:43]
	s_cbranch_execz .LBB148_345
.LBB148_344:
	v_sub_u32_e32 v18, v3, v10
	v_mov_b32_e32 v19, 0
	v_lshlrev_b64 v[18:19], 2, v[18:19]
	v_add_co_u32_e32 v18, vcc, v14, v18
	v_addc_co_u32_e32 v19, vcc, v15, v19, vcc
	global_store_dword v[18:19], v62, off
.LBB148_345:
	s_or_b64 exec, exec, s[36:37]
	s_mov_b64 s[36:37], 0
.LBB148_346:
	s_and_b64 vcc, exec, s[36:37]
	s_cbranch_vccz .LBB148_398
; %bb.347:
	v_cmp_gt_i16_e32 vcc, 2, v11
	s_and_saveexec_b64 s[36:37], vcc
	s_cbranch_execz .LBB148_382
; %bb.348:
	v_cmp_ne_u16_e32 vcc, 1, v11
	s_mov_b64 s[42:43], 0
	s_and_saveexec_b64 s[40:41], vcc
	s_xor_b64 s[40:41], exec, s[40:41]
	s_cbranch_execz .LBB148_363
; %bb.349:
	s_and_saveexec_b64 s[42:43], s[34:35]
	s_cbranch_execz .LBB148_365
; %bb.350:
	v_sub_u32_e32 v5, v5, v10
	v_lshlrev_b32_e32 v5, 2, v5
	ds_write_b32 v5, v73
	s_or_b64 exec, exec, s[42:43]
	s_and_saveexec_b64 s[34:35], s[30:31]
	s_cbranch_execnz .LBB148_366
.LBB148_351:
	s_or_b64 exec, exec, s[34:35]
	s_and_saveexec_b64 s[30:31], s[28:29]
	s_cbranch_execz .LBB148_367
.LBB148_352:
	v_sub_u32_e32 v5, v52, v10
	v_lshlrev_b32_e32 v5, 2, v5
	ds_write_b32 v5, v71
	s_or_b64 exec, exec, s[30:31]
	s_and_saveexec_b64 s[28:29], s[26:27]
	s_cbranch_execnz .LBB148_368
.LBB148_353:
	s_or_b64 exec, exec, s[28:29]
	s_and_saveexec_b64 s[26:27], s[24:25]
	s_cbranch_execz .LBB148_369
.LBB148_354:
	v_sub_u32_e32 v5, v50, v10
	v_lshlrev_b32_e32 v5, 2, v5
	ds_write_b32 v5, v69
	s_or_b64 exec, exec, s[26:27]
	s_and_saveexec_b64 s[24:25], s[22:23]
	s_cbranch_execnz .LBB148_370
.LBB148_355:
	s_or_b64 exec, exec, s[24:25]
	s_and_saveexec_b64 s[22:23], s[20:21]
	s_cbranch_execz .LBB148_371
.LBB148_356:
	v_sub_u32_e32 v5, v48, v10
	v_lshlrev_b32_e32 v5, 2, v5
	ds_write_b32 v5, v67
	s_or_b64 exec, exec, s[22:23]
	s_and_saveexec_b64 s[20:21], s[18:19]
	s_cbranch_execnz .LBB148_372
.LBB148_357:
	s_or_b64 exec, exec, s[20:21]
	s_and_saveexec_b64 s[18:19], s[16:17]
	s_cbranch_execz .LBB148_373
.LBB148_358:
	v_sub_u32_e32 v5, v46, v10
	v_lshlrev_b32_e32 v5, 2, v5
	ds_write_b32 v5, v65
	s_or_b64 exec, exec, s[18:19]
	s_and_saveexec_b64 s[16:17], s[14:15]
	s_cbranch_execnz .LBB148_374
.LBB148_359:
	s_or_b64 exec, exec, s[16:17]
	s_and_saveexec_b64 s[14:15], s[12:13]
	s_cbranch_execz .LBB148_375
.LBB148_360:
	v_sub_u32_e32 v5, v44, v10
	v_lshlrev_b32_e32 v5, 2, v5
	ds_write_b32 v5, v63
	s_or_b64 exec, exec, s[14:15]
	s_and_saveexec_b64 s[12:13], s[10:11]
	s_cbranch_execnz .LBB148_376
.LBB148_361:
	s_or_b64 exec, exec, s[12:13]
	s_and_saveexec_b64 s[10:11], s[8:9]
	s_cbranch_execz .LBB148_377
.LBB148_362:
	v_sub_u32_e32 v5, v42, v10
	v_lshlrev_b32_e32 v5, 2, v5
	ds_write_b32 v5, v60
	s_or_b64 exec, exec, s[10:11]
	s_and_saveexec_b64 s[8:9], s[6:7]
	s_cbranch_execnz .LBB148_378
	s_branch .LBB148_379
.LBB148_363:
	s_andn2_saveexec_b64 s[4:5], s[40:41]
	s_cbranch_execz .LBB148_380
.LBB148_364:
	v_sub_u32_e32 v5, v5, v10
	v_lshlrev_b32_e32 v5, 2, v5
	ds_write_b32 v5, v73
	v_sub_u32_e32 v5, v53, v10
	v_lshlrev_b32_e32 v5, 2, v5
	ds_write_b32 v5, v72
	;; [unrolled: 3-line block ×12, first 2 shown]
	v_sub_u32_e32 v5, v42, v10
	v_sub_u32_e32 v4, v4, v10
	v_lshlrev_b32_e32 v5, 2, v5
	v_lshlrev_b32_e32 v4, 2, v4
	s_or_b64 s[42:43], s[42:43], exec
	ds_write_b32 v5, v60
	ds_write_b32 v4, v57
	s_or_b64 exec, exec, s[4:5]
	s_and_b64 exec, exec, s[42:43]
	s_cbranch_execnz .LBB148_381
	s_branch .LBB148_382
.LBB148_365:
	s_or_b64 exec, exec, s[42:43]
	s_and_saveexec_b64 s[34:35], s[30:31]
	s_cbranch_execz .LBB148_351
.LBB148_366:
	v_sub_u32_e32 v5, v53, v10
	v_lshlrev_b32_e32 v5, 2, v5
	ds_write_b32 v5, v72
	s_or_b64 exec, exec, s[34:35]
	s_and_saveexec_b64 s[30:31], s[28:29]
	s_cbranch_execnz .LBB148_352
.LBB148_367:
	s_or_b64 exec, exec, s[30:31]
	s_and_saveexec_b64 s[28:29], s[26:27]
	s_cbranch_execz .LBB148_353
.LBB148_368:
	v_sub_u32_e32 v5, v51, v10
	v_lshlrev_b32_e32 v5, 2, v5
	ds_write_b32 v5, v70
	s_or_b64 exec, exec, s[28:29]
	s_and_saveexec_b64 s[26:27], s[24:25]
	s_cbranch_execnz .LBB148_354
.LBB148_369:
	s_or_b64 exec, exec, s[26:27]
	s_and_saveexec_b64 s[24:25], s[22:23]
	s_cbranch_execz .LBB148_355
.LBB148_370:
	v_sub_u32_e32 v5, v49, v10
	v_lshlrev_b32_e32 v5, 2, v5
	ds_write_b32 v5, v68
	s_or_b64 exec, exec, s[24:25]
	s_and_saveexec_b64 s[22:23], s[20:21]
	s_cbranch_execnz .LBB148_356
.LBB148_371:
	s_or_b64 exec, exec, s[22:23]
	s_and_saveexec_b64 s[20:21], s[18:19]
	s_cbranch_execz .LBB148_357
.LBB148_372:
	v_sub_u32_e32 v5, v47, v10
	v_lshlrev_b32_e32 v5, 2, v5
	ds_write_b32 v5, v66
	s_or_b64 exec, exec, s[20:21]
	s_and_saveexec_b64 s[18:19], s[16:17]
	s_cbranch_execnz .LBB148_358
.LBB148_373:
	s_or_b64 exec, exec, s[18:19]
	s_and_saveexec_b64 s[16:17], s[14:15]
	s_cbranch_execz .LBB148_359
.LBB148_374:
	v_sub_u32_e32 v5, v45, v10
	v_lshlrev_b32_e32 v5, 2, v5
	ds_write_b32 v5, v64
	s_or_b64 exec, exec, s[16:17]
	s_and_saveexec_b64 s[14:15], s[12:13]
	s_cbranch_execnz .LBB148_360
.LBB148_375:
	s_or_b64 exec, exec, s[14:15]
	s_and_saveexec_b64 s[12:13], s[10:11]
	s_cbranch_execz .LBB148_361
.LBB148_376:
	v_sub_u32_e32 v5, v43, v10
	v_lshlrev_b32_e32 v5, 2, v5
	ds_write_b32 v5, v61
	s_or_b64 exec, exec, s[12:13]
	s_and_saveexec_b64 s[10:11], s[8:9]
	s_cbranch_execnz .LBB148_362
.LBB148_377:
	s_or_b64 exec, exec, s[10:11]
	s_and_saveexec_b64 s[8:9], s[6:7]
	s_cbranch_execz .LBB148_379
.LBB148_378:
	v_sub_u32_e32 v4, v4, v10
	v_lshlrev_b32_e32 v4, 2, v4
	ds_write_b32 v4, v57
.LBB148_379:
	s_or_b64 exec, exec, s[8:9]
	s_and_b64 s[42:43], s[4:5], exec
                                        ; implicit-def: $vgpr57
                                        ; implicit-def: $vgpr60
                                        ; implicit-def: $vgpr61
                                        ; implicit-def: $vgpr63
                                        ; implicit-def: $vgpr64
                                        ; implicit-def: $vgpr65
                                        ; implicit-def: $vgpr66
                                        ; implicit-def: $vgpr67
                                        ; implicit-def: $vgpr68
                                        ; implicit-def: $vgpr69
                                        ; implicit-def: $vgpr70
                                        ; implicit-def: $vgpr71
                                        ; implicit-def: $vgpr72
                                        ; implicit-def: $vgpr73
                                        ; implicit-def: $vgpr53
                                        ; implicit-def: $vgpr52
                                        ; implicit-def: $vgpr51
                                        ; implicit-def: $vgpr50
                                        ; implicit-def: $vgpr49
                                        ; implicit-def: $vgpr48
                                        ; implicit-def: $vgpr47
                                        ; implicit-def: $vgpr46
                                        ; implicit-def: $vgpr45
                                        ; implicit-def: $vgpr44
                                        ; implicit-def: $vgpr43
                                        ; implicit-def: $vgpr42
                                        ; implicit-def: $vgpr4
	s_andn2_saveexec_b64 s[4:5], s[40:41]
	s_cbranch_execnz .LBB148_364
.LBB148_380:
	s_or_b64 exec, exec, s[4:5]
	s_and_b64 exec, exec, s[42:43]
	s_cbranch_execz .LBB148_382
.LBB148_381:
	v_sub_u32_e32 v3, v3, v10
	v_lshlrev_b32_e32 v3, 2, v3
	ds_write_b32 v3, v62
.LBB148_382:
	s_or_b64 exec, exec, s[36:37]
	v_cmp_lt_u32_e32 vcc, v0, v7
	s_waitcnt lgkmcnt(0)
	s_barrier
	s_and_saveexec_b64 s[6:7], vcc
	s_cbranch_execz .LBB148_397
; %bb.383:
	v_add_u32_e32 v5, v2, v16
	v_xad_u32 v3, v0, -1, v5
	v_sub_u32_e32 v3, v3, v1
	s_movk_i32 s4, 0x1900
	v_cmp_gt_u32_e64 s[8:9], s4, v3
	s_movk_i32 s4, 0x18ff
	v_cmp_lt_u32_e32 vcc, s4, v3
	v_mov_b32_e32 v4, v0
	s_and_saveexec_b64 s[10:11], vcc
	s_cbranch_execz .LBB148_394
; %bb.384:
	v_sub_u32_e32 v4, v0, v5
	v_add_u32_e32 v1, v4, v1
	v_or_b32_e32 v1, 0xff, v1
	v_cmp_ge_u32_e32 vcc, v1, v0
	s_mov_b64 s[4:5], -1
	v_mov_b32_e32 v4, v0
	s_and_saveexec_b64 s[12:13], vcc
	s_cbranch_execz .LBB148_393
; %bb.385:
	v_lshrrev_b32_e32 v3, 8, v3
	v_add_u32_e32 v4, -1, v3
	v_or_b32_e32 v1, 0x100, v0
	v_lshrrev_b32_e32 v5, 1, v4
	v_add_u32_e32 v16, 1, v5
	v_cmp_lt_u32_e32 vcc, 13, v4
	v_mov_b32_e32 v19, 0
	v_pk_mov_b32 v[4:5], v[0:1], v[0:1] op_sel:[0,1]
	s_and_saveexec_b64 s[14:15], vcc
	s_cbranch_execz .LBB148_389
; %bb.386:
	v_and_b32_e32 v17, -8, v16
	v_lshlrev_b32_e32 v18, 2, v0
	s_mov_b32 s18, 0
	s_mov_b64 s[16:17], 0
	v_mov_b32_e32 v11, 0
	v_pk_mov_b32 v[4:5], v[0:1], v[0:1] op_sel:[0,1]
.LBB148_387:                            ; =>This Inner Loop Header: Depth=1
	v_mov_b32_e32 v10, v4
	v_add_u32_e32 v17, -8, v17
	v_lshlrev_b64 v[50:51], 2, v[10:11]
	v_mov_b32_e32 v10, v5
	ds_read2st64_b32 v[20:21], v18 offset1:4
	s_add_i32 s18, s18, 16
	v_cmp_eq_u32_e32 vcc, 0, v17
	v_lshlrev_b64 v[52:53], 2, v[10:11]
	v_add_u32_e32 v10, 0x200, v4
	s_or_b64 s[16:17], vcc, s[16:17]
	v_add_co_u32_e32 v52, vcc, v14, v52
	v_add_u32_e32 v22, 0x200, v5
	v_mov_b32_e32 v23, v11
	ds_read2st64_b32 v[24:25], v18 offset0:8 offset1:12
	ds_read2st64_b32 v[28:29], v18 offset0:16 offset1:20
	v_add_co_u32_e64 v50, s[4:5], v14, v50
	v_addc_co_u32_e32 v53, vcc, v15, v53, vcc
	v_lshlrev_b64 v[54:55], 2, v[10:11]
	v_lshlrev_b64 v[22:23], 2, v[22:23]
	v_addc_co_u32_e64 v51, s[4:5], v15, v51, s[4:5]
	v_add_u32_e32 v10, 0x400, v4
	v_add_co_u32_e32 v54, vcc, v14, v54
	v_add_u32_e32 v26, 0x400, v5
	v_mov_b32_e32 v27, v11
	ds_read2st64_b32 v[32:33], v18 offset0:24 offset1:28
	v_add_co_u32_e64 v22, s[4:5], v14, v22
	v_addc_co_u32_e32 v55, vcc, v15, v55, vcc
	v_lshlrev_b64 v[58:59], 2, v[10:11]
	ds_read2st64_b32 v[36:37], v18 offset0:32 offset1:36
	ds_read2st64_b32 v[40:41], v18 offset0:40 offset1:44
	;; [unrolled: 1-line block ×4, first 2 shown]
	v_lshlrev_b64 v[26:27], 2, v[26:27]
	v_addc_co_u32_e64 v23, s[4:5], v15, v23, s[4:5]
	v_add_u32_e32 v10, 0x600, v4
	s_waitcnt lgkmcnt(7)
	global_store_dword v[50:51], v20, off
	global_store_dword v[52:53], v21, off
	s_waitcnt lgkmcnt(6)
	global_store_dword v[54:55], v24, off
	global_store_dword v[22:23], v25, off
	v_add_co_u32_e32 v20, vcc, v14, v58
	v_add_u32_e32 v30, 0x600, v5
	v_mov_b32_e32 v31, v11
	v_add_co_u32_e64 v26, s[4:5], v14, v26
	v_addc_co_u32_e32 v21, vcc, v15, v59, vcc
	v_lshlrev_b64 v[22:23], 2, v[10:11]
	v_lshlrev_b64 v[30:31], 2, v[30:31]
	v_addc_co_u32_e64 v27, s[4:5], v15, v27, s[4:5]
	v_add_u32_e32 v10, 0x800, v4
	s_waitcnt lgkmcnt(5)
	global_store_dword v[20:21], v28, off
	global_store_dword v[26:27], v29, off
	v_add_co_u32_e32 v20, vcc, v14, v22
	v_add_u32_e32 v34, 0x800, v5
	v_mov_b32_e32 v35, v11
	v_add_co_u32_e64 v30, s[4:5], v14, v30
	v_addc_co_u32_e32 v21, vcc, v15, v23, vcc
	v_lshlrev_b64 v[22:23], 2, v[10:11]
	v_lshlrev_b64 v[34:35], 2, v[34:35]
	v_addc_co_u32_e64 v31, s[4:5], v15, v31, s[4:5]
	v_add_u32_e32 v10, 0xa00, v4
	;; [unrolled: 12-line block ×4, first 2 shown]
	s_waitcnt lgkmcnt(2)
	global_store_dword v[20:21], v40, off
	global_store_dword v[38:39], v41, off
	v_add_co_u32_e32 v20, vcc, v14, v22
	v_add_u32_e32 v46, 0xe00, v5
	v_mov_b32_e32 v47, v11
	v_add_co_u32_e64 v42, s[4:5], v14, v42
	v_addc_co_u32_e32 v21, vcc, v15, v23, vcc
	v_lshlrev_b64 v[22:23], 2, v[10:11]
	v_lshlrev_b64 v[46:47], 2, v[46:47]
	v_addc_co_u32_e64 v43, s[4:5], v15, v43, s[4:5]
	s_waitcnt lgkmcnt(1)
	global_store_dword v[20:21], v44, off
	global_store_dword v[42:43], v45, off
	v_add_co_u32_e32 v20, vcc, v14, v22
	v_add_u32_e32 v18, 0x4000, v18
	v_add_u32_e32 v5, 0x1000, v5
	v_mov_b32_e32 v19, s18
	v_add_co_u32_e64 v46, s[4:5], v14, v46
	v_add_u32_e32 v4, 0x1000, v4
	v_addc_co_u32_e32 v21, vcc, v15, v23, vcc
	v_addc_co_u32_e64 v47, s[4:5], v15, v47, s[4:5]
	s_waitcnt lgkmcnt(0)
	global_store_dword v[20:21], v48, off
	global_store_dword v[46:47], v49, off
	s_andn2_b64 exec, exec, s[16:17]
	s_cbranch_execnz .LBB148_387
; %bb.388:
	s_or_b64 exec, exec, s[16:17]
.LBB148_389:
	s_or_b64 exec, exec, s[14:15]
	v_and_b32_e32 v1, 7, v16
	v_cmp_ne_u32_e32 vcc, 0, v1
	s_and_saveexec_b64 s[14:15], vcc
	s_cbranch_execz .LBB148_392
; %bb.390:
	v_lshlrev_b32_e32 v10, 2, v0
	v_lshl_or_b32 v16, v19, 10, v10
	s_mov_b64 s[16:17], 0
	v_mov_b32_e32 v11, 0
.LBB148_391:                            ; =>This Inner Loop Header: Depth=1
	ds_read2st64_b32 v[18:19], v16 offset1:4
	v_mov_b32_e32 v10, v4
	v_add_u32_e32 v1, -1, v1
	v_lshlrev_b64 v[20:21], 2, v[10:11]
	v_mov_b32_e32 v10, v5
	v_cmp_eq_u32_e32 vcc, 0, v1
	v_add_co_u32_e64 v20, s[4:5], v14, v20
	v_lshlrev_b64 v[22:23], 2, v[10:11]
	v_add_u32_e32 v4, 0x200, v4
	v_add_u32_e32 v16, 0x800, v16
	;; [unrolled: 1-line block ×3, first 2 shown]
	v_addc_co_u32_e64 v21, s[4:5], v15, v21, s[4:5]
	s_or_b64 s[16:17], vcc, s[16:17]
	v_add_co_u32_e32 v22, vcc, v14, v22
	v_addc_co_u32_e32 v23, vcc, v15, v23, vcc
	s_waitcnt lgkmcnt(0)
	global_store_dword v[20:21], v18, off
	global_store_dword v[22:23], v19, off
	s_andn2_b64 exec, exec, s[16:17]
	s_cbranch_execnz .LBB148_391
.LBB148_392:
	s_or_b64 exec, exec, s[14:15]
	v_add_u32_e32 v1, 1, v3
	v_and_b32_e32 v3, 0x1fffffe, v1
	v_cmp_ne_u32_e32 vcc, v1, v3
	v_lshl_or_b32 v4, v3, 8, v0
	s_orn2_b64 s[4:5], vcc, exec
.LBB148_393:
	s_or_b64 exec, exec, s[12:13]
	s_andn2_b64 s[8:9], s[8:9], exec
	s_and_b64 s[4:5], s[4:5], exec
	s_or_b64 s[8:9], s[8:9], s[4:5]
.LBB148_394:
	s_or_b64 exec, exec, s[10:11]
	s_and_b64 exec, exec, s[8:9]
	s_cbranch_execz .LBB148_397
; %bb.395:
	v_lshlrev_b32_e32 v1, 2, v4
	s_mov_b64 s[4:5], 0
	v_mov_b32_e32 v5, 0
.LBB148_396:                            ; =>This Inner Loop Header: Depth=1
	v_lshlrev_b64 v[10:11], 2, v[4:5]
	ds_read_b32 v3, v1
	v_add_co_u32_e32 v10, vcc, v14, v10
	v_add_u32_e32 v4, 0x100, v4
	v_addc_co_u32_e32 v11, vcc, v15, v11, vcc
	v_cmp_ge_u32_e32 vcc, v4, v7
	v_add_u32_e32 v1, 0x400, v1
	s_or_b64 s[4:5], vcc, s[4:5]
	s_waitcnt lgkmcnt(0)
	global_store_dword v[10:11], v3, off
	s_andn2_b64 exec, exec, s[4:5]
	s_cbranch_execnz .LBB148_396
.LBB148_397:
	s_or_b64 exec, exec, s[6:7]
.LBB148_398:
	s_movk_i32 s4, 0xff
	v_cmp_eq_u32_e32 vcc, s4, v0
	s_and_b64 s[4:5], vcc, s[38:39]
	s_and_b64 exec, exec, s[4:5]
	s_cbranch_execz .LBB148_401
; %bb.399:
	v_add_co_u32_e32 v0, vcc, v2, v6
	v_addc_co_u32_e64 v1, s[4:5], 0, 0, vcc
	v_add_co_u32_e32 v0, vcc, v0, v8
	v_mov_b32_e32 v3, 0
	v_addc_co_u32_e32 v1, vcc, v1, v9, vcc
	s_cmpk_lg_i32 s33, 0xf00
	global_store_dwordx2 v3, v[0:1], s[54:55]
	s_cbranch_scc1 .LBB148_401
; %bb.400:
	v_lshlrev_b64 v[0:1], 2, v[2:3]
	v_add_co_u32_e32 v0, vcc, v12, v0
	v_addc_co_u32_e32 v1, vcc, v13, v1, vcc
	global_store_dword v[0:1], v56, off offset:-4
	s_endpgm
.LBB148_401:
	s_endpgm
	.section	.rodata,"a",@progbits
	.p2align	6, 0x0
	.amdhsa_kernel _ZN7rocprim17ROCPRIM_400000_NS6detail17trampoline_kernelINS0_14default_configENS1_29reduce_by_key_config_selectorIffN6thrust23THRUST_200600_302600_NS4plusIfEEEEZZNS1_33reduce_by_key_impl_wrapped_configILNS1_25lookback_scan_determinismE1ES3_S9_NS6_6detail15normal_iteratorINS6_10device_ptrIfEEEESG_SG_SG_PmS8_22is_equal_div_10_reduceIfEEE10hipError_tPvRmT2_T3_mT4_T5_T6_T7_T8_P12ihipStream_tbENKUlT_T0_E_clISt17integral_constantIbLb1EES10_IbLb0EEEEDaSW_SX_EUlSW_E_NS1_11comp_targetILNS1_3genE4ELNS1_11target_archE910ELNS1_3gpuE8ELNS1_3repE0EEENS1_30default_config_static_selectorELNS0_4arch9wavefront6targetE1EEEvT1_
		.amdhsa_group_segment_fixed_size 15360
		.amdhsa_private_segment_fixed_size 48
		.amdhsa_kernarg_size 120
		.amdhsa_user_sgpr_count 8
		.amdhsa_user_sgpr_private_segment_buffer 1
		.amdhsa_user_sgpr_dispatch_ptr 0
		.amdhsa_user_sgpr_queue_ptr 0
		.amdhsa_user_sgpr_kernarg_segment_ptr 1
		.amdhsa_user_sgpr_dispatch_id 0
		.amdhsa_user_sgpr_flat_scratch_init 1
		.amdhsa_user_sgpr_kernarg_preload_length 0
		.amdhsa_user_sgpr_kernarg_preload_offset 0
		.amdhsa_user_sgpr_private_segment_size 0
		.amdhsa_uses_dynamic_stack 0
		.amdhsa_system_sgpr_private_segment_wavefront_offset 1
		.amdhsa_system_sgpr_workgroup_id_x 1
		.amdhsa_system_sgpr_workgroup_id_y 0
		.amdhsa_system_sgpr_workgroup_id_z 0
		.amdhsa_system_sgpr_workgroup_info 0
		.amdhsa_system_vgpr_workitem_id 0
		.amdhsa_next_free_vgpr 108
		.amdhsa_next_free_sgpr 74
		.amdhsa_accum_offset 108
		.amdhsa_reserve_vcc 1
		.amdhsa_reserve_flat_scratch 1
		.amdhsa_float_round_mode_32 0
		.amdhsa_float_round_mode_16_64 0
		.amdhsa_float_denorm_mode_32 3
		.amdhsa_float_denorm_mode_16_64 3
		.amdhsa_dx10_clamp 1
		.amdhsa_ieee_mode 1
		.amdhsa_fp16_overflow 0
		.amdhsa_tg_split 0
		.amdhsa_exception_fp_ieee_invalid_op 0
		.amdhsa_exception_fp_denorm_src 0
		.amdhsa_exception_fp_ieee_div_zero 0
		.amdhsa_exception_fp_ieee_overflow 0
		.amdhsa_exception_fp_ieee_underflow 0
		.amdhsa_exception_fp_ieee_inexact 0
		.amdhsa_exception_int_div_zero 0
	.end_amdhsa_kernel
	.section	.text._ZN7rocprim17ROCPRIM_400000_NS6detail17trampoline_kernelINS0_14default_configENS1_29reduce_by_key_config_selectorIffN6thrust23THRUST_200600_302600_NS4plusIfEEEEZZNS1_33reduce_by_key_impl_wrapped_configILNS1_25lookback_scan_determinismE1ES3_S9_NS6_6detail15normal_iteratorINS6_10device_ptrIfEEEESG_SG_SG_PmS8_22is_equal_div_10_reduceIfEEE10hipError_tPvRmT2_T3_mT4_T5_T6_T7_T8_P12ihipStream_tbENKUlT_T0_E_clISt17integral_constantIbLb1EES10_IbLb0EEEEDaSW_SX_EUlSW_E_NS1_11comp_targetILNS1_3genE4ELNS1_11target_archE910ELNS1_3gpuE8ELNS1_3repE0EEENS1_30default_config_static_selectorELNS0_4arch9wavefront6targetE1EEEvT1_,"axG",@progbits,_ZN7rocprim17ROCPRIM_400000_NS6detail17trampoline_kernelINS0_14default_configENS1_29reduce_by_key_config_selectorIffN6thrust23THRUST_200600_302600_NS4plusIfEEEEZZNS1_33reduce_by_key_impl_wrapped_configILNS1_25lookback_scan_determinismE1ES3_S9_NS6_6detail15normal_iteratorINS6_10device_ptrIfEEEESG_SG_SG_PmS8_22is_equal_div_10_reduceIfEEE10hipError_tPvRmT2_T3_mT4_T5_T6_T7_T8_P12ihipStream_tbENKUlT_T0_E_clISt17integral_constantIbLb1EES10_IbLb0EEEEDaSW_SX_EUlSW_E_NS1_11comp_targetILNS1_3genE4ELNS1_11target_archE910ELNS1_3gpuE8ELNS1_3repE0EEENS1_30default_config_static_selectorELNS0_4arch9wavefront6targetE1EEEvT1_,comdat
.Lfunc_end148:
	.size	_ZN7rocprim17ROCPRIM_400000_NS6detail17trampoline_kernelINS0_14default_configENS1_29reduce_by_key_config_selectorIffN6thrust23THRUST_200600_302600_NS4plusIfEEEEZZNS1_33reduce_by_key_impl_wrapped_configILNS1_25lookback_scan_determinismE1ES3_S9_NS6_6detail15normal_iteratorINS6_10device_ptrIfEEEESG_SG_SG_PmS8_22is_equal_div_10_reduceIfEEE10hipError_tPvRmT2_T3_mT4_T5_T6_T7_T8_P12ihipStream_tbENKUlT_T0_E_clISt17integral_constantIbLb1EES10_IbLb0EEEEDaSW_SX_EUlSW_E_NS1_11comp_targetILNS1_3genE4ELNS1_11target_archE910ELNS1_3gpuE8ELNS1_3repE0EEENS1_30default_config_static_selectorELNS0_4arch9wavefront6targetE1EEEvT1_, .Lfunc_end148-_ZN7rocprim17ROCPRIM_400000_NS6detail17trampoline_kernelINS0_14default_configENS1_29reduce_by_key_config_selectorIffN6thrust23THRUST_200600_302600_NS4plusIfEEEEZZNS1_33reduce_by_key_impl_wrapped_configILNS1_25lookback_scan_determinismE1ES3_S9_NS6_6detail15normal_iteratorINS6_10device_ptrIfEEEESG_SG_SG_PmS8_22is_equal_div_10_reduceIfEEE10hipError_tPvRmT2_T3_mT4_T5_T6_T7_T8_P12ihipStream_tbENKUlT_T0_E_clISt17integral_constantIbLb1EES10_IbLb0EEEEDaSW_SX_EUlSW_E_NS1_11comp_targetILNS1_3genE4ELNS1_11target_archE910ELNS1_3gpuE8ELNS1_3repE0EEENS1_30default_config_static_selectorELNS0_4arch9wavefront6targetE1EEEvT1_
                                        ; -- End function
	.section	.AMDGPU.csdata,"",@progbits
; Kernel info:
; codeLenInByte = 20636
; NumSgprs: 80
; NumVgprs: 108
; NumAgprs: 0
; TotalNumVgprs: 108
; ScratchSize: 48
; MemoryBound: 0
; FloatMode: 240
; IeeeMode: 1
; LDSByteSize: 15360 bytes/workgroup (compile time only)
; SGPRBlocks: 9
; VGPRBlocks: 13
; NumSGPRsForWavesPerEU: 80
; NumVGPRsForWavesPerEU: 108
; AccumOffset: 108
; Occupancy: 4
; WaveLimiterHint : 1
; COMPUTE_PGM_RSRC2:SCRATCH_EN: 1
; COMPUTE_PGM_RSRC2:USER_SGPR: 8
; COMPUTE_PGM_RSRC2:TRAP_HANDLER: 0
; COMPUTE_PGM_RSRC2:TGID_X_EN: 1
; COMPUTE_PGM_RSRC2:TGID_Y_EN: 0
; COMPUTE_PGM_RSRC2:TGID_Z_EN: 0
; COMPUTE_PGM_RSRC2:TIDIG_COMP_CNT: 0
; COMPUTE_PGM_RSRC3_GFX90A:ACCUM_OFFSET: 26
; COMPUTE_PGM_RSRC3_GFX90A:TG_SPLIT: 0
	.section	.text._ZN7rocprim17ROCPRIM_400000_NS6detail17trampoline_kernelINS0_14default_configENS1_29reduce_by_key_config_selectorIffN6thrust23THRUST_200600_302600_NS4plusIfEEEEZZNS1_33reduce_by_key_impl_wrapped_configILNS1_25lookback_scan_determinismE1ES3_S9_NS6_6detail15normal_iteratorINS6_10device_ptrIfEEEESG_SG_SG_PmS8_22is_equal_div_10_reduceIfEEE10hipError_tPvRmT2_T3_mT4_T5_T6_T7_T8_P12ihipStream_tbENKUlT_T0_E_clISt17integral_constantIbLb1EES10_IbLb0EEEEDaSW_SX_EUlSW_E_NS1_11comp_targetILNS1_3genE3ELNS1_11target_archE908ELNS1_3gpuE7ELNS1_3repE0EEENS1_30default_config_static_selectorELNS0_4arch9wavefront6targetE1EEEvT1_,"axG",@progbits,_ZN7rocprim17ROCPRIM_400000_NS6detail17trampoline_kernelINS0_14default_configENS1_29reduce_by_key_config_selectorIffN6thrust23THRUST_200600_302600_NS4plusIfEEEEZZNS1_33reduce_by_key_impl_wrapped_configILNS1_25lookback_scan_determinismE1ES3_S9_NS6_6detail15normal_iteratorINS6_10device_ptrIfEEEESG_SG_SG_PmS8_22is_equal_div_10_reduceIfEEE10hipError_tPvRmT2_T3_mT4_T5_T6_T7_T8_P12ihipStream_tbENKUlT_T0_E_clISt17integral_constantIbLb1EES10_IbLb0EEEEDaSW_SX_EUlSW_E_NS1_11comp_targetILNS1_3genE3ELNS1_11target_archE908ELNS1_3gpuE7ELNS1_3repE0EEENS1_30default_config_static_selectorELNS0_4arch9wavefront6targetE1EEEvT1_,comdat
	.protected	_ZN7rocprim17ROCPRIM_400000_NS6detail17trampoline_kernelINS0_14default_configENS1_29reduce_by_key_config_selectorIffN6thrust23THRUST_200600_302600_NS4plusIfEEEEZZNS1_33reduce_by_key_impl_wrapped_configILNS1_25lookback_scan_determinismE1ES3_S9_NS6_6detail15normal_iteratorINS6_10device_ptrIfEEEESG_SG_SG_PmS8_22is_equal_div_10_reduceIfEEE10hipError_tPvRmT2_T3_mT4_T5_T6_T7_T8_P12ihipStream_tbENKUlT_T0_E_clISt17integral_constantIbLb1EES10_IbLb0EEEEDaSW_SX_EUlSW_E_NS1_11comp_targetILNS1_3genE3ELNS1_11target_archE908ELNS1_3gpuE7ELNS1_3repE0EEENS1_30default_config_static_selectorELNS0_4arch9wavefront6targetE1EEEvT1_ ; -- Begin function _ZN7rocprim17ROCPRIM_400000_NS6detail17trampoline_kernelINS0_14default_configENS1_29reduce_by_key_config_selectorIffN6thrust23THRUST_200600_302600_NS4plusIfEEEEZZNS1_33reduce_by_key_impl_wrapped_configILNS1_25lookback_scan_determinismE1ES3_S9_NS6_6detail15normal_iteratorINS6_10device_ptrIfEEEESG_SG_SG_PmS8_22is_equal_div_10_reduceIfEEE10hipError_tPvRmT2_T3_mT4_T5_T6_T7_T8_P12ihipStream_tbENKUlT_T0_E_clISt17integral_constantIbLb1EES10_IbLb0EEEEDaSW_SX_EUlSW_E_NS1_11comp_targetILNS1_3genE3ELNS1_11target_archE908ELNS1_3gpuE7ELNS1_3repE0EEENS1_30default_config_static_selectorELNS0_4arch9wavefront6targetE1EEEvT1_
	.globl	_ZN7rocprim17ROCPRIM_400000_NS6detail17trampoline_kernelINS0_14default_configENS1_29reduce_by_key_config_selectorIffN6thrust23THRUST_200600_302600_NS4plusIfEEEEZZNS1_33reduce_by_key_impl_wrapped_configILNS1_25lookback_scan_determinismE1ES3_S9_NS6_6detail15normal_iteratorINS6_10device_ptrIfEEEESG_SG_SG_PmS8_22is_equal_div_10_reduceIfEEE10hipError_tPvRmT2_T3_mT4_T5_T6_T7_T8_P12ihipStream_tbENKUlT_T0_E_clISt17integral_constantIbLb1EES10_IbLb0EEEEDaSW_SX_EUlSW_E_NS1_11comp_targetILNS1_3genE3ELNS1_11target_archE908ELNS1_3gpuE7ELNS1_3repE0EEENS1_30default_config_static_selectorELNS0_4arch9wavefront6targetE1EEEvT1_
	.p2align	8
	.type	_ZN7rocprim17ROCPRIM_400000_NS6detail17trampoline_kernelINS0_14default_configENS1_29reduce_by_key_config_selectorIffN6thrust23THRUST_200600_302600_NS4plusIfEEEEZZNS1_33reduce_by_key_impl_wrapped_configILNS1_25lookback_scan_determinismE1ES3_S9_NS6_6detail15normal_iteratorINS6_10device_ptrIfEEEESG_SG_SG_PmS8_22is_equal_div_10_reduceIfEEE10hipError_tPvRmT2_T3_mT4_T5_T6_T7_T8_P12ihipStream_tbENKUlT_T0_E_clISt17integral_constantIbLb1EES10_IbLb0EEEEDaSW_SX_EUlSW_E_NS1_11comp_targetILNS1_3genE3ELNS1_11target_archE908ELNS1_3gpuE7ELNS1_3repE0EEENS1_30default_config_static_selectorELNS0_4arch9wavefront6targetE1EEEvT1_,@function
_ZN7rocprim17ROCPRIM_400000_NS6detail17trampoline_kernelINS0_14default_configENS1_29reduce_by_key_config_selectorIffN6thrust23THRUST_200600_302600_NS4plusIfEEEEZZNS1_33reduce_by_key_impl_wrapped_configILNS1_25lookback_scan_determinismE1ES3_S9_NS6_6detail15normal_iteratorINS6_10device_ptrIfEEEESG_SG_SG_PmS8_22is_equal_div_10_reduceIfEEE10hipError_tPvRmT2_T3_mT4_T5_T6_T7_T8_P12ihipStream_tbENKUlT_T0_E_clISt17integral_constantIbLb1EES10_IbLb0EEEEDaSW_SX_EUlSW_E_NS1_11comp_targetILNS1_3genE3ELNS1_11target_archE908ELNS1_3gpuE7ELNS1_3repE0EEENS1_30default_config_static_selectorELNS0_4arch9wavefront6targetE1EEEvT1_: ; @_ZN7rocprim17ROCPRIM_400000_NS6detail17trampoline_kernelINS0_14default_configENS1_29reduce_by_key_config_selectorIffN6thrust23THRUST_200600_302600_NS4plusIfEEEEZZNS1_33reduce_by_key_impl_wrapped_configILNS1_25lookback_scan_determinismE1ES3_S9_NS6_6detail15normal_iteratorINS6_10device_ptrIfEEEESG_SG_SG_PmS8_22is_equal_div_10_reduceIfEEE10hipError_tPvRmT2_T3_mT4_T5_T6_T7_T8_P12ihipStream_tbENKUlT_T0_E_clISt17integral_constantIbLb1EES10_IbLb0EEEEDaSW_SX_EUlSW_E_NS1_11comp_targetILNS1_3genE3ELNS1_11target_archE908ELNS1_3gpuE7ELNS1_3repE0EEENS1_30default_config_static_selectorELNS0_4arch9wavefront6targetE1EEEvT1_
; %bb.0:
	.section	.rodata,"a",@progbits
	.p2align	6, 0x0
	.amdhsa_kernel _ZN7rocprim17ROCPRIM_400000_NS6detail17trampoline_kernelINS0_14default_configENS1_29reduce_by_key_config_selectorIffN6thrust23THRUST_200600_302600_NS4plusIfEEEEZZNS1_33reduce_by_key_impl_wrapped_configILNS1_25lookback_scan_determinismE1ES3_S9_NS6_6detail15normal_iteratorINS6_10device_ptrIfEEEESG_SG_SG_PmS8_22is_equal_div_10_reduceIfEEE10hipError_tPvRmT2_T3_mT4_T5_T6_T7_T8_P12ihipStream_tbENKUlT_T0_E_clISt17integral_constantIbLb1EES10_IbLb0EEEEDaSW_SX_EUlSW_E_NS1_11comp_targetILNS1_3genE3ELNS1_11target_archE908ELNS1_3gpuE7ELNS1_3repE0EEENS1_30default_config_static_selectorELNS0_4arch9wavefront6targetE1EEEvT1_
		.amdhsa_group_segment_fixed_size 0
		.amdhsa_private_segment_fixed_size 0
		.amdhsa_kernarg_size 120
		.amdhsa_user_sgpr_count 6
		.amdhsa_user_sgpr_private_segment_buffer 1
		.amdhsa_user_sgpr_dispatch_ptr 0
		.amdhsa_user_sgpr_queue_ptr 0
		.amdhsa_user_sgpr_kernarg_segment_ptr 1
		.amdhsa_user_sgpr_dispatch_id 0
		.amdhsa_user_sgpr_flat_scratch_init 0
		.amdhsa_user_sgpr_kernarg_preload_length 0
		.amdhsa_user_sgpr_kernarg_preload_offset 0
		.amdhsa_user_sgpr_private_segment_size 0
		.amdhsa_uses_dynamic_stack 0
		.amdhsa_system_sgpr_private_segment_wavefront_offset 0
		.amdhsa_system_sgpr_workgroup_id_x 1
		.amdhsa_system_sgpr_workgroup_id_y 0
		.amdhsa_system_sgpr_workgroup_id_z 0
		.amdhsa_system_sgpr_workgroup_info 0
		.amdhsa_system_vgpr_workitem_id 0
		.amdhsa_next_free_vgpr 1
		.amdhsa_next_free_sgpr 0
		.amdhsa_accum_offset 4
		.amdhsa_reserve_vcc 0
		.amdhsa_reserve_flat_scratch 0
		.amdhsa_float_round_mode_32 0
		.amdhsa_float_round_mode_16_64 0
		.amdhsa_float_denorm_mode_32 3
		.amdhsa_float_denorm_mode_16_64 3
		.amdhsa_dx10_clamp 1
		.amdhsa_ieee_mode 1
		.amdhsa_fp16_overflow 0
		.amdhsa_tg_split 0
		.amdhsa_exception_fp_ieee_invalid_op 0
		.amdhsa_exception_fp_denorm_src 0
		.amdhsa_exception_fp_ieee_div_zero 0
		.amdhsa_exception_fp_ieee_overflow 0
		.amdhsa_exception_fp_ieee_underflow 0
		.amdhsa_exception_fp_ieee_inexact 0
		.amdhsa_exception_int_div_zero 0
	.end_amdhsa_kernel
	.section	.text._ZN7rocprim17ROCPRIM_400000_NS6detail17trampoline_kernelINS0_14default_configENS1_29reduce_by_key_config_selectorIffN6thrust23THRUST_200600_302600_NS4plusIfEEEEZZNS1_33reduce_by_key_impl_wrapped_configILNS1_25lookback_scan_determinismE1ES3_S9_NS6_6detail15normal_iteratorINS6_10device_ptrIfEEEESG_SG_SG_PmS8_22is_equal_div_10_reduceIfEEE10hipError_tPvRmT2_T3_mT4_T5_T6_T7_T8_P12ihipStream_tbENKUlT_T0_E_clISt17integral_constantIbLb1EES10_IbLb0EEEEDaSW_SX_EUlSW_E_NS1_11comp_targetILNS1_3genE3ELNS1_11target_archE908ELNS1_3gpuE7ELNS1_3repE0EEENS1_30default_config_static_selectorELNS0_4arch9wavefront6targetE1EEEvT1_,"axG",@progbits,_ZN7rocprim17ROCPRIM_400000_NS6detail17trampoline_kernelINS0_14default_configENS1_29reduce_by_key_config_selectorIffN6thrust23THRUST_200600_302600_NS4plusIfEEEEZZNS1_33reduce_by_key_impl_wrapped_configILNS1_25lookback_scan_determinismE1ES3_S9_NS6_6detail15normal_iteratorINS6_10device_ptrIfEEEESG_SG_SG_PmS8_22is_equal_div_10_reduceIfEEE10hipError_tPvRmT2_T3_mT4_T5_T6_T7_T8_P12ihipStream_tbENKUlT_T0_E_clISt17integral_constantIbLb1EES10_IbLb0EEEEDaSW_SX_EUlSW_E_NS1_11comp_targetILNS1_3genE3ELNS1_11target_archE908ELNS1_3gpuE7ELNS1_3repE0EEENS1_30default_config_static_selectorELNS0_4arch9wavefront6targetE1EEEvT1_,comdat
.Lfunc_end149:
	.size	_ZN7rocprim17ROCPRIM_400000_NS6detail17trampoline_kernelINS0_14default_configENS1_29reduce_by_key_config_selectorIffN6thrust23THRUST_200600_302600_NS4plusIfEEEEZZNS1_33reduce_by_key_impl_wrapped_configILNS1_25lookback_scan_determinismE1ES3_S9_NS6_6detail15normal_iteratorINS6_10device_ptrIfEEEESG_SG_SG_PmS8_22is_equal_div_10_reduceIfEEE10hipError_tPvRmT2_T3_mT4_T5_T6_T7_T8_P12ihipStream_tbENKUlT_T0_E_clISt17integral_constantIbLb1EES10_IbLb0EEEEDaSW_SX_EUlSW_E_NS1_11comp_targetILNS1_3genE3ELNS1_11target_archE908ELNS1_3gpuE7ELNS1_3repE0EEENS1_30default_config_static_selectorELNS0_4arch9wavefront6targetE1EEEvT1_, .Lfunc_end149-_ZN7rocprim17ROCPRIM_400000_NS6detail17trampoline_kernelINS0_14default_configENS1_29reduce_by_key_config_selectorIffN6thrust23THRUST_200600_302600_NS4plusIfEEEEZZNS1_33reduce_by_key_impl_wrapped_configILNS1_25lookback_scan_determinismE1ES3_S9_NS6_6detail15normal_iteratorINS6_10device_ptrIfEEEESG_SG_SG_PmS8_22is_equal_div_10_reduceIfEEE10hipError_tPvRmT2_T3_mT4_T5_T6_T7_T8_P12ihipStream_tbENKUlT_T0_E_clISt17integral_constantIbLb1EES10_IbLb0EEEEDaSW_SX_EUlSW_E_NS1_11comp_targetILNS1_3genE3ELNS1_11target_archE908ELNS1_3gpuE7ELNS1_3repE0EEENS1_30default_config_static_selectorELNS0_4arch9wavefront6targetE1EEEvT1_
                                        ; -- End function
	.section	.AMDGPU.csdata,"",@progbits
; Kernel info:
; codeLenInByte = 0
; NumSgprs: 4
; NumVgprs: 0
; NumAgprs: 0
; TotalNumVgprs: 0
; ScratchSize: 0
; MemoryBound: 0
; FloatMode: 240
; IeeeMode: 1
; LDSByteSize: 0 bytes/workgroup (compile time only)
; SGPRBlocks: 0
; VGPRBlocks: 0
; NumSGPRsForWavesPerEU: 4
; NumVGPRsForWavesPerEU: 1
; AccumOffset: 4
; Occupancy: 8
; WaveLimiterHint : 0
; COMPUTE_PGM_RSRC2:SCRATCH_EN: 0
; COMPUTE_PGM_RSRC2:USER_SGPR: 6
; COMPUTE_PGM_RSRC2:TRAP_HANDLER: 0
; COMPUTE_PGM_RSRC2:TGID_X_EN: 1
; COMPUTE_PGM_RSRC2:TGID_Y_EN: 0
; COMPUTE_PGM_RSRC2:TGID_Z_EN: 0
; COMPUTE_PGM_RSRC2:TIDIG_COMP_CNT: 0
; COMPUTE_PGM_RSRC3_GFX90A:ACCUM_OFFSET: 0
; COMPUTE_PGM_RSRC3_GFX90A:TG_SPLIT: 0
	.section	.text._ZN7rocprim17ROCPRIM_400000_NS6detail17trampoline_kernelINS0_14default_configENS1_29reduce_by_key_config_selectorIffN6thrust23THRUST_200600_302600_NS4plusIfEEEEZZNS1_33reduce_by_key_impl_wrapped_configILNS1_25lookback_scan_determinismE1ES3_S9_NS6_6detail15normal_iteratorINS6_10device_ptrIfEEEESG_SG_SG_PmS8_22is_equal_div_10_reduceIfEEE10hipError_tPvRmT2_T3_mT4_T5_T6_T7_T8_P12ihipStream_tbENKUlT_T0_E_clISt17integral_constantIbLb1EES10_IbLb0EEEEDaSW_SX_EUlSW_E_NS1_11comp_targetILNS1_3genE2ELNS1_11target_archE906ELNS1_3gpuE6ELNS1_3repE0EEENS1_30default_config_static_selectorELNS0_4arch9wavefront6targetE1EEEvT1_,"axG",@progbits,_ZN7rocprim17ROCPRIM_400000_NS6detail17trampoline_kernelINS0_14default_configENS1_29reduce_by_key_config_selectorIffN6thrust23THRUST_200600_302600_NS4plusIfEEEEZZNS1_33reduce_by_key_impl_wrapped_configILNS1_25lookback_scan_determinismE1ES3_S9_NS6_6detail15normal_iteratorINS6_10device_ptrIfEEEESG_SG_SG_PmS8_22is_equal_div_10_reduceIfEEE10hipError_tPvRmT2_T3_mT4_T5_T6_T7_T8_P12ihipStream_tbENKUlT_T0_E_clISt17integral_constantIbLb1EES10_IbLb0EEEEDaSW_SX_EUlSW_E_NS1_11comp_targetILNS1_3genE2ELNS1_11target_archE906ELNS1_3gpuE6ELNS1_3repE0EEENS1_30default_config_static_selectorELNS0_4arch9wavefront6targetE1EEEvT1_,comdat
	.protected	_ZN7rocprim17ROCPRIM_400000_NS6detail17trampoline_kernelINS0_14default_configENS1_29reduce_by_key_config_selectorIffN6thrust23THRUST_200600_302600_NS4plusIfEEEEZZNS1_33reduce_by_key_impl_wrapped_configILNS1_25lookback_scan_determinismE1ES3_S9_NS6_6detail15normal_iteratorINS6_10device_ptrIfEEEESG_SG_SG_PmS8_22is_equal_div_10_reduceIfEEE10hipError_tPvRmT2_T3_mT4_T5_T6_T7_T8_P12ihipStream_tbENKUlT_T0_E_clISt17integral_constantIbLb1EES10_IbLb0EEEEDaSW_SX_EUlSW_E_NS1_11comp_targetILNS1_3genE2ELNS1_11target_archE906ELNS1_3gpuE6ELNS1_3repE0EEENS1_30default_config_static_selectorELNS0_4arch9wavefront6targetE1EEEvT1_ ; -- Begin function _ZN7rocprim17ROCPRIM_400000_NS6detail17trampoline_kernelINS0_14default_configENS1_29reduce_by_key_config_selectorIffN6thrust23THRUST_200600_302600_NS4plusIfEEEEZZNS1_33reduce_by_key_impl_wrapped_configILNS1_25lookback_scan_determinismE1ES3_S9_NS6_6detail15normal_iteratorINS6_10device_ptrIfEEEESG_SG_SG_PmS8_22is_equal_div_10_reduceIfEEE10hipError_tPvRmT2_T3_mT4_T5_T6_T7_T8_P12ihipStream_tbENKUlT_T0_E_clISt17integral_constantIbLb1EES10_IbLb0EEEEDaSW_SX_EUlSW_E_NS1_11comp_targetILNS1_3genE2ELNS1_11target_archE906ELNS1_3gpuE6ELNS1_3repE0EEENS1_30default_config_static_selectorELNS0_4arch9wavefront6targetE1EEEvT1_
	.globl	_ZN7rocprim17ROCPRIM_400000_NS6detail17trampoline_kernelINS0_14default_configENS1_29reduce_by_key_config_selectorIffN6thrust23THRUST_200600_302600_NS4plusIfEEEEZZNS1_33reduce_by_key_impl_wrapped_configILNS1_25lookback_scan_determinismE1ES3_S9_NS6_6detail15normal_iteratorINS6_10device_ptrIfEEEESG_SG_SG_PmS8_22is_equal_div_10_reduceIfEEE10hipError_tPvRmT2_T3_mT4_T5_T6_T7_T8_P12ihipStream_tbENKUlT_T0_E_clISt17integral_constantIbLb1EES10_IbLb0EEEEDaSW_SX_EUlSW_E_NS1_11comp_targetILNS1_3genE2ELNS1_11target_archE906ELNS1_3gpuE6ELNS1_3repE0EEENS1_30default_config_static_selectorELNS0_4arch9wavefront6targetE1EEEvT1_
	.p2align	8
	.type	_ZN7rocprim17ROCPRIM_400000_NS6detail17trampoline_kernelINS0_14default_configENS1_29reduce_by_key_config_selectorIffN6thrust23THRUST_200600_302600_NS4plusIfEEEEZZNS1_33reduce_by_key_impl_wrapped_configILNS1_25lookback_scan_determinismE1ES3_S9_NS6_6detail15normal_iteratorINS6_10device_ptrIfEEEESG_SG_SG_PmS8_22is_equal_div_10_reduceIfEEE10hipError_tPvRmT2_T3_mT4_T5_T6_T7_T8_P12ihipStream_tbENKUlT_T0_E_clISt17integral_constantIbLb1EES10_IbLb0EEEEDaSW_SX_EUlSW_E_NS1_11comp_targetILNS1_3genE2ELNS1_11target_archE906ELNS1_3gpuE6ELNS1_3repE0EEENS1_30default_config_static_selectorELNS0_4arch9wavefront6targetE1EEEvT1_,@function
_ZN7rocprim17ROCPRIM_400000_NS6detail17trampoline_kernelINS0_14default_configENS1_29reduce_by_key_config_selectorIffN6thrust23THRUST_200600_302600_NS4plusIfEEEEZZNS1_33reduce_by_key_impl_wrapped_configILNS1_25lookback_scan_determinismE1ES3_S9_NS6_6detail15normal_iteratorINS6_10device_ptrIfEEEESG_SG_SG_PmS8_22is_equal_div_10_reduceIfEEE10hipError_tPvRmT2_T3_mT4_T5_T6_T7_T8_P12ihipStream_tbENKUlT_T0_E_clISt17integral_constantIbLb1EES10_IbLb0EEEEDaSW_SX_EUlSW_E_NS1_11comp_targetILNS1_3genE2ELNS1_11target_archE906ELNS1_3gpuE6ELNS1_3repE0EEENS1_30default_config_static_selectorELNS0_4arch9wavefront6targetE1EEEvT1_: ; @_ZN7rocprim17ROCPRIM_400000_NS6detail17trampoline_kernelINS0_14default_configENS1_29reduce_by_key_config_selectorIffN6thrust23THRUST_200600_302600_NS4plusIfEEEEZZNS1_33reduce_by_key_impl_wrapped_configILNS1_25lookback_scan_determinismE1ES3_S9_NS6_6detail15normal_iteratorINS6_10device_ptrIfEEEESG_SG_SG_PmS8_22is_equal_div_10_reduceIfEEE10hipError_tPvRmT2_T3_mT4_T5_T6_T7_T8_P12ihipStream_tbENKUlT_T0_E_clISt17integral_constantIbLb1EES10_IbLb0EEEEDaSW_SX_EUlSW_E_NS1_11comp_targetILNS1_3genE2ELNS1_11target_archE906ELNS1_3gpuE6ELNS1_3repE0EEENS1_30default_config_static_selectorELNS0_4arch9wavefront6targetE1EEEvT1_
; %bb.0:
	.section	.rodata,"a",@progbits
	.p2align	6, 0x0
	.amdhsa_kernel _ZN7rocprim17ROCPRIM_400000_NS6detail17trampoline_kernelINS0_14default_configENS1_29reduce_by_key_config_selectorIffN6thrust23THRUST_200600_302600_NS4plusIfEEEEZZNS1_33reduce_by_key_impl_wrapped_configILNS1_25lookback_scan_determinismE1ES3_S9_NS6_6detail15normal_iteratorINS6_10device_ptrIfEEEESG_SG_SG_PmS8_22is_equal_div_10_reduceIfEEE10hipError_tPvRmT2_T3_mT4_T5_T6_T7_T8_P12ihipStream_tbENKUlT_T0_E_clISt17integral_constantIbLb1EES10_IbLb0EEEEDaSW_SX_EUlSW_E_NS1_11comp_targetILNS1_3genE2ELNS1_11target_archE906ELNS1_3gpuE6ELNS1_3repE0EEENS1_30default_config_static_selectorELNS0_4arch9wavefront6targetE1EEEvT1_
		.amdhsa_group_segment_fixed_size 0
		.amdhsa_private_segment_fixed_size 0
		.amdhsa_kernarg_size 120
		.amdhsa_user_sgpr_count 6
		.amdhsa_user_sgpr_private_segment_buffer 1
		.amdhsa_user_sgpr_dispatch_ptr 0
		.amdhsa_user_sgpr_queue_ptr 0
		.amdhsa_user_sgpr_kernarg_segment_ptr 1
		.amdhsa_user_sgpr_dispatch_id 0
		.amdhsa_user_sgpr_flat_scratch_init 0
		.amdhsa_user_sgpr_kernarg_preload_length 0
		.amdhsa_user_sgpr_kernarg_preload_offset 0
		.amdhsa_user_sgpr_private_segment_size 0
		.amdhsa_uses_dynamic_stack 0
		.amdhsa_system_sgpr_private_segment_wavefront_offset 0
		.amdhsa_system_sgpr_workgroup_id_x 1
		.amdhsa_system_sgpr_workgroup_id_y 0
		.amdhsa_system_sgpr_workgroup_id_z 0
		.amdhsa_system_sgpr_workgroup_info 0
		.amdhsa_system_vgpr_workitem_id 0
		.amdhsa_next_free_vgpr 1
		.amdhsa_next_free_sgpr 0
		.amdhsa_accum_offset 4
		.amdhsa_reserve_vcc 0
		.amdhsa_reserve_flat_scratch 0
		.amdhsa_float_round_mode_32 0
		.amdhsa_float_round_mode_16_64 0
		.amdhsa_float_denorm_mode_32 3
		.amdhsa_float_denorm_mode_16_64 3
		.amdhsa_dx10_clamp 1
		.amdhsa_ieee_mode 1
		.amdhsa_fp16_overflow 0
		.amdhsa_tg_split 0
		.amdhsa_exception_fp_ieee_invalid_op 0
		.amdhsa_exception_fp_denorm_src 0
		.amdhsa_exception_fp_ieee_div_zero 0
		.amdhsa_exception_fp_ieee_overflow 0
		.amdhsa_exception_fp_ieee_underflow 0
		.amdhsa_exception_fp_ieee_inexact 0
		.amdhsa_exception_int_div_zero 0
	.end_amdhsa_kernel
	.section	.text._ZN7rocprim17ROCPRIM_400000_NS6detail17trampoline_kernelINS0_14default_configENS1_29reduce_by_key_config_selectorIffN6thrust23THRUST_200600_302600_NS4plusIfEEEEZZNS1_33reduce_by_key_impl_wrapped_configILNS1_25lookback_scan_determinismE1ES3_S9_NS6_6detail15normal_iteratorINS6_10device_ptrIfEEEESG_SG_SG_PmS8_22is_equal_div_10_reduceIfEEE10hipError_tPvRmT2_T3_mT4_T5_T6_T7_T8_P12ihipStream_tbENKUlT_T0_E_clISt17integral_constantIbLb1EES10_IbLb0EEEEDaSW_SX_EUlSW_E_NS1_11comp_targetILNS1_3genE2ELNS1_11target_archE906ELNS1_3gpuE6ELNS1_3repE0EEENS1_30default_config_static_selectorELNS0_4arch9wavefront6targetE1EEEvT1_,"axG",@progbits,_ZN7rocprim17ROCPRIM_400000_NS6detail17trampoline_kernelINS0_14default_configENS1_29reduce_by_key_config_selectorIffN6thrust23THRUST_200600_302600_NS4plusIfEEEEZZNS1_33reduce_by_key_impl_wrapped_configILNS1_25lookback_scan_determinismE1ES3_S9_NS6_6detail15normal_iteratorINS6_10device_ptrIfEEEESG_SG_SG_PmS8_22is_equal_div_10_reduceIfEEE10hipError_tPvRmT2_T3_mT4_T5_T6_T7_T8_P12ihipStream_tbENKUlT_T0_E_clISt17integral_constantIbLb1EES10_IbLb0EEEEDaSW_SX_EUlSW_E_NS1_11comp_targetILNS1_3genE2ELNS1_11target_archE906ELNS1_3gpuE6ELNS1_3repE0EEENS1_30default_config_static_selectorELNS0_4arch9wavefront6targetE1EEEvT1_,comdat
.Lfunc_end150:
	.size	_ZN7rocprim17ROCPRIM_400000_NS6detail17trampoline_kernelINS0_14default_configENS1_29reduce_by_key_config_selectorIffN6thrust23THRUST_200600_302600_NS4plusIfEEEEZZNS1_33reduce_by_key_impl_wrapped_configILNS1_25lookback_scan_determinismE1ES3_S9_NS6_6detail15normal_iteratorINS6_10device_ptrIfEEEESG_SG_SG_PmS8_22is_equal_div_10_reduceIfEEE10hipError_tPvRmT2_T3_mT4_T5_T6_T7_T8_P12ihipStream_tbENKUlT_T0_E_clISt17integral_constantIbLb1EES10_IbLb0EEEEDaSW_SX_EUlSW_E_NS1_11comp_targetILNS1_3genE2ELNS1_11target_archE906ELNS1_3gpuE6ELNS1_3repE0EEENS1_30default_config_static_selectorELNS0_4arch9wavefront6targetE1EEEvT1_, .Lfunc_end150-_ZN7rocprim17ROCPRIM_400000_NS6detail17trampoline_kernelINS0_14default_configENS1_29reduce_by_key_config_selectorIffN6thrust23THRUST_200600_302600_NS4plusIfEEEEZZNS1_33reduce_by_key_impl_wrapped_configILNS1_25lookback_scan_determinismE1ES3_S9_NS6_6detail15normal_iteratorINS6_10device_ptrIfEEEESG_SG_SG_PmS8_22is_equal_div_10_reduceIfEEE10hipError_tPvRmT2_T3_mT4_T5_T6_T7_T8_P12ihipStream_tbENKUlT_T0_E_clISt17integral_constantIbLb1EES10_IbLb0EEEEDaSW_SX_EUlSW_E_NS1_11comp_targetILNS1_3genE2ELNS1_11target_archE906ELNS1_3gpuE6ELNS1_3repE0EEENS1_30default_config_static_selectorELNS0_4arch9wavefront6targetE1EEEvT1_
                                        ; -- End function
	.section	.AMDGPU.csdata,"",@progbits
; Kernel info:
; codeLenInByte = 0
; NumSgprs: 4
; NumVgprs: 0
; NumAgprs: 0
; TotalNumVgprs: 0
; ScratchSize: 0
; MemoryBound: 0
; FloatMode: 240
; IeeeMode: 1
; LDSByteSize: 0 bytes/workgroup (compile time only)
; SGPRBlocks: 0
; VGPRBlocks: 0
; NumSGPRsForWavesPerEU: 4
; NumVGPRsForWavesPerEU: 1
; AccumOffset: 4
; Occupancy: 8
; WaveLimiterHint : 0
; COMPUTE_PGM_RSRC2:SCRATCH_EN: 0
; COMPUTE_PGM_RSRC2:USER_SGPR: 6
; COMPUTE_PGM_RSRC2:TRAP_HANDLER: 0
; COMPUTE_PGM_RSRC2:TGID_X_EN: 1
; COMPUTE_PGM_RSRC2:TGID_Y_EN: 0
; COMPUTE_PGM_RSRC2:TGID_Z_EN: 0
; COMPUTE_PGM_RSRC2:TIDIG_COMP_CNT: 0
; COMPUTE_PGM_RSRC3_GFX90A:ACCUM_OFFSET: 0
; COMPUTE_PGM_RSRC3_GFX90A:TG_SPLIT: 0
	.section	.text._ZN7rocprim17ROCPRIM_400000_NS6detail17trampoline_kernelINS0_14default_configENS1_29reduce_by_key_config_selectorIffN6thrust23THRUST_200600_302600_NS4plusIfEEEEZZNS1_33reduce_by_key_impl_wrapped_configILNS1_25lookback_scan_determinismE1ES3_S9_NS6_6detail15normal_iteratorINS6_10device_ptrIfEEEESG_SG_SG_PmS8_22is_equal_div_10_reduceIfEEE10hipError_tPvRmT2_T3_mT4_T5_T6_T7_T8_P12ihipStream_tbENKUlT_T0_E_clISt17integral_constantIbLb1EES10_IbLb0EEEEDaSW_SX_EUlSW_E_NS1_11comp_targetILNS1_3genE10ELNS1_11target_archE1201ELNS1_3gpuE5ELNS1_3repE0EEENS1_30default_config_static_selectorELNS0_4arch9wavefront6targetE1EEEvT1_,"axG",@progbits,_ZN7rocprim17ROCPRIM_400000_NS6detail17trampoline_kernelINS0_14default_configENS1_29reduce_by_key_config_selectorIffN6thrust23THRUST_200600_302600_NS4plusIfEEEEZZNS1_33reduce_by_key_impl_wrapped_configILNS1_25lookback_scan_determinismE1ES3_S9_NS6_6detail15normal_iteratorINS6_10device_ptrIfEEEESG_SG_SG_PmS8_22is_equal_div_10_reduceIfEEE10hipError_tPvRmT2_T3_mT4_T5_T6_T7_T8_P12ihipStream_tbENKUlT_T0_E_clISt17integral_constantIbLb1EES10_IbLb0EEEEDaSW_SX_EUlSW_E_NS1_11comp_targetILNS1_3genE10ELNS1_11target_archE1201ELNS1_3gpuE5ELNS1_3repE0EEENS1_30default_config_static_selectorELNS0_4arch9wavefront6targetE1EEEvT1_,comdat
	.protected	_ZN7rocprim17ROCPRIM_400000_NS6detail17trampoline_kernelINS0_14default_configENS1_29reduce_by_key_config_selectorIffN6thrust23THRUST_200600_302600_NS4plusIfEEEEZZNS1_33reduce_by_key_impl_wrapped_configILNS1_25lookback_scan_determinismE1ES3_S9_NS6_6detail15normal_iteratorINS6_10device_ptrIfEEEESG_SG_SG_PmS8_22is_equal_div_10_reduceIfEEE10hipError_tPvRmT2_T3_mT4_T5_T6_T7_T8_P12ihipStream_tbENKUlT_T0_E_clISt17integral_constantIbLb1EES10_IbLb0EEEEDaSW_SX_EUlSW_E_NS1_11comp_targetILNS1_3genE10ELNS1_11target_archE1201ELNS1_3gpuE5ELNS1_3repE0EEENS1_30default_config_static_selectorELNS0_4arch9wavefront6targetE1EEEvT1_ ; -- Begin function _ZN7rocprim17ROCPRIM_400000_NS6detail17trampoline_kernelINS0_14default_configENS1_29reduce_by_key_config_selectorIffN6thrust23THRUST_200600_302600_NS4plusIfEEEEZZNS1_33reduce_by_key_impl_wrapped_configILNS1_25lookback_scan_determinismE1ES3_S9_NS6_6detail15normal_iteratorINS6_10device_ptrIfEEEESG_SG_SG_PmS8_22is_equal_div_10_reduceIfEEE10hipError_tPvRmT2_T3_mT4_T5_T6_T7_T8_P12ihipStream_tbENKUlT_T0_E_clISt17integral_constantIbLb1EES10_IbLb0EEEEDaSW_SX_EUlSW_E_NS1_11comp_targetILNS1_3genE10ELNS1_11target_archE1201ELNS1_3gpuE5ELNS1_3repE0EEENS1_30default_config_static_selectorELNS0_4arch9wavefront6targetE1EEEvT1_
	.globl	_ZN7rocprim17ROCPRIM_400000_NS6detail17trampoline_kernelINS0_14default_configENS1_29reduce_by_key_config_selectorIffN6thrust23THRUST_200600_302600_NS4plusIfEEEEZZNS1_33reduce_by_key_impl_wrapped_configILNS1_25lookback_scan_determinismE1ES3_S9_NS6_6detail15normal_iteratorINS6_10device_ptrIfEEEESG_SG_SG_PmS8_22is_equal_div_10_reduceIfEEE10hipError_tPvRmT2_T3_mT4_T5_T6_T7_T8_P12ihipStream_tbENKUlT_T0_E_clISt17integral_constantIbLb1EES10_IbLb0EEEEDaSW_SX_EUlSW_E_NS1_11comp_targetILNS1_3genE10ELNS1_11target_archE1201ELNS1_3gpuE5ELNS1_3repE0EEENS1_30default_config_static_selectorELNS0_4arch9wavefront6targetE1EEEvT1_
	.p2align	8
	.type	_ZN7rocprim17ROCPRIM_400000_NS6detail17trampoline_kernelINS0_14default_configENS1_29reduce_by_key_config_selectorIffN6thrust23THRUST_200600_302600_NS4plusIfEEEEZZNS1_33reduce_by_key_impl_wrapped_configILNS1_25lookback_scan_determinismE1ES3_S9_NS6_6detail15normal_iteratorINS6_10device_ptrIfEEEESG_SG_SG_PmS8_22is_equal_div_10_reduceIfEEE10hipError_tPvRmT2_T3_mT4_T5_T6_T7_T8_P12ihipStream_tbENKUlT_T0_E_clISt17integral_constantIbLb1EES10_IbLb0EEEEDaSW_SX_EUlSW_E_NS1_11comp_targetILNS1_3genE10ELNS1_11target_archE1201ELNS1_3gpuE5ELNS1_3repE0EEENS1_30default_config_static_selectorELNS0_4arch9wavefront6targetE1EEEvT1_,@function
_ZN7rocprim17ROCPRIM_400000_NS6detail17trampoline_kernelINS0_14default_configENS1_29reduce_by_key_config_selectorIffN6thrust23THRUST_200600_302600_NS4plusIfEEEEZZNS1_33reduce_by_key_impl_wrapped_configILNS1_25lookback_scan_determinismE1ES3_S9_NS6_6detail15normal_iteratorINS6_10device_ptrIfEEEESG_SG_SG_PmS8_22is_equal_div_10_reduceIfEEE10hipError_tPvRmT2_T3_mT4_T5_T6_T7_T8_P12ihipStream_tbENKUlT_T0_E_clISt17integral_constantIbLb1EES10_IbLb0EEEEDaSW_SX_EUlSW_E_NS1_11comp_targetILNS1_3genE10ELNS1_11target_archE1201ELNS1_3gpuE5ELNS1_3repE0EEENS1_30default_config_static_selectorELNS0_4arch9wavefront6targetE1EEEvT1_: ; @_ZN7rocprim17ROCPRIM_400000_NS6detail17trampoline_kernelINS0_14default_configENS1_29reduce_by_key_config_selectorIffN6thrust23THRUST_200600_302600_NS4plusIfEEEEZZNS1_33reduce_by_key_impl_wrapped_configILNS1_25lookback_scan_determinismE1ES3_S9_NS6_6detail15normal_iteratorINS6_10device_ptrIfEEEESG_SG_SG_PmS8_22is_equal_div_10_reduceIfEEE10hipError_tPvRmT2_T3_mT4_T5_T6_T7_T8_P12ihipStream_tbENKUlT_T0_E_clISt17integral_constantIbLb1EES10_IbLb0EEEEDaSW_SX_EUlSW_E_NS1_11comp_targetILNS1_3genE10ELNS1_11target_archE1201ELNS1_3gpuE5ELNS1_3repE0EEENS1_30default_config_static_selectorELNS0_4arch9wavefront6targetE1EEEvT1_
; %bb.0:
	.section	.rodata,"a",@progbits
	.p2align	6, 0x0
	.amdhsa_kernel _ZN7rocprim17ROCPRIM_400000_NS6detail17trampoline_kernelINS0_14default_configENS1_29reduce_by_key_config_selectorIffN6thrust23THRUST_200600_302600_NS4plusIfEEEEZZNS1_33reduce_by_key_impl_wrapped_configILNS1_25lookback_scan_determinismE1ES3_S9_NS6_6detail15normal_iteratorINS6_10device_ptrIfEEEESG_SG_SG_PmS8_22is_equal_div_10_reduceIfEEE10hipError_tPvRmT2_T3_mT4_T5_T6_T7_T8_P12ihipStream_tbENKUlT_T0_E_clISt17integral_constantIbLb1EES10_IbLb0EEEEDaSW_SX_EUlSW_E_NS1_11comp_targetILNS1_3genE10ELNS1_11target_archE1201ELNS1_3gpuE5ELNS1_3repE0EEENS1_30default_config_static_selectorELNS0_4arch9wavefront6targetE1EEEvT1_
		.amdhsa_group_segment_fixed_size 0
		.amdhsa_private_segment_fixed_size 0
		.amdhsa_kernarg_size 120
		.amdhsa_user_sgpr_count 6
		.amdhsa_user_sgpr_private_segment_buffer 1
		.amdhsa_user_sgpr_dispatch_ptr 0
		.amdhsa_user_sgpr_queue_ptr 0
		.amdhsa_user_sgpr_kernarg_segment_ptr 1
		.amdhsa_user_sgpr_dispatch_id 0
		.amdhsa_user_sgpr_flat_scratch_init 0
		.amdhsa_user_sgpr_kernarg_preload_length 0
		.amdhsa_user_sgpr_kernarg_preload_offset 0
		.amdhsa_user_sgpr_private_segment_size 0
		.amdhsa_uses_dynamic_stack 0
		.amdhsa_system_sgpr_private_segment_wavefront_offset 0
		.amdhsa_system_sgpr_workgroup_id_x 1
		.amdhsa_system_sgpr_workgroup_id_y 0
		.amdhsa_system_sgpr_workgroup_id_z 0
		.amdhsa_system_sgpr_workgroup_info 0
		.amdhsa_system_vgpr_workitem_id 0
		.amdhsa_next_free_vgpr 1
		.amdhsa_next_free_sgpr 0
		.amdhsa_accum_offset 4
		.amdhsa_reserve_vcc 0
		.amdhsa_reserve_flat_scratch 0
		.amdhsa_float_round_mode_32 0
		.amdhsa_float_round_mode_16_64 0
		.amdhsa_float_denorm_mode_32 3
		.amdhsa_float_denorm_mode_16_64 3
		.amdhsa_dx10_clamp 1
		.amdhsa_ieee_mode 1
		.amdhsa_fp16_overflow 0
		.amdhsa_tg_split 0
		.amdhsa_exception_fp_ieee_invalid_op 0
		.amdhsa_exception_fp_denorm_src 0
		.amdhsa_exception_fp_ieee_div_zero 0
		.amdhsa_exception_fp_ieee_overflow 0
		.amdhsa_exception_fp_ieee_underflow 0
		.amdhsa_exception_fp_ieee_inexact 0
		.amdhsa_exception_int_div_zero 0
	.end_amdhsa_kernel
	.section	.text._ZN7rocprim17ROCPRIM_400000_NS6detail17trampoline_kernelINS0_14default_configENS1_29reduce_by_key_config_selectorIffN6thrust23THRUST_200600_302600_NS4plusIfEEEEZZNS1_33reduce_by_key_impl_wrapped_configILNS1_25lookback_scan_determinismE1ES3_S9_NS6_6detail15normal_iteratorINS6_10device_ptrIfEEEESG_SG_SG_PmS8_22is_equal_div_10_reduceIfEEE10hipError_tPvRmT2_T3_mT4_T5_T6_T7_T8_P12ihipStream_tbENKUlT_T0_E_clISt17integral_constantIbLb1EES10_IbLb0EEEEDaSW_SX_EUlSW_E_NS1_11comp_targetILNS1_3genE10ELNS1_11target_archE1201ELNS1_3gpuE5ELNS1_3repE0EEENS1_30default_config_static_selectorELNS0_4arch9wavefront6targetE1EEEvT1_,"axG",@progbits,_ZN7rocprim17ROCPRIM_400000_NS6detail17trampoline_kernelINS0_14default_configENS1_29reduce_by_key_config_selectorIffN6thrust23THRUST_200600_302600_NS4plusIfEEEEZZNS1_33reduce_by_key_impl_wrapped_configILNS1_25lookback_scan_determinismE1ES3_S9_NS6_6detail15normal_iteratorINS6_10device_ptrIfEEEESG_SG_SG_PmS8_22is_equal_div_10_reduceIfEEE10hipError_tPvRmT2_T3_mT4_T5_T6_T7_T8_P12ihipStream_tbENKUlT_T0_E_clISt17integral_constantIbLb1EES10_IbLb0EEEEDaSW_SX_EUlSW_E_NS1_11comp_targetILNS1_3genE10ELNS1_11target_archE1201ELNS1_3gpuE5ELNS1_3repE0EEENS1_30default_config_static_selectorELNS0_4arch9wavefront6targetE1EEEvT1_,comdat
.Lfunc_end151:
	.size	_ZN7rocprim17ROCPRIM_400000_NS6detail17trampoline_kernelINS0_14default_configENS1_29reduce_by_key_config_selectorIffN6thrust23THRUST_200600_302600_NS4plusIfEEEEZZNS1_33reduce_by_key_impl_wrapped_configILNS1_25lookback_scan_determinismE1ES3_S9_NS6_6detail15normal_iteratorINS6_10device_ptrIfEEEESG_SG_SG_PmS8_22is_equal_div_10_reduceIfEEE10hipError_tPvRmT2_T3_mT4_T5_T6_T7_T8_P12ihipStream_tbENKUlT_T0_E_clISt17integral_constantIbLb1EES10_IbLb0EEEEDaSW_SX_EUlSW_E_NS1_11comp_targetILNS1_3genE10ELNS1_11target_archE1201ELNS1_3gpuE5ELNS1_3repE0EEENS1_30default_config_static_selectorELNS0_4arch9wavefront6targetE1EEEvT1_, .Lfunc_end151-_ZN7rocprim17ROCPRIM_400000_NS6detail17trampoline_kernelINS0_14default_configENS1_29reduce_by_key_config_selectorIffN6thrust23THRUST_200600_302600_NS4plusIfEEEEZZNS1_33reduce_by_key_impl_wrapped_configILNS1_25lookback_scan_determinismE1ES3_S9_NS6_6detail15normal_iteratorINS6_10device_ptrIfEEEESG_SG_SG_PmS8_22is_equal_div_10_reduceIfEEE10hipError_tPvRmT2_T3_mT4_T5_T6_T7_T8_P12ihipStream_tbENKUlT_T0_E_clISt17integral_constantIbLb1EES10_IbLb0EEEEDaSW_SX_EUlSW_E_NS1_11comp_targetILNS1_3genE10ELNS1_11target_archE1201ELNS1_3gpuE5ELNS1_3repE0EEENS1_30default_config_static_selectorELNS0_4arch9wavefront6targetE1EEEvT1_
                                        ; -- End function
	.section	.AMDGPU.csdata,"",@progbits
; Kernel info:
; codeLenInByte = 0
; NumSgprs: 4
; NumVgprs: 0
; NumAgprs: 0
; TotalNumVgprs: 0
; ScratchSize: 0
; MemoryBound: 0
; FloatMode: 240
; IeeeMode: 1
; LDSByteSize: 0 bytes/workgroup (compile time only)
; SGPRBlocks: 0
; VGPRBlocks: 0
; NumSGPRsForWavesPerEU: 4
; NumVGPRsForWavesPerEU: 1
; AccumOffset: 4
; Occupancy: 8
; WaveLimiterHint : 0
; COMPUTE_PGM_RSRC2:SCRATCH_EN: 0
; COMPUTE_PGM_RSRC2:USER_SGPR: 6
; COMPUTE_PGM_RSRC2:TRAP_HANDLER: 0
; COMPUTE_PGM_RSRC2:TGID_X_EN: 1
; COMPUTE_PGM_RSRC2:TGID_Y_EN: 0
; COMPUTE_PGM_RSRC2:TGID_Z_EN: 0
; COMPUTE_PGM_RSRC2:TIDIG_COMP_CNT: 0
; COMPUTE_PGM_RSRC3_GFX90A:ACCUM_OFFSET: 0
; COMPUTE_PGM_RSRC3_GFX90A:TG_SPLIT: 0
	.section	.text._ZN7rocprim17ROCPRIM_400000_NS6detail17trampoline_kernelINS0_14default_configENS1_29reduce_by_key_config_selectorIffN6thrust23THRUST_200600_302600_NS4plusIfEEEEZZNS1_33reduce_by_key_impl_wrapped_configILNS1_25lookback_scan_determinismE1ES3_S9_NS6_6detail15normal_iteratorINS6_10device_ptrIfEEEESG_SG_SG_PmS8_22is_equal_div_10_reduceIfEEE10hipError_tPvRmT2_T3_mT4_T5_T6_T7_T8_P12ihipStream_tbENKUlT_T0_E_clISt17integral_constantIbLb1EES10_IbLb0EEEEDaSW_SX_EUlSW_E_NS1_11comp_targetILNS1_3genE10ELNS1_11target_archE1200ELNS1_3gpuE4ELNS1_3repE0EEENS1_30default_config_static_selectorELNS0_4arch9wavefront6targetE1EEEvT1_,"axG",@progbits,_ZN7rocprim17ROCPRIM_400000_NS6detail17trampoline_kernelINS0_14default_configENS1_29reduce_by_key_config_selectorIffN6thrust23THRUST_200600_302600_NS4plusIfEEEEZZNS1_33reduce_by_key_impl_wrapped_configILNS1_25lookback_scan_determinismE1ES3_S9_NS6_6detail15normal_iteratorINS6_10device_ptrIfEEEESG_SG_SG_PmS8_22is_equal_div_10_reduceIfEEE10hipError_tPvRmT2_T3_mT4_T5_T6_T7_T8_P12ihipStream_tbENKUlT_T0_E_clISt17integral_constantIbLb1EES10_IbLb0EEEEDaSW_SX_EUlSW_E_NS1_11comp_targetILNS1_3genE10ELNS1_11target_archE1200ELNS1_3gpuE4ELNS1_3repE0EEENS1_30default_config_static_selectorELNS0_4arch9wavefront6targetE1EEEvT1_,comdat
	.protected	_ZN7rocprim17ROCPRIM_400000_NS6detail17trampoline_kernelINS0_14default_configENS1_29reduce_by_key_config_selectorIffN6thrust23THRUST_200600_302600_NS4plusIfEEEEZZNS1_33reduce_by_key_impl_wrapped_configILNS1_25lookback_scan_determinismE1ES3_S9_NS6_6detail15normal_iteratorINS6_10device_ptrIfEEEESG_SG_SG_PmS8_22is_equal_div_10_reduceIfEEE10hipError_tPvRmT2_T3_mT4_T5_T6_T7_T8_P12ihipStream_tbENKUlT_T0_E_clISt17integral_constantIbLb1EES10_IbLb0EEEEDaSW_SX_EUlSW_E_NS1_11comp_targetILNS1_3genE10ELNS1_11target_archE1200ELNS1_3gpuE4ELNS1_3repE0EEENS1_30default_config_static_selectorELNS0_4arch9wavefront6targetE1EEEvT1_ ; -- Begin function _ZN7rocprim17ROCPRIM_400000_NS6detail17trampoline_kernelINS0_14default_configENS1_29reduce_by_key_config_selectorIffN6thrust23THRUST_200600_302600_NS4plusIfEEEEZZNS1_33reduce_by_key_impl_wrapped_configILNS1_25lookback_scan_determinismE1ES3_S9_NS6_6detail15normal_iteratorINS6_10device_ptrIfEEEESG_SG_SG_PmS8_22is_equal_div_10_reduceIfEEE10hipError_tPvRmT2_T3_mT4_T5_T6_T7_T8_P12ihipStream_tbENKUlT_T0_E_clISt17integral_constantIbLb1EES10_IbLb0EEEEDaSW_SX_EUlSW_E_NS1_11comp_targetILNS1_3genE10ELNS1_11target_archE1200ELNS1_3gpuE4ELNS1_3repE0EEENS1_30default_config_static_selectorELNS0_4arch9wavefront6targetE1EEEvT1_
	.globl	_ZN7rocprim17ROCPRIM_400000_NS6detail17trampoline_kernelINS0_14default_configENS1_29reduce_by_key_config_selectorIffN6thrust23THRUST_200600_302600_NS4plusIfEEEEZZNS1_33reduce_by_key_impl_wrapped_configILNS1_25lookback_scan_determinismE1ES3_S9_NS6_6detail15normal_iteratorINS6_10device_ptrIfEEEESG_SG_SG_PmS8_22is_equal_div_10_reduceIfEEE10hipError_tPvRmT2_T3_mT4_T5_T6_T7_T8_P12ihipStream_tbENKUlT_T0_E_clISt17integral_constantIbLb1EES10_IbLb0EEEEDaSW_SX_EUlSW_E_NS1_11comp_targetILNS1_3genE10ELNS1_11target_archE1200ELNS1_3gpuE4ELNS1_3repE0EEENS1_30default_config_static_selectorELNS0_4arch9wavefront6targetE1EEEvT1_
	.p2align	8
	.type	_ZN7rocprim17ROCPRIM_400000_NS6detail17trampoline_kernelINS0_14default_configENS1_29reduce_by_key_config_selectorIffN6thrust23THRUST_200600_302600_NS4plusIfEEEEZZNS1_33reduce_by_key_impl_wrapped_configILNS1_25lookback_scan_determinismE1ES3_S9_NS6_6detail15normal_iteratorINS6_10device_ptrIfEEEESG_SG_SG_PmS8_22is_equal_div_10_reduceIfEEE10hipError_tPvRmT2_T3_mT4_T5_T6_T7_T8_P12ihipStream_tbENKUlT_T0_E_clISt17integral_constantIbLb1EES10_IbLb0EEEEDaSW_SX_EUlSW_E_NS1_11comp_targetILNS1_3genE10ELNS1_11target_archE1200ELNS1_3gpuE4ELNS1_3repE0EEENS1_30default_config_static_selectorELNS0_4arch9wavefront6targetE1EEEvT1_,@function
_ZN7rocprim17ROCPRIM_400000_NS6detail17trampoline_kernelINS0_14default_configENS1_29reduce_by_key_config_selectorIffN6thrust23THRUST_200600_302600_NS4plusIfEEEEZZNS1_33reduce_by_key_impl_wrapped_configILNS1_25lookback_scan_determinismE1ES3_S9_NS6_6detail15normal_iteratorINS6_10device_ptrIfEEEESG_SG_SG_PmS8_22is_equal_div_10_reduceIfEEE10hipError_tPvRmT2_T3_mT4_T5_T6_T7_T8_P12ihipStream_tbENKUlT_T0_E_clISt17integral_constantIbLb1EES10_IbLb0EEEEDaSW_SX_EUlSW_E_NS1_11comp_targetILNS1_3genE10ELNS1_11target_archE1200ELNS1_3gpuE4ELNS1_3repE0EEENS1_30default_config_static_selectorELNS0_4arch9wavefront6targetE1EEEvT1_: ; @_ZN7rocprim17ROCPRIM_400000_NS6detail17trampoline_kernelINS0_14default_configENS1_29reduce_by_key_config_selectorIffN6thrust23THRUST_200600_302600_NS4plusIfEEEEZZNS1_33reduce_by_key_impl_wrapped_configILNS1_25lookback_scan_determinismE1ES3_S9_NS6_6detail15normal_iteratorINS6_10device_ptrIfEEEESG_SG_SG_PmS8_22is_equal_div_10_reduceIfEEE10hipError_tPvRmT2_T3_mT4_T5_T6_T7_T8_P12ihipStream_tbENKUlT_T0_E_clISt17integral_constantIbLb1EES10_IbLb0EEEEDaSW_SX_EUlSW_E_NS1_11comp_targetILNS1_3genE10ELNS1_11target_archE1200ELNS1_3gpuE4ELNS1_3repE0EEENS1_30default_config_static_selectorELNS0_4arch9wavefront6targetE1EEEvT1_
; %bb.0:
	.section	.rodata,"a",@progbits
	.p2align	6, 0x0
	.amdhsa_kernel _ZN7rocprim17ROCPRIM_400000_NS6detail17trampoline_kernelINS0_14default_configENS1_29reduce_by_key_config_selectorIffN6thrust23THRUST_200600_302600_NS4plusIfEEEEZZNS1_33reduce_by_key_impl_wrapped_configILNS1_25lookback_scan_determinismE1ES3_S9_NS6_6detail15normal_iteratorINS6_10device_ptrIfEEEESG_SG_SG_PmS8_22is_equal_div_10_reduceIfEEE10hipError_tPvRmT2_T3_mT4_T5_T6_T7_T8_P12ihipStream_tbENKUlT_T0_E_clISt17integral_constantIbLb1EES10_IbLb0EEEEDaSW_SX_EUlSW_E_NS1_11comp_targetILNS1_3genE10ELNS1_11target_archE1200ELNS1_3gpuE4ELNS1_3repE0EEENS1_30default_config_static_selectorELNS0_4arch9wavefront6targetE1EEEvT1_
		.amdhsa_group_segment_fixed_size 0
		.amdhsa_private_segment_fixed_size 0
		.amdhsa_kernarg_size 120
		.amdhsa_user_sgpr_count 6
		.amdhsa_user_sgpr_private_segment_buffer 1
		.amdhsa_user_sgpr_dispatch_ptr 0
		.amdhsa_user_sgpr_queue_ptr 0
		.amdhsa_user_sgpr_kernarg_segment_ptr 1
		.amdhsa_user_sgpr_dispatch_id 0
		.amdhsa_user_sgpr_flat_scratch_init 0
		.amdhsa_user_sgpr_kernarg_preload_length 0
		.amdhsa_user_sgpr_kernarg_preload_offset 0
		.amdhsa_user_sgpr_private_segment_size 0
		.amdhsa_uses_dynamic_stack 0
		.amdhsa_system_sgpr_private_segment_wavefront_offset 0
		.amdhsa_system_sgpr_workgroup_id_x 1
		.amdhsa_system_sgpr_workgroup_id_y 0
		.amdhsa_system_sgpr_workgroup_id_z 0
		.amdhsa_system_sgpr_workgroup_info 0
		.amdhsa_system_vgpr_workitem_id 0
		.amdhsa_next_free_vgpr 1
		.amdhsa_next_free_sgpr 0
		.amdhsa_accum_offset 4
		.amdhsa_reserve_vcc 0
		.amdhsa_reserve_flat_scratch 0
		.amdhsa_float_round_mode_32 0
		.amdhsa_float_round_mode_16_64 0
		.amdhsa_float_denorm_mode_32 3
		.amdhsa_float_denorm_mode_16_64 3
		.amdhsa_dx10_clamp 1
		.amdhsa_ieee_mode 1
		.amdhsa_fp16_overflow 0
		.amdhsa_tg_split 0
		.amdhsa_exception_fp_ieee_invalid_op 0
		.amdhsa_exception_fp_denorm_src 0
		.amdhsa_exception_fp_ieee_div_zero 0
		.amdhsa_exception_fp_ieee_overflow 0
		.amdhsa_exception_fp_ieee_underflow 0
		.amdhsa_exception_fp_ieee_inexact 0
		.amdhsa_exception_int_div_zero 0
	.end_amdhsa_kernel
	.section	.text._ZN7rocprim17ROCPRIM_400000_NS6detail17trampoline_kernelINS0_14default_configENS1_29reduce_by_key_config_selectorIffN6thrust23THRUST_200600_302600_NS4plusIfEEEEZZNS1_33reduce_by_key_impl_wrapped_configILNS1_25lookback_scan_determinismE1ES3_S9_NS6_6detail15normal_iteratorINS6_10device_ptrIfEEEESG_SG_SG_PmS8_22is_equal_div_10_reduceIfEEE10hipError_tPvRmT2_T3_mT4_T5_T6_T7_T8_P12ihipStream_tbENKUlT_T0_E_clISt17integral_constantIbLb1EES10_IbLb0EEEEDaSW_SX_EUlSW_E_NS1_11comp_targetILNS1_3genE10ELNS1_11target_archE1200ELNS1_3gpuE4ELNS1_3repE0EEENS1_30default_config_static_selectorELNS0_4arch9wavefront6targetE1EEEvT1_,"axG",@progbits,_ZN7rocprim17ROCPRIM_400000_NS6detail17trampoline_kernelINS0_14default_configENS1_29reduce_by_key_config_selectorIffN6thrust23THRUST_200600_302600_NS4plusIfEEEEZZNS1_33reduce_by_key_impl_wrapped_configILNS1_25lookback_scan_determinismE1ES3_S9_NS6_6detail15normal_iteratorINS6_10device_ptrIfEEEESG_SG_SG_PmS8_22is_equal_div_10_reduceIfEEE10hipError_tPvRmT2_T3_mT4_T5_T6_T7_T8_P12ihipStream_tbENKUlT_T0_E_clISt17integral_constantIbLb1EES10_IbLb0EEEEDaSW_SX_EUlSW_E_NS1_11comp_targetILNS1_3genE10ELNS1_11target_archE1200ELNS1_3gpuE4ELNS1_3repE0EEENS1_30default_config_static_selectorELNS0_4arch9wavefront6targetE1EEEvT1_,comdat
.Lfunc_end152:
	.size	_ZN7rocprim17ROCPRIM_400000_NS6detail17trampoline_kernelINS0_14default_configENS1_29reduce_by_key_config_selectorIffN6thrust23THRUST_200600_302600_NS4plusIfEEEEZZNS1_33reduce_by_key_impl_wrapped_configILNS1_25lookback_scan_determinismE1ES3_S9_NS6_6detail15normal_iteratorINS6_10device_ptrIfEEEESG_SG_SG_PmS8_22is_equal_div_10_reduceIfEEE10hipError_tPvRmT2_T3_mT4_T5_T6_T7_T8_P12ihipStream_tbENKUlT_T0_E_clISt17integral_constantIbLb1EES10_IbLb0EEEEDaSW_SX_EUlSW_E_NS1_11comp_targetILNS1_3genE10ELNS1_11target_archE1200ELNS1_3gpuE4ELNS1_3repE0EEENS1_30default_config_static_selectorELNS0_4arch9wavefront6targetE1EEEvT1_, .Lfunc_end152-_ZN7rocprim17ROCPRIM_400000_NS6detail17trampoline_kernelINS0_14default_configENS1_29reduce_by_key_config_selectorIffN6thrust23THRUST_200600_302600_NS4plusIfEEEEZZNS1_33reduce_by_key_impl_wrapped_configILNS1_25lookback_scan_determinismE1ES3_S9_NS6_6detail15normal_iteratorINS6_10device_ptrIfEEEESG_SG_SG_PmS8_22is_equal_div_10_reduceIfEEE10hipError_tPvRmT2_T3_mT4_T5_T6_T7_T8_P12ihipStream_tbENKUlT_T0_E_clISt17integral_constantIbLb1EES10_IbLb0EEEEDaSW_SX_EUlSW_E_NS1_11comp_targetILNS1_3genE10ELNS1_11target_archE1200ELNS1_3gpuE4ELNS1_3repE0EEENS1_30default_config_static_selectorELNS0_4arch9wavefront6targetE1EEEvT1_
                                        ; -- End function
	.section	.AMDGPU.csdata,"",@progbits
; Kernel info:
; codeLenInByte = 0
; NumSgprs: 4
; NumVgprs: 0
; NumAgprs: 0
; TotalNumVgprs: 0
; ScratchSize: 0
; MemoryBound: 0
; FloatMode: 240
; IeeeMode: 1
; LDSByteSize: 0 bytes/workgroup (compile time only)
; SGPRBlocks: 0
; VGPRBlocks: 0
; NumSGPRsForWavesPerEU: 4
; NumVGPRsForWavesPerEU: 1
; AccumOffset: 4
; Occupancy: 8
; WaveLimiterHint : 0
; COMPUTE_PGM_RSRC2:SCRATCH_EN: 0
; COMPUTE_PGM_RSRC2:USER_SGPR: 6
; COMPUTE_PGM_RSRC2:TRAP_HANDLER: 0
; COMPUTE_PGM_RSRC2:TGID_X_EN: 1
; COMPUTE_PGM_RSRC2:TGID_Y_EN: 0
; COMPUTE_PGM_RSRC2:TGID_Z_EN: 0
; COMPUTE_PGM_RSRC2:TIDIG_COMP_CNT: 0
; COMPUTE_PGM_RSRC3_GFX90A:ACCUM_OFFSET: 0
; COMPUTE_PGM_RSRC3_GFX90A:TG_SPLIT: 0
	.section	.text._ZN7rocprim17ROCPRIM_400000_NS6detail17trampoline_kernelINS0_14default_configENS1_29reduce_by_key_config_selectorIffN6thrust23THRUST_200600_302600_NS4plusIfEEEEZZNS1_33reduce_by_key_impl_wrapped_configILNS1_25lookback_scan_determinismE1ES3_S9_NS6_6detail15normal_iteratorINS6_10device_ptrIfEEEESG_SG_SG_PmS8_22is_equal_div_10_reduceIfEEE10hipError_tPvRmT2_T3_mT4_T5_T6_T7_T8_P12ihipStream_tbENKUlT_T0_E_clISt17integral_constantIbLb1EES10_IbLb0EEEEDaSW_SX_EUlSW_E_NS1_11comp_targetILNS1_3genE9ELNS1_11target_archE1100ELNS1_3gpuE3ELNS1_3repE0EEENS1_30default_config_static_selectorELNS0_4arch9wavefront6targetE1EEEvT1_,"axG",@progbits,_ZN7rocprim17ROCPRIM_400000_NS6detail17trampoline_kernelINS0_14default_configENS1_29reduce_by_key_config_selectorIffN6thrust23THRUST_200600_302600_NS4plusIfEEEEZZNS1_33reduce_by_key_impl_wrapped_configILNS1_25lookback_scan_determinismE1ES3_S9_NS6_6detail15normal_iteratorINS6_10device_ptrIfEEEESG_SG_SG_PmS8_22is_equal_div_10_reduceIfEEE10hipError_tPvRmT2_T3_mT4_T5_T6_T7_T8_P12ihipStream_tbENKUlT_T0_E_clISt17integral_constantIbLb1EES10_IbLb0EEEEDaSW_SX_EUlSW_E_NS1_11comp_targetILNS1_3genE9ELNS1_11target_archE1100ELNS1_3gpuE3ELNS1_3repE0EEENS1_30default_config_static_selectorELNS0_4arch9wavefront6targetE1EEEvT1_,comdat
	.protected	_ZN7rocprim17ROCPRIM_400000_NS6detail17trampoline_kernelINS0_14default_configENS1_29reduce_by_key_config_selectorIffN6thrust23THRUST_200600_302600_NS4plusIfEEEEZZNS1_33reduce_by_key_impl_wrapped_configILNS1_25lookback_scan_determinismE1ES3_S9_NS6_6detail15normal_iteratorINS6_10device_ptrIfEEEESG_SG_SG_PmS8_22is_equal_div_10_reduceIfEEE10hipError_tPvRmT2_T3_mT4_T5_T6_T7_T8_P12ihipStream_tbENKUlT_T0_E_clISt17integral_constantIbLb1EES10_IbLb0EEEEDaSW_SX_EUlSW_E_NS1_11comp_targetILNS1_3genE9ELNS1_11target_archE1100ELNS1_3gpuE3ELNS1_3repE0EEENS1_30default_config_static_selectorELNS0_4arch9wavefront6targetE1EEEvT1_ ; -- Begin function _ZN7rocprim17ROCPRIM_400000_NS6detail17trampoline_kernelINS0_14default_configENS1_29reduce_by_key_config_selectorIffN6thrust23THRUST_200600_302600_NS4plusIfEEEEZZNS1_33reduce_by_key_impl_wrapped_configILNS1_25lookback_scan_determinismE1ES3_S9_NS6_6detail15normal_iteratorINS6_10device_ptrIfEEEESG_SG_SG_PmS8_22is_equal_div_10_reduceIfEEE10hipError_tPvRmT2_T3_mT4_T5_T6_T7_T8_P12ihipStream_tbENKUlT_T0_E_clISt17integral_constantIbLb1EES10_IbLb0EEEEDaSW_SX_EUlSW_E_NS1_11comp_targetILNS1_3genE9ELNS1_11target_archE1100ELNS1_3gpuE3ELNS1_3repE0EEENS1_30default_config_static_selectorELNS0_4arch9wavefront6targetE1EEEvT1_
	.globl	_ZN7rocprim17ROCPRIM_400000_NS6detail17trampoline_kernelINS0_14default_configENS1_29reduce_by_key_config_selectorIffN6thrust23THRUST_200600_302600_NS4plusIfEEEEZZNS1_33reduce_by_key_impl_wrapped_configILNS1_25lookback_scan_determinismE1ES3_S9_NS6_6detail15normal_iteratorINS6_10device_ptrIfEEEESG_SG_SG_PmS8_22is_equal_div_10_reduceIfEEE10hipError_tPvRmT2_T3_mT4_T5_T6_T7_T8_P12ihipStream_tbENKUlT_T0_E_clISt17integral_constantIbLb1EES10_IbLb0EEEEDaSW_SX_EUlSW_E_NS1_11comp_targetILNS1_3genE9ELNS1_11target_archE1100ELNS1_3gpuE3ELNS1_3repE0EEENS1_30default_config_static_selectorELNS0_4arch9wavefront6targetE1EEEvT1_
	.p2align	8
	.type	_ZN7rocprim17ROCPRIM_400000_NS6detail17trampoline_kernelINS0_14default_configENS1_29reduce_by_key_config_selectorIffN6thrust23THRUST_200600_302600_NS4plusIfEEEEZZNS1_33reduce_by_key_impl_wrapped_configILNS1_25lookback_scan_determinismE1ES3_S9_NS6_6detail15normal_iteratorINS6_10device_ptrIfEEEESG_SG_SG_PmS8_22is_equal_div_10_reduceIfEEE10hipError_tPvRmT2_T3_mT4_T5_T6_T7_T8_P12ihipStream_tbENKUlT_T0_E_clISt17integral_constantIbLb1EES10_IbLb0EEEEDaSW_SX_EUlSW_E_NS1_11comp_targetILNS1_3genE9ELNS1_11target_archE1100ELNS1_3gpuE3ELNS1_3repE0EEENS1_30default_config_static_selectorELNS0_4arch9wavefront6targetE1EEEvT1_,@function
_ZN7rocprim17ROCPRIM_400000_NS6detail17trampoline_kernelINS0_14default_configENS1_29reduce_by_key_config_selectorIffN6thrust23THRUST_200600_302600_NS4plusIfEEEEZZNS1_33reduce_by_key_impl_wrapped_configILNS1_25lookback_scan_determinismE1ES3_S9_NS6_6detail15normal_iteratorINS6_10device_ptrIfEEEESG_SG_SG_PmS8_22is_equal_div_10_reduceIfEEE10hipError_tPvRmT2_T3_mT4_T5_T6_T7_T8_P12ihipStream_tbENKUlT_T0_E_clISt17integral_constantIbLb1EES10_IbLb0EEEEDaSW_SX_EUlSW_E_NS1_11comp_targetILNS1_3genE9ELNS1_11target_archE1100ELNS1_3gpuE3ELNS1_3repE0EEENS1_30default_config_static_selectorELNS0_4arch9wavefront6targetE1EEEvT1_: ; @_ZN7rocprim17ROCPRIM_400000_NS6detail17trampoline_kernelINS0_14default_configENS1_29reduce_by_key_config_selectorIffN6thrust23THRUST_200600_302600_NS4plusIfEEEEZZNS1_33reduce_by_key_impl_wrapped_configILNS1_25lookback_scan_determinismE1ES3_S9_NS6_6detail15normal_iteratorINS6_10device_ptrIfEEEESG_SG_SG_PmS8_22is_equal_div_10_reduceIfEEE10hipError_tPvRmT2_T3_mT4_T5_T6_T7_T8_P12ihipStream_tbENKUlT_T0_E_clISt17integral_constantIbLb1EES10_IbLb0EEEEDaSW_SX_EUlSW_E_NS1_11comp_targetILNS1_3genE9ELNS1_11target_archE1100ELNS1_3gpuE3ELNS1_3repE0EEENS1_30default_config_static_selectorELNS0_4arch9wavefront6targetE1EEEvT1_
; %bb.0:
	.section	.rodata,"a",@progbits
	.p2align	6, 0x0
	.amdhsa_kernel _ZN7rocprim17ROCPRIM_400000_NS6detail17trampoline_kernelINS0_14default_configENS1_29reduce_by_key_config_selectorIffN6thrust23THRUST_200600_302600_NS4plusIfEEEEZZNS1_33reduce_by_key_impl_wrapped_configILNS1_25lookback_scan_determinismE1ES3_S9_NS6_6detail15normal_iteratorINS6_10device_ptrIfEEEESG_SG_SG_PmS8_22is_equal_div_10_reduceIfEEE10hipError_tPvRmT2_T3_mT4_T5_T6_T7_T8_P12ihipStream_tbENKUlT_T0_E_clISt17integral_constantIbLb1EES10_IbLb0EEEEDaSW_SX_EUlSW_E_NS1_11comp_targetILNS1_3genE9ELNS1_11target_archE1100ELNS1_3gpuE3ELNS1_3repE0EEENS1_30default_config_static_selectorELNS0_4arch9wavefront6targetE1EEEvT1_
		.amdhsa_group_segment_fixed_size 0
		.amdhsa_private_segment_fixed_size 0
		.amdhsa_kernarg_size 120
		.amdhsa_user_sgpr_count 6
		.amdhsa_user_sgpr_private_segment_buffer 1
		.amdhsa_user_sgpr_dispatch_ptr 0
		.amdhsa_user_sgpr_queue_ptr 0
		.amdhsa_user_sgpr_kernarg_segment_ptr 1
		.amdhsa_user_sgpr_dispatch_id 0
		.amdhsa_user_sgpr_flat_scratch_init 0
		.amdhsa_user_sgpr_kernarg_preload_length 0
		.amdhsa_user_sgpr_kernarg_preload_offset 0
		.amdhsa_user_sgpr_private_segment_size 0
		.amdhsa_uses_dynamic_stack 0
		.amdhsa_system_sgpr_private_segment_wavefront_offset 0
		.amdhsa_system_sgpr_workgroup_id_x 1
		.amdhsa_system_sgpr_workgroup_id_y 0
		.amdhsa_system_sgpr_workgroup_id_z 0
		.amdhsa_system_sgpr_workgroup_info 0
		.amdhsa_system_vgpr_workitem_id 0
		.amdhsa_next_free_vgpr 1
		.amdhsa_next_free_sgpr 0
		.amdhsa_accum_offset 4
		.amdhsa_reserve_vcc 0
		.amdhsa_reserve_flat_scratch 0
		.amdhsa_float_round_mode_32 0
		.amdhsa_float_round_mode_16_64 0
		.amdhsa_float_denorm_mode_32 3
		.amdhsa_float_denorm_mode_16_64 3
		.amdhsa_dx10_clamp 1
		.amdhsa_ieee_mode 1
		.amdhsa_fp16_overflow 0
		.amdhsa_tg_split 0
		.amdhsa_exception_fp_ieee_invalid_op 0
		.amdhsa_exception_fp_denorm_src 0
		.amdhsa_exception_fp_ieee_div_zero 0
		.amdhsa_exception_fp_ieee_overflow 0
		.amdhsa_exception_fp_ieee_underflow 0
		.amdhsa_exception_fp_ieee_inexact 0
		.amdhsa_exception_int_div_zero 0
	.end_amdhsa_kernel
	.section	.text._ZN7rocprim17ROCPRIM_400000_NS6detail17trampoline_kernelINS0_14default_configENS1_29reduce_by_key_config_selectorIffN6thrust23THRUST_200600_302600_NS4plusIfEEEEZZNS1_33reduce_by_key_impl_wrapped_configILNS1_25lookback_scan_determinismE1ES3_S9_NS6_6detail15normal_iteratorINS6_10device_ptrIfEEEESG_SG_SG_PmS8_22is_equal_div_10_reduceIfEEE10hipError_tPvRmT2_T3_mT4_T5_T6_T7_T8_P12ihipStream_tbENKUlT_T0_E_clISt17integral_constantIbLb1EES10_IbLb0EEEEDaSW_SX_EUlSW_E_NS1_11comp_targetILNS1_3genE9ELNS1_11target_archE1100ELNS1_3gpuE3ELNS1_3repE0EEENS1_30default_config_static_selectorELNS0_4arch9wavefront6targetE1EEEvT1_,"axG",@progbits,_ZN7rocprim17ROCPRIM_400000_NS6detail17trampoline_kernelINS0_14default_configENS1_29reduce_by_key_config_selectorIffN6thrust23THRUST_200600_302600_NS4plusIfEEEEZZNS1_33reduce_by_key_impl_wrapped_configILNS1_25lookback_scan_determinismE1ES3_S9_NS6_6detail15normal_iteratorINS6_10device_ptrIfEEEESG_SG_SG_PmS8_22is_equal_div_10_reduceIfEEE10hipError_tPvRmT2_T3_mT4_T5_T6_T7_T8_P12ihipStream_tbENKUlT_T0_E_clISt17integral_constantIbLb1EES10_IbLb0EEEEDaSW_SX_EUlSW_E_NS1_11comp_targetILNS1_3genE9ELNS1_11target_archE1100ELNS1_3gpuE3ELNS1_3repE0EEENS1_30default_config_static_selectorELNS0_4arch9wavefront6targetE1EEEvT1_,comdat
.Lfunc_end153:
	.size	_ZN7rocprim17ROCPRIM_400000_NS6detail17trampoline_kernelINS0_14default_configENS1_29reduce_by_key_config_selectorIffN6thrust23THRUST_200600_302600_NS4plusIfEEEEZZNS1_33reduce_by_key_impl_wrapped_configILNS1_25lookback_scan_determinismE1ES3_S9_NS6_6detail15normal_iteratorINS6_10device_ptrIfEEEESG_SG_SG_PmS8_22is_equal_div_10_reduceIfEEE10hipError_tPvRmT2_T3_mT4_T5_T6_T7_T8_P12ihipStream_tbENKUlT_T0_E_clISt17integral_constantIbLb1EES10_IbLb0EEEEDaSW_SX_EUlSW_E_NS1_11comp_targetILNS1_3genE9ELNS1_11target_archE1100ELNS1_3gpuE3ELNS1_3repE0EEENS1_30default_config_static_selectorELNS0_4arch9wavefront6targetE1EEEvT1_, .Lfunc_end153-_ZN7rocprim17ROCPRIM_400000_NS6detail17trampoline_kernelINS0_14default_configENS1_29reduce_by_key_config_selectorIffN6thrust23THRUST_200600_302600_NS4plusIfEEEEZZNS1_33reduce_by_key_impl_wrapped_configILNS1_25lookback_scan_determinismE1ES3_S9_NS6_6detail15normal_iteratorINS6_10device_ptrIfEEEESG_SG_SG_PmS8_22is_equal_div_10_reduceIfEEE10hipError_tPvRmT2_T3_mT4_T5_T6_T7_T8_P12ihipStream_tbENKUlT_T0_E_clISt17integral_constantIbLb1EES10_IbLb0EEEEDaSW_SX_EUlSW_E_NS1_11comp_targetILNS1_3genE9ELNS1_11target_archE1100ELNS1_3gpuE3ELNS1_3repE0EEENS1_30default_config_static_selectorELNS0_4arch9wavefront6targetE1EEEvT1_
                                        ; -- End function
	.section	.AMDGPU.csdata,"",@progbits
; Kernel info:
; codeLenInByte = 0
; NumSgprs: 4
; NumVgprs: 0
; NumAgprs: 0
; TotalNumVgprs: 0
; ScratchSize: 0
; MemoryBound: 0
; FloatMode: 240
; IeeeMode: 1
; LDSByteSize: 0 bytes/workgroup (compile time only)
; SGPRBlocks: 0
; VGPRBlocks: 0
; NumSGPRsForWavesPerEU: 4
; NumVGPRsForWavesPerEU: 1
; AccumOffset: 4
; Occupancy: 8
; WaveLimiterHint : 0
; COMPUTE_PGM_RSRC2:SCRATCH_EN: 0
; COMPUTE_PGM_RSRC2:USER_SGPR: 6
; COMPUTE_PGM_RSRC2:TRAP_HANDLER: 0
; COMPUTE_PGM_RSRC2:TGID_X_EN: 1
; COMPUTE_PGM_RSRC2:TGID_Y_EN: 0
; COMPUTE_PGM_RSRC2:TGID_Z_EN: 0
; COMPUTE_PGM_RSRC2:TIDIG_COMP_CNT: 0
; COMPUTE_PGM_RSRC3_GFX90A:ACCUM_OFFSET: 0
; COMPUTE_PGM_RSRC3_GFX90A:TG_SPLIT: 0
	.section	.text._ZN7rocprim17ROCPRIM_400000_NS6detail17trampoline_kernelINS0_14default_configENS1_29reduce_by_key_config_selectorIffN6thrust23THRUST_200600_302600_NS4plusIfEEEEZZNS1_33reduce_by_key_impl_wrapped_configILNS1_25lookback_scan_determinismE1ES3_S9_NS6_6detail15normal_iteratorINS6_10device_ptrIfEEEESG_SG_SG_PmS8_22is_equal_div_10_reduceIfEEE10hipError_tPvRmT2_T3_mT4_T5_T6_T7_T8_P12ihipStream_tbENKUlT_T0_E_clISt17integral_constantIbLb1EES10_IbLb0EEEEDaSW_SX_EUlSW_E_NS1_11comp_targetILNS1_3genE8ELNS1_11target_archE1030ELNS1_3gpuE2ELNS1_3repE0EEENS1_30default_config_static_selectorELNS0_4arch9wavefront6targetE1EEEvT1_,"axG",@progbits,_ZN7rocprim17ROCPRIM_400000_NS6detail17trampoline_kernelINS0_14default_configENS1_29reduce_by_key_config_selectorIffN6thrust23THRUST_200600_302600_NS4plusIfEEEEZZNS1_33reduce_by_key_impl_wrapped_configILNS1_25lookback_scan_determinismE1ES3_S9_NS6_6detail15normal_iteratorINS6_10device_ptrIfEEEESG_SG_SG_PmS8_22is_equal_div_10_reduceIfEEE10hipError_tPvRmT2_T3_mT4_T5_T6_T7_T8_P12ihipStream_tbENKUlT_T0_E_clISt17integral_constantIbLb1EES10_IbLb0EEEEDaSW_SX_EUlSW_E_NS1_11comp_targetILNS1_3genE8ELNS1_11target_archE1030ELNS1_3gpuE2ELNS1_3repE0EEENS1_30default_config_static_selectorELNS0_4arch9wavefront6targetE1EEEvT1_,comdat
	.protected	_ZN7rocprim17ROCPRIM_400000_NS6detail17trampoline_kernelINS0_14default_configENS1_29reduce_by_key_config_selectorIffN6thrust23THRUST_200600_302600_NS4plusIfEEEEZZNS1_33reduce_by_key_impl_wrapped_configILNS1_25lookback_scan_determinismE1ES3_S9_NS6_6detail15normal_iteratorINS6_10device_ptrIfEEEESG_SG_SG_PmS8_22is_equal_div_10_reduceIfEEE10hipError_tPvRmT2_T3_mT4_T5_T6_T7_T8_P12ihipStream_tbENKUlT_T0_E_clISt17integral_constantIbLb1EES10_IbLb0EEEEDaSW_SX_EUlSW_E_NS1_11comp_targetILNS1_3genE8ELNS1_11target_archE1030ELNS1_3gpuE2ELNS1_3repE0EEENS1_30default_config_static_selectorELNS0_4arch9wavefront6targetE1EEEvT1_ ; -- Begin function _ZN7rocprim17ROCPRIM_400000_NS6detail17trampoline_kernelINS0_14default_configENS1_29reduce_by_key_config_selectorIffN6thrust23THRUST_200600_302600_NS4plusIfEEEEZZNS1_33reduce_by_key_impl_wrapped_configILNS1_25lookback_scan_determinismE1ES3_S9_NS6_6detail15normal_iteratorINS6_10device_ptrIfEEEESG_SG_SG_PmS8_22is_equal_div_10_reduceIfEEE10hipError_tPvRmT2_T3_mT4_T5_T6_T7_T8_P12ihipStream_tbENKUlT_T0_E_clISt17integral_constantIbLb1EES10_IbLb0EEEEDaSW_SX_EUlSW_E_NS1_11comp_targetILNS1_3genE8ELNS1_11target_archE1030ELNS1_3gpuE2ELNS1_3repE0EEENS1_30default_config_static_selectorELNS0_4arch9wavefront6targetE1EEEvT1_
	.globl	_ZN7rocprim17ROCPRIM_400000_NS6detail17trampoline_kernelINS0_14default_configENS1_29reduce_by_key_config_selectorIffN6thrust23THRUST_200600_302600_NS4plusIfEEEEZZNS1_33reduce_by_key_impl_wrapped_configILNS1_25lookback_scan_determinismE1ES3_S9_NS6_6detail15normal_iteratorINS6_10device_ptrIfEEEESG_SG_SG_PmS8_22is_equal_div_10_reduceIfEEE10hipError_tPvRmT2_T3_mT4_T5_T6_T7_T8_P12ihipStream_tbENKUlT_T0_E_clISt17integral_constantIbLb1EES10_IbLb0EEEEDaSW_SX_EUlSW_E_NS1_11comp_targetILNS1_3genE8ELNS1_11target_archE1030ELNS1_3gpuE2ELNS1_3repE0EEENS1_30default_config_static_selectorELNS0_4arch9wavefront6targetE1EEEvT1_
	.p2align	8
	.type	_ZN7rocprim17ROCPRIM_400000_NS6detail17trampoline_kernelINS0_14default_configENS1_29reduce_by_key_config_selectorIffN6thrust23THRUST_200600_302600_NS4plusIfEEEEZZNS1_33reduce_by_key_impl_wrapped_configILNS1_25lookback_scan_determinismE1ES3_S9_NS6_6detail15normal_iteratorINS6_10device_ptrIfEEEESG_SG_SG_PmS8_22is_equal_div_10_reduceIfEEE10hipError_tPvRmT2_T3_mT4_T5_T6_T7_T8_P12ihipStream_tbENKUlT_T0_E_clISt17integral_constantIbLb1EES10_IbLb0EEEEDaSW_SX_EUlSW_E_NS1_11comp_targetILNS1_3genE8ELNS1_11target_archE1030ELNS1_3gpuE2ELNS1_3repE0EEENS1_30default_config_static_selectorELNS0_4arch9wavefront6targetE1EEEvT1_,@function
_ZN7rocprim17ROCPRIM_400000_NS6detail17trampoline_kernelINS0_14default_configENS1_29reduce_by_key_config_selectorIffN6thrust23THRUST_200600_302600_NS4plusIfEEEEZZNS1_33reduce_by_key_impl_wrapped_configILNS1_25lookback_scan_determinismE1ES3_S9_NS6_6detail15normal_iteratorINS6_10device_ptrIfEEEESG_SG_SG_PmS8_22is_equal_div_10_reduceIfEEE10hipError_tPvRmT2_T3_mT4_T5_T6_T7_T8_P12ihipStream_tbENKUlT_T0_E_clISt17integral_constantIbLb1EES10_IbLb0EEEEDaSW_SX_EUlSW_E_NS1_11comp_targetILNS1_3genE8ELNS1_11target_archE1030ELNS1_3gpuE2ELNS1_3repE0EEENS1_30default_config_static_selectorELNS0_4arch9wavefront6targetE1EEEvT1_: ; @_ZN7rocprim17ROCPRIM_400000_NS6detail17trampoline_kernelINS0_14default_configENS1_29reduce_by_key_config_selectorIffN6thrust23THRUST_200600_302600_NS4plusIfEEEEZZNS1_33reduce_by_key_impl_wrapped_configILNS1_25lookback_scan_determinismE1ES3_S9_NS6_6detail15normal_iteratorINS6_10device_ptrIfEEEESG_SG_SG_PmS8_22is_equal_div_10_reduceIfEEE10hipError_tPvRmT2_T3_mT4_T5_T6_T7_T8_P12ihipStream_tbENKUlT_T0_E_clISt17integral_constantIbLb1EES10_IbLb0EEEEDaSW_SX_EUlSW_E_NS1_11comp_targetILNS1_3genE8ELNS1_11target_archE1030ELNS1_3gpuE2ELNS1_3repE0EEENS1_30default_config_static_selectorELNS0_4arch9wavefront6targetE1EEEvT1_
; %bb.0:
	.section	.rodata,"a",@progbits
	.p2align	6, 0x0
	.amdhsa_kernel _ZN7rocprim17ROCPRIM_400000_NS6detail17trampoline_kernelINS0_14default_configENS1_29reduce_by_key_config_selectorIffN6thrust23THRUST_200600_302600_NS4plusIfEEEEZZNS1_33reduce_by_key_impl_wrapped_configILNS1_25lookback_scan_determinismE1ES3_S9_NS6_6detail15normal_iteratorINS6_10device_ptrIfEEEESG_SG_SG_PmS8_22is_equal_div_10_reduceIfEEE10hipError_tPvRmT2_T3_mT4_T5_T6_T7_T8_P12ihipStream_tbENKUlT_T0_E_clISt17integral_constantIbLb1EES10_IbLb0EEEEDaSW_SX_EUlSW_E_NS1_11comp_targetILNS1_3genE8ELNS1_11target_archE1030ELNS1_3gpuE2ELNS1_3repE0EEENS1_30default_config_static_selectorELNS0_4arch9wavefront6targetE1EEEvT1_
		.amdhsa_group_segment_fixed_size 0
		.amdhsa_private_segment_fixed_size 0
		.amdhsa_kernarg_size 120
		.amdhsa_user_sgpr_count 6
		.amdhsa_user_sgpr_private_segment_buffer 1
		.amdhsa_user_sgpr_dispatch_ptr 0
		.amdhsa_user_sgpr_queue_ptr 0
		.amdhsa_user_sgpr_kernarg_segment_ptr 1
		.amdhsa_user_sgpr_dispatch_id 0
		.amdhsa_user_sgpr_flat_scratch_init 0
		.amdhsa_user_sgpr_kernarg_preload_length 0
		.amdhsa_user_sgpr_kernarg_preload_offset 0
		.amdhsa_user_sgpr_private_segment_size 0
		.amdhsa_uses_dynamic_stack 0
		.amdhsa_system_sgpr_private_segment_wavefront_offset 0
		.amdhsa_system_sgpr_workgroup_id_x 1
		.amdhsa_system_sgpr_workgroup_id_y 0
		.amdhsa_system_sgpr_workgroup_id_z 0
		.amdhsa_system_sgpr_workgroup_info 0
		.amdhsa_system_vgpr_workitem_id 0
		.amdhsa_next_free_vgpr 1
		.amdhsa_next_free_sgpr 0
		.amdhsa_accum_offset 4
		.amdhsa_reserve_vcc 0
		.amdhsa_reserve_flat_scratch 0
		.amdhsa_float_round_mode_32 0
		.amdhsa_float_round_mode_16_64 0
		.amdhsa_float_denorm_mode_32 3
		.amdhsa_float_denorm_mode_16_64 3
		.amdhsa_dx10_clamp 1
		.amdhsa_ieee_mode 1
		.amdhsa_fp16_overflow 0
		.amdhsa_tg_split 0
		.amdhsa_exception_fp_ieee_invalid_op 0
		.amdhsa_exception_fp_denorm_src 0
		.amdhsa_exception_fp_ieee_div_zero 0
		.amdhsa_exception_fp_ieee_overflow 0
		.amdhsa_exception_fp_ieee_underflow 0
		.amdhsa_exception_fp_ieee_inexact 0
		.amdhsa_exception_int_div_zero 0
	.end_amdhsa_kernel
	.section	.text._ZN7rocprim17ROCPRIM_400000_NS6detail17trampoline_kernelINS0_14default_configENS1_29reduce_by_key_config_selectorIffN6thrust23THRUST_200600_302600_NS4plusIfEEEEZZNS1_33reduce_by_key_impl_wrapped_configILNS1_25lookback_scan_determinismE1ES3_S9_NS6_6detail15normal_iteratorINS6_10device_ptrIfEEEESG_SG_SG_PmS8_22is_equal_div_10_reduceIfEEE10hipError_tPvRmT2_T3_mT4_T5_T6_T7_T8_P12ihipStream_tbENKUlT_T0_E_clISt17integral_constantIbLb1EES10_IbLb0EEEEDaSW_SX_EUlSW_E_NS1_11comp_targetILNS1_3genE8ELNS1_11target_archE1030ELNS1_3gpuE2ELNS1_3repE0EEENS1_30default_config_static_selectorELNS0_4arch9wavefront6targetE1EEEvT1_,"axG",@progbits,_ZN7rocprim17ROCPRIM_400000_NS6detail17trampoline_kernelINS0_14default_configENS1_29reduce_by_key_config_selectorIffN6thrust23THRUST_200600_302600_NS4plusIfEEEEZZNS1_33reduce_by_key_impl_wrapped_configILNS1_25lookback_scan_determinismE1ES3_S9_NS6_6detail15normal_iteratorINS6_10device_ptrIfEEEESG_SG_SG_PmS8_22is_equal_div_10_reduceIfEEE10hipError_tPvRmT2_T3_mT4_T5_T6_T7_T8_P12ihipStream_tbENKUlT_T0_E_clISt17integral_constantIbLb1EES10_IbLb0EEEEDaSW_SX_EUlSW_E_NS1_11comp_targetILNS1_3genE8ELNS1_11target_archE1030ELNS1_3gpuE2ELNS1_3repE0EEENS1_30default_config_static_selectorELNS0_4arch9wavefront6targetE1EEEvT1_,comdat
.Lfunc_end154:
	.size	_ZN7rocprim17ROCPRIM_400000_NS6detail17trampoline_kernelINS0_14default_configENS1_29reduce_by_key_config_selectorIffN6thrust23THRUST_200600_302600_NS4plusIfEEEEZZNS1_33reduce_by_key_impl_wrapped_configILNS1_25lookback_scan_determinismE1ES3_S9_NS6_6detail15normal_iteratorINS6_10device_ptrIfEEEESG_SG_SG_PmS8_22is_equal_div_10_reduceIfEEE10hipError_tPvRmT2_T3_mT4_T5_T6_T7_T8_P12ihipStream_tbENKUlT_T0_E_clISt17integral_constantIbLb1EES10_IbLb0EEEEDaSW_SX_EUlSW_E_NS1_11comp_targetILNS1_3genE8ELNS1_11target_archE1030ELNS1_3gpuE2ELNS1_3repE0EEENS1_30default_config_static_selectorELNS0_4arch9wavefront6targetE1EEEvT1_, .Lfunc_end154-_ZN7rocprim17ROCPRIM_400000_NS6detail17trampoline_kernelINS0_14default_configENS1_29reduce_by_key_config_selectorIffN6thrust23THRUST_200600_302600_NS4plusIfEEEEZZNS1_33reduce_by_key_impl_wrapped_configILNS1_25lookback_scan_determinismE1ES3_S9_NS6_6detail15normal_iteratorINS6_10device_ptrIfEEEESG_SG_SG_PmS8_22is_equal_div_10_reduceIfEEE10hipError_tPvRmT2_T3_mT4_T5_T6_T7_T8_P12ihipStream_tbENKUlT_T0_E_clISt17integral_constantIbLb1EES10_IbLb0EEEEDaSW_SX_EUlSW_E_NS1_11comp_targetILNS1_3genE8ELNS1_11target_archE1030ELNS1_3gpuE2ELNS1_3repE0EEENS1_30default_config_static_selectorELNS0_4arch9wavefront6targetE1EEEvT1_
                                        ; -- End function
	.section	.AMDGPU.csdata,"",@progbits
; Kernel info:
; codeLenInByte = 0
; NumSgprs: 4
; NumVgprs: 0
; NumAgprs: 0
; TotalNumVgprs: 0
; ScratchSize: 0
; MemoryBound: 0
; FloatMode: 240
; IeeeMode: 1
; LDSByteSize: 0 bytes/workgroup (compile time only)
; SGPRBlocks: 0
; VGPRBlocks: 0
; NumSGPRsForWavesPerEU: 4
; NumVGPRsForWavesPerEU: 1
; AccumOffset: 4
; Occupancy: 8
; WaveLimiterHint : 0
; COMPUTE_PGM_RSRC2:SCRATCH_EN: 0
; COMPUTE_PGM_RSRC2:USER_SGPR: 6
; COMPUTE_PGM_RSRC2:TRAP_HANDLER: 0
; COMPUTE_PGM_RSRC2:TGID_X_EN: 1
; COMPUTE_PGM_RSRC2:TGID_Y_EN: 0
; COMPUTE_PGM_RSRC2:TGID_Z_EN: 0
; COMPUTE_PGM_RSRC2:TIDIG_COMP_CNT: 0
; COMPUTE_PGM_RSRC3_GFX90A:ACCUM_OFFSET: 0
; COMPUTE_PGM_RSRC3_GFX90A:TG_SPLIT: 0
	.section	.text._ZN7rocprim17ROCPRIM_400000_NS6detail17trampoline_kernelINS0_14default_configENS1_29reduce_by_key_config_selectorIffN6thrust23THRUST_200600_302600_NS4plusIfEEEEZZNS1_33reduce_by_key_impl_wrapped_configILNS1_25lookback_scan_determinismE1ES3_S9_NS6_6detail15normal_iteratorINS6_10device_ptrIfEEEESG_SG_SG_PmS8_22is_equal_div_10_reduceIfEEE10hipError_tPvRmT2_T3_mT4_T5_T6_T7_T8_P12ihipStream_tbENKUlT_T0_E_clISt17integral_constantIbLb0EES10_IbLb1EEEEDaSW_SX_EUlSW_E_NS1_11comp_targetILNS1_3genE0ELNS1_11target_archE4294967295ELNS1_3gpuE0ELNS1_3repE0EEENS1_30default_config_static_selectorELNS0_4arch9wavefront6targetE1EEEvT1_,"axG",@progbits,_ZN7rocprim17ROCPRIM_400000_NS6detail17trampoline_kernelINS0_14default_configENS1_29reduce_by_key_config_selectorIffN6thrust23THRUST_200600_302600_NS4plusIfEEEEZZNS1_33reduce_by_key_impl_wrapped_configILNS1_25lookback_scan_determinismE1ES3_S9_NS6_6detail15normal_iteratorINS6_10device_ptrIfEEEESG_SG_SG_PmS8_22is_equal_div_10_reduceIfEEE10hipError_tPvRmT2_T3_mT4_T5_T6_T7_T8_P12ihipStream_tbENKUlT_T0_E_clISt17integral_constantIbLb0EES10_IbLb1EEEEDaSW_SX_EUlSW_E_NS1_11comp_targetILNS1_3genE0ELNS1_11target_archE4294967295ELNS1_3gpuE0ELNS1_3repE0EEENS1_30default_config_static_selectorELNS0_4arch9wavefront6targetE1EEEvT1_,comdat
	.protected	_ZN7rocprim17ROCPRIM_400000_NS6detail17trampoline_kernelINS0_14default_configENS1_29reduce_by_key_config_selectorIffN6thrust23THRUST_200600_302600_NS4plusIfEEEEZZNS1_33reduce_by_key_impl_wrapped_configILNS1_25lookback_scan_determinismE1ES3_S9_NS6_6detail15normal_iteratorINS6_10device_ptrIfEEEESG_SG_SG_PmS8_22is_equal_div_10_reduceIfEEE10hipError_tPvRmT2_T3_mT4_T5_T6_T7_T8_P12ihipStream_tbENKUlT_T0_E_clISt17integral_constantIbLb0EES10_IbLb1EEEEDaSW_SX_EUlSW_E_NS1_11comp_targetILNS1_3genE0ELNS1_11target_archE4294967295ELNS1_3gpuE0ELNS1_3repE0EEENS1_30default_config_static_selectorELNS0_4arch9wavefront6targetE1EEEvT1_ ; -- Begin function _ZN7rocprim17ROCPRIM_400000_NS6detail17trampoline_kernelINS0_14default_configENS1_29reduce_by_key_config_selectorIffN6thrust23THRUST_200600_302600_NS4plusIfEEEEZZNS1_33reduce_by_key_impl_wrapped_configILNS1_25lookback_scan_determinismE1ES3_S9_NS6_6detail15normal_iteratorINS6_10device_ptrIfEEEESG_SG_SG_PmS8_22is_equal_div_10_reduceIfEEE10hipError_tPvRmT2_T3_mT4_T5_T6_T7_T8_P12ihipStream_tbENKUlT_T0_E_clISt17integral_constantIbLb0EES10_IbLb1EEEEDaSW_SX_EUlSW_E_NS1_11comp_targetILNS1_3genE0ELNS1_11target_archE4294967295ELNS1_3gpuE0ELNS1_3repE0EEENS1_30default_config_static_selectorELNS0_4arch9wavefront6targetE1EEEvT1_
	.globl	_ZN7rocprim17ROCPRIM_400000_NS6detail17trampoline_kernelINS0_14default_configENS1_29reduce_by_key_config_selectorIffN6thrust23THRUST_200600_302600_NS4plusIfEEEEZZNS1_33reduce_by_key_impl_wrapped_configILNS1_25lookback_scan_determinismE1ES3_S9_NS6_6detail15normal_iteratorINS6_10device_ptrIfEEEESG_SG_SG_PmS8_22is_equal_div_10_reduceIfEEE10hipError_tPvRmT2_T3_mT4_T5_T6_T7_T8_P12ihipStream_tbENKUlT_T0_E_clISt17integral_constantIbLb0EES10_IbLb1EEEEDaSW_SX_EUlSW_E_NS1_11comp_targetILNS1_3genE0ELNS1_11target_archE4294967295ELNS1_3gpuE0ELNS1_3repE0EEENS1_30default_config_static_selectorELNS0_4arch9wavefront6targetE1EEEvT1_
	.p2align	8
	.type	_ZN7rocprim17ROCPRIM_400000_NS6detail17trampoline_kernelINS0_14default_configENS1_29reduce_by_key_config_selectorIffN6thrust23THRUST_200600_302600_NS4plusIfEEEEZZNS1_33reduce_by_key_impl_wrapped_configILNS1_25lookback_scan_determinismE1ES3_S9_NS6_6detail15normal_iteratorINS6_10device_ptrIfEEEESG_SG_SG_PmS8_22is_equal_div_10_reduceIfEEE10hipError_tPvRmT2_T3_mT4_T5_T6_T7_T8_P12ihipStream_tbENKUlT_T0_E_clISt17integral_constantIbLb0EES10_IbLb1EEEEDaSW_SX_EUlSW_E_NS1_11comp_targetILNS1_3genE0ELNS1_11target_archE4294967295ELNS1_3gpuE0ELNS1_3repE0EEENS1_30default_config_static_selectorELNS0_4arch9wavefront6targetE1EEEvT1_,@function
_ZN7rocprim17ROCPRIM_400000_NS6detail17trampoline_kernelINS0_14default_configENS1_29reduce_by_key_config_selectorIffN6thrust23THRUST_200600_302600_NS4plusIfEEEEZZNS1_33reduce_by_key_impl_wrapped_configILNS1_25lookback_scan_determinismE1ES3_S9_NS6_6detail15normal_iteratorINS6_10device_ptrIfEEEESG_SG_SG_PmS8_22is_equal_div_10_reduceIfEEE10hipError_tPvRmT2_T3_mT4_T5_T6_T7_T8_P12ihipStream_tbENKUlT_T0_E_clISt17integral_constantIbLb0EES10_IbLb1EEEEDaSW_SX_EUlSW_E_NS1_11comp_targetILNS1_3genE0ELNS1_11target_archE4294967295ELNS1_3gpuE0ELNS1_3repE0EEENS1_30default_config_static_selectorELNS0_4arch9wavefront6targetE1EEEvT1_: ; @_ZN7rocprim17ROCPRIM_400000_NS6detail17trampoline_kernelINS0_14default_configENS1_29reduce_by_key_config_selectorIffN6thrust23THRUST_200600_302600_NS4plusIfEEEEZZNS1_33reduce_by_key_impl_wrapped_configILNS1_25lookback_scan_determinismE1ES3_S9_NS6_6detail15normal_iteratorINS6_10device_ptrIfEEEESG_SG_SG_PmS8_22is_equal_div_10_reduceIfEEE10hipError_tPvRmT2_T3_mT4_T5_T6_T7_T8_P12ihipStream_tbENKUlT_T0_E_clISt17integral_constantIbLb0EES10_IbLb1EEEEDaSW_SX_EUlSW_E_NS1_11comp_targetILNS1_3genE0ELNS1_11target_archE4294967295ELNS1_3gpuE0ELNS1_3repE0EEENS1_30default_config_static_selectorELNS0_4arch9wavefront6targetE1EEEvT1_
; %bb.0:
	.section	.rodata,"a",@progbits
	.p2align	6, 0x0
	.amdhsa_kernel _ZN7rocprim17ROCPRIM_400000_NS6detail17trampoline_kernelINS0_14default_configENS1_29reduce_by_key_config_selectorIffN6thrust23THRUST_200600_302600_NS4plusIfEEEEZZNS1_33reduce_by_key_impl_wrapped_configILNS1_25lookback_scan_determinismE1ES3_S9_NS6_6detail15normal_iteratorINS6_10device_ptrIfEEEESG_SG_SG_PmS8_22is_equal_div_10_reduceIfEEE10hipError_tPvRmT2_T3_mT4_T5_T6_T7_T8_P12ihipStream_tbENKUlT_T0_E_clISt17integral_constantIbLb0EES10_IbLb1EEEEDaSW_SX_EUlSW_E_NS1_11comp_targetILNS1_3genE0ELNS1_11target_archE4294967295ELNS1_3gpuE0ELNS1_3repE0EEENS1_30default_config_static_selectorELNS0_4arch9wavefront6targetE1EEEvT1_
		.amdhsa_group_segment_fixed_size 0
		.amdhsa_private_segment_fixed_size 0
		.amdhsa_kernarg_size 120
		.amdhsa_user_sgpr_count 6
		.amdhsa_user_sgpr_private_segment_buffer 1
		.amdhsa_user_sgpr_dispatch_ptr 0
		.amdhsa_user_sgpr_queue_ptr 0
		.amdhsa_user_sgpr_kernarg_segment_ptr 1
		.amdhsa_user_sgpr_dispatch_id 0
		.amdhsa_user_sgpr_flat_scratch_init 0
		.amdhsa_user_sgpr_kernarg_preload_length 0
		.amdhsa_user_sgpr_kernarg_preload_offset 0
		.amdhsa_user_sgpr_private_segment_size 0
		.amdhsa_uses_dynamic_stack 0
		.amdhsa_system_sgpr_private_segment_wavefront_offset 0
		.amdhsa_system_sgpr_workgroup_id_x 1
		.amdhsa_system_sgpr_workgroup_id_y 0
		.amdhsa_system_sgpr_workgroup_id_z 0
		.amdhsa_system_sgpr_workgroup_info 0
		.amdhsa_system_vgpr_workitem_id 0
		.amdhsa_next_free_vgpr 1
		.amdhsa_next_free_sgpr 0
		.amdhsa_accum_offset 4
		.amdhsa_reserve_vcc 0
		.amdhsa_reserve_flat_scratch 0
		.amdhsa_float_round_mode_32 0
		.amdhsa_float_round_mode_16_64 0
		.amdhsa_float_denorm_mode_32 3
		.amdhsa_float_denorm_mode_16_64 3
		.amdhsa_dx10_clamp 1
		.amdhsa_ieee_mode 1
		.amdhsa_fp16_overflow 0
		.amdhsa_tg_split 0
		.amdhsa_exception_fp_ieee_invalid_op 0
		.amdhsa_exception_fp_denorm_src 0
		.amdhsa_exception_fp_ieee_div_zero 0
		.amdhsa_exception_fp_ieee_overflow 0
		.amdhsa_exception_fp_ieee_underflow 0
		.amdhsa_exception_fp_ieee_inexact 0
		.amdhsa_exception_int_div_zero 0
	.end_amdhsa_kernel
	.section	.text._ZN7rocprim17ROCPRIM_400000_NS6detail17trampoline_kernelINS0_14default_configENS1_29reduce_by_key_config_selectorIffN6thrust23THRUST_200600_302600_NS4plusIfEEEEZZNS1_33reduce_by_key_impl_wrapped_configILNS1_25lookback_scan_determinismE1ES3_S9_NS6_6detail15normal_iteratorINS6_10device_ptrIfEEEESG_SG_SG_PmS8_22is_equal_div_10_reduceIfEEE10hipError_tPvRmT2_T3_mT4_T5_T6_T7_T8_P12ihipStream_tbENKUlT_T0_E_clISt17integral_constantIbLb0EES10_IbLb1EEEEDaSW_SX_EUlSW_E_NS1_11comp_targetILNS1_3genE0ELNS1_11target_archE4294967295ELNS1_3gpuE0ELNS1_3repE0EEENS1_30default_config_static_selectorELNS0_4arch9wavefront6targetE1EEEvT1_,"axG",@progbits,_ZN7rocprim17ROCPRIM_400000_NS6detail17trampoline_kernelINS0_14default_configENS1_29reduce_by_key_config_selectorIffN6thrust23THRUST_200600_302600_NS4plusIfEEEEZZNS1_33reduce_by_key_impl_wrapped_configILNS1_25lookback_scan_determinismE1ES3_S9_NS6_6detail15normal_iteratorINS6_10device_ptrIfEEEESG_SG_SG_PmS8_22is_equal_div_10_reduceIfEEE10hipError_tPvRmT2_T3_mT4_T5_T6_T7_T8_P12ihipStream_tbENKUlT_T0_E_clISt17integral_constantIbLb0EES10_IbLb1EEEEDaSW_SX_EUlSW_E_NS1_11comp_targetILNS1_3genE0ELNS1_11target_archE4294967295ELNS1_3gpuE0ELNS1_3repE0EEENS1_30default_config_static_selectorELNS0_4arch9wavefront6targetE1EEEvT1_,comdat
.Lfunc_end155:
	.size	_ZN7rocprim17ROCPRIM_400000_NS6detail17trampoline_kernelINS0_14default_configENS1_29reduce_by_key_config_selectorIffN6thrust23THRUST_200600_302600_NS4plusIfEEEEZZNS1_33reduce_by_key_impl_wrapped_configILNS1_25lookback_scan_determinismE1ES3_S9_NS6_6detail15normal_iteratorINS6_10device_ptrIfEEEESG_SG_SG_PmS8_22is_equal_div_10_reduceIfEEE10hipError_tPvRmT2_T3_mT4_T5_T6_T7_T8_P12ihipStream_tbENKUlT_T0_E_clISt17integral_constantIbLb0EES10_IbLb1EEEEDaSW_SX_EUlSW_E_NS1_11comp_targetILNS1_3genE0ELNS1_11target_archE4294967295ELNS1_3gpuE0ELNS1_3repE0EEENS1_30default_config_static_selectorELNS0_4arch9wavefront6targetE1EEEvT1_, .Lfunc_end155-_ZN7rocprim17ROCPRIM_400000_NS6detail17trampoline_kernelINS0_14default_configENS1_29reduce_by_key_config_selectorIffN6thrust23THRUST_200600_302600_NS4plusIfEEEEZZNS1_33reduce_by_key_impl_wrapped_configILNS1_25lookback_scan_determinismE1ES3_S9_NS6_6detail15normal_iteratorINS6_10device_ptrIfEEEESG_SG_SG_PmS8_22is_equal_div_10_reduceIfEEE10hipError_tPvRmT2_T3_mT4_T5_T6_T7_T8_P12ihipStream_tbENKUlT_T0_E_clISt17integral_constantIbLb0EES10_IbLb1EEEEDaSW_SX_EUlSW_E_NS1_11comp_targetILNS1_3genE0ELNS1_11target_archE4294967295ELNS1_3gpuE0ELNS1_3repE0EEENS1_30default_config_static_selectorELNS0_4arch9wavefront6targetE1EEEvT1_
                                        ; -- End function
	.section	.AMDGPU.csdata,"",@progbits
; Kernel info:
; codeLenInByte = 0
; NumSgprs: 4
; NumVgprs: 0
; NumAgprs: 0
; TotalNumVgprs: 0
; ScratchSize: 0
; MemoryBound: 0
; FloatMode: 240
; IeeeMode: 1
; LDSByteSize: 0 bytes/workgroup (compile time only)
; SGPRBlocks: 0
; VGPRBlocks: 0
; NumSGPRsForWavesPerEU: 4
; NumVGPRsForWavesPerEU: 1
; AccumOffset: 4
; Occupancy: 8
; WaveLimiterHint : 0
; COMPUTE_PGM_RSRC2:SCRATCH_EN: 0
; COMPUTE_PGM_RSRC2:USER_SGPR: 6
; COMPUTE_PGM_RSRC2:TRAP_HANDLER: 0
; COMPUTE_PGM_RSRC2:TGID_X_EN: 1
; COMPUTE_PGM_RSRC2:TGID_Y_EN: 0
; COMPUTE_PGM_RSRC2:TGID_Z_EN: 0
; COMPUTE_PGM_RSRC2:TIDIG_COMP_CNT: 0
; COMPUTE_PGM_RSRC3_GFX90A:ACCUM_OFFSET: 0
; COMPUTE_PGM_RSRC3_GFX90A:TG_SPLIT: 0
	.section	.text._ZN7rocprim17ROCPRIM_400000_NS6detail17trampoline_kernelINS0_14default_configENS1_29reduce_by_key_config_selectorIffN6thrust23THRUST_200600_302600_NS4plusIfEEEEZZNS1_33reduce_by_key_impl_wrapped_configILNS1_25lookback_scan_determinismE1ES3_S9_NS6_6detail15normal_iteratorINS6_10device_ptrIfEEEESG_SG_SG_PmS8_22is_equal_div_10_reduceIfEEE10hipError_tPvRmT2_T3_mT4_T5_T6_T7_T8_P12ihipStream_tbENKUlT_T0_E_clISt17integral_constantIbLb0EES10_IbLb1EEEEDaSW_SX_EUlSW_E_NS1_11comp_targetILNS1_3genE5ELNS1_11target_archE942ELNS1_3gpuE9ELNS1_3repE0EEENS1_30default_config_static_selectorELNS0_4arch9wavefront6targetE1EEEvT1_,"axG",@progbits,_ZN7rocprim17ROCPRIM_400000_NS6detail17trampoline_kernelINS0_14default_configENS1_29reduce_by_key_config_selectorIffN6thrust23THRUST_200600_302600_NS4plusIfEEEEZZNS1_33reduce_by_key_impl_wrapped_configILNS1_25lookback_scan_determinismE1ES3_S9_NS6_6detail15normal_iteratorINS6_10device_ptrIfEEEESG_SG_SG_PmS8_22is_equal_div_10_reduceIfEEE10hipError_tPvRmT2_T3_mT4_T5_T6_T7_T8_P12ihipStream_tbENKUlT_T0_E_clISt17integral_constantIbLb0EES10_IbLb1EEEEDaSW_SX_EUlSW_E_NS1_11comp_targetILNS1_3genE5ELNS1_11target_archE942ELNS1_3gpuE9ELNS1_3repE0EEENS1_30default_config_static_selectorELNS0_4arch9wavefront6targetE1EEEvT1_,comdat
	.protected	_ZN7rocprim17ROCPRIM_400000_NS6detail17trampoline_kernelINS0_14default_configENS1_29reduce_by_key_config_selectorIffN6thrust23THRUST_200600_302600_NS4plusIfEEEEZZNS1_33reduce_by_key_impl_wrapped_configILNS1_25lookback_scan_determinismE1ES3_S9_NS6_6detail15normal_iteratorINS6_10device_ptrIfEEEESG_SG_SG_PmS8_22is_equal_div_10_reduceIfEEE10hipError_tPvRmT2_T3_mT4_T5_T6_T7_T8_P12ihipStream_tbENKUlT_T0_E_clISt17integral_constantIbLb0EES10_IbLb1EEEEDaSW_SX_EUlSW_E_NS1_11comp_targetILNS1_3genE5ELNS1_11target_archE942ELNS1_3gpuE9ELNS1_3repE0EEENS1_30default_config_static_selectorELNS0_4arch9wavefront6targetE1EEEvT1_ ; -- Begin function _ZN7rocprim17ROCPRIM_400000_NS6detail17trampoline_kernelINS0_14default_configENS1_29reduce_by_key_config_selectorIffN6thrust23THRUST_200600_302600_NS4plusIfEEEEZZNS1_33reduce_by_key_impl_wrapped_configILNS1_25lookback_scan_determinismE1ES3_S9_NS6_6detail15normal_iteratorINS6_10device_ptrIfEEEESG_SG_SG_PmS8_22is_equal_div_10_reduceIfEEE10hipError_tPvRmT2_T3_mT4_T5_T6_T7_T8_P12ihipStream_tbENKUlT_T0_E_clISt17integral_constantIbLb0EES10_IbLb1EEEEDaSW_SX_EUlSW_E_NS1_11comp_targetILNS1_3genE5ELNS1_11target_archE942ELNS1_3gpuE9ELNS1_3repE0EEENS1_30default_config_static_selectorELNS0_4arch9wavefront6targetE1EEEvT1_
	.globl	_ZN7rocprim17ROCPRIM_400000_NS6detail17trampoline_kernelINS0_14default_configENS1_29reduce_by_key_config_selectorIffN6thrust23THRUST_200600_302600_NS4plusIfEEEEZZNS1_33reduce_by_key_impl_wrapped_configILNS1_25lookback_scan_determinismE1ES3_S9_NS6_6detail15normal_iteratorINS6_10device_ptrIfEEEESG_SG_SG_PmS8_22is_equal_div_10_reduceIfEEE10hipError_tPvRmT2_T3_mT4_T5_T6_T7_T8_P12ihipStream_tbENKUlT_T0_E_clISt17integral_constantIbLb0EES10_IbLb1EEEEDaSW_SX_EUlSW_E_NS1_11comp_targetILNS1_3genE5ELNS1_11target_archE942ELNS1_3gpuE9ELNS1_3repE0EEENS1_30default_config_static_selectorELNS0_4arch9wavefront6targetE1EEEvT1_
	.p2align	8
	.type	_ZN7rocprim17ROCPRIM_400000_NS6detail17trampoline_kernelINS0_14default_configENS1_29reduce_by_key_config_selectorIffN6thrust23THRUST_200600_302600_NS4plusIfEEEEZZNS1_33reduce_by_key_impl_wrapped_configILNS1_25lookback_scan_determinismE1ES3_S9_NS6_6detail15normal_iteratorINS6_10device_ptrIfEEEESG_SG_SG_PmS8_22is_equal_div_10_reduceIfEEE10hipError_tPvRmT2_T3_mT4_T5_T6_T7_T8_P12ihipStream_tbENKUlT_T0_E_clISt17integral_constantIbLb0EES10_IbLb1EEEEDaSW_SX_EUlSW_E_NS1_11comp_targetILNS1_3genE5ELNS1_11target_archE942ELNS1_3gpuE9ELNS1_3repE0EEENS1_30default_config_static_selectorELNS0_4arch9wavefront6targetE1EEEvT1_,@function
_ZN7rocprim17ROCPRIM_400000_NS6detail17trampoline_kernelINS0_14default_configENS1_29reduce_by_key_config_selectorIffN6thrust23THRUST_200600_302600_NS4plusIfEEEEZZNS1_33reduce_by_key_impl_wrapped_configILNS1_25lookback_scan_determinismE1ES3_S9_NS6_6detail15normal_iteratorINS6_10device_ptrIfEEEESG_SG_SG_PmS8_22is_equal_div_10_reduceIfEEE10hipError_tPvRmT2_T3_mT4_T5_T6_T7_T8_P12ihipStream_tbENKUlT_T0_E_clISt17integral_constantIbLb0EES10_IbLb1EEEEDaSW_SX_EUlSW_E_NS1_11comp_targetILNS1_3genE5ELNS1_11target_archE942ELNS1_3gpuE9ELNS1_3repE0EEENS1_30default_config_static_selectorELNS0_4arch9wavefront6targetE1EEEvT1_: ; @_ZN7rocprim17ROCPRIM_400000_NS6detail17trampoline_kernelINS0_14default_configENS1_29reduce_by_key_config_selectorIffN6thrust23THRUST_200600_302600_NS4plusIfEEEEZZNS1_33reduce_by_key_impl_wrapped_configILNS1_25lookback_scan_determinismE1ES3_S9_NS6_6detail15normal_iteratorINS6_10device_ptrIfEEEESG_SG_SG_PmS8_22is_equal_div_10_reduceIfEEE10hipError_tPvRmT2_T3_mT4_T5_T6_T7_T8_P12ihipStream_tbENKUlT_T0_E_clISt17integral_constantIbLb0EES10_IbLb1EEEEDaSW_SX_EUlSW_E_NS1_11comp_targetILNS1_3genE5ELNS1_11target_archE942ELNS1_3gpuE9ELNS1_3repE0EEENS1_30default_config_static_selectorELNS0_4arch9wavefront6targetE1EEEvT1_
; %bb.0:
	.section	.rodata,"a",@progbits
	.p2align	6, 0x0
	.amdhsa_kernel _ZN7rocprim17ROCPRIM_400000_NS6detail17trampoline_kernelINS0_14default_configENS1_29reduce_by_key_config_selectorIffN6thrust23THRUST_200600_302600_NS4plusIfEEEEZZNS1_33reduce_by_key_impl_wrapped_configILNS1_25lookback_scan_determinismE1ES3_S9_NS6_6detail15normal_iteratorINS6_10device_ptrIfEEEESG_SG_SG_PmS8_22is_equal_div_10_reduceIfEEE10hipError_tPvRmT2_T3_mT4_T5_T6_T7_T8_P12ihipStream_tbENKUlT_T0_E_clISt17integral_constantIbLb0EES10_IbLb1EEEEDaSW_SX_EUlSW_E_NS1_11comp_targetILNS1_3genE5ELNS1_11target_archE942ELNS1_3gpuE9ELNS1_3repE0EEENS1_30default_config_static_selectorELNS0_4arch9wavefront6targetE1EEEvT1_
		.amdhsa_group_segment_fixed_size 0
		.amdhsa_private_segment_fixed_size 0
		.amdhsa_kernarg_size 120
		.amdhsa_user_sgpr_count 6
		.amdhsa_user_sgpr_private_segment_buffer 1
		.amdhsa_user_sgpr_dispatch_ptr 0
		.amdhsa_user_sgpr_queue_ptr 0
		.amdhsa_user_sgpr_kernarg_segment_ptr 1
		.amdhsa_user_sgpr_dispatch_id 0
		.amdhsa_user_sgpr_flat_scratch_init 0
		.amdhsa_user_sgpr_kernarg_preload_length 0
		.amdhsa_user_sgpr_kernarg_preload_offset 0
		.amdhsa_user_sgpr_private_segment_size 0
		.amdhsa_uses_dynamic_stack 0
		.amdhsa_system_sgpr_private_segment_wavefront_offset 0
		.amdhsa_system_sgpr_workgroup_id_x 1
		.amdhsa_system_sgpr_workgroup_id_y 0
		.amdhsa_system_sgpr_workgroup_id_z 0
		.amdhsa_system_sgpr_workgroup_info 0
		.amdhsa_system_vgpr_workitem_id 0
		.amdhsa_next_free_vgpr 1
		.amdhsa_next_free_sgpr 0
		.amdhsa_accum_offset 4
		.amdhsa_reserve_vcc 0
		.amdhsa_reserve_flat_scratch 0
		.amdhsa_float_round_mode_32 0
		.amdhsa_float_round_mode_16_64 0
		.amdhsa_float_denorm_mode_32 3
		.amdhsa_float_denorm_mode_16_64 3
		.amdhsa_dx10_clamp 1
		.amdhsa_ieee_mode 1
		.amdhsa_fp16_overflow 0
		.amdhsa_tg_split 0
		.amdhsa_exception_fp_ieee_invalid_op 0
		.amdhsa_exception_fp_denorm_src 0
		.amdhsa_exception_fp_ieee_div_zero 0
		.amdhsa_exception_fp_ieee_overflow 0
		.amdhsa_exception_fp_ieee_underflow 0
		.amdhsa_exception_fp_ieee_inexact 0
		.amdhsa_exception_int_div_zero 0
	.end_amdhsa_kernel
	.section	.text._ZN7rocprim17ROCPRIM_400000_NS6detail17trampoline_kernelINS0_14default_configENS1_29reduce_by_key_config_selectorIffN6thrust23THRUST_200600_302600_NS4plusIfEEEEZZNS1_33reduce_by_key_impl_wrapped_configILNS1_25lookback_scan_determinismE1ES3_S9_NS6_6detail15normal_iteratorINS6_10device_ptrIfEEEESG_SG_SG_PmS8_22is_equal_div_10_reduceIfEEE10hipError_tPvRmT2_T3_mT4_T5_T6_T7_T8_P12ihipStream_tbENKUlT_T0_E_clISt17integral_constantIbLb0EES10_IbLb1EEEEDaSW_SX_EUlSW_E_NS1_11comp_targetILNS1_3genE5ELNS1_11target_archE942ELNS1_3gpuE9ELNS1_3repE0EEENS1_30default_config_static_selectorELNS0_4arch9wavefront6targetE1EEEvT1_,"axG",@progbits,_ZN7rocprim17ROCPRIM_400000_NS6detail17trampoline_kernelINS0_14default_configENS1_29reduce_by_key_config_selectorIffN6thrust23THRUST_200600_302600_NS4plusIfEEEEZZNS1_33reduce_by_key_impl_wrapped_configILNS1_25lookback_scan_determinismE1ES3_S9_NS6_6detail15normal_iteratorINS6_10device_ptrIfEEEESG_SG_SG_PmS8_22is_equal_div_10_reduceIfEEE10hipError_tPvRmT2_T3_mT4_T5_T6_T7_T8_P12ihipStream_tbENKUlT_T0_E_clISt17integral_constantIbLb0EES10_IbLb1EEEEDaSW_SX_EUlSW_E_NS1_11comp_targetILNS1_3genE5ELNS1_11target_archE942ELNS1_3gpuE9ELNS1_3repE0EEENS1_30default_config_static_selectorELNS0_4arch9wavefront6targetE1EEEvT1_,comdat
.Lfunc_end156:
	.size	_ZN7rocprim17ROCPRIM_400000_NS6detail17trampoline_kernelINS0_14default_configENS1_29reduce_by_key_config_selectorIffN6thrust23THRUST_200600_302600_NS4plusIfEEEEZZNS1_33reduce_by_key_impl_wrapped_configILNS1_25lookback_scan_determinismE1ES3_S9_NS6_6detail15normal_iteratorINS6_10device_ptrIfEEEESG_SG_SG_PmS8_22is_equal_div_10_reduceIfEEE10hipError_tPvRmT2_T3_mT4_T5_T6_T7_T8_P12ihipStream_tbENKUlT_T0_E_clISt17integral_constantIbLb0EES10_IbLb1EEEEDaSW_SX_EUlSW_E_NS1_11comp_targetILNS1_3genE5ELNS1_11target_archE942ELNS1_3gpuE9ELNS1_3repE0EEENS1_30default_config_static_selectorELNS0_4arch9wavefront6targetE1EEEvT1_, .Lfunc_end156-_ZN7rocprim17ROCPRIM_400000_NS6detail17trampoline_kernelINS0_14default_configENS1_29reduce_by_key_config_selectorIffN6thrust23THRUST_200600_302600_NS4plusIfEEEEZZNS1_33reduce_by_key_impl_wrapped_configILNS1_25lookback_scan_determinismE1ES3_S9_NS6_6detail15normal_iteratorINS6_10device_ptrIfEEEESG_SG_SG_PmS8_22is_equal_div_10_reduceIfEEE10hipError_tPvRmT2_T3_mT4_T5_T6_T7_T8_P12ihipStream_tbENKUlT_T0_E_clISt17integral_constantIbLb0EES10_IbLb1EEEEDaSW_SX_EUlSW_E_NS1_11comp_targetILNS1_3genE5ELNS1_11target_archE942ELNS1_3gpuE9ELNS1_3repE0EEENS1_30default_config_static_selectorELNS0_4arch9wavefront6targetE1EEEvT1_
                                        ; -- End function
	.section	.AMDGPU.csdata,"",@progbits
; Kernel info:
; codeLenInByte = 0
; NumSgprs: 4
; NumVgprs: 0
; NumAgprs: 0
; TotalNumVgprs: 0
; ScratchSize: 0
; MemoryBound: 0
; FloatMode: 240
; IeeeMode: 1
; LDSByteSize: 0 bytes/workgroup (compile time only)
; SGPRBlocks: 0
; VGPRBlocks: 0
; NumSGPRsForWavesPerEU: 4
; NumVGPRsForWavesPerEU: 1
; AccumOffset: 4
; Occupancy: 8
; WaveLimiterHint : 0
; COMPUTE_PGM_RSRC2:SCRATCH_EN: 0
; COMPUTE_PGM_RSRC2:USER_SGPR: 6
; COMPUTE_PGM_RSRC2:TRAP_HANDLER: 0
; COMPUTE_PGM_RSRC2:TGID_X_EN: 1
; COMPUTE_PGM_RSRC2:TGID_Y_EN: 0
; COMPUTE_PGM_RSRC2:TGID_Z_EN: 0
; COMPUTE_PGM_RSRC2:TIDIG_COMP_CNT: 0
; COMPUTE_PGM_RSRC3_GFX90A:ACCUM_OFFSET: 0
; COMPUTE_PGM_RSRC3_GFX90A:TG_SPLIT: 0
	.section	.text._ZN7rocprim17ROCPRIM_400000_NS6detail17trampoline_kernelINS0_14default_configENS1_29reduce_by_key_config_selectorIffN6thrust23THRUST_200600_302600_NS4plusIfEEEEZZNS1_33reduce_by_key_impl_wrapped_configILNS1_25lookback_scan_determinismE1ES3_S9_NS6_6detail15normal_iteratorINS6_10device_ptrIfEEEESG_SG_SG_PmS8_22is_equal_div_10_reduceIfEEE10hipError_tPvRmT2_T3_mT4_T5_T6_T7_T8_P12ihipStream_tbENKUlT_T0_E_clISt17integral_constantIbLb0EES10_IbLb1EEEEDaSW_SX_EUlSW_E_NS1_11comp_targetILNS1_3genE4ELNS1_11target_archE910ELNS1_3gpuE8ELNS1_3repE0EEENS1_30default_config_static_selectorELNS0_4arch9wavefront6targetE1EEEvT1_,"axG",@progbits,_ZN7rocprim17ROCPRIM_400000_NS6detail17trampoline_kernelINS0_14default_configENS1_29reduce_by_key_config_selectorIffN6thrust23THRUST_200600_302600_NS4plusIfEEEEZZNS1_33reduce_by_key_impl_wrapped_configILNS1_25lookback_scan_determinismE1ES3_S9_NS6_6detail15normal_iteratorINS6_10device_ptrIfEEEESG_SG_SG_PmS8_22is_equal_div_10_reduceIfEEE10hipError_tPvRmT2_T3_mT4_T5_T6_T7_T8_P12ihipStream_tbENKUlT_T0_E_clISt17integral_constantIbLb0EES10_IbLb1EEEEDaSW_SX_EUlSW_E_NS1_11comp_targetILNS1_3genE4ELNS1_11target_archE910ELNS1_3gpuE8ELNS1_3repE0EEENS1_30default_config_static_selectorELNS0_4arch9wavefront6targetE1EEEvT1_,comdat
	.protected	_ZN7rocprim17ROCPRIM_400000_NS6detail17trampoline_kernelINS0_14default_configENS1_29reduce_by_key_config_selectorIffN6thrust23THRUST_200600_302600_NS4plusIfEEEEZZNS1_33reduce_by_key_impl_wrapped_configILNS1_25lookback_scan_determinismE1ES3_S9_NS6_6detail15normal_iteratorINS6_10device_ptrIfEEEESG_SG_SG_PmS8_22is_equal_div_10_reduceIfEEE10hipError_tPvRmT2_T3_mT4_T5_T6_T7_T8_P12ihipStream_tbENKUlT_T0_E_clISt17integral_constantIbLb0EES10_IbLb1EEEEDaSW_SX_EUlSW_E_NS1_11comp_targetILNS1_3genE4ELNS1_11target_archE910ELNS1_3gpuE8ELNS1_3repE0EEENS1_30default_config_static_selectorELNS0_4arch9wavefront6targetE1EEEvT1_ ; -- Begin function _ZN7rocprim17ROCPRIM_400000_NS6detail17trampoline_kernelINS0_14default_configENS1_29reduce_by_key_config_selectorIffN6thrust23THRUST_200600_302600_NS4plusIfEEEEZZNS1_33reduce_by_key_impl_wrapped_configILNS1_25lookback_scan_determinismE1ES3_S9_NS6_6detail15normal_iteratorINS6_10device_ptrIfEEEESG_SG_SG_PmS8_22is_equal_div_10_reduceIfEEE10hipError_tPvRmT2_T3_mT4_T5_T6_T7_T8_P12ihipStream_tbENKUlT_T0_E_clISt17integral_constantIbLb0EES10_IbLb1EEEEDaSW_SX_EUlSW_E_NS1_11comp_targetILNS1_3genE4ELNS1_11target_archE910ELNS1_3gpuE8ELNS1_3repE0EEENS1_30default_config_static_selectorELNS0_4arch9wavefront6targetE1EEEvT1_
	.globl	_ZN7rocprim17ROCPRIM_400000_NS6detail17trampoline_kernelINS0_14default_configENS1_29reduce_by_key_config_selectorIffN6thrust23THRUST_200600_302600_NS4plusIfEEEEZZNS1_33reduce_by_key_impl_wrapped_configILNS1_25lookback_scan_determinismE1ES3_S9_NS6_6detail15normal_iteratorINS6_10device_ptrIfEEEESG_SG_SG_PmS8_22is_equal_div_10_reduceIfEEE10hipError_tPvRmT2_T3_mT4_T5_T6_T7_T8_P12ihipStream_tbENKUlT_T0_E_clISt17integral_constantIbLb0EES10_IbLb1EEEEDaSW_SX_EUlSW_E_NS1_11comp_targetILNS1_3genE4ELNS1_11target_archE910ELNS1_3gpuE8ELNS1_3repE0EEENS1_30default_config_static_selectorELNS0_4arch9wavefront6targetE1EEEvT1_
	.p2align	8
	.type	_ZN7rocprim17ROCPRIM_400000_NS6detail17trampoline_kernelINS0_14default_configENS1_29reduce_by_key_config_selectorIffN6thrust23THRUST_200600_302600_NS4plusIfEEEEZZNS1_33reduce_by_key_impl_wrapped_configILNS1_25lookback_scan_determinismE1ES3_S9_NS6_6detail15normal_iteratorINS6_10device_ptrIfEEEESG_SG_SG_PmS8_22is_equal_div_10_reduceIfEEE10hipError_tPvRmT2_T3_mT4_T5_T6_T7_T8_P12ihipStream_tbENKUlT_T0_E_clISt17integral_constantIbLb0EES10_IbLb1EEEEDaSW_SX_EUlSW_E_NS1_11comp_targetILNS1_3genE4ELNS1_11target_archE910ELNS1_3gpuE8ELNS1_3repE0EEENS1_30default_config_static_selectorELNS0_4arch9wavefront6targetE1EEEvT1_,@function
_ZN7rocprim17ROCPRIM_400000_NS6detail17trampoline_kernelINS0_14default_configENS1_29reduce_by_key_config_selectorIffN6thrust23THRUST_200600_302600_NS4plusIfEEEEZZNS1_33reduce_by_key_impl_wrapped_configILNS1_25lookback_scan_determinismE1ES3_S9_NS6_6detail15normal_iteratorINS6_10device_ptrIfEEEESG_SG_SG_PmS8_22is_equal_div_10_reduceIfEEE10hipError_tPvRmT2_T3_mT4_T5_T6_T7_T8_P12ihipStream_tbENKUlT_T0_E_clISt17integral_constantIbLb0EES10_IbLb1EEEEDaSW_SX_EUlSW_E_NS1_11comp_targetILNS1_3genE4ELNS1_11target_archE910ELNS1_3gpuE8ELNS1_3repE0EEENS1_30default_config_static_selectorELNS0_4arch9wavefront6targetE1EEEvT1_: ; @_ZN7rocprim17ROCPRIM_400000_NS6detail17trampoline_kernelINS0_14default_configENS1_29reduce_by_key_config_selectorIffN6thrust23THRUST_200600_302600_NS4plusIfEEEEZZNS1_33reduce_by_key_impl_wrapped_configILNS1_25lookback_scan_determinismE1ES3_S9_NS6_6detail15normal_iteratorINS6_10device_ptrIfEEEESG_SG_SG_PmS8_22is_equal_div_10_reduceIfEEE10hipError_tPvRmT2_T3_mT4_T5_T6_T7_T8_P12ihipStream_tbENKUlT_T0_E_clISt17integral_constantIbLb0EES10_IbLb1EEEEDaSW_SX_EUlSW_E_NS1_11comp_targetILNS1_3genE4ELNS1_11target_archE910ELNS1_3gpuE8ELNS1_3repE0EEENS1_30default_config_static_selectorELNS0_4arch9wavefront6targetE1EEEvT1_
; %bb.0:
	s_load_dwordx8 s[40:47], s[4:5], 0x0
	s_load_dwordx4 s[56:59], s[4:5], 0x20
	s_load_dwordx8 s[48:55], s[4:5], 0x38
	s_load_dwordx2 s[64:65], s[4:5], 0x68
	s_load_dwordx4 s[60:63], s[4:5], 0x58
	s_add_u32 flat_scratch_lo, s6, s9
	s_addc_u32 flat_scratch_hi, s7, 0
	s_add_u32 s0, s0, s9
	s_addc_u32 s1, s1, 0
	v_cmp_ne_u32_e64 s[6:7], 0, v0
	v_cmp_eq_u32_e64 s[38:39], 0, v0
	s_and_saveexec_b64 s[8:9], s[38:39]
	s_cbranch_execz .LBB157_4
; %bb.1:
	s_mov_b64 s[12:13], exec
	v_mbcnt_lo_u32_b32 v1, s12, 0
	v_mbcnt_hi_u32_b32 v1, s13, v1
	v_cmp_eq_u32_e32 vcc, 0, v1
                                        ; implicit-def: $vgpr2
	s_and_saveexec_b64 s[10:11], vcc
	s_cbranch_execz .LBB157_3
; %bb.2:
	s_load_dwordx2 s[4:5], s[4:5], 0x70
	s_bcnt1_i32_b64 s12, s[12:13]
	v_mov_b32_e32 v2, 0
	v_mov_b32_e32 v3, s12
	s_waitcnt lgkmcnt(0)
	global_atomic_add v2, v2, v3, s[4:5] glc
.LBB157_3:
	s_or_b64 exec, exec, s[10:11]
	s_waitcnt vmcnt(0)
	v_readfirstlane_b32 s4, v2
	v_add_u32_e32 v1, s4, v1
	v_mov_b32_e32 v2, 0
	ds_write_b32 v2, v1
.LBB157_4:
	s_or_b64 exec, exec, s[8:9]
	v_mov_b32_e32 v3, 0
	s_waitcnt lgkmcnt(0)
	s_lshl_b64 s[4:5], s[42:43], 2
	s_barrier
	ds_read_b32 v1, v3
	s_add_u32 s8, s40, s4
	s_addc_u32 s9, s41, s5
	s_add_u32 s4, s44, s4
	s_mul_i32 s10, s52, s51
	s_mul_hi_u32 s11, s52, s50
	s_addc_u32 s5, s45, s5
	s_add_i32 s10, s11, s10
	s_mul_i32 s11, s53, s50
	s_add_i32 s10, s10, s11
	s_mul_i32 s11, s52, s50
	s_waitcnt lgkmcnt(0)
	v_readfirstlane_b32 s66, v1
	s_movk_i32 s12, 0xf00
	v_mul_lo_u32 v2, v1, s12
	s_add_u32 s44, s11, s66
	v_lshlrev_b64 v[4:5], 2, v[2:3]
	s_addc_u32 s45, s10, 0
	v_mov_b32_e32 v1, s9
	v_add_co_u32_e32 v2, vcc, s8, v4
	s_add_u32 s8, s54, -1
	v_addc_co_u32_e32 v3, vcc, v1, v5, vcc
	s_addc_u32 s9, s55, -1
	v_mov_b32_e32 v1, s5
	v_add_co_u32_e32 v4, vcc, s4, v4
	s_cmp_eq_u64 s[44:45], s[8:9]
	v_addc_co_u32_e32 v5, vcc, v1, v5, vcc
	s_cselect_b64 s[40:41], -1, 0
	s_cmp_lg_u64 s[44:45], s[8:9]
	s_mov_b64 s[4:5], -1
	s_cselect_b64 s[52:53], -1, 0
	s_mul_i32 s33, s8, 0xfffff100
	s_and_b64 vcc, exec, s[40:41]
	s_barrier
	s_cbranch_vccnz .LBB157_6
; %bb.5:
	v_lshlrev_b32_e32 v30, 2, v0
	v_add_co_u32_e32 v6, vcc, v2, v30
	v_addc_co_u32_e32 v7, vcc, 0, v3, vcc
	v_add_co_u32_e32 v8, vcc, 0x1000, v6
	v_addc_co_u32_e32 v9, vcc, 0, v7, vcc
	flat_load_dword v1, v[6:7]
	flat_load_dword v12, v[6:7] offset:1024
	flat_load_dword v13, v[6:7] offset:2048
	;; [unrolled: 1-line block ×3, first 2 shown]
	flat_load_dword v15, v[8:9]
	flat_load_dword v16, v[8:9] offset:1024
	flat_load_dword v17, v[8:9] offset:2048
	;; [unrolled: 1-line block ×3, first 2 shown]
	v_add_co_u32_e32 v8, vcc, 0x2000, v6
	v_addc_co_u32_e32 v9, vcc, 0, v7, vcc
	v_add_co_u32_e32 v6, vcc, 0x3000, v6
	v_addc_co_u32_e32 v7, vcc, 0, v7, vcc
	flat_load_dword v19, v[8:9]
	flat_load_dword v20, v[8:9] offset:1024
	flat_load_dword v21, v[8:9] offset:2048
	;; [unrolled: 1-line block ×3, first 2 shown]
	flat_load_dword v23, v[6:7]
	flat_load_dword v24, v[6:7] offset:1024
	flat_load_dword v25, v[6:7] offset:2048
	v_add_co_u32_e32 v8, vcc, v4, v30
	s_movk_i32 s4, 0x1000
	v_addc_co_u32_e32 v9, vcc, 0, v5, vcc
	v_add_co_u32_e32 v10, vcc, s4, v8
	s_movk_i32 s5, 0x2000
	v_addc_co_u32_e32 v11, vcc, 0, v9, vcc
	;; [unrolled: 3-line block ×3, first 2 shown]
	v_mad_u32_u24 v6, v0, 56, v30
	v_add_co_u32_e32 v28, vcc, s8, v8
	v_addc_co_u32_e32 v29, vcc, 0, v9, vcc
	s_waitcnt vmcnt(0) lgkmcnt(0)
	ds_write2st64_b32 v30, v1, v12 offset1:4
	ds_write2st64_b32 v30, v13, v14 offset0:8 offset1:12
	ds_write2st64_b32 v30, v15, v16 offset0:16 offset1:20
	;; [unrolled: 1-line block ×6, first 2 shown]
	ds_write_b32 v30, v25 offset:14336
	s_waitcnt lgkmcnt(0)
	s_barrier
	ds_read2_b32 v[24:25], v6 offset1:1
	ds_read2_b32 v[22:23], v6 offset0:2 offset1:3
	ds_read2_b32 v[20:21], v6 offset0:4 offset1:5
	;; [unrolled: 1-line block ×6, first 2 shown]
	ds_read_b32 v1, v6 offset:56
	s_waitcnt lgkmcnt(0)
	s_barrier
	flat_load_dword v7, v[8:9]
	flat_load_dword v31, v[8:9] offset:1024
	flat_load_dword v32, v[8:9] offset:2048
	flat_load_dword v33, v[8:9] offset:3072
	flat_load_dword v34, v[10:11]
	flat_load_dword v35, v[10:11] offset:1024
	flat_load_dword v36, v[10:11] offset:2048
	flat_load_dword v37, v[10:11] offset:3072
	;; [unrolled: 4-line block ×3, first 2 shown]
	flat_load_dword v42, v[28:29]
	flat_load_dword v43, v[28:29] offset:1024
	flat_load_dword v44, v[28:29] offset:2048
	v_mul_u32_u24_e32 v26, 15, v0
	s_waitcnt vmcnt(0) lgkmcnt(0)
	ds_write2st64_b32 v30, v7, v31 offset1:4
	ds_write2st64_b32 v30, v32, v33 offset0:8 offset1:12
	ds_write2st64_b32 v30, v34, v35 offset0:16 offset1:20
	;; [unrolled: 1-line block ×6, first 2 shown]
	ds_write_b32 v30, v44 offset:14336
	s_waitcnt lgkmcnt(0)
	s_barrier
	s_add_i32 s33, s33, s60
	s_cbranch_execz .LBB157_7
	s_branch .LBB157_54
.LBB157_6:
                                        ; implicit-def: $vgpr12_vgpr13
                                        ; implicit-def: $vgpr14_vgpr15
                                        ; implicit-def: $vgpr16_vgpr17
                                        ; implicit-def: $vgpr18_vgpr19
                                        ; implicit-def: $vgpr20_vgpr21
                                        ; implicit-def: $vgpr22_vgpr23
                                        ; implicit-def: $vgpr24_vgpr25
                                        ; implicit-def: $vgpr26
                                        ; implicit-def: $vgpr6
                                        ; implicit-def: $vgpr1
	s_andn2_b64 vcc, exec, s[4:5]
	s_add_i32 s33, s33, s60
	s_cbranch_vccnz .LBB157_54
.LBB157_7:
	v_cmp_gt_u32_e32 vcc, s33, v0
                                        ; implicit-def: $vgpr1
	s_and_saveexec_b64 s[8:9], vcc
	s_cbranch_execz .LBB157_9
; %bb.8:
	v_lshlrev_b32_e32 v1, 2, v0
	v_add_co_u32_e64 v6, s[4:5], v2, v1
	v_addc_co_u32_e64 v7, s[4:5], 0, v3, s[4:5]
	flat_load_dword v1, v[6:7]
.LBB157_9:
	s_or_b64 exec, exec, s[8:9]
	v_or_b32_e32 v6, 0x100, v0
	v_cmp_gt_u32_e64 s[8:9], s33, v6
                                        ; implicit-def: $vgpr6
	s_and_saveexec_b64 s[10:11], s[8:9]
	s_cbranch_execz .LBB157_11
; %bb.10:
	v_lshlrev_b32_e32 v6, 2, v0
	v_add_co_u32_e64 v6, s[4:5], v2, v6
	v_addc_co_u32_e64 v7, s[4:5], 0, v3, s[4:5]
	flat_load_dword v6, v[6:7] offset:1024
.LBB157_11:
	s_or_b64 exec, exec, s[10:11]
	v_or_b32_e32 v7, 0x200, v0
	v_cmp_gt_u32_e64 s[10:11], s33, v7
                                        ; implicit-def: $vgpr12
	s_and_saveexec_b64 s[12:13], s[10:11]
	s_cbranch_execz .LBB157_13
; %bb.12:
	v_lshlrev_b32_e32 v7, 2, v0
	v_add_co_u32_e64 v8, s[4:5], v2, v7
	v_addc_co_u32_e64 v9, s[4:5], 0, v3, s[4:5]
	flat_load_dword v12, v[8:9] offset:2048
.LBB157_13:
	s_or_b64 exec, exec, s[12:13]
	v_or_b32_e32 v7, 0x300, v0
	v_cmp_gt_u32_e64 s[12:13], s33, v7
                                        ; implicit-def: $vgpr13
	s_and_saveexec_b64 s[14:15], s[12:13]
	s_cbranch_execz .LBB157_15
; %bb.14:
	v_lshlrev_b32_e32 v7, 2, v0
	v_add_co_u32_e64 v8, s[4:5], v2, v7
	v_addc_co_u32_e64 v9, s[4:5], 0, v3, s[4:5]
	flat_load_dword v13, v[8:9] offset:3072
.LBB157_15:
	s_or_b64 exec, exec, s[14:15]
	v_or_b32_e32 v7, 0x400, v0
	v_cmp_gt_u32_e64 s[14:15], s33, v7
                                        ; implicit-def: $vgpr14
	s_and_saveexec_b64 s[16:17], s[14:15]
	s_cbranch_execz .LBB157_17
; %bb.16:
	v_lshlrev_b32_e32 v8, 2, v7
	v_add_co_u32_e64 v8, s[4:5], v2, v8
	v_addc_co_u32_e64 v9, s[4:5], 0, v3, s[4:5]
	flat_load_dword v14, v[8:9]
.LBB157_17:
	s_or_b64 exec, exec, s[16:17]
	v_or_b32_e32 v8, 0x500, v0
	v_cmp_gt_u32_e64 s[16:17], s33, v8
                                        ; implicit-def: $vgpr15
	s_and_saveexec_b64 s[18:19], s[16:17]
	s_cbranch_execz .LBB157_19
; %bb.18:
	v_lshlrev_b32_e32 v9, 2, v8
	v_add_co_u32_e64 v10, s[4:5], v2, v9
	v_addc_co_u32_e64 v11, s[4:5], 0, v3, s[4:5]
	flat_load_dword v15, v[10:11]
.LBB157_19:
	s_or_b64 exec, exec, s[18:19]
	v_or_b32_e32 v9, 0x600, v0
	v_cmp_gt_u32_e64 s[18:19], s33, v9
                                        ; implicit-def: $vgpr16
	s_and_saveexec_b64 s[20:21], s[18:19]
	s_cbranch_execz .LBB157_21
; %bb.20:
	v_lshlrev_b32_e32 v10, 2, v9
	v_add_co_u32_e64 v10, s[4:5], v2, v10
	v_addc_co_u32_e64 v11, s[4:5], 0, v3, s[4:5]
	flat_load_dword v16, v[10:11]
.LBB157_21:
	s_or_b64 exec, exec, s[20:21]
	v_or_b32_e32 v10, 0x700, v0
	v_cmp_gt_u32_e64 s[20:21], s33, v10
                                        ; implicit-def: $vgpr17
	s_and_saveexec_b64 s[22:23], s[20:21]
	s_cbranch_execz .LBB157_23
; %bb.22:
	v_lshlrev_b32_e32 v11, 2, v10
	v_add_co_u32_e64 v18, s[4:5], v2, v11
	v_addc_co_u32_e64 v19, s[4:5], 0, v3, s[4:5]
	flat_load_dword v17, v[18:19]
.LBB157_23:
	s_or_b64 exec, exec, s[22:23]
	v_or_b32_e32 v11, 0x800, v0
	v_cmp_gt_u32_e64 s[22:23], s33, v11
                                        ; implicit-def: $vgpr18
	s_and_saveexec_b64 s[24:25], s[22:23]
	s_cbranch_execz .LBB157_25
; %bb.24:
	v_lshlrev_b32_e32 v18, 2, v11
	v_add_co_u32_e64 v18, s[4:5], v2, v18
	v_addc_co_u32_e64 v19, s[4:5], 0, v3, s[4:5]
	flat_load_dword v18, v[18:19]
.LBB157_25:
	s_or_b64 exec, exec, s[24:25]
	v_or_b32_e32 v26, 0x900, v0
	v_cmp_gt_u32_e64 s[24:25], s33, v26
                                        ; implicit-def: $vgpr19
	s_and_saveexec_b64 s[26:27], s[24:25]
	s_cbranch_execz .LBB157_27
; %bb.26:
	v_lshlrev_b32_e32 v19, 2, v26
	v_add_co_u32_e64 v20, s[4:5], v2, v19
	v_addc_co_u32_e64 v21, s[4:5], 0, v3, s[4:5]
	flat_load_dword v19, v[20:21]
.LBB157_27:
	s_or_b64 exec, exec, s[26:27]
	v_or_b32_e32 v27, 0xa00, v0
	v_cmp_gt_u32_e64 s[26:27], s33, v27
                                        ; implicit-def: $vgpr20
	s_and_saveexec_b64 s[28:29], s[26:27]
	s_cbranch_execz .LBB157_29
; %bb.28:
	v_lshlrev_b32_e32 v20, 2, v27
	v_add_co_u32_e64 v20, s[4:5], v2, v20
	v_addc_co_u32_e64 v21, s[4:5], 0, v3, s[4:5]
	flat_load_dword v20, v[20:21]
.LBB157_29:
	s_or_b64 exec, exec, s[28:29]
	v_or_b32_e32 v28, 0xb00, v0
	v_cmp_gt_u32_e64 s[28:29], s33, v28
                                        ; implicit-def: $vgpr21
	s_and_saveexec_b64 s[30:31], s[28:29]
	s_cbranch_execz .LBB157_31
; %bb.30:
	v_lshlrev_b32_e32 v21, 2, v28
	v_add_co_u32_e64 v22, s[4:5], v2, v21
	v_addc_co_u32_e64 v23, s[4:5], 0, v3, s[4:5]
	flat_load_dword v21, v[22:23]
.LBB157_31:
	s_or_b64 exec, exec, s[30:31]
	v_or_b32_e32 v29, 0xc00, v0
	v_cmp_gt_u32_e64 s[30:31], s33, v29
                                        ; implicit-def: $vgpr22
	s_and_saveexec_b64 s[34:35], s[30:31]
	s_cbranch_execz .LBB157_33
; %bb.32:
	v_lshlrev_b32_e32 v22, 2, v29
	v_add_co_u32_e64 v22, s[4:5], v2, v22
	v_addc_co_u32_e64 v23, s[4:5], 0, v3, s[4:5]
	flat_load_dword v22, v[22:23]
.LBB157_33:
	s_or_b64 exec, exec, s[34:35]
	v_or_b32_e32 v30, 0xd00, v0
	v_cmp_gt_u32_e64 s[34:35], s33, v30
                                        ; implicit-def: $vgpr23
	s_and_saveexec_b64 s[36:37], s[34:35]
	s_cbranch_execz .LBB157_35
; %bb.34:
	v_lshlrev_b32_e32 v23, 2, v30
	v_add_co_u32_e64 v24, s[4:5], v2, v23
	v_addc_co_u32_e64 v25, s[4:5], 0, v3, s[4:5]
	flat_load_dword v23, v[24:25]
.LBB157_35:
	s_or_b64 exec, exec, s[36:37]
	v_or_b32_e32 v31, 0xe00, v0
	v_cmp_gt_u32_e64 s[36:37], s33, v31
                                        ; implicit-def: $vgpr24
	s_and_saveexec_b64 s[42:43], s[36:37]
	s_cbranch_execz .LBB157_37
; %bb.36:
	v_lshlrev_b32_e32 v24, 2, v31
	v_add_co_u32_e64 v24, s[4:5], v2, v24
	v_addc_co_u32_e64 v25, s[4:5], 0, v3, s[4:5]
	flat_load_dword v24, v[24:25]
.LBB157_37:
	s_or_b64 exec, exec, s[42:43]
	v_lshlrev_b32_e32 v32, 2, v0
	s_waitcnt vmcnt(0) lgkmcnt(0)
	ds_write2st64_b32 v32, v1, v6 offset1:4
	ds_write2st64_b32 v32, v12, v13 offset0:8 offset1:12
	ds_write2st64_b32 v32, v14, v15 offset0:16 offset1:20
	;; [unrolled: 1-line block ×6, first 2 shown]
	ds_write_b32 v32, v24 offset:14336
	v_mad_u32_u24 v6, v0, 56, v32
	s_waitcnt lgkmcnt(0)
	s_barrier
	ds_read2_b32 v[24:25], v6 offset1:1
	ds_read2_b32 v[22:23], v6 offset0:2 offset1:3
	ds_read2_b32 v[20:21], v6 offset0:4 offset1:5
	;; [unrolled: 1-line block ×6, first 2 shown]
	ds_read_b32 v1, v6 offset:56
	s_waitcnt lgkmcnt(0)
	s_barrier
	s_waitcnt lgkmcnt(0)
                                        ; implicit-def: $vgpr33
	s_and_saveexec_b64 s[4:5], vcc
	s_cbranch_execz .LBB157_60
; %bb.38:
	v_add_co_u32_e32 v34, vcc, v4, v32
	v_addc_co_u32_e32 v35, vcc, 0, v5, vcc
	flat_load_dword v33, v[34:35]
	s_or_b64 exec, exec, s[4:5]
                                        ; implicit-def: $vgpr34
	s_and_saveexec_b64 s[4:5], s[8:9]
	s_cbranch_execnz .LBB157_61
.LBB157_39:
	s_or_b64 exec, exec, s[4:5]
                                        ; implicit-def: $vgpr35
	s_and_saveexec_b64 s[4:5], s[10:11]
	s_cbranch_execz .LBB157_62
.LBB157_40:
	v_add_co_u32_e32 v36, vcc, v4, v32
	v_addc_co_u32_e32 v37, vcc, 0, v5, vcc
	flat_load_dword v35, v[36:37] offset:2048
	s_or_b64 exec, exec, s[4:5]
                                        ; implicit-def: $vgpr36
	s_and_saveexec_b64 s[4:5], s[12:13]
	s_cbranch_execnz .LBB157_63
.LBB157_41:
	s_or_b64 exec, exec, s[4:5]
                                        ; implicit-def: $vgpr37
	s_and_saveexec_b64 s[4:5], s[14:15]
	s_cbranch_execz .LBB157_64
.LBB157_42:
	v_lshlrev_b32_e32 v7, 2, v7
	v_add_co_u32_e32 v38, vcc, v4, v7
	v_addc_co_u32_e32 v39, vcc, 0, v5, vcc
	flat_load_dword v37, v[38:39]
	s_or_b64 exec, exec, s[4:5]
                                        ; implicit-def: $vgpr7
	s_and_saveexec_b64 s[4:5], s[16:17]
	s_cbranch_execnz .LBB157_65
.LBB157_43:
	s_or_b64 exec, exec, s[4:5]
                                        ; implicit-def: $vgpr8
	s_and_saveexec_b64 s[4:5], s[18:19]
	s_cbranch_execz .LBB157_66
.LBB157_44:
	v_lshlrev_b32_e32 v8, 2, v9
	v_add_co_u32_e32 v8, vcc, v4, v8
	v_addc_co_u32_e32 v9, vcc, 0, v5, vcc
	flat_load_dword v8, v[8:9]
	s_or_b64 exec, exec, s[4:5]
                                        ; implicit-def: $vgpr9
	s_and_saveexec_b64 s[4:5], s[20:21]
	s_cbranch_execnz .LBB157_67
.LBB157_45:
	s_or_b64 exec, exec, s[4:5]
                                        ; implicit-def: $vgpr10
	s_and_saveexec_b64 s[4:5], s[22:23]
	s_cbranch_execz .LBB157_68
.LBB157_46:
	v_lshlrev_b32_e32 v10, 2, v11
	v_add_co_u32_e32 v10, vcc, v4, v10
	v_addc_co_u32_e32 v11, vcc, 0, v5, vcc
	flat_load_dword v10, v[10:11]
	s_or_b64 exec, exec, s[4:5]
                                        ; implicit-def: $vgpr11
	s_and_saveexec_b64 s[4:5], s[24:25]
	s_cbranch_execnz .LBB157_69
.LBB157_47:
	s_or_b64 exec, exec, s[4:5]
                                        ; implicit-def: $vgpr38
	s_and_saveexec_b64 s[4:5], s[26:27]
	s_cbranch_execz .LBB157_70
.LBB157_48:
	v_lshlrev_b32_e32 v26, 2, v27
	v_add_co_u32_e32 v26, vcc, v4, v26
	v_addc_co_u32_e32 v27, vcc, 0, v5, vcc
	flat_load_dword v38, v[26:27]
	s_or_b64 exec, exec, s[4:5]
                                        ; implicit-def: $vgpr27
	s_and_saveexec_b64 s[4:5], s[28:29]
	s_cbranch_execnz .LBB157_71
.LBB157_49:
	s_or_b64 exec, exec, s[4:5]
                                        ; implicit-def: $vgpr28
	s_and_saveexec_b64 s[4:5], s[30:31]
	s_cbranch_execz .LBB157_72
.LBB157_50:
	v_lshlrev_b32_e32 v26, 2, v29
	v_add_co_u32_e32 v28, vcc, v4, v26
	v_addc_co_u32_e32 v29, vcc, 0, v5, vcc
	flat_load_dword v28, v[28:29]
	s_or_b64 exec, exec, s[4:5]
                                        ; implicit-def: $vgpr29
	s_and_saveexec_b64 s[4:5], s[34:35]
	s_cbranch_execnz .LBB157_73
.LBB157_51:
	s_or_b64 exec, exec, s[4:5]
                                        ; implicit-def: $vgpr30
	s_and_saveexec_b64 s[4:5], s[36:37]
	s_cbranch_execz .LBB157_53
.LBB157_52:
	v_lshlrev_b32_e32 v26, 2, v31
	v_add_co_u32_e32 v4, vcc, v4, v26
	v_addc_co_u32_e32 v5, vcc, 0, v5, vcc
	flat_load_dword v30, v[4:5]
.LBB157_53:
	s_or_b64 exec, exec, s[4:5]
	v_mul_u32_u24_e32 v26, 15, v0
	s_waitcnt vmcnt(0) lgkmcnt(0)
	ds_write2st64_b32 v32, v33, v34 offset1:4
	ds_write2st64_b32 v32, v35, v36 offset0:8 offset1:12
	ds_write2st64_b32 v32, v37, v7 offset0:16 offset1:20
	ds_write2st64_b32 v32, v8, v9 offset0:24 offset1:28
	ds_write2st64_b32 v32, v10, v11 offset0:32 offset1:36
	ds_write2st64_b32 v32, v38, v27 offset0:40 offset1:44
	ds_write2st64_b32 v32, v28, v29 offset0:48 offset1:52
	ds_write_b32 v32, v30 offset:14336
	s_waitcnt lgkmcnt(0)
	s_barrier
.LBB157_54:
	v_lshlrev_b32_e32 v4, 2, v26
	ds_read2_b32 v[50:51], v6 offset1:2
	ds_read2_b32 v[46:47], v6 offset0:4 offset1:6
	ds_read2_b32 v[44:45], v6 offset0:8 offset1:10
	;; [unrolled: 1-line block ×6, first 2 shown]
	ds_read_b32 v59, v4 offset:52
	s_cmp_eq_u64 s[44:45], 0
	s_cselect_b64 s[42:43], -1, 0
	s_cmp_lg_u64 s[44:45], 0
	s_mov_b64 s[4:5], 0
	s_cselect_b64 s[10:11], -1, 0
	s_and_b64 vcc, exec, s[52:53]
	s_waitcnt lgkmcnt(0)
	s_barrier
	s_cbranch_vccz .LBB157_74
; %bb.55:
	s_and_b64 vcc, exec, s[10:11]
	s_cbranch_vccz .LBB157_108
; %bb.56:
	v_add_co_u32_e32 v4, vcc, -4, v2
	v_addc_co_u32_e32 v5, vcc, -1, v3, vcc
	flat_load_dword v4, v[4:5]
	v_lshlrev_b32_e32 v5, 2, v0
	ds_write_b32 v5, v1
	s_waitcnt lgkmcnt(0)
	s_barrier
	s_and_saveexec_b64 s[4:5], s[6:7]
	s_cbranch_execz .LBB157_58
; %bb.57:
	s_waitcnt vmcnt(0)
	v_add_u32_e32 v4, -4, v5
	ds_read_b32 v4, v4
.LBB157_58:
	s_or_b64 exec, exec, s[4:5]
	v_cvt_i32_f32_e32 v5, v13
	s_mov_b32 s4, 0x66666667
	v_cvt_i32_f32_e32 v6, v12
	v_cvt_i32_f32_e32 v11, v16
	v_mul_hi_i32 v5, v5, s4
	v_lshrrev_b32_e32 v7, 31, v5
	v_ashrrev_i32_e32 v5, 2, v5
	v_add_u32_e32 v5, v5, v7
	v_cvt_i32_f32_e32 v7, v1
	v_mul_hi_i32 v6, v6, s4
	v_lshrrev_b32_e32 v8, 31, v6
	v_ashrrev_i32_e32 v6, 2, v6
	v_mul_hi_i32 v7, v7, s4
	v_add_u32_e32 v6, v6, v8
	v_cvt_i32_f32_e32 v8, v15
	v_lshrrev_b32_e32 v9, 31, v7
	v_ashrrev_i32_e32 v7, 2, v7
	v_add_u32_e32 v7, v7, v9
	v_cvt_i32_f32_e32 v9, v17
	v_mul_hi_i32 v8, v8, s4
	v_lshrrev_b32_e32 v10, 31, v8
	v_ashrrev_i32_e32 v8, 2, v8
	v_mul_hi_i32 v9, v9, s4
	v_add_u32_e32 v8, v8, v10
	v_lshrrev_b32_e32 v10, 31, v9
	v_ashrrev_i32_e32 v9, 2, v9
	v_add_u32_e32 v9, v9, v10
	v_cvt_i32_f32_e32 v10, v14
	v_mul_hi_i32 v11, v11, s4
	v_lshrrev_b32_e32 v26, 31, v11
	v_ashrrev_i32_e32 v11, 2, v11
	v_mul_hi_i32 v10, v10, s4
	v_add_u32_e32 v11, v11, v26
	v_cvt_i32_f32_e32 v26, v19
	v_lshrrev_b32_e32 v27, 31, v10
	v_ashrrev_i32_e32 v10, 2, v10
	v_add_u32_e32 v10, v10, v27
	v_cvt_i32_f32_e32 v27, v21
	v_mul_hi_i32 v26, v26, s4
	v_lshrrev_b32_e32 v28, 31, v26
	v_ashrrev_i32_e32 v26, 2, v26
	v_mul_hi_i32 v27, v27, s4
	v_add_u32_e32 v26, v26, v28
	v_lshrrev_b32_e32 v28, 31, v27
	v_cvt_i32_f32_e32 v29, v20
	v_ashrrev_i32_e32 v27, 2, v27
	v_add_u32_e32 v27, v27, v28
	v_cvt_i32_f32_e32 v28, v18
	v_mul_hi_i32 v29, v29, s4
	v_lshrrev_b32_e32 v30, 31, v29
	v_ashrrev_i32_e32 v29, 2, v29
	v_mul_hi_i32 v28, v28, s4
	v_add_u32_e32 v29, v29, v30
	v_cvt_i32_f32_e32 v30, v23
	v_lshrrev_b32_e32 v31, 31, v28
	v_ashrrev_i32_e32 v28, 2, v28
	v_add_u32_e32 v28, v28, v31
	v_cvt_i32_f32_e32 v31, v25
	v_mul_hi_i32 v30, v30, s4
	v_lshrrev_b32_e32 v32, 31, v30
	v_ashrrev_i32_e32 v30, 2, v30
	v_mul_hi_i32 v31, v31, s4
	v_add_u32_e32 v30, v30, v32
	v_lshrrev_b32_e32 v32, 31, v31
	v_cvt_i32_f32_e32 v33, v24
	v_ashrrev_i32_e32 v31, 2, v31
	v_add_u32_e32 v31, v31, v32
	v_cvt_i32_f32_e32 v32, v22
	v_mul_hi_i32 v33, v33, s4
	v_lshrrev_b32_e32 v34, 31, v33
	v_ashrrev_i32_e32 v33, 2, v33
	v_mul_hi_i32 v32, v32, s4
	v_add_u32_e32 v38, v33, v34
	v_lshrrev_b32_e32 v33, 31, v32
	v_ashrrev_i32_e32 v32, 2, v32
	v_add_u32_e32 v32, v32, v33
	v_cmp_ne_u32_e32 vcc, v31, v38
	v_cndmask_b32_e64 v39, 0, 1, vcc
	v_cmp_ne_u32_e32 vcc, v31, v32
	v_cndmask_b32_e64 v36, 0, 1, vcc
	;; [unrolled: 2-line block ×8, first 2 shown]
	v_cmp_ne_u32_e32 vcc, v9, v11
	s_waitcnt vmcnt(0) lgkmcnt(0)
	v_cvt_i32_f32_e32 v4, v4
	v_cndmask_b32_e64 v31, 0, 1, vcc
	v_cmp_ne_u32_e32 vcc, v9, v10
	v_cndmask_b32_e64 v28, 0, 1, vcc
	v_cmp_ne_u32_e32 vcc, v10, v8
	;; [unrolled: 2-line block ×4, first 2 shown]
	v_mul_hi_i32 v4, v4, s4
	v_cndmask_b32_e64 v27, 0, 1, vcc
	v_cmp_ne_u32_e32 vcc, v5, v7
	v_lshrrev_b32_e32 v5, 31, v4
	v_ashrrev_i32_e32 v4, 2, v4
	v_add_u32_e32 v4, v4, v5
	v_cndmask_b32_e64 v58, 0, 1, vcc
	v_cmp_ne_u32_e64 s[12:13], v4, v38
	s_mov_b64 s[4:5], -1
.LBB157_59:
                                        ; implicit-def: $sgpr14
	s_branch .LBB157_75
.LBB157_60:
	s_or_b64 exec, exec, s[4:5]
                                        ; implicit-def: $vgpr34
	s_and_saveexec_b64 s[4:5], s[8:9]
	s_cbranch_execz .LBB157_39
.LBB157_61:
	v_add_co_u32_e32 v34, vcc, v4, v32
	v_addc_co_u32_e32 v35, vcc, 0, v5, vcc
	flat_load_dword v34, v[34:35] offset:1024
	s_or_b64 exec, exec, s[4:5]
                                        ; implicit-def: $vgpr35
	s_and_saveexec_b64 s[4:5], s[10:11]
	s_cbranch_execnz .LBB157_40
.LBB157_62:
	s_or_b64 exec, exec, s[4:5]
                                        ; implicit-def: $vgpr36
	s_and_saveexec_b64 s[4:5], s[12:13]
	s_cbranch_execz .LBB157_41
.LBB157_63:
	v_add_co_u32_e32 v36, vcc, v4, v32
	v_addc_co_u32_e32 v37, vcc, 0, v5, vcc
	flat_load_dword v36, v[36:37] offset:3072
	s_or_b64 exec, exec, s[4:5]
                                        ; implicit-def: $vgpr37
	s_and_saveexec_b64 s[4:5], s[14:15]
	s_cbranch_execnz .LBB157_42
.LBB157_64:
	s_or_b64 exec, exec, s[4:5]
                                        ; implicit-def: $vgpr7
	s_and_saveexec_b64 s[4:5], s[16:17]
	s_cbranch_execz .LBB157_43
.LBB157_65:
	v_lshlrev_b32_e32 v7, 2, v8
	v_add_co_u32_e32 v38, vcc, v4, v7
	v_addc_co_u32_e32 v39, vcc, 0, v5, vcc
	flat_load_dword v7, v[38:39]
	s_or_b64 exec, exec, s[4:5]
                                        ; implicit-def: $vgpr8
	s_and_saveexec_b64 s[4:5], s[18:19]
	s_cbranch_execnz .LBB157_44
.LBB157_66:
	s_or_b64 exec, exec, s[4:5]
                                        ; implicit-def: $vgpr9
	s_and_saveexec_b64 s[4:5], s[20:21]
	s_cbranch_execz .LBB157_45
.LBB157_67:
	v_lshlrev_b32_e32 v9, 2, v10
	v_add_co_u32_e32 v38, vcc, v4, v9
	v_addc_co_u32_e32 v39, vcc, 0, v5, vcc
	flat_load_dword v9, v[38:39]
	s_or_b64 exec, exec, s[4:5]
                                        ; implicit-def: $vgpr10
	s_and_saveexec_b64 s[4:5], s[22:23]
	s_cbranch_execnz .LBB157_46
.LBB157_68:
	s_or_b64 exec, exec, s[4:5]
                                        ; implicit-def: $vgpr11
	s_and_saveexec_b64 s[4:5], s[24:25]
	s_cbranch_execz .LBB157_47
.LBB157_69:
	v_lshlrev_b32_e32 v11, 2, v26
	v_add_co_u32_e32 v38, vcc, v4, v11
	v_addc_co_u32_e32 v39, vcc, 0, v5, vcc
	flat_load_dword v11, v[38:39]
	s_or_b64 exec, exec, s[4:5]
                                        ; implicit-def: $vgpr38
	s_and_saveexec_b64 s[4:5], s[26:27]
	s_cbranch_execnz .LBB157_48
.LBB157_70:
	s_or_b64 exec, exec, s[4:5]
                                        ; implicit-def: $vgpr27
	s_and_saveexec_b64 s[4:5], s[28:29]
	s_cbranch_execz .LBB157_49
.LBB157_71:
	v_lshlrev_b32_e32 v26, 2, v28
	v_add_co_u32_e32 v26, vcc, v4, v26
	v_addc_co_u32_e32 v27, vcc, 0, v5, vcc
	flat_load_dword v27, v[26:27]
	s_or_b64 exec, exec, s[4:5]
                                        ; implicit-def: $vgpr28
	s_and_saveexec_b64 s[4:5], s[30:31]
	s_cbranch_execnz .LBB157_50
.LBB157_72:
	s_or_b64 exec, exec, s[4:5]
                                        ; implicit-def: $vgpr29
	s_and_saveexec_b64 s[4:5], s[34:35]
	s_cbranch_execz .LBB157_51
.LBB157_73:
	v_lshlrev_b32_e32 v26, 2, v30
	v_add_co_u32_e32 v40, vcc, v4, v26
	v_addc_co_u32_e32 v41, vcc, 0, v5, vcc
	flat_load_dword v29, v[40:41]
	s_or_b64 exec, exec, s[4:5]
                                        ; implicit-def: $vgpr30
	s_and_saveexec_b64 s[4:5], s[36:37]
	s_cbranch_execnz .LBB157_52
	s_branch .LBB157_53
.LBB157_74:
                                        ; implicit-def: $sgpr12_sgpr13
                                        ; implicit-def: $vgpr58
                                        ; implicit-def: $vgpr27
                                        ; implicit-def: $vgpr26
                                        ; implicit-def: $vgpr29
                                        ; implicit-def: $vgpr28
                                        ; implicit-def: $vgpr31
                                        ; implicit-def: $vgpr30
                                        ; implicit-def: $vgpr33
                                        ; implicit-def: $vgpr32
                                        ; implicit-def: $vgpr35
                                        ; implicit-def: $vgpr34
                                        ; implicit-def: $vgpr37
                                        ; implicit-def: $vgpr36
                                        ; implicit-def: $vgpr39
                                        ; implicit-def: $sgpr14
	s_cbranch_execnz .LBB157_112
.LBB157_75:
	v_mov_b32_e32 v60, s14
	s_and_saveexec_b64 s[6:7], s[4:5]
.LBB157_76:
	v_cndmask_b32_e64 v60, 0, 1, s[12:13]
.LBB157_77:
	s_or_b64 exec, exec, s[6:7]
	s_cmp_eq_u64 s[50:51], 0
	v_add3_u32 v2, v39, v60, v36
	s_mov_b64 s[44:45], 0
	s_cselect_b64 s[36:37], -1, 0
	s_cmp_lg_u32 s66, 0
	v_add_f32_e32 v78, v50, v52
	v_cmp_eq_u32_e64 s[30:31], 0, v39
	v_cmp_eq_u32_e64 s[28:29], 0, v36
	;; [unrolled: 1-line block ×3, first 2 shown]
	v_add3_u32 v77, v2, v37, v34
	v_cmp_eq_u32_e64 s[26:27], 0, v34
	v_cmp_eq_u32_e64 s[22:23], 0, v35
	;; [unrolled: 1-line block ×10, first 2 shown]
	v_cmp_eq_u32_e32 vcc, 0, v58
	v_mbcnt_lo_u32_b32 v76, -1, 0
	v_lshrrev_b32_e32 v74, 6, v0
	v_or_b32_e32 v75, 63, v0
	s_cbranch_scc0 .LBB157_106
; %bb.78:
	v_cndmask_b32_e64 v2, v52, v78, s[30:31]
	v_add_f32_e32 v2, v51, v2
	v_cndmask_b32_e64 v2, v51, v2, s[28:29]
	v_add_f32_e32 v2, v53, v2
	;; [unrolled: 2-line block ×11, first 2 shown]
	v_cndmask_b32_e64 v2, v40, v2, s[8:9]
	v_add3_u32 v3, v77, v35, v32
	v_add_f32_e32 v2, v59, v2
	v_add3_u32 v3, v3, v33, v30
	v_cndmask_b32_e64 v2, v59, v2, s[6:7]
	v_add3_u32 v3, v3, v31, v28
	v_add_f32_e32 v2, v41, v2
	v_add3_u32 v3, v3, v29, v26
	v_cndmask_b32_e32 v2, v41, v2, vcc
	v_add3_u32 v3, v3, v27, v58
	v_mbcnt_hi_u32_b32 v8, -1, v76
	v_mov_b32_dpp v6, v2 row_shr:1 row_mask:0xf bank_mask:0xf
	s_waitcnt vmcnt(0) lgkmcnt(0)
	v_and_b32_e32 v4, 15, v8
	v_add_f32_e32 v6, v2, v6
	v_cmp_eq_u32_e32 vcc, 0, v3
	v_mov_b32_dpp v5, v3 row_shr:1 row_mask:0xf bank_mask:0xf
	v_cndmask_b32_e32 v6, v2, v6, vcc
	v_cmp_eq_u32_e32 vcc, 0, v4
	v_cndmask_b32_e64 v5, v5, 0, vcc
	v_cndmask_b32_e32 v2, v6, v2, vcc
	v_add_u32_e32 v3, v5, v3
	v_cmp_eq_u32_e32 vcc, 0, v3
	v_mov_b32_dpp v6, v2 row_shr:2 row_mask:0xf bank_mask:0xf
	v_add_f32_e32 v6, v2, v6
	v_mov_b32_dpp v5, v3 row_shr:2 row_mask:0xf bank_mask:0xf
	v_cndmask_b32_e32 v6, v2, v6, vcc
	v_cmp_lt_u32_e32 vcc, 1, v4
	v_cndmask_b32_e32 v2, v2, v6, vcc
	v_cndmask_b32_e32 v5, 0, v5, vcc
	v_add_u32_e32 v3, v3, v5
	v_mov_b32_dpp v6, v2 row_shr:4 row_mask:0xf bank_mask:0xf
	v_add_f32_e32 v6, v2, v6
	v_cmp_eq_u32_e32 vcc, 0, v3
	v_mov_b32_dpp v5, v3 row_shr:4 row_mask:0xf bank_mask:0xf
	v_cndmask_b32_e32 v6, v2, v6, vcc
	v_cmp_lt_u32_e32 vcc, 3, v4
	v_cndmask_b32_e32 v2, v2, v6, vcc
	v_cndmask_b32_e32 v5, 0, v5, vcc
	v_add_u32_e32 v3, v5, v3
	v_mov_b32_dpp v6, v2 row_shr:8 row_mask:0xf bank_mask:0xf
	v_add_f32_e32 v6, v2, v6
	v_cmp_eq_u32_e32 vcc, 0, v3
	v_mov_b32_dpp v5, v3 row_shr:8 row_mask:0xf bank_mask:0xf
	v_cndmask_b32_e32 v6, v2, v6, vcc
	v_cmp_lt_u32_e32 vcc, 7, v4
	v_cndmask_b32_e32 v2, v2, v6, vcc
	v_cndmask_b32_e32 v4, 0, v5, vcc
	v_add_u32_e32 v3, v4, v3
	v_mov_b32_dpp v5, v2 row_bcast:15 row_mask:0xf bank_mask:0xf
	v_bfe_i32 v6, v8, 4, 1
	v_mov_b32_dpp v4, v3 row_bcast:15 row_mask:0xf bank_mask:0xf
	v_and_b32_e32 v7, 16, v8
	v_add_f32_e32 v5, v2, v5
	v_cmp_eq_u32_e32 vcc, 0, v3
	v_cndmask_b32_e32 v5, v2, v5, vcc
	v_and_b32_e32 v4, v6, v4
	v_cmp_eq_u32_e32 vcc, 0, v7
	v_add_u32_e32 v4, v4, v3
	v_cndmask_b32_e32 v3, v5, v2, vcc
	v_cmp_eq_u32_e32 vcc, 0, v4
	v_mov_b32_dpp v2, v4 row_bcast:31 row_mask:0xf bank_mask:0xf
	v_mov_b32_dpp v5, v3 row_bcast:31 row_mask:0xf bank_mask:0xf
	v_add_f32_e32 v5, v3, v5
	v_cndmask_b32_e32 v5, v3, v5, vcc
	v_cmp_lt_u32_e32 vcc, 31, v8
	v_cndmask_b32_e32 v2, 0, v2, vcc
	v_add_u32_e32 v2, v2, v4
	v_cmp_eq_u32_e64 s[4:5], v75, v0
	v_cndmask_b32_e32 v4, v3, v5, vcc
	s_and_saveexec_b64 s[34:35], s[4:5]
	s_cbranch_execz .LBB157_80
; %bb.79:
	v_lshlrev_b32_e32 v6, 3, v74
	v_cndmask_b32_e32 v3, v3, v5, vcc
	ds_write_b64 v6, v[2:3] offset:2064
.LBB157_80:
	s_or_b64 exec, exec, s[34:35]
	v_cmp_gt_u32_e32 vcc, 4, v0
	s_waitcnt lgkmcnt(0)
	s_barrier
	s_and_saveexec_b64 s[34:35], vcc
	s_cbranch_execz .LBB157_82
; %bb.81:
	v_lshlrev_b32_e32 v3, 3, v0
	ds_read_b64 v[6:7], v3 offset:2064
	v_and_b32_e32 v5, 3, v8
	v_cmp_lt_u32_e64 s[4:5], 1, v5
	s_waitcnt lgkmcnt(0)
	v_mov_b32_dpp v10, v7 row_shr:1 row_mask:0xf bank_mask:0xf
	v_add_f32_e32 v10, v7, v10
	v_cmp_eq_u32_e32 vcc, 0, v6
	v_mov_b32_dpp v9, v6 row_shr:1 row_mask:0xf bank_mask:0xf
	v_cndmask_b32_e32 v10, v7, v10, vcc
	v_cmp_eq_u32_e32 vcc, 0, v5
	v_cndmask_b32_e64 v9, v9, 0, vcc
	v_add_u32_e32 v6, v9, v6
	v_cndmask_b32_e32 v7, v10, v7, vcc
	v_cmp_eq_u32_e32 vcc, 0, v6
	v_mov_b32_dpp v9, v6 row_shr:2 row_mask:0xf bank_mask:0xf
	v_mov_b32_dpp v10, v7 row_shr:2 row_mask:0xf bank_mask:0xf
	v_add_f32_e32 v10, v7, v10
	v_cndmask_b32_e64 v5, 0, v9, s[4:5]
	s_and_b64 vcc, s[4:5], vcc
	v_add_u32_e32 v6, v5, v6
	v_cndmask_b32_e32 v7, v7, v10, vcc
	ds_write_b64 v3, v[6:7] offset:2064
.LBB157_82:
	s_or_b64 exec, exec, s[34:35]
	v_cmp_gt_u32_e32 vcc, 64, v0
	v_cmp_lt_u32_e64 s[4:5], 63, v0
	v_mov_b32_e32 v54, 0
	v_mov_b32_e32 v55, 0
	s_waitcnt lgkmcnt(0)
	s_barrier
	s_and_saveexec_b64 s[34:35], s[4:5]
	s_cbranch_execz .LBB157_84
; %bb.83:
	v_lshlrev_b32_e32 v3, 3, v74
	ds_read_b64 v[54:55], v3 offset:2056
	v_cmp_eq_u32_e64 s[4:5], 0, v2
	s_waitcnt lgkmcnt(0)
	v_add_u32_e32 v3, v54, v2
	v_add_f32_e32 v5, v4, v55
	v_cndmask_b32_e64 v4, v4, v5, s[4:5]
	v_mov_b32_e32 v2, v3
.LBB157_84:
	s_or_b64 exec, exec, s[34:35]
	v_add_u32_e32 v3, -1, v8
	v_and_b32_e32 v5, 64, v8
	v_cmp_lt_i32_e64 s[4:5], v3, v5
	v_cndmask_b32_e64 v3, v3, v8, s[4:5]
	v_lshlrev_b32_e32 v3, 2, v3
	ds_bpermute_b32 v79, v3, v2
	ds_bpermute_b32 v80, v3, v4
	v_cmp_eq_u32_e64 s[34:35], 0, v8
	s_mov_b64 s[52:53], -1
	s_mov_b64 s[4:5], 0
	s_and_saveexec_b64 s[50:51], vcc
                                        ; implicit-def: $vgpr3_vgpr4_vgpr5
	s_cbranch_execz .LBB157_200
; %bb.85:
	v_mov_b32_e32 v7, 0
	ds_read_b64 v[2:3], v7 offset:2088
	s_waitcnt lgkmcnt(0)
	v_readfirstlane_b32 s60, v3
	s_and_saveexec_b64 s[4:5], s[34:35]
	s_cbranch_execz .LBB157_87
; %bb.86:
	s_add_i32 s52, s66, 64
	s_mov_b32 s53, 0
	s_lshl_b64 s[54:55], s[52:53], 4
	s_add_u32 s54, s48, s54
	s_addc_u32 s55, s49, s55
	s_and_b32 s69, s60, 0xff000000
	s_mov_b32 s68, s53
	s_and_b32 s71, s60, 0xff0000
	s_mov_b32 s70, s53
	s_or_b64 s[68:69], s[70:71], s[68:69]
	s_and_b32 s71, s60, 0xff00
	s_or_b64 s[68:69], s[68:69], s[70:71]
	s_and_b32 s71, s60, 0xff
	s_or_b64 s[52:53], s[68:69], s[70:71]
	v_mov_b32_e32 v5, s53
	v_mov_b32_e32 v6, 1
	v_mov_b32_e32 v4, v2
	v_pk_mov_b32 v[10:11], s[54:55], s[54:55] op_sel:[0,1]
	;;#ASMSTART
	global_store_dwordx4 v[10:11], v[4:7] off	
s_waitcnt vmcnt(0)
	;;#ASMEND
.LBB157_87:
	s_or_b64 exec, exec, s[4:5]
	v_xad_u32 v56, v8, -1, s66
	v_add_u32_e32 v6, 64, v56
	v_lshlrev_b64 v[4:5], 4, v[6:7]
	buffer_store_dword v7, off, s[0:3], 0
	buffer_store_dword v7, off, s[0:3], 0 offset:4
	buffer_store_dword v7, off, s[0:3], 0 offset:8
	;; [unrolled: 1-line block ×7, first 2 shown]
	v_mov_b32_e32 v6, s49
	v_add_co_u32_e32 v4, vcc, s48, v4
	s_mov_b32 s4, 0x70605
	v_addc_co_u32_e32 v5, vcc, v6, v5, vcc
	;;#ASMSTART
	global_load_dwordx4 v[8:11], v[4:5] off glc	
s_waitcnt vmcnt(0)
	;;#ASMEND
	v_perm_b32 v6, v9, v10, s4
	s_mov_b32 s4, 0x1000706
	v_perm_b32 v38, v9, v10, s4
	s_mov_b32 s4, 0x2010007
	v_perm_b32 v57, v9, v10, s4
	v_lshlrev_b32_e32 v6, 8, v6
	s_mov_b32 s4, 0xc0c0500
	v_alignbit_b32 v11, v9, v8, 8
	v_alignbit_b32 v62, v9, v8, 16
	;; [unrolled: 1-line block ×3, first 2 shown]
	v_perm_b32 v6, v6, v9, s4
	v_lshlrev_b32_e32 v9, 16, v38
	v_and_b32_e32 v9, 0xff0000, v9
	v_lshlrev_b32_e32 v38, 24, v57
	v_or3_b32 v9, v6, v9, v38
	v_cmp_eq_u16_sdwa s[52:53], v10, v7 src0_sel:BYTE_0 src1_sel:DWORD
	s_and_saveexec_b64 s[4:5], s[52:53]
	s_cbranch_execz .LBB157_91
; %bb.88:
	s_mov_b64 s[52:53], 0
	v_mov_b32_e32 v6, 0
.LBB157_89:                             ; =>This Inner Loop Header: Depth=1
	;;#ASMSTART
	global_load_dwordx4 v[8:11], v[4:5] off glc	
s_waitcnt vmcnt(0)
	;;#ASMEND
	v_cmp_ne_u16_sdwa s[54:55], v10, v6 src0_sel:BYTE_0 src1_sel:DWORD
	s_or_b64 s[52:53], s[54:55], s[52:53]
	s_andn2_b64 exec, exec, s[52:53]
	s_cbranch_execnz .LBB157_89
; %bb.90:
	s_or_b64 exec, exec, s[52:53]
	s_mov_b32 s52, 0x70605
	v_perm_b32 v4, v9, v10, s52
	s_mov_b32 s52, 0x1000706
	v_perm_b32 v5, v9, v10, s52
	;; [unrolled: 2-line block ×3, first 2 shown]
	v_lshlrev_b32_e32 v4, 8, v4
	s_mov_b32 s52, 0xc0c0500
	v_lshlrev_b32_e32 v5, 16, v5
	v_perm_b32 v4, v4, v9, s52
	v_lshlrev_b32_e32 v6, 24, v6
	v_and_b32_e32 v5, 0xff0000, v5
	v_alignbit_b32 v11, v9, v8, 8
	v_alignbit_b32 v62, v9, v8, 16
	;; [unrolled: 1-line block ×3, first 2 shown]
	v_or3_b32 v9, v4, v5, v6
.LBB157_91:
	s_or_b64 exec, exec, s[4:5]
	s_mov_b32 s54, 0
	s_mov_b32 s67, 0x4020c0c
	s_movk_i32 s68, 0xff
	v_mov_b32_e32 v61, 0
	v_mov_b32_e32 v5, 0
	s_mov_b32 s69, 0x70605
	s_mov_b32 s70, 0x1000706
	;; [unrolled: 1-line block ×4, first 2 shown]
	v_mov_b32_e32 v63, 2
	s_branch .LBB157_93
.LBB157_92:                             ;   in Loop: Header=BB157_93 Depth=1
	s_or_b64 exec, exec, s[52:53]
	s_add_i32 s54, s61, 1
	v_subrev_u32_e32 v56, 64, v4
	s_cbranch_execz .LBB157_99
.LBB157_93:                             ; =>This Loop Header: Depth=1
                                        ;     Child Loop BB157_96 Depth 2
	v_mov_b32_e32 v6, v10
	v_cmp_ne_u16_sdwa s[4:5], v6, v63 src0_sel:BYTE_0 src1_sel:DWORD
	v_cmp_ne_u16_sdwa s[52:53], v6, s68 src0_sel:BYTE_0 src1_sel:DWORD
	s_and_b64 s[52:53], s[4:5], s[52:53]
	v_lshlrev_b32_e32 v10, 8, v11
	v_cndmask_b32_e64 v11, 0, 1, s[52:53]
	;;#ASMSTART
	;;#ASMEND
	v_cmp_ne_u32_e32 vcc, 0, v11
	s_cmp_eq_u64 vcc, exec
	s_cselect_b64 s[52:53], -1, 0
	s_cmp_lt_u32 s54, 4
	s_mov_b32 s61, s54
	v_mov_b32_e32 v7, v9
	v_lshlrev_b32_e32 v9, 16, v62
	s_cselect_b64 s[54:55], -1, 0
	v_perm_b32 v9, v64, v9, s67
	v_and_b32_e32 v10, 0xff00, v10
	v_and_b32_e32 v8, 0xff, v8
	s_and_b64 s[52:53], s[52:53], s[54:55]
	v_mov_b32_e32 v4, v56
	s_andn2_b64 vcc, exec, s[52:53]
	v_or3_b32 v38, v9, v10, v8
	s_cbranch_vccnz .LBB157_98
; %bb.94:                               ;   in Loop: Header=BB157_93 Depth=1
	s_lshl_b32 s52, s61, 3
	v_add_u32_e32 v8, s52, v61
	buffer_store_dword v38, v8, s[0:3], 0 offen
	buffer_store_dword v7, v8, s[0:3], 0 offen offset:4
	v_lshlrev_b64 v[8:9], 4, v[4:5]
	v_mov_b32_e32 v10, s49
	v_add_co_u32_e32 v56, vcc, s48, v8
	v_addc_co_u32_e32 v57, vcc, v10, v9, vcc
	;;#ASMSTART
	global_load_dwordx4 v[8:11], v[56:57] off glc	
s_waitcnt vmcnt(0)
	;;#ASMEND
	v_perm_b32 v65, v9, v10, s69
	v_perm_b32 v66, v9, v10, s70
	v_lshlrev_b32_e32 v65, 8, v65
	v_alignbit_b32 v11, v9, v8, 8
	v_alignbit_b32 v62, v9, v8, 16
	;; [unrolled: 1-line block ×3, first 2 shown]
	v_perm_b32 v67, v9, v10, s71
	v_perm_b32 v9, v65, v9, s72
	v_lshlrev_b32_e32 v65, 16, v66
	v_and_b32_e32 v65, 0xff0000, v65
	v_lshlrev_b32_e32 v66, 24, v67
	v_or3_b32 v9, v9, v65, v66
	v_cmp_eq_u16_sdwa s[54:55], v10, v5 src0_sel:BYTE_0 src1_sel:DWORD
	s_and_saveexec_b64 s[52:53], s[54:55]
	s_cbranch_execz .LBB157_92
; %bb.95:                               ;   in Loop: Header=BB157_93 Depth=1
	s_mov_b64 s[54:55], 0
.LBB157_96:                             ;   Parent Loop BB157_93 Depth=1
                                        ; =>  This Inner Loop Header: Depth=2
	;;#ASMSTART
	global_load_dwordx4 v[8:11], v[56:57] off glc	
s_waitcnt vmcnt(0)
	;;#ASMEND
	v_cmp_ne_u16_sdwa s[74:75], v10, v5 src0_sel:BYTE_0 src1_sel:DWORD
	s_or_b64 s[54:55], s[74:75], s[54:55]
	s_andn2_b64 exec, exec, s[54:55]
	s_cbranch_execnz .LBB157_96
; %bb.97:                               ;   in Loop: Header=BB157_93 Depth=1
	s_or_b64 exec, exec, s[54:55]
	v_perm_b32 v56, v9, v10, s69
	v_perm_b32 v57, v9, v10, s70
	v_lshlrev_b32_e32 v56, 8, v56
	v_alignbit_b32 v11, v9, v8, 8
	v_alignbit_b32 v62, v9, v8, 16
	;; [unrolled: 1-line block ×3, first 2 shown]
	v_perm_b32 v65, v9, v10, s71
	v_perm_b32 v9, v56, v9, s72
	v_lshlrev_b32_e32 v56, 16, v57
	v_lshlrev_b32_e32 v57, 24, v65
	v_and_b32_e32 v56, 0xff0000, v56
	v_or3_b32 v9, v9, v56, v57
	s_branch .LBB157_92
.LBB157_98:
                                        ; implicit-def: $vgpr56
                                        ; implicit-def: $sgpr54
                                        ; implicit-def: $vgpr10
                                        ; implicit-def: $vgpr9
                                        ; implicit-def: $vgpr11
                                        ; implicit-def: $vgpr62
                                        ; implicit-def: $vgpr64
.LBB157_99:
	v_cndmask_b32_e64 v5, 0, 1, s[4:5]
	;;#ASMSTART
	;;#ASMEND
	v_cmp_ne_u32_e32 vcc, 0, v5
	s_cmp_lg_u64 vcc, exec
	s_cbranch_scc1 .LBB157_182
; %bb.100:
	s_movk_i32 s4, 0xff
	v_cmp_eq_u16_sdwa s[4:5], v6, s4 src0_sel:BYTE_0 src1_sel:DWORD
	v_cndmask_b32_e64 v5, 0, 1, s[4:5]
	;;#ASMSTART
	;;#ASMEND
	v_cmp_ne_u32_e32 vcc, 0, v5
	s_cmp_eq_u64 vcc, exec
	v_add_u32_e32 v5, 64, v4
	s_cselect_b64 vcc, -1, 0
	v_cndmask_b32_e32 v4, v4, v5, vcc
	v_add_u32_e32 v8, 64, v4
	v_mov_b32_e32 v9, 0
	v_lshlrev_b64 v[4:5], 4, v[8:9]
	v_mov_b32_e32 v6, s49
	v_add_co_u32_e64 v10, s[4:5], s48, v4
	v_addc_co_u32_e64 v11, s[4:5], v6, v5, s[4:5]
	s_mov_b32 s54, 0x70605
	s_mov_b32 s55, 0x1000706
	;; [unrolled: 1-line block ×4, first 2 shown]
	v_mov_b32_e32 v8, 2
	s_branch .LBB157_102
.LBB157_101:                            ;   in Loop: Header=BB157_102 Depth=1
	s_or_b64 exec, exec, s[4:5]
	v_cmp_ne_u16_sdwa s[4:5], v6, v8 src0_sel:BYTE_0 src1_sel:DWORD
	v_cndmask_b32_e64 v5, 0, 1, s[4:5]
	;;#ASMSTART
	;;#ASMEND
	v_cmp_ne_u32_e64 s[4:5], 0, v5
	s_cmp_eq_u64 s[4:5], exec
	s_cbranch_scc0 .LBB157_181
.LBB157_102:                            ; =>This Loop Header: Depth=1
                                        ;     Child Loop BB157_104 Depth 2
	;;#ASMSTART
	global_load_dwordx4 v[4:7], v[10:11] off glc	
s_waitcnt vmcnt(0)
	;;#ASMEND
	v_perm_b32 v7, v5, v6, s54
	v_perm_b32 v61, v5, v6, s55
	v_lshlrev_b32_e32 v7, 8, v7
	v_alignbit_b32 v38, v5, v4, 8
	v_alignbit_b32 v57, v5, v4, 16
	;; [unrolled: 1-line block ×3, first 2 shown]
	v_perm_b32 v62, v5, v6, s67
	v_perm_b32 v5, v7, v5, s68
	v_lshlrev_b32_e32 v7, 16, v61
	v_and_b32_e32 v7, 0xff0000, v7
	v_lshlrev_b32_e32 v61, 24, v62
	v_or3_b32 v7, v5, v7, v61
	v_cmp_eq_u16_sdwa s[52:53], v6, v9 src0_sel:BYTE_0 src1_sel:DWORD
	s_and_saveexec_b64 s[4:5], s[52:53]
	s_cbranch_execz .LBB157_101
; %bb.103:                              ;   in Loop: Header=BB157_102 Depth=1
	s_mov_b64 s[52:53], 0
.LBB157_104:                            ;   Parent Loop BB157_102 Depth=1
                                        ; =>  This Inner Loop Header: Depth=2
	;;#ASMSTART
	global_load_dwordx4 v[4:7], v[10:11] off glc	
s_waitcnt vmcnt(0)
	;;#ASMEND
	v_cmp_ne_u16_sdwa s[70:71], v6, v9 src0_sel:BYTE_0 src1_sel:DWORD
	s_or_b64 s[52:53], s[70:71], s[52:53]
	s_andn2_b64 exec, exec, s[52:53]
	s_cbranch_execnz .LBB157_104
; %bb.105:                              ;   in Loop: Header=BB157_102 Depth=1
	s_or_b64 exec, exec, s[52:53]
	v_perm_b32 v7, v5, v6, s54
	v_perm_b32 v61, v5, v6, s55
	v_lshlrev_b32_e32 v7, 8, v7
	v_alignbit_b32 v38, v5, v4, 8
	v_alignbit_b32 v57, v5, v4, 16
	;; [unrolled: 1-line block ×3, first 2 shown]
	v_perm_b32 v62, v5, v6, s67
	v_perm_b32 v5, v7, v5, s68
	v_lshlrev_b32_e32 v7, 16, v61
	v_lshlrev_b32_e32 v61, 24, v62
	v_and_b32_e32 v7, 0xff0000, v7
	v_or3_b32 v7, v5, v7, v61
	s_branch .LBB157_101
.LBB157_106:
                                        ; implicit-def: $vgpr2
                                        ; implicit-def: $vgpr38
                                        ; implicit-def: $vgpr6
                                        ; implicit-def: $vgpr62
                                        ; implicit-def: $vgpr56
                                        ; implicit-def: $vgpr57
                                        ; implicit-def: $vgpr61
                                        ; implicit-def: $vgpr63
                                        ; implicit-def: $vgpr64
                                        ; implicit-def: $vgpr65
                                        ; implicit-def: $vgpr66
                                        ; implicit-def: $vgpr67
                                        ; implicit-def: $vgpr68
                                        ; implicit-def: $vgpr69
                                        ; implicit-def: $vgpr70
                                        ; implicit-def: $vgpr71
                                        ; implicit-def: $vgpr72
                                        ; implicit-def: $vgpr73
	s_cbranch_execnz .LBB157_205
.LBB157_107:
	s_and_saveexec_b64 s[4:5], s[44:45]
	s_cbranch_execnz .LBB157_216
	s_branch .LBB157_399
.LBB157_108:
                                        ; implicit-def: $sgpr12_sgpr13
                                        ; implicit-def: $vgpr58
                                        ; implicit-def: $vgpr27
                                        ; implicit-def: $vgpr26
                                        ; implicit-def: $vgpr29
                                        ; implicit-def: $vgpr28
                                        ; implicit-def: $vgpr31
                                        ; implicit-def: $vgpr30
                                        ; implicit-def: $vgpr33
                                        ; implicit-def: $vgpr32
                                        ; implicit-def: $vgpr35
                                        ; implicit-def: $vgpr34
                                        ; implicit-def: $vgpr37
                                        ; implicit-def: $vgpr36
                                        ; implicit-def: $vgpr39
	s_cbranch_execz .LBB157_59
; %bb.109:
	v_cvt_i32_f32_e32 v5, v13
	v_cvt_i32_f32_e32 v7, v12
	s_mov_b32 s14, 0x66666667
	v_cvt_i32_f32_e32 v11, v16
	v_mul_hi_i32 v5, v5, s14
	v_lshrrev_b32_e32 v6, 31, v5
	v_ashrrev_i32_e32 v5, 2, v5
	v_add_u32_e32 v6, v5, v6
	v_cvt_i32_f32_e32 v5, v1
	v_mul_hi_i32 v7, v7, s14
	v_lshrrev_b32_e32 v8, 31, v7
	v_ashrrev_i32_e32 v7, 2, v7
	v_add_u32_e32 v7, v7, v8
	;; [unrolled: 5-line block ×3, first 2 shown]
	v_mul_hi_i32 v5, v8, s14
	v_cvt_i32_f32_e32 v8, v17
	v_lshrrev_b32_e32 v10, 31, v5
	v_ashrrev_i32_e32 v5, 2, v5
	v_add_u32_e32 v10, v5, v10
	v_mul_hi_i32 v5, v8, s14
	v_lshrrev_b32_e32 v8, 31, v5
	v_ashrrev_i32_e32 v5, 2, v5
	v_add_u32_e32 v8, v5, v8
	v_cvt_i32_f32_e32 v5, v14
	v_mul_hi_i32 v11, v11, s14
	v_lshrrev_b32_e32 v26, 31, v11
	v_ashrrev_i32_e32 v11, 2, v11
	v_add_u32_e32 v11, v11, v26
	v_cvt_i32_f32_e32 v26, v19
	v_mul_hi_i32 v5, v5, s14
	v_lshrrev_b32_e32 v27, 31, v5
	v_ashrrev_i32_e32 v5, 2, v5
	v_add_u32_e32 v27, v5, v27
	v_mul_hi_i32 v5, v26, s14
	v_cvt_i32_f32_e32 v26, v21
	v_cvt_i32_f32_e32 v29, v20
	v_lshrrev_b32_e32 v28, 31, v5
	v_ashrrev_i32_e32 v5, 2, v5
	v_add_u32_e32 v28, v5, v28
	v_mul_hi_i32 v5, v26, s14
	v_lshrrev_b32_e32 v26, 31, v5
	v_ashrrev_i32_e32 v5, 2, v5
	v_add_u32_e32 v26, v5, v26
	v_cvt_i32_f32_e32 v5, v18
	v_mul_hi_i32 v29, v29, s14
	v_lshrrev_b32_e32 v30, 31, v29
	v_ashrrev_i32_e32 v29, 2, v29
	v_add_u32_e32 v29, v29, v30
	v_cvt_i32_f32_e32 v30, v23
	v_mul_hi_i32 v5, v5, s14
	v_lshrrev_b32_e32 v31, 31, v5
	v_ashrrev_i32_e32 v5, 2, v5
	v_add_u32_e32 v31, v5, v31
	v_mul_hi_i32 v5, v30, s14
	v_cvt_i32_f32_e32 v30, v25
	v_cvt_i32_f32_e32 v33, v24
	v_lshrrev_b32_e32 v32, 31, v5
	v_ashrrev_i32_e32 v5, 2, v5
	v_add_u32_e32 v32, v5, v32
	v_mul_hi_i32 v5, v30, s14
	v_cvt_i32_f32_e32 v34, v22
	v_lshrrev_b32_e32 v30, 31, v5
	v_ashrrev_i32_e32 v5, 2, v5
	v_add_u32_e32 v30, v5, v30
	v_mul_hi_i32 v5, v33, s14
	v_lshrrev_b32_e32 v33, 31, v5
	v_ashrrev_i32_e32 v5, 2, v5
	v_add_u32_e32 v5, v5, v33
	v_mul_hi_i32 v33, v34, s14
	v_lshrrev_b32_e32 v34, 31, v33
	v_ashrrev_i32_e32 v33, 2, v33
	v_add_u32_e32 v33, v33, v34
	v_cmp_ne_u32_e32 vcc, v30, v5
	v_cndmask_b32_e64 v39, 0, 1, vcc
	v_cmp_ne_u32_e32 vcc, v30, v33
	v_cndmask_b32_e64 v36, 0, 1, vcc
	v_cmp_ne_u32_e32 vcc, v33, v32
	v_cndmask_b32_e64 v37, 0, 1, vcc
	v_cmp_ne_u32_e32 vcc, v29, v32
	v_cndmask_b32_e64 v34, 0, 1, vcc
	v_cmp_ne_u32_e32 vcc, v26, v29
	v_cndmask_b32_e64 v35, 0, 1, vcc
	v_cmp_ne_u32_e32 vcc, v26, v31
	v_cndmask_b32_e64 v32, 0, 1, vcc
	v_cmp_ne_u32_e32 vcc, v31, v28
	v_cndmask_b32_e64 v33, 0, 1, vcc
	v_cmp_ne_u32_e32 vcc, v11, v28
	v_cndmask_b32_e64 v30, 0, 1, vcc
	v_cmp_ne_u32_e32 vcc, v8, v11
	v_cndmask_b32_e64 v31, 0, 1, vcc
	v_cmp_ne_u32_e32 vcc, v8, v27
	v_cndmask_b32_e64 v28, 0, 1, vcc
	v_cmp_ne_u32_e32 vcc, v27, v10
	v_cndmask_b32_e64 v29, 0, 1, vcc
	v_cmp_ne_u32_e32 vcc, v7, v10
	v_cndmask_b32_e64 v26, 0, 1, vcc
	v_cmp_ne_u32_e32 vcc, v6, v7
	v_cndmask_b32_e64 v27, 0, 1, vcc
	v_cmp_ne_u32_e32 vcc, v6, v9
	v_lshlrev_b32_e32 v4, 2, v0
	v_cndmask_b32_e64 v58, 0, 1, vcc
	ds_write_b32 v4, v1
	s_waitcnt lgkmcnt(0)
	s_barrier
	s_waitcnt lgkmcnt(0)
                                        ; implicit-def: $sgpr12_sgpr13
	s_and_saveexec_b64 s[8:9], s[6:7]
	s_xor_b64 s[8:9], exec, s[8:9]
	s_cbranch_execz .LBB157_111
; %bb.110:
	v_add_u32_e32 v4, -4, v4
	ds_read_b32 v4, v4
	s_or_b64 s[4:5], s[4:5], exec
	s_waitcnt lgkmcnt(0)
	v_cvt_i32_f32_e32 v4, v4
	v_mul_hi_i32 v4, v4, s14
	v_lshrrev_b32_e32 v6, 31, v4
	v_ashrrev_i32_e32 v4, 2, v4
	v_add_u32_e32 v4, v4, v6
	v_cmp_ne_u32_e32 vcc, v4, v5
	s_and_b64 s[12:13], vcc, exec
.LBB157_111:
	s_or_b64 exec, exec, s[8:9]
	s_mov_b32 s14, 1
	s_branch .LBB157_75
.LBB157_112:
	s_mul_hi_u32 s9, s44, 0xfffff100
	s_mul_i32 s8, s45, 0xfffff100
	s_sub_i32 s9, s9, s44
	s_add_i32 s9, s9, s8
	s_mul_i32 s8, s44, 0xfffff100
	s_add_u32 s8, s8, s60
	s_addc_u32 s9, s9, s61
	s_and_b64 vcc, exec, s[10:11]
	s_cbranch_vccz .LBB157_147
; %bb.113:
	v_add_co_u32_e32 v2, vcc, -4, v2
	v_addc_co_u32_e32 v3, vcc, -1, v3, vcc
	flat_load_dword v4, v[2:3]
	v_mad_u32_u24 v26, v0, 15, 14
	v_mov_b32_e32 v27, 0
	v_lshlrev_b32_e32 v3, 2, v0
	v_mul_u32_u24_e32 v2, 15, v0
	v_cmp_gt_u64_e32 vcc, s[8:9], v[26:27]
	v_mov_b32_e32 v58, 0
	ds_write_b32 v3, v1
	s_and_saveexec_b64 s[4:5], vcc
	s_cbranch_execz .LBB157_115
; %bb.114:
	v_cvt_i32_f32_e32 v5, v13
	v_cvt_i32_f32_e32 v6, v1
	s_mov_b32 s10, 0x66666667
	v_mul_hi_i32 v5, v5, s10
	v_lshrrev_b32_e32 v7, 31, v5
	v_ashrrev_i32_e32 v5, 2, v5
	v_mul_hi_i32 v6, v6, s10
	v_add_u32_e32 v5, v5, v7
	v_lshrrev_b32_e32 v7, 31, v6
	v_ashrrev_i32_e32 v6, 2, v6
	v_add_u32_e32 v6, v6, v7
	v_cmp_ne_u32_e32 vcc, v5, v6
	v_cndmask_b32_e64 v58, 0, 1, vcc
.LBB157_115:
	s_or_b64 exec, exec, s[4:5]
	v_add_u32_e32 v26, 13, v2
	v_cmp_gt_u64_e32 vcc, s[8:9], v[26:27]
	s_and_saveexec_b64 s[4:5], vcc
	s_cbranch_execz .LBB157_117
; %bb.116:
	v_cvt_i32_f32_e32 v5, v12
	v_cvt_i32_f32_e32 v6, v13
	s_mov_b32 s10, 0x66666667
	v_mul_hi_i32 v5, v5, s10
	v_lshrrev_b32_e32 v7, 31, v5
	v_ashrrev_i32_e32 v5, 2, v5
	v_mul_hi_i32 v6, v6, s10
	v_add_u32_e32 v5, v5, v7
	v_lshrrev_b32_e32 v7, 31, v6
	v_ashrrev_i32_e32 v6, 2, v6
	v_add_u32_e32 v6, v6, v7
	v_cmp_ne_u32_e32 vcc, v5, v6
	v_cndmask_b32_e64 v27, 0, 1, vcc
.LBB157_117:
	s_or_b64 exec, exec, s[4:5]
	v_add_u32_e32 v28, 12, v2
	v_mov_b32_e32 v29, 0
	v_cmp_gt_u64_e32 vcc, s[8:9], v[28:29]
	v_mov_b32_e32 v26, 0
	s_and_saveexec_b64 s[4:5], vcc
	s_cbranch_execz .LBB157_119
; %bb.118:
	v_cvt_i32_f32_e32 v5, v15
	v_cvt_i32_f32_e32 v6, v12
	s_mov_b32 s10, 0x66666667
	v_mul_hi_i32 v5, v5, s10
	v_lshrrev_b32_e32 v7, 31, v5
	v_ashrrev_i32_e32 v5, 2, v5
	v_mul_hi_i32 v6, v6, s10
	v_add_u32_e32 v5, v5, v7
	v_lshrrev_b32_e32 v7, 31, v6
	v_ashrrev_i32_e32 v6, 2, v6
	v_add_u32_e32 v6, v6, v7
	v_cmp_ne_u32_e32 vcc, v5, v6
	v_cndmask_b32_e64 v26, 0, 1, vcc
.LBB157_119:
	s_or_b64 exec, exec, s[4:5]
	v_add_u32_e32 v28, 11, v2
	v_cmp_gt_u64_e32 vcc, s[8:9], v[28:29]
	s_and_saveexec_b64 s[4:5], vcc
	s_cbranch_execz .LBB157_121
; %bb.120:
	v_cvt_i32_f32_e32 v5, v14
	v_cvt_i32_f32_e32 v6, v15
	s_mov_b32 s10, 0x66666667
	v_mul_hi_i32 v5, v5, s10
	v_lshrrev_b32_e32 v7, 31, v5
	v_ashrrev_i32_e32 v5, 2, v5
	v_mul_hi_i32 v6, v6, s10
	v_add_u32_e32 v5, v5, v7
	v_lshrrev_b32_e32 v7, 31, v6
	v_ashrrev_i32_e32 v6, 2, v6
	v_add_u32_e32 v6, v6, v7
	v_cmp_ne_u32_e32 vcc, v5, v6
	v_cndmask_b32_e64 v29, 0, 1, vcc
.LBB157_121:
	s_or_b64 exec, exec, s[4:5]
	v_add_u32_e32 v30, 10, v2
	v_mov_b32_e32 v31, 0
	v_cmp_gt_u64_e32 vcc, s[8:9], v[30:31]
	v_mov_b32_e32 v28, 0
	;; [unrolled: 42-line block ×6, first 2 shown]
	s_and_saveexec_b64 s[4:5], vcc
	s_cbranch_execz .LBB157_139
; %bb.138:
	v_cvt_i32_f32_e32 v5, v25
	v_cvt_i32_f32_e32 v6, v22
	s_mov_b32 s10, 0x66666667
	v_mul_hi_i32 v5, v5, s10
	v_lshrrev_b32_e32 v7, 31, v5
	v_ashrrev_i32_e32 v5, 2, v5
	v_mul_hi_i32 v6, v6, s10
	v_add_u32_e32 v5, v5, v7
	v_lshrrev_b32_e32 v7, 31, v6
	v_ashrrev_i32_e32 v6, 2, v6
	v_add_u32_e32 v6, v6, v7
	v_cmp_ne_u32_e32 vcc, v5, v6
	v_cndmask_b32_e64 v36, 0, 1, vcc
.LBB157_139:
	s_or_b64 exec, exec, s[4:5]
	v_add_u32_e32 v38, 1, v2
	v_cmp_gt_u64_e32 vcc, s[8:9], v[38:39]
	s_and_saveexec_b64 s[4:5], vcc
	s_cbranch_execz .LBB157_141
; %bb.140:
	v_cvt_i32_f32_e32 v5, v24
	v_cvt_i32_f32_e32 v6, v25
	s_mov_b32 s10, 0x66666667
	v_mul_hi_i32 v5, v5, s10
	v_lshrrev_b32_e32 v7, 31, v5
	v_ashrrev_i32_e32 v5, 2, v5
	v_mul_hi_i32 v6, v6, s10
	v_add_u32_e32 v5, v5, v7
	v_lshrrev_b32_e32 v7, 31, v6
	v_ashrrev_i32_e32 v6, 2, v6
	v_add_u32_e32 v6, v6, v7
	v_cmp_ne_u32_e32 vcc, v5, v6
	v_cndmask_b32_e64 v39, 0, 1, vcc
.LBB157_141:
	s_or_b64 exec, exec, s[4:5]
	s_waitcnt lgkmcnt(0)
	s_barrier
	s_and_saveexec_b64 s[4:5], s[6:7]
	s_cbranch_execz .LBB157_143
; %bb.142:
	v_add_u32_e32 v3, -4, v3
	s_waitcnt vmcnt(0)
	ds_read_b32 v4, v3
.LBB157_143:
	s_or_b64 exec, exec, s[4:5]
	v_mov_b32_e32 v3, 0
	v_cmp_gt_u64_e32 vcc, s[8:9], v[2:3]
	s_mov_b64 s[10:11], 0
	s_mov_b64 s[12:13], 0
	s_and_saveexec_b64 s[4:5], vcc
	s_cbranch_execz .LBB157_145
; %bb.144:
	s_waitcnt vmcnt(0) lgkmcnt(0)
	v_cvt_i32_f32_e32 v2, v4
	v_cvt_i32_f32_e32 v3, v24
	s_mov_b32 s12, 0x66666667
	v_mul_hi_i32 v2, v2, s12
	v_lshrrev_b32_e32 v4, 31, v2
	v_ashrrev_i32_e32 v2, 2, v2
	v_mul_hi_i32 v3, v3, s12
	v_add_u32_e32 v2, v2, v4
	v_lshrrev_b32_e32 v4, 31, v3
	v_ashrrev_i32_e32 v3, 2, v3
	v_add_u32_e32 v3, v3, v4
	v_cmp_ne_u32_e32 vcc, v2, v3
	s_and_b64 s[12:13], vcc, exec
.LBB157_145:
	s_or_b64 exec, exec, s[4:5]
	s_mov_b64 s[4:5], -1
	s_and_b64 vcc, exec, s[10:11]
	s_cbranch_vccnz .LBB157_148
.LBB157_146:
                                        ; implicit-def: $sgpr14
	v_mov_b32_e32 v60, s14
	s_and_saveexec_b64 s[6:7], s[4:5]
	s_cbranch_execz .LBB157_77
	s_branch .LBB157_76
.LBB157_147:
                                        ; implicit-def: $sgpr12_sgpr13
                                        ; implicit-def: $vgpr58
                                        ; implicit-def: $vgpr27
                                        ; implicit-def: $vgpr26
                                        ; implicit-def: $vgpr29
                                        ; implicit-def: $vgpr28
                                        ; implicit-def: $vgpr31
                                        ; implicit-def: $vgpr30
                                        ; implicit-def: $vgpr33
                                        ; implicit-def: $vgpr32
                                        ; implicit-def: $vgpr35
                                        ; implicit-def: $vgpr34
                                        ; implicit-def: $vgpr37
                                        ; implicit-def: $vgpr36
                                        ; implicit-def: $vgpr39
	s_cbranch_execz .LBB157_146
.LBB157_148:
	v_mad_u32_u24 v26, v0, 15, 14
	v_mov_b32_e32 v27, 0
	s_waitcnt vmcnt(0) lgkmcnt(0)
	v_lshlrev_b32_e32 v4, 2, v0
	v_mul_u32_u24_e32 v2, 15, v0
	v_cmp_gt_u64_e32 vcc, s[8:9], v[26:27]
	v_mov_b32_e32 v58, 0
	ds_write_b32 v4, v1
	s_and_saveexec_b64 s[10:11], vcc
	s_cbranch_execz .LBB157_150
; %bb.149:
	v_cvt_i32_f32_e32 v3, v13
	v_cvt_i32_f32_e32 v5, v1
	s_mov_b32 s12, 0x66666667
	v_mul_hi_i32 v3, v3, s12
	v_lshrrev_b32_e32 v6, 31, v3
	v_ashrrev_i32_e32 v3, 2, v3
	v_mul_hi_i32 v5, v5, s12
	v_add_u32_e32 v3, v3, v6
	v_lshrrev_b32_e32 v6, 31, v5
	v_ashrrev_i32_e32 v5, 2, v5
	v_add_u32_e32 v5, v5, v6
	v_cmp_ne_u32_e32 vcc, v3, v5
	v_cndmask_b32_e64 v58, 0, 1, vcc
.LBB157_150:
	s_or_b64 exec, exec, s[10:11]
	v_add_u32_e32 v26, 13, v2
	v_cmp_gt_u64_e32 vcc, s[8:9], v[26:27]
	s_and_saveexec_b64 s[10:11], vcc
	s_cbranch_execz .LBB157_152
; %bb.151:
	v_cvt_i32_f32_e32 v3, v12
	v_cvt_i32_f32_e32 v5, v13
	s_mov_b32 s12, 0x66666667
	v_mul_hi_i32 v3, v3, s12
	v_lshrrev_b32_e32 v6, 31, v3
	v_ashrrev_i32_e32 v3, 2, v3
	v_mul_hi_i32 v5, v5, s12
	v_add_u32_e32 v3, v3, v6
	v_lshrrev_b32_e32 v6, 31, v5
	v_ashrrev_i32_e32 v5, 2, v5
	v_add_u32_e32 v5, v5, v6
	v_cmp_ne_u32_e32 vcc, v3, v5
	v_cndmask_b32_e64 v27, 0, 1, vcc
.LBB157_152:
	s_or_b64 exec, exec, s[10:11]
	v_add_u32_e32 v28, 12, v2
	v_mov_b32_e32 v29, 0
	v_cmp_gt_u64_e32 vcc, s[8:9], v[28:29]
	v_mov_b32_e32 v26, 0
	s_and_saveexec_b64 s[10:11], vcc
	s_cbranch_execz .LBB157_154
; %bb.153:
	v_cvt_i32_f32_e32 v3, v15
	v_cvt_i32_f32_e32 v5, v12
	s_mov_b32 s12, 0x66666667
	v_mul_hi_i32 v3, v3, s12
	v_lshrrev_b32_e32 v6, 31, v3
	v_ashrrev_i32_e32 v3, 2, v3
	v_mul_hi_i32 v5, v5, s12
	v_add_u32_e32 v3, v3, v6
	v_lshrrev_b32_e32 v6, 31, v5
	v_ashrrev_i32_e32 v5, 2, v5
	v_add_u32_e32 v5, v5, v6
	v_cmp_ne_u32_e32 vcc, v3, v5
	v_cndmask_b32_e64 v26, 0, 1, vcc
.LBB157_154:
	s_or_b64 exec, exec, s[10:11]
	v_add_u32_e32 v28, 11, v2
	v_cmp_gt_u64_e32 vcc, s[8:9], v[28:29]
	s_and_saveexec_b64 s[10:11], vcc
	s_cbranch_execz .LBB157_156
; %bb.155:
	v_cvt_i32_f32_e32 v3, v14
	v_cvt_i32_f32_e32 v5, v15
	s_mov_b32 s12, 0x66666667
	v_mul_hi_i32 v3, v3, s12
	v_lshrrev_b32_e32 v6, 31, v3
	v_ashrrev_i32_e32 v3, 2, v3
	v_mul_hi_i32 v5, v5, s12
	v_add_u32_e32 v3, v3, v6
	v_lshrrev_b32_e32 v6, 31, v5
	v_ashrrev_i32_e32 v5, 2, v5
	v_add_u32_e32 v5, v5, v6
	v_cmp_ne_u32_e32 vcc, v3, v5
	v_cndmask_b32_e64 v29, 0, 1, vcc
.LBB157_156:
	s_or_b64 exec, exec, s[10:11]
	v_add_u32_e32 v30, 10, v2
	v_mov_b32_e32 v31, 0
	v_cmp_gt_u64_e32 vcc, s[8:9], v[30:31]
	v_mov_b32_e32 v28, 0
	;; [unrolled: 42-line block ×6, first 2 shown]
	s_and_saveexec_b64 s[10:11], vcc
	s_cbranch_execz .LBB157_174
; %bb.173:
	v_cvt_i32_f32_e32 v3, v25
	v_cvt_i32_f32_e32 v5, v22
	s_mov_b32 s12, 0x66666667
	v_mul_hi_i32 v3, v3, s12
	v_lshrrev_b32_e32 v6, 31, v3
	v_ashrrev_i32_e32 v3, 2, v3
	v_mul_hi_i32 v5, v5, s12
	v_add_u32_e32 v3, v3, v6
	v_lshrrev_b32_e32 v6, 31, v5
	v_ashrrev_i32_e32 v5, 2, v5
	v_add_u32_e32 v5, v5, v6
	v_cmp_ne_u32_e32 vcc, v3, v5
	v_cndmask_b32_e64 v36, 0, 1, vcc
.LBB157_174:
	s_or_b64 exec, exec, s[10:11]
	v_add_u32_e32 v38, 1, v2
	v_cmp_gt_u64_e32 vcc, s[8:9], v[38:39]
	s_and_saveexec_b64 s[10:11], vcc
	s_cbranch_execz .LBB157_176
; %bb.175:
	v_cvt_i32_f32_e32 v3, v24
	v_cvt_i32_f32_e32 v5, v25
	s_mov_b32 s12, 0x66666667
	v_mul_hi_i32 v3, v3, s12
	v_lshrrev_b32_e32 v6, 31, v3
	v_ashrrev_i32_e32 v3, 2, v3
	v_mul_hi_i32 v5, v5, s12
	v_add_u32_e32 v3, v3, v6
	v_lshrrev_b32_e32 v6, 31, v5
	v_ashrrev_i32_e32 v5, 2, v5
	v_add_u32_e32 v5, v5, v6
	v_cmp_ne_u32_e32 vcc, v3, v5
	v_cndmask_b32_e64 v39, 0, 1, vcc
.LBB157_176:
	s_or_b64 exec, exec, s[10:11]
	s_waitcnt lgkmcnt(0)
	s_barrier
	s_waitcnt lgkmcnt(0)
                                        ; implicit-def: $sgpr12_sgpr13
	s_and_saveexec_b64 s[10:11], s[6:7]
	s_cbranch_execz .LBB157_180
; %bb.177:
	v_mov_b32_e32 v3, 0
	v_cmp_gt_u64_e32 vcc, s[8:9], v[2:3]
	s_mov_b64 s[8:9], 0
	s_and_saveexec_b64 s[6:7], vcc
	s_cbranch_execz .LBB157_179
; %bb.178:
	v_add_u32_e32 v2, -4, v4
	ds_read_b32 v2, v2
	v_cvt_i32_f32_e32 v3, v24
	s_mov_b32 s8, 0x66666667
	v_mul_hi_i32 v3, v3, s8
	s_waitcnt lgkmcnt(0)
	v_cvt_i32_f32_e32 v2, v2
	v_lshrrev_b32_e32 v4, 31, v3
	v_ashrrev_i32_e32 v3, 2, v3
	v_add_u32_e32 v3, v3, v4
	v_mul_hi_i32 v2, v2, s8
	v_lshrrev_b32_e32 v5, 31, v2
	v_ashrrev_i32_e32 v2, 2, v2
	v_add_u32_e32 v2, v2, v5
	v_cmp_ne_u32_e32 vcc, v2, v3
	s_and_b64 s[8:9], vcc, exec
.LBB157_179:
	s_or_b64 exec, exec, s[6:7]
	s_and_b64 s[12:13], s[8:9], exec
	s_or_b64 s[4:5], s[4:5], exec
.LBB157_180:
	s_or_b64 exec, exec, s[10:11]
	s_mov_b32 s14, 1
	v_mov_b32_e32 v60, s14
	s_and_saveexec_b64 s[6:7], s[4:5]
	s_cbranch_execnz .LBB157_76
	s_branch .LBB157_77
.LBB157_181:
	v_cndmask_b32_e64 v5, 0, 1, vcc
	v_readfirstlane_b32 s4, v5
	s_sub_i32 s61, s61, s4
	v_lshlrev_b32_e32 v5, 16, v57
	s_mov_b32 s4, 0x4020c0c
	v_lshlrev_b32_e32 v8, 8, v38
	v_perm_b32 v5, v56, v5, s4
	v_and_b32_e32 v8, 0xff00, v8
	v_and_b32_e32 v4, 0xff, v4
	v_or3_b32 v38, v5, v8, v4
.LBB157_182:
	v_mov_b32_e32 v4, 2
	v_cmp_eq_u16_sdwa vcc, v6, v4 src0_sel:BYTE_0 src1_sel:DWORD
	s_cbranch_vccz .LBB157_187
; %bb.183:
	s_ff1_i32_b64 s4, vcc
	s_cmp_eq_u32 s4, 0
	s_cbranch_scc1 .LBB157_188
; %bb.184:
	v_cmp_eq_u32_e32 vcc, 0, v38
	v_mov_b32_e32 v9, v7
	v_mov_b32_e32 v8, v38
.LBB157_185:                            ; =>This Inner Loop Header: Depth=1
	s_nop 1
	v_mov_b32_dpp v4, v8 wave_rol:1 row_mask:0xf bank_mask:0xf
	v_mov_b32_dpp v5, v9 wave_rol:1 row_mask:0xf bank_mask:0xf
	v_add_u32_e32 v8, v4, v38
	v_add_f32_e32 v4, v7, v5
	s_add_i32 s4, s4, -1
	s_cmp_lg_u32 s4, 0
	v_cndmask_b32_e32 v9, v7, v4, vcc
	s_cbranch_scc1 .LBB157_185
; %bb.186:
	s_cmp_lt_i32 s61, 1
	s_cbranch_scc0 .LBB157_189
	s_branch .LBB157_194
.LBB157_187:
	s_mov_b64 s[52:53], 0
	s_mov_b64 s[4:5], -1
	s_branch .LBB157_199
.LBB157_188:
	v_mov_b32_e32 v9, v7
	v_mov_b32_e32 v8, v38
	s_cmp_lt_i32 s61, 1
	s_cbranch_scc1 .LBB157_194
.LBB157_189:
	v_mov_b32_e32 v4, 0
.LBB157_190:                            ; =>This Loop Header: Depth=1
                                        ;     Child Loop BB157_191 Depth 2
	s_add_i32 s4, s61, -1
	s_lshl_b32 s5, s4, 3
	v_add_u32_e32 v6, s5, v4
	buffer_load_dword v5, v6, s[0:3], 0 offen
	s_nop 0
	buffer_load_dword v6, v6, s[0:3], 0 offen offset:4
	s_mov_b32 s5, 64
	s_waitcnt vmcnt(1)
	v_cmp_eq_u32_e32 vcc, 0, v5
.LBB157_191:                            ;   Parent Loop BB157_190 Depth=1
                                        ; =>  This Inner Loop Header: Depth=2
	v_mov_b32_dpp v7, v8 wave_rol:1 row_mask:0xf bank_mask:0xf
	v_mov_b32_dpp v8, v9 wave_rol:1 row_mask:0xf bank_mask:0xf
	s_waitcnt vmcnt(0)
	v_add_f32_e32 v8, v6, v8
	v_cndmask_b32_e32 v8, v6, v8, vcc
	v_add_u32_e32 v7, v7, v5
	s_add_i32 s5, s5, -16
	v_mov_b32_dpp v8, v8 wave_rol:1 row_mask:0xf bank_mask:0xf
	v_add_f32_e32 v8, v6, v8
	v_cndmask_b32_e32 v8, v6, v8, vcc
	v_mov_b32_dpp v7, v7 wave_rol:1 row_mask:0xf bank_mask:0xf
	v_add_u32_e32 v7, v7, v5
	v_mov_b32_dpp v8, v8 wave_rol:1 row_mask:0xf bank_mask:0xf
	v_add_f32_e32 v8, v6, v8
	v_cndmask_b32_e32 v8, v6, v8, vcc
	v_mov_b32_dpp v7, v7 wave_rol:1 row_mask:0xf bank_mask:0xf
	v_add_u32_e32 v7, v7, v5
	;; [unrolled: 5-line block ×12, first 2 shown]
	v_mov_b32_dpp v8, v8 wave_rol:1 row_mask:0xf bank_mask:0xf
	v_add_f32_e32 v8, v6, v8
	v_mov_b32_dpp v7, v7 wave_rol:1 row_mask:0xf bank_mask:0xf
	v_cndmask_b32_e32 v8, v6, v8, vcc
	v_add_u32_e32 v7, v7, v5
	s_cmp_lg_u32 s5, 0
	v_mov_b32_dpp v8, v8 wave_rol:1 row_mask:0xf bank_mask:0xf
	v_mov_b32_dpp v7, v7 wave_rol:1 row_mask:0xf bank_mask:0xf
	v_add_f32_e32 v8, v6, v8
	v_add_u32_e32 v7, v7, v5
	v_cndmask_b32_e32 v8, v6, v8, vcc
	s_nop 0
	v_mov_b32_dpp v7, v7 wave_rol:1 row_mask:0xf bank_mask:0xf
	v_mov_b32_dpp v9, v8 wave_rol:1 row_mask:0xf bank_mask:0xf
	v_add_u32_e32 v8, v7, v5
	v_add_f32_e32 v7, v6, v9
	v_cndmask_b32_e32 v9, v6, v7, vcc
	s_cbranch_scc1 .LBB157_191
; %bb.192:                              ;   in Loop: Header=BB157_190 Depth=1
	s_cmp_gt_i32 s61, 1
	s_cbranch_scc0 .LBB157_194
; %bb.193:                              ;   in Loop: Header=BB157_190 Depth=1
	s_mov_b32 s61, s4
	s_branch .LBB157_190
.LBB157_194:
	v_readfirstlane_b32 s52, v8
	v_readfirstlane_b32 s53, v9
	s_and_saveexec_b64 s[4:5], s[34:35]
	s_cbranch_execz .LBB157_196
; %bb.195:
	v_mov_b32_e32 v5, s53
	v_add_f32_e32 v4, s60, v5
	v_mov_b32_e32 v7, s60
	v_cmp_eq_u32_e32 vcc, 0, v2
	s_mov_b32 s55, 0
	v_cndmask_b32_e32 v4, v7, v4, vcc
	s_add_i32 s54, s66, 64
	s_lshl_b64 s[54:55], s[54:55], 4
	v_and_b32_e32 v7, 0xff000000, v4
	v_and_b32_e32 v8, 0xff0000, v4
	s_add_u32 s54, s48, s54
	v_or_b32_e32 v7, v8, v7
	v_and_b32_e32 v8, 0xff00, v4
	s_addc_u32 s55, s49, s55
	v_or_b32_e32 v7, v7, v8
	v_add_u32_e32 v6, s52, v2
	v_mov_b32_e32 v9, 0
	v_or_b32_sdwa v7, v7, v4 dst_sel:DWORD dst_unused:UNUSED_PAD src0_sel:DWORD src1_sel:BYTE_0
	v_mov_b32_e32 v8, 2
	v_pk_mov_b32 v[10:11], s[54:55], s[54:55] op_sel:[0,1]
	;;#ASMSTART
	global_store_dwordx4 v[10:11], v[6:9] off	
s_waitcnt vmcnt(0)
	;;#ASMEND
	v_mov_b32_e32 v4, s52
	ds_write_b128 v9, v[2:5] offset:2048
.LBB157_196:
	s_or_b64 exec, exec, s[4:5]
	s_and_saveexec_b64 s[4:5], s[38:39]
	s_cbranch_execz .LBB157_198
; %bb.197:
	v_mov_b32_e32 v2, s52
	v_mov_b32_e32 v3, s53
	;; [unrolled: 1-line block ×3, first 2 shown]
	ds_write_b64 v4, v[2:3] offset:2088
.LBB157_198:
	s_or_b64 exec, exec, s[4:5]
	s_mov_b64 s[52:53], -1
	s_mov_b64 s[4:5], 0
.LBB157_199:
	s_and_b64 s[4:5], s[4:5], exec
	s_orn2_b64 s[52:53], s[52:53], exec
.LBB157_200:
	s_or_b64 exec, exec, s[50:51]
                                        ; implicit-def: $vgpr2
                                        ; implicit-def: $vgpr38
                                        ; implicit-def: $vgpr6
                                        ; implicit-def: $vgpr62
                                        ; implicit-def: $vgpr56
                                        ; implicit-def: $vgpr57
                                        ; implicit-def: $vgpr61
                                        ; implicit-def: $vgpr63
                                        ; implicit-def: $vgpr64
                                        ; implicit-def: $vgpr65
                                        ; implicit-def: $vgpr66
                                        ; implicit-def: $vgpr67
                                        ; implicit-def: $vgpr68
                                        ; implicit-def: $vgpr69
                                        ; implicit-def: $vgpr70
                                        ; implicit-def: $vgpr71
                                        ; implicit-def: $vgpr72
                                        ; implicit-def: $vgpr73
	s_and_saveexec_b64 s[50:51], s[52:53]
	s_cbranch_execz .LBB157_203
; %bb.201:
	v_mov_b32_e32 v4, 0
	s_waitcnt lgkmcnt(0)
	s_barrier
	ds_read_b64 v[2:3], v4 offset:2088
	v_cndmask_b32_e64 v5, v80, v55, s[34:35]
	v_cndmask_b32_e64 v6, v79, v54, s[34:35]
	v_cmp_eq_u32_e32 vcc, 0, v6
	s_waitcnt lgkmcnt(0)
	v_add_f32_e32 v7, v5, v3
	v_cndmask_b32_e32 v5, v5, v7, vcc
	v_cndmask_b32_e64 v73, v5, v3, s[38:39]
	v_cndmask_b32_e64 v3, v6, 0, s[38:39]
	v_add_u32_e32 v7, v2, v3
	v_add_f32_e32 v2, v50, v73
	v_cmp_eq_u32_e32 vcc, 0, v60
	v_cndmask_b32_e32 v72, v50, v2, vcc
	v_add_f32_e32 v2, v52, v72
	v_cndmask_b32_e64 v71, v52, v2, s[30:31]
	v_add_f32_e32 v2, v51, v71
	v_cndmask_b32_e64 v70, v51, v2, s[28:29]
	;; [unrolled: 2-line block ×11, first 2 shown]
	s_barrier
	ds_read_b128 v[2:5], v4 offset:2048
	v_add_f32_e32 v6, v40, v57
	v_cndmask_b32_e64 v56, v40, v6, s[8:9]
	v_add_f32_e32 v6, v59, v56
	s_mov_b64 s[44:45], exec
	s_waitcnt lgkmcnt(0)
	v_add_f32_e32 v5, v5, v3
	v_cmp_eq_u32_e32 vcc, 0, v2
	v_cndmask_b32_e64 v62, v59, v6, s[6:7]
	v_cndmask_b32_e32 v38, v3, v5, vcc
	v_mov_b32_e32 v6, v4
	v_mov_b32_e32 v5, v7
	s_or_b64 exec, exec, s[50:51]
	s_and_saveexec_b64 s[6:7], s[4:5]
	s_xor_b64 s[4:5], exec, s[6:7]
	s_cbranch_execz .LBB157_204
.LBB157_202:
	s_trap 2
	; divergent unreachable
                                        ; implicit-def: $vgpr62
                                        ; implicit-def: $vgpr56
                                        ; implicit-def: $vgpr57
                                        ; implicit-def: $vgpr61
                                        ; implicit-def: $vgpr63
                                        ; implicit-def: $vgpr64
                                        ; implicit-def: $vgpr65
                                        ; implicit-def: $vgpr66
                                        ; implicit-def: $vgpr67
                                        ; implicit-def: $vgpr68
                                        ; implicit-def: $vgpr69
                                        ; implicit-def: $vgpr70
                                        ; implicit-def: $vgpr71
                                        ; implicit-def: $vgpr72
                                        ; implicit-def: $vgpr73
	s_branch .LBB157_204
.LBB157_203:
	s_or_b64 exec, exec, s[50:51]
	s_and_saveexec_b64 s[6:7], s[4:5]
	s_xor_b64 s[4:5], exec, s[6:7]
	s_cbranch_execnz .LBB157_202
.LBB157_204:
	s_or_b64 exec, exec, s[4:5]
	s_branch .LBB157_107
.LBB157_205:
	s_and_b64 s[4:5], s[36:37], exec
	s_cselect_b32 s5, 0, s65
	s_cselect_b32 s4, 0, s64
	s_cmp_eq_u64 s[4:5], 0
	v_mov_b32_e32 v6, v50
	s_cbranch_scc1 .LBB157_207
; %bb.206:
	v_mov_b32_e32 v2, 0
	global_load_dword v6, v2, s[4:5]
.LBB157_207:
	v_cmp_eq_u32_e64 s[6:7], 0, v39
	v_cndmask_b32_e64 v2, v52, v78, s[6:7]
	v_add_f32_e32 v2, v51, v2
	v_cmp_eq_u32_e64 s[8:9], 0, v36
	v_cndmask_b32_e64 v2, v51, v2, s[8:9]
	v_add_f32_e32 v2, v53, v2
	;; [unrolled: 3-line block ×11, first 2 shown]
	v_cmp_eq_u32_e64 s[28:29], 0, v26
	v_cndmask_b32_e64 v2, v40, v2, s[28:29]
	v_add3_u32 v3, v77, v35, v32
	v_add_f32_e32 v2, v59, v2
	v_cmp_eq_u32_e32 vcc, 0, v27
	v_add3_u32 v3, v3, v33, v30
	v_cndmask_b32_e32 v2, v59, v2, vcc
	v_add3_u32 v3, v3, v31, v28
	v_add_f32_e32 v2, v41, v2
	v_cmp_eq_u32_e64 s[4:5], 0, v58
	v_add3_u32 v3, v3, v29, v26
	v_cndmask_b32_e64 v2, v41, v2, s[4:5]
	v_add3_u32 v3, v3, v27, v58
	v_mbcnt_hi_u32_b32 v7, -1, v76
	v_mov_b32_dpp v8, v2 row_shr:1 row_mask:0xf bank_mask:0xf
	s_waitcnt vmcnt(0) lgkmcnt(0)
	v_and_b32_e32 v4, 15, v7
	v_add_f32_e32 v8, v2, v8
	v_cmp_eq_u32_e64 s[4:5], 0, v3
	v_mov_b32_dpp v5, v3 row_shr:1 row_mask:0xf bank_mask:0xf
	v_cndmask_b32_e64 v8, v2, v8, s[4:5]
	v_cmp_eq_u32_e64 s[4:5], 0, v4
	v_cndmask_b32_e64 v5, v5, 0, s[4:5]
	v_cndmask_b32_e64 v2, v8, v2, s[4:5]
	v_add_u32_e32 v3, v5, v3
	v_cmp_eq_u32_e64 s[4:5], 0, v3
	v_mov_b32_dpp v8, v2 row_shr:2 row_mask:0xf bank_mask:0xf
	v_add_f32_e32 v8, v2, v8
	v_mov_b32_dpp v5, v3 row_shr:2 row_mask:0xf bank_mask:0xf
	v_cndmask_b32_e64 v8, v2, v8, s[4:5]
	v_cmp_lt_u32_e64 s[4:5], 1, v4
	v_cndmask_b32_e64 v2, v2, v8, s[4:5]
	v_cndmask_b32_e64 v5, 0, v5, s[4:5]
	v_add_u32_e32 v3, v3, v5
	v_mov_b32_dpp v8, v2 row_shr:4 row_mask:0xf bank_mask:0xf
	v_add_f32_e32 v8, v2, v8
	v_cmp_eq_u32_e64 s[4:5], 0, v3
	v_mov_b32_dpp v5, v3 row_shr:4 row_mask:0xf bank_mask:0xf
	v_cndmask_b32_e64 v8, v2, v8, s[4:5]
	v_cmp_lt_u32_e64 s[4:5], 3, v4
	v_cndmask_b32_e64 v2, v2, v8, s[4:5]
	v_cndmask_b32_e64 v5, 0, v5, s[4:5]
	v_add_u32_e32 v3, v5, v3
	v_mov_b32_dpp v8, v2 row_shr:8 row_mask:0xf bank_mask:0xf
	v_add_f32_e32 v8, v2, v8
	v_cmp_eq_u32_e64 s[4:5], 0, v3
	v_mov_b32_dpp v5, v3 row_shr:8 row_mask:0xf bank_mask:0xf
	v_cndmask_b32_e64 v8, v2, v8, s[4:5]
	v_cmp_lt_u32_e64 s[4:5], 7, v4
	v_cndmask_b32_e64 v2, v2, v8, s[4:5]
	v_cndmask_b32_e64 v4, 0, v5, s[4:5]
	v_add_u32_e32 v3, v4, v3
	v_mov_b32_dpp v5, v2 row_bcast:15 row_mask:0xf bank_mask:0xf
	v_bfe_i32 v8, v7, 4, 1
	v_mov_b32_dpp v4, v3 row_bcast:15 row_mask:0xf bank_mask:0xf
	v_and_b32_e32 v9, 16, v7
	v_add_f32_e32 v5, v2, v5
	v_cmp_eq_u32_e64 s[4:5], 0, v3
	v_cndmask_b32_e64 v5, v2, v5, s[4:5]
	v_and_b32_e32 v4, v8, v4
	v_cmp_eq_u32_e64 s[4:5], 0, v9
	v_add_u32_e32 v3, v4, v3
	v_cndmask_b32_e64 v4, v5, v2, s[4:5]
	v_cmp_eq_u32_e64 s[4:5], 0, v3
	v_mov_b32_dpp v2, v3 row_bcast:31 row_mask:0xf bank_mask:0xf
	v_mov_b32_dpp v5, v4 row_bcast:31 row_mask:0xf bank_mask:0xf
	v_add_f32_e32 v5, v4, v5
	v_cndmask_b32_e64 v5, v4, v5, s[4:5]
	v_cmp_lt_u32_e64 s[4:5], 31, v7
	v_cndmask_b32_e64 v2, 0, v2, s[4:5]
	v_add_u32_e32 v2, v2, v3
	v_cmp_eq_u32_e64 s[30:31], v75, v0
	v_cndmask_b32_e64 v3, v4, v5, s[4:5]
	s_and_saveexec_b64 s[4:5], s[30:31]
	s_cbranch_execz .LBB157_209
; %bb.208:
	v_lshlrev_b32_e32 v4, 3, v74
	ds_write_b64 v4, v[2:3] offset:2064
.LBB157_209:
	s_or_b64 exec, exec, s[4:5]
	v_cmp_gt_u32_e64 s[4:5], 4, v0
	s_waitcnt lgkmcnt(0)
	s_barrier
	s_and_saveexec_b64 s[34:35], s[4:5]
	s_cbranch_execz .LBB157_211
; %bb.210:
	v_lshlrev_b32_e32 v8, 3, v0
	ds_read_b64 v[4:5], v8 offset:2064
	v_and_b32_e32 v9, 3, v7
	v_cmp_lt_u32_e64 s[30:31], 1, v9
	s_waitcnt lgkmcnt(0)
	v_mov_b32_dpp v11, v5 row_shr:1 row_mask:0xf bank_mask:0xf
	v_add_f32_e32 v11, v5, v11
	v_cmp_eq_u32_e64 s[4:5], 0, v4
	v_mov_b32_dpp v10, v4 row_shr:1 row_mask:0xf bank_mask:0xf
	v_cndmask_b32_e64 v11, v5, v11, s[4:5]
	v_cmp_eq_u32_e64 s[4:5], 0, v9
	v_cndmask_b32_e64 v10, v10, 0, s[4:5]
	v_add_u32_e32 v4, v10, v4
	v_cndmask_b32_e64 v5, v11, v5, s[4:5]
	v_cmp_eq_u32_e64 s[4:5], 0, v4
	v_mov_b32_dpp v10, v4 row_shr:2 row_mask:0xf bank_mask:0xf
	v_mov_b32_dpp v11, v5 row_shr:2 row_mask:0xf bank_mask:0xf
	v_add_f32_e32 v11, v5, v11
	v_cndmask_b32_e64 v9, 0, v10, s[30:31]
	s_and_b64 s[4:5], s[30:31], s[4:5]
	v_add_u32_e32 v4, v9, v4
	v_cndmask_b32_e64 v5, v5, v11, s[4:5]
	ds_write_b64 v8, v[4:5] offset:2064
.LBB157_211:
	s_or_b64 exec, exec, s[34:35]
	v_cmp_lt_u32_e64 s[4:5], 63, v0
	v_mov_b32_e32 v8, 0
	v_mov_b32_e32 v4, 0
	;; [unrolled: 1-line block ×3, first 2 shown]
	s_waitcnt lgkmcnt(0)
	s_barrier
	s_and_saveexec_b64 s[30:31], s[4:5]
	s_cbranch_execz .LBB157_213
; %bb.212:
	v_lshlrev_b32_e32 v4, 3, v74
	ds_read_b64 v[4:5], v4 offset:2056
	s_waitcnt lgkmcnt(0)
	v_add_f32_e32 v9, v6, v5
	v_cmp_eq_u32_e64 s[4:5], 0, v4
	v_cndmask_b32_e64 v9, v5, v9, s[4:5]
.LBB157_213:
	s_or_b64 exec, exec, s[30:31]
	v_add_f32_e32 v10, v3, v9
	v_cmp_eq_u32_e64 s[4:5], 0, v2
	v_add_u32_e32 v5, v4, v2
	v_cndmask_b32_e64 v2, v3, v10, s[4:5]
	v_add_u32_e32 v3, -1, v7
	v_and_b32_e32 v10, 64, v7
	v_cmp_lt_i32_e64 s[4:5], v3, v10
	v_cndmask_b32_e64 v3, v3, v7, s[4:5]
	v_lshlrev_b32_e32 v3, 2, v3
	ds_bpermute_b32 v2, v3, v2
	ds_bpermute_b32 v5, v3, v5
	v_cmp_eq_u32_e64 s[4:5], 0, v7
	s_waitcnt lgkmcnt(1)
	v_cndmask_b32_e64 v73, v2, v9, s[4:5]
	v_cndmask_b32_e64 v2, v73, v6, s[38:39]
	s_waitcnt lgkmcnt(0)
	v_cndmask_b32_e64 v5, v5, v4, s[4:5]
	v_add_f32_e32 v2, v50, v2
	v_cmp_eq_u32_e64 s[4:5], 0, v60
	v_cndmask_b32_e64 v72, v50, v2, s[4:5]
	v_add_f32_e32 v2, v52, v72
	v_cndmask_b32_e64 v71, v52, v2, s[6:7]
	v_add_f32_e32 v2, v51, v71
	;; [unrolled: 2-line block ×10, first 2 shown]
	v_cndmask_b32_e64 v61, v45, v2, s[26:27]
	ds_read_b64 v[2:3], v8 offset:2088
	v_add_f32_e32 v4, v43, v61
	v_cndmask_b32_e64 v57, v43, v4, s[24:25]
	v_add_f32_e32 v4, v40, v57
	v_cndmask_b32_e64 v56, v40, v4, s[28:29]
	s_waitcnt lgkmcnt(0)
	v_add_f32_e32 v4, v6, v3
	v_cmp_eq_u32_e64 s[4:5], 0, v2
	v_add_f32_e32 v7, v59, v56
	v_cndmask_b32_e64 v38, v3, v4, s[4:5]
	s_and_saveexec_b64 s[4:5], s[38:39]
	s_cbranch_execz .LBB157_215
; %bb.214:
	s_add_u32 s6, s48, 0x400
	v_and_b32_e32 v3, 0xff000000, v38
	v_and_b32_e32 v4, 0xff0000, v38
	s_addc_u32 s7, s49, 0
	v_or_b32_e32 v3, v4, v3
	v_and_b32_e32 v4, 0xff00, v38
	v_and_b32_e32 v8, 0xff, v38
	v_mov_b32_e32 v5, 0
	v_or3_b32 v3, v3, v4, v8
	v_mov_b32_e32 v4, 2
	v_pk_mov_b32 v[8:9], s[6:7], s[6:7] op_sel:[0,1]
	;;#ASMSTART
	global_store_dwordx4 v[8:9], v[2:5] off	
s_waitcnt vmcnt(0)
	;;#ASMEND
	v_mov_b32_e32 v73, v6
.LBB157_215:
	s_or_b64 exec, exec, s[4:5]
	v_cndmask_b32_e32 v62, v59, v7, vcc
	s_mov_b64 s[44:45], -1
	v_mov_b32_e32 v6, 0
	s_and_saveexec_b64 s[4:5], s[44:45]
	s_cbranch_execz .LBB157_399
.LBB157_216:
	s_and_b64 s[4:5], s[36:37], exec
	s_cselect_b32 s5, 0, s63
	s_cselect_b32 s4, 0, s62
	s_cmp_eq_u64 s[4:5], 0
	v_pk_mov_b32 v[8:9], 0, 0
	s_waitcnt lgkmcnt(0)
	s_barrier
	s_cbranch_scc1 .LBB157_218
; %bb.217:
	v_mov_b32_e32 v3, 0
	global_load_dwordx2 v[8:9], v3, s[4:5]
.LBB157_218:
	s_waitcnt vmcnt(0)
	v_lshlrev_b64 v[10:11], 2, v[8:9]
	v_mov_b32_e32 v7, s47
	v_add_co_u32_e32 v54, vcc, s46, v10
	v_addc_co_u32_e32 v55, vcc, v7, v11, vcc
	v_mov_b32_e32 v7, 0
	v_lshlrev_b64 v[40:41], 2, v[6:7]
	v_add_co_u32_e32 v7, vcc, v54, v40
	v_addc_co_u32_e32 v54, vcc, v55, v41, vcc
	v_cmp_eq_u32_e32 vcc, 0, v60
	v_cndmask_b32_e64 v55, 1, 2, vcc
	v_cmp_eq_u32_e32 vcc, 0, v39
	v_cndmask_b32_e64 v59, 1, 2, vcc
	v_cmp_eq_u32_e32 vcc, 0, v36
	v_add_u32_e32 v53, v5, v60
	v_and_b32_e32 v55, v59, v55
	v_cndmask_b32_e64 v59, 1, 2, vcc
	v_cmp_eq_u32_e32 vcc, 0, v37
	v_add_u32_e32 v52, v53, v39
	v_and_b32_e32 v55, v55, v59
	;; [unrolled: 4-line block ×12, first 2 shown]
	v_cndmask_b32_e64 v59, 1, 2, vcc
	v_cmp_eq_u32_e32 vcc, 0, v58
	s_movk_i32 s4, 0x100
	v_add_u32_e32 v4, v42, v26
	v_and_b32_e32 v55, v55, v59
	v_cndmask_b32_e64 v59, 1, 2, vcc
	v_cmp_gt_u32_e32 vcc, s4, v2
	v_add_u32_e32 v3, v4, v27
	v_cmp_ne_u32_e64 s[36:37], 0, v60
	v_cmp_ne_u32_e64 s[34:35], 0, v39
	;; [unrolled: 1-line block ×15, first 2 shown]
	v_and_b32_e32 v55, v55, v59
	s_mov_b64 s[4:5], -1
	s_cbranch_vccz .LBB157_255
; %bb.219:
	v_cmp_gt_i16_e32 vcc, 2, v55
	s_and_saveexec_b64 s[4:5], vcc
	s_cbranch_execz .LBB157_254
; %bb.220:
	v_cmp_ne_u16_e32 vcc, 1, v55
	s_mov_b64 s[46:47], 0
	s_and_saveexec_b64 s[44:45], vcc
	s_xor_b64 s[44:45], exec, s[44:45]
	s_cbranch_execz .LBB157_235
; %bb.221:
	s_and_saveexec_b64 s[46:47], s[36:37]
	s_cbranch_execz .LBB157_237
; %bb.222:
	v_sub_u32_e32 v74, v5, v6
	v_mov_b32_e32 v75, 0
	v_lshlrev_b64 v[74:75], 2, v[74:75]
	v_add_co_u32_e32 v74, vcc, v7, v74
	v_addc_co_u32_e32 v75, vcc, v54, v75, vcc
	global_store_dword v[74:75], v24, off
	s_or_b64 exec, exec, s[46:47]
	s_and_saveexec_b64 s[46:47], s[34:35]
	s_cbranch_execnz .LBB157_238
.LBB157_223:
	s_or_b64 exec, exec, s[46:47]
	s_and_saveexec_b64 s[46:47], s[30:31]
	s_cbranch_execz .LBB157_239
.LBB157_224:
	v_sub_u32_e32 v74, v52, v6
	v_mov_b32_e32 v75, 0
	v_lshlrev_b64 v[74:75], 2, v[74:75]
	v_add_co_u32_e32 v74, vcc, v7, v74
	v_addc_co_u32_e32 v75, vcc, v54, v75, vcc
	global_store_dword v[74:75], v22, off
	s_or_b64 exec, exec, s[46:47]
	s_and_saveexec_b64 s[46:47], s[28:29]
	s_cbranch_execnz .LBB157_240
.LBB157_225:
	s_or_b64 exec, exec, s[46:47]
	s_and_saveexec_b64 s[46:47], s[26:27]
	s_cbranch_execz .LBB157_241
.LBB157_226:
	v_sub_u32_e32 v74, v50, v6
	v_mov_b32_e32 v75, 0
	v_lshlrev_b64 v[74:75], 2, v[74:75]
	v_add_co_u32_e32 v74, vcc, v7, v74
	v_addc_co_u32_e32 v75, vcc, v54, v75, vcc
	global_store_dword v[74:75], v20, off
	s_or_b64 exec, exec, s[46:47]
	s_and_saveexec_b64 s[46:47], s[24:25]
	s_cbranch_execnz .LBB157_242
.LBB157_227:
	s_or_b64 exec, exec, s[46:47]
	s_and_saveexec_b64 s[46:47], s[22:23]
	s_cbranch_execz .LBB157_243
.LBB157_228:
	v_sub_u32_e32 v74, v48, v6
	v_mov_b32_e32 v75, 0
	v_lshlrev_b64 v[74:75], 2, v[74:75]
	v_add_co_u32_e32 v74, vcc, v7, v74
	v_addc_co_u32_e32 v75, vcc, v54, v75, vcc
	global_store_dword v[74:75], v18, off
	s_or_b64 exec, exec, s[46:47]
	s_and_saveexec_b64 s[46:47], s[20:21]
	s_cbranch_execnz .LBB157_244
.LBB157_229:
	s_or_b64 exec, exec, s[46:47]
	s_and_saveexec_b64 s[46:47], s[18:19]
	s_cbranch_execz .LBB157_245
.LBB157_230:
	v_sub_u32_e32 v74, v46, v6
	v_mov_b32_e32 v75, 0
	v_lshlrev_b64 v[74:75], 2, v[74:75]
	v_add_co_u32_e32 v74, vcc, v7, v74
	v_addc_co_u32_e32 v75, vcc, v54, v75, vcc
	global_store_dword v[74:75], v16, off
	s_or_b64 exec, exec, s[46:47]
	s_and_saveexec_b64 s[46:47], s[16:17]
	s_cbranch_execnz .LBB157_246
.LBB157_231:
	s_or_b64 exec, exec, s[46:47]
	s_and_saveexec_b64 s[46:47], s[14:15]
	s_cbranch_execz .LBB157_247
.LBB157_232:
	v_sub_u32_e32 v74, v44, v6
	v_mov_b32_e32 v75, 0
	v_lshlrev_b64 v[74:75], 2, v[74:75]
	v_add_co_u32_e32 v74, vcc, v7, v74
	v_addc_co_u32_e32 v75, vcc, v54, v75, vcc
	global_store_dword v[74:75], v14, off
	s_or_b64 exec, exec, s[46:47]
	s_and_saveexec_b64 s[46:47], s[12:13]
	s_cbranch_execnz .LBB157_248
.LBB157_233:
	s_or_b64 exec, exec, s[46:47]
	s_and_saveexec_b64 s[46:47], s[10:11]
	s_cbranch_execz .LBB157_249
.LBB157_234:
	v_sub_u32_e32 v74, v42, v6
	v_mov_b32_e32 v75, 0
	v_lshlrev_b64 v[74:75], 2, v[74:75]
	v_add_co_u32_e32 v74, vcc, v7, v74
	v_addc_co_u32_e32 v75, vcc, v54, v75, vcc
	global_store_dword v[74:75], v12, off
	s_or_b64 exec, exec, s[46:47]
	s_and_saveexec_b64 s[46:47], s[8:9]
	s_cbranch_execnz .LBB157_250
	s_branch .LBB157_251
.LBB157_235:
	s_andn2_saveexec_b64 s[44:45], s[44:45]
	s_cbranch_execz .LBB157_252
.LBB157_236:
	v_sub_u32_e32 v74, v5, v6
	v_mov_b32_e32 v75, 0
	v_lshlrev_b64 v[76:77], 2, v[74:75]
	v_add_co_u32_e32 v76, vcc, v7, v76
	v_addc_co_u32_e32 v77, vcc, v54, v77, vcc
	v_sub_u32_e32 v74, v53, v6
	global_store_dword v[76:77], v24, off
	v_lshlrev_b64 v[76:77], 2, v[74:75]
	v_add_co_u32_e32 v76, vcc, v7, v76
	v_addc_co_u32_e32 v77, vcc, v54, v77, vcc
	v_sub_u32_e32 v74, v52, v6
	global_store_dword v[76:77], v25, off
	v_lshlrev_b64 v[76:77], 2, v[74:75]
	v_add_co_u32_e32 v76, vcc, v7, v76
	v_addc_co_u32_e32 v77, vcc, v54, v77, vcc
	v_sub_u32_e32 v74, v51, v6
	global_store_dword v[76:77], v22, off
	v_lshlrev_b64 v[76:77], 2, v[74:75]
	v_add_co_u32_e32 v76, vcc, v7, v76
	v_addc_co_u32_e32 v77, vcc, v54, v77, vcc
	v_sub_u32_e32 v74, v50, v6
	global_store_dword v[76:77], v23, off
	v_lshlrev_b64 v[76:77], 2, v[74:75]
	v_add_co_u32_e32 v76, vcc, v7, v76
	v_addc_co_u32_e32 v77, vcc, v54, v77, vcc
	v_sub_u32_e32 v74, v49, v6
	global_store_dword v[76:77], v20, off
	v_lshlrev_b64 v[76:77], 2, v[74:75]
	v_add_co_u32_e32 v76, vcc, v7, v76
	v_addc_co_u32_e32 v77, vcc, v54, v77, vcc
	v_sub_u32_e32 v74, v48, v6
	global_store_dword v[76:77], v21, off
	v_lshlrev_b64 v[76:77], 2, v[74:75]
	v_add_co_u32_e32 v76, vcc, v7, v76
	v_addc_co_u32_e32 v77, vcc, v54, v77, vcc
	v_sub_u32_e32 v74, v47, v6
	global_store_dword v[76:77], v18, off
	v_lshlrev_b64 v[76:77], 2, v[74:75]
	v_add_co_u32_e32 v76, vcc, v7, v76
	v_addc_co_u32_e32 v77, vcc, v54, v77, vcc
	v_sub_u32_e32 v74, v46, v6
	global_store_dword v[76:77], v19, off
	v_lshlrev_b64 v[76:77], 2, v[74:75]
	v_add_co_u32_e32 v76, vcc, v7, v76
	v_addc_co_u32_e32 v77, vcc, v54, v77, vcc
	v_sub_u32_e32 v74, v45, v6
	global_store_dword v[76:77], v16, off
	v_lshlrev_b64 v[76:77], 2, v[74:75]
	v_add_co_u32_e32 v76, vcc, v7, v76
	v_addc_co_u32_e32 v77, vcc, v54, v77, vcc
	v_sub_u32_e32 v74, v44, v6
	global_store_dword v[76:77], v17, off
	v_lshlrev_b64 v[76:77], 2, v[74:75]
	v_add_co_u32_e32 v76, vcc, v7, v76
	v_addc_co_u32_e32 v77, vcc, v54, v77, vcc
	v_sub_u32_e32 v74, v43, v6
	global_store_dword v[76:77], v14, off
	v_lshlrev_b64 v[76:77], 2, v[74:75]
	v_add_co_u32_e32 v76, vcc, v7, v76
	v_addc_co_u32_e32 v77, vcc, v54, v77, vcc
	v_sub_u32_e32 v74, v42, v6
	global_store_dword v[76:77], v15, off
	v_lshlrev_b64 v[76:77], 2, v[74:75]
	v_add_co_u32_e32 v76, vcc, v7, v76
	v_sub_u32_e32 v74, v4, v6
	v_addc_co_u32_e32 v77, vcc, v54, v77, vcc
	v_lshlrev_b64 v[74:75], 2, v[74:75]
	v_add_co_u32_e32 v74, vcc, v7, v74
	v_addc_co_u32_e32 v75, vcc, v54, v75, vcc
	s_or_b64 s[46:47], s[46:47], exec
	global_store_dword v[76:77], v12, off
	global_store_dword v[74:75], v13, off
	s_or_b64 exec, exec, s[44:45]
	s_and_b64 exec, exec, s[46:47]
	s_cbranch_execnz .LBB157_253
	s_branch .LBB157_254
.LBB157_237:
	s_or_b64 exec, exec, s[46:47]
	s_and_saveexec_b64 s[46:47], s[34:35]
	s_cbranch_execz .LBB157_223
.LBB157_238:
	v_sub_u32_e32 v74, v53, v6
	v_mov_b32_e32 v75, 0
	v_lshlrev_b64 v[74:75], 2, v[74:75]
	v_add_co_u32_e32 v74, vcc, v7, v74
	v_addc_co_u32_e32 v75, vcc, v54, v75, vcc
	global_store_dword v[74:75], v25, off
	s_or_b64 exec, exec, s[46:47]
	s_and_saveexec_b64 s[46:47], s[30:31]
	s_cbranch_execnz .LBB157_224
.LBB157_239:
	s_or_b64 exec, exec, s[46:47]
	s_and_saveexec_b64 s[46:47], s[28:29]
	s_cbranch_execz .LBB157_225
.LBB157_240:
	v_sub_u32_e32 v74, v51, v6
	v_mov_b32_e32 v75, 0
	v_lshlrev_b64 v[74:75], 2, v[74:75]
	v_add_co_u32_e32 v74, vcc, v7, v74
	v_addc_co_u32_e32 v75, vcc, v54, v75, vcc
	global_store_dword v[74:75], v23, off
	s_or_b64 exec, exec, s[46:47]
	s_and_saveexec_b64 s[46:47], s[26:27]
	s_cbranch_execnz .LBB157_226
.LBB157_241:
	s_or_b64 exec, exec, s[46:47]
	s_and_saveexec_b64 s[46:47], s[24:25]
	s_cbranch_execz .LBB157_227
.LBB157_242:
	v_sub_u32_e32 v74, v49, v6
	v_mov_b32_e32 v75, 0
	v_lshlrev_b64 v[74:75], 2, v[74:75]
	v_add_co_u32_e32 v74, vcc, v7, v74
	v_addc_co_u32_e32 v75, vcc, v54, v75, vcc
	global_store_dword v[74:75], v21, off
	s_or_b64 exec, exec, s[46:47]
	s_and_saveexec_b64 s[46:47], s[22:23]
	s_cbranch_execnz .LBB157_228
.LBB157_243:
	s_or_b64 exec, exec, s[46:47]
	s_and_saveexec_b64 s[46:47], s[20:21]
	s_cbranch_execz .LBB157_229
.LBB157_244:
	v_sub_u32_e32 v74, v47, v6
	v_mov_b32_e32 v75, 0
	v_lshlrev_b64 v[74:75], 2, v[74:75]
	v_add_co_u32_e32 v74, vcc, v7, v74
	v_addc_co_u32_e32 v75, vcc, v54, v75, vcc
	global_store_dword v[74:75], v19, off
	s_or_b64 exec, exec, s[46:47]
	s_and_saveexec_b64 s[46:47], s[18:19]
	s_cbranch_execnz .LBB157_230
.LBB157_245:
	s_or_b64 exec, exec, s[46:47]
	s_and_saveexec_b64 s[46:47], s[16:17]
	s_cbranch_execz .LBB157_231
.LBB157_246:
	v_sub_u32_e32 v74, v45, v6
	v_mov_b32_e32 v75, 0
	v_lshlrev_b64 v[74:75], 2, v[74:75]
	v_add_co_u32_e32 v74, vcc, v7, v74
	v_addc_co_u32_e32 v75, vcc, v54, v75, vcc
	global_store_dword v[74:75], v17, off
	s_or_b64 exec, exec, s[46:47]
	s_and_saveexec_b64 s[46:47], s[14:15]
	s_cbranch_execnz .LBB157_232
.LBB157_247:
	s_or_b64 exec, exec, s[46:47]
	s_and_saveexec_b64 s[46:47], s[12:13]
	s_cbranch_execz .LBB157_233
.LBB157_248:
	v_sub_u32_e32 v74, v43, v6
	v_mov_b32_e32 v75, 0
	v_lshlrev_b64 v[74:75], 2, v[74:75]
	v_add_co_u32_e32 v74, vcc, v7, v74
	v_addc_co_u32_e32 v75, vcc, v54, v75, vcc
	global_store_dword v[74:75], v15, off
	s_or_b64 exec, exec, s[46:47]
	s_and_saveexec_b64 s[46:47], s[10:11]
	s_cbranch_execnz .LBB157_234
.LBB157_249:
	s_or_b64 exec, exec, s[46:47]
	s_and_saveexec_b64 s[46:47], s[8:9]
	s_cbranch_execz .LBB157_251
.LBB157_250:
	v_sub_u32_e32 v74, v4, v6
	v_mov_b32_e32 v75, 0
	v_lshlrev_b64 v[74:75], 2, v[74:75]
	v_add_co_u32_e32 v74, vcc, v7, v74
	v_addc_co_u32_e32 v75, vcc, v54, v75, vcc
	global_store_dword v[74:75], v13, off
.LBB157_251:
	s_or_b64 exec, exec, s[46:47]
	s_and_b64 s[46:47], s[6:7], exec
	s_andn2_saveexec_b64 s[44:45], s[44:45]
	s_cbranch_execnz .LBB157_236
.LBB157_252:
	s_or_b64 exec, exec, s[44:45]
	s_and_b64 exec, exec, s[46:47]
	s_cbranch_execz .LBB157_254
.LBB157_253:
	v_sub_u32_e32 v74, v3, v6
	v_mov_b32_e32 v75, 0
	v_lshlrev_b64 v[74:75], 2, v[74:75]
	v_add_co_u32_e32 v74, vcc, v7, v74
	v_addc_co_u32_e32 v75, vcc, v54, v75, vcc
	global_store_dword v[74:75], v1, off
.LBB157_254:
	s_or_b64 exec, exec, s[4:5]
	s_mov_b64 s[4:5], 0
.LBB157_255:
	s_and_b64 vcc, exec, s[4:5]
	s_cbranch_vccz .LBB157_307
; %bb.256:
	v_cmp_gt_i16_e32 vcc, 2, v55
	s_and_saveexec_b64 s[4:5], vcc
	s_cbranch_execz .LBB157_291
; %bb.257:
	v_cmp_ne_u16_e32 vcc, 1, v55
	s_mov_b64 s[46:47], 0
	s_and_saveexec_b64 s[44:45], vcc
	s_xor_b64 s[44:45], exec, s[44:45]
	s_cbranch_execz .LBB157_272
; %bb.258:
	s_and_saveexec_b64 s[46:47], s[36:37]
	s_cbranch_execz .LBB157_274
; %bb.259:
	v_sub_u32_e32 v55, v5, v6
	v_lshlrev_b32_e32 v55, 2, v55
	ds_write_b32 v55, v24
	s_or_b64 exec, exec, s[46:47]
	s_and_saveexec_b64 s[36:37], s[34:35]
	s_cbranch_execnz .LBB157_275
.LBB157_260:
	s_or_b64 exec, exec, s[36:37]
	s_and_saveexec_b64 s[34:35], s[30:31]
	s_cbranch_execz .LBB157_276
.LBB157_261:
	v_sub_u32_e32 v24, v52, v6
	v_lshlrev_b32_e32 v24, 2, v24
	ds_write_b32 v24, v22
	s_or_b64 exec, exec, s[34:35]
	s_and_saveexec_b64 s[30:31], s[28:29]
	s_cbranch_execnz .LBB157_277
.LBB157_262:
	s_or_b64 exec, exec, s[30:31]
	s_and_saveexec_b64 s[28:29], s[26:27]
	s_cbranch_execz .LBB157_278
.LBB157_263:
	v_sub_u32_e32 v22, v50, v6
	v_lshlrev_b32_e32 v22, 2, v22
	ds_write_b32 v22, v20
	s_or_b64 exec, exec, s[28:29]
	s_and_saveexec_b64 s[26:27], s[24:25]
	s_cbranch_execnz .LBB157_279
.LBB157_264:
	s_or_b64 exec, exec, s[26:27]
	s_and_saveexec_b64 s[24:25], s[22:23]
	s_cbranch_execz .LBB157_280
.LBB157_265:
	v_sub_u32_e32 v20, v48, v6
	v_lshlrev_b32_e32 v20, 2, v20
	ds_write_b32 v20, v18
	s_or_b64 exec, exec, s[24:25]
	s_and_saveexec_b64 s[22:23], s[20:21]
	s_cbranch_execnz .LBB157_281
.LBB157_266:
	s_or_b64 exec, exec, s[22:23]
	s_and_saveexec_b64 s[20:21], s[18:19]
	s_cbranch_execz .LBB157_282
.LBB157_267:
	v_sub_u32_e32 v18, v46, v6
	v_lshlrev_b32_e32 v18, 2, v18
	ds_write_b32 v18, v16
	s_or_b64 exec, exec, s[20:21]
	s_and_saveexec_b64 s[18:19], s[16:17]
	s_cbranch_execnz .LBB157_283
.LBB157_268:
	s_or_b64 exec, exec, s[18:19]
	s_and_saveexec_b64 s[16:17], s[14:15]
	s_cbranch_execz .LBB157_284
.LBB157_269:
	v_sub_u32_e32 v16, v44, v6
	v_lshlrev_b32_e32 v16, 2, v16
	ds_write_b32 v16, v14
	s_or_b64 exec, exec, s[16:17]
	s_and_saveexec_b64 s[14:15], s[12:13]
	s_cbranch_execnz .LBB157_285
.LBB157_270:
	s_or_b64 exec, exec, s[14:15]
	s_and_saveexec_b64 s[12:13], s[10:11]
	s_cbranch_execz .LBB157_286
.LBB157_271:
	v_sub_u32_e32 v14, v42, v6
	v_lshlrev_b32_e32 v14, 2, v14
	ds_write_b32 v14, v12
	s_or_b64 exec, exec, s[12:13]
	s_and_saveexec_b64 s[10:11], s[8:9]
	s_cbranch_execnz .LBB157_287
	s_branch .LBB157_288
.LBB157_272:
	s_andn2_saveexec_b64 s[6:7], s[44:45]
	s_cbranch_execz .LBB157_289
.LBB157_273:
	v_sub_u32_e32 v55, v5, v6
	v_lshlrev_b32_e32 v55, 2, v55
	ds_write_b32 v55, v24
	v_sub_u32_e32 v24, v53, v6
	v_lshlrev_b32_e32 v24, 2, v24
	ds_write_b32 v24, v25
	;; [unrolled: 3-line block ×13, first 2 shown]
	v_sub_u32_e32 v12, v4, v6
	v_lshlrev_b32_e32 v12, 2, v12
	s_or_b64 s[46:47], s[46:47], exec
	ds_write_b32 v12, v13
	s_or_b64 exec, exec, s[6:7]
	s_and_b64 exec, exec, s[46:47]
	s_cbranch_execnz .LBB157_290
	s_branch .LBB157_291
.LBB157_274:
	s_or_b64 exec, exec, s[46:47]
	s_and_saveexec_b64 s[36:37], s[34:35]
	s_cbranch_execz .LBB157_260
.LBB157_275:
	v_sub_u32_e32 v24, v53, v6
	v_lshlrev_b32_e32 v24, 2, v24
	ds_write_b32 v24, v25
	s_or_b64 exec, exec, s[36:37]
	s_and_saveexec_b64 s[34:35], s[30:31]
	s_cbranch_execnz .LBB157_261
.LBB157_276:
	s_or_b64 exec, exec, s[34:35]
	s_and_saveexec_b64 s[30:31], s[28:29]
	s_cbranch_execz .LBB157_262
.LBB157_277:
	v_sub_u32_e32 v22, v51, v6
	v_lshlrev_b32_e32 v22, 2, v22
	ds_write_b32 v22, v23
	s_or_b64 exec, exec, s[30:31]
	s_and_saveexec_b64 s[28:29], s[26:27]
	s_cbranch_execnz .LBB157_263
.LBB157_278:
	s_or_b64 exec, exec, s[28:29]
	s_and_saveexec_b64 s[26:27], s[24:25]
	s_cbranch_execz .LBB157_264
.LBB157_279:
	v_sub_u32_e32 v20, v49, v6
	v_lshlrev_b32_e32 v20, 2, v20
	ds_write_b32 v20, v21
	s_or_b64 exec, exec, s[26:27]
	s_and_saveexec_b64 s[24:25], s[22:23]
	s_cbranch_execnz .LBB157_265
.LBB157_280:
	s_or_b64 exec, exec, s[24:25]
	s_and_saveexec_b64 s[22:23], s[20:21]
	s_cbranch_execz .LBB157_266
.LBB157_281:
	v_sub_u32_e32 v18, v47, v6
	v_lshlrev_b32_e32 v18, 2, v18
	ds_write_b32 v18, v19
	s_or_b64 exec, exec, s[22:23]
	s_and_saveexec_b64 s[20:21], s[18:19]
	s_cbranch_execnz .LBB157_267
.LBB157_282:
	s_or_b64 exec, exec, s[20:21]
	s_and_saveexec_b64 s[18:19], s[16:17]
	s_cbranch_execz .LBB157_268
.LBB157_283:
	v_sub_u32_e32 v16, v45, v6
	v_lshlrev_b32_e32 v16, 2, v16
	ds_write_b32 v16, v17
	s_or_b64 exec, exec, s[18:19]
	s_and_saveexec_b64 s[16:17], s[14:15]
	s_cbranch_execnz .LBB157_269
.LBB157_284:
	s_or_b64 exec, exec, s[16:17]
	s_and_saveexec_b64 s[14:15], s[12:13]
	s_cbranch_execz .LBB157_270
.LBB157_285:
	v_sub_u32_e32 v14, v43, v6
	v_lshlrev_b32_e32 v14, 2, v14
	ds_write_b32 v14, v15
	s_or_b64 exec, exec, s[14:15]
	s_and_saveexec_b64 s[12:13], s[10:11]
	s_cbranch_execnz .LBB157_271
.LBB157_286:
	s_or_b64 exec, exec, s[12:13]
	s_and_saveexec_b64 s[10:11], s[8:9]
	s_cbranch_execz .LBB157_288
.LBB157_287:
	v_sub_u32_e32 v12, v4, v6
	v_lshlrev_b32_e32 v12, 2, v12
	ds_write_b32 v12, v13
.LBB157_288:
	s_or_b64 exec, exec, s[10:11]
	s_and_b64 s[46:47], s[6:7], exec
                                        ; implicit-def: $vgpr24_vgpr25
                                        ; implicit-def: $vgpr22_vgpr23
                                        ; implicit-def: $vgpr20_vgpr21
                                        ; implicit-def: $vgpr18_vgpr19
                                        ; implicit-def: $vgpr16_vgpr17
                                        ; implicit-def: $vgpr14_vgpr15
                                        ; implicit-def: $vgpr12_vgpr13
	s_andn2_saveexec_b64 s[6:7], s[44:45]
	s_cbranch_execnz .LBB157_273
.LBB157_289:
	s_or_b64 exec, exec, s[6:7]
	s_and_b64 exec, exec, s[46:47]
	s_cbranch_execz .LBB157_291
.LBB157_290:
	v_sub_u32_e32 v12, v3, v6
	v_lshlrev_b32_e32 v12, 2, v12
	ds_write_b32 v12, v1
.LBB157_291:
	s_or_b64 exec, exec, s[4:5]
	v_cmp_lt_u32_e32 vcc, v0, v2
	s_waitcnt lgkmcnt(0)
	s_barrier
	s_and_saveexec_b64 s[6:7], vcc
	s_cbranch_execz .LBB157_306
; %bb.292:
	v_xad_u32 v1, v0, -1, v2
	s_movk_i32 s4, 0x1700
	v_cmp_gt_u32_e64 s[8:9], s4, v1
	s_movk_i32 s4, 0x16ff
	v_cmp_lt_u32_e32 vcc, s4, v1
	v_mov_b32_e32 v12, v0
	s_and_saveexec_b64 s[10:11], vcc
	s_cbranch_execz .LBB157_303
; %bb.293:
	v_sub_u32_e32 v12, v0, v2
	v_or_b32_e32 v12, 0xff, v12
	v_cmp_ge_u32_e32 vcc, v12, v0
	s_mov_b64 s[4:5], -1
	v_mov_b32_e32 v12, v0
	s_and_saveexec_b64 s[12:13], vcc
	s_cbranch_execz .LBB157_302
; %bb.294:
	v_lshrrev_b32_e32 v16, 8, v1
	v_add_u32_e32 v12, -1, v16
	v_or_b32_e32 v1, 0x100, v0
	v_lshrrev_b32_e32 v13, 1, v12
	v_add_u32_e32 v17, 1, v13
	v_cmp_lt_u32_e32 vcc, 13, v12
	v_mov_b32_e32 v20, 0
	v_pk_mov_b32 v[12:13], v[0:1], v[0:1] op_sel:[0,1]
	s_and_saveexec_b64 s[14:15], vcc
	s_cbranch_execz .LBB157_298
; %bb.295:
	v_and_b32_e32 v18, -8, v17
	v_lshlrev_b32_e32 v19, 2, v0
	s_mov_b32 s18, 0
	s_mov_b64 s[16:17], 0
	v_mov_b32_e32 v15, 0
	v_pk_mov_b32 v[12:13], v[0:1], v[0:1] op_sel:[0,1]
.LBB157_296:                            ; =>This Inner Loop Header: Depth=1
	v_mov_b32_e32 v14, v12
	v_add_u32_e32 v18, -8, v18
	v_lshlrev_b64 v[98:99], 2, v[14:15]
	v_mov_b32_e32 v14, v13
	ds_read2st64_b32 v[22:23], v19 offset1:4
	s_add_i32 s18, s18, 16
	v_cmp_eq_u32_e32 vcc, 0, v18
	v_lshlrev_b64 v[102:103], 2, v[14:15]
	v_add_u32_e32 v14, 0x200, v12
	s_or_b64 s[16:17], vcc, s[16:17]
	v_add_co_u32_e32 v102, vcc, v7, v102
	v_add_u32_e32 v20, 0x200, v13
	v_mov_b32_e32 v21, v15
	ds_read2st64_b32 v[24:25], v19 offset0:8 offset1:12
	ds_read2st64_b32 v[76:77], v19 offset0:16 offset1:20
	v_add_co_u32_e64 v98, s[4:5], v7, v98
	v_addc_co_u32_e32 v103, vcc, v54, v103, vcc
	v_lshlrev_b64 v[104:105], 2, v[14:15]
	v_lshlrev_b64 v[100:101], 2, v[20:21]
	v_addc_co_u32_e64 v99, s[4:5], v54, v99, s[4:5]
	v_add_u32_e32 v14, 0x400, v12
	v_add_co_u32_e32 v104, vcc, v7, v104
	v_add_u32_e32 v74, 0x400, v13
	v_mov_b32_e32 v75, v15
	ds_read2st64_b32 v[80:81], v19 offset0:24 offset1:28
	v_add_co_u32_e64 v100, s[4:5], v7, v100
	v_addc_co_u32_e32 v105, vcc, v54, v105, vcc
	v_lshlrev_b64 v[106:107], 2, v[14:15]
	ds_read2st64_b32 v[84:85], v19 offset0:32 offset1:36
	ds_read2st64_b32 v[88:89], v19 offset0:40 offset1:44
	;; [unrolled: 1-line block ×4, first 2 shown]
	v_lshlrev_b64 v[74:75], 2, v[74:75]
	v_addc_co_u32_e64 v101, s[4:5], v54, v101, s[4:5]
	v_add_u32_e32 v14, 0x600, v12
	s_waitcnt lgkmcnt(7)
	global_store_dword v[98:99], v22, off
	global_store_dword v[102:103], v23, off
	s_waitcnt lgkmcnt(6)
	global_store_dword v[104:105], v24, off
	global_store_dword v[100:101], v25, off
	v_add_co_u32_e32 v22, vcc, v7, v106
	v_add_u32_e32 v78, 0x600, v13
	v_mov_b32_e32 v79, v15
	v_add_co_u32_e64 v74, s[4:5], v7, v74
	v_addc_co_u32_e32 v23, vcc, v54, v107, vcc
	v_lshlrev_b64 v[24:25], 2, v[14:15]
	v_lshlrev_b64 v[78:79], 2, v[78:79]
	v_addc_co_u32_e64 v75, s[4:5], v54, v75, s[4:5]
	v_add_u32_e32 v14, 0x800, v12
	s_waitcnt lgkmcnt(5)
	global_store_dword v[22:23], v76, off
	global_store_dword v[74:75], v77, off
	v_add_co_u32_e32 v22, vcc, v7, v24
	v_add_u32_e32 v82, 0x800, v13
	v_mov_b32_e32 v83, v15
	v_add_co_u32_e64 v78, s[4:5], v7, v78
	v_addc_co_u32_e32 v23, vcc, v54, v25, vcc
	v_lshlrev_b64 v[24:25], 2, v[14:15]
	v_lshlrev_b64 v[82:83], 2, v[82:83]
	v_addc_co_u32_e64 v79, s[4:5], v54, v79, s[4:5]
	v_add_u32_e32 v14, 0xa00, v12
	;; [unrolled: 12-line block ×4, first 2 shown]
	s_waitcnt lgkmcnt(2)
	global_store_dword v[22:23], v88, off
	global_store_dword v[86:87], v89, off
	v_add_co_u32_e32 v22, vcc, v7, v24
	v_add_u32_e32 v94, 0xe00, v13
	v_mov_b32_e32 v95, v15
	v_add_co_u32_e64 v90, s[4:5], v7, v90
	v_addc_co_u32_e32 v23, vcc, v54, v25, vcc
	v_lshlrev_b64 v[24:25], 2, v[14:15]
	v_lshlrev_b64 v[94:95], 2, v[94:95]
	v_addc_co_u32_e64 v91, s[4:5], v54, v91, s[4:5]
	s_waitcnt lgkmcnt(1)
	global_store_dword v[22:23], v92, off
	global_store_dword v[90:91], v93, off
	v_add_co_u32_e32 v22, vcc, v7, v24
	v_add_u32_e32 v19, 0x4000, v19
	v_add_u32_e32 v13, 0x1000, v13
	v_mov_b32_e32 v20, s18
	v_add_co_u32_e64 v94, s[4:5], v7, v94
	v_add_u32_e32 v12, 0x1000, v12
	v_addc_co_u32_e32 v23, vcc, v54, v25, vcc
	v_addc_co_u32_e64 v95, s[4:5], v54, v95, s[4:5]
	s_waitcnt lgkmcnt(0)
	global_store_dword v[22:23], v96, off
	global_store_dword v[94:95], v97, off
	s_andn2_b64 exec, exec, s[16:17]
	s_cbranch_execnz .LBB157_296
; %bb.297:
	s_or_b64 exec, exec, s[16:17]
.LBB157_298:
	s_or_b64 exec, exec, s[14:15]
	v_and_b32_e32 v1, 7, v17
	v_cmp_ne_u32_e32 vcc, 0, v1
	s_and_saveexec_b64 s[14:15], vcc
	s_cbranch_execz .LBB157_301
; %bb.299:
	v_lshlrev_b32_e32 v14, 2, v0
	v_lshl_or_b32 v17, v20, 10, v14
	s_mov_b64 s[16:17], 0
	v_mov_b32_e32 v15, 0
.LBB157_300:                            ; =>This Inner Loop Header: Depth=1
	ds_read2st64_b32 v[18:19], v17 offset1:4
	v_mov_b32_e32 v14, v12
	v_add_u32_e32 v1, -1, v1
	v_lshlrev_b64 v[20:21], 2, v[14:15]
	v_mov_b32_e32 v14, v13
	v_cmp_eq_u32_e32 vcc, 0, v1
	v_add_co_u32_e64 v20, s[4:5], v7, v20
	v_lshlrev_b64 v[22:23], 2, v[14:15]
	v_add_u32_e32 v12, 0x200, v12
	v_add_u32_e32 v17, 0x800, v17
	;; [unrolled: 1-line block ×3, first 2 shown]
	v_addc_co_u32_e64 v21, s[4:5], v54, v21, s[4:5]
	s_or_b64 s[16:17], vcc, s[16:17]
	v_add_co_u32_e32 v22, vcc, v7, v22
	v_addc_co_u32_e32 v23, vcc, v54, v23, vcc
	s_waitcnt lgkmcnt(0)
	global_store_dword v[20:21], v18, off
	global_store_dword v[22:23], v19, off
	s_andn2_b64 exec, exec, s[16:17]
	s_cbranch_execnz .LBB157_300
.LBB157_301:
	s_or_b64 exec, exec, s[14:15]
	v_add_u32_e32 v1, 1, v16
	v_and_b32_e32 v13, 0x1fffffe, v1
	v_cmp_ne_u32_e32 vcc, v1, v13
	v_lshl_or_b32 v12, v13, 8, v0
	s_orn2_b64 s[4:5], vcc, exec
.LBB157_302:
	s_or_b64 exec, exec, s[12:13]
	s_andn2_b64 s[8:9], s[8:9], exec
	s_and_b64 s[4:5], s[4:5], exec
	s_or_b64 s[8:9], s[8:9], s[4:5]
.LBB157_303:
	s_or_b64 exec, exec, s[10:11]
	s_and_b64 exec, exec, s[8:9]
	s_cbranch_execz .LBB157_306
; %bb.304:
	v_lshlrev_b32_e32 v1, 2, v12
	s_mov_b64 s[4:5], 0
	v_mov_b32_e32 v13, 0
.LBB157_305:                            ; =>This Inner Loop Header: Depth=1
	v_lshlrev_b64 v[14:15], 2, v[12:13]
	ds_read_b32 v16, v1
	v_add_co_u32_e32 v14, vcc, v7, v14
	v_add_u32_e32 v12, 0x100, v12
	v_addc_co_u32_e32 v15, vcc, v54, v15, vcc
	v_cmp_ge_u32_e32 vcc, v12, v2
	v_add_u32_e32 v1, 0x400, v1
	s_or_b64 s[4:5], vcc, s[4:5]
	s_waitcnt lgkmcnt(0)
	global_store_dword v[14:15], v16, off
	s_andn2_b64 exec, exec, s[4:5]
	s_cbranch_execnz .LBB157_305
.LBB157_306:
	s_or_b64 exec, exec, s[6:7]
.LBB157_307:
	s_cmpk_lg_i32 s33, 0xf00
	s_cselect_b64 s[4:5], -1, 0
	s_and_b64 s[4:5], s[4:5], s[40:41]
	v_cndmask_b32_e64 v16, 0, 1, s[4:5]
	s_and_b64 s[4:5], s[38:39], s[42:43]
	v_cndmask_b32_e64 v12, v60, 0, s[4:5]
	s_mul_hi_u32 s4, s33, 0x88888889
	s_lshr_b32 s4, s4, 3
	v_mad_i32_i24 v13, v0, -15, s33
	v_cmp_eq_u32_e32 vcc, s4, v0
	v_cmp_ne_u32_e64 s[4:5], 0, v13
	v_cndmask_b32_e64 v14, 1, v12, s[4:5]
	v_cmp_ne_u32_e64 s[4:5], 1, v13
	v_cndmask_b32_e64 v15, 1, v39, s[4:5]
	;; [unrolled: 2-line block ×15, first 2 shown]
	s_and_b64 vcc, vcc, s[40:41]
	v_cndmask_b32_e32 v58, v58, v13, vcc
	v_cndmask_b32_e32 v27, v27, v59, vcc
	;; [unrolled: 1-line block ×15, first 2 shown]
	v_mov_b32_e32 v12, s57
	v_add_co_u32_e32 v10, vcc, s56, v10
	v_addc_co_u32_e32 v11, vcc, v12, v11, vcc
	v_cndmask_b32_e64 v1, 0, 1, s[42:43]
	v_add_co_u32_e32 v12, vcc, v10, v40
	v_addc_co_u32_e32 v13, vcc, v11, v41, vcc
	v_lshlrev_b32_e32 v10, 2, v1
	v_add_co_u32_e32 v10, vcc, v10, v12
	v_addc_co_u32_e32 v11, vcc, 0, v13, vcc
	v_add_co_u32_e32 v14, vcc, -4, v10
	v_addc_co_u32_e32 v15, vcc, -1, v11, vcc
	v_cmp_eq_u32_e32 vcc, 0, v30
	v_cndmask_b32_e64 v11, 1, 2, vcc
	v_cmp_eq_u32_e32 vcc, 0, v28
	v_cmp_ne_u32_e64 s[30:31], 0, v28
	v_cndmask_b32_e64 v28, 1, 2, vcc
	v_cmp_eq_u32_e32 vcc, 0, v17
	v_and_b32_e32 v11, v28, v11
	v_cmp_ne_u32_e64 s[28:29], 0, v17
	v_cndmask_b32_e64 v17, 1, 2, vcc
	v_cmp_eq_u32_e32 vcc, 0, v18
	v_and_b32_e32 v11, v11, v17
	v_cndmask_b32_e64 v17, 1, 2, vcc
	v_cmp_eq_u32_e32 vcc, 0, v19
	v_and_b32_e32 v11, v11, v17
	;; [unrolled: 3-line block ×9, first 2 shown]
	v_cndmask_b32_e64 v17, 1, 2, vcc
	v_cmp_eq_u32_e32 vcc, 0, v26
	v_sub_u32_e32 v7, v2, v1
	v_and_b32_e32 v11, v11, v17
	v_cndmask_b32_e64 v17, 1, 2, vcc
	v_cmp_eq_u32_e32 vcc, 0, v27
	v_add_u32_e32 v7, v7, v16
	v_and_b32_e32 v11, v11, v17
	v_cndmask_b32_e64 v17, 1, 2, vcc
	v_cmp_eq_u32_e32 vcc, 0, v58
	s_movk_i32 s36, 0x100
	v_and_b32_e32 v11, v11, v17
	v_cndmask_b32_e64 v17, 1, 2, vcc
	v_cmp_gt_u32_e32 vcc, s36, v7
	v_add_u32_e32 v10, v6, v1
	v_cmp_ne_u32_e64 s[34:35], 0, v30
	v_cmp_ne_u32_e64 s[26:27], 0, v18
	;; [unrolled: 1-line block ×13, first 2 shown]
	v_and_b32_e32 v11, v11, v17
	s_mov_b64 s[36:37], -1
	s_barrier
	s_cbranch_vccz .LBB157_344
; %bb.308:
	v_cmp_gt_i16_e32 vcc, 2, v11
	s_and_saveexec_b64 s[36:37], vcc
	s_cbranch_execz .LBB157_343
; %bb.309:
	v_cmp_ne_u16_e32 vcc, 1, v11
	s_mov_b64 s[42:43], 0
	s_and_saveexec_b64 s[38:39], vcc
	s_xor_b64 s[38:39], exec, s[38:39]
	s_cbranch_execz .LBB157_324
; %bb.310:
	s_and_saveexec_b64 s[42:43], s[34:35]
	s_cbranch_execz .LBB157_326
; %bb.311:
	v_sub_u32_e32 v18, v5, v10
	v_mov_b32_e32 v19, 0
	v_lshlrev_b64 v[18:19], 2, v[18:19]
	v_add_co_u32_e32 v18, vcc, v14, v18
	v_addc_co_u32_e32 v19, vcc, v15, v19, vcc
	global_store_dword v[18:19], v73, off
	s_or_b64 exec, exec, s[42:43]
	s_and_saveexec_b64 s[42:43], s[30:31]
	s_cbranch_execnz .LBB157_327
.LBB157_312:
	s_or_b64 exec, exec, s[42:43]
	s_and_saveexec_b64 s[42:43], s[28:29]
	s_cbranch_execz .LBB157_328
.LBB157_313:
	v_sub_u32_e32 v18, v52, v10
	v_mov_b32_e32 v19, 0
	v_lshlrev_b64 v[18:19], 2, v[18:19]
	v_add_co_u32_e32 v18, vcc, v14, v18
	v_addc_co_u32_e32 v19, vcc, v15, v19, vcc
	global_store_dword v[18:19], v71, off
	s_or_b64 exec, exec, s[42:43]
	s_and_saveexec_b64 s[42:43], s[26:27]
	s_cbranch_execnz .LBB157_329
.LBB157_314:
	s_or_b64 exec, exec, s[42:43]
	s_and_saveexec_b64 s[42:43], s[24:25]
	s_cbranch_execz .LBB157_330
.LBB157_315:
	v_sub_u32_e32 v18, v50, v10
	v_mov_b32_e32 v19, 0
	v_lshlrev_b64 v[18:19], 2, v[18:19]
	v_add_co_u32_e32 v18, vcc, v14, v18
	v_addc_co_u32_e32 v19, vcc, v15, v19, vcc
	global_store_dword v[18:19], v69, off
	s_or_b64 exec, exec, s[42:43]
	s_and_saveexec_b64 s[42:43], s[22:23]
	s_cbranch_execnz .LBB157_331
.LBB157_316:
	s_or_b64 exec, exec, s[42:43]
	s_and_saveexec_b64 s[42:43], s[20:21]
	s_cbranch_execz .LBB157_332
.LBB157_317:
	v_sub_u32_e32 v18, v48, v10
	v_mov_b32_e32 v19, 0
	v_lshlrev_b64 v[18:19], 2, v[18:19]
	v_add_co_u32_e32 v18, vcc, v14, v18
	v_addc_co_u32_e32 v19, vcc, v15, v19, vcc
	global_store_dword v[18:19], v67, off
	s_or_b64 exec, exec, s[42:43]
	s_and_saveexec_b64 s[42:43], s[18:19]
	s_cbranch_execnz .LBB157_333
.LBB157_318:
	s_or_b64 exec, exec, s[42:43]
	s_and_saveexec_b64 s[42:43], s[16:17]
	s_cbranch_execz .LBB157_334
.LBB157_319:
	v_sub_u32_e32 v18, v46, v10
	v_mov_b32_e32 v19, 0
	v_lshlrev_b64 v[18:19], 2, v[18:19]
	v_add_co_u32_e32 v18, vcc, v14, v18
	v_addc_co_u32_e32 v19, vcc, v15, v19, vcc
	global_store_dword v[18:19], v65, off
	s_or_b64 exec, exec, s[42:43]
	s_and_saveexec_b64 s[42:43], s[14:15]
	s_cbranch_execnz .LBB157_335
.LBB157_320:
	s_or_b64 exec, exec, s[42:43]
	s_and_saveexec_b64 s[42:43], s[12:13]
	s_cbranch_execz .LBB157_336
.LBB157_321:
	v_sub_u32_e32 v18, v44, v10
	v_mov_b32_e32 v19, 0
	v_lshlrev_b64 v[18:19], 2, v[18:19]
	v_add_co_u32_e32 v18, vcc, v14, v18
	v_addc_co_u32_e32 v19, vcc, v15, v19, vcc
	global_store_dword v[18:19], v63, off
	s_or_b64 exec, exec, s[42:43]
	s_and_saveexec_b64 s[42:43], s[10:11]
	s_cbranch_execnz .LBB157_337
.LBB157_322:
	s_or_b64 exec, exec, s[42:43]
	s_and_saveexec_b64 s[42:43], s[8:9]
	s_cbranch_execz .LBB157_338
.LBB157_323:
	v_sub_u32_e32 v18, v42, v10
	v_mov_b32_e32 v19, 0
	v_lshlrev_b64 v[18:19], 2, v[18:19]
	v_add_co_u32_e32 v18, vcc, v14, v18
	v_addc_co_u32_e32 v19, vcc, v15, v19, vcc
	global_store_dword v[18:19], v57, off
	s_or_b64 exec, exec, s[42:43]
	s_and_saveexec_b64 s[42:43], s[6:7]
	s_cbranch_execnz .LBB157_339
	s_branch .LBB157_340
.LBB157_324:
	s_andn2_saveexec_b64 s[38:39], s[38:39]
	s_cbranch_execz .LBB157_341
.LBB157_325:
	v_sub_u32_e32 v18, v5, v10
	v_mov_b32_e32 v19, 0
	v_lshlrev_b64 v[20:21], 2, v[18:19]
	v_add_co_u32_e32 v20, vcc, v14, v20
	v_addc_co_u32_e32 v21, vcc, v15, v21, vcc
	v_sub_u32_e32 v18, v53, v10
	global_store_dword v[20:21], v73, off
	v_lshlrev_b64 v[20:21], 2, v[18:19]
	v_add_co_u32_e32 v20, vcc, v14, v20
	v_addc_co_u32_e32 v21, vcc, v15, v21, vcc
	v_sub_u32_e32 v18, v52, v10
	global_store_dword v[20:21], v72, off
	;; [unrolled: 5-line block ×12, first 2 shown]
	v_lshlrev_b64 v[20:21], 2, v[18:19]
	v_add_co_u32_e32 v20, vcc, v14, v20
	v_sub_u32_e32 v18, v4, v10
	v_addc_co_u32_e32 v21, vcc, v15, v21, vcc
	v_lshlrev_b64 v[18:19], 2, v[18:19]
	v_add_co_u32_e32 v18, vcc, v14, v18
	v_addc_co_u32_e32 v19, vcc, v15, v19, vcc
	s_or_b64 s[42:43], s[42:43], exec
	global_store_dword v[20:21], v57, off
	global_store_dword v[18:19], v56, off
	s_or_b64 exec, exec, s[38:39]
	s_and_b64 exec, exec, s[42:43]
	s_cbranch_execnz .LBB157_342
	s_branch .LBB157_343
.LBB157_326:
	s_or_b64 exec, exec, s[42:43]
	s_and_saveexec_b64 s[42:43], s[30:31]
	s_cbranch_execz .LBB157_312
.LBB157_327:
	v_sub_u32_e32 v18, v53, v10
	v_mov_b32_e32 v19, 0
	v_lshlrev_b64 v[18:19], 2, v[18:19]
	v_add_co_u32_e32 v18, vcc, v14, v18
	v_addc_co_u32_e32 v19, vcc, v15, v19, vcc
	global_store_dword v[18:19], v72, off
	s_or_b64 exec, exec, s[42:43]
	s_and_saveexec_b64 s[42:43], s[28:29]
	s_cbranch_execnz .LBB157_313
.LBB157_328:
	s_or_b64 exec, exec, s[42:43]
	s_and_saveexec_b64 s[42:43], s[26:27]
	s_cbranch_execz .LBB157_314
.LBB157_329:
	v_sub_u32_e32 v18, v51, v10
	v_mov_b32_e32 v19, 0
	v_lshlrev_b64 v[18:19], 2, v[18:19]
	v_add_co_u32_e32 v18, vcc, v14, v18
	v_addc_co_u32_e32 v19, vcc, v15, v19, vcc
	global_store_dword v[18:19], v70, off
	s_or_b64 exec, exec, s[42:43]
	s_and_saveexec_b64 s[42:43], s[24:25]
	s_cbranch_execnz .LBB157_315
.LBB157_330:
	s_or_b64 exec, exec, s[42:43]
	s_and_saveexec_b64 s[42:43], s[22:23]
	s_cbranch_execz .LBB157_316
.LBB157_331:
	v_sub_u32_e32 v18, v49, v10
	v_mov_b32_e32 v19, 0
	v_lshlrev_b64 v[18:19], 2, v[18:19]
	v_add_co_u32_e32 v18, vcc, v14, v18
	v_addc_co_u32_e32 v19, vcc, v15, v19, vcc
	global_store_dword v[18:19], v68, off
	s_or_b64 exec, exec, s[42:43]
	s_and_saveexec_b64 s[42:43], s[20:21]
	s_cbranch_execnz .LBB157_317
.LBB157_332:
	s_or_b64 exec, exec, s[42:43]
	s_and_saveexec_b64 s[42:43], s[18:19]
	s_cbranch_execz .LBB157_318
.LBB157_333:
	v_sub_u32_e32 v18, v47, v10
	v_mov_b32_e32 v19, 0
	v_lshlrev_b64 v[18:19], 2, v[18:19]
	v_add_co_u32_e32 v18, vcc, v14, v18
	v_addc_co_u32_e32 v19, vcc, v15, v19, vcc
	global_store_dword v[18:19], v66, off
	s_or_b64 exec, exec, s[42:43]
	s_and_saveexec_b64 s[42:43], s[16:17]
	s_cbranch_execnz .LBB157_319
.LBB157_334:
	s_or_b64 exec, exec, s[42:43]
	s_and_saveexec_b64 s[42:43], s[14:15]
	s_cbranch_execz .LBB157_320
.LBB157_335:
	v_sub_u32_e32 v18, v45, v10
	v_mov_b32_e32 v19, 0
	v_lshlrev_b64 v[18:19], 2, v[18:19]
	v_add_co_u32_e32 v18, vcc, v14, v18
	v_addc_co_u32_e32 v19, vcc, v15, v19, vcc
	global_store_dword v[18:19], v64, off
	s_or_b64 exec, exec, s[42:43]
	s_and_saveexec_b64 s[42:43], s[12:13]
	s_cbranch_execnz .LBB157_321
.LBB157_336:
	s_or_b64 exec, exec, s[42:43]
	s_and_saveexec_b64 s[42:43], s[10:11]
	s_cbranch_execz .LBB157_322
.LBB157_337:
	v_sub_u32_e32 v18, v43, v10
	v_mov_b32_e32 v19, 0
	v_lshlrev_b64 v[18:19], 2, v[18:19]
	v_add_co_u32_e32 v18, vcc, v14, v18
	v_addc_co_u32_e32 v19, vcc, v15, v19, vcc
	global_store_dword v[18:19], v61, off
	s_or_b64 exec, exec, s[42:43]
	s_and_saveexec_b64 s[42:43], s[8:9]
	s_cbranch_execnz .LBB157_323
.LBB157_338:
	s_or_b64 exec, exec, s[42:43]
	s_and_saveexec_b64 s[42:43], s[6:7]
	s_cbranch_execz .LBB157_340
.LBB157_339:
	v_sub_u32_e32 v18, v4, v10
	v_mov_b32_e32 v19, 0
	v_lshlrev_b64 v[18:19], 2, v[18:19]
	v_add_co_u32_e32 v18, vcc, v14, v18
	v_addc_co_u32_e32 v19, vcc, v15, v19, vcc
	global_store_dword v[18:19], v56, off
.LBB157_340:
	s_or_b64 exec, exec, s[42:43]
	s_and_b64 s[42:43], s[4:5], exec
	s_andn2_saveexec_b64 s[38:39], s[38:39]
	s_cbranch_execnz .LBB157_325
.LBB157_341:
	s_or_b64 exec, exec, s[38:39]
	s_and_b64 exec, exec, s[42:43]
	s_cbranch_execz .LBB157_343
.LBB157_342:
	v_sub_u32_e32 v18, v3, v10
	v_mov_b32_e32 v19, 0
	v_lshlrev_b64 v[18:19], 2, v[18:19]
	v_add_co_u32_e32 v18, vcc, v14, v18
	v_addc_co_u32_e32 v19, vcc, v15, v19, vcc
	global_store_dword v[18:19], v62, off
.LBB157_343:
	s_or_b64 exec, exec, s[36:37]
	s_mov_b64 s[36:37], 0
.LBB157_344:
	s_and_b64 vcc, exec, s[36:37]
	s_cbranch_vccz .LBB157_396
; %bb.345:
	v_cmp_gt_i16_e32 vcc, 2, v11
	s_and_saveexec_b64 s[36:37], vcc
	s_cbranch_execz .LBB157_380
; %bb.346:
	v_cmp_ne_u16_e32 vcc, 1, v11
	s_mov_b64 s[42:43], 0
	s_and_saveexec_b64 s[38:39], vcc
	s_xor_b64 s[38:39], exec, s[38:39]
	s_cbranch_execz .LBB157_361
; %bb.347:
	s_and_saveexec_b64 s[42:43], s[34:35]
	s_cbranch_execz .LBB157_363
; %bb.348:
	v_sub_u32_e32 v5, v5, v10
	v_lshlrev_b32_e32 v5, 2, v5
	ds_write_b32 v5, v73
	s_or_b64 exec, exec, s[42:43]
	s_and_saveexec_b64 s[34:35], s[30:31]
	s_cbranch_execnz .LBB157_364
.LBB157_349:
	s_or_b64 exec, exec, s[34:35]
	s_and_saveexec_b64 s[30:31], s[28:29]
	s_cbranch_execz .LBB157_365
.LBB157_350:
	v_sub_u32_e32 v5, v52, v10
	v_lshlrev_b32_e32 v5, 2, v5
	ds_write_b32 v5, v71
	s_or_b64 exec, exec, s[30:31]
	s_and_saveexec_b64 s[28:29], s[26:27]
	s_cbranch_execnz .LBB157_366
.LBB157_351:
	s_or_b64 exec, exec, s[28:29]
	s_and_saveexec_b64 s[26:27], s[24:25]
	s_cbranch_execz .LBB157_367
.LBB157_352:
	v_sub_u32_e32 v5, v50, v10
	v_lshlrev_b32_e32 v5, 2, v5
	ds_write_b32 v5, v69
	s_or_b64 exec, exec, s[26:27]
	s_and_saveexec_b64 s[24:25], s[22:23]
	s_cbranch_execnz .LBB157_368
.LBB157_353:
	s_or_b64 exec, exec, s[24:25]
	s_and_saveexec_b64 s[22:23], s[20:21]
	s_cbranch_execz .LBB157_369
.LBB157_354:
	v_sub_u32_e32 v5, v48, v10
	v_lshlrev_b32_e32 v5, 2, v5
	ds_write_b32 v5, v67
	s_or_b64 exec, exec, s[22:23]
	s_and_saveexec_b64 s[20:21], s[18:19]
	s_cbranch_execnz .LBB157_370
.LBB157_355:
	s_or_b64 exec, exec, s[20:21]
	s_and_saveexec_b64 s[18:19], s[16:17]
	s_cbranch_execz .LBB157_371
.LBB157_356:
	v_sub_u32_e32 v5, v46, v10
	v_lshlrev_b32_e32 v5, 2, v5
	ds_write_b32 v5, v65
	s_or_b64 exec, exec, s[18:19]
	s_and_saveexec_b64 s[16:17], s[14:15]
	s_cbranch_execnz .LBB157_372
.LBB157_357:
	s_or_b64 exec, exec, s[16:17]
	s_and_saveexec_b64 s[14:15], s[12:13]
	s_cbranch_execz .LBB157_373
.LBB157_358:
	v_sub_u32_e32 v5, v44, v10
	v_lshlrev_b32_e32 v5, 2, v5
	ds_write_b32 v5, v63
	s_or_b64 exec, exec, s[14:15]
	s_and_saveexec_b64 s[12:13], s[10:11]
	s_cbranch_execnz .LBB157_374
.LBB157_359:
	s_or_b64 exec, exec, s[12:13]
	s_and_saveexec_b64 s[10:11], s[8:9]
	s_cbranch_execz .LBB157_375
.LBB157_360:
	v_sub_u32_e32 v5, v42, v10
	v_lshlrev_b32_e32 v5, 2, v5
	ds_write_b32 v5, v57
	s_or_b64 exec, exec, s[10:11]
	s_and_saveexec_b64 s[8:9], s[6:7]
	s_cbranch_execnz .LBB157_376
	s_branch .LBB157_377
.LBB157_361:
	s_andn2_saveexec_b64 s[4:5], s[38:39]
	s_cbranch_execz .LBB157_378
.LBB157_362:
	v_sub_u32_e32 v5, v5, v10
	v_lshlrev_b32_e32 v5, 2, v5
	ds_write_b32 v5, v73
	v_sub_u32_e32 v5, v53, v10
	v_lshlrev_b32_e32 v5, 2, v5
	ds_write_b32 v5, v72
	;; [unrolled: 3-line block ×12, first 2 shown]
	v_sub_u32_e32 v5, v42, v10
	v_sub_u32_e32 v4, v4, v10
	v_lshlrev_b32_e32 v5, 2, v5
	v_lshlrev_b32_e32 v4, 2, v4
	s_or_b64 s[42:43], s[42:43], exec
	ds_write_b32 v5, v57
	ds_write_b32 v4, v56
	s_or_b64 exec, exec, s[4:5]
	s_and_b64 exec, exec, s[42:43]
	s_cbranch_execnz .LBB157_379
	s_branch .LBB157_380
.LBB157_363:
	s_or_b64 exec, exec, s[42:43]
	s_and_saveexec_b64 s[34:35], s[30:31]
	s_cbranch_execz .LBB157_349
.LBB157_364:
	v_sub_u32_e32 v5, v53, v10
	v_lshlrev_b32_e32 v5, 2, v5
	ds_write_b32 v5, v72
	s_or_b64 exec, exec, s[34:35]
	s_and_saveexec_b64 s[30:31], s[28:29]
	s_cbranch_execnz .LBB157_350
.LBB157_365:
	s_or_b64 exec, exec, s[30:31]
	s_and_saveexec_b64 s[28:29], s[26:27]
	s_cbranch_execz .LBB157_351
.LBB157_366:
	v_sub_u32_e32 v5, v51, v10
	v_lshlrev_b32_e32 v5, 2, v5
	ds_write_b32 v5, v70
	s_or_b64 exec, exec, s[28:29]
	s_and_saveexec_b64 s[26:27], s[24:25]
	s_cbranch_execnz .LBB157_352
.LBB157_367:
	s_or_b64 exec, exec, s[26:27]
	s_and_saveexec_b64 s[24:25], s[22:23]
	s_cbranch_execz .LBB157_353
.LBB157_368:
	v_sub_u32_e32 v5, v49, v10
	v_lshlrev_b32_e32 v5, 2, v5
	ds_write_b32 v5, v68
	s_or_b64 exec, exec, s[24:25]
	s_and_saveexec_b64 s[22:23], s[20:21]
	s_cbranch_execnz .LBB157_354
.LBB157_369:
	s_or_b64 exec, exec, s[22:23]
	s_and_saveexec_b64 s[20:21], s[18:19]
	s_cbranch_execz .LBB157_355
.LBB157_370:
	v_sub_u32_e32 v5, v47, v10
	v_lshlrev_b32_e32 v5, 2, v5
	ds_write_b32 v5, v66
	s_or_b64 exec, exec, s[20:21]
	s_and_saveexec_b64 s[18:19], s[16:17]
	s_cbranch_execnz .LBB157_356
.LBB157_371:
	s_or_b64 exec, exec, s[18:19]
	s_and_saveexec_b64 s[16:17], s[14:15]
	s_cbranch_execz .LBB157_357
.LBB157_372:
	v_sub_u32_e32 v5, v45, v10
	v_lshlrev_b32_e32 v5, 2, v5
	ds_write_b32 v5, v64
	s_or_b64 exec, exec, s[16:17]
	s_and_saveexec_b64 s[14:15], s[12:13]
	s_cbranch_execnz .LBB157_358
.LBB157_373:
	s_or_b64 exec, exec, s[14:15]
	s_and_saveexec_b64 s[12:13], s[10:11]
	s_cbranch_execz .LBB157_359
.LBB157_374:
	v_sub_u32_e32 v5, v43, v10
	v_lshlrev_b32_e32 v5, 2, v5
	ds_write_b32 v5, v61
	s_or_b64 exec, exec, s[12:13]
	s_and_saveexec_b64 s[10:11], s[8:9]
	s_cbranch_execnz .LBB157_360
.LBB157_375:
	s_or_b64 exec, exec, s[10:11]
	s_and_saveexec_b64 s[8:9], s[6:7]
	s_cbranch_execz .LBB157_377
.LBB157_376:
	v_sub_u32_e32 v4, v4, v10
	v_lshlrev_b32_e32 v4, 2, v4
	ds_write_b32 v4, v56
.LBB157_377:
	s_or_b64 exec, exec, s[8:9]
	s_and_b64 s[42:43], s[4:5], exec
                                        ; implicit-def: $vgpr56
                                        ; implicit-def: $vgpr57
                                        ; implicit-def: $vgpr61
                                        ; implicit-def: $vgpr63
                                        ; implicit-def: $vgpr64
                                        ; implicit-def: $vgpr65
                                        ; implicit-def: $vgpr66
                                        ; implicit-def: $vgpr67
                                        ; implicit-def: $vgpr68
                                        ; implicit-def: $vgpr69
                                        ; implicit-def: $vgpr70
                                        ; implicit-def: $vgpr71
                                        ; implicit-def: $vgpr72
                                        ; implicit-def: $vgpr73
                                        ; implicit-def: $vgpr53
                                        ; implicit-def: $vgpr52
                                        ; implicit-def: $vgpr51
                                        ; implicit-def: $vgpr50
                                        ; implicit-def: $vgpr49
                                        ; implicit-def: $vgpr48
                                        ; implicit-def: $vgpr47
                                        ; implicit-def: $vgpr46
                                        ; implicit-def: $vgpr45
                                        ; implicit-def: $vgpr44
                                        ; implicit-def: $vgpr43
                                        ; implicit-def: $vgpr42
                                        ; implicit-def: $vgpr4
	s_andn2_saveexec_b64 s[4:5], s[38:39]
	s_cbranch_execnz .LBB157_362
.LBB157_378:
	s_or_b64 exec, exec, s[4:5]
	s_and_b64 exec, exec, s[42:43]
	s_cbranch_execz .LBB157_380
.LBB157_379:
	v_sub_u32_e32 v3, v3, v10
	v_lshlrev_b32_e32 v3, 2, v3
	ds_write_b32 v3, v62
.LBB157_380:
	s_or_b64 exec, exec, s[36:37]
	v_cmp_lt_u32_e32 vcc, v0, v7
	s_waitcnt lgkmcnt(0)
	s_barrier
	s_and_saveexec_b64 s[6:7], vcc
	s_cbranch_execz .LBB157_395
; %bb.381:
	v_add_u32_e32 v5, v2, v16
	v_xad_u32 v3, v0, -1, v5
	v_sub_u32_e32 v3, v3, v1
	s_movk_i32 s4, 0x1900
	v_cmp_gt_u32_e64 s[8:9], s4, v3
	s_movk_i32 s4, 0x18ff
	v_cmp_lt_u32_e32 vcc, s4, v3
	v_mov_b32_e32 v4, v0
	s_and_saveexec_b64 s[10:11], vcc
	s_cbranch_execz .LBB157_392
; %bb.382:
	v_sub_u32_e32 v4, v0, v5
	v_add_u32_e32 v1, v4, v1
	v_or_b32_e32 v1, 0xff, v1
	v_cmp_ge_u32_e32 vcc, v1, v0
	s_mov_b64 s[4:5], -1
	v_mov_b32_e32 v4, v0
	s_and_saveexec_b64 s[12:13], vcc
	s_cbranch_execz .LBB157_391
; %bb.383:
	v_lshrrev_b32_e32 v3, 8, v3
	v_add_u32_e32 v4, -1, v3
	v_or_b32_e32 v1, 0x100, v0
	v_lshrrev_b32_e32 v5, 1, v4
	v_add_u32_e32 v17, 1, v5
	v_cmp_lt_u32_e32 vcc, 13, v4
	v_mov_b32_e32 v20, 0
	v_lshlrev_b32_e32 v16, 2, v0
	v_pk_mov_b32 v[4:5], v[0:1], v[0:1] op_sel:[0,1]
	s_and_saveexec_b64 s[14:15], vcc
	s_cbranch_execz .LBB157_387
; %bb.384:
	v_and_b32_e32 v18, -8, v17
	s_mov_b32 s18, 0
	s_mov_b64 s[16:17], 0
	v_mov_b32_e32 v11, 0
	v_mov_b32_e32 v19, v16
	v_pk_mov_b32 v[4:5], v[0:1], v[0:1] op_sel:[0,1]
.LBB157_385:                            ; =>This Inner Loop Header: Depth=1
	v_mov_b32_e32 v10, v4
	v_add_u32_e32 v18, -8, v18
	v_lshlrev_b64 v[52:53], 2, v[10:11]
	v_mov_b32_e32 v10, v5
	ds_read2st64_b32 v[22:23], v19 offset1:4
	s_add_i32 s18, s18, 16
	v_cmp_eq_u32_e32 vcc, 0, v18
	v_lshlrev_b64 v[56:57], 2, v[10:11]
	v_add_u32_e32 v10, 0x200, v4
	s_or_b64 s[16:17], vcc, s[16:17]
	v_add_co_u32_e32 v56, vcc, v14, v56
	v_add_u32_e32 v20, 0x200, v5
	v_mov_b32_e32 v21, v11
	ds_read2st64_b32 v[24:25], v19 offset0:8 offset1:12
	ds_read2st64_b32 v[28:29], v19 offset0:16 offset1:20
	v_add_co_u32_e64 v52, s[4:5], v14, v52
	v_addc_co_u32_e32 v57, vcc, v15, v57, vcc
	v_lshlrev_b64 v[58:59], 2, v[10:11]
	v_lshlrev_b64 v[54:55], 2, v[20:21]
	v_addc_co_u32_e64 v53, s[4:5], v15, v53, s[4:5]
	v_add_u32_e32 v10, 0x400, v4
	v_add_co_u32_e32 v58, vcc, v14, v58
	v_add_u32_e32 v26, 0x400, v5
	v_mov_b32_e32 v27, v11
	ds_read2st64_b32 v[32:33], v19 offset0:24 offset1:28
	v_add_co_u32_e64 v54, s[4:5], v14, v54
	v_addc_co_u32_e32 v59, vcc, v15, v59, vcc
	v_lshlrev_b64 v[60:61], 2, v[10:11]
	ds_read2st64_b32 v[36:37], v19 offset0:32 offset1:36
	ds_read2st64_b32 v[42:43], v19 offset0:40 offset1:44
	;; [unrolled: 1-line block ×4, first 2 shown]
	v_lshlrev_b64 v[26:27], 2, v[26:27]
	v_addc_co_u32_e64 v55, s[4:5], v15, v55, s[4:5]
	v_add_u32_e32 v10, 0x600, v4
	s_waitcnt lgkmcnt(7)
	global_store_dword v[52:53], v22, off
	global_store_dword v[56:57], v23, off
	s_waitcnt lgkmcnt(6)
	global_store_dword v[58:59], v24, off
	global_store_dword v[54:55], v25, off
	v_add_co_u32_e32 v22, vcc, v14, v60
	v_add_u32_e32 v30, 0x600, v5
	v_mov_b32_e32 v31, v11
	v_add_co_u32_e64 v26, s[4:5], v14, v26
	v_addc_co_u32_e32 v23, vcc, v15, v61, vcc
	v_lshlrev_b64 v[24:25], 2, v[10:11]
	v_lshlrev_b64 v[30:31], 2, v[30:31]
	v_addc_co_u32_e64 v27, s[4:5], v15, v27, s[4:5]
	v_add_u32_e32 v10, 0x800, v4
	s_waitcnt lgkmcnt(5)
	global_store_dword v[22:23], v28, off
	global_store_dword v[26:27], v29, off
	v_add_co_u32_e32 v22, vcc, v14, v24
	v_add_u32_e32 v34, 0x800, v5
	v_mov_b32_e32 v35, v11
	v_add_co_u32_e64 v30, s[4:5], v14, v30
	v_addc_co_u32_e32 v23, vcc, v15, v25, vcc
	v_lshlrev_b64 v[24:25], 2, v[10:11]
	v_lshlrev_b64 v[34:35], 2, v[34:35]
	v_addc_co_u32_e64 v31, s[4:5], v15, v31, s[4:5]
	v_add_u32_e32 v10, 0xa00, v4
	;; [unrolled: 12-line block ×4, first 2 shown]
	s_waitcnt lgkmcnt(2)
	global_store_dword v[22:23], v42, off
	global_store_dword v[40:41], v43, off
	v_add_co_u32_e32 v22, vcc, v14, v24
	v_add_u32_e32 v48, 0xe00, v5
	v_mov_b32_e32 v49, v11
	v_add_co_u32_e64 v44, s[4:5], v14, v44
	v_addc_co_u32_e32 v23, vcc, v15, v25, vcc
	v_lshlrev_b64 v[24:25], 2, v[10:11]
	v_lshlrev_b64 v[48:49], 2, v[48:49]
	v_addc_co_u32_e64 v45, s[4:5], v15, v45, s[4:5]
	s_waitcnt lgkmcnt(1)
	global_store_dword v[22:23], v46, off
	global_store_dword v[44:45], v47, off
	v_add_co_u32_e32 v22, vcc, v14, v24
	v_add_u32_e32 v19, 0x4000, v19
	v_add_u32_e32 v5, 0x1000, v5
	v_mov_b32_e32 v20, s18
	v_add_co_u32_e64 v48, s[4:5], v14, v48
	v_add_u32_e32 v4, 0x1000, v4
	v_addc_co_u32_e32 v23, vcc, v15, v25, vcc
	v_addc_co_u32_e64 v49, s[4:5], v15, v49, s[4:5]
	s_waitcnt lgkmcnt(0)
	global_store_dword v[22:23], v50, off
	global_store_dword v[48:49], v51, off
	s_andn2_b64 exec, exec, s[16:17]
	s_cbranch_execnz .LBB157_385
; %bb.386:
	s_or_b64 exec, exec, s[16:17]
.LBB157_387:
	s_or_b64 exec, exec, s[14:15]
	v_and_b32_e32 v1, 7, v17
	v_cmp_ne_u32_e32 vcc, 0, v1
	s_and_saveexec_b64 s[14:15], vcc
	s_cbranch_execz .LBB157_390
; %bb.388:
	v_lshl_or_b32 v16, v20, 10, v16
	s_mov_b64 s[16:17], 0
	v_mov_b32_e32 v11, 0
.LBB157_389:                            ; =>This Inner Loop Header: Depth=1
	ds_read2st64_b32 v[18:19], v16 offset1:4
	v_mov_b32_e32 v10, v4
	v_add_u32_e32 v1, -1, v1
	v_lshlrev_b64 v[20:21], 2, v[10:11]
	v_mov_b32_e32 v10, v5
	v_cmp_eq_u32_e32 vcc, 0, v1
	v_add_co_u32_e64 v20, s[4:5], v14, v20
	v_lshlrev_b64 v[22:23], 2, v[10:11]
	v_add_u32_e32 v4, 0x200, v4
	v_add_u32_e32 v16, 0x800, v16
	v_add_u32_e32 v5, 0x200, v5
	v_addc_co_u32_e64 v21, s[4:5], v15, v21, s[4:5]
	s_or_b64 s[16:17], vcc, s[16:17]
	v_add_co_u32_e32 v22, vcc, v14, v22
	v_addc_co_u32_e32 v23, vcc, v15, v23, vcc
	s_waitcnt lgkmcnt(0)
	global_store_dword v[20:21], v18, off
	global_store_dword v[22:23], v19, off
	s_andn2_b64 exec, exec, s[16:17]
	s_cbranch_execnz .LBB157_389
.LBB157_390:
	s_or_b64 exec, exec, s[14:15]
	v_add_u32_e32 v1, 1, v3
	v_and_b32_e32 v3, 0x1fffffe, v1
	v_cmp_ne_u32_e32 vcc, v1, v3
	v_lshl_or_b32 v4, v3, 8, v0
	s_orn2_b64 s[4:5], vcc, exec
.LBB157_391:
	s_or_b64 exec, exec, s[12:13]
	s_andn2_b64 s[8:9], s[8:9], exec
	s_and_b64 s[4:5], s[4:5], exec
	s_or_b64 s[8:9], s[8:9], s[4:5]
.LBB157_392:
	s_or_b64 exec, exec, s[10:11]
	s_and_b64 exec, exec, s[8:9]
	s_cbranch_execz .LBB157_395
; %bb.393:
	v_lshlrev_b32_e32 v1, 2, v4
	s_mov_b64 s[4:5], 0
	v_mov_b32_e32 v5, 0
.LBB157_394:                            ; =>This Inner Loop Header: Depth=1
	v_lshlrev_b64 v[10:11], 2, v[4:5]
	ds_read_b32 v3, v1
	v_add_co_u32_e32 v10, vcc, v14, v10
	v_add_u32_e32 v4, 0x100, v4
	v_addc_co_u32_e32 v11, vcc, v15, v11, vcc
	v_cmp_ge_u32_e32 vcc, v4, v7
	v_add_u32_e32 v1, 0x400, v1
	s_or_b64 s[4:5], vcc, s[4:5]
	s_waitcnt lgkmcnt(0)
	global_store_dword v[10:11], v3, off
	s_andn2_b64 exec, exec, s[4:5]
	s_cbranch_execnz .LBB157_394
.LBB157_395:
	s_or_b64 exec, exec, s[6:7]
.LBB157_396:
	s_movk_i32 s4, 0xff
	v_cmp_eq_u32_e32 vcc, s4, v0
	s_and_b64 s[4:5], vcc, s[40:41]
	s_and_b64 exec, exec, s[4:5]
	s_cbranch_execz .LBB157_399
; %bb.397:
	v_add_co_u32_e32 v0, vcc, v2, v6
	v_addc_co_u32_e64 v1, s[4:5], 0, 0, vcc
	v_add_co_u32_e32 v0, vcc, v0, v8
	v_mov_b32_e32 v3, 0
	v_addc_co_u32_e32 v1, vcc, v1, v9, vcc
	s_cmpk_lg_i32 s33, 0xf00
	global_store_dwordx2 v3, v[0:1], s[58:59]
	s_cbranch_scc1 .LBB157_399
; %bb.398:
	v_lshlrev_b64 v[0:1], 2, v[2:3]
	v_add_co_u32_e32 v0, vcc, v12, v0
	v_addc_co_u32_e32 v1, vcc, v13, v1, vcc
	global_store_dword v[0:1], v38, off offset:-4
	s_endpgm
.LBB157_399:
	s_endpgm
	.section	.rodata,"a",@progbits
	.p2align	6, 0x0
	.amdhsa_kernel _ZN7rocprim17ROCPRIM_400000_NS6detail17trampoline_kernelINS0_14default_configENS1_29reduce_by_key_config_selectorIffN6thrust23THRUST_200600_302600_NS4plusIfEEEEZZNS1_33reduce_by_key_impl_wrapped_configILNS1_25lookback_scan_determinismE1ES3_S9_NS6_6detail15normal_iteratorINS6_10device_ptrIfEEEESG_SG_SG_PmS8_22is_equal_div_10_reduceIfEEE10hipError_tPvRmT2_T3_mT4_T5_T6_T7_T8_P12ihipStream_tbENKUlT_T0_E_clISt17integral_constantIbLb0EES10_IbLb1EEEEDaSW_SX_EUlSW_E_NS1_11comp_targetILNS1_3genE4ELNS1_11target_archE910ELNS1_3gpuE8ELNS1_3repE0EEENS1_30default_config_static_selectorELNS0_4arch9wavefront6targetE1EEEvT1_
		.amdhsa_group_segment_fixed_size 15360
		.amdhsa_private_segment_fixed_size 48
		.amdhsa_kernarg_size 120
		.amdhsa_user_sgpr_count 8
		.amdhsa_user_sgpr_private_segment_buffer 1
		.amdhsa_user_sgpr_dispatch_ptr 0
		.amdhsa_user_sgpr_queue_ptr 0
		.amdhsa_user_sgpr_kernarg_segment_ptr 1
		.amdhsa_user_sgpr_dispatch_id 0
		.amdhsa_user_sgpr_flat_scratch_init 1
		.amdhsa_user_sgpr_kernarg_preload_length 0
		.amdhsa_user_sgpr_kernarg_preload_offset 0
		.amdhsa_user_sgpr_private_segment_size 0
		.amdhsa_uses_dynamic_stack 0
		.amdhsa_system_sgpr_private_segment_wavefront_offset 1
		.amdhsa_system_sgpr_workgroup_id_x 1
		.amdhsa_system_sgpr_workgroup_id_y 0
		.amdhsa_system_sgpr_workgroup_id_z 0
		.amdhsa_system_sgpr_workgroup_info 0
		.amdhsa_system_vgpr_workitem_id 0
		.amdhsa_next_free_vgpr 108
		.amdhsa_next_free_sgpr 76
		.amdhsa_accum_offset 108
		.amdhsa_reserve_vcc 1
		.amdhsa_reserve_flat_scratch 1
		.amdhsa_float_round_mode_32 0
		.amdhsa_float_round_mode_16_64 0
		.amdhsa_float_denorm_mode_32 3
		.amdhsa_float_denorm_mode_16_64 3
		.amdhsa_dx10_clamp 1
		.amdhsa_ieee_mode 1
		.amdhsa_fp16_overflow 0
		.amdhsa_tg_split 0
		.amdhsa_exception_fp_ieee_invalid_op 0
		.amdhsa_exception_fp_denorm_src 0
		.amdhsa_exception_fp_ieee_div_zero 0
		.amdhsa_exception_fp_ieee_overflow 0
		.amdhsa_exception_fp_ieee_underflow 0
		.amdhsa_exception_fp_ieee_inexact 0
		.amdhsa_exception_int_div_zero 0
	.end_amdhsa_kernel
	.section	.text._ZN7rocprim17ROCPRIM_400000_NS6detail17trampoline_kernelINS0_14default_configENS1_29reduce_by_key_config_selectorIffN6thrust23THRUST_200600_302600_NS4plusIfEEEEZZNS1_33reduce_by_key_impl_wrapped_configILNS1_25lookback_scan_determinismE1ES3_S9_NS6_6detail15normal_iteratorINS6_10device_ptrIfEEEESG_SG_SG_PmS8_22is_equal_div_10_reduceIfEEE10hipError_tPvRmT2_T3_mT4_T5_T6_T7_T8_P12ihipStream_tbENKUlT_T0_E_clISt17integral_constantIbLb0EES10_IbLb1EEEEDaSW_SX_EUlSW_E_NS1_11comp_targetILNS1_3genE4ELNS1_11target_archE910ELNS1_3gpuE8ELNS1_3repE0EEENS1_30default_config_static_selectorELNS0_4arch9wavefront6targetE1EEEvT1_,"axG",@progbits,_ZN7rocprim17ROCPRIM_400000_NS6detail17trampoline_kernelINS0_14default_configENS1_29reduce_by_key_config_selectorIffN6thrust23THRUST_200600_302600_NS4plusIfEEEEZZNS1_33reduce_by_key_impl_wrapped_configILNS1_25lookback_scan_determinismE1ES3_S9_NS6_6detail15normal_iteratorINS6_10device_ptrIfEEEESG_SG_SG_PmS8_22is_equal_div_10_reduceIfEEE10hipError_tPvRmT2_T3_mT4_T5_T6_T7_T8_P12ihipStream_tbENKUlT_T0_E_clISt17integral_constantIbLb0EES10_IbLb1EEEEDaSW_SX_EUlSW_E_NS1_11comp_targetILNS1_3genE4ELNS1_11target_archE910ELNS1_3gpuE8ELNS1_3repE0EEENS1_30default_config_static_selectorELNS0_4arch9wavefront6targetE1EEEvT1_,comdat
.Lfunc_end157:
	.size	_ZN7rocprim17ROCPRIM_400000_NS6detail17trampoline_kernelINS0_14default_configENS1_29reduce_by_key_config_selectorIffN6thrust23THRUST_200600_302600_NS4plusIfEEEEZZNS1_33reduce_by_key_impl_wrapped_configILNS1_25lookback_scan_determinismE1ES3_S9_NS6_6detail15normal_iteratorINS6_10device_ptrIfEEEESG_SG_SG_PmS8_22is_equal_div_10_reduceIfEEE10hipError_tPvRmT2_T3_mT4_T5_T6_T7_T8_P12ihipStream_tbENKUlT_T0_E_clISt17integral_constantIbLb0EES10_IbLb1EEEEDaSW_SX_EUlSW_E_NS1_11comp_targetILNS1_3genE4ELNS1_11target_archE910ELNS1_3gpuE8ELNS1_3repE0EEENS1_30default_config_static_selectorELNS0_4arch9wavefront6targetE1EEEvT1_, .Lfunc_end157-_ZN7rocprim17ROCPRIM_400000_NS6detail17trampoline_kernelINS0_14default_configENS1_29reduce_by_key_config_selectorIffN6thrust23THRUST_200600_302600_NS4plusIfEEEEZZNS1_33reduce_by_key_impl_wrapped_configILNS1_25lookback_scan_determinismE1ES3_S9_NS6_6detail15normal_iteratorINS6_10device_ptrIfEEEESG_SG_SG_PmS8_22is_equal_div_10_reduceIfEEE10hipError_tPvRmT2_T3_mT4_T5_T6_T7_T8_P12ihipStream_tbENKUlT_T0_E_clISt17integral_constantIbLb0EES10_IbLb1EEEEDaSW_SX_EUlSW_E_NS1_11comp_targetILNS1_3genE4ELNS1_11target_archE910ELNS1_3gpuE8ELNS1_3repE0EEENS1_30default_config_static_selectorELNS0_4arch9wavefront6targetE1EEEvT1_
                                        ; -- End function
	.section	.AMDGPU.csdata,"",@progbits
; Kernel info:
; codeLenInByte = 20504
; NumSgprs: 82
; NumVgprs: 108
; NumAgprs: 0
; TotalNumVgprs: 108
; ScratchSize: 48
; MemoryBound: 0
; FloatMode: 240
; IeeeMode: 1
; LDSByteSize: 15360 bytes/workgroup (compile time only)
; SGPRBlocks: 10
; VGPRBlocks: 13
; NumSGPRsForWavesPerEU: 82
; NumVGPRsForWavesPerEU: 108
; AccumOffset: 108
; Occupancy: 4
; WaveLimiterHint : 1
; COMPUTE_PGM_RSRC2:SCRATCH_EN: 1
; COMPUTE_PGM_RSRC2:USER_SGPR: 8
; COMPUTE_PGM_RSRC2:TRAP_HANDLER: 0
; COMPUTE_PGM_RSRC2:TGID_X_EN: 1
; COMPUTE_PGM_RSRC2:TGID_Y_EN: 0
; COMPUTE_PGM_RSRC2:TGID_Z_EN: 0
; COMPUTE_PGM_RSRC2:TIDIG_COMP_CNT: 0
; COMPUTE_PGM_RSRC3_GFX90A:ACCUM_OFFSET: 26
; COMPUTE_PGM_RSRC3_GFX90A:TG_SPLIT: 0
	.section	.text._ZN7rocprim17ROCPRIM_400000_NS6detail17trampoline_kernelINS0_14default_configENS1_29reduce_by_key_config_selectorIffN6thrust23THRUST_200600_302600_NS4plusIfEEEEZZNS1_33reduce_by_key_impl_wrapped_configILNS1_25lookback_scan_determinismE1ES3_S9_NS6_6detail15normal_iteratorINS6_10device_ptrIfEEEESG_SG_SG_PmS8_22is_equal_div_10_reduceIfEEE10hipError_tPvRmT2_T3_mT4_T5_T6_T7_T8_P12ihipStream_tbENKUlT_T0_E_clISt17integral_constantIbLb0EES10_IbLb1EEEEDaSW_SX_EUlSW_E_NS1_11comp_targetILNS1_3genE3ELNS1_11target_archE908ELNS1_3gpuE7ELNS1_3repE0EEENS1_30default_config_static_selectorELNS0_4arch9wavefront6targetE1EEEvT1_,"axG",@progbits,_ZN7rocprim17ROCPRIM_400000_NS6detail17trampoline_kernelINS0_14default_configENS1_29reduce_by_key_config_selectorIffN6thrust23THRUST_200600_302600_NS4plusIfEEEEZZNS1_33reduce_by_key_impl_wrapped_configILNS1_25lookback_scan_determinismE1ES3_S9_NS6_6detail15normal_iteratorINS6_10device_ptrIfEEEESG_SG_SG_PmS8_22is_equal_div_10_reduceIfEEE10hipError_tPvRmT2_T3_mT4_T5_T6_T7_T8_P12ihipStream_tbENKUlT_T0_E_clISt17integral_constantIbLb0EES10_IbLb1EEEEDaSW_SX_EUlSW_E_NS1_11comp_targetILNS1_3genE3ELNS1_11target_archE908ELNS1_3gpuE7ELNS1_3repE0EEENS1_30default_config_static_selectorELNS0_4arch9wavefront6targetE1EEEvT1_,comdat
	.protected	_ZN7rocprim17ROCPRIM_400000_NS6detail17trampoline_kernelINS0_14default_configENS1_29reduce_by_key_config_selectorIffN6thrust23THRUST_200600_302600_NS4plusIfEEEEZZNS1_33reduce_by_key_impl_wrapped_configILNS1_25lookback_scan_determinismE1ES3_S9_NS6_6detail15normal_iteratorINS6_10device_ptrIfEEEESG_SG_SG_PmS8_22is_equal_div_10_reduceIfEEE10hipError_tPvRmT2_T3_mT4_T5_T6_T7_T8_P12ihipStream_tbENKUlT_T0_E_clISt17integral_constantIbLb0EES10_IbLb1EEEEDaSW_SX_EUlSW_E_NS1_11comp_targetILNS1_3genE3ELNS1_11target_archE908ELNS1_3gpuE7ELNS1_3repE0EEENS1_30default_config_static_selectorELNS0_4arch9wavefront6targetE1EEEvT1_ ; -- Begin function _ZN7rocprim17ROCPRIM_400000_NS6detail17trampoline_kernelINS0_14default_configENS1_29reduce_by_key_config_selectorIffN6thrust23THRUST_200600_302600_NS4plusIfEEEEZZNS1_33reduce_by_key_impl_wrapped_configILNS1_25lookback_scan_determinismE1ES3_S9_NS6_6detail15normal_iteratorINS6_10device_ptrIfEEEESG_SG_SG_PmS8_22is_equal_div_10_reduceIfEEE10hipError_tPvRmT2_T3_mT4_T5_T6_T7_T8_P12ihipStream_tbENKUlT_T0_E_clISt17integral_constantIbLb0EES10_IbLb1EEEEDaSW_SX_EUlSW_E_NS1_11comp_targetILNS1_3genE3ELNS1_11target_archE908ELNS1_3gpuE7ELNS1_3repE0EEENS1_30default_config_static_selectorELNS0_4arch9wavefront6targetE1EEEvT1_
	.globl	_ZN7rocprim17ROCPRIM_400000_NS6detail17trampoline_kernelINS0_14default_configENS1_29reduce_by_key_config_selectorIffN6thrust23THRUST_200600_302600_NS4plusIfEEEEZZNS1_33reduce_by_key_impl_wrapped_configILNS1_25lookback_scan_determinismE1ES3_S9_NS6_6detail15normal_iteratorINS6_10device_ptrIfEEEESG_SG_SG_PmS8_22is_equal_div_10_reduceIfEEE10hipError_tPvRmT2_T3_mT4_T5_T6_T7_T8_P12ihipStream_tbENKUlT_T0_E_clISt17integral_constantIbLb0EES10_IbLb1EEEEDaSW_SX_EUlSW_E_NS1_11comp_targetILNS1_3genE3ELNS1_11target_archE908ELNS1_3gpuE7ELNS1_3repE0EEENS1_30default_config_static_selectorELNS0_4arch9wavefront6targetE1EEEvT1_
	.p2align	8
	.type	_ZN7rocprim17ROCPRIM_400000_NS6detail17trampoline_kernelINS0_14default_configENS1_29reduce_by_key_config_selectorIffN6thrust23THRUST_200600_302600_NS4plusIfEEEEZZNS1_33reduce_by_key_impl_wrapped_configILNS1_25lookback_scan_determinismE1ES3_S9_NS6_6detail15normal_iteratorINS6_10device_ptrIfEEEESG_SG_SG_PmS8_22is_equal_div_10_reduceIfEEE10hipError_tPvRmT2_T3_mT4_T5_T6_T7_T8_P12ihipStream_tbENKUlT_T0_E_clISt17integral_constantIbLb0EES10_IbLb1EEEEDaSW_SX_EUlSW_E_NS1_11comp_targetILNS1_3genE3ELNS1_11target_archE908ELNS1_3gpuE7ELNS1_3repE0EEENS1_30default_config_static_selectorELNS0_4arch9wavefront6targetE1EEEvT1_,@function
_ZN7rocprim17ROCPRIM_400000_NS6detail17trampoline_kernelINS0_14default_configENS1_29reduce_by_key_config_selectorIffN6thrust23THRUST_200600_302600_NS4plusIfEEEEZZNS1_33reduce_by_key_impl_wrapped_configILNS1_25lookback_scan_determinismE1ES3_S9_NS6_6detail15normal_iteratorINS6_10device_ptrIfEEEESG_SG_SG_PmS8_22is_equal_div_10_reduceIfEEE10hipError_tPvRmT2_T3_mT4_T5_T6_T7_T8_P12ihipStream_tbENKUlT_T0_E_clISt17integral_constantIbLb0EES10_IbLb1EEEEDaSW_SX_EUlSW_E_NS1_11comp_targetILNS1_3genE3ELNS1_11target_archE908ELNS1_3gpuE7ELNS1_3repE0EEENS1_30default_config_static_selectorELNS0_4arch9wavefront6targetE1EEEvT1_: ; @_ZN7rocprim17ROCPRIM_400000_NS6detail17trampoline_kernelINS0_14default_configENS1_29reduce_by_key_config_selectorIffN6thrust23THRUST_200600_302600_NS4plusIfEEEEZZNS1_33reduce_by_key_impl_wrapped_configILNS1_25lookback_scan_determinismE1ES3_S9_NS6_6detail15normal_iteratorINS6_10device_ptrIfEEEESG_SG_SG_PmS8_22is_equal_div_10_reduceIfEEE10hipError_tPvRmT2_T3_mT4_T5_T6_T7_T8_P12ihipStream_tbENKUlT_T0_E_clISt17integral_constantIbLb0EES10_IbLb1EEEEDaSW_SX_EUlSW_E_NS1_11comp_targetILNS1_3genE3ELNS1_11target_archE908ELNS1_3gpuE7ELNS1_3repE0EEENS1_30default_config_static_selectorELNS0_4arch9wavefront6targetE1EEEvT1_
; %bb.0:
	.section	.rodata,"a",@progbits
	.p2align	6, 0x0
	.amdhsa_kernel _ZN7rocprim17ROCPRIM_400000_NS6detail17trampoline_kernelINS0_14default_configENS1_29reduce_by_key_config_selectorIffN6thrust23THRUST_200600_302600_NS4plusIfEEEEZZNS1_33reduce_by_key_impl_wrapped_configILNS1_25lookback_scan_determinismE1ES3_S9_NS6_6detail15normal_iteratorINS6_10device_ptrIfEEEESG_SG_SG_PmS8_22is_equal_div_10_reduceIfEEE10hipError_tPvRmT2_T3_mT4_T5_T6_T7_T8_P12ihipStream_tbENKUlT_T0_E_clISt17integral_constantIbLb0EES10_IbLb1EEEEDaSW_SX_EUlSW_E_NS1_11comp_targetILNS1_3genE3ELNS1_11target_archE908ELNS1_3gpuE7ELNS1_3repE0EEENS1_30default_config_static_selectorELNS0_4arch9wavefront6targetE1EEEvT1_
		.amdhsa_group_segment_fixed_size 0
		.amdhsa_private_segment_fixed_size 0
		.amdhsa_kernarg_size 120
		.amdhsa_user_sgpr_count 6
		.amdhsa_user_sgpr_private_segment_buffer 1
		.amdhsa_user_sgpr_dispatch_ptr 0
		.amdhsa_user_sgpr_queue_ptr 0
		.amdhsa_user_sgpr_kernarg_segment_ptr 1
		.amdhsa_user_sgpr_dispatch_id 0
		.amdhsa_user_sgpr_flat_scratch_init 0
		.amdhsa_user_sgpr_kernarg_preload_length 0
		.amdhsa_user_sgpr_kernarg_preload_offset 0
		.amdhsa_user_sgpr_private_segment_size 0
		.amdhsa_uses_dynamic_stack 0
		.amdhsa_system_sgpr_private_segment_wavefront_offset 0
		.amdhsa_system_sgpr_workgroup_id_x 1
		.amdhsa_system_sgpr_workgroup_id_y 0
		.amdhsa_system_sgpr_workgroup_id_z 0
		.amdhsa_system_sgpr_workgroup_info 0
		.amdhsa_system_vgpr_workitem_id 0
		.amdhsa_next_free_vgpr 1
		.amdhsa_next_free_sgpr 0
		.amdhsa_accum_offset 4
		.amdhsa_reserve_vcc 0
		.amdhsa_reserve_flat_scratch 0
		.amdhsa_float_round_mode_32 0
		.amdhsa_float_round_mode_16_64 0
		.amdhsa_float_denorm_mode_32 3
		.amdhsa_float_denorm_mode_16_64 3
		.amdhsa_dx10_clamp 1
		.amdhsa_ieee_mode 1
		.amdhsa_fp16_overflow 0
		.amdhsa_tg_split 0
		.amdhsa_exception_fp_ieee_invalid_op 0
		.amdhsa_exception_fp_denorm_src 0
		.amdhsa_exception_fp_ieee_div_zero 0
		.amdhsa_exception_fp_ieee_overflow 0
		.amdhsa_exception_fp_ieee_underflow 0
		.amdhsa_exception_fp_ieee_inexact 0
		.amdhsa_exception_int_div_zero 0
	.end_amdhsa_kernel
	.section	.text._ZN7rocprim17ROCPRIM_400000_NS6detail17trampoline_kernelINS0_14default_configENS1_29reduce_by_key_config_selectorIffN6thrust23THRUST_200600_302600_NS4plusIfEEEEZZNS1_33reduce_by_key_impl_wrapped_configILNS1_25lookback_scan_determinismE1ES3_S9_NS6_6detail15normal_iteratorINS6_10device_ptrIfEEEESG_SG_SG_PmS8_22is_equal_div_10_reduceIfEEE10hipError_tPvRmT2_T3_mT4_T5_T6_T7_T8_P12ihipStream_tbENKUlT_T0_E_clISt17integral_constantIbLb0EES10_IbLb1EEEEDaSW_SX_EUlSW_E_NS1_11comp_targetILNS1_3genE3ELNS1_11target_archE908ELNS1_3gpuE7ELNS1_3repE0EEENS1_30default_config_static_selectorELNS0_4arch9wavefront6targetE1EEEvT1_,"axG",@progbits,_ZN7rocprim17ROCPRIM_400000_NS6detail17trampoline_kernelINS0_14default_configENS1_29reduce_by_key_config_selectorIffN6thrust23THRUST_200600_302600_NS4plusIfEEEEZZNS1_33reduce_by_key_impl_wrapped_configILNS1_25lookback_scan_determinismE1ES3_S9_NS6_6detail15normal_iteratorINS6_10device_ptrIfEEEESG_SG_SG_PmS8_22is_equal_div_10_reduceIfEEE10hipError_tPvRmT2_T3_mT4_T5_T6_T7_T8_P12ihipStream_tbENKUlT_T0_E_clISt17integral_constantIbLb0EES10_IbLb1EEEEDaSW_SX_EUlSW_E_NS1_11comp_targetILNS1_3genE3ELNS1_11target_archE908ELNS1_3gpuE7ELNS1_3repE0EEENS1_30default_config_static_selectorELNS0_4arch9wavefront6targetE1EEEvT1_,comdat
.Lfunc_end158:
	.size	_ZN7rocprim17ROCPRIM_400000_NS6detail17trampoline_kernelINS0_14default_configENS1_29reduce_by_key_config_selectorIffN6thrust23THRUST_200600_302600_NS4plusIfEEEEZZNS1_33reduce_by_key_impl_wrapped_configILNS1_25lookback_scan_determinismE1ES3_S9_NS6_6detail15normal_iteratorINS6_10device_ptrIfEEEESG_SG_SG_PmS8_22is_equal_div_10_reduceIfEEE10hipError_tPvRmT2_T3_mT4_T5_T6_T7_T8_P12ihipStream_tbENKUlT_T0_E_clISt17integral_constantIbLb0EES10_IbLb1EEEEDaSW_SX_EUlSW_E_NS1_11comp_targetILNS1_3genE3ELNS1_11target_archE908ELNS1_3gpuE7ELNS1_3repE0EEENS1_30default_config_static_selectorELNS0_4arch9wavefront6targetE1EEEvT1_, .Lfunc_end158-_ZN7rocprim17ROCPRIM_400000_NS6detail17trampoline_kernelINS0_14default_configENS1_29reduce_by_key_config_selectorIffN6thrust23THRUST_200600_302600_NS4plusIfEEEEZZNS1_33reduce_by_key_impl_wrapped_configILNS1_25lookback_scan_determinismE1ES3_S9_NS6_6detail15normal_iteratorINS6_10device_ptrIfEEEESG_SG_SG_PmS8_22is_equal_div_10_reduceIfEEE10hipError_tPvRmT2_T3_mT4_T5_T6_T7_T8_P12ihipStream_tbENKUlT_T0_E_clISt17integral_constantIbLb0EES10_IbLb1EEEEDaSW_SX_EUlSW_E_NS1_11comp_targetILNS1_3genE3ELNS1_11target_archE908ELNS1_3gpuE7ELNS1_3repE0EEENS1_30default_config_static_selectorELNS0_4arch9wavefront6targetE1EEEvT1_
                                        ; -- End function
	.section	.AMDGPU.csdata,"",@progbits
; Kernel info:
; codeLenInByte = 0
; NumSgprs: 4
; NumVgprs: 0
; NumAgprs: 0
; TotalNumVgprs: 0
; ScratchSize: 0
; MemoryBound: 0
; FloatMode: 240
; IeeeMode: 1
; LDSByteSize: 0 bytes/workgroup (compile time only)
; SGPRBlocks: 0
; VGPRBlocks: 0
; NumSGPRsForWavesPerEU: 4
; NumVGPRsForWavesPerEU: 1
; AccumOffset: 4
; Occupancy: 8
; WaveLimiterHint : 0
; COMPUTE_PGM_RSRC2:SCRATCH_EN: 0
; COMPUTE_PGM_RSRC2:USER_SGPR: 6
; COMPUTE_PGM_RSRC2:TRAP_HANDLER: 0
; COMPUTE_PGM_RSRC2:TGID_X_EN: 1
; COMPUTE_PGM_RSRC2:TGID_Y_EN: 0
; COMPUTE_PGM_RSRC2:TGID_Z_EN: 0
; COMPUTE_PGM_RSRC2:TIDIG_COMP_CNT: 0
; COMPUTE_PGM_RSRC3_GFX90A:ACCUM_OFFSET: 0
; COMPUTE_PGM_RSRC3_GFX90A:TG_SPLIT: 0
	.section	.text._ZN7rocprim17ROCPRIM_400000_NS6detail17trampoline_kernelINS0_14default_configENS1_29reduce_by_key_config_selectorIffN6thrust23THRUST_200600_302600_NS4plusIfEEEEZZNS1_33reduce_by_key_impl_wrapped_configILNS1_25lookback_scan_determinismE1ES3_S9_NS6_6detail15normal_iteratorINS6_10device_ptrIfEEEESG_SG_SG_PmS8_22is_equal_div_10_reduceIfEEE10hipError_tPvRmT2_T3_mT4_T5_T6_T7_T8_P12ihipStream_tbENKUlT_T0_E_clISt17integral_constantIbLb0EES10_IbLb1EEEEDaSW_SX_EUlSW_E_NS1_11comp_targetILNS1_3genE2ELNS1_11target_archE906ELNS1_3gpuE6ELNS1_3repE0EEENS1_30default_config_static_selectorELNS0_4arch9wavefront6targetE1EEEvT1_,"axG",@progbits,_ZN7rocprim17ROCPRIM_400000_NS6detail17trampoline_kernelINS0_14default_configENS1_29reduce_by_key_config_selectorIffN6thrust23THRUST_200600_302600_NS4plusIfEEEEZZNS1_33reduce_by_key_impl_wrapped_configILNS1_25lookback_scan_determinismE1ES3_S9_NS6_6detail15normal_iteratorINS6_10device_ptrIfEEEESG_SG_SG_PmS8_22is_equal_div_10_reduceIfEEE10hipError_tPvRmT2_T3_mT4_T5_T6_T7_T8_P12ihipStream_tbENKUlT_T0_E_clISt17integral_constantIbLb0EES10_IbLb1EEEEDaSW_SX_EUlSW_E_NS1_11comp_targetILNS1_3genE2ELNS1_11target_archE906ELNS1_3gpuE6ELNS1_3repE0EEENS1_30default_config_static_selectorELNS0_4arch9wavefront6targetE1EEEvT1_,comdat
	.protected	_ZN7rocprim17ROCPRIM_400000_NS6detail17trampoline_kernelINS0_14default_configENS1_29reduce_by_key_config_selectorIffN6thrust23THRUST_200600_302600_NS4plusIfEEEEZZNS1_33reduce_by_key_impl_wrapped_configILNS1_25lookback_scan_determinismE1ES3_S9_NS6_6detail15normal_iteratorINS6_10device_ptrIfEEEESG_SG_SG_PmS8_22is_equal_div_10_reduceIfEEE10hipError_tPvRmT2_T3_mT4_T5_T6_T7_T8_P12ihipStream_tbENKUlT_T0_E_clISt17integral_constantIbLb0EES10_IbLb1EEEEDaSW_SX_EUlSW_E_NS1_11comp_targetILNS1_3genE2ELNS1_11target_archE906ELNS1_3gpuE6ELNS1_3repE0EEENS1_30default_config_static_selectorELNS0_4arch9wavefront6targetE1EEEvT1_ ; -- Begin function _ZN7rocprim17ROCPRIM_400000_NS6detail17trampoline_kernelINS0_14default_configENS1_29reduce_by_key_config_selectorIffN6thrust23THRUST_200600_302600_NS4plusIfEEEEZZNS1_33reduce_by_key_impl_wrapped_configILNS1_25lookback_scan_determinismE1ES3_S9_NS6_6detail15normal_iteratorINS6_10device_ptrIfEEEESG_SG_SG_PmS8_22is_equal_div_10_reduceIfEEE10hipError_tPvRmT2_T3_mT4_T5_T6_T7_T8_P12ihipStream_tbENKUlT_T0_E_clISt17integral_constantIbLb0EES10_IbLb1EEEEDaSW_SX_EUlSW_E_NS1_11comp_targetILNS1_3genE2ELNS1_11target_archE906ELNS1_3gpuE6ELNS1_3repE0EEENS1_30default_config_static_selectorELNS0_4arch9wavefront6targetE1EEEvT1_
	.globl	_ZN7rocprim17ROCPRIM_400000_NS6detail17trampoline_kernelINS0_14default_configENS1_29reduce_by_key_config_selectorIffN6thrust23THRUST_200600_302600_NS4plusIfEEEEZZNS1_33reduce_by_key_impl_wrapped_configILNS1_25lookback_scan_determinismE1ES3_S9_NS6_6detail15normal_iteratorINS6_10device_ptrIfEEEESG_SG_SG_PmS8_22is_equal_div_10_reduceIfEEE10hipError_tPvRmT2_T3_mT4_T5_T6_T7_T8_P12ihipStream_tbENKUlT_T0_E_clISt17integral_constantIbLb0EES10_IbLb1EEEEDaSW_SX_EUlSW_E_NS1_11comp_targetILNS1_3genE2ELNS1_11target_archE906ELNS1_3gpuE6ELNS1_3repE0EEENS1_30default_config_static_selectorELNS0_4arch9wavefront6targetE1EEEvT1_
	.p2align	8
	.type	_ZN7rocprim17ROCPRIM_400000_NS6detail17trampoline_kernelINS0_14default_configENS1_29reduce_by_key_config_selectorIffN6thrust23THRUST_200600_302600_NS4plusIfEEEEZZNS1_33reduce_by_key_impl_wrapped_configILNS1_25lookback_scan_determinismE1ES3_S9_NS6_6detail15normal_iteratorINS6_10device_ptrIfEEEESG_SG_SG_PmS8_22is_equal_div_10_reduceIfEEE10hipError_tPvRmT2_T3_mT4_T5_T6_T7_T8_P12ihipStream_tbENKUlT_T0_E_clISt17integral_constantIbLb0EES10_IbLb1EEEEDaSW_SX_EUlSW_E_NS1_11comp_targetILNS1_3genE2ELNS1_11target_archE906ELNS1_3gpuE6ELNS1_3repE0EEENS1_30default_config_static_selectorELNS0_4arch9wavefront6targetE1EEEvT1_,@function
_ZN7rocprim17ROCPRIM_400000_NS6detail17trampoline_kernelINS0_14default_configENS1_29reduce_by_key_config_selectorIffN6thrust23THRUST_200600_302600_NS4plusIfEEEEZZNS1_33reduce_by_key_impl_wrapped_configILNS1_25lookback_scan_determinismE1ES3_S9_NS6_6detail15normal_iteratorINS6_10device_ptrIfEEEESG_SG_SG_PmS8_22is_equal_div_10_reduceIfEEE10hipError_tPvRmT2_T3_mT4_T5_T6_T7_T8_P12ihipStream_tbENKUlT_T0_E_clISt17integral_constantIbLb0EES10_IbLb1EEEEDaSW_SX_EUlSW_E_NS1_11comp_targetILNS1_3genE2ELNS1_11target_archE906ELNS1_3gpuE6ELNS1_3repE0EEENS1_30default_config_static_selectorELNS0_4arch9wavefront6targetE1EEEvT1_: ; @_ZN7rocprim17ROCPRIM_400000_NS6detail17trampoline_kernelINS0_14default_configENS1_29reduce_by_key_config_selectorIffN6thrust23THRUST_200600_302600_NS4plusIfEEEEZZNS1_33reduce_by_key_impl_wrapped_configILNS1_25lookback_scan_determinismE1ES3_S9_NS6_6detail15normal_iteratorINS6_10device_ptrIfEEEESG_SG_SG_PmS8_22is_equal_div_10_reduceIfEEE10hipError_tPvRmT2_T3_mT4_T5_T6_T7_T8_P12ihipStream_tbENKUlT_T0_E_clISt17integral_constantIbLb0EES10_IbLb1EEEEDaSW_SX_EUlSW_E_NS1_11comp_targetILNS1_3genE2ELNS1_11target_archE906ELNS1_3gpuE6ELNS1_3repE0EEENS1_30default_config_static_selectorELNS0_4arch9wavefront6targetE1EEEvT1_
; %bb.0:
	.section	.rodata,"a",@progbits
	.p2align	6, 0x0
	.amdhsa_kernel _ZN7rocprim17ROCPRIM_400000_NS6detail17trampoline_kernelINS0_14default_configENS1_29reduce_by_key_config_selectorIffN6thrust23THRUST_200600_302600_NS4plusIfEEEEZZNS1_33reduce_by_key_impl_wrapped_configILNS1_25lookback_scan_determinismE1ES3_S9_NS6_6detail15normal_iteratorINS6_10device_ptrIfEEEESG_SG_SG_PmS8_22is_equal_div_10_reduceIfEEE10hipError_tPvRmT2_T3_mT4_T5_T6_T7_T8_P12ihipStream_tbENKUlT_T0_E_clISt17integral_constantIbLb0EES10_IbLb1EEEEDaSW_SX_EUlSW_E_NS1_11comp_targetILNS1_3genE2ELNS1_11target_archE906ELNS1_3gpuE6ELNS1_3repE0EEENS1_30default_config_static_selectorELNS0_4arch9wavefront6targetE1EEEvT1_
		.amdhsa_group_segment_fixed_size 0
		.amdhsa_private_segment_fixed_size 0
		.amdhsa_kernarg_size 120
		.amdhsa_user_sgpr_count 6
		.amdhsa_user_sgpr_private_segment_buffer 1
		.amdhsa_user_sgpr_dispatch_ptr 0
		.amdhsa_user_sgpr_queue_ptr 0
		.amdhsa_user_sgpr_kernarg_segment_ptr 1
		.amdhsa_user_sgpr_dispatch_id 0
		.amdhsa_user_sgpr_flat_scratch_init 0
		.amdhsa_user_sgpr_kernarg_preload_length 0
		.amdhsa_user_sgpr_kernarg_preload_offset 0
		.amdhsa_user_sgpr_private_segment_size 0
		.amdhsa_uses_dynamic_stack 0
		.amdhsa_system_sgpr_private_segment_wavefront_offset 0
		.amdhsa_system_sgpr_workgroup_id_x 1
		.amdhsa_system_sgpr_workgroup_id_y 0
		.amdhsa_system_sgpr_workgroup_id_z 0
		.amdhsa_system_sgpr_workgroup_info 0
		.amdhsa_system_vgpr_workitem_id 0
		.amdhsa_next_free_vgpr 1
		.amdhsa_next_free_sgpr 0
		.amdhsa_accum_offset 4
		.amdhsa_reserve_vcc 0
		.amdhsa_reserve_flat_scratch 0
		.amdhsa_float_round_mode_32 0
		.amdhsa_float_round_mode_16_64 0
		.amdhsa_float_denorm_mode_32 3
		.amdhsa_float_denorm_mode_16_64 3
		.amdhsa_dx10_clamp 1
		.amdhsa_ieee_mode 1
		.amdhsa_fp16_overflow 0
		.amdhsa_tg_split 0
		.amdhsa_exception_fp_ieee_invalid_op 0
		.amdhsa_exception_fp_denorm_src 0
		.amdhsa_exception_fp_ieee_div_zero 0
		.amdhsa_exception_fp_ieee_overflow 0
		.amdhsa_exception_fp_ieee_underflow 0
		.amdhsa_exception_fp_ieee_inexact 0
		.amdhsa_exception_int_div_zero 0
	.end_amdhsa_kernel
	.section	.text._ZN7rocprim17ROCPRIM_400000_NS6detail17trampoline_kernelINS0_14default_configENS1_29reduce_by_key_config_selectorIffN6thrust23THRUST_200600_302600_NS4plusIfEEEEZZNS1_33reduce_by_key_impl_wrapped_configILNS1_25lookback_scan_determinismE1ES3_S9_NS6_6detail15normal_iteratorINS6_10device_ptrIfEEEESG_SG_SG_PmS8_22is_equal_div_10_reduceIfEEE10hipError_tPvRmT2_T3_mT4_T5_T6_T7_T8_P12ihipStream_tbENKUlT_T0_E_clISt17integral_constantIbLb0EES10_IbLb1EEEEDaSW_SX_EUlSW_E_NS1_11comp_targetILNS1_3genE2ELNS1_11target_archE906ELNS1_3gpuE6ELNS1_3repE0EEENS1_30default_config_static_selectorELNS0_4arch9wavefront6targetE1EEEvT1_,"axG",@progbits,_ZN7rocprim17ROCPRIM_400000_NS6detail17trampoline_kernelINS0_14default_configENS1_29reduce_by_key_config_selectorIffN6thrust23THRUST_200600_302600_NS4plusIfEEEEZZNS1_33reduce_by_key_impl_wrapped_configILNS1_25lookback_scan_determinismE1ES3_S9_NS6_6detail15normal_iteratorINS6_10device_ptrIfEEEESG_SG_SG_PmS8_22is_equal_div_10_reduceIfEEE10hipError_tPvRmT2_T3_mT4_T5_T6_T7_T8_P12ihipStream_tbENKUlT_T0_E_clISt17integral_constantIbLb0EES10_IbLb1EEEEDaSW_SX_EUlSW_E_NS1_11comp_targetILNS1_3genE2ELNS1_11target_archE906ELNS1_3gpuE6ELNS1_3repE0EEENS1_30default_config_static_selectorELNS0_4arch9wavefront6targetE1EEEvT1_,comdat
.Lfunc_end159:
	.size	_ZN7rocprim17ROCPRIM_400000_NS6detail17trampoline_kernelINS0_14default_configENS1_29reduce_by_key_config_selectorIffN6thrust23THRUST_200600_302600_NS4plusIfEEEEZZNS1_33reduce_by_key_impl_wrapped_configILNS1_25lookback_scan_determinismE1ES3_S9_NS6_6detail15normal_iteratorINS6_10device_ptrIfEEEESG_SG_SG_PmS8_22is_equal_div_10_reduceIfEEE10hipError_tPvRmT2_T3_mT4_T5_T6_T7_T8_P12ihipStream_tbENKUlT_T0_E_clISt17integral_constantIbLb0EES10_IbLb1EEEEDaSW_SX_EUlSW_E_NS1_11comp_targetILNS1_3genE2ELNS1_11target_archE906ELNS1_3gpuE6ELNS1_3repE0EEENS1_30default_config_static_selectorELNS0_4arch9wavefront6targetE1EEEvT1_, .Lfunc_end159-_ZN7rocprim17ROCPRIM_400000_NS6detail17trampoline_kernelINS0_14default_configENS1_29reduce_by_key_config_selectorIffN6thrust23THRUST_200600_302600_NS4plusIfEEEEZZNS1_33reduce_by_key_impl_wrapped_configILNS1_25lookback_scan_determinismE1ES3_S9_NS6_6detail15normal_iteratorINS6_10device_ptrIfEEEESG_SG_SG_PmS8_22is_equal_div_10_reduceIfEEE10hipError_tPvRmT2_T3_mT4_T5_T6_T7_T8_P12ihipStream_tbENKUlT_T0_E_clISt17integral_constantIbLb0EES10_IbLb1EEEEDaSW_SX_EUlSW_E_NS1_11comp_targetILNS1_3genE2ELNS1_11target_archE906ELNS1_3gpuE6ELNS1_3repE0EEENS1_30default_config_static_selectorELNS0_4arch9wavefront6targetE1EEEvT1_
                                        ; -- End function
	.section	.AMDGPU.csdata,"",@progbits
; Kernel info:
; codeLenInByte = 0
; NumSgprs: 4
; NumVgprs: 0
; NumAgprs: 0
; TotalNumVgprs: 0
; ScratchSize: 0
; MemoryBound: 0
; FloatMode: 240
; IeeeMode: 1
; LDSByteSize: 0 bytes/workgroup (compile time only)
; SGPRBlocks: 0
; VGPRBlocks: 0
; NumSGPRsForWavesPerEU: 4
; NumVGPRsForWavesPerEU: 1
; AccumOffset: 4
; Occupancy: 8
; WaveLimiterHint : 0
; COMPUTE_PGM_RSRC2:SCRATCH_EN: 0
; COMPUTE_PGM_RSRC2:USER_SGPR: 6
; COMPUTE_PGM_RSRC2:TRAP_HANDLER: 0
; COMPUTE_PGM_RSRC2:TGID_X_EN: 1
; COMPUTE_PGM_RSRC2:TGID_Y_EN: 0
; COMPUTE_PGM_RSRC2:TGID_Z_EN: 0
; COMPUTE_PGM_RSRC2:TIDIG_COMP_CNT: 0
; COMPUTE_PGM_RSRC3_GFX90A:ACCUM_OFFSET: 0
; COMPUTE_PGM_RSRC3_GFX90A:TG_SPLIT: 0
	.section	.text._ZN7rocprim17ROCPRIM_400000_NS6detail17trampoline_kernelINS0_14default_configENS1_29reduce_by_key_config_selectorIffN6thrust23THRUST_200600_302600_NS4plusIfEEEEZZNS1_33reduce_by_key_impl_wrapped_configILNS1_25lookback_scan_determinismE1ES3_S9_NS6_6detail15normal_iteratorINS6_10device_ptrIfEEEESG_SG_SG_PmS8_22is_equal_div_10_reduceIfEEE10hipError_tPvRmT2_T3_mT4_T5_T6_T7_T8_P12ihipStream_tbENKUlT_T0_E_clISt17integral_constantIbLb0EES10_IbLb1EEEEDaSW_SX_EUlSW_E_NS1_11comp_targetILNS1_3genE10ELNS1_11target_archE1201ELNS1_3gpuE5ELNS1_3repE0EEENS1_30default_config_static_selectorELNS0_4arch9wavefront6targetE1EEEvT1_,"axG",@progbits,_ZN7rocprim17ROCPRIM_400000_NS6detail17trampoline_kernelINS0_14default_configENS1_29reduce_by_key_config_selectorIffN6thrust23THRUST_200600_302600_NS4plusIfEEEEZZNS1_33reduce_by_key_impl_wrapped_configILNS1_25lookback_scan_determinismE1ES3_S9_NS6_6detail15normal_iteratorINS6_10device_ptrIfEEEESG_SG_SG_PmS8_22is_equal_div_10_reduceIfEEE10hipError_tPvRmT2_T3_mT4_T5_T6_T7_T8_P12ihipStream_tbENKUlT_T0_E_clISt17integral_constantIbLb0EES10_IbLb1EEEEDaSW_SX_EUlSW_E_NS1_11comp_targetILNS1_3genE10ELNS1_11target_archE1201ELNS1_3gpuE5ELNS1_3repE0EEENS1_30default_config_static_selectorELNS0_4arch9wavefront6targetE1EEEvT1_,comdat
	.protected	_ZN7rocprim17ROCPRIM_400000_NS6detail17trampoline_kernelINS0_14default_configENS1_29reduce_by_key_config_selectorIffN6thrust23THRUST_200600_302600_NS4plusIfEEEEZZNS1_33reduce_by_key_impl_wrapped_configILNS1_25lookback_scan_determinismE1ES3_S9_NS6_6detail15normal_iteratorINS6_10device_ptrIfEEEESG_SG_SG_PmS8_22is_equal_div_10_reduceIfEEE10hipError_tPvRmT2_T3_mT4_T5_T6_T7_T8_P12ihipStream_tbENKUlT_T0_E_clISt17integral_constantIbLb0EES10_IbLb1EEEEDaSW_SX_EUlSW_E_NS1_11comp_targetILNS1_3genE10ELNS1_11target_archE1201ELNS1_3gpuE5ELNS1_3repE0EEENS1_30default_config_static_selectorELNS0_4arch9wavefront6targetE1EEEvT1_ ; -- Begin function _ZN7rocprim17ROCPRIM_400000_NS6detail17trampoline_kernelINS0_14default_configENS1_29reduce_by_key_config_selectorIffN6thrust23THRUST_200600_302600_NS4plusIfEEEEZZNS1_33reduce_by_key_impl_wrapped_configILNS1_25lookback_scan_determinismE1ES3_S9_NS6_6detail15normal_iteratorINS6_10device_ptrIfEEEESG_SG_SG_PmS8_22is_equal_div_10_reduceIfEEE10hipError_tPvRmT2_T3_mT4_T5_T6_T7_T8_P12ihipStream_tbENKUlT_T0_E_clISt17integral_constantIbLb0EES10_IbLb1EEEEDaSW_SX_EUlSW_E_NS1_11comp_targetILNS1_3genE10ELNS1_11target_archE1201ELNS1_3gpuE5ELNS1_3repE0EEENS1_30default_config_static_selectorELNS0_4arch9wavefront6targetE1EEEvT1_
	.globl	_ZN7rocprim17ROCPRIM_400000_NS6detail17trampoline_kernelINS0_14default_configENS1_29reduce_by_key_config_selectorIffN6thrust23THRUST_200600_302600_NS4plusIfEEEEZZNS1_33reduce_by_key_impl_wrapped_configILNS1_25lookback_scan_determinismE1ES3_S9_NS6_6detail15normal_iteratorINS6_10device_ptrIfEEEESG_SG_SG_PmS8_22is_equal_div_10_reduceIfEEE10hipError_tPvRmT2_T3_mT4_T5_T6_T7_T8_P12ihipStream_tbENKUlT_T0_E_clISt17integral_constantIbLb0EES10_IbLb1EEEEDaSW_SX_EUlSW_E_NS1_11comp_targetILNS1_3genE10ELNS1_11target_archE1201ELNS1_3gpuE5ELNS1_3repE0EEENS1_30default_config_static_selectorELNS0_4arch9wavefront6targetE1EEEvT1_
	.p2align	8
	.type	_ZN7rocprim17ROCPRIM_400000_NS6detail17trampoline_kernelINS0_14default_configENS1_29reduce_by_key_config_selectorIffN6thrust23THRUST_200600_302600_NS4plusIfEEEEZZNS1_33reduce_by_key_impl_wrapped_configILNS1_25lookback_scan_determinismE1ES3_S9_NS6_6detail15normal_iteratorINS6_10device_ptrIfEEEESG_SG_SG_PmS8_22is_equal_div_10_reduceIfEEE10hipError_tPvRmT2_T3_mT4_T5_T6_T7_T8_P12ihipStream_tbENKUlT_T0_E_clISt17integral_constantIbLb0EES10_IbLb1EEEEDaSW_SX_EUlSW_E_NS1_11comp_targetILNS1_3genE10ELNS1_11target_archE1201ELNS1_3gpuE5ELNS1_3repE0EEENS1_30default_config_static_selectorELNS0_4arch9wavefront6targetE1EEEvT1_,@function
_ZN7rocprim17ROCPRIM_400000_NS6detail17trampoline_kernelINS0_14default_configENS1_29reduce_by_key_config_selectorIffN6thrust23THRUST_200600_302600_NS4plusIfEEEEZZNS1_33reduce_by_key_impl_wrapped_configILNS1_25lookback_scan_determinismE1ES3_S9_NS6_6detail15normal_iteratorINS6_10device_ptrIfEEEESG_SG_SG_PmS8_22is_equal_div_10_reduceIfEEE10hipError_tPvRmT2_T3_mT4_T5_T6_T7_T8_P12ihipStream_tbENKUlT_T0_E_clISt17integral_constantIbLb0EES10_IbLb1EEEEDaSW_SX_EUlSW_E_NS1_11comp_targetILNS1_3genE10ELNS1_11target_archE1201ELNS1_3gpuE5ELNS1_3repE0EEENS1_30default_config_static_selectorELNS0_4arch9wavefront6targetE1EEEvT1_: ; @_ZN7rocprim17ROCPRIM_400000_NS6detail17trampoline_kernelINS0_14default_configENS1_29reduce_by_key_config_selectorIffN6thrust23THRUST_200600_302600_NS4plusIfEEEEZZNS1_33reduce_by_key_impl_wrapped_configILNS1_25lookback_scan_determinismE1ES3_S9_NS6_6detail15normal_iteratorINS6_10device_ptrIfEEEESG_SG_SG_PmS8_22is_equal_div_10_reduceIfEEE10hipError_tPvRmT2_T3_mT4_T5_T6_T7_T8_P12ihipStream_tbENKUlT_T0_E_clISt17integral_constantIbLb0EES10_IbLb1EEEEDaSW_SX_EUlSW_E_NS1_11comp_targetILNS1_3genE10ELNS1_11target_archE1201ELNS1_3gpuE5ELNS1_3repE0EEENS1_30default_config_static_selectorELNS0_4arch9wavefront6targetE1EEEvT1_
; %bb.0:
	.section	.rodata,"a",@progbits
	.p2align	6, 0x0
	.amdhsa_kernel _ZN7rocprim17ROCPRIM_400000_NS6detail17trampoline_kernelINS0_14default_configENS1_29reduce_by_key_config_selectorIffN6thrust23THRUST_200600_302600_NS4plusIfEEEEZZNS1_33reduce_by_key_impl_wrapped_configILNS1_25lookback_scan_determinismE1ES3_S9_NS6_6detail15normal_iteratorINS6_10device_ptrIfEEEESG_SG_SG_PmS8_22is_equal_div_10_reduceIfEEE10hipError_tPvRmT2_T3_mT4_T5_T6_T7_T8_P12ihipStream_tbENKUlT_T0_E_clISt17integral_constantIbLb0EES10_IbLb1EEEEDaSW_SX_EUlSW_E_NS1_11comp_targetILNS1_3genE10ELNS1_11target_archE1201ELNS1_3gpuE5ELNS1_3repE0EEENS1_30default_config_static_selectorELNS0_4arch9wavefront6targetE1EEEvT1_
		.amdhsa_group_segment_fixed_size 0
		.amdhsa_private_segment_fixed_size 0
		.amdhsa_kernarg_size 120
		.amdhsa_user_sgpr_count 6
		.amdhsa_user_sgpr_private_segment_buffer 1
		.amdhsa_user_sgpr_dispatch_ptr 0
		.amdhsa_user_sgpr_queue_ptr 0
		.amdhsa_user_sgpr_kernarg_segment_ptr 1
		.amdhsa_user_sgpr_dispatch_id 0
		.amdhsa_user_sgpr_flat_scratch_init 0
		.amdhsa_user_sgpr_kernarg_preload_length 0
		.amdhsa_user_sgpr_kernarg_preload_offset 0
		.amdhsa_user_sgpr_private_segment_size 0
		.amdhsa_uses_dynamic_stack 0
		.amdhsa_system_sgpr_private_segment_wavefront_offset 0
		.amdhsa_system_sgpr_workgroup_id_x 1
		.amdhsa_system_sgpr_workgroup_id_y 0
		.amdhsa_system_sgpr_workgroup_id_z 0
		.amdhsa_system_sgpr_workgroup_info 0
		.amdhsa_system_vgpr_workitem_id 0
		.amdhsa_next_free_vgpr 1
		.amdhsa_next_free_sgpr 0
		.amdhsa_accum_offset 4
		.amdhsa_reserve_vcc 0
		.amdhsa_reserve_flat_scratch 0
		.amdhsa_float_round_mode_32 0
		.amdhsa_float_round_mode_16_64 0
		.amdhsa_float_denorm_mode_32 3
		.amdhsa_float_denorm_mode_16_64 3
		.amdhsa_dx10_clamp 1
		.amdhsa_ieee_mode 1
		.amdhsa_fp16_overflow 0
		.amdhsa_tg_split 0
		.amdhsa_exception_fp_ieee_invalid_op 0
		.amdhsa_exception_fp_denorm_src 0
		.amdhsa_exception_fp_ieee_div_zero 0
		.amdhsa_exception_fp_ieee_overflow 0
		.amdhsa_exception_fp_ieee_underflow 0
		.amdhsa_exception_fp_ieee_inexact 0
		.amdhsa_exception_int_div_zero 0
	.end_amdhsa_kernel
	.section	.text._ZN7rocprim17ROCPRIM_400000_NS6detail17trampoline_kernelINS0_14default_configENS1_29reduce_by_key_config_selectorIffN6thrust23THRUST_200600_302600_NS4plusIfEEEEZZNS1_33reduce_by_key_impl_wrapped_configILNS1_25lookback_scan_determinismE1ES3_S9_NS6_6detail15normal_iteratorINS6_10device_ptrIfEEEESG_SG_SG_PmS8_22is_equal_div_10_reduceIfEEE10hipError_tPvRmT2_T3_mT4_T5_T6_T7_T8_P12ihipStream_tbENKUlT_T0_E_clISt17integral_constantIbLb0EES10_IbLb1EEEEDaSW_SX_EUlSW_E_NS1_11comp_targetILNS1_3genE10ELNS1_11target_archE1201ELNS1_3gpuE5ELNS1_3repE0EEENS1_30default_config_static_selectorELNS0_4arch9wavefront6targetE1EEEvT1_,"axG",@progbits,_ZN7rocprim17ROCPRIM_400000_NS6detail17trampoline_kernelINS0_14default_configENS1_29reduce_by_key_config_selectorIffN6thrust23THRUST_200600_302600_NS4plusIfEEEEZZNS1_33reduce_by_key_impl_wrapped_configILNS1_25lookback_scan_determinismE1ES3_S9_NS6_6detail15normal_iteratorINS6_10device_ptrIfEEEESG_SG_SG_PmS8_22is_equal_div_10_reduceIfEEE10hipError_tPvRmT2_T3_mT4_T5_T6_T7_T8_P12ihipStream_tbENKUlT_T0_E_clISt17integral_constantIbLb0EES10_IbLb1EEEEDaSW_SX_EUlSW_E_NS1_11comp_targetILNS1_3genE10ELNS1_11target_archE1201ELNS1_3gpuE5ELNS1_3repE0EEENS1_30default_config_static_selectorELNS0_4arch9wavefront6targetE1EEEvT1_,comdat
.Lfunc_end160:
	.size	_ZN7rocprim17ROCPRIM_400000_NS6detail17trampoline_kernelINS0_14default_configENS1_29reduce_by_key_config_selectorIffN6thrust23THRUST_200600_302600_NS4plusIfEEEEZZNS1_33reduce_by_key_impl_wrapped_configILNS1_25lookback_scan_determinismE1ES3_S9_NS6_6detail15normal_iteratorINS6_10device_ptrIfEEEESG_SG_SG_PmS8_22is_equal_div_10_reduceIfEEE10hipError_tPvRmT2_T3_mT4_T5_T6_T7_T8_P12ihipStream_tbENKUlT_T0_E_clISt17integral_constantIbLb0EES10_IbLb1EEEEDaSW_SX_EUlSW_E_NS1_11comp_targetILNS1_3genE10ELNS1_11target_archE1201ELNS1_3gpuE5ELNS1_3repE0EEENS1_30default_config_static_selectorELNS0_4arch9wavefront6targetE1EEEvT1_, .Lfunc_end160-_ZN7rocprim17ROCPRIM_400000_NS6detail17trampoline_kernelINS0_14default_configENS1_29reduce_by_key_config_selectorIffN6thrust23THRUST_200600_302600_NS4plusIfEEEEZZNS1_33reduce_by_key_impl_wrapped_configILNS1_25lookback_scan_determinismE1ES3_S9_NS6_6detail15normal_iteratorINS6_10device_ptrIfEEEESG_SG_SG_PmS8_22is_equal_div_10_reduceIfEEE10hipError_tPvRmT2_T3_mT4_T5_T6_T7_T8_P12ihipStream_tbENKUlT_T0_E_clISt17integral_constantIbLb0EES10_IbLb1EEEEDaSW_SX_EUlSW_E_NS1_11comp_targetILNS1_3genE10ELNS1_11target_archE1201ELNS1_3gpuE5ELNS1_3repE0EEENS1_30default_config_static_selectorELNS0_4arch9wavefront6targetE1EEEvT1_
                                        ; -- End function
	.section	.AMDGPU.csdata,"",@progbits
; Kernel info:
; codeLenInByte = 0
; NumSgprs: 4
; NumVgprs: 0
; NumAgprs: 0
; TotalNumVgprs: 0
; ScratchSize: 0
; MemoryBound: 0
; FloatMode: 240
; IeeeMode: 1
; LDSByteSize: 0 bytes/workgroup (compile time only)
; SGPRBlocks: 0
; VGPRBlocks: 0
; NumSGPRsForWavesPerEU: 4
; NumVGPRsForWavesPerEU: 1
; AccumOffset: 4
; Occupancy: 8
; WaveLimiterHint : 0
; COMPUTE_PGM_RSRC2:SCRATCH_EN: 0
; COMPUTE_PGM_RSRC2:USER_SGPR: 6
; COMPUTE_PGM_RSRC2:TRAP_HANDLER: 0
; COMPUTE_PGM_RSRC2:TGID_X_EN: 1
; COMPUTE_PGM_RSRC2:TGID_Y_EN: 0
; COMPUTE_PGM_RSRC2:TGID_Z_EN: 0
; COMPUTE_PGM_RSRC2:TIDIG_COMP_CNT: 0
; COMPUTE_PGM_RSRC3_GFX90A:ACCUM_OFFSET: 0
; COMPUTE_PGM_RSRC3_GFX90A:TG_SPLIT: 0
	.section	.text._ZN7rocprim17ROCPRIM_400000_NS6detail17trampoline_kernelINS0_14default_configENS1_29reduce_by_key_config_selectorIffN6thrust23THRUST_200600_302600_NS4plusIfEEEEZZNS1_33reduce_by_key_impl_wrapped_configILNS1_25lookback_scan_determinismE1ES3_S9_NS6_6detail15normal_iteratorINS6_10device_ptrIfEEEESG_SG_SG_PmS8_22is_equal_div_10_reduceIfEEE10hipError_tPvRmT2_T3_mT4_T5_T6_T7_T8_P12ihipStream_tbENKUlT_T0_E_clISt17integral_constantIbLb0EES10_IbLb1EEEEDaSW_SX_EUlSW_E_NS1_11comp_targetILNS1_3genE10ELNS1_11target_archE1200ELNS1_3gpuE4ELNS1_3repE0EEENS1_30default_config_static_selectorELNS0_4arch9wavefront6targetE1EEEvT1_,"axG",@progbits,_ZN7rocprim17ROCPRIM_400000_NS6detail17trampoline_kernelINS0_14default_configENS1_29reduce_by_key_config_selectorIffN6thrust23THRUST_200600_302600_NS4plusIfEEEEZZNS1_33reduce_by_key_impl_wrapped_configILNS1_25lookback_scan_determinismE1ES3_S9_NS6_6detail15normal_iteratorINS6_10device_ptrIfEEEESG_SG_SG_PmS8_22is_equal_div_10_reduceIfEEE10hipError_tPvRmT2_T3_mT4_T5_T6_T7_T8_P12ihipStream_tbENKUlT_T0_E_clISt17integral_constantIbLb0EES10_IbLb1EEEEDaSW_SX_EUlSW_E_NS1_11comp_targetILNS1_3genE10ELNS1_11target_archE1200ELNS1_3gpuE4ELNS1_3repE0EEENS1_30default_config_static_selectorELNS0_4arch9wavefront6targetE1EEEvT1_,comdat
	.protected	_ZN7rocprim17ROCPRIM_400000_NS6detail17trampoline_kernelINS0_14default_configENS1_29reduce_by_key_config_selectorIffN6thrust23THRUST_200600_302600_NS4plusIfEEEEZZNS1_33reduce_by_key_impl_wrapped_configILNS1_25lookback_scan_determinismE1ES3_S9_NS6_6detail15normal_iteratorINS6_10device_ptrIfEEEESG_SG_SG_PmS8_22is_equal_div_10_reduceIfEEE10hipError_tPvRmT2_T3_mT4_T5_T6_T7_T8_P12ihipStream_tbENKUlT_T0_E_clISt17integral_constantIbLb0EES10_IbLb1EEEEDaSW_SX_EUlSW_E_NS1_11comp_targetILNS1_3genE10ELNS1_11target_archE1200ELNS1_3gpuE4ELNS1_3repE0EEENS1_30default_config_static_selectorELNS0_4arch9wavefront6targetE1EEEvT1_ ; -- Begin function _ZN7rocprim17ROCPRIM_400000_NS6detail17trampoline_kernelINS0_14default_configENS1_29reduce_by_key_config_selectorIffN6thrust23THRUST_200600_302600_NS4plusIfEEEEZZNS1_33reduce_by_key_impl_wrapped_configILNS1_25lookback_scan_determinismE1ES3_S9_NS6_6detail15normal_iteratorINS6_10device_ptrIfEEEESG_SG_SG_PmS8_22is_equal_div_10_reduceIfEEE10hipError_tPvRmT2_T3_mT4_T5_T6_T7_T8_P12ihipStream_tbENKUlT_T0_E_clISt17integral_constantIbLb0EES10_IbLb1EEEEDaSW_SX_EUlSW_E_NS1_11comp_targetILNS1_3genE10ELNS1_11target_archE1200ELNS1_3gpuE4ELNS1_3repE0EEENS1_30default_config_static_selectorELNS0_4arch9wavefront6targetE1EEEvT1_
	.globl	_ZN7rocprim17ROCPRIM_400000_NS6detail17trampoline_kernelINS0_14default_configENS1_29reduce_by_key_config_selectorIffN6thrust23THRUST_200600_302600_NS4plusIfEEEEZZNS1_33reduce_by_key_impl_wrapped_configILNS1_25lookback_scan_determinismE1ES3_S9_NS6_6detail15normal_iteratorINS6_10device_ptrIfEEEESG_SG_SG_PmS8_22is_equal_div_10_reduceIfEEE10hipError_tPvRmT2_T3_mT4_T5_T6_T7_T8_P12ihipStream_tbENKUlT_T0_E_clISt17integral_constantIbLb0EES10_IbLb1EEEEDaSW_SX_EUlSW_E_NS1_11comp_targetILNS1_3genE10ELNS1_11target_archE1200ELNS1_3gpuE4ELNS1_3repE0EEENS1_30default_config_static_selectorELNS0_4arch9wavefront6targetE1EEEvT1_
	.p2align	8
	.type	_ZN7rocprim17ROCPRIM_400000_NS6detail17trampoline_kernelINS0_14default_configENS1_29reduce_by_key_config_selectorIffN6thrust23THRUST_200600_302600_NS4plusIfEEEEZZNS1_33reduce_by_key_impl_wrapped_configILNS1_25lookback_scan_determinismE1ES3_S9_NS6_6detail15normal_iteratorINS6_10device_ptrIfEEEESG_SG_SG_PmS8_22is_equal_div_10_reduceIfEEE10hipError_tPvRmT2_T3_mT4_T5_T6_T7_T8_P12ihipStream_tbENKUlT_T0_E_clISt17integral_constantIbLb0EES10_IbLb1EEEEDaSW_SX_EUlSW_E_NS1_11comp_targetILNS1_3genE10ELNS1_11target_archE1200ELNS1_3gpuE4ELNS1_3repE0EEENS1_30default_config_static_selectorELNS0_4arch9wavefront6targetE1EEEvT1_,@function
_ZN7rocprim17ROCPRIM_400000_NS6detail17trampoline_kernelINS0_14default_configENS1_29reduce_by_key_config_selectorIffN6thrust23THRUST_200600_302600_NS4plusIfEEEEZZNS1_33reduce_by_key_impl_wrapped_configILNS1_25lookback_scan_determinismE1ES3_S9_NS6_6detail15normal_iteratorINS6_10device_ptrIfEEEESG_SG_SG_PmS8_22is_equal_div_10_reduceIfEEE10hipError_tPvRmT2_T3_mT4_T5_T6_T7_T8_P12ihipStream_tbENKUlT_T0_E_clISt17integral_constantIbLb0EES10_IbLb1EEEEDaSW_SX_EUlSW_E_NS1_11comp_targetILNS1_3genE10ELNS1_11target_archE1200ELNS1_3gpuE4ELNS1_3repE0EEENS1_30default_config_static_selectorELNS0_4arch9wavefront6targetE1EEEvT1_: ; @_ZN7rocprim17ROCPRIM_400000_NS6detail17trampoline_kernelINS0_14default_configENS1_29reduce_by_key_config_selectorIffN6thrust23THRUST_200600_302600_NS4plusIfEEEEZZNS1_33reduce_by_key_impl_wrapped_configILNS1_25lookback_scan_determinismE1ES3_S9_NS6_6detail15normal_iteratorINS6_10device_ptrIfEEEESG_SG_SG_PmS8_22is_equal_div_10_reduceIfEEE10hipError_tPvRmT2_T3_mT4_T5_T6_T7_T8_P12ihipStream_tbENKUlT_T0_E_clISt17integral_constantIbLb0EES10_IbLb1EEEEDaSW_SX_EUlSW_E_NS1_11comp_targetILNS1_3genE10ELNS1_11target_archE1200ELNS1_3gpuE4ELNS1_3repE0EEENS1_30default_config_static_selectorELNS0_4arch9wavefront6targetE1EEEvT1_
; %bb.0:
	.section	.rodata,"a",@progbits
	.p2align	6, 0x0
	.amdhsa_kernel _ZN7rocprim17ROCPRIM_400000_NS6detail17trampoline_kernelINS0_14default_configENS1_29reduce_by_key_config_selectorIffN6thrust23THRUST_200600_302600_NS4plusIfEEEEZZNS1_33reduce_by_key_impl_wrapped_configILNS1_25lookback_scan_determinismE1ES3_S9_NS6_6detail15normal_iteratorINS6_10device_ptrIfEEEESG_SG_SG_PmS8_22is_equal_div_10_reduceIfEEE10hipError_tPvRmT2_T3_mT4_T5_T6_T7_T8_P12ihipStream_tbENKUlT_T0_E_clISt17integral_constantIbLb0EES10_IbLb1EEEEDaSW_SX_EUlSW_E_NS1_11comp_targetILNS1_3genE10ELNS1_11target_archE1200ELNS1_3gpuE4ELNS1_3repE0EEENS1_30default_config_static_selectorELNS0_4arch9wavefront6targetE1EEEvT1_
		.amdhsa_group_segment_fixed_size 0
		.amdhsa_private_segment_fixed_size 0
		.amdhsa_kernarg_size 120
		.amdhsa_user_sgpr_count 6
		.amdhsa_user_sgpr_private_segment_buffer 1
		.amdhsa_user_sgpr_dispatch_ptr 0
		.amdhsa_user_sgpr_queue_ptr 0
		.amdhsa_user_sgpr_kernarg_segment_ptr 1
		.amdhsa_user_sgpr_dispatch_id 0
		.amdhsa_user_sgpr_flat_scratch_init 0
		.amdhsa_user_sgpr_kernarg_preload_length 0
		.amdhsa_user_sgpr_kernarg_preload_offset 0
		.amdhsa_user_sgpr_private_segment_size 0
		.amdhsa_uses_dynamic_stack 0
		.amdhsa_system_sgpr_private_segment_wavefront_offset 0
		.amdhsa_system_sgpr_workgroup_id_x 1
		.amdhsa_system_sgpr_workgroup_id_y 0
		.amdhsa_system_sgpr_workgroup_id_z 0
		.amdhsa_system_sgpr_workgroup_info 0
		.amdhsa_system_vgpr_workitem_id 0
		.amdhsa_next_free_vgpr 1
		.amdhsa_next_free_sgpr 0
		.amdhsa_accum_offset 4
		.amdhsa_reserve_vcc 0
		.amdhsa_reserve_flat_scratch 0
		.amdhsa_float_round_mode_32 0
		.amdhsa_float_round_mode_16_64 0
		.amdhsa_float_denorm_mode_32 3
		.amdhsa_float_denorm_mode_16_64 3
		.amdhsa_dx10_clamp 1
		.amdhsa_ieee_mode 1
		.amdhsa_fp16_overflow 0
		.amdhsa_tg_split 0
		.amdhsa_exception_fp_ieee_invalid_op 0
		.amdhsa_exception_fp_denorm_src 0
		.amdhsa_exception_fp_ieee_div_zero 0
		.amdhsa_exception_fp_ieee_overflow 0
		.amdhsa_exception_fp_ieee_underflow 0
		.amdhsa_exception_fp_ieee_inexact 0
		.amdhsa_exception_int_div_zero 0
	.end_amdhsa_kernel
	.section	.text._ZN7rocprim17ROCPRIM_400000_NS6detail17trampoline_kernelINS0_14default_configENS1_29reduce_by_key_config_selectorIffN6thrust23THRUST_200600_302600_NS4plusIfEEEEZZNS1_33reduce_by_key_impl_wrapped_configILNS1_25lookback_scan_determinismE1ES3_S9_NS6_6detail15normal_iteratorINS6_10device_ptrIfEEEESG_SG_SG_PmS8_22is_equal_div_10_reduceIfEEE10hipError_tPvRmT2_T3_mT4_T5_T6_T7_T8_P12ihipStream_tbENKUlT_T0_E_clISt17integral_constantIbLb0EES10_IbLb1EEEEDaSW_SX_EUlSW_E_NS1_11comp_targetILNS1_3genE10ELNS1_11target_archE1200ELNS1_3gpuE4ELNS1_3repE0EEENS1_30default_config_static_selectorELNS0_4arch9wavefront6targetE1EEEvT1_,"axG",@progbits,_ZN7rocprim17ROCPRIM_400000_NS6detail17trampoline_kernelINS0_14default_configENS1_29reduce_by_key_config_selectorIffN6thrust23THRUST_200600_302600_NS4plusIfEEEEZZNS1_33reduce_by_key_impl_wrapped_configILNS1_25lookback_scan_determinismE1ES3_S9_NS6_6detail15normal_iteratorINS6_10device_ptrIfEEEESG_SG_SG_PmS8_22is_equal_div_10_reduceIfEEE10hipError_tPvRmT2_T3_mT4_T5_T6_T7_T8_P12ihipStream_tbENKUlT_T0_E_clISt17integral_constantIbLb0EES10_IbLb1EEEEDaSW_SX_EUlSW_E_NS1_11comp_targetILNS1_3genE10ELNS1_11target_archE1200ELNS1_3gpuE4ELNS1_3repE0EEENS1_30default_config_static_selectorELNS0_4arch9wavefront6targetE1EEEvT1_,comdat
.Lfunc_end161:
	.size	_ZN7rocprim17ROCPRIM_400000_NS6detail17trampoline_kernelINS0_14default_configENS1_29reduce_by_key_config_selectorIffN6thrust23THRUST_200600_302600_NS4plusIfEEEEZZNS1_33reduce_by_key_impl_wrapped_configILNS1_25lookback_scan_determinismE1ES3_S9_NS6_6detail15normal_iteratorINS6_10device_ptrIfEEEESG_SG_SG_PmS8_22is_equal_div_10_reduceIfEEE10hipError_tPvRmT2_T3_mT4_T5_T6_T7_T8_P12ihipStream_tbENKUlT_T0_E_clISt17integral_constantIbLb0EES10_IbLb1EEEEDaSW_SX_EUlSW_E_NS1_11comp_targetILNS1_3genE10ELNS1_11target_archE1200ELNS1_3gpuE4ELNS1_3repE0EEENS1_30default_config_static_selectorELNS0_4arch9wavefront6targetE1EEEvT1_, .Lfunc_end161-_ZN7rocprim17ROCPRIM_400000_NS6detail17trampoline_kernelINS0_14default_configENS1_29reduce_by_key_config_selectorIffN6thrust23THRUST_200600_302600_NS4plusIfEEEEZZNS1_33reduce_by_key_impl_wrapped_configILNS1_25lookback_scan_determinismE1ES3_S9_NS6_6detail15normal_iteratorINS6_10device_ptrIfEEEESG_SG_SG_PmS8_22is_equal_div_10_reduceIfEEE10hipError_tPvRmT2_T3_mT4_T5_T6_T7_T8_P12ihipStream_tbENKUlT_T0_E_clISt17integral_constantIbLb0EES10_IbLb1EEEEDaSW_SX_EUlSW_E_NS1_11comp_targetILNS1_3genE10ELNS1_11target_archE1200ELNS1_3gpuE4ELNS1_3repE0EEENS1_30default_config_static_selectorELNS0_4arch9wavefront6targetE1EEEvT1_
                                        ; -- End function
	.section	.AMDGPU.csdata,"",@progbits
; Kernel info:
; codeLenInByte = 0
; NumSgprs: 4
; NumVgprs: 0
; NumAgprs: 0
; TotalNumVgprs: 0
; ScratchSize: 0
; MemoryBound: 0
; FloatMode: 240
; IeeeMode: 1
; LDSByteSize: 0 bytes/workgroup (compile time only)
; SGPRBlocks: 0
; VGPRBlocks: 0
; NumSGPRsForWavesPerEU: 4
; NumVGPRsForWavesPerEU: 1
; AccumOffset: 4
; Occupancy: 8
; WaveLimiterHint : 0
; COMPUTE_PGM_RSRC2:SCRATCH_EN: 0
; COMPUTE_PGM_RSRC2:USER_SGPR: 6
; COMPUTE_PGM_RSRC2:TRAP_HANDLER: 0
; COMPUTE_PGM_RSRC2:TGID_X_EN: 1
; COMPUTE_PGM_RSRC2:TGID_Y_EN: 0
; COMPUTE_PGM_RSRC2:TGID_Z_EN: 0
; COMPUTE_PGM_RSRC2:TIDIG_COMP_CNT: 0
; COMPUTE_PGM_RSRC3_GFX90A:ACCUM_OFFSET: 0
; COMPUTE_PGM_RSRC3_GFX90A:TG_SPLIT: 0
	.section	.text._ZN7rocprim17ROCPRIM_400000_NS6detail17trampoline_kernelINS0_14default_configENS1_29reduce_by_key_config_selectorIffN6thrust23THRUST_200600_302600_NS4plusIfEEEEZZNS1_33reduce_by_key_impl_wrapped_configILNS1_25lookback_scan_determinismE1ES3_S9_NS6_6detail15normal_iteratorINS6_10device_ptrIfEEEESG_SG_SG_PmS8_22is_equal_div_10_reduceIfEEE10hipError_tPvRmT2_T3_mT4_T5_T6_T7_T8_P12ihipStream_tbENKUlT_T0_E_clISt17integral_constantIbLb0EES10_IbLb1EEEEDaSW_SX_EUlSW_E_NS1_11comp_targetILNS1_3genE9ELNS1_11target_archE1100ELNS1_3gpuE3ELNS1_3repE0EEENS1_30default_config_static_selectorELNS0_4arch9wavefront6targetE1EEEvT1_,"axG",@progbits,_ZN7rocprim17ROCPRIM_400000_NS6detail17trampoline_kernelINS0_14default_configENS1_29reduce_by_key_config_selectorIffN6thrust23THRUST_200600_302600_NS4plusIfEEEEZZNS1_33reduce_by_key_impl_wrapped_configILNS1_25lookback_scan_determinismE1ES3_S9_NS6_6detail15normal_iteratorINS6_10device_ptrIfEEEESG_SG_SG_PmS8_22is_equal_div_10_reduceIfEEE10hipError_tPvRmT2_T3_mT4_T5_T6_T7_T8_P12ihipStream_tbENKUlT_T0_E_clISt17integral_constantIbLb0EES10_IbLb1EEEEDaSW_SX_EUlSW_E_NS1_11comp_targetILNS1_3genE9ELNS1_11target_archE1100ELNS1_3gpuE3ELNS1_3repE0EEENS1_30default_config_static_selectorELNS0_4arch9wavefront6targetE1EEEvT1_,comdat
	.protected	_ZN7rocprim17ROCPRIM_400000_NS6detail17trampoline_kernelINS0_14default_configENS1_29reduce_by_key_config_selectorIffN6thrust23THRUST_200600_302600_NS4plusIfEEEEZZNS1_33reduce_by_key_impl_wrapped_configILNS1_25lookback_scan_determinismE1ES3_S9_NS6_6detail15normal_iteratorINS6_10device_ptrIfEEEESG_SG_SG_PmS8_22is_equal_div_10_reduceIfEEE10hipError_tPvRmT2_T3_mT4_T5_T6_T7_T8_P12ihipStream_tbENKUlT_T0_E_clISt17integral_constantIbLb0EES10_IbLb1EEEEDaSW_SX_EUlSW_E_NS1_11comp_targetILNS1_3genE9ELNS1_11target_archE1100ELNS1_3gpuE3ELNS1_3repE0EEENS1_30default_config_static_selectorELNS0_4arch9wavefront6targetE1EEEvT1_ ; -- Begin function _ZN7rocprim17ROCPRIM_400000_NS6detail17trampoline_kernelINS0_14default_configENS1_29reduce_by_key_config_selectorIffN6thrust23THRUST_200600_302600_NS4plusIfEEEEZZNS1_33reduce_by_key_impl_wrapped_configILNS1_25lookback_scan_determinismE1ES3_S9_NS6_6detail15normal_iteratorINS6_10device_ptrIfEEEESG_SG_SG_PmS8_22is_equal_div_10_reduceIfEEE10hipError_tPvRmT2_T3_mT4_T5_T6_T7_T8_P12ihipStream_tbENKUlT_T0_E_clISt17integral_constantIbLb0EES10_IbLb1EEEEDaSW_SX_EUlSW_E_NS1_11comp_targetILNS1_3genE9ELNS1_11target_archE1100ELNS1_3gpuE3ELNS1_3repE0EEENS1_30default_config_static_selectorELNS0_4arch9wavefront6targetE1EEEvT1_
	.globl	_ZN7rocprim17ROCPRIM_400000_NS6detail17trampoline_kernelINS0_14default_configENS1_29reduce_by_key_config_selectorIffN6thrust23THRUST_200600_302600_NS4plusIfEEEEZZNS1_33reduce_by_key_impl_wrapped_configILNS1_25lookback_scan_determinismE1ES3_S9_NS6_6detail15normal_iteratorINS6_10device_ptrIfEEEESG_SG_SG_PmS8_22is_equal_div_10_reduceIfEEE10hipError_tPvRmT2_T3_mT4_T5_T6_T7_T8_P12ihipStream_tbENKUlT_T0_E_clISt17integral_constantIbLb0EES10_IbLb1EEEEDaSW_SX_EUlSW_E_NS1_11comp_targetILNS1_3genE9ELNS1_11target_archE1100ELNS1_3gpuE3ELNS1_3repE0EEENS1_30default_config_static_selectorELNS0_4arch9wavefront6targetE1EEEvT1_
	.p2align	8
	.type	_ZN7rocprim17ROCPRIM_400000_NS6detail17trampoline_kernelINS0_14default_configENS1_29reduce_by_key_config_selectorIffN6thrust23THRUST_200600_302600_NS4plusIfEEEEZZNS1_33reduce_by_key_impl_wrapped_configILNS1_25lookback_scan_determinismE1ES3_S9_NS6_6detail15normal_iteratorINS6_10device_ptrIfEEEESG_SG_SG_PmS8_22is_equal_div_10_reduceIfEEE10hipError_tPvRmT2_T3_mT4_T5_T6_T7_T8_P12ihipStream_tbENKUlT_T0_E_clISt17integral_constantIbLb0EES10_IbLb1EEEEDaSW_SX_EUlSW_E_NS1_11comp_targetILNS1_3genE9ELNS1_11target_archE1100ELNS1_3gpuE3ELNS1_3repE0EEENS1_30default_config_static_selectorELNS0_4arch9wavefront6targetE1EEEvT1_,@function
_ZN7rocprim17ROCPRIM_400000_NS6detail17trampoline_kernelINS0_14default_configENS1_29reduce_by_key_config_selectorIffN6thrust23THRUST_200600_302600_NS4plusIfEEEEZZNS1_33reduce_by_key_impl_wrapped_configILNS1_25lookback_scan_determinismE1ES3_S9_NS6_6detail15normal_iteratorINS6_10device_ptrIfEEEESG_SG_SG_PmS8_22is_equal_div_10_reduceIfEEE10hipError_tPvRmT2_T3_mT4_T5_T6_T7_T8_P12ihipStream_tbENKUlT_T0_E_clISt17integral_constantIbLb0EES10_IbLb1EEEEDaSW_SX_EUlSW_E_NS1_11comp_targetILNS1_3genE9ELNS1_11target_archE1100ELNS1_3gpuE3ELNS1_3repE0EEENS1_30default_config_static_selectorELNS0_4arch9wavefront6targetE1EEEvT1_: ; @_ZN7rocprim17ROCPRIM_400000_NS6detail17trampoline_kernelINS0_14default_configENS1_29reduce_by_key_config_selectorIffN6thrust23THRUST_200600_302600_NS4plusIfEEEEZZNS1_33reduce_by_key_impl_wrapped_configILNS1_25lookback_scan_determinismE1ES3_S9_NS6_6detail15normal_iteratorINS6_10device_ptrIfEEEESG_SG_SG_PmS8_22is_equal_div_10_reduceIfEEE10hipError_tPvRmT2_T3_mT4_T5_T6_T7_T8_P12ihipStream_tbENKUlT_T0_E_clISt17integral_constantIbLb0EES10_IbLb1EEEEDaSW_SX_EUlSW_E_NS1_11comp_targetILNS1_3genE9ELNS1_11target_archE1100ELNS1_3gpuE3ELNS1_3repE0EEENS1_30default_config_static_selectorELNS0_4arch9wavefront6targetE1EEEvT1_
; %bb.0:
	.section	.rodata,"a",@progbits
	.p2align	6, 0x0
	.amdhsa_kernel _ZN7rocprim17ROCPRIM_400000_NS6detail17trampoline_kernelINS0_14default_configENS1_29reduce_by_key_config_selectorIffN6thrust23THRUST_200600_302600_NS4plusIfEEEEZZNS1_33reduce_by_key_impl_wrapped_configILNS1_25lookback_scan_determinismE1ES3_S9_NS6_6detail15normal_iteratorINS6_10device_ptrIfEEEESG_SG_SG_PmS8_22is_equal_div_10_reduceIfEEE10hipError_tPvRmT2_T3_mT4_T5_T6_T7_T8_P12ihipStream_tbENKUlT_T0_E_clISt17integral_constantIbLb0EES10_IbLb1EEEEDaSW_SX_EUlSW_E_NS1_11comp_targetILNS1_3genE9ELNS1_11target_archE1100ELNS1_3gpuE3ELNS1_3repE0EEENS1_30default_config_static_selectorELNS0_4arch9wavefront6targetE1EEEvT1_
		.amdhsa_group_segment_fixed_size 0
		.amdhsa_private_segment_fixed_size 0
		.amdhsa_kernarg_size 120
		.amdhsa_user_sgpr_count 6
		.amdhsa_user_sgpr_private_segment_buffer 1
		.amdhsa_user_sgpr_dispatch_ptr 0
		.amdhsa_user_sgpr_queue_ptr 0
		.amdhsa_user_sgpr_kernarg_segment_ptr 1
		.amdhsa_user_sgpr_dispatch_id 0
		.amdhsa_user_sgpr_flat_scratch_init 0
		.amdhsa_user_sgpr_kernarg_preload_length 0
		.amdhsa_user_sgpr_kernarg_preload_offset 0
		.amdhsa_user_sgpr_private_segment_size 0
		.amdhsa_uses_dynamic_stack 0
		.amdhsa_system_sgpr_private_segment_wavefront_offset 0
		.amdhsa_system_sgpr_workgroup_id_x 1
		.amdhsa_system_sgpr_workgroup_id_y 0
		.amdhsa_system_sgpr_workgroup_id_z 0
		.amdhsa_system_sgpr_workgroup_info 0
		.amdhsa_system_vgpr_workitem_id 0
		.amdhsa_next_free_vgpr 1
		.amdhsa_next_free_sgpr 0
		.amdhsa_accum_offset 4
		.amdhsa_reserve_vcc 0
		.amdhsa_reserve_flat_scratch 0
		.amdhsa_float_round_mode_32 0
		.amdhsa_float_round_mode_16_64 0
		.amdhsa_float_denorm_mode_32 3
		.amdhsa_float_denorm_mode_16_64 3
		.amdhsa_dx10_clamp 1
		.amdhsa_ieee_mode 1
		.amdhsa_fp16_overflow 0
		.amdhsa_tg_split 0
		.amdhsa_exception_fp_ieee_invalid_op 0
		.amdhsa_exception_fp_denorm_src 0
		.amdhsa_exception_fp_ieee_div_zero 0
		.amdhsa_exception_fp_ieee_overflow 0
		.amdhsa_exception_fp_ieee_underflow 0
		.amdhsa_exception_fp_ieee_inexact 0
		.amdhsa_exception_int_div_zero 0
	.end_amdhsa_kernel
	.section	.text._ZN7rocprim17ROCPRIM_400000_NS6detail17trampoline_kernelINS0_14default_configENS1_29reduce_by_key_config_selectorIffN6thrust23THRUST_200600_302600_NS4plusIfEEEEZZNS1_33reduce_by_key_impl_wrapped_configILNS1_25lookback_scan_determinismE1ES3_S9_NS6_6detail15normal_iteratorINS6_10device_ptrIfEEEESG_SG_SG_PmS8_22is_equal_div_10_reduceIfEEE10hipError_tPvRmT2_T3_mT4_T5_T6_T7_T8_P12ihipStream_tbENKUlT_T0_E_clISt17integral_constantIbLb0EES10_IbLb1EEEEDaSW_SX_EUlSW_E_NS1_11comp_targetILNS1_3genE9ELNS1_11target_archE1100ELNS1_3gpuE3ELNS1_3repE0EEENS1_30default_config_static_selectorELNS0_4arch9wavefront6targetE1EEEvT1_,"axG",@progbits,_ZN7rocprim17ROCPRIM_400000_NS6detail17trampoline_kernelINS0_14default_configENS1_29reduce_by_key_config_selectorIffN6thrust23THRUST_200600_302600_NS4plusIfEEEEZZNS1_33reduce_by_key_impl_wrapped_configILNS1_25lookback_scan_determinismE1ES3_S9_NS6_6detail15normal_iteratorINS6_10device_ptrIfEEEESG_SG_SG_PmS8_22is_equal_div_10_reduceIfEEE10hipError_tPvRmT2_T3_mT4_T5_T6_T7_T8_P12ihipStream_tbENKUlT_T0_E_clISt17integral_constantIbLb0EES10_IbLb1EEEEDaSW_SX_EUlSW_E_NS1_11comp_targetILNS1_3genE9ELNS1_11target_archE1100ELNS1_3gpuE3ELNS1_3repE0EEENS1_30default_config_static_selectorELNS0_4arch9wavefront6targetE1EEEvT1_,comdat
.Lfunc_end162:
	.size	_ZN7rocprim17ROCPRIM_400000_NS6detail17trampoline_kernelINS0_14default_configENS1_29reduce_by_key_config_selectorIffN6thrust23THRUST_200600_302600_NS4plusIfEEEEZZNS1_33reduce_by_key_impl_wrapped_configILNS1_25lookback_scan_determinismE1ES3_S9_NS6_6detail15normal_iteratorINS6_10device_ptrIfEEEESG_SG_SG_PmS8_22is_equal_div_10_reduceIfEEE10hipError_tPvRmT2_T3_mT4_T5_T6_T7_T8_P12ihipStream_tbENKUlT_T0_E_clISt17integral_constantIbLb0EES10_IbLb1EEEEDaSW_SX_EUlSW_E_NS1_11comp_targetILNS1_3genE9ELNS1_11target_archE1100ELNS1_3gpuE3ELNS1_3repE0EEENS1_30default_config_static_selectorELNS0_4arch9wavefront6targetE1EEEvT1_, .Lfunc_end162-_ZN7rocprim17ROCPRIM_400000_NS6detail17trampoline_kernelINS0_14default_configENS1_29reduce_by_key_config_selectorIffN6thrust23THRUST_200600_302600_NS4plusIfEEEEZZNS1_33reduce_by_key_impl_wrapped_configILNS1_25lookback_scan_determinismE1ES3_S9_NS6_6detail15normal_iteratorINS6_10device_ptrIfEEEESG_SG_SG_PmS8_22is_equal_div_10_reduceIfEEE10hipError_tPvRmT2_T3_mT4_T5_T6_T7_T8_P12ihipStream_tbENKUlT_T0_E_clISt17integral_constantIbLb0EES10_IbLb1EEEEDaSW_SX_EUlSW_E_NS1_11comp_targetILNS1_3genE9ELNS1_11target_archE1100ELNS1_3gpuE3ELNS1_3repE0EEENS1_30default_config_static_selectorELNS0_4arch9wavefront6targetE1EEEvT1_
                                        ; -- End function
	.section	.AMDGPU.csdata,"",@progbits
; Kernel info:
; codeLenInByte = 0
; NumSgprs: 4
; NumVgprs: 0
; NumAgprs: 0
; TotalNumVgprs: 0
; ScratchSize: 0
; MemoryBound: 0
; FloatMode: 240
; IeeeMode: 1
; LDSByteSize: 0 bytes/workgroup (compile time only)
; SGPRBlocks: 0
; VGPRBlocks: 0
; NumSGPRsForWavesPerEU: 4
; NumVGPRsForWavesPerEU: 1
; AccumOffset: 4
; Occupancy: 8
; WaveLimiterHint : 0
; COMPUTE_PGM_RSRC2:SCRATCH_EN: 0
; COMPUTE_PGM_RSRC2:USER_SGPR: 6
; COMPUTE_PGM_RSRC2:TRAP_HANDLER: 0
; COMPUTE_PGM_RSRC2:TGID_X_EN: 1
; COMPUTE_PGM_RSRC2:TGID_Y_EN: 0
; COMPUTE_PGM_RSRC2:TGID_Z_EN: 0
; COMPUTE_PGM_RSRC2:TIDIG_COMP_CNT: 0
; COMPUTE_PGM_RSRC3_GFX90A:ACCUM_OFFSET: 0
; COMPUTE_PGM_RSRC3_GFX90A:TG_SPLIT: 0
	.section	.text._ZN7rocprim17ROCPRIM_400000_NS6detail17trampoline_kernelINS0_14default_configENS1_29reduce_by_key_config_selectorIffN6thrust23THRUST_200600_302600_NS4plusIfEEEEZZNS1_33reduce_by_key_impl_wrapped_configILNS1_25lookback_scan_determinismE1ES3_S9_NS6_6detail15normal_iteratorINS6_10device_ptrIfEEEESG_SG_SG_PmS8_22is_equal_div_10_reduceIfEEE10hipError_tPvRmT2_T3_mT4_T5_T6_T7_T8_P12ihipStream_tbENKUlT_T0_E_clISt17integral_constantIbLb0EES10_IbLb1EEEEDaSW_SX_EUlSW_E_NS1_11comp_targetILNS1_3genE8ELNS1_11target_archE1030ELNS1_3gpuE2ELNS1_3repE0EEENS1_30default_config_static_selectorELNS0_4arch9wavefront6targetE1EEEvT1_,"axG",@progbits,_ZN7rocprim17ROCPRIM_400000_NS6detail17trampoline_kernelINS0_14default_configENS1_29reduce_by_key_config_selectorIffN6thrust23THRUST_200600_302600_NS4plusIfEEEEZZNS1_33reduce_by_key_impl_wrapped_configILNS1_25lookback_scan_determinismE1ES3_S9_NS6_6detail15normal_iteratorINS6_10device_ptrIfEEEESG_SG_SG_PmS8_22is_equal_div_10_reduceIfEEE10hipError_tPvRmT2_T3_mT4_T5_T6_T7_T8_P12ihipStream_tbENKUlT_T0_E_clISt17integral_constantIbLb0EES10_IbLb1EEEEDaSW_SX_EUlSW_E_NS1_11comp_targetILNS1_3genE8ELNS1_11target_archE1030ELNS1_3gpuE2ELNS1_3repE0EEENS1_30default_config_static_selectorELNS0_4arch9wavefront6targetE1EEEvT1_,comdat
	.protected	_ZN7rocprim17ROCPRIM_400000_NS6detail17trampoline_kernelINS0_14default_configENS1_29reduce_by_key_config_selectorIffN6thrust23THRUST_200600_302600_NS4plusIfEEEEZZNS1_33reduce_by_key_impl_wrapped_configILNS1_25lookback_scan_determinismE1ES3_S9_NS6_6detail15normal_iteratorINS6_10device_ptrIfEEEESG_SG_SG_PmS8_22is_equal_div_10_reduceIfEEE10hipError_tPvRmT2_T3_mT4_T5_T6_T7_T8_P12ihipStream_tbENKUlT_T0_E_clISt17integral_constantIbLb0EES10_IbLb1EEEEDaSW_SX_EUlSW_E_NS1_11comp_targetILNS1_3genE8ELNS1_11target_archE1030ELNS1_3gpuE2ELNS1_3repE0EEENS1_30default_config_static_selectorELNS0_4arch9wavefront6targetE1EEEvT1_ ; -- Begin function _ZN7rocprim17ROCPRIM_400000_NS6detail17trampoline_kernelINS0_14default_configENS1_29reduce_by_key_config_selectorIffN6thrust23THRUST_200600_302600_NS4plusIfEEEEZZNS1_33reduce_by_key_impl_wrapped_configILNS1_25lookback_scan_determinismE1ES3_S9_NS6_6detail15normal_iteratorINS6_10device_ptrIfEEEESG_SG_SG_PmS8_22is_equal_div_10_reduceIfEEE10hipError_tPvRmT2_T3_mT4_T5_T6_T7_T8_P12ihipStream_tbENKUlT_T0_E_clISt17integral_constantIbLb0EES10_IbLb1EEEEDaSW_SX_EUlSW_E_NS1_11comp_targetILNS1_3genE8ELNS1_11target_archE1030ELNS1_3gpuE2ELNS1_3repE0EEENS1_30default_config_static_selectorELNS0_4arch9wavefront6targetE1EEEvT1_
	.globl	_ZN7rocprim17ROCPRIM_400000_NS6detail17trampoline_kernelINS0_14default_configENS1_29reduce_by_key_config_selectorIffN6thrust23THRUST_200600_302600_NS4plusIfEEEEZZNS1_33reduce_by_key_impl_wrapped_configILNS1_25lookback_scan_determinismE1ES3_S9_NS6_6detail15normal_iteratorINS6_10device_ptrIfEEEESG_SG_SG_PmS8_22is_equal_div_10_reduceIfEEE10hipError_tPvRmT2_T3_mT4_T5_T6_T7_T8_P12ihipStream_tbENKUlT_T0_E_clISt17integral_constantIbLb0EES10_IbLb1EEEEDaSW_SX_EUlSW_E_NS1_11comp_targetILNS1_3genE8ELNS1_11target_archE1030ELNS1_3gpuE2ELNS1_3repE0EEENS1_30default_config_static_selectorELNS0_4arch9wavefront6targetE1EEEvT1_
	.p2align	8
	.type	_ZN7rocprim17ROCPRIM_400000_NS6detail17trampoline_kernelINS0_14default_configENS1_29reduce_by_key_config_selectorIffN6thrust23THRUST_200600_302600_NS4plusIfEEEEZZNS1_33reduce_by_key_impl_wrapped_configILNS1_25lookback_scan_determinismE1ES3_S9_NS6_6detail15normal_iteratorINS6_10device_ptrIfEEEESG_SG_SG_PmS8_22is_equal_div_10_reduceIfEEE10hipError_tPvRmT2_T3_mT4_T5_T6_T7_T8_P12ihipStream_tbENKUlT_T0_E_clISt17integral_constantIbLb0EES10_IbLb1EEEEDaSW_SX_EUlSW_E_NS1_11comp_targetILNS1_3genE8ELNS1_11target_archE1030ELNS1_3gpuE2ELNS1_3repE0EEENS1_30default_config_static_selectorELNS0_4arch9wavefront6targetE1EEEvT1_,@function
_ZN7rocprim17ROCPRIM_400000_NS6detail17trampoline_kernelINS0_14default_configENS1_29reduce_by_key_config_selectorIffN6thrust23THRUST_200600_302600_NS4plusIfEEEEZZNS1_33reduce_by_key_impl_wrapped_configILNS1_25lookback_scan_determinismE1ES3_S9_NS6_6detail15normal_iteratorINS6_10device_ptrIfEEEESG_SG_SG_PmS8_22is_equal_div_10_reduceIfEEE10hipError_tPvRmT2_T3_mT4_T5_T6_T7_T8_P12ihipStream_tbENKUlT_T0_E_clISt17integral_constantIbLb0EES10_IbLb1EEEEDaSW_SX_EUlSW_E_NS1_11comp_targetILNS1_3genE8ELNS1_11target_archE1030ELNS1_3gpuE2ELNS1_3repE0EEENS1_30default_config_static_selectorELNS0_4arch9wavefront6targetE1EEEvT1_: ; @_ZN7rocprim17ROCPRIM_400000_NS6detail17trampoline_kernelINS0_14default_configENS1_29reduce_by_key_config_selectorIffN6thrust23THRUST_200600_302600_NS4plusIfEEEEZZNS1_33reduce_by_key_impl_wrapped_configILNS1_25lookback_scan_determinismE1ES3_S9_NS6_6detail15normal_iteratorINS6_10device_ptrIfEEEESG_SG_SG_PmS8_22is_equal_div_10_reduceIfEEE10hipError_tPvRmT2_T3_mT4_T5_T6_T7_T8_P12ihipStream_tbENKUlT_T0_E_clISt17integral_constantIbLb0EES10_IbLb1EEEEDaSW_SX_EUlSW_E_NS1_11comp_targetILNS1_3genE8ELNS1_11target_archE1030ELNS1_3gpuE2ELNS1_3repE0EEENS1_30default_config_static_selectorELNS0_4arch9wavefront6targetE1EEEvT1_
; %bb.0:
	.section	.rodata,"a",@progbits
	.p2align	6, 0x0
	.amdhsa_kernel _ZN7rocprim17ROCPRIM_400000_NS6detail17trampoline_kernelINS0_14default_configENS1_29reduce_by_key_config_selectorIffN6thrust23THRUST_200600_302600_NS4plusIfEEEEZZNS1_33reduce_by_key_impl_wrapped_configILNS1_25lookback_scan_determinismE1ES3_S9_NS6_6detail15normal_iteratorINS6_10device_ptrIfEEEESG_SG_SG_PmS8_22is_equal_div_10_reduceIfEEE10hipError_tPvRmT2_T3_mT4_T5_T6_T7_T8_P12ihipStream_tbENKUlT_T0_E_clISt17integral_constantIbLb0EES10_IbLb1EEEEDaSW_SX_EUlSW_E_NS1_11comp_targetILNS1_3genE8ELNS1_11target_archE1030ELNS1_3gpuE2ELNS1_3repE0EEENS1_30default_config_static_selectorELNS0_4arch9wavefront6targetE1EEEvT1_
		.amdhsa_group_segment_fixed_size 0
		.amdhsa_private_segment_fixed_size 0
		.amdhsa_kernarg_size 120
		.amdhsa_user_sgpr_count 6
		.amdhsa_user_sgpr_private_segment_buffer 1
		.amdhsa_user_sgpr_dispatch_ptr 0
		.amdhsa_user_sgpr_queue_ptr 0
		.amdhsa_user_sgpr_kernarg_segment_ptr 1
		.amdhsa_user_sgpr_dispatch_id 0
		.amdhsa_user_sgpr_flat_scratch_init 0
		.amdhsa_user_sgpr_kernarg_preload_length 0
		.amdhsa_user_sgpr_kernarg_preload_offset 0
		.amdhsa_user_sgpr_private_segment_size 0
		.amdhsa_uses_dynamic_stack 0
		.amdhsa_system_sgpr_private_segment_wavefront_offset 0
		.amdhsa_system_sgpr_workgroup_id_x 1
		.amdhsa_system_sgpr_workgroup_id_y 0
		.amdhsa_system_sgpr_workgroup_id_z 0
		.amdhsa_system_sgpr_workgroup_info 0
		.amdhsa_system_vgpr_workitem_id 0
		.amdhsa_next_free_vgpr 1
		.amdhsa_next_free_sgpr 0
		.amdhsa_accum_offset 4
		.amdhsa_reserve_vcc 0
		.amdhsa_reserve_flat_scratch 0
		.amdhsa_float_round_mode_32 0
		.amdhsa_float_round_mode_16_64 0
		.amdhsa_float_denorm_mode_32 3
		.amdhsa_float_denorm_mode_16_64 3
		.amdhsa_dx10_clamp 1
		.amdhsa_ieee_mode 1
		.amdhsa_fp16_overflow 0
		.amdhsa_tg_split 0
		.amdhsa_exception_fp_ieee_invalid_op 0
		.amdhsa_exception_fp_denorm_src 0
		.amdhsa_exception_fp_ieee_div_zero 0
		.amdhsa_exception_fp_ieee_overflow 0
		.amdhsa_exception_fp_ieee_underflow 0
		.amdhsa_exception_fp_ieee_inexact 0
		.amdhsa_exception_int_div_zero 0
	.end_amdhsa_kernel
	.section	.text._ZN7rocprim17ROCPRIM_400000_NS6detail17trampoline_kernelINS0_14default_configENS1_29reduce_by_key_config_selectorIffN6thrust23THRUST_200600_302600_NS4plusIfEEEEZZNS1_33reduce_by_key_impl_wrapped_configILNS1_25lookback_scan_determinismE1ES3_S9_NS6_6detail15normal_iteratorINS6_10device_ptrIfEEEESG_SG_SG_PmS8_22is_equal_div_10_reduceIfEEE10hipError_tPvRmT2_T3_mT4_T5_T6_T7_T8_P12ihipStream_tbENKUlT_T0_E_clISt17integral_constantIbLb0EES10_IbLb1EEEEDaSW_SX_EUlSW_E_NS1_11comp_targetILNS1_3genE8ELNS1_11target_archE1030ELNS1_3gpuE2ELNS1_3repE0EEENS1_30default_config_static_selectorELNS0_4arch9wavefront6targetE1EEEvT1_,"axG",@progbits,_ZN7rocprim17ROCPRIM_400000_NS6detail17trampoline_kernelINS0_14default_configENS1_29reduce_by_key_config_selectorIffN6thrust23THRUST_200600_302600_NS4plusIfEEEEZZNS1_33reduce_by_key_impl_wrapped_configILNS1_25lookback_scan_determinismE1ES3_S9_NS6_6detail15normal_iteratorINS6_10device_ptrIfEEEESG_SG_SG_PmS8_22is_equal_div_10_reduceIfEEE10hipError_tPvRmT2_T3_mT4_T5_T6_T7_T8_P12ihipStream_tbENKUlT_T0_E_clISt17integral_constantIbLb0EES10_IbLb1EEEEDaSW_SX_EUlSW_E_NS1_11comp_targetILNS1_3genE8ELNS1_11target_archE1030ELNS1_3gpuE2ELNS1_3repE0EEENS1_30default_config_static_selectorELNS0_4arch9wavefront6targetE1EEEvT1_,comdat
.Lfunc_end163:
	.size	_ZN7rocprim17ROCPRIM_400000_NS6detail17trampoline_kernelINS0_14default_configENS1_29reduce_by_key_config_selectorIffN6thrust23THRUST_200600_302600_NS4plusIfEEEEZZNS1_33reduce_by_key_impl_wrapped_configILNS1_25lookback_scan_determinismE1ES3_S9_NS6_6detail15normal_iteratorINS6_10device_ptrIfEEEESG_SG_SG_PmS8_22is_equal_div_10_reduceIfEEE10hipError_tPvRmT2_T3_mT4_T5_T6_T7_T8_P12ihipStream_tbENKUlT_T0_E_clISt17integral_constantIbLb0EES10_IbLb1EEEEDaSW_SX_EUlSW_E_NS1_11comp_targetILNS1_3genE8ELNS1_11target_archE1030ELNS1_3gpuE2ELNS1_3repE0EEENS1_30default_config_static_selectorELNS0_4arch9wavefront6targetE1EEEvT1_, .Lfunc_end163-_ZN7rocprim17ROCPRIM_400000_NS6detail17trampoline_kernelINS0_14default_configENS1_29reduce_by_key_config_selectorIffN6thrust23THRUST_200600_302600_NS4plusIfEEEEZZNS1_33reduce_by_key_impl_wrapped_configILNS1_25lookback_scan_determinismE1ES3_S9_NS6_6detail15normal_iteratorINS6_10device_ptrIfEEEESG_SG_SG_PmS8_22is_equal_div_10_reduceIfEEE10hipError_tPvRmT2_T3_mT4_T5_T6_T7_T8_P12ihipStream_tbENKUlT_T0_E_clISt17integral_constantIbLb0EES10_IbLb1EEEEDaSW_SX_EUlSW_E_NS1_11comp_targetILNS1_3genE8ELNS1_11target_archE1030ELNS1_3gpuE2ELNS1_3repE0EEENS1_30default_config_static_selectorELNS0_4arch9wavefront6targetE1EEEvT1_
                                        ; -- End function
	.section	.AMDGPU.csdata,"",@progbits
; Kernel info:
; codeLenInByte = 0
; NumSgprs: 4
; NumVgprs: 0
; NumAgprs: 0
; TotalNumVgprs: 0
; ScratchSize: 0
; MemoryBound: 0
; FloatMode: 240
; IeeeMode: 1
; LDSByteSize: 0 bytes/workgroup (compile time only)
; SGPRBlocks: 0
; VGPRBlocks: 0
; NumSGPRsForWavesPerEU: 4
; NumVGPRsForWavesPerEU: 1
; AccumOffset: 4
; Occupancy: 8
; WaveLimiterHint : 0
; COMPUTE_PGM_RSRC2:SCRATCH_EN: 0
; COMPUTE_PGM_RSRC2:USER_SGPR: 6
; COMPUTE_PGM_RSRC2:TRAP_HANDLER: 0
; COMPUTE_PGM_RSRC2:TGID_X_EN: 1
; COMPUTE_PGM_RSRC2:TGID_Y_EN: 0
; COMPUTE_PGM_RSRC2:TGID_Z_EN: 0
; COMPUTE_PGM_RSRC2:TIDIG_COMP_CNT: 0
; COMPUTE_PGM_RSRC3_GFX90A:ACCUM_OFFSET: 0
; COMPUTE_PGM_RSRC3_GFX90A:TG_SPLIT: 0
	.section	.text._ZN7rocprim17ROCPRIM_400000_NS6detail17trampoline_kernelINS0_14default_configENS1_29reduce_by_key_config_selectorIffN6thrust23THRUST_200600_302600_NS4plusIfEEEEZZNS1_33reduce_by_key_impl_wrapped_configILNS1_25lookback_scan_determinismE0ES3_S9_NS6_6detail15normal_iteratorINS6_10device_ptrIfEEEESG_SG_SG_PmS8_NS6_8equal_toIfEEEE10hipError_tPvRmT2_T3_mT4_T5_T6_T7_T8_P12ihipStream_tbENKUlT_T0_E_clISt17integral_constantIbLb0EES11_EEDaSW_SX_EUlSW_E_NS1_11comp_targetILNS1_3genE0ELNS1_11target_archE4294967295ELNS1_3gpuE0ELNS1_3repE0EEENS1_30default_config_static_selectorELNS0_4arch9wavefront6targetE1EEEvT1_,"axG",@progbits,_ZN7rocprim17ROCPRIM_400000_NS6detail17trampoline_kernelINS0_14default_configENS1_29reduce_by_key_config_selectorIffN6thrust23THRUST_200600_302600_NS4plusIfEEEEZZNS1_33reduce_by_key_impl_wrapped_configILNS1_25lookback_scan_determinismE0ES3_S9_NS6_6detail15normal_iteratorINS6_10device_ptrIfEEEESG_SG_SG_PmS8_NS6_8equal_toIfEEEE10hipError_tPvRmT2_T3_mT4_T5_T6_T7_T8_P12ihipStream_tbENKUlT_T0_E_clISt17integral_constantIbLb0EES11_EEDaSW_SX_EUlSW_E_NS1_11comp_targetILNS1_3genE0ELNS1_11target_archE4294967295ELNS1_3gpuE0ELNS1_3repE0EEENS1_30default_config_static_selectorELNS0_4arch9wavefront6targetE1EEEvT1_,comdat
	.protected	_ZN7rocprim17ROCPRIM_400000_NS6detail17trampoline_kernelINS0_14default_configENS1_29reduce_by_key_config_selectorIffN6thrust23THRUST_200600_302600_NS4plusIfEEEEZZNS1_33reduce_by_key_impl_wrapped_configILNS1_25lookback_scan_determinismE0ES3_S9_NS6_6detail15normal_iteratorINS6_10device_ptrIfEEEESG_SG_SG_PmS8_NS6_8equal_toIfEEEE10hipError_tPvRmT2_T3_mT4_T5_T6_T7_T8_P12ihipStream_tbENKUlT_T0_E_clISt17integral_constantIbLb0EES11_EEDaSW_SX_EUlSW_E_NS1_11comp_targetILNS1_3genE0ELNS1_11target_archE4294967295ELNS1_3gpuE0ELNS1_3repE0EEENS1_30default_config_static_selectorELNS0_4arch9wavefront6targetE1EEEvT1_ ; -- Begin function _ZN7rocprim17ROCPRIM_400000_NS6detail17trampoline_kernelINS0_14default_configENS1_29reduce_by_key_config_selectorIffN6thrust23THRUST_200600_302600_NS4plusIfEEEEZZNS1_33reduce_by_key_impl_wrapped_configILNS1_25lookback_scan_determinismE0ES3_S9_NS6_6detail15normal_iteratorINS6_10device_ptrIfEEEESG_SG_SG_PmS8_NS6_8equal_toIfEEEE10hipError_tPvRmT2_T3_mT4_T5_T6_T7_T8_P12ihipStream_tbENKUlT_T0_E_clISt17integral_constantIbLb0EES11_EEDaSW_SX_EUlSW_E_NS1_11comp_targetILNS1_3genE0ELNS1_11target_archE4294967295ELNS1_3gpuE0ELNS1_3repE0EEENS1_30default_config_static_selectorELNS0_4arch9wavefront6targetE1EEEvT1_
	.globl	_ZN7rocprim17ROCPRIM_400000_NS6detail17trampoline_kernelINS0_14default_configENS1_29reduce_by_key_config_selectorIffN6thrust23THRUST_200600_302600_NS4plusIfEEEEZZNS1_33reduce_by_key_impl_wrapped_configILNS1_25lookback_scan_determinismE0ES3_S9_NS6_6detail15normal_iteratorINS6_10device_ptrIfEEEESG_SG_SG_PmS8_NS6_8equal_toIfEEEE10hipError_tPvRmT2_T3_mT4_T5_T6_T7_T8_P12ihipStream_tbENKUlT_T0_E_clISt17integral_constantIbLb0EES11_EEDaSW_SX_EUlSW_E_NS1_11comp_targetILNS1_3genE0ELNS1_11target_archE4294967295ELNS1_3gpuE0ELNS1_3repE0EEENS1_30default_config_static_selectorELNS0_4arch9wavefront6targetE1EEEvT1_
	.p2align	8
	.type	_ZN7rocprim17ROCPRIM_400000_NS6detail17trampoline_kernelINS0_14default_configENS1_29reduce_by_key_config_selectorIffN6thrust23THRUST_200600_302600_NS4plusIfEEEEZZNS1_33reduce_by_key_impl_wrapped_configILNS1_25lookback_scan_determinismE0ES3_S9_NS6_6detail15normal_iteratorINS6_10device_ptrIfEEEESG_SG_SG_PmS8_NS6_8equal_toIfEEEE10hipError_tPvRmT2_T3_mT4_T5_T6_T7_T8_P12ihipStream_tbENKUlT_T0_E_clISt17integral_constantIbLb0EES11_EEDaSW_SX_EUlSW_E_NS1_11comp_targetILNS1_3genE0ELNS1_11target_archE4294967295ELNS1_3gpuE0ELNS1_3repE0EEENS1_30default_config_static_selectorELNS0_4arch9wavefront6targetE1EEEvT1_,@function
_ZN7rocprim17ROCPRIM_400000_NS6detail17trampoline_kernelINS0_14default_configENS1_29reduce_by_key_config_selectorIffN6thrust23THRUST_200600_302600_NS4plusIfEEEEZZNS1_33reduce_by_key_impl_wrapped_configILNS1_25lookback_scan_determinismE0ES3_S9_NS6_6detail15normal_iteratorINS6_10device_ptrIfEEEESG_SG_SG_PmS8_NS6_8equal_toIfEEEE10hipError_tPvRmT2_T3_mT4_T5_T6_T7_T8_P12ihipStream_tbENKUlT_T0_E_clISt17integral_constantIbLb0EES11_EEDaSW_SX_EUlSW_E_NS1_11comp_targetILNS1_3genE0ELNS1_11target_archE4294967295ELNS1_3gpuE0ELNS1_3repE0EEENS1_30default_config_static_selectorELNS0_4arch9wavefront6targetE1EEEvT1_: ; @_ZN7rocprim17ROCPRIM_400000_NS6detail17trampoline_kernelINS0_14default_configENS1_29reduce_by_key_config_selectorIffN6thrust23THRUST_200600_302600_NS4plusIfEEEEZZNS1_33reduce_by_key_impl_wrapped_configILNS1_25lookback_scan_determinismE0ES3_S9_NS6_6detail15normal_iteratorINS6_10device_ptrIfEEEESG_SG_SG_PmS8_NS6_8equal_toIfEEEE10hipError_tPvRmT2_T3_mT4_T5_T6_T7_T8_P12ihipStream_tbENKUlT_T0_E_clISt17integral_constantIbLb0EES11_EEDaSW_SX_EUlSW_E_NS1_11comp_targetILNS1_3genE0ELNS1_11target_archE4294967295ELNS1_3gpuE0ELNS1_3repE0EEENS1_30default_config_static_selectorELNS0_4arch9wavefront6targetE1EEEvT1_
; %bb.0:
	.section	.rodata,"a",@progbits
	.p2align	6, 0x0
	.amdhsa_kernel _ZN7rocprim17ROCPRIM_400000_NS6detail17trampoline_kernelINS0_14default_configENS1_29reduce_by_key_config_selectorIffN6thrust23THRUST_200600_302600_NS4plusIfEEEEZZNS1_33reduce_by_key_impl_wrapped_configILNS1_25lookback_scan_determinismE0ES3_S9_NS6_6detail15normal_iteratorINS6_10device_ptrIfEEEESG_SG_SG_PmS8_NS6_8equal_toIfEEEE10hipError_tPvRmT2_T3_mT4_T5_T6_T7_T8_P12ihipStream_tbENKUlT_T0_E_clISt17integral_constantIbLb0EES11_EEDaSW_SX_EUlSW_E_NS1_11comp_targetILNS1_3genE0ELNS1_11target_archE4294967295ELNS1_3gpuE0ELNS1_3repE0EEENS1_30default_config_static_selectorELNS0_4arch9wavefront6targetE1EEEvT1_
		.amdhsa_group_segment_fixed_size 0
		.amdhsa_private_segment_fixed_size 0
		.amdhsa_kernarg_size 120
		.amdhsa_user_sgpr_count 6
		.amdhsa_user_sgpr_private_segment_buffer 1
		.amdhsa_user_sgpr_dispatch_ptr 0
		.amdhsa_user_sgpr_queue_ptr 0
		.amdhsa_user_sgpr_kernarg_segment_ptr 1
		.amdhsa_user_sgpr_dispatch_id 0
		.amdhsa_user_sgpr_flat_scratch_init 0
		.amdhsa_user_sgpr_kernarg_preload_length 0
		.amdhsa_user_sgpr_kernarg_preload_offset 0
		.amdhsa_user_sgpr_private_segment_size 0
		.amdhsa_uses_dynamic_stack 0
		.amdhsa_system_sgpr_private_segment_wavefront_offset 0
		.amdhsa_system_sgpr_workgroup_id_x 1
		.amdhsa_system_sgpr_workgroup_id_y 0
		.amdhsa_system_sgpr_workgroup_id_z 0
		.amdhsa_system_sgpr_workgroup_info 0
		.amdhsa_system_vgpr_workitem_id 0
		.amdhsa_next_free_vgpr 1
		.amdhsa_next_free_sgpr 0
		.amdhsa_accum_offset 4
		.amdhsa_reserve_vcc 0
		.amdhsa_reserve_flat_scratch 0
		.amdhsa_float_round_mode_32 0
		.amdhsa_float_round_mode_16_64 0
		.amdhsa_float_denorm_mode_32 3
		.amdhsa_float_denorm_mode_16_64 3
		.amdhsa_dx10_clamp 1
		.amdhsa_ieee_mode 1
		.amdhsa_fp16_overflow 0
		.amdhsa_tg_split 0
		.amdhsa_exception_fp_ieee_invalid_op 0
		.amdhsa_exception_fp_denorm_src 0
		.amdhsa_exception_fp_ieee_div_zero 0
		.amdhsa_exception_fp_ieee_overflow 0
		.amdhsa_exception_fp_ieee_underflow 0
		.amdhsa_exception_fp_ieee_inexact 0
		.amdhsa_exception_int_div_zero 0
	.end_amdhsa_kernel
	.section	.text._ZN7rocprim17ROCPRIM_400000_NS6detail17trampoline_kernelINS0_14default_configENS1_29reduce_by_key_config_selectorIffN6thrust23THRUST_200600_302600_NS4plusIfEEEEZZNS1_33reduce_by_key_impl_wrapped_configILNS1_25lookback_scan_determinismE0ES3_S9_NS6_6detail15normal_iteratorINS6_10device_ptrIfEEEESG_SG_SG_PmS8_NS6_8equal_toIfEEEE10hipError_tPvRmT2_T3_mT4_T5_T6_T7_T8_P12ihipStream_tbENKUlT_T0_E_clISt17integral_constantIbLb0EES11_EEDaSW_SX_EUlSW_E_NS1_11comp_targetILNS1_3genE0ELNS1_11target_archE4294967295ELNS1_3gpuE0ELNS1_3repE0EEENS1_30default_config_static_selectorELNS0_4arch9wavefront6targetE1EEEvT1_,"axG",@progbits,_ZN7rocprim17ROCPRIM_400000_NS6detail17trampoline_kernelINS0_14default_configENS1_29reduce_by_key_config_selectorIffN6thrust23THRUST_200600_302600_NS4plusIfEEEEZZNS1_33reduce_by_key_impl_wrapped_configILNS1_25lookback_scan_determinismE0ES3_S9_NS6_6detail15normal_iteratorINS6_10device_ptrIfEEEESG_SG_SG_PmS8_NS6_8equal_toIfEEEE10hipError_tPvRmT2_T3_mT4_T5_T6_T7_T8_P12ihipStream_tbENKUlT_T0_E_clISt17integral_constantIbLb0EES11_EEDaSW_SX_EUlSW_E_NS1_11comp_targetILNS1_3genE0ELNS1_11target_archE4294967295ELNS1_3gpuE0ELNS1_3repE0EEENS1_30default_config_static_selectorELNS0_4arch9wavefront6targetE1EEEvT1_,comdat
.Lfunc_end164:
	.size	_ZN7rocprim17ROCPRIM_400000_NS6detail17trampoline_kernelINS0_14default_configENS1_29reduce_by_key_config_selectorIffN6thrust23THRUST_200600_302600_NS4plusIfEEEEZZNS1_33reduce_by_key_impl_wrapped_configILNS1_25lookback_scan_determinismE0ES3_S9_NS6_6detail15normal_iteratorINS6_10device_ptrIfEEEESG_SG_SG_PmS8_NS6_8equal_toIfEEEE10hipError_tPvRmT2_T3_mT4_T5_T6_T7_T8_P12ihipStream_tbENKUlT_T0_E_clISt17integral_constantIbLb0EES11_EEDaSW_SX_EUlSW_E_NS1_11comp_targetILNS1_3genE0ELNS1_11target_archE4294967295ELNS1_3gpuE0ELNS1_3repE0EEENS1_30default_config_static_selectorELNS0_4arch9wavefront6targetE1EEEvT1_, .Lfunc_end164-_ZN7rocprim17ROCPRIM_400000_NS6detail17trampoline_kernelINS0_14default_configENS1_29reduce_by_key_config_selectorIffN6thrust23THRUST_200600_302600_NS4plusIfEEEEZZNS1_33reduce_by_key_impl_wrapped_configILNS1_25lookback_scan_determinismE0ES3_S9_NS6_6detail15normal_iteratorINS6_10device_ptrIfEEEESG_SG_SG_PmS8_NS6_8equal_toIfEEEE10hipError_tPvRmT2_T3_mT4_T5_T6_T7_T8_P12ihipStream_tbENKUlT_T0_E_clISt17integral_constantIbLb0EES11_EEDaSW_SX_EUlSW_E_NS1_11comp_targetILNS1_3genE0ELNS1_11target_archE4294967295ELNS1_3gpuE0ELNS1_3repE0EEENS1_30default_config_static_selectorELNS0_4arch9wavefront6targetE1EEEvT1_
                                        ; -- End function
	.section	.AMDGPU.csdata,"",@progbits
; Kernel info:
; codeLenInByte = 0
; NumSgprs: 4
; NumVgprs: 0
; NumAgprs: 0
; TotalNumVgprs: 0
; ScratchSize: 0
; MemoryBound: 0
; FloatMode: 240
; IeeeMode: 1
; LDSByteSize: 0 bytes/workgroup (compile time only)
; SGPRBlocks: 0
; VGPRBlocks: 0
; NumSGPRsForWavesPerEU: 4
; NumVGPRsForWavesPerEU: 1
; AccumOffset: 4
; Occupancy: 8
; WaveLimiterHint : 0
; COMPUTE_PGM_RSRC2:SCRATCH_EN: 0
; COMPUTE_PGM_RSRC2:USER_SGPR: 6
; COMPUTE_PGM_RSRC2:TRAP_HANDLER: 0
; COMPUTE_PGM_RSRC2:TGID_X_EN: 1
; COMPUTE_PGM_RSRC2:TGID_Y_EN: 0
; COMPUTE_PGM_RSRC2:TGID_Z_EN: 0
; COMPUTE_PGM_RSRC2:TIDIG_COMP_CNT: 0
; COMPUTE_PGM_RSRC3_GFX90A:ACCUM_OFFSET: 0
; COMPUTE_PGM_RSRC3_GFX90A:TG_SPLIT: 0
	.section	.text._ZN7rocprim17ROCPRIM_400000_NS6detail17trampoline_kernelINS0_14default_configENS1_29reduce_by_key_config_selectorIffN6thrust23THRUST_200600_302600_NS4plusIfEEEEZZNS1_33reduce_by_key_impl_wrapped_configILNS1_25lookback_scan_determinismE0ES3_S9_NS6_6detail15normal_iteratorINS6_10device_ptrIfEEEESG_SG_SG_PmS8_NS6_8equal_toIfEEEE10hipError_tPvRmT2_T3_mT4_T5_T6_T7_T8_P12ihipStream_tbENKUlT_T0_E_clISt17integral_constantIbLb0EES11_EEDaSW_SX_EUlSW_E_NS1_11comp_targetILNS1_3genE5ELNS1_11target_archE942ELNS1_3gpuE9ELNS1_3repE0EEENS1_30default_config_static_selectorELNS0_4arch9wavefront6targetE1EEEvT1_,"axG",@progbits,_ZN7rocprim17ROCPRIM_400000_NS6detail17trampoline_kernelINS0_14default_configENS1_29reduce_by_key_config_selectorIffN6thrust23THRUST_200600_302600_NS4plusIfEEEEZZNS1_33reduce_by_key_impl_wrapped_configILNS1_25lookback_scan_determinismE0ES3_S9_NS6_6detail15normal_iteratorINS6_10device_ptrIfEEEESG_SG_SG_PmS8_NS6_8equal_toIfEEEE10hipError_tPvRmT2_T3_mT4_T5_T6_T7_T8_P12ihipStream_tbENKUlT_T0_E_clISt17integral_constantIbLb0EES11_EEDaSW_SX_EUlSW_E_NS1_11comp_targetILNS1_3genE5ELNS1_11target_archE942ELNS1_3gpuE9ELNS1_3repE0EEENS1_30default_config_static_selectorELNS0_4arch9wavefront6targetE1EEEvT1_,comdat
	.protected	_ZN7rocprim17ROCPRIM_400000_NS6detail17trampoline_kernelINS0_14default_configENS1_29reduce_by_key_config_selectorIffN6thrust23THRUST_200600_302600_NS4plusIfEEEEZZNS1_33reduce_by_key_impl_wrapped_configILNS1_25lookback_scan_determinismE0ES3_S9_NS6_6detail15normal_iteratorINS6_10device_ptrIfEEEESG_SG_SG_PmS8_NS6_8equal_toIfEEEE10hipError_tPvRmT2_T3_mT4_T5_T6_T7_T8_P12ihipStream_tbENKUlT_T0_E_clISt17integral_constantIbLb0EES11_EEDaSW_SX_EUlSW_E_NS1_11comp_targetILNS1_3genE5ELNS1_11target_archE942ELNS1_3gpuE9ELNS1_3repE0EEENS1_30default_config_static_selectorELNS0_4arch9wavefront6targetE1EEEvT1_ ; -- Begin function _ZN7rocprim17ROCPRIM_400000_NS6detail17trampoline_kernelINS0_14default_configENS1_29reduce_by_key_config_selectorIffN6thrust23THRUST_200600_302600_NS4plusIfEEEEZZNS1_33reduce_by_key_impl_wrapped_configILNS1_25lookback_scan_determinismE0ES3_S9_NS6_6detail15normal_iteratorINS6_10device_ptrIfEEEESG_SG_SG_PmS8_NS6_8equal_toIfEEEE10hipError_tPvRmT2_T3_mT4_T5_T6_T7_T8_P12ihipStream_tbENKUlT_T0_E_clISt17integral_constantIbLb0EES11_EEDaSW_SX_EUlSW_E_NS1_11comp_targetILNS1_3genE5ELNS1_11target_archE942ELNS1_3gpuE9ELNS1_3repE0EEENS1_30default_config_static_selectorELNS0_4arch9wavefront6targetE1EEEvT1_
	.globl	_ZN7rocprim17ROCPRIM_400000_NS6detail17trampoline_kernelINS0_14default_configENS1_29reduce_by_key_config_selectorIffN6thrust23THRUST_200600_302600_NS4plusIfEEEEZZNS1_33reduce_by_key_impl_wrapped_configILNS1_25lookback_scan_determinismE0ES3_S9_NS6_6detail15normal_iteratorINS6_10device_ptrIfEEEESG_SG_SG_PmS8_NS6_8equal_toIfEEEE10hipError_tPvRmT2_T3_mT4_T5_T6_T7_T8_P12ihipStream_tbENKUlT_T0_E_clISt17integral_constantIbLb0EES11_EEDaSW_SX_EUlSW_E_NS1_11comp_targetILNS1_3genE5ELNS1_11target_archE942ELNS1_3gpuE9ELNS1_3repE0EEENS1_30default_config_static_selectorELNS0_4arch9wavefront6targetE1EEEvT1_
	.p2align	8
	.type	_ZN7rocprim17ROCPRIM_400000_NS6detail17trampoline_kernelINS0_14default_configENS1_29reduce_by_key_config_selectorIffN6thrust23THRUST_200600_302600_NS4plusIfEEEEZZNS1_33reduce_by_key_impl_wrapped_configILNS1_25lookback_scan_determinismE0ES3_S9_NS6_6detail15normal_iteratorINS6_10device_ptrIfEEEESG_SG_SG_PmS8_NS6_8equal_toIfEEEE10hipError_tPvRmT2_T3_mT4_T5_T6_T7_T8_P12ihipStream_tbENKUlT_T0_E_clISt17integral_constantIbLb0EES11_EEDaSW_SX_EUlSW_E_NS1_11comp_targetILNS1_3genE5ELNS1_11target_archE942ELNS1_3gpuE9ELNS1_3repE0EEENS1_30default_config_static_selectorELNS0_4arch9wavefront6targetE1EEEvT1_,@function
_ZN7rocprim17ROCPRIM_400000_NS6detail17trampoline_kernelINS0_14default_configENS1_29reduce_by_key_config_selectorIffN6thrust23THRUST_200600_302600_NS4plusIfEEEEZZNS1_33reduce_by_key_impl_wrapped_configILNS1_25lookback_scan_determinismE0ES3_S9_NS6_6detail15normal_iteratorINS6_10device_ptrIfEEEESG_SG_SG_PmS8_NS6_8equal_toIfEEEE10hipError_tPvRmT2_T3_mT4_T5_T6_T7_T8_P12ihipStream_tbENKUlT_T0_E_clISt17integral_constantIbLb0EES11_EEDaSW_SX_EUlSW_E_NS1_11comp_targetILNS1_3genE5ELNS1_11target_archE942ELNS1_3gpuE9ELNS1_3repE0EEENS1_30default_config_static_selectorELNS0_4arch9wavefront6targetE1EEEvT1_: ; @_ZN7rocprim17ROCPRIM_400000_NS6detail17trampoline_kernelINS0_14default_configENS1_29reduce_by_key_config_selectorIffN6thrust23THRUST_200600_302600_NS4plusIfEEEEZZNS1_33reduce_by_key_impl_wrapped_configILNS1_25lookback_scan_determinismE0ES3_S9_NS6_6detail15normal_iteratorINS6_10device_ptrIfEEEESG_SG_SG_PmS8_NS6_8equal_toIfEEEE10hipError_tPvRmT2_T3_mT4_T5_T6_T7_T8_P12ihipStream_tbENKUlT_T0_E_clISt17integral_constantIbLb0EES11_EEDaSW_SX_EUlSW_E_NS1_11comp_targetILNS1_3genE5ELNS1_11target_archE942ELNS1_3gpuE9ELNS1_3repE0EEENS1_30default_config_static_selectorELNS0_4arch9wavefront6targetE1EEEvT1_
; %bb.0:
	.section	.rodata,"a",@progbits
	.p2align	6, 0x0
	.amdhsa_kernel _ZN7rocprim17ROCPRIM_400000_NS6detail17trampoline_kernelINS0_14default_configENS1_29reduce_by_key_config_selectorIffN6thrust23THRUST_200600_302600_NS4plusIfEEEEZZNS1_33reduce_by_key_impl_wrapped_configILNS1_25lookback_scan_determinismE0ES3_S9_NS6_6detail15normal_iteratorINS6_10device_ptrIfEEEESG_SG_SG_PmS8_NS6_8equal_toIfEEEE10hipError_tPvRmT2_T3_mT4_T5_T6_T7_T8_P12ihipStream_tbENKUlT_T0_E_clISt17integral_constantIbLb0EES11_EEDaSW_SX_EUlSW_E_NS1_11comp_targetILNS1_3genE5ELNS1_11target_archE942ELNS1_3gpuE9ELNS1_3repE0EEENS1_30default_config_static_selectorELNS0_4arch9wavefront6targetE1EEEvT1_
		.amdhsa_group_segment_fixed_size 0
		.amdhsa_private_segment_fixed_size 0
		.amdhsa_kernarg_size 120
		.amdhsa_user_sgpr_count 6
		.amdhsa_user_sgpr_private_segment_buffer 1
		.amdhsa_user_sgpr_dispatch_ptr 0
		.amdhsa_user_sgpr_queue_ptr 0
		.amdhsa_user_sgpr_kernarg_segment_ptr 1
		.amdhsa_user_sgpr_dispatch_id 0
		.amdhsa_user_sgpr_flat_scratch_init 0
		.amdhsa_user_sgpr_kernarg_preload_length 0
		.amdhsa_user_sgpr_kernarg_preload_offset 0
		.amdhsa_user_sgpr_private_segment_size 0
		.amdhsa_uses_dynamic_stack 0
		.amdhsa_system_sgpr_private_segment_wavefront_offset 0
		.amdhsa_system_sgpr_workgroup_id_x 1
		.amdhsa_system_sgpr_workgroup_id_y 0
		.amdhsa_system_sgpr_workgroup_id_z 0
		.amdhsa_system_sgpr_workgroup_info 0
		.amdhsa_system_vgpr_workitem_id 0
		.amdhsa_next_free_vgpr 1
		.amdhsa_next_free_sgpr 0
		.amdhsa_accum_offset 4
		.amdhsa_reserve_vcc 0
		.amdhsa_reserve_flat_scratch 0
		.amdhsa_float_round_mode_32 0
		.amdhsa_float_round_mode_16_64 0
		.amdhsa_float_denorm_mode_32 3
		.amdhsa_float_denorm_mode_16_64 3
		.amdhsa_dx10_clamp 1
		.amdhsa_ieee_mode 1
		.amdhsa_fp16_overflow 0
		.amdhsa_tg_split 0
		.amdhsa_exception_fp_ieee_invalid_op 0
		.amdhsa_exception_fp_denorm_src 0
		.amdhsa_exception_fp_ieee_div_zero 0
		.amdhsa_exception_fp_ieee_overflow 0
		.amdhsa_exception_fp_ieee_underflow 0
		.amdhsa_exception_fp_ieee_inexact 0
		.amdhsa_exception_int_div_zero 0
	.end_amdhsa_kernel
	.section	.text._ZN7rocprim17ROCPRIM_400000_NS6detail17trampoline_kernelINS0_14default_configENS1_29reduce_by_key_config_selectorIffN6thrust23THRUST_200600_302600_NS4plusIfEEEEZZNS1_33reduce_by_key_impl_wrapped_configILNS1_25lookback_scan_determinismE0ES3_S9_NS6_6detail15normal_iteratorINS6_10device_ptrIfEEEESG_SG_SG_PmS8_NS6_8equal_toIfEEEE10hipError_tPvRmT2_T3_mT4_T5_T6_T7_T8_P12ihipStream_tbENKUlT_T0_E_clISt17integral_constantIbLb0EES11_EEDaSW_SX_EUlSW_E_NS1_11comp_targetILNS1_3genE5ELNS1_11target_archE942ELNS1_3gpuE9ELNS1_3repE0EEENS1_30default_config_static_selectorELNS0_4arch9wavefront6targetE1EEEvT1_,"axG",@progbits,_ZN7rocprim17ROCPRIM_400000_NS6detail17trampoline_kernelINS0_14default_configENS1_29reduce_by_key_config_selectorIffN6thrust23THRUST_200600_302600_NS4plusIfEEEEZZNS1_33reduce_by_key_impl_wrapped_configILNS1_25lookback_scan_determinismE0ES3_S9_NS6_6detail15normal_iteratorINS6_10device_ptrIfEEEESG_SG_SG_PmS8_NS6_8equal_toIfEEEE10hipError_tPvRmT2_T3_mT4_T5_T6_T7_T8_P12ihipStream_tbENKUlT_T0_E_clISt17integral_constantIbLb0EES11_EEDaSW_SX_EUlSW_E_NS1_11comp_targetILNS1_3genE5ELNS1_11target_archE942ELNS1_3gpuE9ELNS1_3repE0EEENS1_30default_config_static_selectorELNS0_4arch9wavefront6targetE1EEEvT1_,comdat
.Lfunc_end165:
	.size	_ZN7rocprim17ROCPRIM_400000_NS6detail17trampoline_kernelINS0_14default_configENS1_29reduce_by_key_config_selectorIffN6thrust23THRUST_200600_302600_NS4plusIfEEEEZZNS1_33reduce_by_key_impl_wrapped_configILNS1_25lookback_scan_determinismE0ES3_S9_NS6_6detail15normal_iteratorINS6_10device_ptrIfEEEESG_SG_SG_PmS8_NS6_8equal_toIfEEEE10hipError_tPvRmT2_T3_mT4_T5_T6_T7_T8_P12ihipStream_tbENKUlT_T0_E_clISt17integral_constantIbLb0EES11_EEDaSW_SX_EUlSW_E_NS1_11comp_targetILNS1_3genE5ELNS1_11target_archE942ELNS1_3gpuE9ELNS1_3repE0EEENS1_30default_config_static_selectorELNS0_4arch9wavefront6targetE1EEEvT1_, .Lfunc_end165-_ZN7rocprim17ROCPRIM_400000_NS6detail17trampoline_kernelINS0_14default_configENS1_29reduce_by_key_config_selectorIffN6thrust23THRUST_200600_302600_NS4plusIfEEEEZZNS1_33reduce_by_key_impl_wrapped_configILNS1_25lookback_scan_determinismE0ES3_S9_NS6_6detail15normal_iteratorINS6_10device_ptrIfEEEESG_SG_SG_PmS8_NS6_8equal_toIfEEEE10hipError_tPvRmT2_T3_mT4_T5_T6_T7_T8_P12ihipStream_tbENKUlT_T0_E_clISt17integral_constantIbLb0EES11_EEDaSW_SX_EUlSW_E_NS1_11comp_targetILNS1_3genE5ELNS1_11target_archE942ELNS1_3gpuE9ELNS1_3repE0EEENS1_30default_config_static_selectorELNS0_4arch9wavefront6targetE1EEEvT1_
                                        ; -- End function
	.section	.AMDGPU.csdata,"",@progbits
; Kernel info:
; codeLenInByte = 0
; NumSgprs: 4
; NumVgprs: 0
; NumAgprs: 0
; TotalNumVgprs: 0
; ScratchSize: 0
; MemoryBound: 0
; FloatMode: 240
; IeeeMode: 1
; LDSByteSize: 0 bytes/workgroup (compile time only)
; SGPRBlocks: 0
; VGPRBlocks: 0
; NumSGPRsForWavesPerEU: 4
; NumVGPRsForWavesPerEU: 1
; AccumOffset: 4
; Occupancy: 8
; WaveLimiterHint : 0
; COMPUTE_PGM_RSRC2:SCRATCH_EN: 0
; COMPUTE_PGM_RSRC2:USER_SGPR: 6
; COMPUTE_PGM_RSRC2:TRAP_HANDLER: 0
; COMPUTE_PGM_RSRC2:TGID_X_EN: 1
; COMPUTE_PGM_RSRC2:TGID_Y_EN: 0
; COMPUTE_PGM_RSRC2:TGID_Z_EN: 0
; COMPUTE_PGM_RSRC2:TIDIG_COMP_CNT: 0
; COMPUTE_PGM_RSRC3_GFX90A:ACCUM_OFFSET: 0
; COMPUTE_PGM_RSRC3_GFX90A:TG_SPLIT: 0
	.section	.text._ZN7rocprim17ROCPRIM_400000_NS6detail17trampoline_kernelINS0_14default_configENS1_29reduce_by_key_config_selectorIffN6thrust23THRUST_200600_302600_NS4plusIfEEEEZZNS1_33reduce_by_key_impl_wrapped_configILNS1_25lookback_scan_determinismE0ES3_S9_NS6_6detail15normal_iteratorINS6_10device_ptrIfEEEESG_SG_SG_PmS8_NS6_8equal_toIfEEEE10hipError_tPvRmT2_T3_mT4_T5_T6_T7_T8_P12ihipStream_tbENKUlT_T0_E_clISt17integral_constantIbLb0EES11_EEDaSW_SX_EUlSW_E_NS1_11comp_targetILNS1_3genE4ELNS1_11target_archE910ELNS1_3gpuE8ELNS1_3repE0EEENS1_30default_config_static_selectorELNS0_4arch9wavefront6targetE1EEEvT1_,"axG",@progbits,_ZN7rocprim17ROCPRIM_400000_NS6detail17trampoline_kernelINS0_14default_configENS1_29reduce_by_key_config_selectorIffN6thrust23THRUST_200600_302600_NS4plusIfEEEEZZNS1_33reduce_by_key_impl_wrapped_configILNS1_25lookback_scan_determinismE0ES3_S9_NS6_6detail15normal_iteratorINS6_10device_ptrIfEEEESG_SG_SG_PmS8_NS6_8equal_toIfEEEE10hipError_tPvRmT2_T3_mT4_T5_T6_T7_T8_P12ihipStream_tbENKUlT_T0_E_clISt17integral_constantIbLb0EES11_EEDaSW_SX_EUlSW_E_NS1_11comp_targetILNS1_3genE4ELNS1_11target_archE910ELNS1_3gpuE8ELNS1_3repE0EEENS1_30default_config_static_selectorELNS0_4arch9wavefront6targetE1EEEvT1_,comdat
	.protected	_ZN7rocprim17ROCPRIM_400000_NS6detail17trampoline_kernelINS0_14default_configENS1_29reduce_by_key_config_selectorIffN6thrust23THRUST_200600_302600_NS4plusIfEEEEZZNS1_33reduce_by_key_impl_wrapped_configILNS1_25lookback_scan_determinismE0ES3_S9_NS6_6detail15normal_iteratorINS6_10device_ptrIfEEEESG_SG_SG_PmS8_NS6_8equal_toIfEEEE10hipError_tPvRmT2_T3_mT4_T5_T6_T7_T8_P12ihipStream_tbENKUlT_T0_E_clISt17integral_constantIbLb0EES11_EEDaSW_SX_EUlSW_E_NS1_11comp_targetILNS1_3genE4ELNS1_11target_archE910ELNS1_3gpuE8ELNS1_3repE0EEENS1_30default_config_static_selectorELNS0_4arch9wavefront6targetE1EEEvT1_ ; -- Begin function _ZN7rocprim17ROCPRIM_400000_NS6detail17trampoline_kernelINS0_14default_configENS1_29reduce_by_key_config_selectorIffN6thrust23THRUST_200600_302600_NS4plusIfEEEEZZNS1_33reduce_by_key_impl_wrapped_configILNS1_25lookback_scan_determinismE0ES3_S9_NS6_6detail15normal_iteratorINS6_10device_ptrIfEEEESG_SG_SG_PmS8_NS6_8equal_toIfEEEE10hipError_tPvRmT2_T3_mT4_T5_T6_T7_T8_P12ihipStream_tbENKUlT_T0_E_clISt17integral_constantIbLb0EES11_EEDaSW_SX_EUlSW_E_NS1_11comp_targetILNS1_3genE4ELNS1_11target_archE910ELNS1_3gpuE8ELNS1_3repE0EEENS1_30default_config_static_selectorELNS0_4arch9wavefront6targetE1EEEvT1_
	.globl	_ZN7rocprim17ROCPRIM_400000_NS6detail17trampoline_kernelINS0_14default_configENS1_29reduce_by_key_config_selectorIffN6thrust23THRUST_200600_302600_NS4plusIfEEEEZZNS1_33reduce_by_key_impl_wrapped_configILNS1_25lookback_scan_determinismE0ES3_S9_NS6_6detail15normal_iteratorINS6_10device_ptrIfEEEESG_SG_SG_PmS8_NS6_8equal_toIfEEEE10hipError_tPvRmT2_T3_mT4_T5_T6_T7_T8_P12ihipStream_tbENKUlT_T0_E_clISt17integral_constantIbLb0EES11_EEDaSW_SX_EUlSW_E_NS1_11comp_targetILNS1_3genE4ELNS1_11target_archE910ELNS1_3gpuE8ELNS1_3repE0EEENS1_30default_config_static_selectorELNS0_4arch9wavefront6targetE1EEEvT1_
	.p2align	8
	.type	_ZN7rocprim17ROCPRIM_400000_NS6detail17trampoline_kernelINS0_14default_configENS1_29reduce_by_key_config_selectorIffN6thrust23THRUST_200600_302600_NS4plusIfEEEEZZNS1_33reduce_by_key_impl_wrapped_configILNS1_25lookback_scan_determinismE0ES3_S9_NS6_6detail15normal_iteratorINS6_10device_ptrIfEEEESG_SG_SG_PmS8_NS6_8equal_toIfEEEE10hipError_tPvRmT2_T3_mT4_T5_T6_T7_T8_P12ihipStream_tbENKUlT_T0_E_clISt17integral_constantIbLb0EES11_EEDaSW_SX_EUlSW_E_NS1_11comp_targetILNS1_3genE4ELNS1_11target_archE910ELNS1_3gpuE8ELNS1_3repE0EEENS1_30default_config_static_selectorELNS0_4arch9wavefront6targetE1EEEvT1_,@function
_ZN7rocprim17ROCPRIM_400000_NS6detail17trampoline_kernelINS0_14default_configENS1_29reduce_by_key_config_selectorIffN6thrust23THRUST_200600_302600_NS4plusIfEEEEZZNS1_33reduce_by_key_impl_wrapped_configILNS1_25lookback_scan_determinismE0ES3_S9_NS6_6detail15normal_iteratorINS6_10device_ptrIfEEEESG_SG_SG_PmS8_NS6_8equal_toIfEEEE10hipError_tPvRmT2_T3_mT4_T5_T6_T7_T8_P12ihipStream_tbENKUlT_T0_E_clISt17integral_constantIbLb0EES11_EEDaSW_SX_EUlSW_E_NS1_11comp_targetILNS1_3genE4ELNS1_11target_archE910ELNS1_3gpuE8ELNS1_3repE0EEENS1_30default_config_static_selectorELNS0_4arch9wavefront6targetE1EEEvT1_: ; @_ZN7rocprim17ROCPRIM_400000_NS6detail17trampoline_kernelINS0_14default_configENS1_29reduce_by_key_config_selectorIffN6thrust23THRUST_200600_302600_NS4plusIfEEEEZZNS1_33reduce_by_key_impl_wrapped_configILNS1_25lookback_scan_determinismE0ES3_S9_NS6_6detail15normal_iteratorINS6_10device_ptrIfEEEESG_SG_SG_PmS8_NS6_8equal_toIfEEEE10hipError_tPvRmT2_T3_mT4_T5_T6_T7_T8_P12ihipStream_tbENKUlT_T0_E_clISt17integral_constantIbLb0EES11_EEDaSW_SX_EUlSW_E_NS1_11comp_targetILNS1_3genE4ELNS1_11target_archE910ELNS1_3gpuE8ELNS1_3repE0EEENS1_30default_config_static_selectorELNS0_4arch9wavefront6targetE1EEEvT1_
; %bb.0:
	s_load_dwordx8 s[36:43], s[4:5], 0x0
	s_load_dwordx4 s[52:55], s[4:5], 0x20
	s_load_dwordx8 s[44:51], s[4:5], 0x38
	s_load_dwordx2 s[60:61], s[4:5], 0x68
	s_load_dwordx4 s[56:59], s[4:5], 0x58
	s_waitcnt lgkmcnt(0)
	s_lshl_b64 s[0:1], s[38:39], 2
	s_add_u32 s2, s36, s0
	s_addc_u32 s3, s37, s1
	s_add_u32 s4, s40, s0
	s_addc_u32 s5, s41, s1
	s_mul_i32 s0, s48, s47
	s_mul_hi_u32 s1, s48, s46
	s_add_i32 s0, s1, s0
	s_mul_i32 s1, s49, s46
	s_add_i32 s8, s0, s1
	s_mul_i32 s0, s6, 0xf00
	s_mov_b32 s1, 0
	s_lshl_b64 s[0:1], s[0:1], 2
	s_add_u32 s7, s2, s0
	s_addc_u32 s62, s3, s1
	s_mul_i32 s9, s48, s46
	s_add_u32 s48, s4, s0
	s_addc_u32 s49, s5, s1
	s_add_u32 s38, s9, s6
	s_addc_u32 s39, s8, 0
	s_add_u32 s2, s50, -1
	s_addc_u32 s3, s51, -1
	s_cmp_eq_u64 s[38:39], s[2:3]
	s_cselect_b64 s[34:35], -1, 0
	s_cmp_lg_u64 s[38:39], s[2:3]
	s_mov_b64 s[0:1], -1
	s_cselect_b64 s[40:41], -1, 0
	s_mul_i32 s33, s2, 0xfffff100
	s_and_b64 vcc, exec, s[34:35]
	s_cbranch_vccnz .LBB166_2
; %bb.1:
	v_lshlrev_b32_e32 v11, 2, v0
	v_mov_b32_e32 v1, s62
	v_add_co_u32_e32 v2, vcc, s7, v11
	v_addc_co_u32_e32 v3, vcc, 0, v1, vcc
	v_add_co_u32_e32 v4, vcc, 0x1000, v2
	v_addc_co_u32_e32 v5, vcc, 0, v3, vcc
	flat_load_dword v1, v[2:3]
	flat_load_dword v12, v[2:3] offset:1024
	flat_load_dword v13, v[2:3] offset:2048
	;; [unrolled: 1-line block ×3, first 2 shown]
	flat_load_dword v15, v[4:5]
	flat_load_dword v16, v[4:5] offset:1024
	flat_load_dword v17, v[4:5] offset:2048
	;; [unrolled: 1-line block ×3, first 2 shown]
	v_add_co_u32_e32 v4, vcc, 0x2000, v2
	v_addc_co_u32_e32 v5, vcc, 0, v3, vcc
	v_add_co_u32_e32 v2, vcc, 0x3000, v2
	v_addc_co_u32_e32 v3, vcc, 0, v3, vcc
	flat_load_dword v19, v[4:5]
	flat_load_dword v20, v[4:5] offset:1024
	flat_load_dword v21, v[4:5] offset:2048
	;; [unrolled: 1-line block ×3, first 2 shown]
	flat_load_dword v23, v[2:3]
	flat_load_dword v24, v[2:3] offset:1024
	flat_load_dword v25, v[2:3] offset:2048
	v_mov_b32_e32 v3, s49
	v_add_co_u32_e32 v2, vcc, s48, v11
	s_movk_i32 s0, 0x1000
	v_addc_co_u32_e32 v3, vcc, 0, v3, vcc
	v_add_co_u32_e32 v4, vcc, s0, v2
	s_movk_i32 s1, 0x2000
	v_addc_co_u32_e32 v5, vcc, 0, v3, vcc
	;; [unrolled: 3-line block ×3, first 2 shown]
	v_mad_u32_u24 v10, v0, 56, v11
	v_add_co_u32_e32 v8, vcc, s2, v2
	v_addc_co_u32_e32 v9, vcc, 0, v3, vcc
	s_waitcnt vmcnt(0) lgkmcnt(0)
	ds_write2st64_b32 v11, v1, v12 offset1:4
	ds_write2st64_b32 v11, v13, v14 offset0:8 offset1:12
	ds_write2st64_b32 v11, v15, v16 offset0:16 offset1:20
	;; [unrolled: 1-line block ×6, first 2 shown]
	ds_write_b32 v11, v25 offset:14336
	s_waitcnt lgkmcnt(0)
	s_barrier
	ds_read2_b32 v[24:25], v10 offset1:1
	ds_read2_b32 v[22:23], v10 offset0:2 offset1:3
	ds_read2_b32 v[20:21], v10 offset0:4 offset1:5
	;; [unrolled: 1-line block ×6, first 2 shown]
	ds_read_b32 v1, v10 offset:56
	s_waitcnt lgkmcnt(0)
	s_barrier
	flat_load_dword v26, v[2:3]
	flat_load_dword v27, v[2:3] offset:1024
	flat_load_dword v28, v[2:3] offset:2048
	flat_load_dword v29, v[2:3] offset:3072
	flat_load_dword v30, v[4:5]
	flat_load_dword v31, v[4:5] offset:1024
	flat_load_dword v32, v[4:5] offset:2048
	flat_load_dword v33, v[4:5] offset:3072
	;; [unrolled: 4-line block ×3, first 2 shown]
	flat_load_dword v38, v[8:9]
	flat_load_dword v39, v[8:9] offset:1024
	flat_load_dword v40, v[8:9] offset:2048
	v_mov_b32_e32 v8, v24
	v_mov_b32_e32 v9, v22
	;; [unrolled: 1-line block ×7, first 2 shown]
	s_waitcnt vmcnt(0) lgkmcnt(0)
	ds_write2st64_b32 v11, v26, v27 offset1:4
	ds_write2st64_b32 v11, v28, v29 offset0:8 offset1:12
	ds_write2st64_b32 v11, v30, v31 offset0:16 offset1:20
	;; [unrolled: 1-line block ×6, first 2 shown]
	ds_write_b32 v11, v40 offset:14336
	s_waitcnt lgkmcnt(0)
	s_barrier
	s_add_i32 s33, s33, s56
	s_cbranch_execz .LBB166_3
	s_branch .LBB166_50
.LBB166_2:
                                        ; implicit-def: $vgpr1
                                        ; implicit-def: $vgpr12
                                        ; implicit-def: $vgpr14
                                        ; implicit-def: $vgpr16
                                        ; implicit-def: $vgpr18
                                        ; implicit-def: $vgpr20
                                        ; implicit-def: $vgpr22
                                        ; implicit-def: $vgpr24
                                        ; implicit-def: $vgpr10
                                        ; implicit-def: $vgpr2_vgpr3
                                        ; implicit-def: $vgpr4_vgpr5
                                        ; implicit-def: $vgpr8_vgpr9
                                        ; implicit-def: $vgpr6_vgpr7
	s_andn2_b64 vcc, exec, s[0:1]
	s_add_i32 s33, s33, s56
	s_cbranch_vccnz .LBB166_50
.LBB166_3:
	v_cmp_gt_u32_e32 vcc, s33, v0
                                        ; implicit-def: $vgpr1
	s_and_saveexec_b64 s[2:3], vcc
	s_cbranch_execz .LBB166_5
; %bb.4:
	v_lshlrev_b32_e32 v1, 2, v0
	v_mov_b32_e32 v3, s62
	v_add_co_u32_e64 v2, s[0:1], s7, v1
	v_addc_co_u32_e64 v3, s[0:1], 0, v3, s[0:1]
	flat_load_dword v1, v[2:3]
.LBB166_5:
	s_or_b64 exec, exec, s[2:3]
	v_or_b32_e32 v2, 0x100, v0
	v_cmp_gt_u32_e64 s[0:1], s33, v2
                                        ; implicit-def: $vgpr10
	s_and_saveexec_b64 s[4:5], s[0:1]
	s_cbranch_execz .LBB166_7
; %bb.6:
	v_lshlrev_b32_e32 v2, 2, v0
	v_mov_b32_e32 v3, s62
	v_add_co_u32_e64 v2, s[2:3], s7, v2
	v_addc_co_u32_e64 v3, s[2:3], 0, v3, s[2:3]
	flat_load_dword v10, v[2:3] offset:1024
.LBB166_7:
	s_or_b64 exec, exec, s[4:5]
	v_or_b32_e32 v2, 0x200, v0
	v_cmp_gt_u32_e64 s[2:3], s33, v2
                                        ; implicit-def: $vgpr12
	s_and_saveexec_b64 s[8:9], s[2:3]
	s_cbranch_execz .LBB166_9
; %bb.8:
	v_lshlrev_b32_e32 v2, 2, v0
	v_mov_b32_e32 v3, s62
	v_add_co_u32_e64 v2, s[4:5], s7, v2
	v_addc_co_u32_e64 v3, s[4:5], 0, v3, s[4:5]
	flat_load_dword v12, v[2:3] offset:2048
.LBB166_9:
	s_or_b64 exec, exec, s[8:9]
	v_or_b32_e32 v2, 0x300, v0
	v_cmp_gt_u32_e64 s[4:5], s33, v2
                                        ; implicit-def: $vgpr13
	s_and_saveexec_b64 s[10:11], s[4:5]
	s_cbranch_execz .LBB166_11
; %bb.10:
	v_lshlrev_b32_e32 v2, 2, v0
	v_mov_b32_e32 v3, s62
	v_add_co_u32_e64 v2, s[8:9], s7, v2
	v_addc_co_u32_e64 v3, s[8:9], 0, v3, s[8:9]
	flat_load_dword v13, v[2:3] offset:3072
.LBB166_11:
	s_or_b64 exec, exec, s[10:11]
	v_or_b32_e32 v2, 0x400, v0
	v_cmp_gt_u32_e64 s[28:29], s33, v2
	v_lshlrev_b32_e32 v2, 2, v2
                                        ; implicit-def: $vgpr14
	s_and_saveexec_b64 s[10:11], s[28:29]
	s_cbranch_execz .LBB166_13
; %bb.12:
	v_mov_b32_e32 v3, s62
	v_add_co_u32_e64 v4, s[8:9], s7, v2
	v_addc_co_u32_e64 v5, s[8:9], 0, v3, s[8:9]
	flat_load_dword v14, v[4:5]
.LBB166_13:
	s_or_b64 exec, exec, s[10:11]
	v_or_b32_e32 v3, 0x500, v0
	v_cmp_gt_u32_e64 s[8:9], s33, v3
	v_lshlrev_b32_e32 v3, 2, v3
                                        ; implicit-def: $vgpr15
	s_and_saveexec_b64 s[12:13], s[8:9]
	s_cbranch_execz .LBB166_15
; %bb.14:
	v_mov_b32_e32 v5, s62
	v_add_co_u32_e64 v4, s[10:11], s7, v3
	v_addc_co_u32_e64 v5, s[10:11], 0, v5, s[10:11]
	flat_load_dword v15, v[4:5]
.LBB166_15:
	s_or_b64 exec, exec, s[12:13]
	v_or_b32_e32 v4, 0x600, v0
	v_cmp_gt_u32_e64 s[10:11], s33, v4
	v_lshlrev_b32_e32 v4, 2, v4
                                        ; implicit-def: $vgpr16
	s_and_saveexec_b64 s[14:15], s[10:11]
	s_cbranch_execz .LBB166_17
; %bb.16:
	v_mov_b32_e32 v5, s62
	v_add_co_u32_e64 v6, s[12:13], s7, v4
	v_addc_co_u32_e64 v7, s[12:13], 0, v5, s[12:13]
	flat_load_dword v16, v[6:7]
.LBB166_17:
	s_or_b64 exec, exec, s[14:15]
	v_or_b32_e32 v5, 0x700, v0
	v_cmp_gt_u32_e64 s[12:13], s33, v5
	v_lshlrev_b32_e32 v5, 2, v5
                                        ; implicit-def: $vgpr17
	s_and_saveexec_b64 s[16:17], s[12:13]
	s_cbranch_execz .LBB166_19
; %bb.18:
	v_mov_b32_e32 v7, s62
	v_add_co_u32_e64 v6, s[14:15], s7, v5
	v_addc_co_u32_e64 v7, s[14:15], 0, v7, s[14:15]
	flat_load_dword v17, v[6:7]
.LBB166_19:
	s_or_b64 exec, exec, s[16:17]
	v_or_b32_e32 v6, 0x800, v0
	v_cmp_gt_u32_e64 s[14:15], s33, v6
	v_lshlrev_b32_e32 v6, 2, v6
                                        ; implicit-def: $vgpr18
	s_and_saveexec_b64 s[18:19], s[14:15]
	s_cbranch_execz .LBB166_21
; %bb.20:
	v_mov_b32_e32 v7, s62
	v_add_co_u32_e64 v8, s[16:17], s7, v6
	v_addc_co_u32_e64 v9, s[16:17], 0, v7, s[16:17]
	flat_load_dword v18, v[8:9]
.LBB166_21:
	s_or_b64 exec, exec, s[18:19]
	v_or_b32_e32 v7, 0x900, v0
	v_cmp_gt_u32_e64 s[16:17], s33, v7
	v_lshlrev_b32_e32 v7, 2, v7
                                        ; implicit-def: $vgpr19
	s_and_saveexec_b64 s[20:21], s[16:17]
	s_cbranch_execz .LBB166_23
; %bb.22:
	v_mov_b32_e32 v9, s62
	v_add_co_u32_e64 v8, s[18:19], s7, v7
	v_addc_co_u32_e64 v9, s[18:19], 0, v9, s[18:19]
	flat_load_dword v19, v[8:9]
.LBB166_23:
	s_or_b64 exec, exec, s[20:21]
	v_or_b32_e32 v8, 0xa00, v0
	v_cmp_gt_u32_e64 s[18:19], s33, v8
	v_lshlrev_b32_e32 v8, 2, v8
                                        ; implicit-def: $vgpr20
	s_and_saveexec_b64 s[22:23], s[18:19]
	s_cbranch_execz .LBB166_25
; %bb.24:
	v_mov_b32_e32 v9, s62
	v_add_co_u32_e64 v20, s[20:21], s7, v8
	v_addc_co_u32_e64 v21, s[20:21], 0, v9, s[20:21]
	flat_load_dword v20, v[20:21]
.LBB166_25:
	s_or_b64 exec, exec, s[22:23]
	v_or_b32_e32 v9, 0xb00, v0
	v_cmp_gt_u32_e64 s[20:21], s33, v9
	v_lshlrev_b32_e32 v11, 2, v9
                                        ; implicit-def: $vgpr21
	s_and_saveexec_b64 s[24:25], s[20:21]
	s_cbranch_execz .LBB166_27
; %bb.26:
	v_mov_b32_e32 v9, s62
	v_add_co_u32_e64 v22, s[22:23], s7, v11
	v_addc_co_u32_e64 v23, s[22:23], 0, v9, s[22:23]
	flat_load_dword v21, v[22:23]
.LBB166_27:
	s_or_b64 exec, exec, s[24:25]
	v_or_b32_e32 v9, 0xc00, v0
	v_cmp_gt_u32_e64 s[22:23], s33, v9
	v_lshlrev_b32_e32 v26, 2, v9
                                        ; implicit-def: $vgpr22
	s_and_saveexec_b64 s[26:27], s[22:23]
	s_cbranch_execz .LBB166_29
; %bb.28:
	v_mov_b32_e32 v9, s62
	v_add_co_u32_e64 v22, s[24:25], s7, v26
	v_addc_co_u32_e64 v23, s[24:25], 0, v9, s[24:25]
	flat_load_dword v22, v[22:23]
.LBB166_29:
	s_or_b64 exec, exec, s[26:27]
	v_or_b32_e32 v9, 0xd00, v0
	v_cmp_gt_u32_e64 s[24:25], s33, v9
	v_lshlrev_b32_e32 v27, 2, v9
                                        ; implicit-def: $vgpr23
	s_and_saveexec_b64 s[30:31], s[24:25]
	s_cbranch_execz .LBB166_31
; %bb.30:
	v_mov_b32_e32 v9, s62
	v_add_co_u32_e64 v24, s[26:27], s7, v27
	v_addc_co_u32_e64 v25, s[26:27], 0, v9, s[26:27]
	flat_load_dword v23, v[24:25]
.LBB166_31:
	s_or_b64 exec, exec, s[30:31]
	v_or_b32_e32 v9, 0xe00, v0
	v_cmp_gt_u32_e64 s[26:27], s33, v9
	v_lshlrev_b32_e32 v28, 2, v9
                                        ; implicit-def: $vgpr24
	s_and_saveexec_b64 s[36:37], s[26:27]
	s_cbranch_execz .LBB166_33
; %bb.32:
	v_mov_b32_e32 v9, s62
	v_add_co_u32_e64 v24, s[30:31], s7, v28
	v_addc_co_u32_e64 v25, s[30:31], 0, v9, s[30:31]
	flat_load_dword v24, v[24:25]
.LBB166_33:
	s_or_b64 exec, exec, s[36:37]
	v_lshlrev_b32_e32 v9, 2, v0
	s_waitcnt vmcnt(0) lgkmcnt(0)
	ds_write2st64_b32 v9, v1, v10 offset1:4
	ds_write2st64_b32 v9, v12, v13 offset0:8 offset1:12
	ds_write2st64_b32 v9, v14, v15 offset0:16 offset1:20
	;; [unrolled: 1-line block ×6, first 2 shown]
	ds_write_b32 v9, v24 offset:14336
	v_mad_u32_u24 v10, v0, 56, v9
	s_waitcnt lgkmcnt(0)
	s_barrier
	ds_read2_b32 v[24:25], v10 offset1:1
	ds_read2_b32 v[22:23], v10 offset0:2 offset1:3
	ds_read2_b32 v[20:21], v10 offset0:4 offset1:5
	;; [unrolled: 1-line block ×6, first 2 shown]
	ds_read_b32 v1, v10 offset:56
	s_waitcnt lgkmcnt(0)
	s_barrier
	s_waitcnt lgkmcnt(0)
                                        ; implicit-def: $vgpr29
	s_and_saveexec_b64 s[30:31], vcc
	s_cbranch_execnz .LBB166_57
; %bb.34:
	s_or_b64 exec, exec, s[30:31]
                                        ; implicit-def: $vgpr30
	s_and_saveexec_b64 s[30:31], s[0:1]
	s_cbranch_execnz .LBB166_58
.LBB166_35:
	s_or_b64 exec, exec, s[30:31]
                                        ; implicit-def: $vgpr31
	s_and_saveexec_b64 s[0:1], s[2:3]
	s_cbranch_execnz .LBB166_59
.LBB166_36:
	s_or_b64 exec, exec, s[0:1]
                                        ; implicit-def: $vgpr32
	s_and_saveexec_b64 s[0:1], s[4:5]
	s_cbranch_execnz .LBB166_60
.LBB166_37:
	s_or_b64 exec, exec, s[0:1]
                                        ; implicit-def: $vgpr33
	s_and_saveexec_b64 s[0:1], s[28:29]
	s_cbranch_execnz .LBB166_61
.LBB166_38:
	s_or_b64 exec, exec, s[0:1]
                                        ; implicit-def: $vgpr2
	s_and_saveexec_b64 s[0:1], s[8:9]
	s_cbranch_execnz .LBB166_62
.LBB166_39:
	s_or_b64 exec, exec, s[0:1]
                                        ; implicit-def: $vgpr3
	s_and_saveexec_b64 s[0:1], s[10:11]
	s_cbranch_execnz .LBB166_63
.LBB166_40:
	s_or_b64 exec, exec, s[0:1]
                                        ; implicit-def: $vgpr4
	s_and_saveexec_b64 s[0:1], s[12:13]
	s_cbranch_execnz .LBB166_64
.LBB166_41:
	s_or_b64 exec, exec, s[0:1]
                                        ; implicit-def: $vgpr5
	s_and_saveexec_b64 s[0:1], s[14:15]
	s_cbranch_execnz .LBB166_65
.LBB166_42:
	s_or_b64 exec, exec, s[0:1]
                                        ; implicit-def: $vgpr6
	s_and_saveexec_b64 s[0:1], s[16:17]
	s_cbranch_execnz .LBB166_66
.LBB166_43:
	s_or_b64 exec, exec, s[0:1]
                                        ; implicit-def: $vgpr7
	s_and_saveexec_b64 s[0:1], s[18:19]
	s_cbranch_execnz .LBB166_67
.LBB166_44:
	s_or_b64 exec, exec, s[0:1]
                                        ; implicit-def: $vgpr8
	s_and_saveexec_b64 s[0:1], s[20:21]
	s_cbranch_execnz .LBB166_68
.LBB166_45:
	s_or_b64 exec, exec, s[0:1]
                                        ; implicit-def: $vgpr11
	s_and_saveexec_b64 s[0:1], s[22:23]
	s_cbranch_execnz .LBB166_69
.LBB166_46:
	s_or_b64 exec, exec, s[0:1]
                                        ; implicit-def: $vgpr26
	s_and_saveexec_b64 s[0:1], s[24:25]
	s_cbranch_execnz .LBB166_70
.LBB166_47:
	s_or_b64 exec, exec, s[0:1]
                                        ; implicit-def: $vgpr27
	s_and_saveexec_b64 s[0:1], s[26:27]
	s_cbranch_execz .LBB166_49
.LBB166_48:
	v_mov_b32_e32 v27, s49
	v_add_co_u32_e32 v34, vcc, s48, v28
	v_addc_co_u32_e32 v35, vcc, 0, v27, vcc
	flat_load_dword v27, v[34:35]
.LBB166_49:
	s_or_b64 exec, exec, s[0:1]
	s_waitcnt vmcnt(0) lgkmcnt(0)
	ds_write2st64_b32 v9, v29, v30 offset1:4
	ds_write2st64_b32 v9, v31, v32 offset0:8 offset1:12
	ds_write2st64_b32 v9, v33, v2 offset0:16 offset1:20
	;; [unrolled: 1-line block ×6, first 2 shown]
	ds_write_b32 v9, v27 offset:14336
	v_mov_b32_e32 v8, v24
	v_mov_b32_e32 v9, v22
	;; [unrolled: 1-line block ×7, first 2 shown]
	s_waitcnt lgkmcnt(0)
	s_barrier
.LBB166_50:
	ds_read2_b32 v[38:39], v10 offset1:1
	ds_read2_b32 v[36:37], v10 offset0:2 offset1:3
	ds_read2_b32 v[34:35], v10 offset0:4 offset1:5
	ds_read2_b32 v[32:33], v10 offset0:6 offset1:7
	ds_read2_b32 v[30:31], v10 offset0:8 offset1:9
	ds_read2_b32 v[28:29], v10 offset0:10 offset1:11
	ds_read2_b32 v[26:27], v10 offset0:12 offset1:13
	ds_read_b32 v71, v10 offset:56
	s_cmp_eq_u64 s[38:39], 0
	s_cselect_b64 s[36:37], -1, 0
	s_cmp_lg_u64 s[38:39], 0
	s_mov_b64 s[48:49], 0
	s_cselect_b64 s[2:3], -1, 0
	s_and_b64 vcc, exec, s[40:41]
	s_waitcnt lgkmcnt(0)
	s_barrier
	s_cbranch_vccz .LBB166_56
; %bb.51:
	s_and_b64 vcc, exec, s[2:3]
	s_cbranch_vccz .LBB166_71
; %bb.52:
	v_mov_b32_e32 v7, s62
	v_add_co_u32_e64 v10, vcc, -4, s7
	v_addc_co_u32_e32 v11, vcc, -1, v7, vcc
	flat_load_dword v7, v[10:11]
	v_lshlrev_b32_e32 v10, 2, v0
	v_cmp_ne_u32_e32 vcc, 0, v0
	ds_write_b32 v10, v1
	s_waitcnt lgkmcnt(0)
	s_barrier
	s_and_saveexec_b64 s[0:1], vcc
	s_cbranch_execz .LBB166_54
; %bb.53:
	s_waitcnt vmcnt(0)
	v_add_u32_e32 v7, -4, v10
	ds_read_b32 v7, v7
.LBB166_54:
	s_or_b64 exec, exec, s[0:1]
	v_cmp_neq_f32_e32 vcc, v8, v25
	v_cndmask_b32_e64 v67, 0, 1, vcc
	v_cmp_neq_f32_e32 vcc, v9, v25
	v_cndmask_b32_e64 v66, 0, 1, vcc
	;; [unrolled: 2-line block ×14, first 2 shown]
	s_waitcnt vmcnt(0) lgkmcnt(0)
	v_cmp_neq_f32_e64 s[0:1], v7, v24
	s_mov_b64 s[48:49], -1
.LBB166_55:
                                        ; implicit-def: $sgpr8
	s_branch .LBB166_83
.LBB166_56:
                                        ; implicit-def: $sgpr0_sgpr1
                                        ; implicit-def: $vgpr60
                                        ; implicit-def: $vgpr57
                                        ; implicit-def: $vgpr55
                                        ; implicit-def: $vgpr53
                                        ; implicit-def: $vgpr51
                                        ; implicit-def: $vgpr49
                                        ; implicit-def: $vgpr47
                                        ; implicit-def: $vgpr61
                                        ; implicit-def: $vgpr62
                                        ; implicit-def: $vgpr63
                                        ; implicit-def: $vgpr64
                                        ; implicit-def: $vgpr65
                                        ; implicit-def: $vgpr66
                                        ; implicit-def: $vgpr67
                                        ; implicit-def: $sgpr8
	s_cbranch_execnz .LBB166_75
	s_branch .LBB166_83
.LBB166_57:
	v_mov_b32_e32 v29, s49
	v_add_co_u32_e32 v30, vcc, s48, v9
	v_addc_co_u32_e32 v31, vcc, 0, v29, vcc
	flat_load_dword v29, v[30:31]
	s_or_b64 exec, exec, s[30:31]
                                        ; implicit-def: $vgpr30
	s_and_saveexec_b64 s[30:31], s[0:1]
	s_cbranch_execz .LBB166_35
.LBB166_58:
	v_mov_b32_e32 v31, s49
	v_add_co_u32_e32 v30, vcc, s48, v9
	v_addc_co_u32_e32 v31, vcc, 0, v31, vcc
	flat_load_dword v30, v[30:31] offset:1024
	s_or_b64 exec, exec, s[30:31]
                                        ; implicit-def: $vgpr31
	s_and_saveexec_b64 s[0:1], s[2:3]
	s_cbranch_execz .LBB166_36
.LBB166_59:
	v_mov_b32_e32 v31, s49
	v_add_co_u32_e32 v32, vcc, s48, v9
	v_addc_co_u32_e32 v33, vcc, 0, v31, vcc
	flat_load_dword v31, v[32:33] offset:2048
	s_or_b64 exec, exec, s[0:1]
                                        ; implicit-def: $vgpr32
	s_and_saveexec_b64 s[0:1], s[4:5]
	s_cbranch_execz .LBB166_37
.LBB166_60:
	v_mov_b32_e32 v33, s49
	v_add_co_u32_e32 v32, vcc, s48, v9
	v_addc_co_u32_e32 v33, vcc, 0, v33, vcc
	flat_load_dword v32, v[32:33] offset:3072
	s_or_b64 exec, exec, s[0:1]
                                        ; implicit-def: $vgpr33
	s_and_saveexec_b64 s[0:1], s[28:29]
	s_cbranch_execz .LBB166_38
.LBB166_61:
	v_mov_b32_e32 v33, s49
	v_add_co_u32_e32 v34, vcc, s48, v2
	v_addc_co_u32_e32 v35, vcc, 0, v33, vcc
	flat_load_dword v33, v[34:35]
	s_or_b64 exec, exec, s[0:1]
                                        ; implicit-def: $vgpr2
	s_and_saveexec_b64 s[0:1], s[8:9]
	s_cbranch_execz .LBB166_39
.LBB166_62:
	v_mov_b32_e32 v34, s49
	v_add_co_u32_e32 v2, vcc, s48, v3
	v_addc_co_u32_e32 v3, vcc, 0, v34, vcc
	flat_load_dword v2, v[2:3]
	s_or_b64 exec, exec, s[0:1]
                                        ; implicit-def: $vgpr3
	s_and_saveexec_b64 s[0:1], s[10:11]
	s_cbranch_execz .LBB166_40
.LBB166_63:
	v_mov_b32_e32 v3, s49
	v_add_co_u32_e32 v34, vcc, s48, v4
	v_addc_co_u32_e32 v35, vcc, 0, v3, vcc
	flat_load_dword v3, v[34:35]
	s_or_b64 exec, exec, s[0:1]
                                        ; implicit-def: $vgpr4
	s_and_saveexec_b64 s[0:1], s[12:13]
	s_cbranch_execz .LBB166_41
.LBB166_64:
	v_mov_b32_e32 v34, s49
	v_add_co_u32_e32 v4, vcc, s48, v5
	v_addc_co_u32_e32 v5, vcc, 0, v34, vcc
	flat_load_dword v4, v[4:5]
	s_or_b64 exec, exec, s[0:1]
                                        ; implicit-def: $vgpr5
	s_and_saveexec_b64 s[0:1], s[14:15]
	s_cbranch_execz .LBB166_42
.LBB166_65:
	v_mov_b32_e32 v5, s49
	v_add_co_u32_e32 v34, vcc, s48, v6
	v_addc_co_u32_e32 v35, vcc, 0, v5, vcc
	flat_load_dword v5, v[34:35]
	s_or_b64 exec, exec, s[0:1]
                                        ; implicit-def: $vgpr6
	s_and_saveexec_b64 s[0:1], s[16:17]
	s_cbranch_execz .LBB166_43
.LBB166_66:
	v_mov_b32_e32 v34, s49
	v_add_co_u32_e32 v6, vcc, s48, v7
	v_addc_co_u32_e32 v7, vcc, 0, v34, vcc
	flat_load_dword v6, v[6:7]
	s_or_b64 exec, exec, s[0:1]
                                        ; implicit-def: $vgpr7
	s_and_saveexec_b64 s[0:1], s[18:19]
	s_cbranch_execz .LBB166_44
.LBB166_67:
	v_mov_b32_e32 v7, s49
	v_add_co_u32_e32 v34, vcc, s48, v8
	v_addc_co_u32_e32 v35, vcc, 0, v7, vcc
	flat_load_dword v7, v[34:35]
	s_or_b64 exec, exec, s[0:1]
                                        ; implicit-def: $vgpr8
	s_and_saveexec_b64 s[0:1], s[20:21]
	s_cbranch_execz .LBB166_45
.LBB166_68:
	v_mov_b32_e32 v8, s49
	v_add_co_u32_e32 v34, vcc, s48, v11
	v_addc_co_u32_e32 v35, vcc, 0, v8, vcc
	flat_load_dword v8, v[34:35]
	s_or_b64 exec, exec, s[0:1]
                                        ; implicit-def: $vgpr11
	s_and_saveexec_b64 s[0:1], s[22:23]
	s_cbranch_execz .LBB166_46
.LBB166_69:
	v_mov_b32_e32 v11, s49
	v_add_co_u32_e32 v34, vcc, s48, v26
	v_addc_co_u32_e32 v35, vcc, 0, v11, vcc
	flat_load_dword v11, v[34:35]
	s_or_b64 exec, exec, s[0:1]
                                        ; implicit-def: $vgpr26
	s_and_saveexec_b64 s[0:1], s[24:25]
	s_cbranch_execz .LBB166_47
.LBB166_70:
	v_mov_b32_e32 v34, s49
	v_add_co_u32_e32 v26, vcc, s48, v27
	v_addc_co_u32_e32 v27, vcc, 0, v34, vcc
	flat_load_dword v26, v[26:27]
	s_or_b64 exec, exec, s[0:1]
                                        ; implicit-def: $vgpr27
	s_and_saveexec_b64 s[0:1], s[26:27]
	s_cbranch_execnz .LBB166_48
	s_branch .LBB166_49
.LBB166_71:
                                        ; implicit-def: $sgpr0_sgpr1
                                        ; implicit-def: $vgpr60
                                        ; implicit-def: $vgpr57
                                        ; implicit-def: $vgpr55
                                        ; implicit-def: $vgpr53
                                        ; implicit-def: $vgpr51
                                        ; implicit-def: $vgpr49
                                        ; implicit-def: $vgpr47
                                        ; implicit-def: $vgpr61
                                        ; implicit-def: $vgpr62
                                        ; implicit-def: $vgpr63
                                        ; implicit-def: $vgpr64
                                        ; implicit-def: $vgpr65
                                        ; implicit-def: $vgpr66
                                        ; implicit-def: $vgpr67
	s_cbranch_execz .LBB166_55
; %bb.72:
	v_cmp_neq_f32_e32 vcc, v25, v8
	v_cndmask_b32_e64 v67, 0, 1, vcc
	v_cmp_neq_f32_e32 vcc, v25, v9
	v_cndmask_b32_e64 v66, 0, 1, vcc
	;; [unrolled: 2-line block ×13, first 2 shown]
	v_cmp_neq_f32_e32 vcc, v13, v1
	v_lshlrev_b32_e32 v7, 2, v0
	v_cndmask_b32_e64 v60, 0, 1, vcc
	v_cmp_ne_u32_e32 vcc, 0, v0
	ds_write_b32 v7, v1
	s_waitcnt lgkmcnt(0)
	s_barrier
	s_waitcnt lgkmcnt(0)
                                        ; implicit-def: $sgpr0_sgpr1
	s_and_saveexec_b64 s[4:5], vcc
	s_xor_b64 s[4:5], exec, s[4:5]
	s_cbranch_execz .LBB166_74
; %bb.73:
	v_add_u32_e32 v2, -4, v7
	ds_read_b32 v2, v2
	s_or_b64 s[48:49], s[48:49], exec
	s_waitcnt lgkmcnt(0)
	v_cmp_neq_f32_e32 vcc, v2, v24
	s_and_b64 s[0:1], vcc, exec
.LBB166_74:
	s_or_b64 exec, exec, s[4:5]
	s_mov_b32 s8, 1
	s_branch .LBB166_83
.LBB166_75:
	s_mul_hi_u32 s1, s38, 0xfffff100
	s_mul_i32 s0, s39, 0xfffff100
	s_sub_i32 s1, s1, s38
	s_add_i32 s1, s1, s0
	s_mul_i32 s0, s38, 0xfffff100
	s_add_u32 s38, s0, s56
	s_addc_u32 s39, s1, s57
	s_and_b64 vcc, exec, s[2:3]
	v_cmp_neq_f32_e64 s[28:29], v13, v1
	v_cmp_neq_f32_e64 s[26:27], v12, v13
	;; [unrolled: 1-line block ×14, first 2 shown]
	v_mad_u32_u24 v2, v0, 15, 14
	v_mad_u32_u24 v56, v0, 15, 13
	;; [unrolled: 1-line block ×14, first 2 shown]
	v_cmp_ne_u32_e64 s[8:9], 0, v0
	s_cbranch_vccz .LBB166_80
; %bb.76:
	v_mov_b32_e32 v3, s62
	v_add_co_u32_e64 v58, vcc, -4, s7
	v_addc_co_u32_e32 v59, vcc, -1, v3, vcc
	flat_load_dword v68, v[58:59]
	v_mov_b32_e32 v3, 0
	v_cmp_gt_u64_e32 vcc, s[38:39], v[2:3]
	v_mov_b32_e32 v57, v3
	s_and_b64 s[28:29], vcc, s[28:29]
	v_cmp_gt_u64_e32 vcc, s[38:39], v[56:57]
	v_mov_b32_e32 v55, v3
	s_and_b64 s[26:27], vcc, s[26:27]
	;; [unrolled: 3-line block ×13, first 2 shown]
	v_cmp_gt_u64_e32 vcc, s[38:39], v[4:5]
	v_lshlrev_b32_e32 v59, 2, v0
	v_mul_u32_u24_e32 v58, 15, v0
	s_and_b64 s[0:1], vcc, s[0:1]
	ds_write_b32 v59, v1
	s_waitcnt lgkmcnt(0)
	s_barrier
	s_and_saveexec_b64 s[40:41], s[8:9]
	s_cbranch_execz .LBB166_78
; %bb.77:
	v_add_u32_e32 v5, -4, v59
	s_waitcnt vmcnt(0)
	ds_read_b32 v68, v5
.LBB166_78:
	s_or_b64 exec, exec, s[40:41]
	v_mov_b32_e32 v59, v3
	v_cndmask_b32_e64 v67, 0, 1, s[0:1]
	v_cmp_gt_u64_e32 vcc, s[38:39], v[58:59]
	s_waitcnt vmcnt(0) lgkmcnt(0)
	v_cmp_neq_f32_e64 s[0:1], v68, v24
	v_cndmask_b32_e64 v60, 0, 1, s[28:29]
	v_cndmask_b32_e64 v57, 0, 1, s[26:27]
	;; [unrolled: 1-line block ×13, first 2 shown]
	s_and_b64 s[0:1], vcc, s[0:1]
	s_mov_b64 s[48:49], -1
.LBB166_79:
                                        ; implicit-def: $sgpr8
	v_mov_b32_e32 v46, s8
	s_and_saveexec_b64 s[2:3], s[48:49]
	s_cbranch_execnz .LBB166_84
	s_branch .LBB166_85
.LBB166_80:
                                        ; implicit-def: $sgpr0_sgpr1
                                        ; implicit-def: $vgpr60
                                        ; implicit-def: $vgpr57
                                        ; implicit-def: $vgpr55
                                        ; implicit-def: $vgpr53
                                        ; implicit-def: $vgpr51
                                        ; implicit-def: $vgpr49
                                        ; implicit-def: $vgpr47
                                        ; implicit-def: $vgpr61
                                        ; implicit-def: $vgpr62
                                        ; implicit-def: $vgpr63
                                        ; implicit-def: $vgpr64
                                        ; implicit-def: $vgpr65
                                        ; implicit-def: $vgpr66
                                        ; implicit-def: $vgpr67
	s_cbranch_execz .LBB166_79
; %bb.81:
	v_mov_b32_e32 v3, 0
	v_cmp_gt_u64_e32 vcc, s[38:39], v[2:3]
	v_cmp_neq_f32_e64 s[0:1], v13, v1
	s_and_b64 s[0:1], vcc, s[0:1]
	v_mov_b32_e32 v57, v3
	v_cndmask_b32_e64 v60, 0, 1, s[0:1]
	v_cmp_gt_u64_e32 vcc, s[38:39], v[56:57]
	v_cmp_neq_f32_e64 s[0:1], v12, v13
	s_and_b64 s[0:1], vcc, s[0:1]
	v_mov_b32_e32 v55, v3
	v_cndmask_b32_e64 v57, 0, 1, s[0:1]
	;; [unrolled: 5-line block ×13, first 2 shown]
	v_cmp_gt_u64_e32 vcc, s[38:39], v[4:5]
	v_cmp_neq_f32_e64 s[0:1], v24, v25
	s_and_b64 s[0:1], vcc, s[0:1]
	v_lshlrev_b32_e32 v58, 2, v0
	s_mov_b32 s8, 1
	v_cndmask_b32_e64 v67, 0, 1, s[0:1]
	v_cmp_ne_u32_e32 vcc, 0, v0
	ds_write_b32 v58, v1
	s_waitcnt lgkmcnt(0)
	s_barrier
	s_waitcnt lgkmcnt(0)
                                        ; implicit-def: $sgpr0_sgpr1
	s_and_saveexec_b64 s[2:3], vcc
	s_cbranch_execz .LBB166_188
; %bb.82:
	v_add_u32_e32 v2, -4, v58
	ds_read_b32 v4, v2
	v_mul_u32_u24_e32 v2, 15, v0
	v_cmp_gt_u64_e32 vcc, s[38:39], v[2:3]
	s_or_b64 s[48:49], s[48:49], exec
	s_waitcnt lgkmcnt(0)
	v_cmp_neq_f32_e64 s[0:1], v4, v24
	s_and_b64 s[0:1], vcc, s[0:1]
	s_and_b64 s[0:1], s[0:1], exec
	s_or_b64 exec, exec, s[2:3]
.LBB166_83:
	v_mov_b32_e32 v46, s8
	s_and_saveexec_b64 s[2:3], s[48:49]
.LBB166_84:
	v_cndmask_b32_e64 v46, 0, 1, s[0:1]
.LBB166_85:
	s_or_b64 exec, exec, s[2:3]
	s_cmp_eq_u64 s[46:47], 0
	v_add3_u32 v2, v67, v46, v66
	s_cselect_b64 s[38:39], -1, 0
	s_cmp_lg_u32 s6, 0
	v_add_f32_e32 v76, v38, v39
	v_cmp_eq_u32_e64 s[24:25], 0, v67
	v_cmp_eq_u32_e64 s[22:23], 0, v66
	;; [unrolled: 1-line block ×3, first 2 shown]
	v_add3_u32 v75, v2, v65, v64
	v_cmp_eq_u32_e64 s[20:21], 0, v64
	v_cmp_eq_u32_e64 s[16:17], 0, v63
	;; [unrolled: 1-line block ×10, first 2 shown]
	v_cmp_eq_u32_e32 vcc, 0, v60
	v_mbcnt_lo_u32_b32 v74, -1, 0
	v_lshrrev_b32_e32 v72, 6, v0
	v_or_b32_e32 v73, 63, v0
	s_cbranch_scc0 .LBB166_112
; %bb.86:
	v_cndmask_b32_e64 v2, v39, v76, s[24:25]
	v_add_f32_e32 v2, v36, v2
	v_cndmask_b32_e64 v2, v36, v2, s[22:23]
	v_add_f32_e32 v2, v37, v2
	;; [unrolled: 2-line block ×11, first 2 shown]
	v_cndmask_b32_e64 v2, v26, v2, s[2:3]
	v_add3_u32 v3, v75, v63, v62
	v_add_f32_e32 v2, v27, v2
	v_add3_u32 v3, v3, v61, v47
	v_cndmask_b32_e64 v2, v27, v2, s[0:1]
	v_add3_u32 v3, v3, v49, v51
	v_add_f32_e32 v2, v71, v2
	v_add3_u32 v3, v3, v53, v55
	v_cndmask_b32_e32 v2, v71, v2, vcc
	v_add3_u32 v3, v3, v57, v60
	v_mbcnt_hi_u32_b32 v43, -1, v74
	v_mov_b32_dpp v6, v2 row_shr:1 row_mask:0xf bank_mask:0xf
	v_and_b32_e32 v4, 15, v43
	v_add_f32_e32 v6, v2, v6
	v_cmp_eq_u32_e32 vcc, 0, v3
	v_mov_b32_dpp v5, v3 row_shr:1 row_mask:0xf bank_mask:0xf
	v_cndmask_b32_e32 v6, v2, v6, vcc
	v_cmp_eq_u32_e32 vcc, 0, v4
	v_cndmask_b32_e64 v5, v5, 0, vcc
	v_cndmask_b32_e32 v2, v6, v2, vcc
	v_add_u32_e32 v3, v5, v3
	v_cmp_eq_u32_e32 vcc, 0, v3
	v_mov_b32_dpp v6, v2 row_shr:2 row_mask:0xf bank_mask:0xf
	v_add_f32_e32 v6, v2, v6
	v_mov_b32_dpp v5, v3 row_shr:2 row_mask:0xf bank_mask:0xf
	v_cndmask_b32_e32 v6, v2, v6, vcc
	v_cmp_lt_u32_e32 vcc, 1, v4
	v_cndmask_b32_e32 v2, v2, v6, vcc
	v_cndmask_b32_e32 v5, 0, v5, vcc
	v_add_u32_e32 v3, v3, v5
	v_mov_b32_dpp v6, v2 row_shr:4 row_mask:0xf bank_mask:0xf
	v_add_f32_e32 v6, v2, v6
	v_cmp_eq_u32_e32 vcc, 0, v3
	v_mov_b32_dpp v5, v3 row_shr:4 row_mask:0xf bank_mask:0xf
	v_cndmask_b32_e32 v6, v2, v6, vcc
	v_cmp_lt_u32_e32 vcc, 3, v4
	v_cndmask_b32_e32 v2, v2, v6, vcc
	v_cndmask_b32_e32 v5, 0, v5, vcc
	v_add_u32_e32 v3, v5, v3
	v_mov_b32_dpp v6, v2 row_shr:8 row_mask:0xf bank_mask:0xf
	v_add_f32_e32 v6, v2, v6
	v_cmp_eq_u32_e32 vcc, 0, v3
	v_mov_b32_dpp v5, v3 row_shr:8 row_mask:0xf bank_mask:0xf
	v_cndmask_b32_e32 v6, v2, v6, vcc
	v_cmp_lt_u32_e32 vcc, 7, v4
	v_cndmask_b32_e32 v2, v2, v6, vcc
	v_cndmask_b32_e32 v4, 0, v5, vcc
	v_add_u32_e32 v3, v4, v3
	v_mov_b32_dpp v5, v2 row_bcast:15 row_mask:0xf bank_mask:0xf
	v_bfe_i32 v6, v43, 4, 1
	v_mov_b32_dpp v4, v3 row_bcast:15 row_mask:0xf bank_mask:0xf
	v_and_b32_e32 v7, 16, v43
	v_add_f32_e32 v5, v2, v5
	v_cmp_eq_u32_e32 vcc, 0, v3
	v_cndmask_b32_e32 v5, v2, v5, vcc
	v_and_b32_e32 v4, v6, v4
	v_cmp_eq_u32_e32 vcc, 0, v7
	v_add_u32_e32 v4, v4, v3
	v_cndmask_b32_e32 v3, v5, v2, vcc
	v_cmp_eq_u32_e32 vcc, 0, v4
	v_mov_b32_dpp v2, v4 row_bcast:31 row_mask:0xf bank_mask:0xf
	v_mov_b32_dpp v5, v3 row_bcast:31 row_mask:0xf bank_mask:0xf
	v_add_f32_e32 v5, v3, v5
	v_cndmask_b32_e32 v6, v3, v5, vcc
	v_cmp_lt_u32_e32 vcc, 31, v43
	v_cndmask_b32_e32 v2, 0, v2, vcc
	v_add_u32_e32 v2, v2, v4
	v_cmp_eq_u32_e64 s[26:27], v73, v0
	v_lshlrev_b32_e32 v5, 3, v72
	v_cndmask_b32_e32 v4, v3, v6, vcc
	s_and_saveexec_b64 s[30:31], s[26:27]
	s_cbranch_execz .LBB166_88
; %bb.87:
	v_cndmask_b32_e32 v3, v3, v6, vcc
	ds_write_b64 v5, v[2:3] offset:2064
.LBB166_88:
	s_or_b64 exec, exec, s[30:31]
	v_cmp_gt_u32_e32 vcc, 4, v0
	s_waitcnt lgkmcnt(0)
	s_barrier
	s_and_saveexec_b64 s[30:31], vcc
	s_cbranch_execz .LBB166_90
; %bb.89:
	v_lshlrev_b32_e32 v3, 3, v0
	ds_read_b64 v[6:7], v3 offset:2064
	v_and_b32_e32 v8, 3, v43
	v_cmp_lt_u32_e64 s[26:27], 1, v8
	s_waitcnt lgkmcnt(0)
	v_mov_b32_dpp v10, v7 row_shr:1 row_mask:0xf bank_mask:0xf
	v_add_f32_e32 v10, v7, v10
	v_cmp_eq_u32_e32 vcc, 0, v6
	v_mov_b32_dpp v9, v6 row_shr:1 row_mask:0xf bank_mask:0xf
	v_cndmask_b32_e32 v10, v7, v10, vcc
	v_cmp_eq_u32_e32 vcc, 0, v8
	v_cndmask_b32_e64 v9, v9, 0, vcc
	v_add_u32_e32 v6, v9, v6
	v_cndmask_b32_e32 v7, v10, v7, vcc
	v_cmp_eq_u32_e32 vcc, 0, v6
	v_mov_b32_dpp v9, v6 row_shr:2 row_mask:0xf bank_mask:0xf
	v_mov_b32_dpp v10, v7 row_shr:2 row_mask:0xf bank_mask:0xf
	v_add_f32_e32 v10, v7, v10
	v_cndmask_b32_e64 v8, 0, v9, s[26:27]
	s_and_b64 vcc, s[26:27], vcc
	v_add_u32_e32 v6, v8, v6
	v_cndmask_b32_e32 v7, v7, v10, vcc
	ds_write_b64 v3, v[6:7] offset:2064
.LBB166_90:
	s_or_b64 exec, exec, s[30:31]
	v_cmp_gt_u32_e32 vcc, 64, v0
	v_cmp_lt_u32_e64 s[26:27], 63, v0
	v_mov_b32_e32 v40, 0
	v_mov_b32_e32 v41, 0
	s_waitcnt lgkmcnt(0)
	s_barrier
	s_and_saveexec_b64 s[30:31], s[26:27]
	s_cbranch_execz .LBB166_92
; %bb.91:
	ds_read_b64 v[40:41], v5 offset:2056
	v_cmp_eq_u32_e64 s[26:27], 0, v2
	s_waitcnt lgkmcnt(0)
	v_add_u32_e32 v3, v40, v2
	v_add_f32_e32 v5, v4, v41
	v_cndmask_b32_e64 v4, v4, v5, s[26:27]
	v_mov_b32_e32 v2, v3
.LBB166_92:
	s_or_b64 exec, exec, s[30:31]
	v_add_u32_e32 v3, -1, v43
	v_and_b32_e32 v5, 64, v43
	v_cmp_lt_i32_e64 s[26:27], v3, v5
	v_cndmask_b32_e64 v3, v3, v43, s[26:27]
	v_lshlrev_b32_e32 v3, 2, v3
	ds_bpermute_b32 v48, v3, v2
	ds_bpermute_b32 v50, v3, v4
	v_cmp_eq_u32_e64 s[26:27], 0, v43
	s_and_saveexec_b64 s[40:41], vcc
	s_cbranch_execz .LBB166_111
; %bb.93:
	v_mov_b32_e32 v11, 0
	ds_read_b64 v[2:3], v11 offset:2088
	s_waitcnt lgkmcnt(0)
	v_readfirstlane_b32 s7, v3
	s_and_saveexec_b64 s[30:31], s[26:27]
	s_cbranch_execz .LBB166_95
; %bb.94:
	s_add_i32 s46, s6, 64
	s_mov_b32 s47, 0
	s_lshl_b64 s[48:49], s[46:47], 4
	s_add_u32 s48, s44, s48
	s_addc_u32 s49, s45, s49
	s_and_b32 s51, s7, 0xff000000
	s_mov_b32 s50, s47
	s_and_b32 s57, s7, 0xff0000
	s_mov_b32 s56, s47
	s_or_b64 s[50:51], s[56:57], s[50:51]
	s_and_b32 s57, s7, 0xff00
	s_or_b64 s[50:51], s[50:51], s[56:57]
	s_and_b32 s57, s7, 0xff
	s_or_b64 s[46:47], s[50:51], s[56:57]
	v_mov_b32_e32 v9, s47
	v_mov_b32_e32 v10, 1
	;; [unrolled: 1-line block ×3, first 2 shown]
	v_pk_mov_b32 v[4:5], s[48:49], s[48:49] op_sel:[0,1]
	;;#ASMSTART
	global_store_dwordx4 v[4:5], v[8:11] off	
s_waitcnt vmcnt(0)
	;;#ASMEND
.LBB166_95:
	s_or_b64 exec, exec, s[30:31]
	v_xad_u32 v42, v43, -1, s6
	v_add_u32_e32 v10, 64, v42
	v_lshlrev_b64 v[4:5], 4, v[10:11]
	v_mov_b32_e32 v6, s45
	v_add_co_u32_e32 v4, vcc, s44, v4
	s_mov_b32 s30, 0x70605
	v_addc_co_u32_e32 v5, vcc, v6, v5, vcc
	;;#ASMSTART
	global_load_dwordx4 v[6:9], v[4:5] off glc	
s_waitcnt vmcnt(0)
	;;#ASMEND
	v_perm_b32 v45, v7, v8, s30
	s_mov_b32 s30, 0x1000706
	v_perm_b32 v52, v7, v8, s30
	s_mov_b32 s30, 0x2010007
	v_perm_b32 v54, v7, v8, s30
	v_lshlrev_b32_e32 v45, 8, v45
	s_mov_b32 s30, 0xc0c0500
	v_alignbit_b32 v9, v7, v6, 8
	v_alignbit_b32 v44, v7, v6, 16
	;; [unrolled: 1-line block ×3, first 2 shown]
	v_perm_b32 v7, v45, v7, s30
	v_lshlrev_b32_e32 v45, 16, v52
	v_and_b32_e32 v45, 0xff0000, v45
	v_lshlrev_b32_e32 v52, 24, v54
	v_or3_b32 v7, v7, v45, v52
	v_cmp_eq_u16_sdwa s[46:47], v8, v11 src0_sel:BYTE_0 src1_sel:DWORD
	s_and_saveexec_b64 s[30:31], s[46:47]
	s_cbranch_execz .LBB166_99
; %bb.96:
	s_mov_b64 s[46:47], 0
	v_mov_b32_e32 v10, 0
.LBB166_97:                             ; =>This Inner Loop Header: Depth=1
	;;#ASMSTART
	global_load_dwordx4 v[6:9], v[4:5] off glc	
s_waitcnt vmcnt(0)
	;;#ASMEND
	v_cmp_ne_u16_sdwa s[48:49], v8, v10 src0_sel:BYTE_0 src1_sel:DWORD
	s_or_b64 s[46:47], s[48:49], s[46:47]
	s_andn2_b64 exec, exec, s[46:47]
	s_cbranch_execnz .LBB166_97
; %bb.98:
	s_or_b64 exec, exec, s[46:47]
	s_mov_b32 s46, 0x70605
	v_perm_b32 v4, v7, v8, s46
	s_mov_b32 s46, 0x1000706
	v_perm_b32 v5, v7, v8, s46
	;; [unrolled: 2-line block ×3, first 2 shown]
	v_lshlrev_b32_e32 v4, 8, v4
	s_mov_b32 s46, 0xc0c0500
	v_lshlrev_b32_e32 v5, 16, v5
	v_alignbit_b32 v9, v7, v6, 8
	v_alignbit_b32 v44, v7, v6, 16
	;; [unrolled: 1-line block ×3, first 2 shown]
	v_perm_b32 v4, v4, v7, s46
	v_lshlrev_b32_e32 v7, 24, v11
	v_and_b32_e32 v5, 0xff0000, v5
	v_or3_b32 v7, v4, v5, v7
.LBB166_99:
	s_or_b64 exec, exec, s[30:31]
	v_and_b32_e32 v54, 63, v43
	v_cmp_ne_u32_e32 vcc, 63, v54
	v_lshlrev_b32_e32 v5, 8, v9
	v_addc_co_u32_e32 v9, vcc, 0, v43, vcc
	v_lshlrev_b32_e32 v4, 16, v44
	s_mov_b32 s48, 0x4020c0c
	v_mov_b32_e32 v52, 2
	v_lshlrev_b32_e32 v56, 2, v9
	v_perm_b32 v4, v10, v4, s48
	v_and_b32_e32 v5, 0xff00, v5
	v_and_b32_e32 v6, 0xff, v6
	v_cmp_eq_u16_sdwa s[30:31], v8, v52 src0_sel:BYTE_0 src1_sel:DWORD
	v_lshlrev_b64 v[10:11], v43, -1
	ds_bpermute_b32 v9, v56, v7
	v_or3_b32 v4, v4, v5, v6
	v_and_b32_e32 v5, s31, v11
	v_or_b32_e32 v5, 0x80000000, v5
	v_and_b32_e32 v6, s30, v10
	v_ffbl_b32_e32 v5, v5
	v_add_u32_e32 v5, 32, v5
	v_ffbl_b32_e32 v6, v6
	v_min_u32_e32 v5, v6, v5
	s_waitcnt lgkmcnt(0)
	v_add_f32_e32 v9, v7, v9
	v_cmp_eq_u32_e32 vcc, 0, v4
	v_cndmask_b32_e32 v9, v7, v9, vcc
	v_cmp_lt_u32_e32 vcc, v54, v5
	v_cmp_gt_u32_e64 s[30:31], 62, v54
	v_cndmask_b32_e32 v7, v7, v9, vcc
	v_cndmask_b32_e64 v9, 0, 1, s[30:31]
	ds_bpermute_b32 v6, v56, v4
	v_lshlrev_b32_e32 v9, 1, v9
	v_add_lshl_u32 v58, v9, v43, 2
	ds_bpermute_b32 v9, v58, v7
	v_add_u32_e32 v59, 2, v54
	s_waitcnt lgkmcnt(1)
	v_cndmask_b32_e32 v6, 0, v6, vcc
	v_add_u32_e32 v4, v6, v4
	v_cmp_eq_u32_e32 vcc, 0, v4
	s_waitcnt lgkmcnt(0)
	v_add_f32_e32 v9, v7, v9
	v_cndmask_b32_e32 v9, v7, v9, vcc
	v_cmp_gt_u32_e32 vcc, v59, v5
	v_cmp_gt_u32_e64 s[30:31], 60, v54
	v_cndmask_b32_e32 v7, v9, v7, vcc
	v_cndmask_b32_e64 v9, 0, 1, s[30:31]
	ds_bpermute_b32 v6, v58, v4
	v_lshlrev_b32_e32 v9, 2, v9
	v_add_lshl_u32 v68, v9, v43, 2
	ds_bpermute_b32 v9, v68, v7
	v_add_u32_e32 v69, 4, v54
	s_waitcnt lgkmcnt(1)
	v_cndmask_b32_e64 v6, v6, 0, vcc
	v_add_u32_e32 v4, v4, v6
	v_cmp_eq_u32_e32 vcc, 0, v4
	s_waitcnt lgkmcnt(0)
	v_add_f32_e32 v9, v7, v9
	v_cndmask_b32_e32 v9, v7, v9, vcc
	v_cmp_gt_u32_e32 vcc, v69, v5
	v_cmp_gt_u32_e64 s[30:31], 56, v54
	v_cndmask_b32_e32 v7, v9, v7, vcc
	v_cndmask_b32_e64 v9, 0, 1, s[30:31]
	ds_bpermute_b32 v6, v68, v4
	v_lshlrev_b32_e32 v9, 3, v9
	v_add_lshl_u32 v70, v9, v43, 2
	ds_bpermute_b32 v9, v70, v7
	v_add_u32_e32 v77, 8, v54
	s_waitcnt lgkmcnt(1)
	v_cndmask_b32_e64 v6, v6, 0, vcc
	;; [unrolled: 16-line block ×3, first 2 shown]
	v_add_u32_e32 v4, v4, v6
	ds_bpermute_b32 v6, v78, v4
	s_waitcnt lgkmcnt(1)
	v_add_f32_e32 v9, v7, v9
	v_cmp_eq_u32_e32 vcc, 0, v4
	v_cndmask_b32_e32 v9, v7, v9, vcc
	v_cmp_gt_u32_e32 vcc, v79, v5
	v_cmp_gt_u32_e64 s[30:31], 32, v54
	v_cndmask_b32_e32 v7, v9, v7, vcc
	v_cndmask_b32_e64 v9, 0, 1, s[30:31]
	v_lshlrev_b32_e32 v9, 5, v9
	v_add_lshl_u32 v80, v9, v43, 2
	ds_bpermute_b32 v9, v80, v7
	s_waitcnt lgkmcnt(1)
	v_cndmask_b32_e64 v6, v6, 0, vcc
	v_add_u32_e32 v4, v4, v6
	ds_bpermute_b32 v6, v80, v4
	v_add_u32_e32 v81, 32, v54
	s_waitcnt lgkmcnt(1)
	v_add_f32_e32 v9, v7, v9
	v_cmp_eq_u32_e32 vcc, 0, v4
	v_cndmask_b32_e32 v9, v7, v9, vcc
	v_cmp_gt_u32_e32 vcc, v81, v5
	s_waitcnt lgkmcnt(0)
	v_cndmask_b32_e64 v5, v6, 0, vcc
	v_cndmask_b32_e32 v7, v9, v7, vcc
	v_add_u32_e32 v6, v5, v4
	v_mov_b32_e32 v43, 0
	s_mov_b32 s49, 0x70605
	s_mov_b32 s50, 0x1000706
	;; [unrolled: 1-line block ×4, first 2 shown]
	s_branch .LBB166_101
.LBB166_100:                            ;   in Loop: Header=BB166_101 Depth=1
	s_or_b64 exec, exec, s[30:31]
	v_lshlrev_b32_e32 v44, 16, v82
	v_lshlrev_b32_e32 v9, 8, v9
	v_perm_b32 v44, v83, v44, s48
	v_and_b32_e32 v9, 0xff00, v9
	v_and_b32_e32 v6, 0xff, v6
	v_cmp_eq_u16_sdwa s[30:31], v8, v52 src0_sel:BYTE_0 src1_sel:DWORD
	ds_bpermute_b32 v45, v56, v7
	v_or3_b32 v6, v44, v9, v6
	v_and_b32_e32 v9, s31, v11
	v_or_b32_e32 v9, 0x80000000, v9
	v_and_b32_e32 v44, s30, v10
	v_ffbl_b32_e32 v9, v9
	v_add_u32_e32 v9, 32, v9
	v_ffbl_b32_e32 v44, v44
	v_min_u32_e32 v9, v44, v9
	s_waitcnt lgkmcnt(0)
	v_add_f32_e32 v45, v7, v45
	v_cmp_eq_u32_e32 vcc, 0, v6
	ds_bpermute_b32 v44, v56, v6
	v_cndmask_b32_e32 v45, v7, v45, vcc
	v_cmp_lt_u32_e32 vcc, v54, v9
	v_cndmask_b32_e32 v7, v7, v45, vcc
	ds_bpermute_b32 v45, v58, v7
	s_waitcnt lgkmcnt(1)
	v_cndmask_b32_e32 v44, 0, v44, vcc
	v_add_u32_e32 v6, v44, v6
	v_cmp_eq_u32_e32 vcc, 0, v6
	ds_bpermute_b32 v44, v58, v6
	s_waitcnt lgkmcnt(1)
	v_add_f32_e32 v45, v7, v45
	v_cndmask_b32_e32 v45, v7, v45, vcc
	v_cmp_gt_u32_e32 vcc, v59, v9
	v_cndmask_b32_e32 v7, v45, v7, vcc
	ds_bpermute_b32 v45, v68, v7
	s_waitcnt lgkmcnt(1)
	v_cndmask_b32_e64 v44, v44, 0, vcc
	v_add_u32_e32 v6, v6, v44
	v_cmp_eq_u32_e32 vcc, 0, v6
	ds_bpermute_b32 v44, v68, v6
	s_waitcnt lgkmcnt(1)
	v_add_f32_e32 v45, v7, v45
	v_cndmask_b32_e32 v45, v7, v45, vcc
	v_cmp_gt_u32_e32 vcc, v69, v9
	v_cndmask_b32_e32 v7, v45, v7, vcc
	ds_bpermute_b32 v45, v70, v7
	s_waitcnt lgkmcnt(1)
	v_cndmask_b32_e64 v44, v44, 0, vcc
	v_add_u32_e32 v6, v6, v44
	ds_bpermute_b32 v44, v70, v6
	v_cmp_eq_u32_e32 vcc, 0, v6
	s_waitcnt lgkmcnt(1)
	v_add_f32_e32 v45, v7, v45
	v_cndmask_b32_e32 v45, v7, v45, vcc
	v_cmp_gt_u32_e32 vcc, v77, v9
	v_cndmask_b32_e32 v7, v45, v7, vcc
	ds_bpermute_b32 v45, v78, v7
	s_waitcnt lgkmcnt(1)
	v_cndmask_b32_e64 v44, v44, 0, vcc
	v_add_u32_e32 v6, v6, v44
	ds_bpermute_b32 v44, v78, v6
	v_cmp_eq_u32_e32 vcc, 0, v6
	;; [unrolled: 11-line block ×3, first 2 shown]
	s_waitcnt lgkmcnt(1)
	v_add_f32_e32 v45, v7, v45
	v_cndmask_b32_e32 v45, v7, v45, vcc
	v_cmp_gt_u32_e32 vcc, v81, v9
	v_cndmask_b32_e32 v7, v45, v7, vcc
	s_waitcnt lgkmcnt(0)
	v_cndmask_b32_e64 v9, v44, 0, vcc
	v_add_f32_e32 v7, v5, v7
	v_cmp_eq_u32_e32 vcc, 0, v4
	v_subrev_u32_e32 v42, 64, v42
	v_add3_u32 v6, v6, v4, v9
	v_cndmask_b32_e32 v7, v5, v7, vcc
.LBB166_101:                            ; =>This Loop Header: Depth=1
                                        ;     Child Loop BB166_104 Depth 2
	v_cmp_ne_u16_sdwa s[30:31], v8, v52 src0_sel:BYTE_0 src1_sel:DWORD
	v_cndmask_b32_e64 v4, 0, 1, s[30:31]
	;;#ASMSTART
	;;#ASMEND
	v_cmp_ne_u32_e32 vcc, 0, v4
	v_mov_b32_e32 v5, v7
	s_cmp_lg_u64 vcc, exec
	v_mov_b32_e32 v4, v6
	s_cbranch_scc1 .LBB166_106
; %bb.102:                              ;   in Loop: Header=BB166_101 Depth=1
	v_lshlrev_b64 v[6:7], 4, v[42:43]
	v_mov_b32_e32 v8, s45
	v_add_co_u32_e32 v44, vcc, s44, v6
	v_addc_co_u32_e32 v45, vcc, v8, v7, vcc
	;;#ASMSTART
	global_load_dwordx4 v[6:9], v[44:45] off glc	
s_waitcnt vmcnt(0)
	;;#ASMEND
	v_perm_b32 v84, v7, v8, s49
	v_perm_b32 v85, v7, v8, s50
	v_lshlrev_b32_e32 v84, 8, v84
	v_alignbit_b32 v9, v7, v6, 8
	v_alignbit_b32 v82, v7, v6, 16
	;; [unrolled: 1-line block ×3, first 2 shown]
	v_perm_b32 v86, v7, v8, s51
	v_perm_b32 v7, v84, v7, s56
	v_lshlrev_b32_e32 v84, 16, v85
	v_and_b32_e32 v84, 0xff0000, v84
	v_lshlrev_b32_e32 v85, 24, v86
	v_or3_b32 v7, v7, v84, v85
	v_cmp_eq_u16_sdwa s[46:47], v8, v43 src0_sel:BYTE_0 src1_sel:DWORD
	s_and_saveexec_b64 s[30:31], s[46:47]
	s_cbranch_execz .LBB166_100
; %bb.103:                              ;   in Loop: Header=BB166_101 Depth=1
	s_mov_b64 s[46:47], 0
.LBB166_104:                            ;   Parent Loop BB166_101 Depth=1
                                        ; =>  This Inner Loop Header: Depth=2
	;;#ASMSTART
	global_load_dwordx4 v[6:9], v[44:45] off glc	
s_waitcnt vmcnt(0)
	;;#ASMEND
	v_cmp_ne_u16_sdwa s[62:63], v8, v43 src0_sel:BYTE_0 src1_sel:DWORD
	s_or_b64 s[46:47], s[62:63], s[46:47]
	s_andn2_b64 exec, exec, s[46:47]
	s_cbranch_execnz .LBB166_104
; %bb.105:                              ;   in Loop: Header=BB166_101 Depth=1
	s_or_b64 exec, exec, s[46:47]
	v_perm_b32 v44, v7, v8, s49
	v_perm_b32 v45, v7, v8, s50
	v_lshlrev_b32_e32 v44, 8, v44
	v_alignbit_b32 v9, v7, v6, 8
	v_alignbit_b32 v82, v7, v6, 16
	;; [unrolled: 1-line block ×3, first 2 shown]
	v_perm_b32 v84, v7, v8, s51
	v_perm_b32 v7, v44, v7, s56
	v_lshlrev_b32_e32 v44, 16, v45
	v_lshlrev_b32_e32 v45, 24, v84
	v_and_b32_e32 v44, 0xff0000, v44
	v_or3_b32 v7, v7, v44, v45
	s_branch .LBB166_100
.LBB166_106:                            ;   in Loop: Header=BB166_101 Depth=1
                                        ; implicit-def: $vgpr7
                                        ; implicit-def: $vgpr6
                                        ; implicit-def: $vgpr8
	s_cbranch_execz .LBB166_101
; %bb.107:
	s_and_saveexec_b64 s[30:31], s[26:27]
	s_cbranch_execz .LBB166_109
; %bb.108:
	s_mov_b32 s47, 0
	v_add_f32_e32 v7, s7, v5
	v_mov_b32_e32 v8, s7
	v_cmp_eq_u32_e32 vcc, 0, v2
	s_add_i32 s46, s6, 64
	v_cndmask_b32_e32 v7, v8, v7, vcc
	s_lshl_b64 s[6:7], s[46:47], 4
	s_add_u32 s6, s44, s6
	v_and_b32_e32 v8, 0xff000000, v7
	v_and_b32_e32 v10, 0xff0000, v7
	s_addc_u32 s7, s45, s7
	v_or_b32_e32 v8, v10, v8
	v_and_b32_e32 v10, 0xff00, v7
	v_and_b32_e32 v7, 0xff, v7
	v_add_u32_e32 v6, v4, v2
	v_mov_b32_e32 v9, 0
	v_or3_b32 v7, v8, v10, v7
	v_mov_b32_e32 v8, 2
	v_pk_mov_b32 v[10:11], s[6:7], s[6:7] op_sel:[0,1]
	;;#ASMSTART
	global_store_dwordx4 v[10:11], v[6:9] off	
s_waitcnt vmcnt(0)
	;;#ASMEND
	ds_write_b128 v9, v[2:5] offset:2048
.LBB166_109:
	s_or_b64 exec, exec, s[30:31]
	v_cmp_eq_u32_e32 vcc, 0, v0
	s_and_b64 exec, exec, vcc
	s_cbranch_execz .LBB166_111
; %bb.110:
	v_mov_b32_e32 v2, 0
	ds_write_b64 v2, v[4:5] offset:2088
.LBB166_111:
	s_or_b64 exec, exec, s[40:41]
	v_mov_b32_e32 v4, 0
	s_waitcnt lgkmcnt(0)
	s_barrier
	ds_read_b64 v[2:3], v4 offset:2088
	v_cndmask_b32_e64 v5, v50, v41, s[26:27]
	v_cndmask_b32_e64 v6, v48, v40, s[26:27]
	v_cmp_eq_u32_e32 vcc, 0, v6
	s_waitcnt lgkmcnt(0)
	v_add_f32_e32 v7, v5, v3
	v_cndmask_b32_e32 v5, v5, v7, vcc
	v_cmp_eq_u32_e32 vcc, 0, v0
	v_cndmask_b32_e32 v70, v5, v3, vcc
	v_cndmask_b32_e64 v3, v6, 0, vcc
	v_add_u32_e32 v7, v2, v3
	v_add_f32_e32 v2, v38, v70
	v_cmp_eq_u32_e32 vcc, 0, v46
	v_cndmask_b32_e32 v69, v38, v2, vcc
	v_add_f32_e32 v2, v39, v69
	v_cndmask_b32_e64 v68, v39, v2, s[24:25]
	v_add_f32_e32 v2, v36, v68
	v_cndmask_b32_e64 v59, v36, v2, s[22:23]
	;; [unrolled: 2-line block ×11, first 2 shown]
	s_barrier
	ds_read_b128 v[2:5], v4 offset:2048
	v_add_f32_e32 v6, v26, v42
	v_cndmask_b32_e64 v41, v26, v6, s[2:3]
	v_add_f32_e32 v6, v27, v41
	v_cndmask_b32_e64 v44, v27, v6, s[0:1]
	s_waitcnt lgkmcnt(0)
	v_add_f32_e32 v5, v5, v3
	v_cmp_eq_u32_e32 vcc, 0, v2
	v_cndmask_b32_e32 v40, v3, v5, vcc
	v_mov_b32_e32 v6, v4
	v_mov_b32_e32 v5, v7
	s_branch .LBB166_124
.LBB166_112:
                                        ; implicit-def: $vgpr2
                                        ; implicit-def: $vgpr40
                                        ; implicit-def: $vgpr6
                                        ; implicit-def: $vgpr44
                                        ; implicit-def: $vgpr41
                                        ; implicit-def: $vgpr42
                                        ; implicit-def: $vgpr43
                                        ; implicit-def: $vgpr45
                                        ; implicit-def: $vgpr48
                                        ; implicit-def: $vgpr50
                                        ; implicit-def: $vgpr52
                                        ; implicit-def: $vgpr54
                                        ; implicit-def: $vgpr56
                                        ; implicit-def: $vgpr58
                                        ; implicit-def: $vgpr59
                                        ; implicit-def: $vgpr68
                                        ; implicit-def: $vgpr69
                                        ; implicit-def: $vgpr70
	s_cbranch_execz .LBB166_124
; %bb.113:
	s_and_b64 s[0:1], s[38:39], exec
	s_cselect_b32 s1, 0, s61
	s_cselect_b32 s0, 0, s60
	s_cmp_eq_u64 s[0:1], 0
	v_mov_b32_e32 v6, v38
	s_cbranch_scc1 .LBB166_115
; %bb.114:
	v_mov_b32_e32 v2, 0
	global_load_dword v6, v2, s[0:1]
.LBB166_115:
	v_cmp_eq_u32_e64 s[0:1], 0, v67
	v_cndmask_b32_e64 v2, v39, v76, s[0:1]
	v_add_f32_e32 v2, v36, v2
	v_cmp_eq_u32_e64 s[2:3], 0, v66
	v_cndmask_b32_e64 v2, v36, v2, s[2:3]
	v_add_f32_e32 v2, v37, v2
	;; [unrolled: 3-line block ×11, first 2 shown]
	v_cmp_eq_u32_e64 s[22:23], 0, v55
	v_cndmask_b32_e64 v2, v26, v2, s[22:23]
	v_add3_u32 v3, v75, v63, v62
	v_add_f32_e32 v2, v27, v2
	v_cmp_eq_u32_e32 vcc, 0, v57
	v_add3_u32 v3, v3, v61, v47
	v_cndmask_b32_e32 v2, v27, v2, vcc
	v_add3_u32 v3, v3, v49, v51
	v_add_f32_e32 v2, v71, v2
	v_cmp_eq_u32_e64 s[24:25], 0, v60
	v_add3_u32 v3, v3, v53, v55
	v_cndmask_b32_e64 v2, v71, v2, s[24:25]
	v_add3_u32 v3, v3, v57, v60
	v_mbcnt_hi_u32_b32 v7, -1, v74
	v_mov_b32_dpp v8, v2 row_shr:1 row_mask:0xf bank_mask:0xf
	v_and_b32_e32 v4, 15, v7
	v_add_f32_e32 v8, v2, v8
	v_cmp_eq_u32_e64 s[24:25], 0, v3
	v_mov_b32_dpp v5, v3 row_shr:1 row_mask:0xf bank_mask:0xf
	v_cndmask_b32_e64 v8, v2, v8, s[24:25]
	v_cmp_eq_u32_e64 s[24:25], 0, v4
	v_cndmask_b32_e64 v5, v5, 0, s[24:25]
	v_cndmask_b32_e64 v2, v8, v2, s[24:25]
	v_add_u32_e32 v3, v5, v3
	v_cmp_eq_u32_e64 s[24:25], 0, v3
	v_mov_b32_dpp v8, v2 row_shr:2 row_mask:0xf bank_mask:0xf
	v_add_f32_e32 v8, v2, v8
	v_mov_b32_dpp v5, v3 row_shr:2 row_mask:0xf bank_mask:0xf
	v_cndmask_b32_e64 v8, v2, v8, s[24:25]
	v_cmp_lt_u32_e64 s[24:25], 1, v4
	v_cndmask_b32_e64 v2, v2, v8, s[24:25]
	v_cndmask_b32_e64 v5, 0, v5, s[24:25]
	v_add_u32_e32 v3, v3, v5
	v_mov_b32_dpp v8, v2 row_shr:4 row_mask:0xf bank_mask:0xf
	v_add_f32_e32 v8, v2, v8
	v_cmp_eq_u32_e64 s[24:25], 0, v3
	v_mov_b32_dpp v5, v3 row_shr:4 row_mask:0xf bank_mask:0xf
	v_cndmask_b32_e64 v8, v2, v8, s[24:25]
	v_cmp_lt_u32_e64 s[24:25], 3, v4
	v_cndmask_b32_e64 v2, v2, v8, s[24:25]
	v_cndmask_b32_e64 v5, 0, v5, s[24:25]
	v_add_u32_e32 v3, v5, v3
	v_mov_b32_dpp v8, v2 row_shr:8 row_mask:0xf bank_mask:0xf
	v_add_f32_e32 v8, v2, v8
	v_cmp_eq_u32_e64 s[24:25], 0, v3
	v_mov_b32_dpp v5, v3 row_shr:8 row_mask:0xf bank_mask:0xf
	v_cndmask_b32_e64 v8, v2, v8, s[24:25]
	v_cmp_lt_u32_e64 s[24:25], 7, v4
	v_cndmask_b32_e64 v2, v2, v8, s[24:25]
	v_cndmask_b32_e64 v4, 0, v5, s[24:25]
	v_add_u32_e32 v3, v4, v3
	v_mov_b32_dpp v5, v2 row_bcast:15 row_mask:0xf bank_mask:0xf
	v_bfe_i32 v8, v7, 4, 1
	v_mov_b32_dpp v4, v3 row_bcast:15 row_mask:0xf bank_mask:0xf
	v_and_b32_e32 v9, 16, v7
	v_add_f32_e32 v5, v2, v5
	v_cmp_eq_u32_e64 s[24:25], 0, v3
	v_cndmask_b32_e64 v5, v2, v5, s[24:25]
	v_and_b32_e32 v4, v8, v4
	v_cmp_eq_u32_e64 s[24:25], 0, v9
	v_add_u32_e32 v3, v4, v3
	v_cndmask_b32_e64 v4, v5, v2, s[24:25]
	v_cmp_eq_u32_e64 s[24:25], 0, v3
	v_mov_b32_dpp v2, v3 row_bcast:31 row_mask:0xf bank_mask:0xf
	v_mov_b32_dpp v5, v4 row_bcast:31 row_mask:0xf bank_mask:0xf
	v_add_f32_e32 v5, v4, v5
	v_cndmask_b32_e64 v5, v4, v5, s[24:25]
	v_cmp_lt_u32_e64 s[24:25], 31, v7
	v_cndmask_b32_e64 v2, 0, v2, s[24:25]
	v_add_u32_e32 v2, v2, v3
	v_cmp_eq_u32_e64 s[26:27], v73, v0
	v_cndmask_b32_e64 v3, v4, v5, s[24:25]
	v_lshlrev_b32_e32 v5, 3, v72
	s_and_saveexec_b64 s[24:25], s[26:27]
	s_cbranch_execz .LBB166_117
; %bb.116:
	ds_write_b64 v5, v[2:3] offset:2064
.LBB166_117:
	s_or_b64 exec, exec, s[24:25]
	v_cmp_gt_u32_e64 s[24:25], 4, v0
	s_waitcnt lgkmcnt(0)
	s_barrier
	s_and_saveexec_b64 s[28:29], s[24:25]
	s_cbranch_execz .LBB166_119
; %bb.118:
	v_lshlrev_b32_e32 v4, 3, v0
	ds_read_b64 v[8:9], v4 offset:2064
	v_and_b32_e32 v10, 3, v7
	v_cmp_lt_u32_e64 s[26:27], 1, v10
	s_waitcnt lgkmcnt(0)
	v_mov_b32_dpp v40, v9 row_shr:1 row_mask:0xf bank_mask:0xf
	v_add_f32_e32 v40, v9, v40
	v_cmp_eq_u32_e64 s[24:25], 0, v8
	v_mov_b32_dpp v11, v8 row_shr:1 row_mask:0xf bank_mask:0xf
	v_cndmask_b32_e64 v40, v9, v40, s[24:25]
	v_cmp_eq_u32_e64 s[24:25], 0, v10
	v_cndmask_b32_e64 v11, v11, 0, s[24:25]
	v_add_u32_e32 v8, v11, v8
	v_cndmask_b32_e64 v9, v40, v9, s[24:25]
	v_cmp_eq_u32_e64 s[24:25], 0, v8
	v_mov_b32_dpp v11, v8 row_shr:2 row_mask:0xf bank_mask:0xf
	v_mov_b32_dpp v40, v9 row_shr:2 row_mask:0xf bank_mask:0xf
	v_add_f32_e32 v40, v9, v40
	v_cndmask_b32_e64 v10, 0, v11, s[26:27]
	s_and_b64 s[24:25], s[26:27], s[24:25]
	v_add_u32_e32 v8, v10, v8
	v_cndmask_b32_e64 v9, v9, v40, s[24:25]
	ds_write_b64 v4, v[8:9] offset:2064
.LBB166_119:
	s_or_b64 exec, exec, s[28:29]
	v_cmp_lt_u32_e64 s[24:25], 63, v0
	v_mov_b32_e32 v8, 0
	v_mov_b32_e32 v4, 0
	s_waitcnt vmcnt(0)
	v_mov_b32_e32 v9, v6
	s_waitcnt lgkmcnt(0)
	s_barrier
	s_and_saveexec_b64 s[26:27], s[24:25]
	s_cbranch_execz .LBB166_121
; %bb.120:
	ds_read_b64 v[4:5], v5 offset:2056
	s_waitcnt lgkmcnt(0)
	v_add_f32_e32 v9, v6, v5
	v_cmp_eq_u32_e64 s[24:25], 0, v4
	v_cndmask_b32_e64 v9, v5, v9, s[24:25]
.LBB166_121:
	s_or_b64 exec, exec, s[26:27]
	v_add_f32_e32 v10, v3, v9
	v_cmp_eq_u32_e64 s[24:25], 0, v2
	v_add_u32_e32 v5, v4, v2
	v_cndmask_b32_e64 v2, v3, v10, s[24:25]
	v_add_u32_e32 v3, -1, v7
	v_and_b32_e32 v10, 64, v7
	v_cmp_lt_i32_e64 s[24:25], v3, v10
	v_cndmask_b32_e64 v3, v3, v7, s[24:25]
	v_lshlrev_b32_e32 v3, 2, v3
	ds_bpermute_b32 v5, v3, v5
	ds_bpermute_b32 v2, v3, v2
	v_cmp_eq_u32_e64 s[24:25], 0, v7
	v_cmp_eq_u32_e64 s[26:27], 0, v46
	s_waitcnt lgkmcnt(1)
	v_cndmask_b32_e64 v5, v5, v4, s[24:25]
	s_waitcnt lgkmcnt(0)
	v_cndmask_b32_e64 v70, v2, v9, s[24:25]
	v_cmp_eq_u32_e64 s[24:25], 0, v0
	v_cndmask_b32_e64 v2, v70, v6, s[24:25]
	v_add_f32_e32 v2, v38, v2
	v_cndmask_b32_e64 v69, v38, v2, s[26:27]
	v_add_f32_e32 v2, v39, v69
	;; [unrolled: 2-line block ×11, first 2 shown]
	v_cndmask_b32_e64 v43, v28, v2, s[20:21]
	ds_read_b64 v[2:3], v8 offset:2088
	v_add_f32_e32 v4, v29, v43
	v_cndmask_b32_e64 v42, v29, v4, s[18:19]
	v_add_f32_e32 v4, v26, v42
	v_cndmask_b32_e64 v41, v26, v4, s[22:23]
	s_waitcnt lgkmcnt(0)
	v_add_f32_e32 v4, v6, v3
	v_cmp_eq_u32_e64 s[0:1], 0, v2
	v_add_f32_e32 v7, v27, v41
	v_cndmask_b32_e64 v40, v3, v4, s[0:1]
	s_and_saveexec_b64 s[0:1], s[24:25]
	s_cbranch_execz .LBB166_123
; %bb.122:
	s_add_u32 s2, s44, 0x400
	v_and_b32_e32 v3, 0xff000000, v40
	v_and_b32_e32 v4, 0xff0000, v40
	s_addc_u32 s3, s45, 0
	v_or_b32_e32 v3, v4, v3
	v_and_b32_e32 v4, 0xff00, v40
	v_and_b32_e32 v8, 0xff, v40
	v_mov_b32_e32 v5, 0
	v_or3_b32 v3, v3, v4, v8
	v_mov_b32_e32 v4, 2
	v_pk_mov_b32 v[8:9], s[2:3], s[2:3] op_sel:[0,1]
	;;#ASMSTART
	global_store_dwordx4 v[8:9], v[2:5] off	
s_waitcnt vmcnt(0)
	;;#ASMEND
	v_mov_b32_e32 v70, v6
.LBB166_123:
	s_or_b64 exec, exec, s[0:1]
	v_cndmask_b32_e32 v44, v27, v7, vcc
	v_mov_b32_e32 v6, 0
.LBB166_124:
	s_and_b64 s[0:1], s[38:39], exec
	s_cselect_b32 s1, 0, s59
	s_cselect_b32 s0, 0, s58
	s_cmp_eq_u64 s[0:1], 0
	v_pk_mov_b32 v[8:9], 0, 0
	s_barrier
	s_cbranch_scc1 .LBB166_126
; %bb.125:
	v_mov_b32_e32 v3, 0
	global_load_dwordx2 v[8:9], v3, s[0:1]
.LBB166_126:
	s_waitcnt vmcnt(0)
	v_lshlrev_b64 v[10:11], 2, v[8:9]
	v_mov_b32_e32 v7, s43
	v_add_co_u32_e32 v71, vcc, s42, v10
	v_addc_co_u32_e32 v72, vcc, v7, v11, vcc
	v_mov_b32_e32 v7, 0
	v_lshlrev_b64 v[26:27], 2, v[6:7]
	v_add_co_u32_e32 v7, vcc, v71, v26
	v_addc_co_u32_e32 v71, vcc, v72, v27, vcc
	v_cmp_eq_u32_e32 vcc, 0, v46
	v_cndmask_b32_e64 v72, 1, 2, vcc
	v_cmp_eq_u32_e32 vcc, 0, v67
	v_cndmask_b32_e64 v73, 1, 2, vcc
	v_cmp_eq_u32_e32 vcc, 0, v66
	v_and_b32_e32 v72, v73, v72
	v_cndmask_b32_e64 v73, 1, 2, vcc
	v_cmp_eq_u32_e32 vcc, 0, v65
	v_add_u32_e32 v39, v5, v46
	v_and_b32_e32 v72, v72, v73
	v_cndmask_b32_e64 v73, 1, 2, vcc
	v_cmp_eq_u32_e32 vcc, 0, v64
	v_add_u32_e32 v38, v39, v67
	;; [unrolled: 4-line block ×12, first 2 shown]
	v_and_b32_e32 v72, v72, v73
	v_cndmask_b32_e64 v73, 1, 2, vcc
	s_movk_i32 s30, 0x100
	v_add_u32_e32 v4, v28, v55
	v_and_b32_e32 v72, v72, v73
	v_cmp_gt_u32_e32 vcc, s30, v2
	v_add_u32_e32 v3, v4, v57
	v_cmp_ne_u32_e64 s[28:29], 0, v46
	v_cmp_ne_u32_e64 s[26:27], 0, v67
	;; [unrolled: 1-line block ×15, first 2 shown]
	s_mov_b64 s[38:39], -1
	v_cmp_gt_i16_e64 s[30:31], 2, v72
	s_cbranch_vccz .LBB166_133
; %bb.127:
	s_and_saveexec_b64 s[38:39], s[30:31]
	s_cbranch_execz .LBB166_132
; %bb.128:
	v_cmp_ne_u16_e32 vcc, 1, v72
	s_mov_b64 s[40:41], 0
	s_and_saveexec_b64 s[30:31], vcc
	s_xor_b64 s[30:31], exec, s[30:31]
	s_cbranch_execnz .LBB166_189
; %bb.129:
	s_andn2_saveexec_b64 s[30:31], s[30:31]
	s_cbranch_execnz .LBB166_205
.LBB166_130:
	s_or_b64 exec, exec, s[30:31]
	s_and_b64 exec, exec, s[40:41]
	s_cbranch_execz .LBB166_132
.LBB166_131:
	v_sub_u32_e32 v74, v3, v6
	v_mov_b32_e32 v75, 0
	v_lshlrev_b64 v[74:75], 2, v[74:75]
	v_add_co_u32_e32 v74, vcc, v7, v74
	v_addc_co_u32_e32 v75, vcc, v71, v75, vcc
	global_store_dword v[74:75], v1, off
.LBB166_132:
	s_or_b64 exec, exec, s[38:39]
	s_mov_b64 s[38:39], 0
.LBB166_133:
	s_and_b64 vcc, exec, s[38:39]
	s_cbranch_vccz .LBB166_155
; %bb.134:
	v_cmp_gt_i16_e32 vcc, 2, v72
	s_and_saveexec_b64 s[30:31], vcc
	s_cbranch_execz .LBB166_139
; %bb.135:
	v_cmp_ne_u16_e32 vcc, 1, v72
	s_mov_b64 s[40:41], 0
	s_and_saveexec_b64 s[38:39], vcc
	s_xor_b64 s[38:39], exec, s[38:39]
	s_cbranch_execnz .LBB166_206
; %bb.136:
	s_andn2_saveexec_b64 s[0:1], s[38:39]
	s_cbranch_execnz .LBB166_222
.LBB166_137:
	s_or_b64 exec, exec, s[0:1]
	s_and_b64 exec, exec, s[40:41]
	s_cbranch_execz .LBB166_139
.LBB166_138:
	v_sub_u32_e32 v12, v3, v6
	v_lshlrev_b32_e32 v12, 2, v12
	ds_write_b32 v12, v1
.LBB166_139:
	s_or_b64 exec, exec, s[30:31]
	v_cmp_lt_u32_e32 vcc, v0, v2
	s_waitcnt lgkmcnt(0)
	s_barrier
	s_and_saveexec_b64 s[2:3], vcc
	s_cbranch_execz .LBB166_154
; %bb.140:
	v_xad_u32 v1, v0, -1, v2
	s_movk_i32 s0, 0x1700
	v_cmp_gt_u32_e64 s[4:5], s0, v1
	s_movk_i32 s0, 0x16ff
	v_cmp_lt_u32_e32 vcc, s0, v1
	v_mov_b32_e32 v12, v0
	s_and_saveexec_b64 s[6:7], vcc
	s_cbranch_execz .LBB166_151
; %bb.141:
	v_sub_u32_e32 v12, v0, v2
	v_or_b32_e32 v12, 0xff, v12
	v_cmp_ge_u32_e32 vcc, v12, v0
	s_mov_b64 s[0:1], -1
	v_mov_b32_e32 v12, v0
	s_and_saveexec_b64 s[8:9], vcc
	s_cbranch_execz .LBB166_150
; %bb.142:
	v_lshrrev_b32_e32 v16, 8, v1
	v_add_u32_e32 v12, -1, v16
	v_or_b32_e32 v1, 0x100, v0
	v_lshrrev_b32_e32 v13, 1, v12
	v_add_u32_e32 v17, 1, v13
	v_cmp_lt_u32_e32 vcc, 13, v12
	v_mov_b32_e32 v20, 0
	v_pk_mov_b32 v[12:13], v[0:1], v[0:1] op_sel:[0,1]
	s_and_saveexec_b64 s[10:11], vcc
	s_cbranch_execz .LBB166_146
; %bb.143:
	v_and_b32_e32 v18, -8, v17
	v_lshlrev_b32_e32 v19, 2, v0
	s_mov_b32 s14, 0
	s_mov_b64 s[12:13], 0
	v_mov_b32_e32 v15, 0
	v_pk_mov_b32 v[12:13], v[0:1], v[0:1] op_sel:[0,1]
.LBB166_144:                            ; =>This Inner Loop Header: Depth=1
	v_mov_b32_e32 v14, v12
	v_add_u32_e32 v18, -8, v18
	v_lshlrev_b64 v[96:97], 2, v[14:15]
	v_mov_b32_e32 v14, v13
	ds_read2st64_b32 v[22:23], v19 offset1:4
	s_add_i32 s14, s14, 16
	v_cmp_eq_u32_e32 vcc, 0, v18
	v_lshlrev_b64 v[100:101], 2, v[14:15]
	v_add_u32_e32 v14, 0x200, v12
	s_or_b64 s[12:13], vcc, s[12:13]
	v_add_co_u32_e32 v100, vcc, v7, v100
	v_add_u32_e32 v20, 0x200, v13
	v_mov_b32_e32 v21, v15
	ds_read2st64_b32 v[24:25], v19 offset0:8 offset1:12
	ds_read2st64_b32 v[74:75], v19 offset0:16 offset1:20
	v_add_co_u32_e64 v96, s[0:1], v7, v96
	v_addc_co_u32_e32 v101, vcc, v71, v101, vcc
	v_lshlrev_b64 v[102:103], 2, v[14:15]
	v_lshlrev_b64 v[98:99], 2, v[20:21]
	v_addc_co_u32_e64 v97, s[0:1], v71, v97, s[0:1]
	v_add_u32_e32 v14, 0x400, v12
	v_add_co_u32_e32 v102, vcc, v7, v102
	v_add_u32_e32 v72, 0x400, v13
	v_mov_b32_e32 v73, v15
	ds_read2st64_b32 v[78:79], v19 offset0:24 offset1:28
	v_add_co_u32_e64 v98, s[0:1], v7, v98
	v_addc_co_u32_e32 v103, vcc, v71, v103, vcc
	v_lshlrev_b64 v[104:105], 2, v[14:15]
	ds_read2st64_b32 v[82:83], v19 offset0:32 offset1:36
	ds_read2st64_b32 v[86:87], v19 offset0:40 offset1:44
	;; [unrolled: 1-line block ×4, first 2 shown]
	v_lshlrev_b64 v[72:73], 2, v[72:73]
	v_addc_co_u32_e64 v99, s[0:1], v71, v99, s[0:1]
	v_add_u32_e32 v14, 0x600, v12
	s_waitcnt lgkmcnt(7)
	global_store_dword v[96:97], v22, off
	global_store_dword v[100:101], v23, off
	s_waitcnt lgkmcnt(6)
	global_store_dword v[102:103], v24, off
	global_store_dword v[98:99], v25, off
	v_add_co_u32_e32 v22, vcc, v7, v104
	v_add_u32_e32 v76, 0x600, v13
	v_mov_b32_e32 v77, v15
	v_add_co_u32_e64 v72, s[0:1], v7, v72
	v_addc_co_u32_e32 v23, vcc, v71, v105, vcc
	v_lshlrev_b64 v[24:25], 2, v[14:15]
	v_lshlrev_b64 v[76:77], 2, v[76:77]
	v_addc_co_u32_e64 v73, s[0:1], v71, v73, s[0:1]
	v_add_u32_e32 v14, 0x800, v12
	s_waitcnt lgkmcnt(5)
	global_store_dword v[22:23], v74, off
	global_store_dword v[72:73], v75, off
	v_add_co_u32_e32 v22, vcc, v7, v24
	v_add_u32_e32 v80, 0x800, v13
	v_mov_b32_e32 v81, v15
	v_add_co_u32_e64 v76, s[0:1], v7, v76
	v_addc_co_u32_e32 v23, vcc, v71, v25, vcc
	v_lshlrev_b64 v[24:25], 2, v[14:15]
	v_lshlrev_b64 v[80:81], 2, v[80:81]
	v_addc_co_u32_e64 v77, s[0:1], v71, v77, s[0:1]
	v_add_u32_e32 v14, 0xa00, v12
	;; [unrolled: 12-line block ×4, first 2 shown]
	s_waitcnt lgkmcnt(2)
	global_store_dword v[22:23], v86, off
	global_store_dword v[84:85], v87, off
	v_add_co_u32_e32 v22, vcc, v7, v24
	v_add_u32_e32 v92, 0xe00, v13
	v_mov_b32_e32 v93, v15
	v_add_co_u32_e64 v88, s[0:1], v7, v88
	v_addc_co_u32_e32 v23, vcc, v71, v25, vcc
	v_lshlrev_b64 v[24:25], 2, v[14:15]
	v_lshlrev_b64 v[92:93], 2, v[92:93]
	v_addc_co_u32_e64 v89, s[0:1], v71, v89, s[0:1]
	s_waitcnt lgkmcnt(1)
	global_store_dword v[22:23], v90, off
	global_store_dword v[88:89], v91, off
	v_add_co_u32_e32 v22, vcc, v7, v24
	v_add_u32_e32 v19, 0x4000, v19
	v_add_u32_e32 v13, 0x1000, v13
	v_mov_b32_e32 v20, s14
	v_add_co_u32_e64 v92, s[0:1], v7, v92
	v_add_u32_e32 v12, 0x1000, v12
	v_addc_co_u32_e32 v23, vcc, v71, v25, vcc
	v_addc_co_u32_e64 v93, s[0:1], v71, v93, s[0:1]
	s_waitcnt lgkmcnt(0)
	global_store_dword v[22:23], v94, off
	global_store_dword v[92:93], v95, off
	s_andn2_b64 exec, exec, s[12:13]
	s_cbranch_execnz .LBB166_144
; %bb.145:
	s_or_b64 exec, exec, s[12:13]
.LBB166_146:
	s_or_b64 exec, exec, s[10:11]
	v_and_b32_e32 v1, 7, v17
	v_cmp_ne_u32_e32 vcc, 0, v1
	s_and_saveexec_b64 s[10:11], vcc
	s_cbranch_execz .LBB166_149
; %bb.147:
	v_lshlrev_b32_e32 v14, 2, v0
	v_lshl_or_b32 v17, v20, 10, v14
	s_mov_b64 s[12:13], 0
	v_mov_b32_e32 v15, 0
.LBB166_148:                            ; =>This Inner Loop Header: Depth=1
	ds_read2st64_b32 v[18:19], v17 offset1:4
	v_mov_b32_e32 v14, v12
	v_add_u32_e32 v1, -1, v1
	v_lshlrev_b64 v[20:21], 2, v[14:15]
	v_mov_b32_e32 v14, v13
	v_cmp_eq_u32_e32 vcc, 0, v1
	v_add_co_u32_e64 v20, s[0:1], v7, v20
	v_lshlrev_b64 v[22:23], 2, v[14:15]
	v_add_u32_e32 v12, 0x200, v12
	v_add_u32_e32 v17, 0x800, v17
	;; [unrolled: 1-line block ×3, first 2 shown]
	v_addc_co_u32_e64 v21, s[0:1], v71, v21, s[0:1]
	s_or_b64 s[12:13], vcc, s[12:13]
	v_add_co_u32_e32 v22, vcc, v7, v22
	v_addc_co_u32_e32 v23, vcc, v71, v23, vcc
	s_waitcnt lgkmcnt(0)
	global_store_dword v[20:21], v18, off
	global_store_dword v[22:23], v19, off
	s_andn2_b64 exec, exec, s[12:13]
	s_cbranch_execnz .LBB166_148
.LBB166_149:
	s_or_b64 exec, exec, s[10:11]
	v_add_u32_e32 v1, 1, v16
	v_and_b32_e32 v13, 0x1fffffe, v1
	v_cmp_ne_u32_e32 vcc, v1, v13
	v_lshl_or_b32 v12, v13, 8, v0
	s_orn2_b64 s[0:1], vcc, exec
.LBB166_150:
	s_or_b64 exec, exec, s[8:9]
	s_andn2_b64 s[4:5], s[4:5], exec
	s_and_b64 s[0:1], s[0:1], exec
	s_or_b64 s[4:5], s[4:5], s[0:1]
.LBB166_151:
	s_or_b64 exec, exec, s[6:7]
	s_and_b64 exec, exec, s[4:5]
	s_cbranch_execz .LBB166_154
; %bb.152:
	v_lshlrev_b32_e32 v1, 2, v12
	s_mov_b64 s[0:1], 0
	v_mov_b32_e32 v13, 0
.LBB166_153:                            ; =>This Inner Loop Header: Depth=1
	v_lshlrev_b64 v[14:15], 2, v[12:13]
	ds_read_b32 v16, v1
	v_add_co_u32_e32 v14, vcc, v7, v14
	v_add_u32_e32 v12, 0x100, v12
	v_addc_co_u32_e32 v15, vcc, v71, v15, vcc
	v_cmp_ge_u32_e32 vcc, v12, v2
	v_add_u32_e32 v1, 0x400, v1
	s_or_b64 s[0:1], vcc, s[0:1]
	s_waitcnt lgkmcnt(0)
	global_store_dword v[14:15], v16, off
	s_andn2_b64 exec, exec, s[0:1]
	s_cbranch_execnz .LBB166_153
.LBB166_154:
	s_or_b64 exec, exec, s[2:3]
.LBB166_155:
	s_cmpk_lg_i32 s33, 0xf00
	s_cselect_b64 s[0:1], -1, 0
	s_and_b64 s[0:1], s[34:35], s[0:1]
	v_cmp_eq_u32_e32 vcc, 0, v0
	v_cndmask_b32_e64 v16, 0, 1, s[0:1]
	s_and_b64 s[0:1], vcc, s[36:37]
	v_cndmask_b32_e64 v12, v46, 0, s[0:1]
	s_mul_hi_u32 s0, s33, 0x88888889
	s_lshr_b32 s0, s0, 3
	v_mad_i32_i24 v13, v0, -15, s33
	v_cmp_eq_u32_e32 vcc, s0, v0
	v_cmp_ne_u32_e64 s[0:1], 0, v13
	v_cndmask_b32_e64 v14, 1, v12, s[0:1]
	v_cmp_ne_u32_e64 s[0:1], 1, v13
	v_cndmask_b32_e64 v15, 1, v67, s[0:1]
	;; [unrolled: 2-line block ×15, first 2 shown]
	s_and_b64 vcc, s[34:35], vcc
	v_cndmask_b32_e32 v60, v60, v13, vcc
	v_cndmask_b32_e32 v57, v57, v72, vcc
	;; [unrolled: 1-line block ×15, first 2 shown]
	v_mov_b32_e32 v12, s53
	v_add_co_u32_e32 v10, vcc, s52, v10
	v_addc_co_u32_e32 v11, vcc, v12, v11, vcc
	v_cndmask_b32_e64 v1, 0, 1, s[36:37]
	v_add_co_u32_e32 v12, vcc, v10, v26
	v_addc_co_u32_e32 v13, vcc, v11, v27, vcc
	v_lshlrev_b32_e32 v10, 2, v1
	v_add_co_u32_e32 v10, vcc, v10, v12
	v_addc_co_u32_e32 v11, vcc, 0, v13, vcc
	v_add_co_u32_e32 v14, vcc, -4, v10
	v_addc_co_u32_e32 v15, vcc, -1, v11, vcc
	v_cmp_eq_u32_e32 vcc, 0, v49
	v_cndmask_b32_e64 v11, 1, 2, vcc
	v_cmp_eq_u32_e32 vcc, 0, v47
	v_cndmask_b32_e64 v26, 1, 2, vcc
	v_cmp_eq_u32_e32 vcc, 0, v17
	v_and_b32_e32 v11, v26, v11
	v_cmp_ne_u32_e64 s[24:25], 0, v17
	v_cndmask_b32_e64 v17, 1, 2, vcc
	v_cmp_eq_u32_e32 vcc, 0, v18
	v_and_b32_e32 v11, v11, v17
	v_cndmask_b32_e64 v17, 1, 2, vcc
	v_cmp_eq_u32_e32 vcc, 0, v19
	v_and_b32_e32 v11, v11, v17
	;; [unrolled: 3-line block ×10, first 2 shown]
	v_cndmask_b32_e64 v17, 1, 2, vcc
	v_cmp_eq_u32_e32 vcc, 0, v57
	v_sub_u32_e32 v7, v2, v1
	v_and_b32_e32 v11, v11, v17
	v_cndmask_b32_e64 v17, 1, 2, vcc
	v_cmp_eq_u32_e32 vcc, 0, v60
	v_add_u32_e32 v7, v7, v16
	v_and_b32_e32 v11, v11, v17
	v_cndmask_b32_e64 v17, 1, 2, vcc
	s_movk_i32 s30, 0x100
	v_and_b32_e32 v11, v11, v17
	v_cmp_gt_u32_e32 vcc, s30, v7
	v_add_u32_e32 v10, v6, v1
	v_cmp_ne_u32_e64 s[28:29], 0, v49
	v_cmp_ne_u32_e64 s[26:27], 0, v47
	;; [unrolled: 1-line block ×14, first 2 shown]
	s_mov_b64 s[36:37], -1
	v_cmp_gt_i16_e64 s[30:31], 2, v11
	s_barrier
	s_cbranch_vccz .LBB166_162
; %bb.156:
	s_and_saveexec_b64 s[36:37], s[30:31]
	s_cbranch_execz .LBB166_161
; %bb.157:
	v_cmp_ne_u16_e32 vcc, 1, v11
	s_mov_b64 s[38:39], 0
	s_and_saveexec_b64 s[30:31], vcc
	s_xor_b64 s[30:31], exec, s[30:31]
	s_cbranch_execnz .LBB166_223
; %bb.158:
	s_andn2_saveexec_b64 s[30:31], s[30:31]
	s_cbranch_execnz .LBB166_239
.LBB166_159:
	s_or_b64 exec, exec, s[30:31]
	s_and_b64 exec, exec, s[38:39]
	s_cbranch_execz .LBB166_161
.LBB166_160:
	v_sub_u32_e32 v18, v3, v10
	v_mov_b32_e32 v19, 0
	v_lshlrev_b64 v[18:19], 2, v[18:19]
	v_add_co_u32_e32 v18, vcc, v14, v18
	v_addc_co_u32_e32 v19, vcc, v15, v19, vcc
	global_store_dword v[18:19], v44, off
.LBB166_161:
	s_or_b64 exec, exec, s[36:37]
	s_mov_b64 s[36:37], 0
.LBB166_162:
	s_and_b64 vcc, exec, s[36:37]
	s_cbranch_vccz .LBB166_184
; %bb.163:
	v_cmp_gt_i16_e32 vcc, 2, v11
	s_and_saveexec_b64 s[30:31], vcc
	s_cbranch_execz .LBB166_168
; %bb.164:
	v_cmp_ne_u16_e32 vcc, 1, v11
	s_mov_b64 s[38:39], 0
	s_and_saveexec_b64 s[36:37], vcc
	s_xor_b64 s[36:37], exec, s[36:37]
	s_cbranch_execnz .LBB166_240
; %bb.165:
	s_andn2_saveexec_b64 s[0:1], s[36:37]
	s_cbranch_execnz .LBB166_256
.LBB166_166:
	s_or_b64 exec, exec, s[0:1]
	s_and_b64 exec, exec, s[38:39]
	s_cbranch_execz .LBB166_168
.LBB166_167:
	v_sub_u32_e32 v3, v3, v10
	v_lshlrev_b32_e32 v3, 2, v3
	ds_write_b32 v3, v44
.LBB166_168:
	s_or_b64 exec, exec, s[30:31]
	v_cmp_lt_u32_e32 vcc, v0, v7
	s_waitcnt lgkmcnt(0)
	s_barrier
	s_and_saveexec_b64 s[2:3], vcc
	s_cbranch_execz .LBB166_183
; %bb.169:
	v_add_u32_e32 v5, v2, v16
	v_xad_u32 v3, v0, -1, v5
	v_sub_u32_e32 v3, v3, v1
	s_movk_i32 s0, 0x1900
	v_cmp_gt_u32_e64 s[4:5], s0, v3
	s_movk_i32 s0, 0x18ff
	v_cmp_lt_u32_e32 vcc, s0, v3
	v_mov_b32_e32 v4, v0
	s_and_saveexec_b64 s[6:7], vcc
	s_cbranch_execz .LBB166_180
; %bb.170:
	v_sub_u32_e32 v4, v0, v5
	v_add_u32_e32 v1, v4, v1
	v_or_b32_e32 v1, 0xff, v1
	v_cmp_ge_u32_e32 vcc, v1, v0
	s_mov_b64 s[0:1], -1
	v_mov_b32_e32 v4, v0
	s_and_saveexec_b64 s[8:9], vcc
	s_cbranch_execz .LBB166_179
; %bb.171:
	v_lshrrev_b32_e32 v3, 8, v3
	v_add_u32_e32 v4, -1, v3
	v_or_b32_e32 v1, 0x100, v0
	v_lshrrev_b32_e32 v5, 1, v4
	v_add_u32_e32 v17, 1, v5
	v_cmp_lt_u32_e32 vcc, 13, v4
	v_mov_b32_e32 v20, 0
	v_lshlrev_b32_e32 v16, 2, v0
	v_pk_mov_b32 v[4:5], v[0:1], v[0:1] op_sel:[0,1]
	s_and_saveexec_b64 s[10:11], vcc
	s_cbranch_execz .LBB166_175
; %bb.172:
	v_and_b32_e32 v18, -8, v17
	s_mov_b32 s14, 0
	s_mov_b64 s[12:13], 0
	v_mov_b32_e32 v11, 0
	v_mov_b32_e32 v19, v16
	v_pk_mov_b32 v[4:5], v[0:1], v[0:1] op_sel:[0,1]
.LBB166_173:                            ; =>This Inner Loop Header: Depth=1
	v_mov_b32_e32 v10, v4
	v_add_u32_e32 v18, -8, v18
	v_lshlrev_b64 v[52:53], 2, v[10:11]
	v_mov_b32_e32 v10, v5
	ds_read2st64_b32 v[22:23], v19 offset1:4
	s_add_i32 s14, s14, 16
	v_cmp_eq_u32_e32 vcc, 0, v18
	v_lshlrev_b64 v[56:57], 2, v[10:11]
	v_add_u32_e32 v10, 0x200, v4
	s_or_b64 s[12:13], vcc, s[12:13]
	v_add_co_u32_e32 v56, vcc, v14, v56
	v_add_u32_e32 v20, 0x200, v5
	v_mov_b32_e32 v21, v11
	ds_read2st64_b32 v[24:25], v19 offset0:8 offset1:12
	ds_read2st64_b32 v[28:29], v19 offset0:16 offset1:20
	v_add_co_u32_e64 v52, s[0:1], v14, v52
	v_addc_co_u32_e32 v57, vcc, v15, v57, vcc
	v_lshlrev_b64 v[58:59], 2, v[10:11]
	v_lshlrev_b64 v[54:55], 2, v[20:21]
	v_addc_co_u32_e64 v53, s[0:1], v15, v53, s[0:1]
	v_add_u32_e32 v10, 0x400, v4
	v_add_co_u32_e32 v58, vcc, v14, v58
	v_add_u32_e32 v26, 0x400, v5
	v_mov_b32_e32 v27, v11
	ds_read2st64_b32 v[32:33], v19 offset0:24 offset1:28
	v_add_co_u32_e64 v54, s[0:1], v14, v54
	v_addc_co_u32_e32 v59, vcc, v15, v59, vcc
	v_lshlrev_b64 v[60:61], 2, v[10:11]
	ds_read2st64_b32 v[36:37], v19 offset0:32 offset1:36
	ds_read2st64_b32 v[42:43], v19 offset0:40 offset1:44
	;; [unrolled: 1-line block ×4, first 2 shown]
	v_lshlrev_b64 v[26:27], 2, v[26:27]
	v_addc_co_u32_e64 v55, s[0:1], v15, v55, s[0:1]
	v_add_u32_e32 v10, 0x600, v4
	s_waitcnt lgkmcnt(7)
	global_store_dword v[52:53], v22, off
	global_store_dword v[56:57], v23, off
	s_waitcnt lgkmcnt(6)
	global_store_dword v[58:59], v24, off
	global_store_dword v[54:55], v25, off
	v_add_co_u32_e32 v22, vcc, v14, v60
	v_add_u32_e32 v30, 0x600, v5
	v_mov_b32_e32 v31, v11
	v_add_co_u32_e64 v26, s[0:1], v14, v26
	v_addc_co_u32_e32 v23, vcc, v15, v61, vcc
	v_lshlrev_b64 v[24:25], 2, v[10:11]
	v_lshlrev_b64 v[30:31], 2, v[30:31]
	v_addc_co_u32_e64 v27, s[0:1], v15, v27, s[0:1]
	v_add_u32_e32 v10, 0x800, v4
	s_waitcnt lgkmcnt(5)
	global_store_dword v[22:23], v28, off
	global_store_dword v[26:27], v29, off
	v_add_co_u32_e32 v22, vcc, v14, v24
	v_add_u32_e32 v34, 0x800, v5
	v_mov_b32_e32 v35, v11
	v_add_co_u32_e64 v30, s[0:1], v14, v30
	v_addc_co_u32_e32 v23, vcc, v15, v25, vcc
	v_lshlrev_b64 v[24:25], 2, v[10:11]
	v_lshlrev_b64 v[34:35], 2, v[34:35]
	v_addc_co_u32_e64 v31, s[0:1], v15, v31, s[0:1]
	v_add_u32_e32 v10, 0xa00, v4
	;; [unrolled: 12-line block ×4, first 2 shown]
	s_waitcnt lgkmcnt(2)
	global_store_dword v[22:23], v42, off
	global_store_dword v[38:39], v43, off
	v_add_co_u32_e32 v22, vcc, v14, v24
	v_add_u32_e32 v48, 0xe00, v5
	v_mov_b32_e32 v49, v11
	v_add_co_u32_e64 v44, s[0:1], v14, v44
	v_addc_co_u32_e32 v23, vcc, v15, v25, vcc
	v_lshlrev_b64 v[24:25], 2, v[10:11]
	v_lshlrev_b64 v[48:49], 2, v[48:49]
	v_addc_co_u32_e64 v45, s[0:1], v15, v45, s[0:1]
	s_waitcnt lgkmcnt(1)
	global_store_dword v[22:23], v46, off
	global_store_dword v[44:45], v47, off
	v_add_co_u32_e32 v22, vcc, v14, v24
	v_add_u32_e32 v19, 0x4000, v19
	v_add_u32_e32 v5, 0x1000, v5
	v_mov_b32_e32 v20, s14
	v_add_co_u32_e64 v48, s[0:1], v14, v48
	v_add_u32_e32 v4, 0x1000, v4
	v_addc_co_u32_e32 v23, vcc, v15, v25, vcc
	v_addc_co_u32_e64 v49, s[0:1], v15, v49, s[0:1]
	s_waitcnt lgkmcnt(0)
	global_store_dword v[22:23], v50, off
	global_store_dword v[48:49], v51, off
	s_andn2_b64 exec, exec, s[12:13]
	s_cbranch_execnz .LBB166_173
; %bb.174:
	s_or_b64 exec, exec, s[12:13]
.LBB166_175:
	s_or_b64 exec, exec, s[10:11]
	v_and_b32_e32 v1, 7, v17
	v_cmp_ne_u32_e32 vcc, 0, v1
	s_and_saveexec_b64 s[10:11], vcc
	s_cbranch_execz .LBB166_178
; %bb.176:
	v_lshl_or_b32 v16, v20, 10, v16
	s_mov_b64 s[12:13], 0
	v_mov_b32_e32 v11, 0
.LBB166_177:                            ; =>This Inner Loop Header: Depth=1
	ds_read2st64_b32 v[18:19], v16 offset1:4
	v_mov_b32_e32 v10, v4
	v_add_u32_e32 v1, -1, v1
	v_lshlrev_b64 v[20:21], 2, v[10:11]
	v_mov_b32_e32 v10, v5
	v_cmp_eq_u32_e32 vcc, 0, v1
	v_add_co_u32_e64 v20, s[0:1], v14, v20
	v_lshlrev_b64 v[22:23], 2, v[10:11]
	v_add_u32_e32 v4, 0x200, v4
	v_add_u32_e32 v16, 0x800, v16
	;; [unrolled: 1-line block ×3, first 2 shown]
	v_addc_co_u32_e64 v21, s[0:1], v15, v21, s[0:1]
	s_or_b64 s[12:13], vcc, s[12:13]
	v_add_co_u32_e32 v22, vcc, v14, v22
	v_addc_co_u32_e32 v23, vcc, v15, v23, vcc
	s_waitcnt lgkmcnt(0)
	global_store_dword v[20:21], v18, off
	global_store_dword v[22:23], v19, off
	s_andn2_b64 exec, exec, s[12:13]
	s_cbranch_execnz .LBB166_177
.LBB166_178:
	s_or_b64 exec, exec, s[10:11]
	v_add_u32_e32 v1, 1, v3
	v_and_b32_e32 v3, 0x1fffffe, v1
	v_cmp_ne_u32_e32 vcc, v1, v3
	v_lshl_or_b32 v4, v3, 8, v0
	s_orn2_b64 s[0:1], vcc, exec
.LBB166_179:
	s_or_b64 exec, exec, s[8:9]
	s_andn2_b64 s[4:5], s[4:5], exec
	s_and_b64 s[0:1], s[0:1], exec
	s_or_b64 s[4:5], s[4:5], s[0:1]
.LBB166_180:
	s_or_b64 exec, exec, s[6:7]
	s_and_b64 exec, exec, s[4:5]
	s_cbranch_execz .LBB166_183
; %bb.181:
	v_lshlrev_b32_e32 v1, 2, v4
	s_mov_b64 s[0:1], 0
	v_mov_b32_e32 v5, 0
.LBB166_182:                            ; =>This Inner Loop Header: Depth=1
	v_lshlrev_b64 v[10:11], 2, v[4:5]
	ds_read_b32 v3, v1
	v_add_co_u32_e32 v10, vcc, v14, v10
	v_add_u32_e32 v4, 0x100, v4
	v_addc_co_u32_e32 v11, vcc, v15, v11, vcc
	v_cmp_ge_u32_e32 vcc, v4, v7
	v_add_u32_e32 v1, 0x400, v1
	s_or_b64 s[0:1], vcc, s[0:1]
	s_waitcnt lgkmcnt(0)
	global_store_dword v[10:11], v3, off
	s_andn2_b64 exec, exec, s[0:1]
	s_cbranch_execnz .LBB166_182
.LBB166_183:
	s_or_b64 exec, exec, s[2:3]
.LBB166_184:
	s_movk_i32 s0, 0xff
	v_cmp_eq_u32_e32 vcc, s0, v0
	s_and_b64 s[0:1], vcc, s[34:35]
	s_and_saveexec_b64 s[2:3], s[0:1]
	s_cbranch_execz .LBB166_187
; %bb.185:
	v_add_co_u32_e32 v0, vcc, v2, v6
	v_addc_co_u32_e64 v1, s[0:1], 0, 0, vcc
	v_add_co_u32_e32 v0, vcc, v0, v8
	v_mov_b32_e32 v3, 0
	v_addc_co_u32_e32 v1, vcc, v1, v9, vcc
	s_cmpk_lg_i32 s33, 0xf00
	global_store_dwordx2 v3, v[0:1], s[54:55]
	s_cbranch_scc1 .LBB166_187
; %bb.186:
	v_lshlrev_b64 v[0:1], 2, v[2:3]
	v_add_co_u32_e32 v0, vcc, v12, v0
	v_addc_co_u32_e32 v1, vcc, v13, v1, vcc
	global_store_dword v[0:1], v40, off offset:-4
.LBB166_187:
	s_endpgm
.LBB166_188:
	s_or_b64 exec, exec, s[2:3]
	v_mov_b32_e32 v46, s8
	s_and_saveexec_b64 s[2:3], s[48:49]
	s_cbranch_execnz .LBB166_84
	s_branch .LBB166_85
.LBB166_189:
	s_and_saveexec_b64 s[40:41], s[28:29]
	s_cbranch_execnz .LBB166_257
; %bb.190:
	s_or_b64 exec, exec, s[40:41]
	s_and_saveexec_b64 s[40:41], s[26:27]
	s_cbranch_execnz .LBB166_258
.LBB166_191:
	s_or_b64 exec, exec, s[40:41]
	s_and_saveexec_b64 s[40:41], s[24:25]
	s_cbranch_execnz .LBB166_259
.LBB166_192:
	s_or_b64 exec, exec, s[40:41]
	s_and_saveexec_b64 s[40:41], s[22:23]
	s_cbranch_execnz .LBB166_260
.LBB166_193:
	s_or_b64 exec, exec, s[40:41]
	s_and_saveexec_b64 s[40:41], s[20:21]
	s_cbranch_execnz .LBB166_261
.LBB166_194:
	s_or_b64 exec, exec, s[40:41]
	s_and_saveexec_b64 s[40:41], s[18:19]
	s_cbranch_execnz .LBB166_262
.LBB166_195:
	s_or_b64 exec, exec, s[40:41]
	s_and_saveexec_b64 s[40:41], s[16:17]
	s_cbranch_execnz .LBB166_263
.LBB166_196:
	s_or_b64 exec, exec, s[40:41]
	s_and_saveexec_b64 s[40:41], s[14:15]
	s_cbranch_execnz .LBB166_264
.LBB166_197:
	s_or_b64 exec, exec, s[40:41]
	s_and_saveexec_b64 s[40:41], s[12:13]
	s_cbranch_execnz .LBB166_265
.LBB166_198:
	s_or_b64 exec, exec, s[40:41]
	s_and_saveexec_b64 s[40:41], s[10:11]
	s_cbranch_execnz .LBB166_266
.LBB166_199:
	s_or_b64 exec, exec, s[40:41]
	s_and_saveexec_b64 s[40:41], s[8:9]
	s_cbranch_execnz .LBB166_267
.LBB166_200:
	s_or_b64 exec, exec, s[40:41]
	s_and_saveexec_b64 s[40:41], s[6:7]
	s_cbranch_execnz .LBB166_268
.LBB166_201:
	s_or_b64 exec, exec, s[40:41]
	s_and_saveexec_b64 s[40:41], s[4:5]
	s_cbranch_execnz .LBB166_269
.LBB166_202:
	s_or_b64 exec, exec, s[40:41]
	s_and_saveexec_b64 s[40:41], s[2:3]
	s_cbranch_execz .LBB166_204
.LBB166_203:
	v_sub_u32_e32 v74, v4, v6
	v_mov_b32_e32 v75, 0
	v_lshlrev_b64 v[74:75], 2, v[74:75]
	v_add_co_u32_e32 v74, vcc, v7, v74
	v_addc_co_u32_e32 v75, vcc, v71, v75, vcc
	global_store_dword v[74:75], v13, off
.LBB166_204:
	s_or_b64 exec, exec, s[40:41]
	s_and_b64 s[40:41], s[0:1], exec
	s_andn2_saveexec_b64 s[30:31], s[30:31]
	s_cbranch_execz .LBB166_130
.LBB166_205:
	v_sub_u32_e32 v74, v5, v6
	v_mov_b32_e32 v75, 0
	v_lshlrev_b64 v[76:77], 2, v[74:75]
	v_add_co_u32_e32 v76, vcc, v7, v76
	v_addc_co_u32_e32 v77, vcc, v71, v77, vcc
	v_sub_u32_e32 v74, v39, v6
	global_store_dword v[76:77], v24, off
	v_lshlrev_b64 v[76:77], 2, v[74:75]
	v_add_co_u32_e32 v76, vcc, v7, v76
	v_addc_co_u32_e32 v77, vcc, v71, v77, vcc
	v_sub_u32_e32 v74, v38, v6
	global_store_dword v[76:77], v25, off
	;; [unrolled: 5-line block ×12, first 2 shown]
	v_lshlrev_b64 v[76:77], 2, v[74:75]
	v_add_co_u32_e32 v76, vcc, v7, v76
	v_sub_u32_e32 v74, v4, v6
	v_addc_co_u32_e32 v77, vcc, v71, v77, vcc
	v_lshlrev_b64 v[74:75], 2, v[74:75]
	v_add_co_u32_e32 v74, vcc, v7, v74
	v_addc_co_u32_e32 v75, vcc, v71, v75, vcc
	s_or_b64 s[40:41], s[40:41], exec
	global_store_dword v[76:77], v12, off
	global_store_dword v[74:75], v13, off
	s_or_b64 exec, exec, s[30:31]
	s_and_b64 exec, exec, s[40:41]
	s_cbranch_execnz .LBB166_131
	s_branch .LBB166_132
.LBB166_206:
	s_and_saveexec_b64 s[40:41], s[28:29]
	s_cbranch_execnz .LBB166_270
; %bb.207:
	s_or_b64 exec, exec, s[40:41]
	s_and_saveexec_b64 s[28:29], s[26:27]
	s_cbranch_execnz .LBB166_271
.LBB166_208:
	s_or_b64 exec, exec, s[28:29]
	s_and_saveexec_b64 s[26:27], s[24:25]
	s_cbranch_execnz .LBB166_272
.LBB166_209:
	s_or_b64 exec, exec, s[26:27]
	s_and_saveexec_b64 s[24:25], s[22:23]
	s_cbranch_execnz .LBB166_273
.LBB166_210:
	s_or_b64 exec, exec, s[24:25]
	s_and_saveexec_b64 s[22:23], s[20:21]
	s_cbranch_execnz .LBB166_274
.LBB166_211:
	s_or_b64 exec, exec, s[22:23]
	s_and_saveexec_b64 s[20:21], s[18:19]
	s_cbranch_execnz .LBB166_275
.LBB166_212:
	s_or_b64 exec, exec, s[20:21]
	s_and_saveexec_b64 s[18:19], s[16:17]
	s_cbranch_execnz .LBB166_276
.LBB166_213:
	s_or_b64 exec, exec, s[18:19]
	s_and_saveexec_b64 s[16:17], s[14:15]
	s_cbranch_execnz .LBB166_277
.LBB166_214:
	s_or_b64 exec, exec, s[16:17]
	s_and_saveexec_b64 s[14:15], s[12:13]
	s_cbranch_execnz .LBB166_278
.LBB166_215:
	s_or_b64 exec, exec, s[14:15]
	s_and_saveexec_b64 s[12:13], s[10:11]
	s_cbranch_execnz .LBB166_279
.LBB166_216:
	s_or_b64 exec, exec, s[12:13]
	s_and_saveexec_b64 s[10:11], s[8:9]
	s_cbranch_execnz .LBB166_280
.LBB166_217:
	s_or_b64 exec, exec, s[10:11]
	s_and_saveexec_b64 s[8:9], s[6:7]
	s_cbranch_execnz .LBB166_281
.LBB166_218:
	s_or_b64 exec, exec, s[8:9]
	s_and_saveexec_b64 s[6:7], s[4:5]
	s_cbranch_execnz .LBB166_282
.LBB166_219:
	s_or_b64 exec, exec, s[6:7]
	s_and_saveexec_b64 s[4:5], s[2:3]
	s_cbranch_execz .LBB166_221
.LBB166_220:
	v_sub_u32_e32 v12, v4, v6
	v_lshlrev_b32_e32 v12, 2, v12
	ds_write_b32 v12, v13
.LBB166_221:
	s_or_b64 exec, exec, s[4:5]
	s_and_b64 s[40:41], s[0:1], exec
                                        ; implicit-def: $vgpr12
                                        ; implicit-def: $vgpr14
                                        ; implicit-def: $vgpr16
                                        ; implicit-def: $vgpr18
                                        ; implicit-def: $vgpr20
                                        ; implicit-def: $vgpr22
                                        ; implicit-def: $vgpr24
	s_andn2_saveexec_b64 s[0:1], s[38:39]
	s_cbranch_execz .LBB166_137
.LBB166_222:
	v_sub_u32_e32 v72, v5, v6
	v_lshlrev_b32_e32 v72, 2, v72
	ds_write_b32 v72, v24
	v_sub_u32_e32 v24, v39, v6
	v_lshlrev_b32_e32 v24, 2, v24
	ds_write_b32 v24, v25
	;; [unrolled: 3-line block ×13, first 2 shown]
	v_sub_u32_e32 v12, v4, v6
	v_lshlrev_b32_e32 v12, 2, v12
	s_or_b64 s[40:41], s[40:41], exec
	ds_write_b32 v12, v13
	s_or_b64 exec, exec, s[0:1]
	s_and_b64 exec, exec, s[40:41]
	s_cbranch_execnz .LBB166_138
	s_branch .LBB166_139
.LBB166_223:
	s_and_saveexec_b64 s[38:39], s[28:29]
	s_cbranch_execnz .LBB166_283
; %bb.224:
	s_or_b64 exec, exec, s[38:39]
	s_and_saveexec_b64 s[38:39], s[26:27]
	s_cbranch_execnz .LBB166_284
.LBB166_225:
	s_or_b64 exec, exec, s[38:39]
	s_and_saveexec_b64 s[38:39], s[24:25]
	s_cbranch_execnz .LBB166_285
.LBB166_226:
	s_or_b64 exec, exec, s[38:39]
	s_and_saveexec_b64 s[38:39], s[22:23]
	s_cbranch_execnz .LBB166_286
.LBB166_227:
	s_or_b64 exec, exec, s[38:39]
	s_and_saveexec_b64 s[38:39], s[20:21]
	s_cbranch_execnz .LBB166_287
.LBB166_228:
	s_or_b64 exec, exec, s[38:39]
	s_and_saveexec_b64 s[38:39], s[18:19]
	s_cbranch_execnz .LBB166_288
.LBB166_229:
	s_or_b64 exec, exec, s[38:39]
	s_and_saveexec_b64 s[38:39], s[16:17]
	s_cbranch_execnz .LBB166_289
.LBB166_230:
	s_or_b64 exec, exec, s[38:39]
	s_and_saveexec_b64 s[38:39], s[14:15]
	s_cbranch_execnz .LBB166_290
.LBB166_231:
	s_or_b64 exec, exec, s[38:39]
	s_and_saveexec_b64 s[38:39], s[12:13]
	s_cbranch_execnz .LBB166_291
.LBB166_232:
	s_or_b64 exec, exec, s[38:39]
	s_and_saveexec_b64 s[38:39], s[10:11]
	s_cbranch_execnz .LBB166_292
.LBB166_233:
	s_or_b64 exec, exec, s[38:39]
	s_and_saveexec_b64 s[38:39], s[8:9]
	s_cbranch_execnz .LBB166_293
.LBB166_234:
	s_or_b64 exec, exec, s[38:39]
	s_and_saveexec_b64 s[38:39], s[6:7]
	s_cbranch_execnz .LBB166_294
.LBB166_235:
	s_or_b64 exec, exec, s[38:39]
	s_and_saveexec_b64 s[38:39], s[4:5]
	s_cbranch_execnz .LBB166_295
.LBB166_236:
	s_or_b64 exec, exec, s[38:39]
	s_and_saveexec_b64 s[38:39], s[2:3]
	s_cbranch_execz .LBB166_238
.LBB166_237:
	v_sub_u32_e32 v18, v4, v10
	v_mov_b32_e32 v19, 0
	v_lshlrev_b64 v[18:19], 2, v[18:19]
	v_add_co_u32_e32 v18, vcc, v14, v18
	v_addc_co_u32_e32 v19, vcc, v15, v19, vcc
	global_store_dword v[18:19], v41, off
.LBB166_238:
	s_or_b64 exec, exec, s[38:39]
	s_and_b64 s[38:39], s[0:1], exec
	s_andn2_saveexec_b64 s[30:31], s[30:31]
	s_cbranch_execz .LBB166_159
.LBB166_239:
	v_sub_u32_e32 v18, v5, v10
	v_mov_b32_e32 v19, 0
	v_lshlrev_b64 v[20:21], 2, v[18:19]
	v_add_co_u32_e32 v20, vcc, v14, v20
	v_addc_co_u32_e32 v21, vcc, v15, v21, vcc
	v_sub_u32_e32 v18, v39, v10
	global_store_dword v[20:21], v70, off
	v_lshlrev_b64 v[20:21], 2, v[18:19]
	v_add_co_u32_e32 v20, vcc, v14, v20
	v_addc_co_u32_e32 v21, vcc, v15, v21, vcc
	v_sub_u32_e32 v18, v38, v10
	global_store_dword v[20:21], v69, off
	;; [unrolled: 5-line block ×12, first 2 shown]
	v_lshlrev_b64 v[20:21], 2, v[18:19]
	v_add_co_u32_e32 v20, vcc, v14, v20
	v_sub_u32_e32 v18, v4, v10
	v_addc_co_u32_e32 v21, vcc, v15, v21, vcc
	v_lshlrev_b64 v[18:19], 2, v[18:19]
	v_add_co_u32_e32 v18, vcc, v14, v18
	v_addc_co_u32_e32 v19, vcc, v15, v19, vcc
	s_or_b64 s[38:39], s[38:39], exec
	global_store_dword v[20:21], v42, off
	global_store_dword v[18:19], v41, off
	s_or_b64 exec, exec, s[30:31]
	s_and_b64 exec, exec, s[38:39]
	s_cbranch_execnz .LBB166_160
	s_branch .LBB166_161
.LBB166_240:
	s_and_saveexec_b64 s[38:39], s[28:29]
	s_cbranch_execnz .LBB166_296
; %bb.241:
	s_or_b64 exec, exec, s[38:39]
	s_and_saveexec_b64 s[28:29], s[26:27]
	s_cbranch_execnz .LBB166_297
.LBB166_242:
	s_or_b64 exec, exec, s[28:29]
	s_and_saveexec_b64 s[26:27], s[24:25]
	s_cbranch_execnz .LBB166_298
.LBB166_243:
	s_or_b64 exec, exec, s[26:27]
	s_and_saveexec_b64 s[24:25], s[22:23]
	s_cbranch_execnz .LBB166_299
.LBB166_244:
	s_or_b64 exec, exec, s[24:25]
	s_and_saveexec_b64 s[22:23], s[20:21]
	s_cbranch_execnz .LBB166_300
.LBB166_245:
	s_or_b64 exec, exec, s[22:23]
	s_and_saveexec_b64 s[20:21], s[18:19]
	s_cbranch_execnz .LBB166_301
.LBB166_246:
	s_or_b64 exec, exec, s[20:21]
	s_and_saveexec_b64 s[18:19], s[16:17]
	s_cbranch_execnz .LBB166_302
.LBB166_247:
	s_or_b64 exec, exec, s[18:19]
	s_and_saveexec_b64 s[16:17], s[14:15]
	s_cbranch_execnz .LBB166_303
.LBB166_248:
	s_or_b64 exec, exec, s[16:17]
	s_and_saveexec_b64 s[14:15], s[12:13]
	s_cbranch_execnz .LBB166_304
.LBB166_249:
	s_or_b64 exec, exec, s[14:15]
	s_and_saveexec_b64 s[12:13], s[10:11]
	s_cbranch_execnz .LBB166_305
.LBB166_250:
	s_or_b64 exec, exec, s[12:13]
	s_and_saveexec_b64 s[10:11], s[8:9]
	s_cbranch_execnz .LBB166_306
.LBB166_251:
	s_or_b64 exec, exec, s[10:11]
	s_and_saveexec_b64 s[8:9], s[6:7]
	s_cbranch_execnz .LBB166_307
.LBB166_252:
	s_or_b64 exec, exec, s[8:9]
	s_and_saveexec_b64 s[6:7], s[4:5]
	s_cbranch_execnz .LBB166_308
.LBB166_253:
	s_or_b64 exec, exec, s[6:7]
	s_and_saveexec_b64 s[4:5], s[2:3]
	s_cbranch_execz .LBB166_255
.LBB166_254:
	v_sub_u32_e32 v4, v4, v10
	v_lshlrev_b32_e32 v4, 2, v4
	ds_write_b32 v4, v41
.LBB166_255:
	s_or_b64 exec, exec, s[4:5]
	s_and_b64 s[38:39], s[0:1], exec
                                        ; implicit-def: $vgpr41
                                        ; implicit-def: $vgpr42
                                        ; implicit-def: $vgpr43
                                        ; implicit-def: $vgpr45
                                        ; implicit-def: $vgpr48
                                        ; implicit-def: $vgpr50
                                        ; implicit-def: $vgpr52
                                        ; implicit-def: $vgpr54
                                        ; implicit-def: $vgpr56
                                        ; implicit-def: $vgpr58
                                        ; implicit-def: $vgpr59
                                        ; implicit-def: $vgpr68
                                        ; implicit-def: $vgpr69
                                        ; implicit-def: $vgpr70
                                        ; implicit-def: $vgpr39
                                        ; implicit-def: $vgpr38
                                        ; implicit-def: $vgpr37
                                        ; implicit-def: $vgpr36
                                        ; implicit-def: $vgpr35
                                        ; implicit-def: $vgpr34
                                        ; implicit-def: $vgpr33
                                        ; implicit-def: $vgpr32
                                        ; implicit-def: $vgpr31
                                        ; implicit-def: $vgpr30
                                        ; implicit-def: $vgpr29
                                        ; implicit-def: $vgpr28
                                        ; implicit-def: $vgpr4
	s_andn2_saveexec_b64 s[0:1], s[36:37]
	s_cbranch_execz .LBB166_166
.LBB166_256:
	v_sub_u32_e32 v5, v5, v10
	v_lshlrev_b32_e32 v5, 2, v5
	ds_write_b32 v5, v70
	v_sub_u32_e32 v5, v39, v10
	v_lshlrev_b32_e32 v5, 2, v5
	ds_write_b32 v5, v69
	;; [unrolled: 3-line block ×12, first 2 shown]
	v_sub_u32_e32 v5, v28, v10
	v_sub_u32_e32 v4, v4, v10
	v_lshlrev_b32_e32 v5, 2, v5
	v_lshlrev_b32_e32 v4, 2, v4
	s_or_b64 s[38:39], s[38:39], exec
	ds_write_b32 v5, v42
	ds_write_b32 v4, v41
	s_or_b64 exec, exec, s[0:1]
	s_and_b64 exec, exec, s[38:39]
	s_cbranch_execnz .LBB166_167
	s_branch .LBB166_168
.LBB166_257:
	v_sub_u32_e32 v74, v5, v6
	v_mov_b32_e32 v75, 0
	v_lshlrev_b64 v[74:75], 2, v[74:75]
	v_add_co_u32_e32 v74, vcc, v7, v74
	v_addc_co_u32_e32 v75, vcc, v71, v75, vcc
	global_store_dword v[74:75], v24, off
	s_or_b64 exec, exec, s[40:41]
	s_and_saveexec_b64 s[40:41], s[26:27]
	s_cbranch_execz .LBB166_191
.LBB166_258:
	v_sub_u32_e32 v74, v39, v6
	v_mov_b32_e32 v75, 0
	v_lshlrev_b64 v[74:75], 2, v[74:75]
	v_add_co_u32_e32 v74, vcc, v7, v74
	v_addc_co_u32_e32 v75, vcc, v71, v75, vcc
	global_store_dword v[74:75], v25, off
	s_or_b64 exec, exec, s[40:41]
	s_and_saveexec_b64 s[40:41], s[24:25]
	s_cbranch_execz .LBB166_192
.LBB166_259:
	v_sub_u32_e32 v74, v38, v6
	v_mov_b32_e32 v75, 0
	v_lshlrev_b64 v[74:75], 2, v[74:75]
	v_add_co_u32_e32 v74, vcc, v7, v74
	v_addc_co_u32_e32 v75, vcc, v71, v75, vcc
	global_store_dword v[74:75], v22, off
	s_or_b64 exec, exec, s[40:41]
	s_and_saveexec_b64 s[40:41], s[22:23]
	s_cbranch_execz .LBB166_193
.LBB166_260:
	v_sub_u32_e32 v74, v37, v6
	v_mov_b32_e32 v75, 0
	v_lshlrev_b64 v[74:75], 2, v[74:75]
	v_add_co_u32_e32 v74, vcc, v7, v74
	v_addc_co_u32_e32 v75, vcc, v71, v75, vcc
	global_store_dword v[74:75], v23, off
	s_or_b64 exec, exec, s[40:41]
	s_and_saveexec_b64 s[40:41], s[20:21]
	s_cbranch_execz .LBB166_194
.LBB166_261:
	v_sub_u32_e32 v74, v36, v6
	v_mov_b32_e32 v75, 0
	v_lshlrev_b64 v[74:75], 2, v[74:75]
	v_add_co_u32_e32 v74, vcc, v7, v74
	v_addc_co_u32_e32 v75, vcc, v71, v75, vcc
	global_store_dword v[74:75], v20, off
	s_or_b64 exec, exec, s[40:41]
	s_and_saveexec_b64 s[40:41], s[18:19]
	s_cbranch_execz .LBB166_195
.LBB166_262:
	v_sub_u32_e32 v74, v35, v6
	v_mov_b32_e32 v75, 0
	v_lshlrev_b64 v[74:75], 2, v[74:75]
	v_add_co_u32_e32 v74, vcc, v7, v74
	v_addc_co_u32_e32 v75, vcc, v71, v75, vcc
	global_store_dword v[74:75], v21, off
	s_or_b64 exec, exec, s[40:41]
	s_and_saveexec_b64 s[40:41], s[16:17]
	s_cbranch_execz .LBB166_196
.LBB166_263:
	v_sub_u32_e32 v74, v34, v6
	v_mov_b32_e32 v75, 0
	v_lshlrev_b64 v[74:75], 2, v[74:75]
	v_add_co_u32_e32 v74, vcc, v7, v74
	v_addc_co_u32_e32 v75, vcc, v71, v75, vcc
	global_store_dword v[74:75], v18, off
	s_or_b64 exec, exec, s[40:41]
	s_and_saveexec_b64 s[40:41], s[14:15]
	s_cbranch_execz .LBB166_197
.LBB166_264:
	v_sub_u32_e32 v74, v33, v6
	v_mov_b32_e32 v75, 0
	v_lshlrev_b64 v[74:75], 2, v[74:75]
	v_add_co_u32_e32 v74, vcc, v7, v74
	v_addc_co_u32_e32 v75, vcc, v71, v75, vcc
	global_store_dword v[74:75], v19, off
	s_or_b64 exec, exec, s[40:41]
	s_and_saveexec_b64 s[40:41], s[12:13]
	s_cbranch_execz .LBB166_198
.LBB166_265:
	v_sub_u32_e32 v74, v32, v6
	v_mov_b32_e32 v75, 0
	v_lshlrev_b64 v[74:75], 2, v[74:75]
	v_add_co_u32_e32 v74, vcc, v7, v74
	v_addc_co_u32_e32 v75, vcc, v71, v75, vcc
	global_store_dword v[74:75], v16, off
	s_or_b64 exec, exec, s[40:41]
	s_and_saveexec_b64 s[40:41], s[10:11]
	s_cbranch_execz .LBB166_199
.LBB166_266:
	v_sub_u32_e32 v74, v31, v6
	v_mov_b32_e32 v75, 0
	v_lshlrev_b64 v[74:75], 2, v[74:75]
	v_add_co_u32_e32 v74, vcc, v7, v74
	v_addc_co_u32_e32 v75, vcc, v71, v75, vcc
	global_store_dword v[74:75], v17, off
	s_or_b64 exec, exec, s[40:41]
	s_and_saveexec_b64 s[40:41], s[8:9]
	s_cbranch_execz .LBB166_200
.LBB166_267:
	v_sub_u32_e32 v74, v30, v6
	v_mov_b32_e32 v75, 0
	v_lshlrev_b64 v[74:75], 2, v[74:75]
	v_add_co_u32_e32 v74, vcc, v7, v74
	v_addc_co_u32_e32 v75, vcc, v71, v75, vcc
	global_store_dword v[74:75], v14, off
	s_or_b64 exec, exec, s[40:41]
	s_and_saveexec_b64 s[40:41], s[6:7]
	s_cbranch_execz .LBB166_201
.LBB166_268:
	v_sub_u32_e32 v74, v29, v6
	v_mov_b32_e32 v75, 0
	v_lshlrev_b64 v[74:75], 2, v[74:75]
	v_add_co_u32_e32 v74, vcc, v7, v74
	v_addc_co_u32_e32 v75, vcc, v71, v75, vcc
	global_store_dword v[74:75], v15, off
	s_or_b64 exec, exec, s[40:41]
	s_and_saveexec_b64 s[40:41], s[4:5]
	s_cbranch_execz .LBB166_202
.LBB166_269:
	v_sub_u32_e32 v74, v28, v6
	v_mov_b32_e32 v75, 0
	v_lshlrev_b64 v[74:75], 2, v[74:75]
	v_add_co_u32_e32 v74, vcc, v7, v74
	v_addc_co_u32_e32 v75, vcc, v71, v75, vcc
	global_store_dword v[74:75], v12, off
	s_or_b64 exec, exec, s[40:41]
	s_and_saveexec_b64 s[40:41], s[2:3]
	s_cbranch_execnz .LBB166_203
	s_branch .LBB166_204
.LBB166_270:
	v_sub_u32_e32 v72, v5, v6
	v_lshlrev_b32_e32 v72, 2, v72
	ds_write_b32 v72, v24
	s_or_b64 exec, exec, s[40:41]
	s_and_saveexec_b64 s[28:29], s[26:27]
	s_cbranch_execz .LBB166_208
.LBB166_271:
	v_sub_u32_e32 v24, v39, v6
	v_lshlrev_b32_e32 v24, 2, v24
	ds_write_b32 v24, v25
	s_or_b64 exec, exec, s[28:29]
	s_and_saveexec_b64 s[26:27], s[24:25]
	s_cbranch_execz .LBB166_209
.LBB166_272:
	v_sub_u32_e32 v24, v38, v6
	v_lshlrev_b32_e32 v24, 2, v24
	ds_write_b32 v24, v22
	s_or_b64 exec, exec, s[26:27]
	s_and_saveexec_b64 s[24:25], s[22:23]
	s_cbranch_execz .LBB166_210
.LBB166_273:
	v_sub_u32_e32 v22, v37, v6
	v_lshlrev_b32_e32 v22, 2, v22
	ds_write_b32 v22, v23
	s_or_b64 exec, exec, s[24:25]
	s_and_saveexec_b64 s[22:23], s[20:21]
	s_cbranch_execz .LBB166_211
.LBB166_274:
	v_sub_u32_e32 v22, v36, v6
	v_lshlrev_b32_e32 v22, 2, v22
	ds_write_b32 v22, v20
	s_or_b64 exec, exec, s[22:23]
	s_and_saveexec_b64 s[20:21], s[18:19]
	s_cbranch_execz .LBB166_212
.LBB166_275:
	v_sub_u32_e32 v20, v35, v6
	v_lshlrev_b32_e32 v20, 2, v20
	ds_write_b32 v20, v21
	s_or_b64 exec, exec, s[20:21]
	s_and_saveexec_b64 s[18:19], s[16:17]
	s_cbranch_execz .LBB166_213
.LBB166_276:
	v_sub_u32_e32 v20, v34, v6
	v_lshlrev_b32_e32 v20, 2, v20
	ds_write_b32 v20, v18
	s_or_b64 exec, exec, s[18:19]
	s_and_saveexec_b64 s[16:17], s[14:15]
	s_cbranch_execz .LBB166_214
.LBB166_277:
	v_sub_u32_e32 v18, v33, v6
	v_lshlrev_b32_e32 v18, 2, v18
	ds_write_b32 v18, v19
	s_or_b64 exec, exec, s[16:17]
	s_and_saveexec_b64 s[14:15], s[12:13]
	s_cbranch_execz .LBB166_215
.LBB166_278:
	v_sub_u32_e32 v18, v32, v6
	v_lshlrev_b32_e32 v18, 2, v18
	ds_write_b32 v18, v16
	s_or_b64 exec, exec, s[14:15]
	s_and_saveexec_b64 s[12:13], s[10:11]
	s_cbranch_execz .LBB166_216
.LBB166_279:
	v_sub_u32_e32 v16, v31, v6
	v_lshlrev_b32_e32 v16, 2, v16
	ds_write_b32 v16, v17
	s_or_b64 exec, exec, s[12:13]
	s_and_saveexec_b64 s[10:11], s[8:9]
	s_cbranch_execz .LBB166_217
.LBB166_280:
	v_sub_u32_e32 v16, v30, v6
	v_lshlrev_b32_e32 v16, 2, v16
	ds_write_b32 v16, v14
	s_or_b64 exec, exec, s[10:11]
	s_and_saveexec_b64 s[8:9], s[6:7]
	s_cbranch_execz .LBB166_218
.LBB166_281:
	v_sub_u32_e32 v14, v29, v6
	v_lshlrev_b32_e32 v14, 2, v14
	ds_write_b32 v14, v15
	s_or_b64 exec, exec, s[8:9]
	s_and_saveexec_b64 s[6:7], s[4:5]
	s_cbranch_execz .LBB166_219
.LBB166_282:
	v_sub_u32_e32 v14, v28, v6
	v_lshlrev_b32_e32 v14, 2, v14
	ds_write_b32 v14, v12
	s_or_b64 exec, exec, s[6:7]
	s_and_saveexec_b64 s[4:5], s[2:3]
	s_cbranch_execnz .LBB166_220
	s_branch .LBB166_221
.LBB166_283:
	v_sub_u32_e32 v18, v5, v10
	v_mov_b32_e32 v19, 0
	v_lshlrev_b64 v[18:19], 2, v[18:19]
	v_add_co_u32_e32 v18, vcc, v14, v18
	v_addc_co_u32_e32 v19, vcc, v15, v19, vcc
	global_store_dword v[18:19], v70, off
	s_or_b64 exec, exec, s[38:39]
	s_and_saveexec_b64 s[38:39], s[26:27]
	s_cbranch_execz .LBB166_225
.LBB166_284:
	v_sub_u32_e32 v18, v39, v10
	v_mov_b32_e32 v19, 0
	v_lshlrev_b64 v[18:19], 2, v[18:19]
	v_add_co_u32_e32 v18, vcc, v14, v18
	v_addc_co_u32_e32 v19, vcc, v15, v19, vcc
	global_store_dword v[18:19], v69, off
	s_or_b64 exec, exec, s[38:39]
	s_and_saveexec_b64 s[38:39], s[24:25]
	s_cbranch_execz .LBB166_226
.LBB166_285:
	v_sub_u32_e32 v18, v38, v10
	v_mov_b32_e32 v19, 0
	v_lshlrev_b64 v[18:19], 2, v[18:19]
	v_add_co_u32_e32 v18, vcc, v14, v18
	v_addc_co_u32_e32 v19, vcc, v15, v19, vcc
	global_store_dword v[18:19], v68, off
	s_or_b64 exec, exec, s[38:39]
	s_and_saveexec_b64 s[38:39], s[22:23]
	s_cbranch_execz .LBB166_227
.LBB166_286:
	v_sub_u32_e32 v18, v37, v10
	v_mov_b32_e32 v19, 0
	v_lshlrev_b64 v[18:19], 2, v[18:19]
	v_add_co_u32_e32 v18, vcc, v14, v18
	v_addc_co_u32_e32 v19, vcc, v15, v19, vcc
	global_store_dword v[18:19], v59, off
	s_or_b64 exec, exec, s[38:39]
	s_and_saveexec_b64 s[38:39], s[20:21]
	s_cbranch_execz .LBB166_228
.LBB166_287:
	v_sub_u32_e32 v18, v36, v10
	v_mov_b32_e32 v19, 0
	v_lshlrev_b64 v[18:19], 2, v[18:19]
	v_add_co_u32_e32 v18, vcc, v14, v18
	v_addc_co_u32_e32 v19, vcc, v15, v19, vcc
	global_store_dword v[18:19], v58, off
	s_or_b64 exec, exec, s[38:39]
	s_and_saveexec_b64 s[38:39], s[18:19]
	s_cbranch_execz .LBB166_229
.LBB166_288:
	v_sub_u32_e32 v18, v35, v10
	v_mov_b32_e32 v19, 0
	v_lshlrev_b64 v[18:19], 2, v[18:19]
	v_add_co_u32_e32 v18, vcc, v14, v18
	v_addc_co_u32_e32 v19, vcc, v15, v19, vcc
	global_store_dword v[18:19], v56, off
	s_or_b64 exec, exec, s[38:39]
	s_and_saveexec_b64 s[38:39], s[16:17]
	s_cbranch_execz .LBB166_230
.LBB166_289:
	v_sub_u32_e32 v18, v34, v10
	v_mov_b32_e32 v19, 0
	v_lshlrev_b64 v[18:19], 2, v[18:19]
	v_add_co_u32_e32 v18, vcc, v14, v18
	v_addc_co_u32_e32 v19, vcc, v15, v19, vcc
	global_store_dword v[18:19], v54, off
	s_or_b64 exec, exec, s[38:39]
	s_and_saveexec_b64 s[38:39], s[14:15]
	s_cbranch_execz .LBB166_231
.LBB166_290:
	v_sub_u32_e32 v18, v33, v10
	v_mov_b32_e32 v19, 0
	v_lshlrev_b64 v[18:19], 2, v[18:19]
	v_add_co_u32_e32 v18, vcc, v14, v18
	v_addc_co_u32_e32 v19, vcc, v15, v19, vcc
	global_store_dword v[18:19], v52, off
	s_or_b64 exec, exec, s[38:39]
	s_and_saveexec_b64 s[38:39], s[12:13]
	s_cbranch_execz .LBB166_232
.LBB166_291:
	v_sub_u32_e32 v18, v32, v10
	v_mov_b32_e32 v19, 0
	v_lshlrev_b64 v[18:19], 2, v[18:19]
	v_add_co_u32_e32 v18, vcc, v14, v18
	v_addc_co_u32_e32 v19, vcc, v15, v19, vcc
	global_store_dword v[18:19], v50, off
	s_or_b64 exec, exec, s[38:39]
	s_and_saveexec_b64 s[38:39], s[10:11]
	s_cbranch_execz .LBB166_233
.LBB166_292:
	v_sub_u32_e32 v18, v31, v10
	v_mov_b32_e32 v19, 0
	v_lshlrev_b64 v[18:19], 2, v[18:19]
	v_add_co_u32_e32 v18, vcc, v14, v18
	v_addc_co_u32_e32 v19, vcc, v15, v19, vcc
	global_store_dword v[18:19], v48, off
	s_or_b64 exec, exec, s[38:39]
	s_and_saveexec_b64 s[38:39], s[8:9]
	s_cbranch_execz .LBB166_234
.LBB166_293:
	v_sub_u32_e32 v18, v30, v10
	v_mov_b32_e32 v19, 0
	v_lshlrev_b64 v[18:19], 2, v[18:19]
	v_add_co_u32_e32 v18, vcc, v14, v18
	v_addc_co_u32_e32 v19, vcc, v15, v19, vcc
	global_store_dword v[18:19], v45, off
	s_or_b64 exec, exec, s[38:39]
	s_and_saveexec_b64 s[38:39], s[6:7]
	s_cbranch_execz .LBB166_235
.LBB166_294:
	v_sub_u32_e32 v18, v29, v10
	v_mov_b32_e32 v19, 0
	v_lshlrev_b64 v[18:19], 2, v[18:19]
	v_add_co_u32_e32 v18, vcc, v14, v18
	v_addc_co_u32_e32 v19, vcc, v15, v19, vcc
	global_store_dword v[18:19], v43, off
	s_or_b64 exec, exec, s[38:39]
	s_and_saveexec_b64 s[38:39], s[4:5]
	s_cbranch_execz .LBB166_236
.LBB166_295:
	v_sub_u32_e32 v18, v28, v10
	v_mov_b32_e32 v19, 0
	v_lshlrev_b64 v[18:19], 2, v[18:19]
	v_add_co_u32_e32 v18, vcc, v14, v18
	v_addc_co_u32_e32 v19, vcc, v15, v19, vcc
	global_store_dword v[18:19], v42, off
	s_or_b64 exec, exec, s[38:39]
	s_and_saveexec_b64 s[38:39], s[2:3]
	s_cbranch_execnz .LBB166_237
	s_branch .LBB166_238
.LBB166_296:
	v_sub_u32_e32 v5, v5, v10
	v_lshlrev_b32_e32 v5, 2, v5
	ds_write_b32 v5, v70
	s_or_b64 exec, exec, s[38:39]
	s_and_saveexec_b64 s[28:29], s[26:27]
	s_cbranch_execz .LBB166_242
.LBB166_297:
	v_sub_u32_e32 v5, v39, v10
	v_lshlrev_b32_e32 v5, 2, v5
	ds_write_b32 v5, v69
	s_or_b64 exec, exec, s[28:29]
	s_and_saveexec_b64 s[26:27], s[24:25]
	s_cbranch_execz .LBB166_243
.LBB166_298:
	v_sub_u32_e32 v5, v38, v10
	v_lshlrev_b32_e32 v5, 2, v5
	ds_write_b32 v5, v68
	s_or_b64 exec, exec, s[26:27]
	s_and_saveexec_b64 s[24:25], s[22:23]
	s_cbranch_execz .LBB166_244
.LBB166_299:
	v_sub_u32_e32 v5, v37, v10
	v_lshlrev_b32_e32 v5, 2, v5
	ds_write_b32 v5, v59
	s_or_b64 exec, exec, s[24:25]
	s_and_saveexec_b64 s[22:23], s[20:21]
	s_cbranch_execz .LBB166_245
.LBB166_300:
	v_sub_u32_e32 v5, v36, v10
	v_lshlrev_b32_e32 v5, 2, v5
	ds_write_b32 v5, v58
	s_or_b64 exec, exec, s[22:23]
	s_and_saveexec_b64 s[20:21], s[18:19]
	s_cbranch_execz .LBB166_246
.LBB166_301:
	v_sub_u32_e32 v5, v35, v10
	v_lshlrev_b32_e32 v5, 2, v5
	ds_write_b32 v5, v56
	s_or_b64 exec, exec, s[20:21]
	s_and_saveexec_b64 s[18:19], s[16:17]
	s_cbranch_execz .LBB166_247
.LBB166_302:
	v_sub_u32_e32 v5, v34, v10
	v_lshlrev_b32_e32 v5, 2, v5
	ds_write_b32 v5, v54
	s_or_b64 exec, exec, s[18:19]
	s_and_saveexec_b64 s[16:17], s[14:15]
	s_cbranch_execz .LBB166_248
.LBB166_303:
	v_sub_u32_e32 v5, v33, v10
	v_lshlrev_b32_e32 v5, 2, v5
	ds_write_b32 v5, v52
	s_or_b64 exec, exec, s[16:17]
	s_and_saveexec_b64 s[14:15], s[12:13]
	s_cbranch_execz .LBB166_249
.LBB166_304:
	v_sub_u32_e32 v5, v32, v10
	v_lshlrev_b32_e32 v5, 2, v5
	ds_write_b32 v5, v50
	s_or_b64 exec, exec, s[14:15]
	s_and_saveexec_b64 s[12:13], s[10:11]
	s_cbranch_execz .LBB166_250
.LBB166_305:
	v_sub_u32_e32 v5, v31, v10
	v_lshlrev_b32_e32 v5, 2, v5
	ds_write_b32 v5, v48
	s_or_b64 exec, exec, s[12:13]
	s_and_saveexec_b64 s[10:11], s[8:9]
	s_cbranch_execz .LBB166_251
.LBB166_306:
	v_sub_u32_e32 v5, v30, v10
	v_lshlrev_b32_e32 v5, 2, v5
	ds_write_b32 v5, v45
	s_or_b64 exec, exec, s[10:11]
	s_and_saveexec_b64 s[8:9], s[6:7]
	s_cbranch_execz .LBB166_252
.LBB166_307:
	v_sub_u32_e32 v5, v29, v10
	v_lshlrev_b32_e32 v5, 2, v5
	ds_write_b32 v5, v43
	s_or_b64 exec, exec, s[8:9]
	s_and_saveexec_b64 s[6:7], s[4:5]
	s_cbranch_execz .LBB166_253
.LBB166_308:
	v_sub_u32_e32 v5, v28, v10
	v_lshlrev_b32_e32 v5, 2, v5
	ds_write_b32 v5, v42
	s_or_b64 exec, exec, s[6:7]
	s_and_saveexec_b64 s[4:5], s[2:3]
	s_cbranch_execnz .LBB166_254
	s_branch .LBB166_255
	.section	.rodata,"a",@progbits
	.p2align	6, 0x0
	.amdhsa_kernel _ZN7rocprim17ROCPRIM_400000_NS6detail17trampoline_kernelINS0_14default_configENS1_29reduce_by_key_config_selectorIffN6thrust23THRUST_200600_302600_NS4plusIfEEEEZZNS1_33reduce_by_key_impl_wrapped_configILNS1_25lookback_scan_determinismE0ES3_S9_NS6_6detail15normal_iteratorINS6_10device_ptrIfEEEESG_SG_SG_PmS8_NS6_8equal_toIfEEEE10hipError_tPvRmT2_T3_mT4_T5_T6_T7_T8_P12ihipStream_tbENKUlT_T0_E_clISt17integral_constantIbLb0EES11_EEDaSW_SX_EUlSW_E_NS1_11comp_targetILNS1_3genE4ELNS1_11target_archE910ELNS1_3gpuE8ELNS1_3repE0EEENS1_30default_config_static_selectorELNS0_4arch9wavefront6targetE1EEEvT1_
		.amdhsa_group_segment_fixed_size 15360
		.amdhsa_private_segment_fixed_size 0
		.amdhsa_kernarg_size 120
		.amdhsa_user_sgpr_count 6
		.amdhsa_user_sgpr_private_segment_buffer 1
		.amdhsa_user_sgpr_dispatch_ptr 0
		.amdhsa_user_sgpr_queue_ptr 0
		.amdhsa_user_sgpr_kernarg_segment_ptr 1
		.amdhsa_user_sgpr_dispatch_id 0
		.amdhsa_user_sgpr_flat_scratch_init 0
		.amdhsa_user_sgpr_kernarg_preload_length 0
		.amdhsa_user_sgpr_kernarg_preload_offset 0
		.amdhsa_user_sgpr_private_segment_size 0
		.amdhsa_uses_dynamic_stack 0
		.amdhsa_system_sgpr_private_segment_wavefront_offset 0
		.amdhsa_system_sgpr_workgroup_id_x 1
		.amdhsa_system_sgpr_workgroup_id_y 0
		.amdhsa_system_sgpr_workgroup_id_z 0
		.amdhsa_system_sgpr_workgroup_info 0
		.amdhsa_system_vgpr_workitem_id 0
		.amdhsa_next_free_vgpr 106
		.amdhsa_next_free_sgpr 64
		.amdhsa_accum_offset 108
		.amdhsa_reserve_vcc 1
		.amdhsa_reserve_flat_scratch 0
		.amdhsa_float_round_mode_32 0
		.amdhsa_float_round_mode_16_64 0
		.amdhsa_float_denorm_mode_32 3
		.amdhsa_float_denorm_mode_16_64 3
		.amdhsa_dx10_clamp 1
		.amdhsa_ieee_mode 1
		.amdhsa_fp16_overflow 0
		.amdhsa_tg_split 0
		.amdhsa_exception_fp_ieee_invalid_op 0
		.amdhsa_exception_fp_denorm_src 0
		.amdhsa_exception_fp_ieee_div_zero 0
		.amdhsa_exception_fp_ieee_overflow 0
		.amdhsa_exception_fp_ieee_underflow 0
		.amdhsa_exception_fp_ieee_inexact 0
		.amdhsa_exception_int_div_zero 0
	.end_amdhsa_kernel
	.section	.text._ZN7rocprim17ROCPRIM_400000_NS6detail17trampoline_kernelINS0_14default_configENS1_29reduce_by_key_config_selectorIffN6thrust23THRUST_200600_302600_NS4plusIfEEEEZZNS1_33reduce_by_key_impl_wrapped_configILNS1_25lookback_scan_determinismE0ES3_S9_NS6_6detail15normal_iteratorINS6_10device_ptrIfEEEESG_SG_SG_PmS8_NS6_8equal_toIfEEEE10hipError_tPvRmT2_T3_mT4_T5_T6_T7_T8_P12ihipStream_tbENKUlT_T0_E_clISt17integral_constantIbLb0EES11_EEDaSW_SX_EUlSW_E_NS1_11comp_targetILNS1_3genE4ELNS1_11target_archE910ELNS1_3gpuE8ELNS1_3repE0EEENS1_30default_config_static_selectorELNS0_4arch9wavefront6targetE1EEEvT1_,"axG",@progbits,_ZN7rocprim17ROCPRIM_400000_NS6detail17trampoline_kernelINS0_14default_configENS1_29reduce_by_key_config_selectorIffN6thrust23THRUST_200600_302600_NS4plusIfEEEEZZNS1_33reduce_by_key_impl_wrapped_configILNS1_25lookback_scan_determinismE0ES3_S9_NS6_6detail15normal_iteratorINS6_10device_ptrIfEEEESG_SG_SG_PmS8_NS6_8equal_toIfEEEE10hipError_tPvRmT2_T3_mT4_T5_T6_T7_T8_P12ihipStream_tbENKUlT_T0_E_clISt17integral_constantIbLb0EES11_EEDaSW_SX_EUlSW_E_NS1_11comp_targetILNS1_3genE4ELNS1_11target_archE910ELNS1_3gpuE8ELNS1_3repE0EEENS1_30default_config_static_selectorELNS0_4arch9wavefront6targetE1EEEvT1_,comdat
.Lfunc_end166:
	.size	_ZN7rocprim17ROCPRIM_400000_NS6detail17trampoline_kernelINS0_14default_configENS1_29reduce_by_key_config_selectorIffN6thrust23THRUST_200600_302600_NS4plusIfEEEEZZNS1_33reduce_by_key_impl_wrapped_configILNS1_25lookback_scan_determinismE0ES3_S9_NS6_6detail15normal_iteratorINS6_10device_ptrIfEEEESG_SG_SG_PmS8_NS6_8equal_toIfEEEE10hipError_tPvRmT2_T3_mT4_T5_T6_T7_T8_P12ihipStream_tbENKUlT_T0_E_clISt17integral_constantIbLb0EES11_EEDaSW_SX_EUlSW_E_NS1_11comp_targetILNS1_3genE4ELNS1_11target_archE910ELNS1_3gpuE8ELNS1_3repE0EEENS1_30default_config_static_selectorELNS0_4arch9wavefront6targetE1EEEvT1_, .Lfunc_end166-_ZN7rocprim17ROCPRIM_400000_NS6detail17trampoline_kernelINS0_14default_configENS1_29reduce_by_key_config_selectorIffN6thrust23THRUST_200600_302600_NS4plusIfEEEEZZNS1_33reduce_by_key_impl_wrapped_configILNS1_25lookback_scan_determinismE0ES3_S9_NS6_6detail15normal_iteratorINS6_10device_ptrIfEEEESG_SG_SG_PmS8_NS6_8equal_toIfEEEE10hipError_tPvRmT2_T3_mT4_T5_T6_T7_T8_P12ihipStream_tbENKUlT_T0_E_clISt17integral_constantIbLb0EES11_EEDaSW_SX_EUlSW_E_NS1_11comp_targetILNS1_3genE4ELNS1_11target_archE910ELNS1_3gpuE8ELNS1_3repE0EEENS1_30default_config_static_selectorELNS0_4arch9wavefront6targetE1EEEvT1_
                                        ; -- End function
	.section	.AMDGPU.csdata,"",@progbits
; Kernel info:
; codeLenInByte = 17444
; NumSgprs: 68
; NumVgprs: 106
; NumAgprs: 0
; TotalNumVgprs: 106
; ScratchSize: 0
; MemoryBound: 0
; FloatMode: 240
; IeeeMode: 1
; LDSByteSize: 15360 bytes/workgroup (compile time only)
; SGPRBlocks: 8
; VGPRBlocks: 13
; NumSGPRsForWavesPerEU: 68
; NumVGPRsForWavesPerEU: 106
; AccumOffset: 108
; Occupancy: 4
; WaveLimiterHint : 1
; COMPUTE_PGM_RSRC2:SCRATCH_EN: 0
; COMPUTE_PGM_RSRC2:USER_SGPR: 6
; COMPUTE_PGM_RSRC2:TRAP_HANDLER: 0
; COMPUTE_PGM_RSRC2:TGID_X_EN: 1
; COMPUTE_PGM_RSRC2:TGID_Y_EN: 0
; COMPUTE_PGM_RSRC2:TGID_Z_EN: 0
; COMPUTE_PGM_RSRC2:TIDIG_COMP_CNT: 0
; COMPUTE_PGM_RSRC3_GFX90A:ACCUM_OFFSET: 26
; COMPUTE_PGM_RSRC3_GFX90A:TG_SPLIT: 0
	.section	.text._ZN7rocprim17ROCPRIM_400000_NS6detail17trampoline_kernelINS0_14default_configENS1_29reduce_by_key_config_selectorIffN6thrust23THRUST_200600_302600_NS4plusIfEEEEZZNS1_33reduce_by_key_impl_wrapped_configILNS1_25lookback_scan_determinismE0ES3_S9_NS6_6detail15normal_iteratorINS6_10device_ptrIfEEEESG_SG_SG_PmS8_NS6_8equal_toIfEEEE10hipError_tPvRmT2_T3_mT4_T5_T6_T7_T8_P12ihipStream_tbENKUlT_T0_E_clISt17integral_constantIbLb0EES11_EEDaSW_SX_EUlSW_E_NS1_11comp_targetILNS1_3genE3ELNS1_11target_archE908ELNS1_3gpuE7ELNS1_3repE0EEENS1_30default_config_static_selectorELNS0_4arch9wavefront6targetE1EEEvT1_,"axG",@progbits,_ZN7rocprim17ROCPRIM_400000_NS6detail17trampoline_kernelINS0_14default_configENS1_29reduce_by_key_config_selectorIffN6thrust23THRUST_200600_302600_NS4plusIfEEEEZZNS1_33reduce_by_key_impl_wrapped_configILNS1_25lookback_scan_determinismE0ES3_S9_NS6_6detail15normal_iteratorINS6_10device_ptrIfEEEESG_SG_SG_PmS8_NS6_8equal_toIfEEEE10hipError_tPvRmT2_T3_mT4_T5_T6_T7_T8_P12ihipStream_tbENKUlT_T0_E_clISt17integral_constantIbLb0EES11_EEDaSW_SX_EUlSW_E_NS1_11comp_targetILNS1_3genE3ELNS1_11target_archE908ELNS1_3gpuE7ELNS1_3repE0EEENS1_30default_config_static_selectorELNS0_4arch9wavefront6targetE1EEEvT1_,comdat
	.protected	_ZN7rocprim17ROCPRIM_400000_NS6detail17trampoline_kernelINS0_14default_configENS1_29reduce_by_key_config_selectorIffN6thrust23THRUST_200600_302600_NS4plusIfEEEEZZNS1_33reduce_by_key_impl_wrapped_configILNS1_25lookback_scan_determinismE0ES3_S9_NS6_6detail15normal_iteratorINS6_10device_ptrIfEEEESG_SG_SG_PmS8_NS6_8equal_toIfEEEE10hipError_tPvRmT2_T3_mT4_T5_T6_T7_T8_P12ihipStream_tbENKUlT_T0_E_clISt17integral_constantIbLb0EES11_EEDaSW_SX_EUlSW_E_NS1_11comp_targetILNS1_3genE3ELNS1_11target_archE908ELNS1_3gpuE7ELNS1_3repE0EEENS1_30default_config_static_selectorELNS0_4arch9wavefront6targetE1EEEvT1_ ; -- Begin function _ZN7rocprim17ROCPRIM_400000_NS6detail17trampoline_kernelINS0_14default_configENS1_29reduce_by_key_config_selectorIffN6thrust23THRUST_200600_302600_NS4plusIfEEEEZZNS1_33reduce_by_key_impl_wrapped_configILNS1_25lookback_scan_determinismE0ES3_S9_NS6_6detail15normal_iteratorINS6_10device_ptrIfEEEESG_SG_SG_PmS8_NS6_8equal_toIfEEEE10hipError_tPvRmT2_T3_mT4_T5_T6_T7_T8_P12ihipStream_tbENKUlT_T0_E_clISt17integral_constantIbLb0EES11_EEDaSW_SX_EUlSW_E_NS1_11comp_targetILNS1_3genE3ELNS1_11target_archE908ELNS1_3gpuE7ELNS1_3repE0EEENS1_30default_config_static_selectorELNS0_4arch9wavefront6targetE1EEEvT1_
	.globl	_ZN7rocprim17ROCPRIM_400000_NS6detail17trampoline_kernelINS0_14default_configENS1_29reduce_by_key_config_selectorIffN6thrust23THRUST_200600_302600_NS4plusIfEEEEZZNS1_33reduce_by_key_impl_wrapped_configILNS1_25lookback_scan_determinismE0ES3_S9_NS6_6detail15normal_iteratorINS6_10device_ptrIfEEEESG_SG_SG_PmS8_NS6_8equal_toIfEEEE10hipError_tPvRmT2_T3_mT4_T5_T6_T7_T8_P12ihipStream_tbENKUlT_T0_E_clISt17integral_constantIbLb0EES11_EEDaSW_SX_EUlSW_E_NS1_11comp_targetILNS1_3genE3ELNS1_11target_archE908ELNS1_3gpuE7ELNS1_3repE0EEENS1_30default_config_static_selectorELNS0_4arch9wavefront6targetE1EEEvT1_
	.p2align	8
	.type	_ZN7rocprim17ROCPRIM_400000_NS6detail17trampoline_kernelINS0_14default_configENS1_29reduce_by_key_config_selectorIffN6thrust23THRUST_200600_302600_NS4plusIfEEEEZZNS1_33reduce_by_key_impl_wrapped_configILNS1_25lookback_scan_determinismE0ES3_S9_NS6_6detail15normal_iteratorINS6_10device_ptrIfEEEESG_SG_SG_PmS8_NS6_8equal_toIfEEEE10hipError_tPvRmT2_T3_mT4_T5_T6_T7_T8_P12ihipStream_tbENKUlT_T0_E_clISt17integral_constantIbLb0EES11_EEDaSW_SX_EUlSW_E_NS1_11comp_targetILNS1_3genE3ELNS1_11target_archE908ELNS1_3gpuE7ELNS1_3repE0EEENS1_30default_config_static_selectorELNS0_4arch9wavefront6targetE1EEEvT1_,@function
_ZN7rocprim17ROCPRIM_400000_NS6detail17trampoline_kernelINS0_14default_configENS1_29reduce_by_key_config_selectorIffN6thrust23THRUST_200600_302600_NS4plusIfEEEEZZNS1_33reduce_by_key_impl_wrapped_configILNS1_25lookback_scan_determinismE0ES3_S9_NS6_6detail15normal_iteratorINS6_10device_ptrIfEEEESG_SG_SG_PmS8_NS6_8equal_toIfEEEE10hipError_tPvRmT2_T3_mT4_T5_T6_T7_T8_P12ihipStream_tbENKUlT_T0_E_clISt17integral_constantIbLb0EES11_EEDaSW_SX_EUlSW_E_NS1_11comp_targetILNS1_3genE3ELNS1_11target_archE908ELNS1_3gpuE7ELNS1_3repE0EEENS1_30default_config_static_selectorELNS0_4arch9wavefront6targetE1EEEvT1_: ; @_ZN7rocprim17ROCPRIM_400000_NS6detail17trampoline_kernelINS0_14default_configENS1_29reduce_by_key_config_selectorIffN6thrust23THRUST_200600_302600_NS4plusIfEEEEZZNS1_33reduce_by_key_impl_wrapped_configILNS1_25lookback_scan_determinismE0ES3_S9_NS6_6detail15normal_iteratorINS6_10device_ptrIfEEEESG_SG_SG_PmS8_NS6_8equal_toIfEEEE10hipError_tPvRmT2_T3_mT4_T5_T6_T7_T8_P12ihipStream_tbENKUlT_T0_E_clISt17integral_constantIbLb0EES11_EEDaSW_SX_EUlSW_E_NS1_11comp_targetILNS1_3genE3ELNS1_11target_archE908ELNS1_3gpuE7ELNS1_3repE0EEENS1_30default_config_static_selectorELNS0_4arch9wavefront6targetE1EEEvT1_
; %bb.0:
	.section	.rodata,"a",@progbits
	.p2align	6, 0x0
	.amdhsa_kernel _ZN7rocprim17ROCPRIM_400000_NS6detail17trampoline_kernelINS0_14default_configENS1_29reduce_by_key_config_selectorIffN6thrust23THRUST_200600_302600_NS4plusIfEEEEZZNS1_33reduce_by_key_impl_wrapped_configILNS1_25lookback_scan_determinismE0ES3_S9_NS6_6detail15normal_iteratorINS6_10device_ptrIfEEEESG_SG_SG_PmS8_NS6_8equal_toIfEEEE10hipError_tPvRmT2_T3_mT4_T5_T6_T7_T8_P12ihipStream_tbENKUlT_T0_E_clISt17integral_constantIbLb0EES11_EEDaSW_SX_EUlSW_E_NS1_11comp_targetILNS1_3genE3ELNS1_11target_archE908ELNS1_3gpuE7ELNS1_3repE0EEENS1_30default_config_static_selectorELNS0_4arch9wavefront6targetE1EEEvT1_
		.amdhsa_group_segment_fixed_size 0
		.amdhsa_private_segment_fixed_size 0
		.amdhsa_kernarg_size 120
		.amdhsa_user_sgpr_count 6
		.amdhsa_user_sgpr_private_segment_buffer 1
		.amdhsa_user_sgpr_dispatch_ptr 0
		.amdhsa_user_sgpr_queue_ptr 0
		.amdhsa_user_sgpr_kernarg_segment_ptr 1
		.amdhsa_user_sgpr_dispatch_id 0
		.amdhsa_user_sgpr_flat_scratch_init 0
		.amdhsa_user_sgpr_kernarg_preload_length 0
		.amdhsa_user_sgpr_kernarg_preload_offset 0
		.amdhsa_user_sgpr_private_segment_size 0
		.amdhsa_uses_dynamic_stack 0
		.amdhsa_system_sgpr_private_segment_wavefront_offset 0
		.amdhsa_system_sgpr_workgroup_id_x 1
		.amdhsa_system_sgpr_workgroup_id_y 0
		.amdhsa_system_sgpr_workgroup_id_z 0
		.amdhsa_system_sgpr_workgroup_info 0
		.amdhsa_system_vgpr_workitem_id 0
		.amdhsa_next_free_vgpr 1
		.amdhsa_next_free_sgpr 0
		.amdhsa_accum_offset 4
		.amdhsa_reserve_vcc 0
		.amdhsa_reserve_flat_scratch 0
		.amdhsa_float_round_mode_32 0
		.amdhsa_float_round_mode_16_64 0
		.amdhsa_float_denorm_mode_32 3
		.amdhsa_float_denorm_mode_16_64 3
		.amdhsa_dx10_clamp 1
		.amdhsa_ieee_mode 1
		.amdhsa_fp16_overflow 0
		.amdhsa_tg_split 0
		.amdhsa_exception_fp_ieee_invalid_op 0
		.amdhsa_exception_fp_denorm_src 0
		.amdhsa_exception_fp_ieee_div_zero 0
		.amdhsa_exception_fp_ieee_overflow 0
		.amdhsa_exception_fp_ieee_underflow 0
		.amdhsa_exception_fp_ieee_inexact 0
		.amdhsa_exception_int_div_zero 0
	.end_amdhsa_kernel
	.section	.text._ZN7rocprim17ROCPRIM_400000_NS6detail17trampoline_kernelINS0_14default_configENS1_29reduce_by_key_config_selectorIffN6thrust23THRUST_200600_302600_NS4plusIfEEEEZZNS1_33reduce_by_key_impl_wrapped_configILNS1_25lookback_scan_determinismE0ES3_S9_NS6_6detail15normal_iteratorINS6_10device_ptrIfEEEESG_SG_SG_PmS8_NS6_8equal_toIfEEEE10hipError_tPvRmT2_T3_mT4_T5_T6_T7_T8_P12ihipStream_tbENKUlT_T0_E_clISt17integral_constantIbLb0EES11_EEDaSW_SX_EUlSW_E_NS1_11comp_targetILNS1_3genE3ELNS1_11target_archE908ELNS1_3gpuE7ELNS1_3repE0EEENS1_30default_config_static_selectorELNS0_4arch9wavefront6targetE1EEEvT1_,"axG",@progbits,_ZN7rocprim17ROCPRIM_400000_NS6detail17trampoline_kernelINS0_14default_configENS1_29reduce_by_key_config_selectorIffN6thrust23THRUST_200600_302600_NS4plusIfEEEEZZNS1_33reduce_by_key_impl_wrapped_configILNS1_25lookback_scan_determinismE0ES3_S9_NS6_6detail15normal_iteratorINS6_10device_ptrIfEEEESG_SG_SG_PmS8_NS6_8equal_toIfEEEE10hipError_tPvRmT2_T3_mT4_T5_T6_T7_T8_P12ihipStream_tbENKUlT_T0_E_clISt17integral_constantIbLb0EES11_EEDaSW_SX_EUlSW_E_NS1_11comp_targetILNS1_3genE3ELNS1_11target_archE908ELNS1_3gpuE7ELNS1_3repE0EEENS1_30default_config_static_selectorELNS0_4arch9wavefront6targetE1EEEvT1_,comdat
.Lfunc_end167:
	.size	_ZN7rocprim17ROCPRIM_400000_NS6detail17trampoline_kernelINS0_14default_configENS1_29reduce_by_key_config_selectorIffN6thrust23THRUST_200600_302600_NS4plusIfEEEEZZNS1_33reduce_by_key_impl_wrapped_configILNS1_25lookback_scan_determinismE0ES3_S9_NS6_6detail15normal_iteratorINS6_10device_ptrIfEEEESG_SG_SG_PmS8_NS6_8equal_toIfEEEE10hipError_tPvRmT2_T3_mT4_T5_T6_T7_T8_P12ihipStream_tbENKUlT_T0_E_clISt17integral_constantIbLb0EES11_EEDaSW_SX_EUlSW_E_NS1_11comp_targetILNS1_3genE3ELNS1_11target_archE908ELNS1_3gpuE7ELNS1_3repE0EEENS1_30default_config_static_selectorELNS0_4arch9wavefront6targetE1EEEvT1_, .Lfunc_end167-_ZN7rocprim17ROCPRIM_400000_NS6detail17trampoline_kernelINS0_14default_configENS1_29reduce_by_key_config_selectorIffN6thrust23THRUST_200600_302600_NS4plusIfEEEEZZNS1_33reduce_by_key_impl_wrapped_configILNS1_25lookback_scan_determinismE0ES3_S9_NS6_6detail15normal_iteratorINS6_10device_ptrIfEEEESG_SG_SG_PmS8_NS6_8equal_toIfEEEE10hipError_tPvRmT2_T3_mT4_T5_T6_T7_T8_P12ihipStream_tbENKUlT_T0_E_clISt17integral_constantIbLb0EES11_EEDaSW_SX_EUlSW_E_NS1_11comp_targetILNS1_3genE3ELNS1_11target_archE908ELNS1_3gpuE7ELNS1_3repE0EEENS1_30default_config_static_selectorELNS0_4arch9wavefront6targetE1EEEvT1_
                                        ; -- End function
	.section	.AMDGPU.csdata,"",@progbits
; Kernel info:
; codeLenInByte = 0
; NumSgprs: 4
; NumVgprs: 0
; NumAgprs: 0
; TotalNumVgprs: 0
; ScratchSize: 0
; MemoryBound: 0
; FloatMode: 240
; IeeeMode: 1
; LDSByteSize: 0 bytes/workgroup (compile time only)
; SGPRBlocks: 0
; VGPRBlocks: 0
; NumSGPRsForWavesPerEU: 4
; NumVGPRsForWavesPerEU: 1
; AccumOffset: 4
; Occupancy: 8
; WaveLimiterHint : 0
; COMPUTE_PGM_RSRC2:SCRATCH_EN: 0
; COMPUTE_PGM_RSRC2:USER_SGPR: 6
; COMPUTE_PGM_RSRC2:TRAP_HANDLER: 0
; COMPUTE_PGM_RSRC2:TGID_X_EN: 1
; COMPUTE_PGM_RSRC2:TGID_Y_EN: 0
; COMPUTE_PGM_RSRC2:TGID_Z_EN: 0
; COMPUTE_PGM_RSRC2:TIDIG_COMP_CNT: 0
; COMPUTE_PGM_RSRC3_GFX90A:ACCUM_OFFSET: 0
; COMPUTE_PGM_RSRC3_GFX90A:TG_SPLIT: 0
	.section	.text._ZN7rocprim17ROCPRIM_400000_NS6detail17trampoline_kernelINS0_14default_configENS1_29reduce_by_key_config_selectorIffN6thrust23THRUST_200600_302600_NS4plusIfEEEEZZNS1_33reduce_by_key_impl_wrapped_configILNS1_25lookback_scan_determinismE0ES3_S9_NS6_6detail15normal_iteratorINS6_10device_ptrIfEEEESG_SG_SG_PmS8_NS6_8equal_toIfEEEE10hipError_tPvRmT2_T3_mT4_T5_T6_T7_T8_P12ihipStream_tbENKUlT_T0_E_clISt17integral_constantIbLb0EES11_EEDaSW_SX_EUlSW_E_NS1_11comp_targetILNS1_3genE2ELNS1_11target_archE906ELNS1_3gpuE6ELNS1_3repE0EEENS1_30default_config_static_selectorELNS0_4arch9wavefront6targetE1EEEvT1_,"axG",@progbits,_ZN7rocprim17ROCPRIM_400000_NS6detail17trampoline_kernelINS0_14default_configENS1_29reduce_by_key_config_selectorIffN6thrust23THRUST_200600_302600_NS4plusIfEEEEZZNS1_33reduce_by_key_impl_wrapped_configILNS1_25lookback_scan_determinismE0ES3_S9_NS6_6detail15normal_iteratorINS6_10device_ptrIfEEEESG_SG_SG_PmS8_NS6_8equal_toIfEEEE10hipError_tPvRmT2_T3_mT4_T5_T6_T7_T8_P12ihipStream_tbENKUlT_T0_E_clISt17integral_constantIbLb0EES11_EEDaSW_SX_EUlSW_E_NS1_11comp_targetILNS1_3genE2ELNS1_11target_archE906ELNS1_3gpuE6ELNS1_3repE0EEENS1_30default_config_static_selectorELNS0_4arch9wavefront6targetE1EEEvT1_,comdat
	.protected	_ZN7rocprim17ROCPRIM_400000_NS6detail17trampoline_kernelINS0_14default_configENS1_29reduce_by_key_config_selectorIffN6thrust23THRUST_200600_302600_NS4plusIfEEEEZZNS1_33reduce_by_key_impl_wrapped_configILNS1_25lookback_scan_determinismE0ES3_S9_NS6_6detail15normal_iteratorINS6_10device_ptrIfEEEESG_SG_SG_PmS8_NS6_8equal_toIfEEEE10hipError_tPvRmT2_T3_mT4_T5_T6_T7_T8_P12ihipStream_tbENKUlT_T0_E_clISt17integral_constantIbLb0EES11_EEDaSW_SX_EUlSW_E_NS1_11comp_targetILNS1_3genE2ELNS1_11target_archE906ELNS1_3gpuE6ELNS1_3repE0EEENS1_30default_config_static_selectorELNS0_4arch9wavefront6targetE1EEEvT1_ ; -- Begin function _ZN7rocprim17ROCPRIM_400000_NS6detail17trampoline_kernelINS0_14default_configENS1_29reduce_by_key_config_selectorIffN6thrust23THRUST_200600_302600_NS4plusIfEEEEZZNS1_33reduce_by_key_impl_wrapped_configILNS1_25lookback_scan_determinismE0ES3_S9_NS6_6detail15normal_iteratorINS6_10device_ptrIfEEEESG_SG_SG_PmS8_NS6_8equal_toIfEEEE10hipError_tPvRmT2_T3_mT4_T5_T6_T7_T8_P12ihipStream_tbENKUlT_T0_E_clISt17integral_constantIbLb0EES11_EEDaSW_SX_EUlSW_E_NS1_11comp_targetILNS1_3genE2ELNS1_11target_archE906ELNS1_3gpuE6ELNS1_3repE0EEENS1_30default_config_static_selectorELNS0_4arch9wavefront6targetE1EEEvT1_
	.globl	_ZN7rocprim17ROCPRIM_400000_NS6detail17trampoline_kernelINS0_14default_configENS1_29reduce_by_key_config_selectorIffN6thrust23THRUST_200600_302600_NS4plusIfEEEEZZNS1_33reduce_by_key_impl_wrapped_configILNS1_25lookback_scan_determinismE0ES3_S9_NS6_6detail15normal_iteratorINS6_10device_ptrIfEEEESG_SG_SG_PmS8_NS6_8equal_toIfEEEE10hipError_tPvRmT2_T3_mT4_T5_T6_T7_T8_P12ihipStream_tbENKUlT_T0_E_clISt17integral_constantIbLb0EES11_EEDaSW_SX_EUlSW_E_NS1_11comp_targetILNS1_3genE2ELNS1_11target_archE906ELNS1_3gpuE6ELNS1_3repE0EEENS1_30default_config_static_selectorELNS0_4arch9wavefront6targetE1EEEvT1_
	.p2align	8
	.type	_ZN7rocprim17ROCPRIM_400000_NS6detail17trampoline_kernelINS0_14default_configENS1_29reduce_by_key_config_selectorIffN6thrust23THRUST_200600_302600_NS4plusIfEEEEZZNS1_33reduce_by_key_impl_wrapped_configILNS1_25lookback_scan_determinismE0ES3_S9_NS6_6detail15normal_iteratorINS6_10device_ptrIfEEEESG_SG_SG_PmS8_NS6_8equal_toIfEEEE10hipError_tPvRmT2_T3_mT4_T5_T6_T7_T8_P12ihipStream_tbENKUlT_T0_E_clISt17integral_constantIbLb0EES11_EEDaSW_SX_EUlSW_E_NS1_11comp_targetILNS1_3genE2ELNS1_11target_archE906ELNS1_3gpuE6ELNS1_3repE0EEENS1_30default_config_static_selectorELNS0_4arch9wavefront6targetE1EEEvT1_,@function
_ZN7rocprim17ROCPRIM_400000_NS6detail17trampoline_kernelINS0_14default_configENS1_29reduce_by_key_config_selectorIffN6thrust23THRUST_200600_302600_NS4plusIfEEEEZZNS1_33reduce_by_key_impl_wrapped_configILNS1_25lookback_scan_determinismE0ES3_S9_NS6_6detail15normal_iteratorINS6_10device_ptrIfEEEESG_SG_SG_PmS8_NS6_8equal_toIfEEEE10hipError_tPvRmT2_T3_mT4_T5_T6_T7_T8_P12ihipStream_tbENKUlT_T0_E_clISt17integral_constantIbLb0EES11_EEDaSW_SX_EUlSW_E_NS1_11comp_targetILNS1_3genE2ELNS1_11target_archE906ELNS1_3gpuE6ELNS1_3repE0EEENS1_30default_config_static_selectorELNS0_4arch9wavefront6targetE1EEEvT1_: ; @_ZN7rocprim17ROCPRIM_400000_NS6detail17trampoline_kernelINS0_14default_configENS1_29reduce_by_key_config_selectorIffN6thrust23THRUST_200600_302600_NS4plusIfEEEEZZNS1_33reduce_by_key_impl_wrapped_configILNS1_25lookback_scan_determinismE0ES3_S9_NS6_6detail15normal_iteratorINS6_10device_ptrIfEEEESG_SG_SG_PmS8_NS6_8equal_toIfEEEE10hipError_tPvRmT2_T3_mT4_T5_T6_T7_T8_P12ihipStream_tbENKUlT_T0_E_clISt17integral_constantIbLb0EES11_EEDaSW_SX_EUlSW_E_NS1_11comp_targetILNS1_3genE2ELNS1_11target_archE906ELNS1_3gpuE6ELNS1_3repE0EEENS1_30default_config_static_selectorELNS0_4arch9wavefront6targetE1EEEvT1_
; %bb.0:
	.section	.rodata,"a",@progbits
	.p2align	6, 0x0
	.amdhsa_kernel _ZN7rocprim17ROCPRIM_400000_NS6detail17trampoline_kernelINS0_14default_configENS1_29reduce_by_key_config_selectorIffN6thrust23THRUST_200600_302600_NS4plusIfEEEEZZNS1_33reduce_by_key_impl_wrapped_configILNS1_25lookback_scan_determinismE0ES3_S9_NS6_6detail15normal_iteratorINS6_10device_ptrIfEEEESG_SG_SG_PmS8_NS6_8equal_toIfEEEE10hipError_tPvRmT2_T3_mT4_T5_T6_T7_T8_P12ihipStream_tbENKUlT_T0_E_clISt17integral_constantIbLb0EES11_EEDaSW_SX_EUlSW_E_NS1_11comp_targetILNS1_3genE2ELNS1_11target_archE906ELNS1_3gpuE6ELNS1_3repE0EEENS1_30default_config_static_selectorELNS0_4arch9wavefront6targetE1EEEvT1_
		.amdhsa_group_segment_fixed_size 0
		.amdhsa_private_segment_fixed_size 0
		.amdhsa_kernarg_size 120
		.amdhsa_user_sgpr_count 6
		.amdhsa_user_sgpr_private_segment_buffer 1
		.amdhsa_user_sgpr_dispatch_ptr 0
		.amdhsa_user_sgpr_queue_ptr 0
		.amdhsa_user_sgpr_kernarg_segment_ptr 1
		.amdhsa_user_sgpr_dispatch_id 0
		.amdhsa_user_sgpr_flat_scratch_init 0
		.amdhsa_user_sgpr_kernarg_preload_length 0
		.amdhsa_user_sgpr_kernarg_preload_offset 0
		.amdhsa_user_sgpr_private_segment_size 0
		.amdhsa_uses_dynamic_stack 0
		.amdhsa_system_sgpr_private_segment_wavefront_offset 0
		.amdhsa_system_sgpr_workgroup_id_x 1
		.amdhsa_system_sgpr_workgroup_id_y 0
		.amdhsa_system_sgpr_workgroup_id_z 0
		.amdhsa_system_sgpr_workgroup_info 0
		.amdhsa_system_vgpr_workitem_id 0
		.amdhsa_next_free_vgpr 1
		.amdhsa_next_free_sgpr 0
		.amdhsa_accum_offset 4
		.amdhsa_reserve_vcc 0
		.amdhsa_reserve_flat_scratch 0
		.amdhsa_float_round_mode_32 0
		.amdhsa_float_round_mode_16_64 0
		.amdhsa_float_denorm_mode_32 3
		.amdhsa_float_denorm_mode_16_64 3
		.amdhsa_dx10_clamp 1
		.amdhsa_ieee_mode 1
		.amdhsa_fp16_overflow 0
		.amdhsa_tg_split 0
		.amdhsa_exception_fp_ieee_invalid_op 0
		.amdhsa_exception_fp_denorm_src 0
		.amdhsa_exception_fp_ieee_div_zero 0
		.amdhsa_exception_fp_ieee_overflow 0
		.amdhsa_exception_fp_ieee_underflow 0
		.amdhsa_exception_fp_ieee_inexact 0
		.amdhsa_exception_int_div_zero 0
	.end_amdhsa_kernel
	.section	.text._ZN7rocprim17ROCPRIM_400000_NS6detail17trampoline_kernelINS0_14default_configENS1_29reduce_by_key_config_selectorIffN6thrust23THRUST_200600_302600_NS4plusIfEEEEZZNS1_33reduce_by_key_impl_wrapped_configILNS1_25lookback_scan_determinismE0ES3_S9_NS6_6detail15normal_iteratorINS6_10device_ptrIfEEEESG_SG_SG_PmS8_NS6_8equal_toIfEEEE10hipError_tPvRmT2_T3_mT4_T5_T6_T7_T8_P12ihipStream_tbENKUlT_T0_E_clISt17integral_constantIbLb0EES11_EEDaSW_SX_EUlSW_E_NS1_11comp_targetILNS1_3genE2ELNS1_11target_archE906ELNS1_3gpuE6ELNS1_3repE0EEENS1_30default_config_static_selectorELNS0_4arch9wavefront6targetE1EEEvT1_,"axG",@progbits,_ZN7rocprim17ROCPRIM_400000_NS6detail17trampoline_kernelINS0_14default_configENS1_29reduce_by_key_config_selectorIffN6thrust23THRUST_200600_302600_NS4plusIfEEEEZZNS1_33reduce_by_key_impl_wrapped_configILNS1_25lookback_scan_determinismE0ES3_S9_NS6_6detail15normal_iteratorINS6_10device_ptrIfEEEESG_SG_SG_PmS8_NS6_8equal_toIfEEEE10hipError_tPvRmT2_T3_mT4_T5_T6_T7_T8_P12ihipStream_tbENKUlT_T0_E_clISt17integral_constantIbLb0EES11_EEDaSW_SX_EUlSW_E_NS1_11comp_targetILNS1_3genE2ELNS1_11target_archE906ELNS1_3gpuE6ELNS1_3repE0EEENS1_30default_config_static_selectorELNS0_4arch9wavefront6targetE1EEEvT1_,comdat
.Lfunc_end168:
	.size	_ZN7rocprim17ROCPRIM_400000_NS6detail17trampoline_kernelINS0_14default_configENS1_29reduce_by_key_config_selectorIffN6thrust23THRUST_200600_302600_NS4plusIfEEEEZZNS1_33reduce_by_key_impl_wrapped_configILNS1_25lookback_scan_determinismE0ES3_S9_NS6_6detail15normal_iteratorINS6_10device_ptrIfEEEESG_SG_SG_PmS8_NS6_8equal_toIfEEEE10hipError_tPvRmT2_T3_mT4_T5_T6_T7_T8_P12ihipStream_tbENKUlT_T0_E_clISt17integral_constantIbLb0EES11_EEDaSW_SX_EUlSW_E_NS1_11comp_targetILNS1_3genE2ELNS1_11target_archE906ELNS1_3gpuE6ELNS1_3repE0EEENS1_30default_config_static_selectorELNS0_4arch9wavefront6targetE1EEEvT1_, .Lfunc_end168-_ZN7rocprim17ROCPRIM_400000_NS6detail17trampoline_kernelINS0_14default_configENS1_29reduce_by_key_config_selectorIffN6thrust23THRUST_200600_302600_NS4plusIfEEEEZZNS1_33reduce_by_key_impl_wrapped_configILNS1_25lookback_scan_determinismE0ES3_S9_NS6_6detail15normal_iteratorINS6_10device_ptrIfEEEESG_SG_SG_PmS8_NS6_8equal_toIfEEEE10hipError_tPvRmT2_T3_mT4_T5_T6_T7_T8_P12ihipStream_tbENKUlT_T0_E_clISt17integral_constantIbLb0EES11_EEDaSW_SX_EUlSW_E_NS1_11comp_targetILNS1_3genE2ELNS1_11target_archE906ELNS1_3gpuE6ELNS1_3repE0EEENS1_30default_config_static_selectorELNS0_4arch9wavefront6targetE1EEEvT1_
                                        ; -- End function
	.section	.AMDGPU.csdata,"",@progbits
; Kernel info:
; codeLenInByte = 0
; NumSgprs: 4
; NumVgprs: 0
; NumAgprs: 0
; TotalNumVgprs: 0
; ScratchSize: 0
; MemoryBound: 0
; FloatMode: 240
; IeeeMode: 1
; LDSByteSize: 0 bytes/workgroup (compile time only)
; SGPRBlocks: 0
; VGPRBlocks: 0
; NumSGPRsForWavesPerEU: 4
; NumVGPRsForWavesPerEU: 1
; AccumOffset: 4
; Occupancy: 8
; WaveLimiterHint : 0
; COMPUTE_PGM_RSRC2:SCRATCH_EN: 0
; COMPUTE_PGM_RSRC2:USER_SGPR: 6
; COMPUTE_PGM_RSRC2:TRAP_HANDLER: 0
; COMPUTE_PGM_RSRC2:TGID_X_EN: 1
; COMPUTE_PGM_RSRC2:TGID_Y_EN: 0
; COMPUTE_PGM_RSRC2:TGID_Z_EN: 0
; COMPUTE_PGM_RSRC2:TIDIG_COMP_CNT: 0
; COMPUTE_PGM_RSRC3_GFX90A:ACCUM_OFFSET: 0
; COMPUTE_PGM_RSRC3_GFX90A:TG_SPLIT: 0
	.section	.text._ZN7rocprim17ROCPRIM_400000_NS6detail17trampoline_kernelINS0_14default_configENS1_29reduce_by_key_config_selectorIffN6thrust23THRUST_200600_302600_NS4plusIfEEEEZZNS1_33reduce_by_key_impl_wrapped_configILNS1_25lookback_scan_determinismE0ES3_S9_NS6_6detail15normal_iteratorINS6_10device_ptrIfEEEESG_SG_SG_PmS8_NS6_8equal_toIfEEEE10hipError_tPvRmT2_T3_mT4_T5_T6_T7_T8_P12ihipStream_tbENKUlT_T0_E_clISt17integral_constantIbLb0EES11_EEDaSW_SX_EUlSW_E_NS1_11comp_targetILNS1_3genE10ELNS1_11target_archE1201ELNS1_3gpuE5ELNS1_3repE0EEENS1_30default_config_static_selectorELNS0_4arch9wavefront6targetE1EEEvT1_,"axG",@progbits,_ZN7rocprim17ROCPRIM_400000_NS6detail17trampoline_kernelINS0_14default_configENS1_29reduce_by_key_config_selectorIffN6thrust23THRUST_200600_302600_NS4plusIfEEEEZZNS1_33reduce_by_key_impl_wrapped_configILNS1_25lookback_scan_determinismE0ES3_S9_NS6_6detail15normal_iteratorINS6_10device_ptrIfEEEESG_SG_SG_PmS8_NS6_8equal_toIfEEEE10hipError_tPvRmT2_T3_mT4_T5_T6_T7_T8_P12ihipStream_tbENKUlT_T0_E_clISt17integral_constantIbLb0EES11_EEDaSW_SX_EUlSW_E_NS1_11comp_targetILNS1_3genE10ELNS1_11target_archE1201ELNS1_3gpuE5ELNS1_3repE0EEENS1_30default_config_static_selectorELNS0_4arch9wavefront6targetE1EEEvT1_,comdat
	.protected	_ZN7rocprim17ROCPRIM_400000_NS6detail17trampoline_kernelINS0_14default_configENS1_29reduce_by_key_config_selectorIffN6thrust23THRUST_200600_302600_NS4plusIfEEEEZZNS1_33reduce_by_key_impl_wrapped_configILNS1_25lookback_scan_determinismE0ES3_S9_NS6_6detail15normal_iteratorINS6_10device_ptrIfEEEESG_SG_SG_PmS8_NS6_8equal_toIfEEEE10hipError_tPvRmT2_T3_mT4_T5_T6_T7_T8_P12ihipStream_tbENKUlT_T0_E_clISt17integral_constantIbLb0EES11_EEDaSW_SX_EUlSW_E_NS1_11comp_targetILNS1_3genE10ELNS1_11target_archE1201ELNS1_3gpuE5ELNS1_3repE0EEENS1_30default_config_static_selectorELNS0_4arch9wavefront6targetE1EEEvT1_ ; -- Begin function _ZN7rocprim17ROCPRIM_400000_NS6detail17trampoline_kernelINS0_14default_configENS1_29reduce_by_key_config_selectorIffN6thrust23THRUST_200600_302600_NS4plusIfEEEEZZNS1_33reduce_by_key_impl_wrapped_configILNS1_25lookback_scan_determinismE0ES3_S9_NS6_6detail15normal_iteratorINS6_10device_ptrIfEEEESG_SG_SG_PmS8_NS6_8equal_toIfEEEE10hipError_tPvRmT2_T3_mT4_T5_T6_T7_T8_P12ihipStream_tbENKUlT_T0_E_clISt17integral_constantIbLb0EES11_EEDaSW_SX_EUlSW_E_NS1_11comp_targetILNS1_3genE10ELNS1_11target_archE1201ELNS1_3gpuE5ELNS1_3repE0EEENS1_30default_config_static_selectorELNS0_4arch9wavefront6targetE1EEEvT1_
	.globl	_ZN7rocprim17ROCPRIM_400000_NS6detail17trampoline_kernelINS0_14default_configENS1_29reduce_by_key_config_selectorIffN6thrust23THRUST_200600_302600_NS4plusIfEEEEZZNS1_33reduce_by_key_impl_wrapped_configILNS1_25lookback_scan_determinismE0ES3_S9_NS6_6detail15normal_iteratorINS6_10device_ptrIfEEEESG_SG_SG_PmS8_NS6_8equal_toIfEEEE10hipError_tPvRmT2_T3_mT4_T5_T6_T7_T8_P12ihipStream_tbENKUlT_T0_E_clISt17integral_constantIbLb0EES11_EEDaSW_SX_EUlSW_E_NS1_11comp_targetILNS1_3genE10ELNS1_11target_archE1201ELNS1_3gpuE5ELNS1_3repE0EEENS1_30default_config_static_selectorELNS0_4arch9wavefront6targetE1EEEvT1_
	.p2align	8
	.type	_ZN7rocprim17ROCPRIM_400000_NS6detail17trampoline_kernelINS0_14default_configENS1_29reduce_by_key_config_selectorIffN6thrust23THRUST_200600_302600_NS4plusIfEEEEZZNS1_33reduce_by_key_impl_wrapped_configILNS1_25lookback_scan_determinismE0ES3_S9_NS6_6detail15normal_iteratorINS6_10device_ptrIfEEEESG_SG_SG_PmS8_NS6_8equal_toIfEEEE10hipError_tPvRmT2_T3_mT4_T5_T6_T7_T8_P12ihipStream_tbENKUlT_T0_E_clISt17integral_constantIbLb0EES11_EEDaSW_SX_EUlSW_E_NS1_11comp_targetILNS1_3genE10ELNS1_11target_archE1201ELNS1_3gpuE5ELNS1_3repE0EEENS1_30default_config_static_selectorELNS0_4arch9wavefront6targetE1EEEvT1_,@function
_ZN7rocprim17ROCPRIM_400000_NS6detail17trampoline_kernelINS0_14default_configENS1_29reduce_by_key_config_selectorIffN6thrust23THRUST_200600_302600_NS4plusIfEEEEZZNS1_33reduce_by_key_impl_wrapped_configILNS1_25lookback_scan_determinismE0ES3_S9_NS6_6detail15normal_iteratorINS6_10device_ptrIfEEEESG_SG_SG_PmS8_NS6_8equal_toIfEEEE10hipError_tPvRmT2_T3_mT4_T5_T6_T7_T8_P12ihipStream_tbENKUlT_T0_E_clISt17integral_constantIbLb0EES11_EEDaSW_SX_EUlSW_E_NS1_11comp_targetILNS1_3genE10ELNS1_11target_archE1201ELNS1_3gpuE5ELNS1_3repE0EEENS1_30default_config_static_selectorELNS0_4arch9wavefront6targetE1EEEvT1_: ; @_ZN7rocprim17ROCPRIM_400000_NS6detail17trampoline_kernelINS0_14default_configENS1_29reduce_by_key_config_selectorIffN6thrust23THRUST_200600_302600_NS4plusIfEEEEZZNS1_33reduce_by_key_impl_wrapped_configILNS1_25lookback_scan_determinismE0ES3_S9_NS6_6detail15normal_iteratorINS6_10device_ptrIfEEEESG_SG_SG_PmS8_NS6_8equal_toIfEEEE10hipError_tPvRmT2_T3_mT4_T5_T6_T7_T8_P12ihipStream_tbENKUlT_T0_E_clISt17integral_constantIbLb0EES11_EEDaSW_SX_EUlSW_E_NS1_11comp_targetILNS1_3genE10ELNS1_11target_archE1201ELNS1_3gpuE5ELNS1_3repE0EEENS1_30default_config_static_selectorELNS0_4arch9wavefront6targetE1EEEvT1_
; %bb.0:
	.section	.rodata,"a",@progbits
	.p2align	6, 0x0
	.amdhsa_kernel _ZN7rocprim17ROCPRIM_400000_NS6detail17trampoline_kernelINS0_14default_configENS1_29reduce_by_key_config_selectorIffN6thrust23THRUST_200600_302600_NS4plusIfEEEEZZNS1_33reduce_by_key_impl_wrapped_configILNS1_25lookback_scan_determinismE0ES3_S9_NS6_6detail15normal_iteratorINS6_10device_ptrIfEEEESG_SG_SG_PmS8_NS6_8equal_toIfEEEE10hipError_tPvRmT2_T3_mT4_T5_T6_T7_T8_P12ihipStream_tbENKUlT_T0_E_clISt17integral_constantIbLb0EES11_EEDaSW_SX_EUlSW_E_NS1_11comp_targetILNS1_3genE10ELNS1_11target_archE1201ELNS1_3gpuE5ELNS1_3repE0EEENS1_30default_config_static_selectorELNS0_4arch9wavefront6targetE1EEEvT1_
		.amdhsa_group_segment_fixed_size 0
		.amdhsa_private_segment_fixed_size 0
		.amdhsa_kernarg_size 120
		.amdhsa_user_sgpr_count 6
		.amdhsa_user_sgpr_private_segment_buffer 1
		.amdhsa_user_sgpr_dispatch_ptr 0
		.amdhsa_user_sgpr_queue_ptr 0
		.amdhsa_user_sgpr_kernarg_segment_ptr 1
		.amdhsa_user_sgpr_dispatch_id 0
		.amdhsa_user_sgpr_flat_scratch_init 0
		.amdhsa_user_sgpr_kernarg_preload_length 0
		.amdhsa_user_sgpr_kernarg_preload_offset 0
		.amdhsa_user_sgpr_private_segment_size 0
		.amdhsa_uses_dynamic_stack 0
		.amdhsa_system_sgpr_private_segment_wavefront_offset 0
		.amdhsa_system_sgpr_workgroup_id_x 1
		.amdhsa_system_sgpr_workgroup_id_y 0
		.amdhsa_system_sgpr_workgroup_id_z 0
		.amdhsa_system_sgpr_workgroup_info 0
		.amdhsa_system_vgpr_workitem_id 0
		.amdhsa_next_free_vgpr 1
		.amdhsa_next_free_sgpr 0
		.amdhsa_accum_offset 4
		.amdhsa_reserve_vcc 0
		.amdhsa_reserve_flat_scratch 0
		.amdhsa_float_round_mode_32 0
		.amdhsa_float_round_mode_16_64 0
		.amdhsa_float_denorm_mode_32 3
		.amdhsa_float_denorm_mode_16_64 3
		.amdhsa_dx10_clamp 1
		.amdhsa_ieee_mode 1
		.amdhsa_fp16_overflow 0
		.amdhsa_tg_split 0
		.amdhsa_exception_fp_ieee_invalid_op 0
		.amdhsa_exception_fp_denorm_src 0
		.amdhsa_exception_fp_ieee_div_zero 0
		.amdhsa_exception_fp_ieee_overflow 0
		.amdhsa_exception_fp_ieee_underflow 0
		.amdhsa_exception_fp_ieee_inexact 0
		.amdhsa_exception_int_div_zero 0
	.end_amdhsa_kernel
	.section	.text._ZN7rocprim17ROCPRIM_400000_NS6detail17trampoline_kernelINS0_14default_configENS1_29reduce_by_key_config_selectorIffN6thrust23THRUST_200600_302600_NS4plusIfEEEEZZNS1_33reduce_by_key_impl_wrapped_configILNS1_25lookback_scan_determinismE0ES3_S9_NS6_6detail15normal_iteratorINS6_10device_ptrIfEEEESG_SG_SG_PmS8_NS6_8equal_toIfEEEE10hipError_tPvRmT2_T3_mT4_T5_T6_T7_T8_P12ihipStream_tbENKUlT_T0_E_clISt17integral_constantIbLb0EES11_EEDaSW_SX_EUlSW_E_NS1_11comp_targetILNS1_3genE10ELNS1_11target_archE1201ELNS1_3gpuE5ELNS1_3repE0EEENS1_30default_config_static_selectorELNS0_4arch9wavefront6targetE1EEEvT1_,"axG",@progbits,_ZN7rocprim17ROCPRIM_400000_NS6detail17trampoline_kernelINS0_14default_configENS1_29reduce_by_key_config_selectorIffN6thrust23THRUST_200600_302600_NS4plusIfEEEEZZNS1_33reduce_by_key_impl_wrapped_configILNS1_25lookback_scan_determinismE0ES3_S9_NS6_6detail15normal_iteratorINS6_10device_ptrIfEEEESG_SG_SG_PmS8_NS6_8equal_toIfEEEE10hipError_tPvRmT2_T3_mT4_T5_T6_T7_T8_P12ihipStream_tbENKUlT_T0_E_clISt17integral_constantIbLb0EES11_EEDaSW_SX_EUlSW_E_NS1_11comp_targetILNS1_3genE10ELNS1_11target_archE1201ELNS1_3gpuE5ELNS1_3repE0EEENS1_30default_config_static_selectorELNS0_4arch9wavefront6targetE1EEEvT1_,comdat
.Lfunc_end169:
	.size	_ZN7rocprim17ROCPRIM_400000_NS6detail17trampoline_kernelINS0_14default_configENS1_29reduce_by_key_config_selectorIffN6thrust23THRUST_200600_302600_NS4plusIfEEEEZZNS1_33reduce_by_key_impl_wrapped_configILNS1_25lookback_scan_determinismE0ES3_S9_NS6_6detail15normal_iteratorINS6_10device_ptrIfEEEESG_SG_SG_PmS8_NS6_8equal_toIfEEEE10hipError_tPvRmT2_T3_mT4_T5_T6_T7_T8_P12ihipStream_tbENKUlT_T0_E_clISt17integral_constantIbLb0EES11_EEDaSW_SX_EUlSW_E_NS1_11comp_targetILNS1_3genE10ELNS1_11target_archE1201ELNS1_3gpuE5ELNS1_3repE0EEENS1_30default_config_static_selectorELNS0_4arch9wavefront6targetE1EEEvT1_, .Lfunc_end169-_ZN7rocprim17ROCPRIM_400000_NS6detail17trampoline_kernelINS0_14default_configENS1_29reduce_by_key_config_selectorIffN6thrust23THRUST_200600_302600_NS4plusIfEEEEZZNS1_33reduce_by_key_impl_wrapped_configILNS1_25lookback_scan_determinismE0ES3_S9_NS6_6detail15normal_iteratorINS6_10device_ptrIfEEEESG_SG_SG_PmS8_NS6_8equal_toIfEEEE10hipError_tPvRmT2_T3_mT4_T5_T6_T7_T8_P12ihipStream_tbENKUlT_T0_E_clISt17integral_constantIbLb0EES11_EEDaSW_SX_EUlSW_E_NS1_11comp_targetILNS1_3genE10ELNS1_11target_archE1201ELNS1_3gpuE5ELNS1_3repE0EEENS1_30default_config_static_selectorELNS0_4arch9wavefront6targetE1EEEvT1_
                                        ; -- End function
	.section	.AMDGPU.csdata,"",@progbits
; Kernel info:
; codeLenInByte = 0
; NumSgprs: 4
; NumVgprs: 0
; NumAgprs: 0
; TotalNumVgprs: 0
; ScratchSize: 0
; MemoryBound: 0
; FloatMode: 240
; IeeeMode: 1
; LDSByteSize: 0 bytes/workgroup (compile time only)
; SGPRBlocks: 0
; VGPRBlocks: 0
; NumSGPRsForWavesPerEU: 4
; NumVGPRsForWavesPerEU: 1
; AccumOffset: 4
; Occupancy: 8
; WaveLimiterHint : 0
; COMPUTE_PGM_RSRC2:SCRATCH_EN: 0
; COMPUTE_PGM_RSRC2:USER_SGPR: 6
; COMPUTE_PGM_RSRC2:TRAP_HANDLER: 0
; COMPUTE_PGM_RSRC2:TGID_X_EN: 1
; COMPUTE_PGM_RSRC2:TGID_Y_EN: 0
; COMPUTE_PGM_RSRC2:TGID_Z_EN: 0
; COMPUTE_PGM_RSRC2:TIDIG_COMP_CNT: 0
; COMPUTE_PGM_RSRC3_GFX90A:ACCUM_OFFSET: 0
; COMPUTE_PGM_RSRC3_GFX90A:TG_SPLIT: 0
	.section	.text._ZN7rocprim17ROCPRIM_400000_NS6detail17trampoline_kernelINS0_14default_configENS1_29reduce_by_key_config_selectorIffN6thrust23THRUST_200600_302600_NS4plusIfEEEEZZNS1_33reduce_by_key_impl_wrapped_configILNS1_25lookback_scan_determinismE0ES3_S9_NS6_6detail15normal_iteratorINS6_10device_ptrIfEEEESG_SG_SG_PmS8_NS6_8equal_toIfEEEE10hipError_tPvRmT2_T3_mT4_T5_T6_T7_T8_P12ihipStream_tbENKUlT_T0_E_clISt17integral_constantIbLb0EES11_EEDaSW_SX_EUlSW_E_NS1_11comp_targetILNS1_3genE10ELNS1_11target_archE1200ELNS1_3gpuE4ELNS1_3repE0EEENS1_30default_config_static_selectorELNS0_4arch9wavefront6targetE1EEEvT1_,"axG",@progbits,_ZN7rocprim17ROCPRIM_400000_NS6detail17trampoline_kernelINS0_14default_configENS1_29reduce_by_key_config_selectorIffN6thrust23THRUST_200600_302600_NS4plusIfEEEEZZNS1_33reduce_by_key_impl_wrapped_configILNS1_25lookback_scan_determinismE0ES3_S9_NS6_6detail15normal_iteratorINS6_10device_ptrIfEEEESG_SG_SG_PmS8_NS6_8equal_toIfEEEE10hipError_tPvRmT2_T3_mT4_T5_T6_T7_T8_P12ihipStream_tbENKUlT_T0_E_clISt17integral_constantIbLb0EES11_EEDaSW_SX_EUlSW_E_NS1_11comp_targetILNS1_3genE10ELNS1_11target_archE1200ELNS1_3gpuE4ELNS1_3repE0EEENS1_30default_config_static_selectorELNS0_4arch9wavefront6targetE1EEEvT1_,comdat
	.protected	_ZN7rocprim17ROCPRIM_400000_NS6detail17trampoline_kernelINS0_14default_configENS1_29reduce_by_key_config_selectorIffN6thrust23THRUST_200600_302600_NS4plusIfEEEEZZNS1_33reduce_by_key_impl_wrapped_configILNS1_25lookback_scan_determinismE0ES3_S9_NS6_6detail15normal_iteratorINS6_10device_ptrIfEEEESG_SG_SG_PmS8_NS6_8equal_toIfEEEE10hipError_tPvRmT2_T3_mT4_T5_T6_T7_T8_P12ihipStream_tbENKUlT_T0_E_clISt17integral_constantIbLb0EES11_EEDaSW_SX_EUlSW_E_NS1_11comp_targetILNS1_3genE10ELNS1_11target_archE1200ELNS1_3gpuE4ELNS1_3repE0EEENS1_30default_config_static_selectorELNS0_4arch9wavefront6targetE1EEEvT1_ ; -- Begin function _ZN7rocprim17ROCPRIM_400000_NS6detail17trampoline_kernelINS0_14default_configENS1_29reduce_by_key_config_selectorIffN6thrust23THRUST_200600_302600_NS4plusIfEEEEZZNS1_33reduce_by_key_impl_wrapped_configILNS1_25lookback_scan_determinismE0ES3_S9_NS6_6detail15normal_iteratorINS6_10device_ptrIfEEEESG_SG_SG_PmS8_NS6_8equal_toIfEEEE10hipError_tPvRmT2_T3_mT4_T5_T6_T7_T8_P12ihipStream_tbENKUlT_T0_E_clISt17integral_constantIbLb0EES11_EEDaSW_SX_EUlSW_E_NS1_11comp_targetILNS1_3genE10ELNS1_11target_archE1200ELNS1_3gpuE4ELNS1_3repE0EEENS1_30default_config_static_selectorELNS0_4arch9wavefront6targetE1EEEvT1_
	.globl	_ZN7rocprim17ROCPRIM_400000_NS6detail17trampoline_kernelINS0_14default_configENS1_29reduce_by_key_config_selectorIffN6thrust23THRUST_200600_302600_NS4plusIfEEEEZZNS1_33reduce_by_key_impl_wrapped_configILNS1_25lookback_scan_determinismE0ES3_S9_NS6_6detail15normal_iteratorINS6_10device_ptrIfEEEESG_SG_SG_PmS8_NS6_8equal_toIfEEEE10hipError_tPvRmT2_T3_mT4_T5_T6_T7_T8_P12ihipStream_tbENKUlT_T0_E_clISt17integral_constantIbLb0EES11_EEDaSW_SX_EUlSW_E_NS1_11comp_targetILNS1_3genE10ELNS1_11target_archE1200ELNS1_3gpuE4ELNS1_3repE0EEENS1_30default_config_static_selectorELNS0_4arch9wavefront6targetE1EEEvT1_
	.p2align	8
	.type	_ZN7rocprim17ROCPRIM_400000_NS6detail17trampoline_kernelINS0_14default_configENS1_29reduce_by_key_config_selectorIffN6thrust23THRUST_200600_302600_NS4plusIfEEEEZZNS1_33reduce_by_key_impl_wrapped_configILNS1_25lookback_scan_determinismE0ES3_S9_NS6_6detail15normal_iteratorINS6_10device_ptrIfEEEESG_SG_SG_PmS8_NS6_8equal_toIfEEEE10hipError_tPvRmT2_T3_mT4_T5_T6_T7_T8_P12ihipStream_tbENKUlT_T0_E_clISt17integral_constantIbLb0EES11_EEDaSW_SX_EUlSW_E_NS1_11comp_targetILNS1_3genE10ELNS1_11target_archE1200ELNS1_3gpuE4ELNS1_3repE0EEENS1_30default_config_static_selectorELNS0_4arch9wavefront6targetE1EEEvT1_,@function
_ZN7rocprim17ROCPRIM_400000_NS6detail17trampoline_kernelINS0_14default_configENS1_29reduce_by_key_config_selectorIffN6thrust23THRUST_200600_302600_NS4plusIfEEEEZZNS1_33reduce_by_key_impl_wrapped_configILNS1_25lookback_scan_determinismE0ES3_S9_NS6_6detail15normal_iteratorINS6_10device_ptrIfEEEESG_SG_SG_PmS8_NS6_8equal_toIfEEEE10hipError_tPvRmT2_T3_mT4_T5_T6_T7_T8_P12ihipStream_tbENKUlT_T0_E_clISt17integral_constantIbLb0EES11_EEDaSW_SX_EUlSW_E_NS1_11comp_targetILNS1_3genE10ELNS1_11target_archE1200ELNS1_3gpuE4ELNS1_3repE0EEENS1_30default_config_static_selectorELNS0_4arch9wavefront6targetE1EEEvT1_: ; @_ZN7rocprim17ROCPRIM_400000_NS6detail17trampoline_kernelINS0_14default_configENS1_29reduce_by_key_config_selectorIffN6thrust23THRUST_200600_302600_NS4plusIfEEEEZZNS1_33reduce_by_key_impl_wrapped_configILNS1_25lookback_scan_determinismE0ES3_S9_NS6_6detail15normal_iteratorINS6_10device_ptrIfEEEESG_SG_SG_PmS8_NS6_8equal_toIfEEEE10hipError_tPvRmT2_T3_mT4_T5_T6_T7_T8_P12ihipStream_tbENKUlT_T0_E_clISt17integral_constantIbLb0EES11_EEDaSW_SX_EUlSW_E_NS1_11comp_targetILNS1_3genE10ELNS1_11target_archE1200ELNS1_3gpuE4ELNS1_3repE0EEENS1_30default_config_static_selectorELNS0_4arch9wavefront6targetE1EEEvT1_
; %bb.0:
	.section	.rodata,"a",@progbits
	.p2align	6, 0x0
	.amdhsa_kernel _ZN7rocprim17ROCPRIM_400000_NS6detail17trampoline_kernelINS0_14default_configENS1_29reduce_by_key_config_selectorIffN6thrust23THRUST_200600_302600_NS4plusIfEEEEZZNS1_33reduce_by_key_impl_wrapped_configILNS1_25lookback_scan_determinismE0ES3_S9_NS6_6detail15normal_iteratorINS6_10device_ptrIfEEEESG_SG_SG_PmS8_NS6_8equal_toIfEEEE10hipError_tPvRmT2_T3_mT4_T5_T6_T7_T8_P12ihipStream_tbENKUlT_T0_E_clISt17integral_constantIbLb0EES11_EEDaSW_SX_EUlSW_E_NS1_11comp_targetILNS1_3genE10ELNS1_11target_archE1200ELNS1_3gpuE4ELNS1_3repE0EEENS1_30default_config_static_selectorELNS0_4arch9wavefront6targetE1EEEvT1_
		.amdhsa_group_segment_fixed_size 0
		.amdhsa_private_segment_fixed_size 0
		.amdhsa_kernarg_size 120
		.amdhsa_user_sgpr_count 6
		.amdhsa_user_sgpr_private_segment_buffer 1
		.amdhsa_user_sgpr_dispatch_ptr 0
		.amdhsa_user_sgpr_queue_ptr 0
		.amdhsa_user_sgpr_kernarg_segment_ptr 1
		.amdhsa_user_sgpr_dispatch_id 0
		.amdhsa_user_sgpr_flat_scratch_init 0
		.amdhsa_user_sgpr_kernarg_preload_length 0
		.amdhsa_user_sgpr_kernarg_preload_offset 0
		.amdhsa_user_sgpr_private_segment_size 0
		.amdhsa_uses_dynamic_stack 0
		.amdhsa_system_sgpr_private_segment_wavefront_offset 0
		.amdhsa_system_sgpr_workgroup_id_x 1
		.amdhsa_system_sgpr_workgroup_id_y 0
		.amdhsa_system_sgpr_workgroup_id_z 0
		.amdhsa_system_sgpr_workgroup_info 0
		.amdhsa_system_vgpr_workitem_id 0
		.amdhsa_next_free_vgpr 1
		.amdhsa_next_free_sgpr 0
		.amdhsa_accum_offset 4
		.amdhsa_reserve_vcc 0
		.amdhsa_reserve_flat_scratch 0
		.amdhsa_float_round_mode_32 0
		.amdhsa_float_round_mode_16_64 0
		.amdhsa_float_denorm_mode_32 3
		.amdhsa_float_denorm_mode_16_64 3
		.amdhsa_dx10_clamp 1
		.amdhsa_ieee_mode 1
		.amdhsa_fp16_overflow 0
		.amdhsa_tg_split 0
		.amdhsa_exception_fp_ieee_invalid_op 0
		.amdhsa_exception_fp_denorm_src 0
		.amdhsa_exception_fp_ieee_div_zero 0
		.amdhsa_exception_fp_ieee_overflow 0
		.amdhsa_exception_fp_ieee_underflow 0
		.amdhsa_exception_fp_ieee_inexact 0
		.amdhsa_exception_int_div_zero 0
	.end_amdhsa_kernel
	.section	.text._ZN7rocprim17ROCPRIM_400000_NS6detail17trampoline_kernelINS0_14default_configENS1_29reduce_by_key_config_selectorIffN6thrust23THRUST_200600_302600_NS4plusIfEEEEZZNS1_33reduce_by_key_impl_wrapped_configILNS1_25lookback_scan_determinismE0ES3_S9_NS6_6detail15normal_iteratorINS6_10device_ptrIfEEEESG_SG_SG_PmS8_NS6_8equal_toIfEEEE10hipError_tPvRmT2_T3_mT4_T5_T6_T7_T8_P12ihipStream_tbENKUlT_T0_E_clISt17integral_constantIbLb0EES11_EEDaSW_SX_EUlSW_E_NS1_11comp_targetILNS1_3genE10ELNS1_11target_archE1200ELNS1_3gpuE4ELNS1_3repE0EEENS1_30default_config_static_selectorELNS0_4arch9wavefront6targetE1EEEvT1_,"axG",@progbits,_ZN7rocprim17ROCPRIM_400000_NS6detail17trampoline_kernelINS0_14default_configENS1_29reduce_by_key_config_selectorIffN6thrust23THRUST_200600_302600_NS4plusIfEEEEZZNS1_33reduce_by_key_impl_wrapped_configILNS1_25lookback_scan_determinismE0ES3_S9_NS6_6detail15normal_iteratorINS6_10device_ptrIfEEEESG_SG_SG_PmS8_NS6_8equal_toIfEEEE10hipError_tPvRmT2_T3_mT4_T5_T6_T7_T8_P12ihipStream_tbENKUlT_T0_E_clISt17integral_constantIbLb0EES11_EEDaSW_SX_EUlSW_E_NS1_11comp_targetILNS1_3genE10ELNS1_11target_archE1200ELNS1_3gpuE4ELNS1_3repE0EEENS1_30default_config_static_selectorELNS0_4arch9wavefront6targetE1EEEvT1_,comdat
.Lfunc_end170:
	.size	_ZN7rocprim17ROCPRIM_400000_NS6detail17trampoline_kernelINS0_14default_configENS1_29reduce_by_key_config_selectorIffN6thrust23THRUST_200600_302600_NS4plusIfEEEEZZNS1_33reduce_by_key_impl_wrapped_configILNS1_25lookback_scan_determinismE0ES3_S9_NS6_6detail15normal_iteratorINS6_10device_ptrIfEEEESG_SG_SG_PmS8_NS6_8equal_toIfEEEE10hipError_tPvRmT2_T3_mT4_T5_T6_T7_T8_P12ihipStream_tbENKUlT_T0_E_clISt17integral_constantIbLb0EES11_EEDaSW_SX_EUlSW_E_NS1_11comp_targetILNS1_3genE10ELNS1_11target_archE1200ELNS1_3gpuE4ELNS1_3repE0EEENS1_30default_config_static_selectorELNS0_4arch9wavefront6targetE1EEEvT1_, .Lfunc_end170-_ZN7rocprim17ROCPRIM_400000_NS6detail17trampoline_kernelINS0_14default_configENS1_29reduce_by_key_config_selectorIffN6thrust23THRUST_200600_302600_NS4plusIfEEEEZZNS1_33reduce_by_key_impl_wrapped_configILNS1_25lookback_scan_determinismE0ES3_S9_NS6_6detail15normal_iteratorINS6_10device_ptrIfEEEESG_SG_SG_PmS8_NS6_8equal_toIfEEEE10hipError_tPvRmT2_T3_mT4_T5_T6_T7_T8_P12ihipStream_tbENKUlT_T0_E_clISt17integral_constantIbLb0EES11_EEDaSW_SX_EUlSW_E_NS1_11comp_targetILNS1_3genE10ELNS1_11target_archE1200ELNS1_3gpuE4ELNS1_3repE0EEENS1_30default_config_static_selectorELNS0_4arch9wavefront6targetE1EEEvT1_
                                        ; -- End function
	.section	.AMDGPU.csdata,"",@progbits
; Kernel info:
; codeLenInByte = 0
; NumSgprs: 4
; NumVgprs: 0
; NumAgprs: 0
; TotalNumVgprs: 0
; ScratchSize: 0
; MemoryBound: 0
; FloatMode: 240
; IeeeMode: 1
; LDSByteSize: 0 bytes/workgroup (compile time only)
; SGPRBlocks: 0
; VGPRBlocks: 0
; NumSGPRsForWavesPerEU: 4
; NumVGPRsForWavesPerEU: 1
; AccumOffset: 4
; Occupancy: 8
; WaveLimiterHint : 0
; COMPUTE_PGM_RSRC2:SCRATCH_EN: 0
; COMPUTE_PGM_RSRC2:USER_SGPR: 6
; COMPUTE_PGM_RSRC2:TRAP_HANDLER: 0
; COMPUTE_PGM_RSRC2:TGID_X_EN: 1
; COMPUTE_PGM_RSRC2:TGID_Y_EN: 0
; COMPUTE_PGM_RSRC2:TGID_Z_EN: 0
; COMPUTE_PGM_RSRC2:TIDIG_COMP_CNT: 0
; COMPUTE_PGM_RSRC3_GFX90A:ACCUM_OFFSET: 0
; COMPUTE_PGM_RSRC3_GFX90A:TG_SPLIT: 0
	.section	.text._ZN7rocprim17ROCPRIM_400000_NS6detail17trampoline_kernelINS0_14default_configENS1_29reduce_by_key_config_selectorIffN6thrust23THRUST_200600_302600_NS4plusIfEEEEZZNS1_33reduce_by_key_impl_wrapped_configILNS1_25lookback_scan_determinismE0ES3_S9_NS6_6detail15normal_iteratorINS6_10device_ptrIfEEEESG_SG_SG_PmS8_NS6_8equal_toIfEEEE10hipError_tPvRmT2_T3_mT4_T5_T6_T7_T8_P12ihipStream_tbENKUlT_T0_E_clISt17integral_constantIbLb0EES11_EEDaSW_SX_EUlSW_E_NS1_11comp_targetILNS1_3genE9ELNS1_11target_archE1100ELNS1_3gpuE3ELNS1_3repE0EEENS1_30default_config_static_selectorELNS0_4arch9wavefront6targetE1EEEvT1_,"axG",@progbits,_ZN7rocprim17ROCPRIM_400000_NS6detail17trampoline_kernelINS0_14default_configENS1_29reduce_by_key_config_selectorIffN6thrust23THRUST_200600_302600_NS4plusIfEEEEZZNS1_33reduce_by_key_impl_wrapped_configILNS1_25lookback_scan_determinismE0ES3_S9_NS6_6detail15normal_iteratorINS6_10device_ptrIfEEEESG_SG_SG_PmS8_NS6_8equal_toIfEEEE10hipError_tPvRmT2_T3_mT4_T5_T6_T7_T8_P12ihipStream_tbENKUlT_T0_E_clISt17integral_constantIbLb0EES11_EEDaSW_SX_EUlSW_E_NS1_11comp_targetILNS1_3genE9ELNS1_11target_archE1100ELNS1_3gpuE3ELNS1_3repE0EEENS1_30default_config_static_selectorELNS0_4arch9wavefront6targetE1EEEvT1_,comdat
	.protected	_ZN7rocprim17ROCPRIM_400000_NS6detail17trampoline_kernelINS0_14default_configENS1_29reduce_by_key_config_selectorIffN6thrust23THRUST_200600_302600_NS4plusIfEEEEZZNS1_33reduce_by_key_impl_wrapped_configILNS1_25lookback_scan_determinismE0ES3_S9_NS6_6detail15normal_iteratorINS6_10device_ptrIfEEEESG_SG_SG_PmS8_NS6_8equal_toIfEEEE10hipError_tPvRmT2_T3_mT4_T5_T6_T7_T8_P12ihipStream_tbENKUlT_T0_E_clISt17integral_constantIbLb0EES11_EEDaSW_SX_EUlSW_E_NS1_11comp_targetILNS1_3genE9ELNS1_11target_archE1100ELNS1_3gpuE3ELNS1_3repE0EEENS1_30default_config_static_selectorELNS0_4arch9wavefront6targetE1EEEvT1_ ; -- Begin function _ZN7rocprim17ROCPRIM_400000_NS6detail17trampoline_kernelINS0_14default_configENS1_29reduce_by_key_config_selectorIffN6thrust23THRUST_200600_302600_NS4plusIfEEEEZZNS1_33reduce_by_key_impl_wrapped_configILNS1_25lookback_scan_determinismE0ES3_S9_NS6_6detail15normal_iteratorINS6_10device_ptrIfEEEESG_SG_SG_PmS8_NS6_8equal_toIfEEEE10hipError_tPvRmT2_T3_mT4_T5_T6_T7_T8_P12ihipStream_tbENKUlT_T0_E_clISt17integral_constantIbLb0EES11_EEDaSW_SX_EUlSW_E_NS1_11comp_targetILNS1_3genE9ELNS1_11target_archE1100ELNS1_3gpuE3ELNS1_3repE0EEENS1_30default_config_static_selectorELNS0_4arch9wavefront6targetE1EEEvT1_
	.globl	_ZN7rocprim17ROCPRIM_400000_NS6detail17trampoline_kernelINS0_14default_configENS1_29reduce_by_key_config_selectorIffN6thrust23THRUST_200600_302600_NS4plusIfEEEEZZNS1_33reduce_by_key_impl_wrapped_configILNS1_25lookback_scan_determinismE0ES3_S9_NS6_6detail15normal_iteratorINS6_10device_ptrIfEEEESG_SG_SG_PmS8_NS6_8equal_toIfEEEE10hipError_tPvRmT2_T3_mT4_T5_T6_T7_T8_P12ihipStream_tbENKUlT_T0_E_clISt17integral_constantIbLb0EES11_EEDaSW_SX_EUlSW_E_NS1_11comp_targetILNS1_3genE9ELNS1_11target_archE1100ELNS1_3gpuE3ELNS1_3repE0EEENS1_30default_config_static_selectorELNS0_4arch9wavefront6targetE1EEEvT1_
	.p2align	8
	.type	_ZN7rocprim17ROCPRIM_400000_NS6detail17trampoline_kernelINS0_14default_configENS1_29reduce_by_key_config_selectorIffN6thrust23THRUST_200600_302600_NS4plusIfEEEEZZNS1_33reduce_by_key_impl_wrapped_configILNS1_25lookback_scan_determinismE0ES3_S9_NS6_6detail15normal_iteratorINS6_10device_ptrIfEEEESG_SG_SG_PmS8_NS6_8equal_toIfEEEE10hipError_tPvRmT2_T3_mT4_T5_T6_T7_T8_P12ihipStream_tbENKUlT_T0_E_clISt17integral_constantIbLb0EES11_EEDaSW_SX_EUlSW_E_NS1_11comp_targetILNS1_3genE9ELNS1_11target_archE1100ELNS1_3gpuE3ELNS1_3repE0EEENS1_30default_config_static_selectorELNS0_4arch9wavefront6targetE1EEEvT1_,@function
_ZN7rocprim17ROCPRIM_400000_NS6detail17trampoline_kernelINS0_14default_configENS1_29reduce_by_key_config_selectorIffN6thrust23THRUST_200600_302600_NS4plusIfEEEEZZNS1_33reduce_by_key_impl_wrapped_configILNS1_25lookback_scan_determinismE0ES3_S9_NS6_6detail15normal_iteratorINS6_10device_ptrIfEEEESG_SG_SG_PmS8_NS6_8equal_toIfEEEE10hipError_tPvRmT2_T3_mT4_T5_T6_T7_T8_P12ihipStream_tbENKUlT_T0_E_clISt17integral_constantIbLb0EES11_EEDaSW_SX_EUlSW_E_NS1_11comp_targetILNS1_3genE9ELNS1_11target_archE1100ELNS1_3gpuE3ELNS1_3repE0EEENS1_30default_config_static_selectorELNS0_4arch9wavefront6targetE1EEEvT1_: ; @_ZN7rocprim17ROCPRIM_400000_NS6detail17trampoline_kernelINS0_14default_configENS1_29reduce_by_key_config_selectorIffN6thrust23THRUST_200600_302600_NS4plusIfEEEEZZNS1_33reduce_by_key_impl_wrapped_configILNS1_25lookback_scan_determinismE0ES3_S9_NS6_6detail15normal_iteratorINS6_10device_ptrIfEEEESG_SG_SG_PmS8_NS6_8equal_toIfEEEE10hipError_tPvRmT2_T3_mT4_T5_T6_T7_T8_P12ihipStream_tbENKUlT_T0_E_clISt17integral_constantIbLb0EES11_EEDaSW_SX_EUlSW_E_NS1_11comp_targetILNS1_3genE9ELNS1_11target_archE1100ELNS1_3gpuE3ELNS1_3repE0EEENS1_30default_config_static_selectorELNS0_4arch9wavefront6targetE1EEEvT1_
; %bb.0:
	.section	.rodata,"a",@progbits
	.p2align	6, 0x0
	.amdhsa_kernel _ZN7rocprim17ROCPRIM_400000_NS6detail17trampoline_kernelINS0_14default_configENS1_29reduce_by_key_config_selectorIffN6thrust23THRUST_200600_302600_NS4plusIfEEEEZZNS1_33reduce_by_key_impl_wrapped_configILNS1_25lookback_scan_determinismE0ES3_S9_NS6_6detail15normal_iteratorINS6_10device_ptrIfEEEESG_SG_SG_PmS8_NS6_8equal_toIfEEEE10hipError_tPvRmT2_T3_mT4_T5_T6_T7_T8_P12ihipStream_tbENKUlT_T0_E_clISt17integral_constantIbLb0EES11_EEDaSW_SX_EUlSW_E_NS1_11comp_targetILNS1_3genE9ELNS1_11target_archE1100ELNS1_3gpuE3ELNS1_3repE0EEENS1_30default_config_static_selectorELNS0_4arch9wavefront6targetE1EEEvT1_
		.amdhsa_group_segment_fixed_size 0
		.amdhsa_private_segment_fixed_size 0
		.amdhsa_kernarg_size 120
		.amdhsa_user_sgpr_count 6
		.amdhsa_user_sgpr_private_segment_buffer 1
		.amdhsa_user_sgpr_dispatch_ptr 0
		.amdhsa_user_sgpr_queue_ptr 0
		.amdhsa_user_sgpr_kernarg_segment_ptr 1
		.amdhsa_user_sgpr_dispatch_id 0
		.amdhsa_user_sgpr_flat_scratch_init 0
		.amdhsa_user_sgpr_kernarg_preload_length 0
		.amdhsa_user_sgpr_kernarg_preload_offset 0
		.amdhsa_user_sgpr_private_segment_size 0
		.amdhsa_uses_dynamic_stack 0
		.amdhsa_system_sgpr_private_segment_wavefront_offset 0
		.amdhsa_system_sgpr_workgroup_id_x 1
		.amdhsa_system_sgpr_workgroup_id_y 0
		.amdhsa_system_sgpr_workgroup_id_z 0
		.amdhsa_system_sgpr_workgroup_info 0
		.amdhsa_system_vgpr_workitem_id 0
		.amdhsa_next_free_vgpr 1
		.amdhsa_next_free_sgpr 0
		.amdhsa_accum_offset 4
		.amdhsa_reserve_vcc 0
		.amdhsa_reserve_flat_scratch 0
		.amdhsa_float_round_mode_32 0
		.amdhsa_float_round_mode_16_64 0
		.amdhsa_float_denorm_mode_32 3
		.amdhsa_float_denorm_mode_16_64 3
		.amdhsa_dx10_clamp 1
		.amdhsa_ieee_mode 1
		.amdhsa_fp16_overflow 0
		.amdhsa_tg_split 0
		.amdhsa_exception_fp_ieee_invalid_op 0
		.amdhsa_exception_fp_denorm_src 0
		.amdhsa_exception_fp_ieee_div_zero 0
		.amdhsa_exception_fp_ieee_overflow 0
		.amdhsa_exception_fp_ieee_underflow 0
		.amdhsa_exception_fp_ieee_inexact 0
		.amdhsa_exception_int_div_zero 0
	.end_amdhsa_kernel
	.section	.text._ZN7rocprim17ROCPRIM_400000_NS6detail17trampoline_kernelINS0_14default_configENS1_29reduce_by_key_config_selectorIffN6thrust23THRUST_200600_302600_NS4plusIfEEEEZZNS1_33reduce_by_key_impl_wrapped_configILNS1_25lookback_scan_determinismE0ES3_S9_NS6_6detail15normal_iteratorINS6_10device_ptrIfEEEESG_SG_SG_PmS8_NS6_8equal_toIfEEEE10hipError_tPvRmT2_T3_mT4_T5_T6_T7_T8_P12ihipStream_tbENKUlT_T0_E_clISt17integral_constantIbLb0EES11_EEDaSW_SX_EUlSW_E_NS1_11comp_targetILNS1_3genE9ELNS1_11target_archE1100ELNS1_3gpuE3ELNS1_3repE0EEENS1_30default_config_static_selectorELNS0_4arch9wavefront6targetE1EEEvT1_,"axG",@progbits,_ZN7rocprim17ROCPRIM_400000_NS6detail17trampoline_kernelINS0_14default_configENS1_29reduce_by_key_config_selectorIffN6thrust23THRUST_200600_302600_NS4plusIfEEEEZZNS1_33reduce_by_key_impl_wrapped_configILNS1_25lookback_scan_determinismE0ES3_S9_NS6_6detail15normal_iteratorINS6_10device_ptrIfEEEESG_SG_SG_PmS8_NS6_8equal_toIfEEEE10hipError_tPvRmT2_T3_mT4_T5_T6_T7_T8_P12ihipStream_tbENKUlT_T0_E_clISt17integral_constantIbLb0EES11_EEDaSW_SX_EUlSW_E_NS1_11comp_targetILNS1_3genE9ELNS1_11target_archE1100ELNS1_3gpuE3ELNS1_3repE0EEENS1_30default_config_static_selectorELNS0_4arch9wavefront6targetE1EEEvT1_,comdat
.Lfunc_end171:
	.size	_ZN7rocprim17ROCPRIM_400000_NS6detail17trampoline_kernelINS0_14default_configENS1_29reduce_by_key_config_selectorIffN6thrust23THRUST_200600_302600_NS4plusIfEEEEZZNS1_33reduce_by_key_impl_wrapped_configILNS1_25lookback_scan_determinismE0ES3_S9_NS6_6detail15normal_iteratorINS6_10device_ptrIfEEEESG_SG_SG_PmS8_NS6_8equal_toIfEEEE10hipError_tPvRmT2_T3_mT4_T5_T6_T7_T8_P12ihipStream_tbENKUlT_T0_E_clISt17integral_constantIbLb0EES11_EEDaSW_SX_EUlSW_E_NS1_11comp_targetILNS1_3genE9ELNS1_11target_archE1100ELNS1_3gpuE3ELNS1_3repE0EEENS1_30default_config_static_selectorELNS0_4arch9wavefront6targetE1EEEvT1_, .Lfunc_end171-_ZN7rocprim17ROCPRIM_400000_NS6detail17trampoline_kernelINS0_14default_configENS1_29reduce_by_key_config_selectorIffN6thrust23THRUST_200600_302600_NS4plusIfEEEEZZNS1_33reduce_by_key_impl_wrapped_configILNS1_25lookback_scan_determinismE0ES3_S9_NS6_6detail15normal_iteratorINS6_10device_ptrIfEEEESG_SG_SG_PmS8_NS6_8equal_toIfEEEE10hipError_tPvRmT2_T3_mT4_T5_T6_T7_T8_P12ihipStream_tbENKUlT_T0_E_clISt17integral_constantIbLb0EES11_EEDaSW_SX_EUlSW_E_NS1_11comp_targetILNS1_3genE9ELNS1_11target_archE1100ELNS1_3gpuE3ELNS1_3repE0EEENS1_30default_config_static_selectorELNS0_4arch9wavefront6targetE1EEEvT1_
                                        ; -- End function
	.section	.AMDGPU.csdata,"",@progbits
; Kernel info:
; codeLenInByte = 0
; NumSgprs: 4
; NumVgprs: 0
; NumAgprs: 0
; TotalNumVgprs: 0
; ScratchSize: 0
; MemoryBound: 0
; FloatMode: 240
; IeeeMode: 1
; LDSByteSize: 0 bytes/workgroup (compile time only)
; SGPRBlocks: 0
; VGPRBlocks: 0
; NumSGPRsForWavesPerEU: 4
; NumVGPRsForWavesPerEU: 1
; AccumOffset: 4
; Occupancy: 8
; WaveLimiterHint : 0
; COMPUTE_PGM_RSRC2:SCRATCH_EN: 0
; COMPUTE_PGM_RSRC2:USER_SGPR: 6
; COMPUTE_PGM_RSRC2:TRAP_HANDLER: 0
; COMPUTE_PGM_RSRC2:TGID_X_EN: 1
; COMPUTE_PGM_RSRC2:TGID_Y_EN: 0
; COMPUTE_PGM_RSRC2:TGID_Z_EN: 0
; COMPUTE_PGM_RSRC2:TIDIG_COMP_CNT: 0
; COMPUTE_PGM_RSRC3_GFX90A:ACCUM_OFFSET: 0
; COMPUTE_PGM_RSRC3_GFX90A:TG_SPLIT: 0
	.section	.text._ZN7rocprim17ROCPRIM_400000_NS6detail17trampoline_kernelINS0_14default_configENS1_29reduce_by_key_config_selectorIffN6thrust23THRUST_200600_302600_NS4plusIfEEEEZZNS1_33reduce_by_key_impl_wrapped_configILNS1_25lookback_scan_determinismE0ES3_S9_NS6_6detail15normal_iteratorINS6_10device_ptrIfEEEESG_SG_SG_PmS8_NS6_8equal_toIfEEEE10hipError_tPvRmT2_T3_mT4_T5_T6_T7_T8_P12ihipStream_tbENKUlT_T0_E_clISt17integral_constantIbLb0EES11_EEDaSW_SX_EUlSW_E_NS1_11comp_targetILNS1_3genE8ELNS1_11target_archE1030ELNS1_3gpuE2ELNS1_3repE0EEENS1_30default_config_static_selectorELNS0_4arch9wavefront6targetE1EEEvT1_,"axG",@progbits,_ZN7rocprim17ROCPRIM_400000_NS6detail17trampoline_kernelINS0_14default_configENS1_29reduce_by_key_config_selectorIffN6thrust23THRUST_200600_302600_NS4plusIfEEEEZZNS1_33reduce_by_key_impl_wrapped_configILNS1_25lookback_scan_determinismE0ES3_S9_NS6_6detail15normal_iteratorINS6_10device_ptrIfEEEESG_SG_SG_PmS8_NS6_8equal_toIfEEEE10hipError_tPvRmT2_T3_mT4_T5_T6_T7_T8_P12ihipStream_tbENKUlT_T0_E_clISt17integral_constantIbLb0EES11_EEDaSW_SX_EUlSW_E_NS1_11comp_targetILNS1_3genE8ELNS1_11target_archE1030ELNS1_3gpuE2ELNS1_3repE0EEENS1_30default_config_static_selectorELNS0_4arch9wavefront6targetE1EEEvT1_,comdat
	.protected	_ZN7rocprim17ROCPRIM_400000_NS6detail17trampoline_kernelINS0_14default_configENS1_29reduce_by_key_config_selectorIffN6thrust23THRUST_200600_302600_NS4plusIfEEEEZZNS1_33reduce_by_key_impl_wrapped_configILNS1_25lookback_scan_determinismE0ES3_S9_NS6_6detail15normal_iteratorINS6_10device_ptrIfEEEESG_SG_SG_PmS8_NS6_8equal_toIfEEEE10hipError_tPvRmT2_T3_mT4_T5_T6_T7_T8_P12ihipStream_tbENKUlT_T0_E_clISt17integral_constantIbLb0EES11_EEDaSW_SX_EUlSW_E_NS1_11comp_targetILNS1_3genE8ELNS1_11target_archE1030ELNS1_3gpuE2ELNS1_3repE0EEENS1_30default_config_static_selectorELNS0_4arch9wavefront6targetE1EEEvT1_ ; -- Begin function _ZN7rocprim17ROCPRIM_400000_NS6detail17trampoline_kernelINS0_14default_configENS1_29reduce_by_key_config_selectorIffN6thrust23THRUST_200600_302600_NS4plusIfEEEEZZNS1_33reduce_by_key_impl_wrapped_configILNS1_25lookback_scan_determinismE0ES3_S9_NS6_6detail15normal_iteratorINS6_10device_ptrIfEEEESG_SG_SG_PmS8_NS6_8equal_toIfEEEE10hipError_tPvRmT2_T3_mT4_T5_T6_T7_T8_P12ihipStream_tbENKUlT_T0_E_clISt17integral_constantIbLb0EES11_EEDaSW_SX_EUlSW_E_NS1_11comp_targetILNS1_3genE8ELNS1_11target_archE1030ELNS1_3gpuE2ELNS1_3repE0EEENS1_30default_config_static_selectorELNS0_4arch9wavefront6targetE1EEEvT1_
	.globl	_ZN7rocprim17ROCPRIM_400000_NS6detail17trampoline_kernelINS0_14default_configENS1_29reduce_by_key_config_selectorIffN6thrust23THRUST_200600_302600_NS4plusIfEEEEZZNS1_33reduce_by_key_impl_wrapped_configILNS1_25lookback_scan_determinismE0ES3_S9_NS6_6detail15normal_iteratorINS6_10device_ptrIfEEEESG_SG_SG_PmS8_NS6_8equal_toIfEEEE10hipError_tPvRmT2_T3_mT4_T5_T6_T7_T8_P12ihipStream_tbENKUlT_T0_E_clISt17integral_constantIbLb0EES11_EEDaSW_SX_EUlSW_E_NS1_11comp_targetILNS1_3genE8ELNS1_11target_archE1030ELNS1_3gpuE2ELNS1_3repE0EEENS1_30default_config_static_selectorELNS0_4arch9wavefront6targetE1EEEvT1_
	.p2align	8
	.type	_ZN7rocprim17ROCPRIM_400000_NS6detail17trampoline_kernelINS0_14default_configENS1_29reduce_by_key_config_selectorIffN6thrust23THRUST_200600_302600_NS4plusIfEEEEZZNS1_33reduce_by_key_impl_wrapped_configILNS1_25lookback_scan_determinismE0ES3_S9_NS6_6detail15normal_iteratorINS6_10device_ptrIfEEEESG_SG_SG_PmS8_NS6_8equal_toIfEEEE10hipError_tPvRmT2_T3_mT4_T5_T6_T7_T8_P12ihipStream_tbENKUlT_T0_E_clISt17integral_constantIbLb0EES11_EEDaSW_SX_EUlSW_E_NS1_11comp_targetILNS1_3genE8ELNS1_11target_archE1030ELNS1_3gpuE2ELNS1_3repE0EEENS1_30default_config_static_selectorELNS0_4arch9wavefront6targetE1EEEvT1_,@function
_ZN7rocprim17ROCPRIM_400000_NS6detail17trampoline_kernelINS0_14default_configENS1_29reduce_by_key_config_selectorIffN6thrust23THRUST_200600_302600_NS4plusIfEEEEZZNS1_33reduce_by_key_impl_wrapped_configILNS1_25lookback_scan_determinismE0ES3_S9_NS6_6detail15normal_iteratorINS6_10device_ptrIfEEEESG_SG_SG_PmS8_NS6_8equal_toIfEEEE10hipError_tPvRmT2_T3_mT4_T5_T6_T7_T8_P12ihipStream_tbENKUlT_T0_E_clISt17integral_constantIbLb0EES11_EEDaSW_SX_EUlSW_E_NS1_11comp_targetILNS1_3genE8ELNS1_11target_archE1030ELNS1_3gpuE2ELNS1_3repE0EEENS1_30default_config_static_selectorELNS0_4arch9wavefront6targetE1EEEvT1_: ; @_ZN7rocprim17ROCPRIM_400000_NS6detail17trampoline_kernelINS0_14default_configENS1_29reduce_by_key_config_selectorIffN6thrust23THRUST_200600_302600_NS4plusIfEEEEZZNS1_33reduce_by_key_impl_wrapped_configILNS1_25lookback_scan_determinismE0ES3_S9_NS6_6detail15normal_iteratorINS6_10device_ptrIfEEEESG_SG_SG_PmS8_NS6_8equal_toIfEEEE10hipError_tPvRmT2_T3_mT4_T5_T6_T7_T8_P12ihipStream_tbENKUlT_T0_E_clISt17integral_constantIbLb0EES11_EEDaSW_SX_EUlSW_E_NS1_11comp_targetILNS1_3genE8ELNS1_11target_archE1030ELNS1_3gpuE2ELNS1_3repE0EEENS1_30default_config_static_selectorELNS0_4arch9wavefront6targetE1EEEvT1_
; %bb.0:
	.section	.rodata,"a",@progbits
	.p2align	6, 0x0
	.amdhsa_kernel _ZN7rocprim17ROCPRIM_400000_NS6detail17trampoline_kernelINS0_14default_configENS1_29reduce_by_key_config_selectorIffN6thrust23THRUST_200600_302600_NS4plusIfEEEEZZNS1_33reduce_by_key_impl_wrapped_configILNS1_25lookback_scan_determinismE0ES3_S9_NS6_6detail15normal_iteratorINS6_10device_ptrIfEEEESG_SG_SG_PmS8_NS6_8equal_toIfEEEE10hipError_tPvRmT2_T3_mT4_T5_T6_T7_T8_P12ihipStream_tbENKUlT_T0_E_clISt17integral_constantIbLb0EES11_EEDaSW_SX_EUlSW_E_NS1_11comp_targetILNS1_3genE8ELNS1_11target_archE1030ELNS1_3gpuE2ELNS1_3repE0EEENS1_30default_config_static_selectorELNS0_4arch9wavefront6targetE1EEEvT1_
		.amdhsa_group_segment_fixed_size 0
		.amdhsa_private_segment_fixed_size 0
		.amdhsa_kernarg_size 120
		.amdhsa_user_sgpr_count 6
		.amdhsa_user_sgpr_private_segment_buffer 1
		.amdhsa_user_sgpr_dispatch_ptr 0
		.amdhsa_user_sgpr_queue_ptr 0
		.amdhsa_user_sgpr_kernarg_segment_ptr 1
		.amdhsa_user_sgpr_dispatch_id 0
		.amdhsa_user_sgpr_flat_scratch_init 0
		.amdhsa_user_sgpr_kernarg_preload_length 0
		.amdhsa_user_sgpr_kernarg_preload_offset 0
		.amdhsa_user_sgpr_private_segment_size 0
		.amdhsa_uses_dynamic_stack 0
		.amdhsa_system_sgpr_private_segment_wavefront_offset 0
		.amdhsa_system_sgpr_workgroup_id_x 1
		.amdhsa_system_sgpr_workgroup_id_y 0
		.amdhsa_system_sgpr_workgroup_id_z 0
		.amdhsa_system_sgpr_workgroup_info 0
		.amdhsa_system_vgpr_workitem_id 0
		.amdhsa_next_free_vgpr 1
		.amdhsa_next_free_sgpr 0
		.amdhsa_accum_offset 4
		.amdhsa_reserve_vcc 0
		.amdhsa_reserve_flat_scratch 0
		.amdhsa_float_round_mode_32 0
		.amdhsa_float_round_mode_16_64 0
		.amdhsa_float_denorm_mode_32 3
		.amdhsa_float_denorm_mode_16_64 3
		.amdhsa_dx10_clamp 1
		.amdhsa_ieee_mode 1
		.amdhsa_fp16_overflow 0
		.amdhsa_tg_split 0
		.amdhsa_exception_fp_ieee_invalid_op 0
		.amdhsa_exception_fp_denorm_src 0
		.amdhsa_exception_fp_ieee_div_zero 0
		.amdhsa_exception_fp_ieee_overflow 0
		.amdhsa_exception_fp_ieee_underflow 0
		.amdhsa_exception_fp_ieee_inexact 0
		.amdhsa_exception_int_div_zero 0
	.end_amdhsa_kernel
	.section	.text._ZN7rocprim17ROCPRIM_400000_NS6detail17trampoline_kernelINS0_14default_configENS1_29reduce_by_key_config_selectorIffN6thrust23THRUST_200600_302600_NS4plusIfEEEEZZNS1_33reduce_by_key_impl_wrapped_configILNS1_25lookback_scan_determinismE0ES3_S9_NS6_6detail15normal_iteratorINS6_10device_ptrIfEEEESG_SG_SG_PmS8_NS6_8equal_toIfEEEE10hipError_tPvRmT2_T3_mT4_T5_T6_T7_T8_P12ihipStream_tbENKUlT_T0_E_clISt17integral_constantIbLb0EES11_EEDaSW_SX_EUlSW_E_NS1_11comp_targetILNS1_3genE8ELNS1_11target_archE1030ELNS1_3gpuE2ELNS1_3repE0EEENS1_30default_config_static_selectorELNS0_4arch9wavefront6targetE1EEEvT1_,"axG",@progbits,_ZN7rocprim17ROCPRIM_400000_NS6detail17trampoline_kernelINS0_14default_configENS1_29reduce_by_key_config_selectorIffN6thrust23THRUST_200600_302600_NS4plusIfEEEEZZNS1_33reduce_by_key_impl_wrapped_configILNS1_25lookback_scan_determinismE0ES3_S9_NS6_6detail15normal_iteratorINS6_10device_ptrIfEEEESG_SG_SG_PmS8_NS6_8equal_toIfEEEE10hipError_tPvRmT2_T3_mT4_T5_T6_T7_T8_P12ihipStream_tbENKUlT_T0_E_clISt17integral_constantIbLb0EES11_EEDaSW_SX_EUlSW_E_NS1_11comp_targetILNS1_3genE8ELNS1_11target_archE1030ELNS1_3gpuE2ELNS1_3repE0EEENS1_30default_config_static_selectorELNS0_4arch9wavefront6targetE1EEEvT1_,comdat
.Lfunc_end172:
	.size	_ZN7rocprim17ROCPRIM_400000_NS6detail17trampoline_kernelINS0_14default_configENS1_29reduce_by_key_config_selectorIffN6thrust23THRUST_200600_302600_NS4plusIfEEEEZZNS1_33reduce_by_key_impl_wrapped_configILNS1_25lookback_scan_determinismE0ES3_S9_NS6_6detail15normal_iteratorINS6_10device_ptrIfEEEESG_SG_SG_PmS8_NS6_8equal_toIfEEEE10hipError_tPvRmT2_T3_mT4_T5_T6_T7_T8_P12ihipStream_tbENKUlT_T0_E_clISt17integral_constantIbLb0EES11_EEDaSW_SX_EUlSW_E_NS1_11comp_targetILNS1_3genE8ELNS1_11target_archE1030ELNS1_3gpuE2ELNS1_3repE0EEENS1_30default_config_static_selectorELNS0_4arch9wavefront6targetE1EEEvT1_, .Lfunc_end172-_ZN7rocprim17ROCPRIM_400000_NS6detail17trampoline_kernelINS0_14default_configENS1_29reduce_by_key_config_selectorIffN6thrust23THRUST_200600_302600_NS4plusIfEEEEZZNS1_33reduce_by_key_impl_wrapped_configILNS1_25lookback_scan_determinismE0ES3_S9_NS6_6detail15normal_iteratorINS6_10device_ptrIfEEEESG_SG_SG_PmS8_NS6_8equal_toIfEEEE10hipError_tPvRmT2_T3_mT4_T5_T6_T7_T8_P12ihipStream_tbENKUlT_T0_E_clISt17integral_constantIbLb0EES11_EEDaSW_SX_EUlSW_E_NS1_11comp_targetILNS1_3genE8ELNS1_11target_archE1030ELNS1_3gpuE2ELNS1_3repE0EEENS1_30default_config_static_selectorELNS0_4arch9wavefront6targetE1EEEvT1_
                                        ; -- End function
	.section	.AMDGPU.csdata,"",@progbits
; Kernel info:
; codeLenInByte = 0
; NumSgprs: 4
; NumVgprs: 0
; NumAgprs: 0
; TotalNumVgprs: 0
; ScratchSize: 0
; MemoryBound: 0
; FloatMode: 240
; IeeeMode: 1
; LDSByteSize: 0 bytes/workgroup (compile time only)
; SGPRBlocks: 0
; VGPRBlocks: 0
; NumSGPRsForWavesPerEU: 4
; NumVGPRsForWavesPerEU: 1
; AccumOffset: 4
; Occupancy: 8
; WaveLimiterHint : 0
; COMPUTE_PGM_RSRC2:SCRATCH_EN: 0
; COMPUTE_PGM_RSRC2:USER_SGPR: 6
; COMPUTE_PGM_RSRC2:TRAP_HANDLER: 0
; COMPUTE_PGM_RSRC2:TGID_X_EN: 1
; COMPUTE_PGM_RSRC2:TGID_Y_EN: 0
; COMPUTE_PGM_RSRC2:TGID_Z_EN: 0
; COMPUTE_PGM_RSRC2:TIDIG_COMP_CNT: 0
; COMPUTE_PGM_RSRC3_GFX90A:ACCUM_OFFSET: 0
; COMPUTE_PGM_RSRC3_GFX90A:TG_SPLIT: 0
	.section	.text._ZN7rocprim17ROCPRIM_400000_NS6detail17trampoline_kernelINS0_14default_configENS1_29reduce_by_key_config_selectorIffN6thrust23THRUST_200600_302600_NS4plusIfEEEEZZNS1_33reduce_by_key_impl_wrapped_configILNS1_25lookback_scan_determinismE0ES3_S9_NS6_6detail15normal_iteratorINS6_10device_ptrIfEEEESG_SG_SG_PmS8_NS6_8equal_toIfEEEE10hipError_tPvRmT2_T3_mT4_T5_T6_T7_T8_P12ihipStream_tbENKUlT_T0_E_clISt17integral_constantIbLb1EES11_EEDaSW_SX_EUlSW_E_NS1_11comp_targetILNS1_3genE0ELNS1_11target_archE4294967295ELNS1_3gpuE0ELNS1_3repE0EEENS1_30default_config_static_selectorELNS0_4arch9wavefront6targetE1EEEvT1_,"axG",@progbits,_ZN7rocprim17ROCPRIM_400000_NS6detail17trampoline_kernelINS0_14default_configENS1_29reduce_by_key_config_selectorIffN6thrust23THRUST_200600_302600_NS4plusIfEEEEZZNS1_33reduce_by_key_impl_wrapped_configILNS1_25lookback_scan_determinismE0ES3_S9_NS6_6detail15normal_iteratorINS6_10device_ptrIfEEEESG_SG_SG_PmS8_NS6_8equal_toIfEEEE10hipError_tPvRmT2_T3_mT4_T5_T6_T7_T8_P12ihipStream_tbENKUlT_T0_E_clISt17integral_constantIbLb1EES11_EEDaSW_SX_EUlSW_E_NS1_11comp_targetILNS1_3genE0ELNS1_11target_archE4294967295ELNS1_3gpuE0ELNS1_3repE0EEENS1_30default_config_static_selectorELNS0_4arch9wavefront6targetE1EEEvT1_,comdat
	.protected	_ZN7rocprim17ROCPRIM_400000_NS6detail17trampoline_kernelINS0_14default_configENS1_29reduce_by_key_config_selectorIffN6thrust23THRUST_200600_302600_NS4plusIfEEEEZZNS1_33reduce_by_key_impl_wrapped_configILNS1_25lookback_scan_determinismE0ES3_S9_NS6_6detail15normal_iteratorINS6_10device_ptrIfEEEESG_SG_SG_PmS8_NS6_8equal_toIfEEEE10hipError_tPvRmT2_T3_mT4_T5_T6_T7_T8_P12ihipStream_tbENKUlT_T0_E_clISt17integral_constantIbLb1EES11_EEDaSW_SX_EUlSW_E_NS1_11comp_targetILNS1_3genE0ELNS1_11target_archE4294967295ELNS1_3gpuE0ELNS1_3repE0EEENS1_30default_config_static_selectorELNS0_4arch9wavefront6targetE1EEEvT1_ ; -- Begin function _ZN7rocprim17ROCPRIM_400000_NS6detail17trampoline_kernelINS0_14default_configENS1_29reduce_by_key_config_selectorIffN6thrust23THRUST_200600_302600_NS4plusIfEEEEZZNS1_33reduce_by_key_impl_wrapped_configILNS1_25lookback_scan_determinismE0ES3_S9_NS6_6detail15normal_iteratorINS6_10device_ptrIfEEEESG_SG_SG_PmS8_NS6_8equal_toIfEEEE10hipError_tPvRmT2_T3_mT4_T5_T6_T7_T8_P12ihipStream_tbENKUlT_T0_E_clISt17integral_constantIbLb1EES11_EEDaSW_SX_EUlSW_E_NS1_11comp_targetILNS1_3genE0ELNS1_11target_archE4294967295ELNS1_3gpuE0ELNS1_3repE0EEENS1_30default_config_static_selectorELNS0_4arch9wavefront6targetE1EEEvT1_
	.globl	_ZN7rocprim17ROCPRIM_400000_NS6detail17trampoline_kernelINS0_14default_configENS1_29reduce_by_key_config_selectorIffN6thrust23THRUST_200600_302600_NS4plusIfEEEEZZNS1_33reduce_by_key_impl_wrapped_configILNS1_25lookback_scan_determinismE0ES3_S9_NS6_6detail15normal_iteratorINS6_10device_ptrIfEEEESG_SG_SG_PmS8_NS6_8equal_toIfEEEE10hipError_tPvRmT2_T3_mT4_T5_T6_T7_T8_P12ihipStream_tbENKUlT_T0_E_clISt17integral_constantIbLb1EES11_EEDaSW_SX_EUlSW_E_NS1_11comp_targetILNS1_3genE0ELNS1_11target_archE4294967295ELNS1_3gpuE0ELNS1_3repE0EEENS1_30default_config_static_selectorELNS0_4arch9wavefront6targetE1EEEvT1_
	.p2align	8
	.type	_ZN7rocprim17ROCPRIM_400000_NS6detail17trampoline_kernelINS0_14default_configENS1_29reduce_by_key_config_selectorIffN6thrust23THRUST_200600_302600_NS4plusIfEEEEZZNS1_33reduce_by_key_impl_wrapped_configILNS1_25lookback_scan_determinismE0ES3_S9_NS6_6detail15normal_iteratorINS6_10device_ptrIfEEEESG_SG_SG_PmS8_NS6_8equal_toIfEEEE10hipError_tPvRmT2_T3_mT4_T5_T6_T7_T8_P12ihipStream_tbENKUlT_T0_E_clISt17integral_constantIbLb1EES11_EEDaSW_SX_EUlSW_E_NS1_11comp_targetILNS1_3genE0ELNS1_11target_archE4294967295ELNS1_3gpuE0ELNS1_3repE0EEENS1_30default_config_static_selectorELNS0_4arch9wavefront6targetE1EEEvT1_,@function
_ZN7rocprim17ROCPRIM_400000_NS6detail17trampoline_kernelINS0_14default_configENS1_29reduce_by_key_config_selectorIffN6thrust23THRUST_200600_302600_NS4plusIfEEEEZZNS1_33reduce_by_key_impl_wrapped_configILNS1_25lookback_scan_determinismE0ES3_S9_NS6_6detail15normal_iteratorINS6_10device_ptrIfEEEESG_SG_SG_PmS8_NS6_8equal_toIfEEEE10hipError_tPvRmT2_T3_mT4_T5_T6_T7_T8_P12ihipStream_tbENKUlT_T0_E_clISt17integral_constantIbLb1EES11_EEDaSW_SX_EUlSW_E_NS1_11comp_targetILNS1_3genE0ELNS1_11target_archE4294967295ELNS1_3gpuE0ELNS1_3repE0EEENS1_30default_config_static_selectorELNS0_4arch9wavefront6targetE1EEEvT1_: ; @_ZN7rocprim17ROCPRIM_400000_NS6detail17trampoline_kernelINS0_14default_configENS1_29reduce_by_key_config_selectorIffN6thrust23THRUST_200600_302600_NS4plusIfEEEEZZNS1_33reduce_by_key_impl_wrapped_configILNS1_25lookback_scan_determinismE0ES3_S9_NS6_6detail15normal_iteratorINS6_10device_ptrIfEEEESG_SG_SG_PmS8_NS6_8equal_toIfEEEE10hipError_tPvRmT2_T3_mT4_T5_T6_T7_T8_P12ihipStream_tbENKUlT_T0_E_clISt17integral_constantIbLb1EES11_EEDaSW_SX_EUlSW_E_NS1_11comp_targetILNS1_3genE0ELNS1_11target_archE4294967295ELNS1_3gpuE0ELNS1_3repE0EEENS1_30default_config_static_selectorELNS0_4arch9wavefront6targetE1EEEvT1_
; %bb.0:
	.section	.rodata,"a",@progbits
	.p2align	6, 0x0
	.amdhsa_kernel _ZN7rocprim17ROCPRIM_400000_NS6detail17trampoline_kernelINS0_14default_configENS1_29reduce_by_key_config_selectorIffN6thrust23THRUST_200600_302600_NS4plusIfEEEEZZNS1_33reduce_by_key_impl_wrapped_configILNS1_25lookback_scan_determinismE0ES3_S9_NS6_6detail15normal_iteratorINS6_10device_ptrIfEEEESG_SG_SG_PmS8_NS6_8equal_toIfEEEE10hipError_tPvRmT2_T3_mT4_T5_T6_T7_T8_P12ihipStream_tbENKUlT_T0_E_clISt17integral_constantIbLb1EES11_EEDaSW_SX_EUlSW_E_NS1_11comp_targetILNS1_3genE0ELNS1_11target_archE4294967295ELNS1_3gpuE0ELNS1_3repE0EEENS1_30default_config_static_selectorELNS0_4arch9wavefront6targetE1EEEvT1_
		.amdhsa_group_segment_fixed_size 0
		.amdhsa_private_segment_fixed_size 0
		.amdhsa_kernarg_size 120
		.amdhsa_user_sgpr_count 6
		.amdhsa_user_sgpr_private_segment_buffer 1
		.amdhsa_user_sgpr_dispatch_ptr 0
		.amdhsa_user_sgpr_queue_ptr 0
		.amdhsa_user_sgpr_kernarg_segment_ptr 1
		.amdhsa_user_sgpr_dispatch_id 0
		.amdhsa_user_sgpr_flat_scratch_init 0
		.amdhsa_user_sgpr_kernarg_preload_length 0
		.amdhsa_user_sgpr_kernarg_preload_offset 0
		.amdhsa_user_sgpr_private_segment_size 0
		.amdhsa_uses_dynamic_stack 0
		.amdhsa_system_sgpr_private_segment_wavefront_offset 0
		.amdhsa_system_sgpr_workgroup_id_x 1
		.amdhsa_system_sgpr_workgroup_id_y 0
		.amdhsa_system_sgpr_workgroup_id_z 0
		.amdhsa_system_sgpr_workgroup_info 0
		.amdhsa_system_vgpr_workitem_id 0
		.amdhsa_next_free_vgpr 1
		.amdhsa_next_free_sgpr 0
		.amdhsa_accum_offset 4
		.amdhsa_reserve_vcc 0
		.amdhsa_reserve_flat_scratch 0
		.amdhsa_float_round_mode_32 0
		.amdhsa_float_round_mode_16_64 0
		.amdhsa_float_denorm_mode_32 3
		.amdhsa_float_denorm_mode_16_64 3
		.amdhsa_dx10_clamp 1
		.amdhsa_ieee_mode 1
		.amdhsa_fp16_overflow 0
		.amdhsa_tg_split 0
		.amdhsa_exception_fp_ieee_invalid_op 0
		.amdhsa_exception_fp_denorm_src 0
		.amdhsa_exception_fp_ieee_div_zero 0
		.amdhsa_exception_fp_ieee_overflow 0
		.amdhsa_exception_fp_ieee_underflow 0
		.amdhsa_exception_fp_ieee_inexact 0
		.amdhsa_exception_int_div_zero 0
	.end_amdhsa_kernel
	.section	.text._ZN7rocprim17ROCPRIM_400000_NS6detail17trampoline_kernelINS0_14default_configENS1_29reduce_by_key_config_selectorIffN6thrust23THRUST_200600_302600_NS4plusIfEEEEZZNS1_33reduce_by_key_impl_wrapped_configILNS1_25lookback_scan_determinismE0ES3_S9_NS6_6detail15normal_iteratorINS6_10device_ptrIfEEEESG_SG_SG_PmS8_NS6_8equal_toIfEEEE10hipError_tPvRmT2_T3_mT4_T5_T6_T7_T8_P12ihipStream_tbENKUlT_T0_E_clISt17integral_constantIbLb1EES11_EEDaSW_SX_EUlSW_E_NS1_11comp_targetILNS1_3genE0ELNS1_11target_archE4294967295ELNS1_3gpuE0ELNS1_3repE0EEENS1_30default_config_static_selectorELNS0_4arch9wavefront6targetE1EEEvT1_,"axG",@progbits,_ZN7rocprim17ROCPRIM_400000_NS6detail17trampoline_kernelINS0_14default_configENS1_29reduce_by_key_config_selectorIffN6thrust23THRUST_200600_302600_NS4plusIfEEEEZZNS1_33reduce_by_key_impl_wrapped_configILNS1_25lookback_scan_determinismE0ES3_S9_NS6_6detail15normal_iteratorINS6_10device_ptrIfEEEESG_SG_SG_PmS8_NS6_8equal_toIfEEEE10hipError_tPvRmT2_T3_mT4_T5_T6_T7_T8_P12ihipStream_tbENKUlT_T0_E_clISt17integral_constantIbLb1EES11_EEDaSW_SX_EUlSW_E_NS1_11comp_targetILNS1_3genE0ELNS1_11target_archE4294967295ELNS1_3gpuE0ELNS1_3repE0EEENS1_30default_config_static_selectorELNS0_4arch9wavefront6targetE1EEEvT1_,comdat
.Lfunc_end173:
	.size	_ZN7rocprim17ROCPRIM_400000_NS6detail17trampoline_kernelINS0_14default_configENS1_29reduce_by_key_config_selectorIffN6thrust23THRUST_200600_302600_NS4plusIfEEEEZZNS1_33reduce_by_key_impl_wrapped_configILNS1_25lookback_scan_determinismE0ES3_S9_NS6_6detail15normal_iteratorINS6_10device_ptrIfEEEESG_SG_SG_PmS8_NS6_8equal_toIfEEEE10hipError_tPvRmT2_T3_mT4_T5_T6_T7_T8_P12ihipStream_tbENKUlT_T0_E_clISt17integral_constantIbLb1EES11_EEDaSW_SX_EUlSW_E_NS1_11comp_targetILNS1_3genE0ELNS1_11target_archE4294967295ELNS1_3gpuE0ELNS1_3repE0EEENS1_30default_config_static_selectorELNS0_4arch9wavefront6targetE1EEEvT1_, .Lfunc_end173-_ZN7rocprim17ROCPRIM_400000_NS6detail17trampoline_kernelINS0_14default_configENS1_29reduce_by_key_config_selectorIffN6thrust23THRUST_200600_302600_NS4plusIfEEEEZZNS1_33reduce_by_key_impl_wrapped_configILNS1_25lookback_scan_determinismE0ES3_S9_NS6_6detail15normal_iteratorINS6_10device_ptrIfEEEESG_SG_SG_PmS8_NS6_8equal_toIfEEEE10hipError_tPvRmT2_T3_mT4_T5_T6_T7_T8_P12ihipStream_tbENKUlT_T0_E_clISt17integral_constantIbLb1EES11_EEDaSW_SX_EUlSW_E_NS1_11comp_targetILNS1_3genE0ELNS1_11target_archE4294967295ELNS1_3gpuE0ELNS1_3repE0EEENS1_30default_config_static_selectorELNS0_4arch9wavefront6targetE1EEEvT1_
                                        ; -- End function
	.section	.AMDGPU.csdata,"",@progbits
; Kernel info:
; codeLenInByte = 0
; NumSgprs: 4
; NumVgprs: 0
; NumAgprs: 0
; TotalNumVgprs: 0
; ScratchSize: 0
; MemoryBound: 0
; FloatMode: 240
; IeeeMode: 1
; LDSByteSize: 0 bytes/workgroup (compile time only)
; SGPRBlocks: 0
; VGPRBlocks: 0
; NumSGPRsForWavesPerEU: 4
; NumVGPRsForWavesPerEU: 1
; AccumOffset: 4
; Occupancy: 8
; WaveLimiterHint : 0
; COMPUTE_PGM_RSRC2:SCRATCH_EN: 0
; COMPUTE_PGM_RSRC2:USER_SGPR: 6
; COMPUTE_PGM_RSRC2:TRAP_HANDLER: 0
; COMPUTE_PGM_RSRC2:TGID_X_EN: 1
; COMPUTE_PGM_RSRC2:TGID_Y_EN: 0
; COMPUTE_PGM_RSRC2:TGID_Z_EN: 0
; COMPUTE_PGM_RSRC2:TIDIG_COMP_CNT: 0
; COMPUTE_PGM_RSRC3_GFX90A:ACCUM_OFFSET: 0
; COMPUTE_PGM_RSRC3_GFX90A:TG_SPLIT: 0
	.section	.text._ZN7rocprim17ROCPRIM_400000_NS6detail17trampoline_kernelINS0_14default_configENS1_29reduce_by_key_config_selectorIffN6thrust23THRUST_200600_302600_NS4plusIfEEEEZZNS1_33reduce_by_key_impl_wrapped_configILNS1_25lookback_scan_determinismE0ES3_S9_NS6_6detail15normal_iteratorINS6_10device_ptrIfEEEESG_SG_SG_PmS8_NS6_8equal_toIfEEEE10hipError_tPvRmT2_T3_mT4_T5_T6_T7_T8_P12ihipStream_tbENKUlT_T0_E_clISt17integral_constantIbLb1EES11_EEDaSW_SX_EUlSW_E_NS1_11comp_targetILNS1_3genE5ELNS1_11target_archE942ELNS1_3gpuE9ELNS1_3repE0EEENS1_30default_config_static_selectorELNS0_4arch9wavefront6targetE1EEEvT1_,"axG",@progbits,_ZN7rocprim17ROCPRIM_400000_NS6detail17trampoline_kernelINS0_14default_configENS1_29reduce_by_key_config_selectorIffN6thrust23THRUST_200600_302600_NS4plusIfEEEEZZNS1_33reduce_by_key_impl_wrapped_configILNS1_25lookback_scan_determinismE0ES3_S9_NS6_6detail15normal_iteratorINS6_10device_ptrIfEEEESG_SG_SG_PmS8_NS6_8equal_toIfEEEE10hipError_tPvRmT2_T3_mT4_T5_T6_T7_T8_P12ihipStream_tbENKUlT_T0_E_clISt17integral_constantIbLb1EES11_EEDaSW_SX_EUlSW_E_NS1_11comp_targetILNS1_3genE5ELNS1_11target_archE942ELNS1_3gpuE9ELNS1_3repE0EEENS1_30default_config_static_selectorELNS0_4arch9wavefront6targetE1EEEvT1_,comdat
	.protected	_ZN7rocprim17ROCPRIM_400000_NS6detail17trampoline_kernelINS0_14default_configENS1_29reduce_by_key_config_selectorIffN6thrust23THRUST_200600_302600_NS4plusIfEEEEZZNS1_33reduce_by_key_impl_wrapped_configILNS1_25lookback_scan_determinismE0ES3_S9_NS6_6detail15normal_iteratorINS6_10device_ptrIfEEEESG_SG_SG_PmS8_NS6_8equal_toIfEEEE10hipError_tPvRmT2_T3_mT4_T5_T6_T7_T8_P12ihipStream_tbENKUlT_T0_E_clISt17integral_constantIbLb1EES11_EEDaSW_SX_EUlSW_E_NS1_11comp_targetILNS1_3genE5ELNS1_11target_archE942ELNS1_3gpuE9ELNS1_3repE0EEENS1_30default_config_static_selectorELNS0_4arch9wavefront6targetE1EEEvT1_ ; -- Begin function _ZN7rocprim17ROCPRIM_400000_NS6detail17trampoline_kernelINS0_14default_configENS1_29reduce_by_key_config_selectorIffN6thrust23THRUST_200600_302600_NS4plusIfEEEEZZNS1_33reduce_by_key_impl_wrapped_configILNS1_25lookback_scan_determinismE0ES3_S9_NS6_6detail15normal_iteratorINS6_10device_ptrIfEEEESG_SG_SG_PmS8_NS6_8equal_toIfEEEE10hipError_tPvRmT2_T3_mT4_T5_T6_T7_T8_P12ihipStream_tbENKUlT_T0_E_clISt17integral_constantIbLb1EES11_EEDaSW_SX_EUlSW_E_NS1_11comp_targetILNS1_3genE5ELNS1_11target_archE942ELNS1_3gpuE9ELNS1_3repE0EEENS1_30default_config_static_selectorELNS0_4arch9wavefront6targetE1EEEvT1_
	.globl	_ZN7rocprim17ROCPRIM_400000_NS6detail17trampoline_kernelINS0_14default_configENS1_29reduce_by_key_config_selectorIffN6thrust23THRUST_200600_302600_NS4plusIfEEEEZZNS1_33reduce_by_key_impl_wrapped_configILNS1_25lookback_scan_determinismE0ES3_S9_NS6_6detail15normal_iteratorINS6_10device_ptrIfEEEESG_SG_SG_PmS8_NS6_8equal_toIfEEEE10hipError_tPvRmT2_T3_mT4_T5_T6_T7_T8_P12ihipStream_tbENKUlT_T0_E_clISt17integral_constantIbLb1EES11_EEDaSW_SX_EUlSW_E_NS1_11comp_targetILNS1_3genE5ELNS1_11target_archE942ELNS1_3gpuE9ELNS1_3repE0EEENS1_30default_config_static_selectorELNS0_4arch9wavefront6targetE1EEEvT1_
	.p2align	8
	.type	_ZN7rocprim17ROCPRIM_400000_NS6detail17trampoline_kernelINS0_14default_configENS1_29reduce_by_key_config_selectorIffN6thrust23THRUST_200600_302600_NS4plusIfEEEEZZNS1_33reduce_by_key_impl_wrapped_configILNS1_25lookback_scan_determinismE0ES3_S9_NS6_6detail15normal_iteratorINS6_10device_ptrIfEEEESG_SG_SG_PmS8_NS6_8equal_toIfEEEE10hipError_tPvRmT2_T3_mT4_T5_T6_T7_T8_P12ihipStream_tbENKUlT_T0_E_clISt17integral_constantIbLb1EES11_EEDaSW_SX_EUlSW_E_NS1_11comp_targetILNS1_3genE5ELNS1_11target_archE942ELNS1_3gpuE9ELNS1_3repE0EEENS1_30default_config_static_selectorELNS0_4arch9wavefront6targetE1EEEvT1_,@function
_ZN7rocprim17ROCPRIM_400000_NS6detail17trampoline_kernelINS0_14default_configENS1_29reduce_by_key_config_selectorIffN6thrust23THRUST_200600_302600_NS4plusIfEEEEZZNS1_33reduce_by_key_impl_wrapped_configILNS1_25lookback_scan_determinismE0ES3_S9_NS6_6detail15normal_iteratorINS6_10device_ptrIfEEEESG_SG_SG_PmS8_NS6_8equal_toIfEEEE10hipError_tPvRmT2_T3_mT4_T5_T6_T7_T8_P12ihipStream_tbENKUlT_T0_E_clISt17integral_constantIbLb1EES11_EEDaSW_SX_EUlSW_E_NS1_11comp_targetILNS1_3genE5ELNS1_11target_archE942ELNS1_3gpuE9ELNS1_3repE0EEENS1_30default_config_static_selectorELNS0_4arch9wavefront6targetE1EEEvT1_: ; @_ZN7rocprim17ROCPRIM_400000_NS6detail17trampoline_kernelINS0_14default_configENS1_29reduce_by_key_config_selectorIffN6thrust23THRUST_200600_302600_NS4plusIfEEEEZZNS1_33reduce_by_key_impl_wrapped_configILNS1_25lookback_scan_determinismE0ES3_S9_NS6_6detail15normal_iteratorINS6_10device_ptrIfEEEESG_SG_SG_PmS8_NS6_8equal_toIfEEEE10hipError_tPvRmT2_T3_mT4_T5_T6_T7_T8_P12ihipStream_tbENKUlT_T0_E_clISt17integral_constantIbLb1EES11_EEDaSW_SX_EUlSW_E_NS1_11comp_targetILNS1_3genE5ELNS1_11target_archE942ELNS1_3gpuE9ELNS1_3repE0EEENS1_30default_config_static_selectorELNS0_4arch9wavefront6targetE1EEEvT1_
; %bb.0:
	.section	.rodata,"a",@progbits
	.p2align	6, 0x0
	.amdhsa_kernel _ZN7rocprim17ROCPRIM_400000_NS6detail17trampoline_kernelINS0_14default_configENS1_29reduce_by_key_config_selectorIffN6thrust23THRUST_200600_302600_NS4plusIfEEEEZZNS1_33reduce_by_key_impl_wrapped_configILNS1_25lookback_scan_determinismE0ES3_S9_NS6_6detail15normal_iteratorINS6_10device_ptrIfEEEESG_SG_SG_PmS8_NS6_8equal_toIfEEEE10hipError_tPvRmT2_T3_mT4_T5_T6_T7_T8_P12ihipStream_tbENKUlT_T0_E_clISt17integral_constantIbLb1EES11_EEDaSW_SX_EUlSW_E_NS1_11comp_targetILNS1_3genE5ELNS1_11target_archE942ELNS1_3gpuE9ELNS1_3repE0EEENS1_30default_config_static_selectorELNS0_4arch9wavefront6targetE1EEEvT1_
		.amdhsa_group_segment_fixed_size 0
		.amdhsa_private_segment_fixed_size 0
		.amdhsa_kernarg_size 120
		.amdhsa_user_sgpr_count 6
		.amdhsa_user_sgpr_private_segment_buffer 1
		.amdhsa_user_sgpr_dispatch_ptr 0
		.amdhsa_user_sgpr_queue_ptr 0
		.amdhsa_user_sgpr_kernarg_segment_ptr 1
		.amdhsa_user_sgpr_dispatch_id 0
		.amdhsa_user_sgpr_flat_scratch_init 0
		.amdhsa_user_sgpr_kernarg_preload_length 0
		.amdhsa_user_sgpr_kernarg_preload_offset 0
		.amdhsa_user_sgpr_private_segment_size 0
		.amdhsa_uses_dynamic_stack 0
		.amdhsa_system_sgpr_private_segment_wavefront_offset 0
		.amdhsa_system_sgpr_workgroup_id_x 1
		.amdhsa_system_sgpr_workgroup_id_y 0
		.amdhsa_system_sgpr_workgroup_id_z 0
		.amdhsa_system_sgpr_workgroup_info 0
		.amdhsa_system_vgpr_workitem_id 0
		.amdhsa_next_free_vgpr 1
		.amdhsa_next_free_sgpr 0
		.amdhsa_accum_offset 4
		.amdhsa_reserve_vcc 0
		.amdhsa_reserve_flat_scratch 0
		.amdhsa_float_round_mode_32 0
		.amdhsa_float_round_mode_16_64 0
		.amdhsa_float_denorm_mode_32 3
		.amdhsa_float_denorm_mode_16_64 3
		.amdhsa_dx10_clamp 1
		.amdhsa_ieee_mode 1
		.amdhsa_fp16_overflow 0
		.amdhsa_tg_split 0
		.amdhsa_exception_fp_ieee_invalid_op 0
		.amdhsa_exception_fp_denorm_src 0
		.amdhsa_exception_fp_ieee_div_zero 0
		.amdhsa_exception_fp_ieee_overflow 0
		.amdhsa_exception_fp_ieee_underflow 0
		.amdhsa_exception_fp_ieee_inexact 0
		.amdhsa_exception_int_div_zero 0
	.end_amdhsa_kernel
	.section	.text._ZN7rocprim17ROCPRIM_400000_NS6detail17trampoline_kernelINS0_14default_configENS1_29reduce_by_key_config_selectorIffN6thrust23THRUST_200600_302600_NS4plusIfEEEEZZNS1_33reduce_by_key_impl_wrapped_configILNS1_25lookback_scan_determinismE0ES3_S9_NS6_6detail15normal_iteratorINS6_10device_ptrIfEEEESG_SG_SG_PmS8_NS6_8equal_toIfEEEE10hipError_tPvRmT2_T3_mT4_T5_T6_T7_T8_P12ihipStream_tbENKUlT_T0_E_clISt17integral_constantIbLb1EES11_EEDaSW_SX_EUlSW_E_NS1_11comp_targetILNS1_3genE5ELNS1_11target_archE942ELNS1_3gpuE9ELNS1_3repE0EEENS1_30default_config_static_selectorELNS0_4arch9wavefront6targetE1EEEvT1_,"axG",@progbits,_ZN7rocprim17ROCPRIM_400000_NS6detail17trampoline_kernelINS0_14default_configENS1_29reduce_by_key_config_selectorIffN6thrust23THRUST_200600_302600_NS4plusIfEEEEZZNS1_33reduce_by_key_impl_wrapped_configILNS1_25lookback_scan_determinismE0ES3_S9_NS6_6detail15normal_iteratorINS6_10device_ptrIfEEEESG_SG_SG_PmS8_NS6_8equal_toIfEEEE10hipError_tPvRmT2_T3_mT4_T5_T6_T7_T8_P12ihipStream_tbENKUlT_T0_E_clISt17integral_constantIbLb1EES11_EEDaSW_SX_EUlSW_E_NS1_11comp_targetILNS1_3genE5ELNS1_11target_archE942ELNS1_3gpuE9ELNS1_3repE0EEENS1_30default_config_static_selectorELNS0_4arch9wavefront6targetE1EEEvT1_,comdat
.Lfunc_end174:
	.size	_ZN7rocprim17ROCPRIM_400000_NS6detail17trampoline_kernelINS0_14default_configENS1_29reduce_by_key_config_selectorIffN6thrust23THRUST_200600_302600_NS4plusIfEEEEZZNS1_33reduce_by_key_impl_wrapped_configILNS1_25lookback_scan_determinismE0ES3_S9_NS6_6detail15normal_iteratorINS6_10device_ptrIfEEEESG_SG_SG_PmS8_NS6_8equal_toIfEEEE10hipError_tPvRmT2_T3_mT4_T5_T6_T7_T8_P12ihipStream_tbENKUlT_T0_E_clISt17integral_constantIbLb1EES11_EEDaSW_SX_EUlSW_E_NS1_11comp_targetILNS1_3genE5ELNS1_11target_archE942ELNS1_3gpuE9ELNS1_3repE0EEENS1_30default_config_static_selectorELNS0_4arch9wavefront6targetE1EEEvT1_, .Lfunc_end174-_ZN7rocprim17ROCPRIM_400000_NS6detail17trampoline_kernelINS0_14default_configENS1_29reduce_by_key_config_selectorIffN6thrust23THRUST_200600_302600_NS4plusIfEEEEZZNS1_33reduce_by_key_impl_wrapped_configILNS1_25lookback_scan_determinismE0ES3_S9_NS6_6detail15normal_iteratorINS6_10device_ptrIfEEEESG_SG_SG_PmS8_NS6_8equal_toIfEEEE10hipError_tPvRmT2_T3_mT4_T5_T6_T7_T8_P12ihipStream_tbENKUlT_T0_E_clISt17integral_constantIbLb1EES11_EEDaSW_SX_EUlSW_E_NS1_11comp_targetILNS1_3genE5ELNS1_11target_archE942ELNS1_3gpuE9ELNS1_3repE0EEENS1_30default_config_static_selectorELNS0_4arch9wavefront6targetE1EEEvT1_
                                        ; -- End function
	.section	.AMDGPU.csdata,"",@progbits
; Kernel info:
; codeLenInByte = 0
; NumSgprs: 4
; NumVgprs: 0
; NumAgprs: 0
; TotalNumVgprs: 0
; ScratchSize: 0
; MemoryBound: 0
; FloatMode: 240
; IeeeMode: 1
; LDSByteSize: 0 bytes/workgroup (compile time only)
; SGPRBlocks: 0
; VGPRBlocks: 0
; NumSGPRsForWavesPerEU: 4
; NumVGPRsForWavesPerEU: 1
; AccumOffset: 4
; Occupancy: 8
; WaveLimiterHint : 0
; COMPUTE_PGM_RSRC2:SCRATCH_EN: 0
; COMPUTE_PGM_RSRC2:USER_SGPR: 6
; COMPUTE_PGM_RSRC2:TRAP_HANDLER: 0
; COMPUTE_PGM_RSRC2:TGID_X_EN: 1
; COMPUTE_PGM_RSRC2:TGID_Y_EN: 0
; COMPUTE_PGM_RSRC2:TGID_Z_EN: 0
; COMPUTE_PGM_RSRC2:TIDIG_COMP_CNT: 0
; COMPUTE_PGM_RSRC3_GFX90A:ACCUM_OFFSET: 0
; COMPUTE_PGM_RSRC3_GFX90A:TG_SPLIT: 0
	.section	.text._ZN7rocprim17ROCPRIM_400000_NS6detail17trampoline_kernelINS0_14default_configENS1_29reduce_by_key_config_selectorIffN6thrust23THRUST_200600_302600_NS4plusIfEEEEZZNS1_33reduce_by_key_impl_wrapped_configILNS1_25lookback_scan_determinismE0ES3_S9_NS6_6detail15normal_iteratorINS6_10device_ptrIfEEEESG_SG_SG_PmS8_NS6_8equal_toIfEEEE10hipError_tPvRmT2_T3_mT4_T5_T6_T7_T8_P12ihipStream_tbENKUlT_T0_E_clISt17integral_constantIbLb1EES11_EEDaSW_SX_EUlSW_E_NS1_11comp_targetILNS1_3genE4ELNS1_11target_archE910ELNS1_3gpuE8ELNS1_3repE0EEENS1_30default_config_static_selectorELNS0_4arch9wavefront6targetE1EEEvT1_,"axG",@progbits,_ZN7rocprim17ROCPRIM_400000_NS6detail17trampoline_kernelINS0_14default_configENS1_29reduce_by_key_config_selectorIffN6thrust23THRUST_200600_302600_NS4plusIfEEEEZZNS1_33reduce_by_key_impl_wrapped_configILNS1_25lookback_scan_determinismE0ES3_S9_NS6_6detail15normal_iteratorINS6_10device_ptrIfEEEESG_SG_SG_PmS8_NS6_8equal_toIfEEEE10hipError_tPvRmT2_T3_mT4_T5_T6_T7_T8_P12ihipStream_tbENKUlT_T0_E_clISt17integral_constantIbLb1EES11_EEDaSW_SX_EUlSW_E_NS1_11comp_targetILNS1_3genE4ELNS1_11target_archE910ELNS1_3gpuE8ELNS1_3repE0EEENS1_30default_config_static_selectorELNS0_4arch9wavefront6targetE1EEEvT1_,comdat
	.protected	_ZN7rocprim17ROCPRIM_400000_NS6detail17trampoline_kernelINS0_14default_configENS1_29reduce_by_key_config_selectorIffN6thrust23THRUST_200600_302600_NS4plusIfEEEEZZNS1_33reduce_by_key_impl_wrapped_configILNS1_25lookback_scan_determinismE0ES3_S9_NS6_6detail15normal_iteratorINS6_10device_ptrIfEEEESG_SG_SG_PmS8_NS6_8equal_toIfEEEE10hipError_tPvRmT2_T3_mT4_T5_T6_T7_T8_P12ihipStream_tbENKUlT_T0_E_clISt17integral_constantIbLb1EES11_EEDaSW_SX_EUlSW_E_NS1_11comp_targetILNS1_3genE4ELNS1_11target_archE910ELNS1_3gpuE8ELNS1_3repE0EEENS1_30default_config_static_selectorELNS0_4arch9wavefront6targetE1EEEvT1_ ; -- Begin function _ZN7rocprim17ROCPRIM_400000_NS6detail17trampoline_kernelINS0_14default_configENS1_29reduce_by_key_config_selectorIffN6thrust23THRUST_200600_302600_NS4plusIfEEEEZZNS1_33reduce_by_key_impl_wrapped_configILNS1_25lookback_scan_determinismE0ES3_S9_NS6_6detail15normal_iteratorINS6_10device_ptrIfEEEESG_SG_SG_PmS8_NS6_8equal_toIfEEEE10hipError_tPvRmT2_T3_mT4_T5_T6_T7_T8_P12ihipStream_tbENKUlT_T0_E_clISt17integral_constantIbLb1EES11_EEDaSW_SX_EUlSW_E_NS1_11comp_targetILNS1_3genE4ELNS1_11target_archE910ELNS1_3gpuE8ELNS1_3repE0EEENS1_30default_config_static_selectorELNS0_4arch9wavefront6targetE1EEEvT1_
	.globl	_ZN7rocprim17ROCPRIM_400000_NS6detail17trampoline_kernelINS0_14default_configENS1_29reduce_by_key_config_selectorIffN6thrust23THRUST_200600_302600_NS4plusIfEEEEZZNS1_33reduce_by_key_impl_wrapped_configILNS1_25lookback_scan_determinismE0ES3_S9_NS6_6detail15normal_iteratorINS6_10device_ptrIfEEEESG_SG_SG_PmS8_NS6_8equal_toIfEEEE10hipError_tPvRmT2_T3_mT4_T5_T6_T7_T8_P12ihipStream_tbENKUlT_T0_E_clISt17integral_constantIbLb1EES11_EEDaSW_SX_EUlSW_E_NS1_11comp_targetILNS1_3genE4ELNS1_11target_archE910ELNS1_3gpuE8ELNS1_3repE0EEENS1_30default_config_static_selectorELNS0_4arch9wavefront6targetE1EEEvT1_
	.p2align	8
	.type	_ZN7rocprim17ROCPRIM_400000_NS6detail17trampoline_kernelINS0_14default_configENS1_29reduce_by_key_config_selectorIffN6thrust23THRUST_200600_302600_NS4plusIfEEEEZZNS1_33reduce_by_key_impl_wrapped_configILNS1_25lookback_scan_determinismE0ES3_S9_NS6_6detail15normal_iteratorINS6_10device_ptrIfEEEESG_SG_SG_PmS8_NS6_8equal_toIfEEEE10hipError_tPvRmT2_T3_mT4_T5_T6_T7_T8_P12ihipStream_tbENKUlT_T0_E_clISt17integral_constantIbLb1EES11_EEDaSW_SX_EUlSW_E_NS1_11comp_targetILNS1_3genE4ELNS1_11target_archE910ELNS1_3gpuE8ELNS1_3repE0EEENS1_30default_config_static_selectorELNS0_4arch9wavefront6targetE1EEEvT1_,@function
_ZN7rocprim17ROCPRIM_400000_NS6detail17trampoline_kernelINS0_14default_configENS1_29reduce_by_key_config_selectorIffN6thrust23THRUST_200600_302600_NS4plusIfEEEEZZNS1_33reduce_by_key_impl_wrapped_configILNS1_25lookback_scan_determinismE0ES3_S9_NS6_6detail15normal_iteratorINS6_10device_ptrIfEEEESG_SG_SG_PmS8_NS6_8equal_toIfEEEE10hipError_tPvRmT2_T3_mT4_T5_T6_T7_T8_P12ihipStream_tbENKUlT_T0_E_clISt17integral_constantIbLb1EES11_EEDaSW_SX_EUlSW_E_NS1_11comp_targetILNS1_3genE4ELNS1_11target_archE910ELNS1_3gpuE8ELNS1_3repE0EEENS1_30default_config_static_selectorELNS0_4arch9wavefront6targetE1EEEvT1_: ; @_ZN7rocprim17ROCPRIM_400000_NS6detail17trampoline_kernelINS0_14default_configENS1_29reduce_by_key_config_selectorIffN6thrust23THRUST_200600_302600_NS4plusIfEEEEZZNS1_33reduce_by_key_impl_wrapped_configILNS1_25lookback_scan_determinismE0ES3_S9_NS6_6detail15normal_iteratorINS6_10device_ptrIfEEEESG_SG_SG_PmS8_NS6_8equal_toIfEEEE10hipError_tPvRmT2_T3_mT4_T5_T6_T7_T8_P12ihipStream_tbENKUlT_T0_E_clISt17integral_constantIbLb1EES11_EEDaSW_SX_EUlSW_E_NS1_11comp_targetILNS1_3genE4ELNS1_11target_archE910ELNS1_3gpuE8ELNS1_3repE0EEENS1_30default_config_static_selectorELNS0_4arch9wavefront6targetE1EEEvT1_
; %bb.0:
	s_load_dwordx8 s[36:43], s[4:5], 0x0
	s_load_dwordx4 s[52:55], s[4:5], 0x20
	s_load_dwordx8 s[44:51], s[4:5], 0x38
	s_load_dwordx2 s[60:61], s[4:5], 0x68
	s_load_dwordx4 s[56:59], s[4:5], 0x58
	v_cmp_ne_u32_e64 s[2:3], 0, v0
	v_cmp_eq_u32_e64 s[0:1], 0, v0
	s_and_saveexec_b64 s[6:7], s[0:1]
	s_cbranch_execz .LBB175_4
; %bb.1:
	s_mov_b64 s[10:11], exec
	v_mbcnt_lo_u32_b32 v1, s10, 0
	v_mbcnt_hi_u32_b32 v1, s11, v1
	v_cmp_eq_u32_e32 vcc, 0, v1
                                        ; implicit-def: $vgpr2
	s_and_saveexec_b64 s[8:9], vcc
	s_cbranch_execz .LBB175_3
; %bb.2:
	s_load_dwordx2 s[4:5], s[4:5], 0x70
	s_bcnt1_i32_b64 s10, s[10:11]
	v_mov_b32_e32 v2, 0
	v_mov_b32_e32 v3, s10
	s_waitcnt lgkmcnt(0)
	global_atomic_add v2, v2, v3, s[4:5] glc
.LBB175_3:
	s_or_b64 exec, exec, s[8:9]
	s_waitcnt vmcnt(0)
	v_readfirstlane_b32 s4, v2
	v_add_u32_e32 v1, s4, v1
	v_mov_b32_e32 v2, 0
	ds_write_b32 v2, v1
.LBB175_4:
	s_or_b64 exec, exec, s[6:7]
	v_mov_b32_e32 v3, 0
	s_waitcnt lgkmcnt(0)
	s_lshl_b64 s[4:5], s[38:39], 2
	s_barrier
	ds_read_b32 v1, v3
	s_add_u32 s6, s36, s4
	s_addc_u32 s7, s37, s5
	s_add_u32 s4, s40, s4
	s_mul_i32 s8, s48, s47
	s_mul_hi_u32 s9, s48, s46
	s_addc_u32 s5, s41, s5
	s_add_i32 s8, s9, s8
	s_mul_i32 s9, s49, s46
	s_add_i32 s8, s8, s9
	s_mul_i32 s9, s48, s46
	s_waitcnt lgkmcnt(0)
	v_readfirstlane_b32 s62, v1
	s_movk_i32 s10, 0xf00
	v_mul_lo_u32 v2, v1, s10
	s_add_u32 s40, s9, s62
	v_lshlrev_b64 v[2:3], 2, v[2:3]
	s_addc_u32 s41, s8, 0
	v_mov_b32_e32 v1, s7
	v_add_co_u32_e32 v10, vcc, s6, v2
	s_add_u32 s6, s50, -1
	v_addc_co_u32_e32 v11, vcc, v1, v3, vcc
	s_addc_u32 s7, s51, -1
	v_mov_b32_e32 v1, s5
	v_add_co_u32_e32 v26, vcc, s4, v2
	s_cmp_eq_u64 s[40:41], s[6:7]
	v_addc_co_u32_e32 v27, vcc, v1, v3, vcc
	s_cselect_b64 s[36:37], -1, 0
	s_cmp_lg_u64 s[40:41], s[6:7]
	s_mov_b64 s[4:5], -1
	s_cselect_b64 s[48:49], -1, 0
	s_mul_i32 s33, s6, 0xfffff100
	s_and_b64 vcc, exec, s[36:37]
	s_barrier
	s_cbranch_vccnz .LBB175_6
; %bb.5:
	v_lshlrev_b32_e32 v28, 2, v0
	v_add_co_u32_e32 v2, vcc, v10, v28
	v_addc_co_u32_e32 v3, vcc, 0, v11, vcc
	v_add_co_u32_e32 v4, vcc, 0x1000, v2
	v_addc_co_u32_e32 v5, vcc, 0, v3, vcc
	flat_load_dword v1, v[2:3]
	flat_load_dword v12, v[2:3] offset:1024
	flat_load_dword v13, v[2:3] offset:2048
	;; [unrolled: 1-line block ×3, first 2 shown]
	flat_load_dword v15, v[4:5]
	flat_load_dword v16, v[4:5] offset:1024
	flat_load_dword v17, v[4:5] offset:2048
	;; [unrolled: 1-line block ×3, first 2 shown]
	v_add_co_u32_e32 v4, vcc, 0x2000, v2
	v_addc_co_u32_e32 v5, vcc, 0, v3, vcc
	v_add_co_u32_e32 v2, vcc, 0x3000, v2
	v_addc_co_u32_e32 v3, vcc, 0, v3, vcc
	flat_load_dword v19, v[4:5]
	flat_load_dword v20, v[4:5] offset:1024
	flat_load_dword v21, v[4:5] offset:2048
	;; [unrolled: 1-line block ×3, first 2 shown]
	flat_load_dword v23, v[2:3]
	flat_load_dword v24, v[2:3] offset:1024
	flat_load_dword v25, v[2:3] offset:2048
	v_add_co_u32_e32 v2, vcc, v26, v28
	s_movk_i32 s4, 0x1000
	v_addc_co_u32_e32 v3, vcc, 0, v27, vcc
	v_add_co_u32_e32 v4, vcc, s4, v2
	s_movk_i32 s5, 0x2000
	v_addc_co_u32_e32 v5, vcc, 0, v3, vcc
	v_add_co_u32_e32 v6, vcc, s5, v2
	s_movk_i32 s6, 0x3000
	v_addc_co_u32_e32 v7, vcc, 0, v3, vcc
	v_mad_u32_u24 v40, v0, 56, v28
	v_add_co_u32_e32 v8, vcc, s6, v2
	v_addc_co_u32_e32 v9, vcc, 0, v3, vcc
	s_waitcnt vmcnt(0) lgkmcnt(0)
	ds_write2st64_b32 v28, v1, v12 offset1:4
	ds_write2st64_b32 v28, v13, v14 offset0:8 offset1:12
	ds_write2st64_b32 v28, v15, v16 offset0:16 offset1:20
	;; [unrolled: 1-line block ×6, first 2 shown]
	ds_write_b32 v28, v25 offset:14336
	s_waitcnt lgkmcnt(0)
	s_barrier
	ds_read2_b32 v[24:25], v40 offset1:1
	ds_read2_b32 v[22:23], v40 offset0:2 offset1:3
	ds_read2_b32 v[20:21], v40 offset0:4 offset1:5
	;; [unrolled: 1-line block ×6, first 2 shown]
	ds_read_b32 v1, v40 offset:56
	s_waitcnt lgkmcnt(0)
	s_barrier
	flat_load_dword v29, v[2:3]
	flat_load_dword v30, v[2:3] offset:1024
	flat_load_dword v31, v[2:3] offset:2048
	flat_load_dword v32, v[2:3] offset:3072
	flat_load_dword v33, v[4:5]
	flat_load_dword v34, v[4:5] offset:1024
	flat_load_dword v35, v[4:5] offset:2048
	flat_load_dword v36, v[4:5] offset:3072
	;; [unrolled: 4-line block ×3, first 2 shown]
	flat_load_dword v42, v[8:9]
	flat_load_dword v43, v[8:9] offset:1024
	flat_load_dword v44, v[8:9] offset:2048
	v_mov_b32_e32 v8, v24
	v_mov_b32_e32 v9, v22
	;; [unrolled: 1-line block ×7, first 2 shown]
	s_waitcnt vmcnt(0) lgkmcnt(0)
	ds_write2st64_b32 v28, v29, v30 offset1:4
	ds_write2st64_b32 v28, v31, v32 offset0:8 offset1:12
	ds_write2st64_b32 v28, v33, v34 offset0:16 offset1:20
	ds_write2st64_b32 v28, v35, v36 offset0:24 offset1:28
	ds_write2st64_b32 v28, v37, v38 offset0:32 offset1:36
	ds_write2st64_b32 v28, v39, v41 offset0:40 offset1:44
	ds_write2st64_b32 v28, v42, v43 offset0:48 offset1:52
	ds_write_b32 v28, v44 offset:14336
	s_waitcnt lgkmcnt(0)
	s_barrier
	s_add_i32 s33, s33, s56
	s_cbranch_execz .LBB175_7
	s_branch .LBB175_54
.LBB175_6:
                                        ; implicit-def: $vgpr1
                                        ; implicit-def: $vgpr12
                                        ; implicit-def: $vgpr14
                                        ; implicit-def: $vgpr16
                                        ; implicit-def: $vgpr18
                                        ; implicit-def: $vgpr20
                                        ; implicit-def: $vgpr22
                                        ; implicit-def: $vgpr24
                                        ; implicit-def: $vgpr40
                                        ; implicit-def: $vgpr2_vgpr3
                                        ; implicit-def: $vgpr4_vgpr5
                                        ; implicit-def: $vgpr8_vgpr9
                                        ; implicit-def: $vgpr6_vgpr7
	s_andn2_b64 vcc, exec, s[4:5]
	s_add_i32 s33, s33, s56
	s_cbranch_vccnz .LBB175_54
.LBB175_7:
	v_cmp_gt_u32_e32 vcc, s33, v0
                                        ; implicit-def: $vgpr1
	s_and_saveexec_b64 s[6:7], vcc
	s_cbranch_execz .LBB175_9
; %bb.8:
	v_lshlrev_b32_e32 v1, 2, v0
	v_add_co_u32_e64 v2, s[4:5], v10, v1
	v_addc_co_u32_e64 v3, s[4:5], 0, v11, s[4:5]
	flat_load_dword v1, v[2:3]
.LBB175_9:
	s_or_b64 exec, exec, s[6:7]
	v_or_b32_e32 v2, 0x100, v0
	v_cmp_gt_u32_e64 s[4:5], s33, v2
                                        ; implicit-def: $vgpr12
	s_and_saveexec_b64 s[8:9], s[4:5]
	s_cbranch_execz .LBB175_11
; %bb.10:
	v_lshlrev_b32_e32 v2, 2, v0
	v_add_co_u32_e64 v2, s[6:7], v10, v2
	v_addc_co_u32_e64 v3, s[6:7], 0, v11, s[6:7]
	flat_load_dword v12, v[2:3] offset:1024
.LBB175_11:
	s_or_b64 exec, exec, s[8:9]
	v_or_b32_e32 v2, 0x200, v0
	v_cmp_gt_u32_e64 s[6:7], s33, v2
                                        ; implicit-def: $vgpr13
	s_and_saveexec_b64 s[10:11], s[6:7]
	s_cbranch_execz .LBB175_13
; %bb.12:
	v_lshlrev_b32_e32 v2, 2, v0
	v_add_co_u32_e64 v2, s[8:9], v10, v2
	v_addc_co_u32_e64 v3, s[8:9], 0, v11, s[8:9]
	flat_load_dword v13, v[2:3] offset:2048
.LBB175_13:
	s_or_b64 exec, exec, s[10:11]
	v_or_b32_e32 v2, 0x300, v0
	v_cmp_gt_u32_e64 s[8:9], s33, v2
                                        ; implicit-def: $vgpr14
	s_and_saveexec_b64 s[12:13], s[8:9]
	s_cbranch_execz .LBB175_15
; %bb.14:
	v_lshlrev_b32_e32 v2, 2, v0
	v_add_co_u32_e64 v2, s[10:11], v10, v2
	v_addc_co_u32_e64 v3, s[10:11], 0, v11, s[10:11]
	flat_load_dword v14, v[2:3] offset:3072
.LBB175_15:
	s_or_b64 exec, exec, s[12:13]
	v_or_b32_e32 v2, 0x400, v0
	v_cmp_gt_u32_e64 s[10:11], s33, v2
                                        ; implicit-def: $vgpr15
	s_and_saveexec_b64 s[14:15], s[10:11]
	s_cbranch_execz .LBB175_17
; %bb.16:
	v_lshlrev_b32_e32 v3, 2, v2
	v_add_co_u32_e64 v4, s[12:13], v10, v3
	v_addc_co_u32_e64 v5, s[12:13], 0, v11, s[12:13]
	flat_load_dword v15, v[4:5]
.LBB175_17:
	s_or_b64 exec, exec, s[14:15]
	v_or_b32_e32 v3, 0x500, v0
	v_cmp_gt_u32_e64 s[12:13], s33, v3
                                        ; implicit-def: $vgpr16
	s_and_saveexec_b64 s[16:17], s[12:13]
	s_cbranch_execz .LBB175_19
; %bb.18:
	v_lshlrev_b32_e32 v4, 2, v3
	v_add_co_u32_e64 v4, s[14:15], v10, v4
	v_addc_co_u32_e64 v5, s[14:15], 0, v11, s[14:15]
	flat_load_dword v16, v[4:5]
.LBB175_19:
	s_or_b64 exec, exec, s[16:17]
	v_or_b32_e32 v4, 0x600, v0
	v_cmp_gt_u32_e64 s[14:15], s33, v4
                                        ; implicit-def: $vgpr17
	s_and_saveexec_b64 s[18:19], s[14:15]
	s_cbranch_execz .LBB175_21
; %bb.20:
	v_lshlrev_b32_e32 v5, 2, v4
	v_add_co_u32_e64 v6, s[16:17], v10, v5
	v_addc_co_u32_e64 v7, s[16:17], 0, v11, s[16:17]
	flat_load_dword v17, v[6:7]
.LBB175_21:
	s_or_b64 exec, exec, s[18:19]
	v_or_b32_e32 v5, 0x700, v0
	v_cmp_gt_u32_e64 s[16:17], s33, v5
                                        ; implicit-def: $vgpr18
	s_and_saveexec_b64 s[20:21], s[16:17]
	s_cbranch_execz .LBB175_23
; %bb.22:
	v_lshlrev_b32_e32 v6, 2, v5
	v_add_co_u32_e64 v6, s[18:19], v10, v6
	v_addc_co_u32_e64 v7, s[18:19], 0, v11, s[18:19]
	flat_load_dword v18, v[6:7]
.LBB175_23:
	s_or_b64 exec, exec, s[20:21]
	v_or_b32_e32 v6, 0x800, v0
	v_cmp_gt_u32_e64 s[18:19], s33, v6
                                        ; implicit-def: $vgpr19
	s_and_saveexec_b64 s[22:23], s[18:19]
	s_cbranch_execz .LBB175_25
; %bb.24:
	v_lshlrev_b32_e32 v7, 2, v6
	v_add_co_u32_e64 v8, s[20:21], v10, v7
	v_addc_co_u32_e64 v9, s[20:21], 0, v11, s[20:21]
	flat_load_dword v19, v[8:9]
.LBB175_25:
	s_or_b64 exec, exec, s[22:23]
	v_or_b32_e32 v8, 0x900, v0
	v_cmp_gt_u32_e64 s[20:21], s33, v8
                                        ; implicit-def: $vgpr20
	s_and_saveexec_b64 s[24:25], s[20:21]
	s_cbranch_execz .LBB175_27
; %bb.26:
	v_lshlrev_b32_e32 v7, 2, v8
	v_add_co_u32_e64 v20, s[22:23], v10, v7
	v_addc_co_u32_e64 v21, s[22:23], 0, v11, s[22:23]
	flat_load_dword v20, v[20:21]
.LBB175_27:
	s_or_b64 exec, exec, s[24:25]
	v_or_b32_e32 v9, 0xa00, v0
	v_cmp_gt_u32_e64 s[22:23], s33, v9
                                        ; implicit-def: $vgpr21
	s_and_saveexec_b64 s[26:27], s[22:23]
	s_cbranch_execz .LBB175_29
; %bb.28:
	v_lshlrev_b32_e32 v7, 2, v9
	v_add_co_u32_e64 v22, s[24:25], v10, v7
	v_addc_co_u32_e64 v23, s[24:25], 0, v11, s[24:25]
	flat_load_dword v21, v[22:23]
.LBB175_29:
	s_or_b64 exec, exec, s[26:27]
	v_or_b32_e32 v28, 0xb00, v0
	v_cmp_gt_u32_e64 s[24:25], s33, v28
                                        ; implicit-def: $vgpr22
	s_and_saveexec_b64 s[28:29], s[24:25]
	s_cbranch_execz .LBB175_31
; %bb.30:
	v_lshlrev_b32_e32 v7, 2, v28
	v_add_co_u32_e64 v22, s[26:27], v10, v7
	v_addc_co_u32_e64 v23, s[26:27], 0, v11, s[26:27]
	flat_load_dword v22, v[22:23]
.LBB175_31:
	s_or_b64 exec, exec, s[28:29]
	v_or_b32_e32 v29, 0xc00, v0
	v_cmp_gt_u32_e64 s[26:27], s33, v29
                                        ; implicit-def: $vgpr23
	s_and_saveexec_b64 s[30:31], s[26:27]
	s_cbranch_execz .LBB175_33
; %bb.32:
	v_lshlrev_b32_e32 v7, 2, v29
	v_add_co_u32_e64 v24, s[28:29], v10, v7
	v_addc_co_u32_e64 v25, s[28:29], 0, v11, s[28:29]
	flat_load_dword v23, v[24:25]
.LBB175_33:
	s_or_b64 exec, exec, s[30:31]
	v_or_b32_e32 v30, 0xd00, v0
	v_cmp_gt_u32_e64 s[28:29], s33, v30
                                        ; implicit-def: $vgpr24
	s_and_saveexec_b64 s[34:35], s[28:29]
	s_cbranch_execz .LBB175_35
; %bb.34:
	v_lshlrev_b32_e32 v7, 2, v30
	v_add_co_u32_e64 v24, s[30:31], v10, v7
	v_addc_co_u32_e64 v25, s[30:31], 0, v11, s[30:31]
	flat_load_dword v24, v[24:25]
.LBB175_35:
	s_or_b64 exec, exec, s[34:35]
	v_or_b32_e32 v31, 0xe00, v0
	v_cmp_gt_u32_e64 s[30:31], s33, v31
                                        ; implicit-def: $vgpr25
	s_and_saveexec_b64 s[38:39], s[30:31]
	s_cbranch_execz .LBB175_37
; %bb.36:
	v_lshlrev_b32_e32 v7, 2, v31
	v_add_co_u32_e64 v32, s[34:35], v10, v7
	v_addc_co_u32_e64 v33, s[34:35], 0, v11, s[34:35]
	flat_load_dword v25, v[32:33]
.LBB175_37:
	s_or_b64 exec, exec, s[38:39]
	v_lshlrev_b32_e32 v7, 2, v0
	v_mad_u32_u24 v40, v0, 56, v7
	s_waitcnt vmcnt(0) lgkmcnt(0)
	ds_write2st64_b32 v7, v1, v12 offset1:4
	ds_write2st64_b32 v7, v13, v14 offset0:8 offset1:12
	ds_write2st64_b32 v7, v15, v16 offset0:16 offset1:20
	ds_write2st64_b32 v7, v17, v18 offset0:24 offset1:28
	ds_write2st64_b32 v7, v19, v20 offset0:32 offset1:36
	ds_write2st64_b32 v7, v21, v22 offset0:40 offset1:44
	ds_write2st64_b32 v7, v23, v24 offset0:48 offset1:52
	ds_write_b32 v7, v25 offset:14336
	s_waitcnt lgkmcnt(0)
	s_barrier
	ds_read2_b32 v[24:25], v40 offset1:1
	ds_read2_b32 v[22:23], v40 offset0:2 offset1:3
	ds_read2_b32 v[20:21], v40 offset0:4 offset1:5
	;; [unrolled: 1-line block ×6, first 2 shown]
	ds_read_b32 v1, v40 offset:56
	s_waitcnt lgkmcnt(0)
	s_barrier
	s_waitcnt lgkmcnt(0)
                                        ; implicit-def: $vgpr32
	s_and_saveexec_b64 s[34:35], vcc
	s_cbranch_execnz .LBB175_61
; %bb.38:
	s_or_b64 exec, exec, s[34:35]
                                        ; implicit-def: $vgpr33
	s_and_saveexec_b64 s[34:35], s[4:5]
	s_cbranch_execnz .LBB175_62
.LBB175_39:
	s_or_b64 exec, exec, s[34:35]
                                        ; implicit-def: $vgpr34
	s_and_saveexec_b64 s[4:5], s[6:7]
	s_cbranch_execnz .LBB175_63
.LBB175_40:
	s_or_b64 exec, exec, s[4:5]
                                        ; implicit-def: $vgpr35
	s_and_saveexec_b64 s[4:5], s[8:9]
	s_cbranch_execnz .LBB175_64
.LBB175_41:
	s_or_b64 exec, exec, s[4:5]
                                        ; implicit-def: $vgpr36
	s_and_saveexec_b64 s[4:5], s[10:11]
	s_cbranch_execnz .LBB175_65
.LBB175_42:
	s_or_b64 exec, exec, s[4:5]
                                        ; implicit-def: $vgpr2
	s_and_saveexec_b64 s[4:5], s[12:13]
	s_cbranch_execnz .LBB175_66
.LBB175_43:
	s_or_b64 exec, exec, s[4:5]
                                        ; implicit-def: $vgpr3
	s_and_saveexec_b64 s[4:5], s[14:15]
	s_cbranch_execnz .LBB175_67
.LBB175_44:
	s_or_b64 exec, exec, s[4:5]
                                        ; implicit-def: $vgpr4
	s_and_saveexec_b64 s[4:5], s[16:17]
	s_cbranch_execnz .LBB175_68
.LBB175_45:
	s_or_b64 exec, exec, s[4:5]
                                        ; implicit-def: $vgpr5
	s_and_saveexec_b64 s[4:5], s[18:19]
	s_cbranch_execnz .LBB175_69
.LBB175_46:
	s_or_b64 exec, exec, s[4:5]
                                        ; implicit-def: $vgpr6
	s_and_saveexec_b64 s[4:5], s[20:21]
	s_cbranch_execnz .LBB175_70
.LBB175_47:
	s_or_b64 exec, exec, s[4:5]
                                        ; implicit-def: $vgpr8
	s_and_saveexec_b64 s[4:5], s[22:23]
	s_cbranch_execnz .LBB175_71
.LBB175_48:
	s_or_b64 exec, exec, s[4:5]
                                        ; implicit-def: $vgpr9
	s_and_saveexec_b64 s[4:5], s[24:25]
	s_cbranch_execnz .LBB175_72
.LBB175_49:
	s_or_b64 exec, exec, s[4:5]
                                        ; implicit-def: $vgpr28
	s_and_saveexec_b64 s[4:5], s[26:27]
	s_cbranch_execnz .LBB175_73
.LBB175_50:
	s_or_b64 exec, exec, s[4:5]
                                        ; implicit-def: $vgpr29
	s_and_saveexec_b64 s[4:5], s[28:29]
	s_cbranch_execnz .LBB175_74
.LBB175_51:
	s_or_b64 exec, exec, s[4:5]
                                        ; implicit-def: $vgpr30
	s_and_saveexec_b64 s[4:5], s[30:31]
	s_cbranch_execz .LBB175_53
.LBB175_52:
	v_lshlrev_b32_e32 v30, 2, v31
	v_add_co_u32_e32 v26, vcc, v26, v30
	v_addc_co_u32_e32 v27, vcc, 0, v27, vcc
	flat_load_dword v30, v[26:27]
.LBB175_53:
	s_or_b64 exec, exec, s[4:5]
	s_waitcnt vmcnt(0) lgkmcnt(0)
	ds_write2st64_b32 v7, v32, v33 offset1:4
	ds_write2st64_b32 v7, v34, v35 offset0:8 offset1:12
	ds_write2st64_b32 v7, v36, v2 offset0:16 offset1:20
	;; [unrolled: 1-line block ×6, first 2 shown]
	ds_write_b32 v7, v30 offset:14336
	v_mov_b32_e32 v8, v24
	v_mov_b32_e32 v9, v22
	;; [unrolled: 1-line block ×7, first 2 shown]
	s_waitcnt lgkmcnt(0)
	s_barrier
.LBB175_54:
	ds_read2_b32 v[38:39], v40 offset1:1
	ds_read2_b32 v[36:37], v40 offset0:2 offset1:3
	ds_read2_b32 v[34:35], v40 offset0:4 offset1:5
	;; [unrolled: 1-line block ×6, first 2 shown]
	ds_read_b32 v69, v40 offset:56
	s_cmp_eq_u64 s[40:41], 0
	s_cselect_b64 s[38:39], -1, 0
	s_cmp_lg_u64 s[40:41], 0
	s_mov_b64 s[6:7], 0
	s_cselect_b64 s[8:9], -1, 0
	s_and_b64 vcc, exec, s[48:49]
	s_waitcnt lgkmcnt(0)
	s_barrier
	s_cbranch_vccz .LBB175_60
; %bb.55:
	s_and_b64 vcc, exec, s[8:9]
	s_cbranch_vccz .LBB175_75
; %bb.56:
	v_add_co_u32_e32 v40, vcc, -4, v10
	v_addc_co_u32_e32 v41, vcc, -1, v11, vcc
	flat_load_dword v7, v[40:41]
	v_lshlrev_b32_e32 v40, 2, v0
	ds_write_b32 v40, v1
	s_waitcnt lgkmcnt(0)
	s_barrier
	s_and_saveexec_b64 s[4:5], s[2:3]
	s_cbranch_execz .LBB175_58
; %bb.57:
	s_waitcnt vmcnt(0)
	v_add_u32_e32 v7, -4, v40
	ds_read_b32 v7, v7
.LBB175_58:
	s_or_b64 exec, exec, s[4:5]
	v_cmp_neq_f32_e32 vcc, v8, v25
	v_cndmask_b32_e64 v59, 0, 1, vcc
	v_cmp_neq_f32_e32 vcc, v9, v25
	v_cndmask_b32_e64 v58, 0, 1, vcc
	;; [unrolled: 2-line block ×14, first 2 shown]
	s_waitcnt vmcnt(0) lgkmcnt(0)
	v_cmp_neq_f32_e64 s[4:5], v7, v24
	s_mov_b64 s[6:7], -1
.LBB175_59:
                                        ; implicit-def: $sgpr12
	s_branch .LBB175_87
.LBB175_60:
                                        ; implicit-def: $sgpr4_sgpr5
                                        ; implicit-def: $vgpr46
                                        ; implicit-def: $vgpr47
                                        ; implicit-def: $vgpr48
                                        ; implicit-def: $vgpr49
                                        ; implicit-def: $vgpr50
                                        ; implicit-def: $vgpr51
                                        ; implicit-def: $vgpr52
                                        ; implicit-def: $vgpr53
                                        ; implicit-def: $vgpr54
                                        ; implicit-def: $vgpr55
                                        ; implicit-def: $vgpr56
                                        ; implicit-def: $vgpr57
                                        ; implicit-def: $vgpr58
                                        ; implicit-def: $vgpr59
                                        ; implicit-def: $sgpr12
	s_cbranch_execnz .LBB175_79
	s_branch .LBB175_87
.LBB175_61:
	v_add_co_u32_e32 v32, vcc, v26, v7
	v_addc_co_u32_e32 v33, vcc, 0, v27, vcc
	flat_load_dword v32, v[32:33]
	s_or_b64 exec, exec, s[34:35]
                                        ; implicit-def: $vgpr33
	s_and_saveexec_b64 s[34:35], s[4:5]
	s_cbranch_execz .LBB175_39
.LBB175_62:
	v_add_co_u32_e32 v34, vcc, v26, v7
	v_addc_co_u32_e32 v35, vcc, 0, v27, vcc
	flat_load_dword v33, v[34:35] offset:1024
	s_or_b64 exec, exec, s[34:35]
                                        ; implicit-def: $vgpr34
	s_and_saveexec_b64 s[4:5], s[6:7]
	s_cbranch_execz .LBB175_40
.LBB175_63:
	v_add_co_u32_e32 v34, vcc, v26, v7
	v_addc_co_u32_e32 v35, vcc, 0, v27, vcc
	flat_load_dword v34, v[34:35] offset:2048
	s_or_b64 exec, exec, s[4:5]
                                        ; implicit-def: $vgpr35
	s_and_saveexec_b64 s[4:5], s[8:9]
	s_cbranch_execz .LBB175_41
.LBB175_64:
	v_add_co_u32_e32 v36, vcc, v26, v7
	v_addc_co_u32_e32 v37, vcc, 0, v27, vcc
	flat_load_dword v35, v[36:37] offset:3072
	s_or_b64 exec, exec, s[4:5]
                                        ; implicit-def: $vgpr36
	s_and_saveexec_b64 s[4:5], s[10:11]
	s_cbranch_execz .LBB175_42
.LBB175_65:
	v_lshlrev_b32_e32 v2, 2, v2
	v_add_co_u32_e32 v36, vcc, v26, v2
	v_addc_co_u32_e32 v37, vcc, 0, v27, vcc
	flat_load_dword v36, v[36:37]
	s_or_b64 exec, exec, s[4:5]
                                        ; implicit-def: $vgpr2
	s_and_saveexec_b64 s[4:5], s[12:13]
	s_cbranch_execz .LBB175_43
.LBB175_66:
	v_lshlrev_b32_e32 v2, 2, v3
	v_add_co_u32_e32 v2, vcc, v26, v2
	v_addc_co_u32_e32 v3, vcc, 0, v27, vcc
	flat_load_dword v2, v[2:3]
	s_or_b64 exec, exec, s[4:5]
                                        ; implicit-def: $vgpr3
	s_and_saveexec_b64 s[4:5], s[14:15]
	s_cbranch_execz .LBB175_44
.LBB175_67:
	v_lshlrev_b32_e32 v3, 2, v4
	v_add_co_u32_e32 v38, vcc, v26, v3
	v_addc_co_u32_e32 v39, vcc, 0, v27, vcc
	flat_load_dword v3, v[38:39]
	s_or_b64 exec, exec, s[4:5]
                                        ; implicit-def: $vgpr4
	s_and_saveexec_b64 s[4:5], s[16:17]
	s_cbranch_execz .LBB175_45
.LBB175_68:
	v_lshlrev_b32_e32 v4, 2, v5
	v_add_co_u32_e32 v4, vcc, v26, v4
	v_addc_co_u32_e32 v5, vcc, 0, v27, vcc
	flat_load_dword v4, v[4:5]
	s_or_b64 exec, exec, s[4:5]
                                        ; implicit-def: $vgpr5
	s_and_saveexec_b64 s[4:5], s[18:19]
	s_cbranch_execz .LBB175_46
.LBB175_69:
	v_lshlrev_b32_e32 v5, 2, v6
	v_add_co_u32_e32 v38, vcc, v26, v5
	v_addc_co_u32_e32 v39, vcc, 0, v27, vcc
	flat_load_dword v5, v[38:39]
	s_or_b64 exec, exec, s[4:5]
                                        ; implicit-def: $vgpr6
	s_and_saveexec_b64 s[4:5], s[20:21]
	s_cbranch_execz .LBB175_47
.LBB175_70:
	v_lshlrev_b32_e32 v6, 2, v8
	v_add_co_u32_e32 v38, vcc, v26, v6
	v_addc_co_u32_e32 v39, vcc, 0, v27, vcc
	flat_load_dword v6, v[38:39]
	s_or_b64 exec, exec, s[4:5]
                                        ; implicit-def: $vgpr8
	s_and_saveexec_b64 s[4:5], s[22:23]
	s_cbranch_execz .LBB175_48
.LBB175_71:
	v_lshlrev_b32_e32 v8, 2, v9
	v_add_co_u32_e32 v8, vcc, v26, v8
	v_addc_co_u32_e32 v9, vcc, 0, v27, vcc
	flat_load_dword v8, v[8:9]
	s_or_b64 exec, exec, s[4:5]
                                        ; implicit-def: $vgpr9
	s_and_saveexec_b64 s[4:5], s[24:25]
	s_cbranch_execz .LBB175_49
.LBB175_72:
	v_lshlrev_b32_e32 v9, 2, v28
	v_add_co_u32_e32 v38, vcc, v26, v9
	v_addc_co_u32_e32 v39, vcc, 0, v27, vcc
	flat_load_dword v9, v[38:39]
	s_or_b64 exec, exec, s[4:5]
                                        ; implicit-def: $vgpr28
	s_and_saveexec_b64 s[4:5], s[26:27]
	s_cbranch_execz .LBB175_50
.LBB175_73:
	v_lshlrev_b32_e32 v28, 2, v29
	v_add_co_u32_e32 v28, vcc, v26, v28
	v_addc_co_u32_e32 v29, vcc, 0, v27, vcc
	flat_load_dword v28, v[28:29]
	s_or_b64 exec, exec, s[4:5]
                                        ; implicit-def: $vgpr29
	s_and_saveexec_b64 s[4:5], s[28:29]
	s_cbranch_execz .LBB175_51
.LBB175_74:
	v_lshlrev_b32_e32 v29, 2, v30
	v_add_co_u32_e32 v38, vcc, v26, v29
	v_addc_co_u32_e32 v39, vcc, 0, v27, vcc
	flat_load_dword v29, v[38:39]
	s_or_b64 exec, exec, s[4:5]
                                        ; implicit-def: $vgpr30
	s_and_saveexec_b64 s[4:5], s[30:31]
	s_cbranch_execnz .LBB175_52
	s_branch .LBB175_53
.LBB175_75:
                                        ; implicit-def: $sgpr4_sgpr5
                                        ; implicit-def: $vgpr46
                                        ; implicit-def: $vgpr47
                                        ; implicit-def: $vgpr48
                                        ; implicit-def: $vgpr49
                                        ; implicit-def: $vgpr50
                                        ; implicit-def: $vgpr51
                                        ; implicit-def: $vgpr52
                                        ; implicit-def: $vgpr53
                                        ; implicit-def: $vgpr54
                                        ; implicit-def: $vgpr55
                                        ; implicit-def: $vgpr56
                                        ; implicit-def: $vgpr57
                                        ; implicit-def: $vgpr58
                                        ; implicit-def: $vgpr59
	s_cbranch_execz .LBB175_59
; %bb.76:
	v_cmp_neq_f32_e32 vcc, v25, v8
	v_cndmask_b32_e64 v59, 0, 1, vcc
	v_cmp_neq_f32_e32 vcc, v25, v9
	v_cndmask_b32_e64 v58, 0, 1, vcc
	;; [unrolled: 2-line block ×13, first 2 shown]
	v_cmp_neq_f32_e32 vcc, v13, v1
	v_lshlrev_b32_e32 v7, 2, v0
	v_cndmask_b32_e64 v46, 0, 1, vcc
	ds_write_b32 v7, v1
	s_waitcnt lgkmcnt(0)
	s_barrier
	s_waitcnt lgkmcnt(0)
                                        ; implicit-def: $sgpr4_sgpr5
	s_and_saveexec_b64 s[10:11], s[2:3]
	s_xor_b64 s[10:11], exec, s[10:11]
	s_cbranch_execz .LBB175_78
; %bb.77:
	v_add_u32_e32 v2, -4, v7
	ds_read_b32 v2, v2
	s_or_b64 s[6:7], s[6:7], exec
	s_waitcnt lgkmcnt(0)
	v_cmp_neq_f32_e32 vcc, v2, v24
	s_and_b64 s[4:5], vcc, exec
.LBB175_78:
	s_or_b64 exec, exec, s[10:11]
	s_mov_b32 s12, 1
	s_branch .LBB175_87
.LBB175_79:
	s_mul_hi_u32 s5, s40, 0xfffff100
	s_mul_i32 s4, s41, 0xfffff100
	s_sub_i32 s5, s5, s40
	s_add_i32 s5, s5, s4
	s_mul_i32 s4, s40, 0xfffff100
	s_add_u32 s10, s4, s56
	s_addc_u32 s11, s5, s57
	s_and_b64 vcc, exec, s[8:9]
	s_cbranch_vccz .LBB175_84
; %bb.80:
	v_add_co_u32_e32 v2, vcc, -4, v10
	v_addc_co_u32_e32 v3, vcc, -1, v11, vcc
	flat_load_dword v6, v[2:3]
	v_mad_u32_u24 v4, v0, 15, 14
	v_mov_b32_e32 v5, 0
	v_cmp_gt_u64_e32 vcc, s[10:11], v[4:5]
	v_cmp_neq_f32_e64 s[4:5], v13, v1
	v_mad_u32_u24 v4, v0, 15, 13
	s_and_b64 s[6:7], vcc, s[4:5]
	v_cmp_gt_u64_e32 vcc, s[10:11], v[4:5]
	v_cmp_neq_f32_e64 s[4:5], v12, v13
	v_mad_u32_u24 v4, v0, 15, 12
	s_and_b64 s[8:9], vcc, s[4:5]
	;; [unrolled: 4-line block ×13, first 2 shown]
	v_cmp_gt_u64_e32 vcc, s[10:11], v[4:5]
	v_cmp_neq_f32_e64 s[4:5], v24, v25
	v_lshlrev_b32_e32 v3, 2, v0
	v_mul_u32_u24_e32 v2, 15, v0
	s_and_b64 s[4:5], vcc, s[4:5]
	ds_write_b32 v3, v1
	s_waitcnt lgkmcnt(0)
	s_barrier
	s_and_saveexec_b64 s[40:41], s[2:3]
	s_cbranch_execz .LBB175_82
; %bb.81:
	v_add_u32_e32 v3, -4, v3
	s_waitcnt vmcnt(0)
	ds_read_b32 v6, v3
.LBB175_82:
	s_or_b64 exec, exec, s[40:41]
	v_mov_b32_e32 v3, v5
	v_cndmask_b32_e64 v59, 0, 1, s[4:5]
	v_cmp_gt_u64_e32 vcc, s[10:11], v[2:3]
	s_waitcnt vmcnt(0) lgkmcnt(0)
	v_cmp_neq_f32_e64 s[4:5], v6, v24
	v_cndmask_b32_e64 v46, 0, 1, s[6:7]
	v_cndmask_b32_e64 v47, 0, 1, s[8:9]
	;; [unrolled: 1-line block ×13, first 2 shown]
	s_and_b64 s[4:5], vcc, s[4:5]
	s_mov_b64 s[6:7], -1
.LBB175_83:
                                        ; implicit-def: $sgpr12
	v_mov_b32_e32 v60, s12
	s_and_saveexec_b64 s[2:3], s[6:7]
	s_cbranch_execnz .LBB175_88
	s_branch .LBB175_89
.LBB175_84:
                                        ; implicit-def: $sgpr4_sgpr5
                                        ; implicit-def: $vgpr46
                                        ; implicit-def: $vgpr47
                                        ; implicit-def: $vgpr48
                                        ; implicit-def: $vgpr49
                                        ; implicit-def: $vgpr50
                                        ; implicit-def: $vgpr51
                                        ; implicit-def: $vgpr52
                                        ; implicit-def: $vgpr53
                                        ; implicit-def: $vgpr54
                                        ; implicit-def: $vgpr55
                                        ; implicit-def: $vgpr56
                                        ; implicit-def: $vgpr57
                                        ; implicit-def: $vgpr58
                                        ; implicit-def: $vgpr59
	s_cbranch_execz .LBB175_83
; %bb.85:
	v_mad_u32_u24 v2, v0, 15, 14
	v_mov_b32_e32 v3, 0
	v_cmp_gt_u64_e32 vcc, s[10:11], v[2:3]
	v_cmp_neq_f32_e64 s[4:5], v13, v1
	s_and_b64 s[4:5], vcc, s[4:5]
	v_mad_u32_u24 v2, v0, 15, 13
	v_cndmask_b32_e64 v46, 0, 1, s[4:5]
	v_cmp_gt_u64_e32 vcc, s[10:11], v[2:3]
	v_cmp_neq_f32_e64 s[4:5], v12, v13
	s_and_b64 s[4:5], vcc, s[4:5]
	v_mad_u32_u24 v2, v0, 15, 12
	v_cndmask_b32_e64 v47, 0, 1, s[4:5]
	;; [unrolled: 5-line block ×13, first 2 shown]
	v_cmp_gt_u64_e32 vcc, s[10:11], v[2:3]
	v_cmp_neq_f32_e64 s[4:5], v24, v25
	s_and_b64 s[4:5], vcc, s[4:5]
	v_lshlrev_b32_e32 v4, 2, v0
	s_mov_b32 s12, 1
	v_cndmask_b32_e64 v59, 0, 1, s[4:5]
	ds_write_b32 v4, v1
	s_waitcnt lgkmcnt(0)
	s_barrier
	s_waitcnt lgkmcnt(0)
                                        ; implicit-def: $sgpr4_sgpr5
	s_and_saveexec_b64 s[8:9], s[2:3]
	s_cbranch_execz .LBB175_196
; %bb.86:
	v_add_u32_e32 v2, -4, v4
	ds_read_b32 v4, v2
	v_mul_u32_u24_e32 v2, 15, v0
	v_cmp_gt_u64_e32 vcc, s[10:11], v[2:3]
	s_or_b64 s[6:7], s[6:7], exec
	s_waitcnt lgkmcnt(0)
	v_cmp_neq_f32_e64 s[2:3], v4, v24
	s_and_b64 s[2:3], vcc, s[2:3]
	s_and_b64 s[4:5], s[2:3], exec
	s_or_b64 exec, exec, s[8:9]
.LBB175_87:
	v_mov_b32_e32 v60, s12
	s_and_saveexec_b64 s[2:3], s[6:7]
.LBB175_88:
	v_cndmask_b32_e64 v60, 0, 1, s[4:5]
.LBB175_89:
	s_or_b64 exec, exec, s[2:3]
	s_cmp_eq_u64 s[46:47], 0
	v_add3_u32 v2, v59, v60, v58
	s_cselect_b64 s[34:35], -1, 0
	s_cmp_lg_u32 s62, 0
	v_add_f32_e32 v76, v38, v39
	v_cmp_eq_u32_e64 s[26:27], 0, v59
	v_cmp_eq_u32_e64 s[24:25], 0, v58
	;; [unrolled: 1-line block ×3, first 2 shown]
	v_add3_u32 v75, v2, v57, v56
	v_cmp_eq_u32_e64 s[22:23], 0, v56
	v_cmp_eq_u32_e64 s[18:19], 0, v55
	;; [unrolled: 1-line block ×10, first 2 shown]
	v_cmp_eq_u32_e32 vcc, 0, v46
	v_mbcnt_lo_u32_b32 v74, -1, 0
	v_lshrrev_b32_e32 v72, 6, v0
	v_or_b32_e32 v73, 63, v0
	s_cbranch_scc0 .LBB175_120
; %bb.90:
	v_cndmask_b32_e64 v2, v39, v76, s[26:27]
	v_add_f32_e32 v2, v36, v2
	v_cndmask_b32_e64 v2, v36, v2, s[24:25]
	v_add_f32_e32 v2, v37, v2
	;; [unrolled: 2-line block ×11, first 2 shown]
	v_cndmask_b32_e64 v2, v26, v2, s[4:5]
	v_add3_u32 v3, v75, v55, v54
	v_add_f32_e32 v2, v27, v2
	v_add3_u32 v3, v3, v53, v52
	v_cndmask_b32_e64 v2, v27, v2, s[2:3]
	v_add3_u32 v3, v3, v51, v50
	v_add_f32_e32 v2, v69, v2
	v_add3_u32 v3, v3, v49, v48
	v_cndmask_b32_e32 v2, v69, v2, vcc
	v_add3_u32 v3, v3, v47, v46
	v_mbcnt_hi_u32_b32 v43, -1, v74
	v_mov_b32_dpp v6, v2 row_shr:1 row_mask:0xf bank_mask:0xf
	v_and_b32_e32 v4, 15, v43
	v_add_f32_e32 v6, v2, v6
	v_cmp_eq_u32_e32 vcc, 0, v3
	v_mov_b32_dpp v5, v3 row_shr:1 row_mask:0xf bank_mask:0xf
	v_cndmask_b32_e32 v6, v2, v6, vcc
	v_cmp_eq_u32_e32 vcc, 0, v4
	v_cndmask_b32_e64 v5, v5, 0, vcc
	v_cndmask_b32_e32 v2, v6, v2, vcc
	v_add_u32_e32 v3, v5, v3
	v_cmp_eq_u32_e32 vcc, 0, v3
	v_mov_b32_dpp v6, v2 row_shr:2 row_mask:0xf bank_mask:0xf
	v_add_f32_e32 v6, v2, v6
	v_mov_b32_dpp v5, v3 row_shr:2 row_mask:0xf bank_mask:0xf
	v_cndmask_b32_e32 v6, v2, v6, vcc
	v_cmp_lt_u32_e32 vcc, 1, v4
	v_cndmask_b32_e32 v2, v2, v6, vcc
	v_cndmask_b32_e32 v5, 0, v5, vcc
	v_add_u32_e32 v3, v3, v5
	v_mov_b32_dpp v6, v2 row_shr:4 row_mask:0xf bank_mask:0xf
	v_add_f32_e32 v6, v2, v6
	v_cmp_eq_u32_e32 vcc, 0, v3
	v_mov_b32_dpp v5, v3 row_shr:4 row_mask:0xf bank_mask:0xf
	v_cndmask_b32_e32 v6, v2, v6, vcc
	v_cmp_lt_u32_e32 vcc, 3, v4
	v_cndmask_b32_e32 v2, v2, v6, vcc
	v_cndmask_b32_e32 v5, 0, v5, vcc
	v_add_u32_e32 v3, v5, v3
	v_mov_b32_dpp v6, v2 row_shr:8 row_mask:0xf bank_mask:0xf
	v_add_f32_e32 v6, v2, v6
	v_cmp_eq_u32_e32 vcc, 0, v3
	v_mov_b32_dpp v5, v3 row_shr:8 row_mask:0xf bank_mask:0xf
	v_cndmask_b32_e32 v6, v2, v6, vcc
	v_cmp_lt_u32_e32 vcc, 7, v4
	v_cndmask_b32_e32 v2, v2, v6, vcc
	v_cndmask_b32_e32 v4, 0, v5, vcc
	v_add_u32_e32 v3, v4, v3
	v_mov_b32_dpp v5, v2 row_bcast:15 row_mask:0xf bank_mask:0xf
	v_bfe_i32 v6, v43, 4, 1
	v_mov_b32_dpp v4, v3 row_bcast:15 row_mask:0xf bank_mask:0xf
	v_and_b32_e32 v7, 16, v43
	v_add_f32_e32 v5, v2, v5
	v_cmp_eq_u32_e32 vcc, 0, v3
	v_cndmask_b32_e32 v5, v2, v5, vcc
	v_and_b32_e32 v4, v6, v4
	v_cmp_eq_u32_e32 vcc, 0, v7
	v_add_u32_e32 v4, v4, v3
	v_cndmask_b32_e32 v3, v5, v2, vcc
	v_cmp_eq_u32_e32 vcc, 0, v4
	v_mov_b32_dpp v2, v4 row_bcast:31 row_mask:0xf bank_mask:0xf
	v_mov_b32_dpp v5, v3 row_bcast:31 row_mask:0xf bank_mask:0xf
	v_add_f32_e32 v5, v3, v5
	v_cndmask_b32_e32 v6, v3, v5, vcc
	v_cmp_lt_u32_e32 vcc, 31, v43
	v_cndmask_b32_e32 v2, 0, v2, vcc
	v_add_u32_e32 v2, v2, v4
	v_cmp_eq_u32_e64 s[28:29], v73, v0
	v_lshlrev_b32_e32 v5, 3, v72
	v_cndmask_b32_e32 v4, v3, v6, vcc
	s_and_saveexec_b64 s[30:31], s[28:29]
	s_cbranch_execz .LBB175_92
; %bb.91:
	v_cndmask_b32_e32 v3, v3, v6, vcc
	ds_write_b64 v5, v[2:3] offset:2064
.LBB175_92:
	s_or_b64 exec, exec, s[30:31]
	v_cmp_gt_u32_e32 vcc, 4, v0
	s_waitcnt lgkmcnt(0)
	s_barrier
	s_and_saveexec_b64 s[30:31], vcc
	s_cbranch_execz .LBB175_94
; %bb.93:
	v_lshlrev_b32_e32 v3, 3, v0
	ds_read_b64 v[6:7], v3 offset:2064
	v_and_b32_e32 v8, 3, v43
	v_cmp_lt_u32_e64 s[28:29], 1, v8
	s_waitcnt lgkmcnt(0)
	v_mov_b32_dpp v10, v7 row_shr:1 row_mask:0xf bank_mask:0xf
	v_add_f32_e32 v10, v7, v10
	v_cmp_eq_u32_e32 vcc, 0, v6
	v_mov_b32_dpp v9, v6 row_shr:1 row_mask:0xf bank_mask:0xf
	v_cndmask_b32_e32 v10, v7, v10, vcc
	v_cmp_eq_u32_e32 vcc, 0, v8
	v_cndmask_b32_e64 v9, v9, 0, vcc
	v_add_u32_e32 v6, v9, v6
	v_cndmask_b32_e32 v7, v10, v7, vcc
	v_cmp_eq_u32_e32 vcc, 0, v6
	v_mov_b32_dpp v9, v6 row_shr:2 row_mask:0xf bank_mask:0xf
	v_mov_b32_dpp v10, v7 row_shr:2 row_mask:0xf bank_mask:0xf
	v_add_f32_e32 v10, v7, v10
	v_cndmask_b32_e64 v8, 0, v9, s[28:29]
	s_and_b64 vcc, s[28:29], vcc
	v_add_u32_e32 v6, v8, v6
	v_cndmask_b32_e32 v7, v7, v10, vcc
	ds_write_b64 v3, v[6:7] offset:2064
.LBB175_94:
	s_or_b64 exec, exec, s[30:31]
	v_cmp_gt_u32_e32 vcc, 64, v0
	v_cmp_lt_u32_e64 s[28:29], 63, v0
	v_mov_b32_e32 v40, 0
	v_mov_b32_e32 v41, 0
	s_waitcnt lgkmcnt(0)
	s_barrier
	s_and_saveexec_b64 s[30:31], s[28:29]
	s_cbranch_execz .LBB175_96
; %bb.95:
	ds_read_b64 v[40:41], v5 offset:2056
	v_cmp_eq_u32_e64 s[28:29], 0, v2
	s_waitcnt lgkmcnt(0)
	v_add_u32_e32 v3, v40, v2
	v_add_f32_e32 v5, v4, v41
	v_cndmask_b32_e64 v4, v4, v5, s[28:29]
	v_mov_b32_e32 v2, v3
.LBB175_96:
	s_or_b64 exec, exec, s[30:31]
	v_add_u32_e32 v3, -1, v43
	v_and_b32_e32 v5, 64, v43
	v_cmp_lt_i32_e64 s[28:29], v3, v5
	v_cndmask_b32_e64 v3, v3, v43, s[28:29]
	v_lshlrev_b32_e32 v3, 2, v3
	ds_bpermute_b32 v61, v3, v2
	ds_bpermute_b32 v62, v3, v4
	v_cmp_eq_u32_e64 s[28:29], 0, v43
	s_and_saveexec_b64 s[40:41], vcc
	s_cbranch_execz .LBB175_119
; %bb.97:
	v_mov_b32_e32 v11, 0
	ds_read_b64 v[2:3], v11 offset:2088
	s_waitcnt lgkmcnt(0)
	v_readfirstlane_b32 s48, v3
	s_and_saveexec_b64 s[30:31], s[28:29]
	s_cbranch_execz .LBB175_99
; %bb.98:
	s_add_i32 s46, s62, 64
	s_mov_b32 s47, 0
	s_lshl_b64 s[50:51], s[46:47], 4
	s_add_u32 s50, s44, s50
	s_addc_u32 s51, s45, s51
	s_and_b32 s57, s48, 0xff000000
	s_mov_b32 s56, s47
	s_and_b32 s65, s48, 0xff0000
	s_mov_b32 s64, s47
	s_or_b64 s[56:57], s[64:65], s[56:57]
	s_and_b32 s65, s48, 0xff00
	s_or_b64 s[56:57], s[56:57], s[64:65]
	s_and_b32 s65, s48, 0xff
	s_or_b64 s[46:47], s[56:57], s[64:65]
	v_mov_b32_e32 v9, s47
	v_mov_b32_e32 v10, 1
	v_mov_b32_e32 v8, v2
	v_pk_mov_b32 v[4:5], s[50:51], s[50:51] op_sel:[0,1]
	;;#ASMSTART
	global_store_dwordx4 v[4:5], v[8:11] off	
s_waitcnt vmcnt(0)
	;;#ASMEND
.LBB175_99:
	s_or_b64 exec, exec, s[30:31]
	v_xad_u32 v42, v43, -1, s62
	v_add_u32_e32 v10, 64, v42
	v_lshlrev_b64 v[4:5], 4, v[10:11]
	v_mov_b32_e32 v6, s45
	v_add_co_u32_e32 v4, vcc, s44, v4
	s_mov_b32 s30, 0x70605
	v_addc_co_u32_e32 v5, vcc, v6, v5, vcc
	;;#ASMSTART
	global_load_dwordx4 v[6:9], v[4:5] off glc	
s_waitcnt vmcnt(0)
	;;#ASMEND
	v_perm_b32 v45, v7, v8, s30
	s_mov_b32 s30, 0x1000706
	v_perm_b32 v63, v7, v8, s30
	s_mov_b32 s30, 0x2010007
	v_perm_b32 v64, v7, v8, s30
	v_lshlrev_b32_e32 v45, 8, v45
	s_mov_b32 s30, 0xc0c0500
	v_alignbit_b32 v9, v7, v6, 8
	v_alignbit_b32 v44, v7, v6, 16
	;; [unrolled: 1-line block ×3, first 2 shown]
	v_perm_b32 v7, v45, v7, s30
	v_lshlrev_b32_e32 v45, 16, v63
	v_and_b32_e32 v45, 0xff0000, v45
	v_lshlrev_b32_e32 v63, 24, v64
	v_or3_b32 v7, v7, v45, v63
	v_cmp_eq_u16_sdwa s[46:47], v8, v11 src0_sel:BYTE_0 src1_sel:DWORD
	s_and_saveexec_b64 s[30:31], s[46:47]
	s_cbranch_execz .LBB175_105
; %bb.100:
	s_mov_b32 s49, 1
	s_mov_b64 s[46:47], 0
	v_mov_b32_e32 v10, 0
.LBB175_101:                            ; =>This Loop Header: Depth=1
                                        ;     Child Loop BB175_102 Depth 2
	s_max_u32 s50, s49, 1
.LBB175_102:                            ;   Parent Loop BB175_101 Depth=1
                                        ; =>  This Inner Loop Header: Depth=2
	s_add_i32 s50, s50, -1
	s_cmp_eq_u32 s50, 0
	s_sleep 1
	s_cbranch_scc0 .LBB175_102
; %bb.103:                              ;   in Loop: Header=BB175_101 Depth=1
	s_cmp_lt_u32 s49, 32
	s_cselect_b64 s[50:51], -1, 0
	s_cmp_lg_u64 s[50:51], 0
	s_addc_u32 s49, s49, 0
	;;#ASMSTART
	global_load_dwordx4 v[6:9], v[4:5] off glc	
s_waitcnt vmcnt(0)
	;;#ASMEND
	v_cmp_ne_u16_sdwa s[50:51], v8, v10 src0_sel:BYTE_0 src1_sel:DWORD
	s_or_b64 s[46:47], s[50:51], s[46:47]
	s_andn2_b64 exec, exec, s[46:47]
	s_cbranch_execnz .LBB175_101
; %bb.104:
	s_or_b64 exec, exec, s[46:47]
	s_mov_b32 s46, 0x70605
	v_perm_b32 v4, v7, v8, s46
	s_mov_b32 s46, 0x1000706
	v_perm_b32 v5, v7, v8, s46
	;; [unrolled: 2-line block ×3, first 2 shown]
	v_lshlrev_b32_e32 v4, 8, v4
	s_mov_b32 s46, 0xc0c0500
	v_lshlrev_b32_e32 v5, 16, v5
	v_alignbit_b32 v9, v7, v6, 8
	v_alignbit_b32 v44, v7, v6, 16
	;; [unrolled: 1-line block ×3, first 2 shown]
	v_perm_b32 v4, v4, v7, s46
	v_lshlrev_b32_e32 v7, 24, v11
	v_and_b32_e32 v5, 0xff0000, v5
	v_or3_b32 v7, v4, v5, v7
.LBB175_105:
	s_or_b64 exec, exec, s[30:31]
	v_and_b32_e32 v64, 63, v43
	v_cmp_ne_u32_e32 vcc, 63, v64
	v_lshlrev_b32_e32 v5, 8, v9
	v_addc_co_u32_e32 v9, vcc, 0, v43, vcc
	v_lshlrev_b32_e32 v4, 16, v44
	s_mov_b32 s49, 0x4020c0c
	v_mov_b32_e32 v63, 2
	v_lshlrev_b32_e32 v65, 2, v9
	v_perm_b32 v4, v10, v4, s49
	v_and_b32_e32 v5, 0xff00, v5
	v_and_b32_e32 v6, 0xff, v6
	v_cmp_eq_u16_sdwa s[30:31], v8, v63 src0_sel:BYTE_0 src1_sel:DWORD
	v_lshlrev_b64 v[10:11], v43, -1
	ds_bpermute_b32 v9, v65, v7
	v_or3_b32 v4, v4, v5, v6
	v_and_b32_e32 v5, s31, v11
	v_or_b32_e32 v5, 0x80000000, v5
	v_and_b32_e32 v6, s30, v10
	v_ffbl_b32_e32 v5, v5
	v_add_u32_e32 v5, 32, v5
	v_ffbl_b32_e32 v6, v6
	v_min_u32_e32 v5, v6, v5
	s_waitcnt lgkmcnt(0)
	v_add_f32_e32 v9, v7, v9
	v_cmp_eq_u32_e32 vcc, 0, v4
	v_cndmask_b32_e32 v9, v7, v9, vcc
	v_cmp_lt_u32_e32 vcc, v64, v5
	v_cmp_gt_u32_e64 s[30:31], 62, v64
	v_cndmask_b32_e32 v7, v7, v9, vcc
	v_cndmask_b32_e64 v9, 0, 1, s[30:31]
	ds_bpermute_b32 v6, v65, v4
	v_lshlrev_b32_e32 v9, 1, v9
	v_add_lshl_u32 v66, v9, v43, 2
	ds_bpermute_b32 v9, v66, v7
	v_add_u32_e32 v67, 2, v64
	s_waitcnt lgkmcnt(1)
	v_cndmask_b32_e32 v6, 0, v6, vcc
	v_add_u32_e32 v4, v6, v4
	v_cmp_eq_u32_e32 vcc, 0, v4
	s_waitcnt lgkmcnt(0)
	v_add_f32_e32 v9, v7, v9
	v_cndmask_b32_e32 v9, v7, v9, vcc
	v_cmp_gt_u32_e32 vcc, v67, v5
	v_cmp_gt_u32_e64 s[30:31], 60, v64
	v_cndmask_b32_e32 v7, v9, v7, vcc
	v_cndmask_b32_e64 v9, 0, 1, s[30:31]
	ds_bpermute_b32 v6, v66, v4
	v_lshlrev_b32_e32 v9, 2, v9
	v_add_lshl_u32 v68, v9, v43, 2
	ds_bpermute_b32 v9, v68, v7
	v_add_u32_e32 v70, 4, v64
	s_waitcnt lgkmcnt(1)
	v_cndmask_b32_e64 v6, v6, 0, vcc
	v_add_u32_e32 v4, v4, v6
	v_cmp_eq_u32_e32 vcc, 0, v4
	s_waitcnt lgkmcnt(0)
	v_add_f32_e32 v9, v7, v9
	v_cndmask_b32_e32 v9, v7, v9, vcc
	v_cmp_gt_u32_e32 vcc, v70, v5
	v_cmp_gt_u32_e64 s[30:31], 56, v64
	v_cndmask_b32_e32 v7, v9, v7, vcc
	v_cndmask_b32_e64 v9, 0, 1, s[30:31]
	ds_bpermute_b32 v6, v68, v4
	v_lshlrev_b32_e32 v9, 3, v9
	v_add_lshl_u32 v71, v9, v43, 2
	ds_bpermute_b32 v9, v71, v7
	v_add_u32_e32 v77, 8, v64
	s_waitcnt lgkmcnt(1)
	v_cndmask_b32_e64 v6, v6, 0, vcc
	;; [unrolled: 16-line block ×3, first 2 shown]
	v_add_u32_e32 v4, v4, v6
	ds_bpermute_b32 v6, v78, v4
	s_waitcnt lgkmcnt(1)
	v_add_f32_e32 v9, v7, v9
	v_cmp_eq_u32_e32 vcc, 0, v4
	v_cndmask_b32_e32 v9, v7, v9, vcc
	v_cmp_gt_u32_e32 vcc, v79, v5
	v_cmp_gt_u32_e64 s[30:31], 32, v64
	v_cndmask_b32_e32 v7, v9, v7, vcc
	v_cndmask_b32_e64 v9, 0, 1, s[30:31]
	v_lshlrev_b32_e32 v9, 5, v9
	v_add_lshl_u32 v80, v9, v43, 2
	ds_bpermute_b32 v9, v80, v7
	s_waitcnt lgkmcnt(1)
	v_cndmask_b32_e64 v6, v6, 0, vcc
	v_add_u32_e32 v4, v4, v6
	ds_bpermute_b32 v6, v80, v4
	v_add_u32_e32 v81, 32, v64
	s_waitcnt lgkmcnt(1)
	v_add_f32_e32 v9, v7, v9
	v_cmp_eq_u32_e32 vcc, 0, v4
	v_cndmask_b32_e32 v9, v7, v9, vcc
	v_cmp_gt_u32_e32 vcc, v81, v5
	s_waitcnt lgkmcnt(0)
	v_cndmask_b32_e64 v5, v6, 0, vcc
	v_cndmask_b32_e32 v7, v9, v7, vcc
	v_add_u32_e32 v6, v5, v4
	v_mov_b32_e32 v43, 0
	s_mov_b32 s50, 0x70605
	s_mov_b32 s51, 0x1000706
	;; [unrolled: 1-line block ×4, first 2 shown]
	s_branch .LBB175_107
.LBB175_106:                            ;   in Loop: Header=BB175_107 Depth=1
	s_or_b64 exec, exec, s[30:31]
	v_lshlrev_b32_e32 v44, 16, v82
	v_lshlrev_b32_e32 v9, 8, v9
	v_perm_b32 v44, v83, v44, s49
	v_and_b32_e32 v9, 0xff00, v9
	v_and_b32_e32 v6, 0xff, v6
	v_cmp_eq_u16_sdwa s[30:31], v8, v63 src0_sel:BYTE_0 src1_sel:DWORD
	ds_bpermute_b32 v45, v65, v7
	v_or3_b32 v6, v44, v9, v6
	v_and_b32_e32 v9, s31, v11
	v_or_b32_e32 v9, 0x80000000, v9
	v_and_b32_e32 v44, s30, v10
	v_ffbl_b32_e32 v9, v9
	v_add_u32_e32 v9, 32, v9
	v_ffbl_b32_e32 v44, v44
	v_min_u32_e32 v9, v44, v9
	s_waitcnt lgkmcnt(0)
	v_add_f32_e32 v45, v7, v45
	v_cmp_eq_u32_e32 vcc, 0, v6
	ds_bpermute_b32 v44, v65, v6
	v_cndmask_b32_e32 v45, v7, v45, vcc
	v_cmp_lt_u32_e32 vcc, v64, v9
	v_cndmask_b32_e32 v7, v7, v45, vcc
	ds_bpermute_b32 v45, v66, v7
	s_waitcnt lgkmcnt(1)
	v_cndmask_b32_e32 v44, 0, v44, vcc
	v_add_u32_e32 v6, v44, v6
	v_cmp_eq_u32_e32 vcc, 0, v6
	ds_bpermute_b32 v44, v66, v6
	s_waitcnt lgkmcnt(1)
	v_add_f32_e32 v45, v7, v45
	v_cndmask_b32_e32 v45, v7, v45, vcc
	v_cmp_gt_u32_e32 vcc, v67, v9
	v_cndmask_b32_e32 v7, v45, v7, vcc
	ds_bpermute_b32 v45, v68, v7
	s_waitcnt lgkmcnt(1)
	v_cndmask_b32_e64 v44, v44, 0, vcc
	v_add_u32_e32 v6, v6, v44
	v_cmp_eq_u32_e32 vcc, 0, v6
	ds_bpermute_b32 v44, v68, v6
	s_waitcnt lgkmcnt(1)
	v_add_f32_e32 v45, v7, v45
	v_cndmask_b32_e32 v45, v7, v45, vcc
	v_cmp_gt_u32_e32 vcc, v70, v9
	v_cndmask_b32_e32 v7, v45, v7, vcc
	ds_bpermute_b32 v45, v71, v7
	s_waitcnt lgkmcnt(1)
	v_cndmask_b32_e64 v44, v44, 0, vcc
	v_add_u32_e32 v6, v6, v44
	ds_bpermute_b32 v44, v71, v6
	v_cmp_eq_u32_e32 vcc, 0, v6
	s_waitcnt lgkmcnt(1)
	v_add_f32_e32 v45, v7, v45
	v_cndmask_b32_e32 v45, v7, v45, vcc
	v_cmp_gt_u32_e32 vcc, v77, v9
	v_cndmask_b32_e32 v7, v45, v7, vcc
	ds_bpermute_b32 v45, v78, v7
	s_waitcnt lgkmcnt(1)
	v_cndmask_b32_e64 v44, v44, 0, vcc
	v_add_u32_e32 v6, v6, v44
	ds_bpermute_b32 v44, v78, v6
	v_cmp_eq_u32_e32 vcc, 0, v6
	;; [unrolled: 11-line block ×3, first 2 shown]
	s_waitcnt lgkmcnt(1)
	v_add_f32_e32 v45, v7, v45
	v_cndmask_b32_e32 v45, v7, v45, vcc
	v_cmp_gt_u32_e32 vcc, v81, v9
	v_cndmask_b32_e32 v7, v45, v7, vcc
	s_waitcnt lgkmcnt(0)
	v_cndmask_b32_e64 v9, v44, 0, vcc
	v_add_f32_e32 v7, v5, v7
	v_cmp_eq_u32_e32 vcc, 0, v4
	v_subrev_u32_e32 v42, 64, v42
	v_add3_u32 v6, v6, v4, v9
	v_cndmask_b32_e32 v7, v5, v7, vcc
.LBB175_107:                            ; =>This Loop Header: Depth=1
                                        ;     Child Loop BB175_110 Depth 2
                                        ;       Child Loop BB175_111 Depth 3
	v_cmp_ne_u16_sdwa s[30:31], v8, v63 src0_sel:BYTE_0 src1_sel:DWORD
	v_cndmask_b32_e64 v4, 0, 1, s[30:31]
	;;#ASMSTART
	;;#ASMEND
	v_cmp_ne_u32_e32 vcc, 0, v4
	v_mov_b32_e32 v5, v7
	s_cmp_lg_u64 vcc, exec
	v_mov_b32_e32 v4, v6
	s_cbranch_scc1 .LBB175_114
; %bb.108:                              ;   in Loop: Header=BB175_107 Depth=1
	v_lshlrev_b64 v[6:7], 4, v[42:43]
	v_mov_b32_e32 v8, s45
	v_add_co_u32_e32 v44, vcc, s44, v6
	v_addc_co_u32_e32 v45, vcc, v8, v7, vcc
	;;#ASMSTART
	global_load_dwordx4 v[6:9], v[44:45] off glc	
s_waitcnt vmcnt(0)
	;;#ASMEND
	v_perm_b32 v84, v7, v8, s50
	v_perm_b32 v85, v7, v8, s51
	v_lshlrev_b32_e32 v84, 8, v84
	v_alignbit_b32 v9, v7, v6, 8
	v_alignbit_b32 v82, v7, v6, 16
	;; [unrolled: 1-line block ×3, first 2 shown]
	v_perm_b32 v86, v7, v8, s56
	v_perm_b32 v7, v84, v7, s57
	v_lshlrev_b32_e32 v84, 16, v85
	v_and_b32_e32 v84, 0xff0000, v84
	v_lshlrev_b32_e32 v85, 24, v86
	v_or3_b32 v7, v7, v84, v85
	v_cmp_eq_u16_sdwa s[46:47], v8, v43 src0_sel:BYTE_0 src1_sel:DWORD
	s_and_saveexec_b64 s[30:31], s[46:47]
	s_cbranch_execz .LBB175_106
; %bb.109:                              ;   in Loop: Header=BB175_107 Depth=1
	s_mov_b32 s63, 1
	s_mov_b64 s[46:47], 0
.LBB175_110:                            ;   Parent Loop BB175_107 Depth=1
                                        ; =>  This Loop Header: Depth=2
                                        ;       Child Loop BB175_111 Depth 3
	s_max_u32 s64, s63, 1
.LBB175_111:                            ;   Parent Loop BB175_107 Depth=1
                                        ;     Parent Loop BB175_110 Depth=2
                                        ; =>    This Inner Loop Header: Depth=3
	s_add_i32 s64, s64, -1
	s_cmp_eq_u32 s64, 0
	s_sleep 1
	s_cbranch_scc0 .LBB175_111
; %bb.112:                              ;   in Loop: Header=BB175_110 Depth=2
	s_cmp_lt_u32 s63, 32
	s_cselect_b64 s[64:65], -1, 0
	s_cmp_lg_u64 s[64:65], 0
	s_addc_u32 s63, s63, 0
	;;#ASMSTART
	global_load_dwordx4 v[6:9], v[44:45] off glc	
s_waitcnt vmcnt(0)
	;;#ASMEND
	v_cmp_ne_u16_sdwa s[64:65], v8, v43 src0_sel:BYTE_0 src1_sel:DWORD
	s_or_b64 s[46:47], s[64:65], s[46:47]
	s_andn2_b64 exec, exec, s[46:47]
	s_cbranch_execnz .LBB175_110
; %bb.113:                              ;   in Loop: Header=BB175_107 Depth=1
	s_or_b64 exec, exec, s[46:47]
	v_perm_b32 v44, v7, v8, s50
	v_perm_b32 v45, v7, v8, s51
	v_lshlrev_b32_e32 v44, 8, v44
	v_alignbit_b32 v9, v7, v6, 8
	v_alignbit_b32 v82, v7, v6, 16
	;; [unrolled: 1-line block ×3, first 2 shown]
	v_perm_b32 v84, v7, v8, s56
	v_perm_b32 v7, v44, v7, s57
	v_lshlrev_b32_e32 v44, 16, v45
	v_lshlrev_b32_e32 v45, 24, v84
	v_and_b32_e32 v44, 0xff0000, v44
	v_or3_b32 v7, v7, v44, v45
	s_branch .LBB175_106
.LBB175_114:                            ;   in Loop: Header=BB175_107 Depth=1
                                        ; implicit-def: $vgpr7
                                        ; implicit-def: $vgpr6
                                        ; implicit-def: $vgpr8
	s_cbranch_execz .LBB175_107
; %bb.115:
	s_and_saveexec_b64 s[30:31], s[28:29]
	s_cbranch_execz .LBB175_117
; %bb.116:
	s_mov_b32 s47, 0
	v_add_f32_e32 v7, s48, v5
	v_mov_b32_e32 v8, s48
	v_cmp_eq_u32_e32 vcc, 0, v2
	s_add_i32 s46, s62, 64
	v_cndmask_b32_e32 v7, v8, v7, vcc
	s_lshl_b64 s[46:47], s[46:47], 4
	s_add_u32 s46, s44, s46
	v_and_b32_e32 v8, 0xff000000, v7
	v_and_b32_e32 v10, 0xff0000, v7
	s_addc_u32 s47, s45, s47
	v_or_b32_e32 v8, v10, v8
	v_and_b32_e32 v10, 0xff00, v7
	v_and_b32_e32 v7, 0xff, v7
	v_add_u32_e32 v6, v4, v2
	v_mov_b32_e32 v9, 0
	v_or3_b32 v7, v8, v10, v7
	v_mov_b32_e32 v8, 2
	v_pk_mov_b32 v[10:11], s[46:47], s[46:47] op_sel:[0,1]
	;;#ASMSTART
	global_store_dwordx4 v[10:11], v[6:9] off	
s_waitcnt vmcnt(0)
	;;#ASMEND
	ds_write_b128 v9, v[2:5] offset:2048
.LBB175_117:
	s_or_b64 exec, exec, s[30:31]
	s_and_b64 exec, exec, s[0:1]
	s_cbranch_execz .LBB175_119
; %bb.118:
	v_mov_b32_e32 v2, 0
	ds_write_b64 v2, v[4:5] offset:2088
.LBB175_119:
	s_or_b64 exec, exec, s[40:41]
	v_mov_b32_e32 v4, 0
	s_waitcnt lgkmcnt(0)
	s_barrier
	ds_read_b64 v[2:3], v4 offset:2088
	v_cndmask_b32_e64 v5, v62, v41, s[28:29]
	v_cndmask_b32_e64 v6, v61, v40, s[28:29]
	v_cmp_eq_u32_e32 vcc, 0, v6
	s_waitcnt lgkmcnt(0)
	v_add_f32_e32 v7, v5, v3
	v_cndmask_b32_e32 v5, v5, v7, vcc
	v_cndmask_b32_e64 v71, v5, v3, s[0:1]
	v_cndmask_b32_e64 v3, v6, 0, s[0:1]
	v_add_u32_e32 v7, v2, v3
	v_add_f32_e32 v2, v38, v71
	v_cmp_eq_u32_e32 vcc, 0, v60
	v_cndmask_b32_e32 v70, v38, v2, vcc
	v_add_f32_e32 v2, v39, v70
	v_cndmask_b32_e64 v68, v39, v2, s[26:27]
	v_add_f32_e32 v2, v36, v68
	v_cndmask_b32_e64 v67, v36, v2, s[24:25]
	;; [unrolled: 2-line block ×11, first 2 shown]
	s_barrier
	ds_read_b128 v[2:5], v4 offset:2048
	v_add_f32_e32 v6, v26, v42
	v_cndmask_b32_e64 v41, v26, v6, s[4:5]
	v_add_f32_e32 v6, v27, v41
	v_cndmask_b32_e64 v44, v27, v6, s[2:3]
	s_waitcnt lgkmcnt(0)
	v_add_f32_e32 v5, v5, v3
	v_cmp_eq_u32_e32 vcc, 0, v2
	v_cndmask_b32_e32 v40, v3, v5, vcc
	v_mov_b32_e32 v6, v4
	v_mov_b32_e32 v5, v7
	s_branch .LBB175_132
.LBB175_120:
                                        ; implicit-def: $vgpr2
                                        ; implicit-def: $vgpr40
                                        ; implicit-def: $vgpr6
                                        ; implicit-def: $vgpr44
                                        ; implicit-def: $vgpr41
                                        ; implicit-def: $vgpr42
                                        ; implicit-def: $vgpr43
                                        ; implicit-def: $vgpr45
                                        ; implicit-def: $vgpr61
                                        ; implicit-def: $vgpr62
                                        ; implicit-def: $vgpr63
                                        ; implicit-def: $vgpr64
                                        ; implicit-def: $vgpr65
                                        ; implicit-def: $vgpr66
                                        ; implicit-def: $vgpr67
                                        ; implicit-def: $vgpr68
                                        ; implicit-def: $vgpr70
                                        ; implicit-def: $vgpr71
	s_cbranch_execz .LBB175_132
; %bb.121:
	s_and_b64 s[2:3], s[34:35], exec
	s_cselect_b32 s3, 0, s61
	s_cselect_b32 s2, 0, s60
	s_cmp_eq_u64 s[2:3], 0
	v_mov_b32_e32 v6, v38
	s_cbranch_scc1 .LBB175_123
; %bb.122:
	v_mov_b32_e32 v2, 0
	global_load_dword v6, v2, s[2:3]
.LBB175_123:
	v_cmp_eq_u32_e64 s[2:3], 0, v59
	v_cndmask_b32_e64 v2, v39, v76, s[2:3]
	v_add_f32_e32 v2, v36, v2
	v_cmp_eq_u32_e64 s[4:5], 0, v58
	v_cndmask_b32_e64 v2, v36, v2, s[4:5]
	v_add_f32_e32 v2, v37, v2
	;; [unrolled: 3-line block ×11, first 2 shown]
	v_cmp_eq_u32_e64 s[24:25], 0, v48
	v_cndmask_b32_e64 v2, v26, v2, s[24:25]
	v_add3_u32 v3, v75, v55, v54
	v_add_f32_e32 v2, v27, v2
	v_cmp_eq_u32_e32 vcc, 0, v47
	v_add3_u32 v3, v3, v53, v52
	v_cndmask_b32_e32 v2, v27, v2, vcc
	v_add3_u32 v3, v3, v51, v50
	v_add_f32_e32 v2, v69, v2
	v_cmp_eq_u32_e64 s[26:27], 0, v46
	v_add3_u32 v3, v3, v49, v48
	v_cndmask_b32_e64 v2, v69, v2, s[26:27]
	v_add3_u32 v3, v3, v47, v46
	v_mbcnt_hi_u32_b32 v7, -1, v74
	v_mov_b32_dpp v8, v2 row_shr:1 row_mask:0xf bank_mask:0xf
	v_and_b32_e32 v4, 15, v7
	v_add_f32_e32 v8, v2, v8
	v_cmp_eq_u32_e64 s[26:27], 0, v3
	v_mov_b32_dpp v5, v3 row_shr:1 row_mask:0xf bank_mask:0xf
	v_cndmask_b32_e64 v8, v2, v8, s[26:27]
	v_cmp_eq_u32_e64 s[26:27], 0, v4
	v_cndmask_b32_e64 v5, v5, 0, s[26:27]
	v_cndmask_b32_e64 v2, v8, v2, s[26:27]
	v_add_u32_e32 v3, v5, v3
	v_cmp_eq_u32_e64 s[26:27], 0, v3
	v_mov_b32_dpp v8, v2 row_shr:2 row_mask:0xf bank_mask:0xf
	v_add_f32_e32 v8, v2, v8
	v_mov_b32_dpp v5, v3 row_shr:2 row_mask:0xf bank_mask:0xf
	v_cndmask_b32_e64 v8, v2, v8, s[26:27]
	v_cmp_lt_u32_e64 s[26:27], 1, v4
	v_cndmask_b32_e64 v2, v2, v8, s[26:27]
	v_cndmask_b32_e64 v5, 0, v5, s[26:27]
	v_add_u32_e32 v3, v3, v5
	v_mov_b32_dpp v8, v2 row_shr:4 row_mask:0xf bank_mask:0xf
	v_add_f32_e32 v8, v2, v8
	v_cmp_eq_u32_e64 s[26:27], 0, v3
	v_mov_b32_dpp v5, v3 row_shr:4 row_mask:0xf bank_mask:0xf
	v_cndmask_b32_e64 v8, v2, v8, s[26:27]
	v_cmp_lt_u32_e64 s[26:27], 3, v4
	v_cndmask_b32_e64 v2, v2, v8, s[26:27]
	v_cndmask_b32_e64 v5, 0, v5, s[26:27]
	v_add_u32_e32 v3, v5, v3
	v_mov_b32_dpp v8, v2 row_shr:8 row_mask:0xf bank_mask:0xf
	v_add_f32_e32 v8, v2, v8
	v_cmp_eq_u32_e64 s[26:27], 0, v3
	v_mov_b32_dpp v5, v3 row_shr:8 row_mask:0xf bank_mask:0xf
	v_cndmask_b32_e64 v8, v2, v8, s[26:27]
	v_cmp_lt_u32_e64 s[26:27], 7, v4
	v_cndmask_b32_e64 v2, v2, v8, s[26:27]
	v_cndmask_b32_e64 v4, 0, v5, s[26:27]
	v_add_u32_e32 v3, v4, v3
	v_mov_b32_dpp v5, v2 row_bcast:15 row_mask:0xf bank_mask:0xf
	v_bfe_i32 v8, v7, 4, 1
	v_mov_b32_dpp v4, v3 row_bcast:15 row_mask:0xf bank_mask:0xf
	v_and_b32_e32 v9, 16, v7
	v_add_f32_e32 v5, v2, v5
	v_cmp_eq_u32_e64 s[26:27], 0, v3
	v_cndmask_b32_e64 v5, v2, v5, s[26:27]
	v_and_b32_e32 v4, v8, v4
	v_cmp_eq_u32_e64 s[26:27], 0, v9
	v_add_u32_e32 v3, v4, v3
	v_cndmask_b32_e64 v4, v5, v2, s[26:27]
	v_cmp_eq_u32_e64 s[26:27], 0, v3
	v_mov_b32_dpp v2, v3 row_bcast:31 row_mask:0xf bank_mask:0xf
	v_mov_b32_dpp v5, v4 row_bcast:31 row_mask:0xf bank_mask:0xf
	v_add_f32_e32 v5, v4, v5
	v_cndmask_b32_e64 v5, v4, v5, s[26:27]
	v_cmp_lt_u32_e64 s[26:27], 31, v7
	v_cndmask_b32_e64 v2, 0, v2, s[26:27]
	v_add_u32_e32 v2, v2, v3
	v_cmp_eq_u32_e64 s[28:29], v73, v0
	v_cndmask_b32_e64 v3, v4, v5, s[26:27]
	s_and_saveexec_b64 s[26:27], s[28:29]
	s_cbranch_execz .LBB175_125
; %bb.124:
	v_lshlrev_b32_e32 v4, 3, v72
	ds_write_b64 v4, v[2:3] offset:2064
.LBB175_125:
	s_or_b64 exec, exec, s[26:27]
	v_cmp_gt_u32_e64 s[26:27], 4, v0
	s_waitcnt lgkmcnt(0)
	s_barrier
	s_and_saveexec_b64 s[30:31], s[26:27]
	s_cbranch_execz .LBB175_127
; %bb.126:
	v_lshlrev_b32_e32 v8, 3, v0
	ds_read_b64 v[4:5], v8 offset:2064
	v_and_b32_e32 v9, 3, v7
	v_cmp_lt_u32_e64 s[28:29], 1, v9
	s_waitcnt lgkmcnt(0)
	v_mov_b32_dpp v11, v5 row_shr:1 row_mask:0xf bank_mask:0xf
	v_add_f32_e32 v11, v5, v11
	v_cmp_eq_u32_e64 s[26:27], 0, v4
	v_mov_b32_dpp v10, v4 row_shr:1 row_mask:0xf bank_mask:0xf
	v_cndmask_b32_e64 v11, v5, v11, s[26:27]
	v_cmp_eq_u32_e64 s[26:27], 0, v9
	v_cndmask_b32_e64 v10, v10, 0, s[26:27]
	v_add_u32_e32 v4, v10, v4
	v_cndmask_b32_e64 v5, v11, v5, s[26:27]
	v_cmp_eq_u32_e64 s[26:27], 0, v4
	v_mov_b32_dpp v10, v4 row_shr:2 row_mask:0xf bank_mask:0xf
	v_mov_b32_dpp v11, v5 row_shr:2 row_mask:0xf bank_mask:0xf
	v_add_f32_e32 v11, v5, v11
	v_cndmask_b32_e64 v9, 0, v10, s[28:29]
	s_and_b64 s[26:27], s[28:29], s[26:27]
	v_add_u32_e32 v4, v9, v4
	v_cndmask_b32_e64 v5, v5, v11, s[26:27]
	ds_write_b64 v8, v[4:5] offset:2064
.LBB175_127:
	s_or_b64 exec, exec, s[30:31]
	v_cmp_lt_u32_e64 s[26:27], 63, v0
	v_mov_b32_e32 v8, 0
	v_mov_b32_e32 v4, 0
	s_waitcnt vmcnt(0)
	v_mov_b32_e32 v9, v6
	s_waitcnt lgkmcnt(0)
	s_barrier
	s_and_saveexec_b64 s[28:29], s[26:27]
	s_cbranch_execz .LBB175_129
; %bb.128:
	v_lshlrev_b32_e32 v4, 3, v72
	ds_read_b64 v[4:5], v4 offset:2056
	s_waitcnt lgkmcnt(0)
	v_add_f32_e32 v9, v6, v5
	v_cmp_eq_u32_e64 s[26:27], 0, v4
	v_cndmask_b32_e64 v9, v5, v9, s[26:27]
.LBB175_129:
	s_or_b64 exec, exec, s[28:29]
	v_add_f32_e32 v10, v3, v9
	v_cmp_eq_u32_e64 s[26:27], 0, v2
	v_add_u32_e32 v5, v4, v2
	v_cndmask_b32_e64 v2, v3, v10, s[26:27]
	v_add_u32_e32 v3, -1, v7
	v_and_b32_e32 v10, 64, v7
	v_cmp_lt_i32_e64 s[26:27], v3, v10
	v_cndmask_b32_e64 v3, v3, v7, s[26:27]
	v_lshlrev_b32_e32 v3, 2, v3
	ds_bpermute_b32 v2, v3, v2
	ds_bpermute_b32 v5, v3, v5
	v_cmp_eq_u32_e64 s[26:27], 0, v7
	s_waitcnt lgkmcnt(1)
	v_cndmask_b32_e64 v71, v2, v9, s[26:27]
	v_cndmask_b32_e64 v2, v71, v6, s[0:1]
	s_waitcnt lgkmcnt(0)
	v_cndmask_b32_e64 v5, v5, v4, s[26:27]
	v_add_f32_e32 v2, v38, v2
	v_cmp_eq_u32_e64 s[26:27], 0, v60
	v_cndmask_b32_e64 v70, v38, v2, s[26:27]
	v_add_f32_e32 v2, v39, v70
	v_cndmask_b32_e64 v68, v39, v2, s[2:3]
	v_add_f32_e32 v2, v36, v68
	;; [unrolled: 2-line block ×10, first 2 shown]
	v_cndmask_b32_e64 v43, v28, v2, s[22:23]
	ds_read_b64 v[2:3], v8 offset:2088
	v_add_f32_e32 v4, v29, v43
	v_cndmask_b32_e64 v42, v29, v4, s[20:21]
	v_add_f32_e32 v4, v26, v42
	v_cndmask_b32_e64 v41, v26, v4, s[24:25]
	s_waitcnt lgkmcnt(0)
	v_add_f32_e32 v4, v6, v3
	v_cmp_eq_u32_e64 s[2:3], 0, v2
	v_add_f32_e32 v7, v27, v41
	v_cndmask_b32_e64 v40, v3, v4, s[2:3]
	s_and_saveexec_b64 s[2:3], s[0:1]
	s_cbranch_execz .LBB175_131
; %bb.130:
	s_add_u32 s4, s44, 0x400
	v_and_b32_e32 v3, 0xff000000, v40
	v_and_b32_e32 v4, 0xff0000, v40
	s_addc_u32 s5, s45, 0
	v_or_b32_e32 v3, v4, v3
	v_and_b32_e32 v4, 0xff00, v40
	v_and_b32_e32 v8, 0xff, v40
	v_mov_b32_e32 v5, 0
	v_or3_b32 v3, v3, v4, v8
	v_mov_b32_e32 v4, 2
	v_pk_mov_b32 v[8:9], s[4:5], s[4:5] op_sel:[0,1]
	;;#ASMSTART
	global_store_dwordx4 v[8:9], v[2:5] off	
s_waitcnt vmcnt(0)
	;;#ASMEND
	v_mov_b32_e32 v71, v6
.LBB175_131:
	s_or_b64 exec, exec, s[2:3]
	v_cndmask_b32_e32 v44, v27, v7, vcc
	v_mov_b32_e32 v6, 0
.LBB175_132:
	s_and_b64 s[2:3], s[34:35], exec
	s_cselect_b32 s3, 0, s59
	s_cselect_b32 s2, 0, s58
	s_cmp_eq_u64 s[2:3], 0
	v_pk_mov_b32 v[8:9], 0, 0
	s_barrier
	s_cbranch_scc1 .LBB175_134
; %bb.133:
	v_mov_b32_e32 v3, 0
	global_load_dwordx2 v[8:9], v3, s[2:3]
.LBB175_134:
	s_waitcnt vmcnt(0)
	v_lshlrev_b64 v[10:11], 2, v[8:9]
	v_mov_b32_e32 v7, s43
	v_add_co_u32_e32 v69, vcc, s42, v10
	v_addc_co_u32_e32 v72, vcc, v7, v11, vcc
	v_mov_b32_e32 v7, 0
	v_lshlrev_b64 v[26:27], 2, v[6:7]
	v_add_co_u32_e32 v7, vcc, v69, v26
	v_addc_co_u32_e32 v69, vcc, v72, v27, vcc
	v_cmp_eq_u32_e32 vcc, 0, v60
	v_cndmask_b32_e64 v72, 1, 2, vcc
	v_cmp_eq_u32_e32 vcc, 0, v59
	v_cndmask_b32_e64 v73, 1, 2, vcc
	v_cmp_eq_u32_e32 vcc, 0, v58
	v_and_b32_e32 v72, v73, v72
	v_cndmask_b32_e64 v73, 1, 2, vcc
	v_cmp_eq_u32_e32 vcc, 0, v57
	v_add_u32_e32 v39, v5, v60
	v_and_b32_e32 v72, v72, v73
	v_cndmask_b32_e64 v73, 1, 2, vcc
	v_cmp_eq_u32_e32 vcc, 0, v56
	v_add_u32_e32 v38, v39, v59
	;; [unrolled: 4-line block ×12, first 2 shown]
	v_and_b32_e32 v72, v72, v73
	v_cndmask_b32_e64 v73, 1, 2, vcc
	s_movk_i32 s34, 0x100
	v_add_u32_e32 v4, v28, v48
	v_and_b32_e32 v72, v72, v73
	v_cmp_gt_u32_e32 vcc, s34, v2
	v_add_u32_e32 v3, v4, v47
	v_cmp_ne_u32_e64 s[30:31], 0, v60
	v_cmp_ne_u32_e64 s[28:29], 0, v59
	;; [unrolled: 1-line block ×15, first 2 shown]
	s_mov_b64 s[40:41], -1
	v_cmp_gt_i16_e64 s[34:35], 2, v72
	s_cbranch_vccz .LBB175_141
; %bb.135:
	s_and_saveexec_b64 s[40:41], s[34:35]
	s_cbranch_execz .LBB175_140
; %bb.136:
	v_cmp_ne_u16_e32 vcc, 1, v72
	s_mov_b64 s[42:43], 0
	s_and_saveexec_b64 s[34:35], vcc
	s_xor_b64 s[34:35], exec, s[34:35]
	s_cbranch_execnz .LBB175_197
; %bb.137:
	s_andn2_saveexec_b64 s[34:35], s[34:35]
	s_cbranch_execnz .LBB175_213
.LBB175_138:
	s_or_b64 exec, exec, s[34:35]
	s_and_b64 exec, exec, s[42:43]
	s_cbranch_execz .LBB175_140
.LBB175_139:
	v_sub_u32_e32 v74, v3, v6
	v_mov_b32_e32 v75, 0
	v_lshlrev_b64 v[74:75], 2, v[74:75]
	v_add_co_u32_e32 v74, vcc, v7, v74
	v_addc_co_u32_e32 v75, vcc, v69, v75, vcc
	global_store_dword v[74:75], v1, off
.LBB175_140:
	s_or_b64 exec, exec, s[40:41]
	s_mov_b64 s[40:41], 0
.LBB175_141:
	s_and_b64 vcc, exec, s[40:41]
	s_cbranch_vccz .LBB175_163
; %bb.142:
	v_cmp_gt_i16_e32 vcc, 2, v72
	s_and_saveexec_b64 s[34:35], vcc
	s_cbranch_execz .LBB175_147
; %bb.143:
	v_cmp_ne_u16_e32 vcc, 1, v72
	s_mov_b64 s[42:43], 0
	s_and_saveexec_b64 s[40:41], vcc
	s_xor_b64 s[40:41], exec, s[40:41]
	s_cbranch_execnz .LBB175_214
; %bb.144:
	s_andn2_saveexec_b64 s[2:3], s[40:41]
	s_cbranch_execnz .LBB175_230
.LBB175_145:
	s_or_b64 exec, exec, s[2:3]
	s_and_b64 exec, exec, s[42:43]
	s_cbranch_execz .LBB175_147
.LBB175_146:
	v_sub_u32_e32 v12, v3, v6
	v_lshlrev_b32_e32 v12, 2, v12
	ds_write_b32 v12, v1
.LBB175_147:
	s_or_b64 exec, exec, s[34:35]
	v_cmp_lt_u32_e32 vcc, v0, v2
	s_waitcnt lgkmcnt(0)
	s_barrier
	s_and_saveexec_b64 s[4:5], vcc
	s_cbranch_execz .LBB175_162
; %bb.148:
	v_xad_u32 v1, v0, -1, v2
	s_movk_i32 s2, 0x1700
	v_cmp_gt_u32_e64 s[6:7], s2, v1
	s_movk_i32 s2, 0x16ff
	v_cmp_lt_u32_e32 vcc, s2, v1
	v_mov_b32_e32 v12, v0
	s_and_saveexec_b64 s[8:9], vcc
	s_cbranch_execz .LBB175_159
; %bb.149:
	v_sub_u32_e32 v12, v0, v2
	v_or_b32_e32 v12, 0xff, v12
	v_cmp_ge_u32_e32 vcc, v12, v0
	s_mov_b64 s[2:3], -1
	v_mov_b32_e32 v12, v0
	s_and_saveexec_b64 s[10:11], vcc
	s_cbranch_execz .LBB175_158
; %bb.150:
	v_lshrrev_b32_e32 v16, 8, v1
	v_add_u32_e32 v12, -1, v16
	v_or_b32_e32 v1, 0x100, v0
	v_lshrrev_b32_e32 v13, 1, v12
	v_add_u32_e32 v17, 1, v13
	v_cmp_lt_u32_e32 vcc, 13, v12
	v_mov_b32_e32 v20, 0
	v_pk_mov_b32 v[12:13], v[0:1], v[0:1] op_sel:[0,1]
	s_and_saveexec_b64 s[12:13], vcc
	s_cbranch_execz .LBB175_154
; %bb.151:
	v_and_b32_e32 v18, -8, v17
	v_lshlrev_b32_e32 v19, 2, v0
	s_mov_b32 s16, 0
	s_mov_b64 s[14:15], 0
	v_mov_b32_e32 v15, 0
	v_pk_mov_b32 v[12:13], v[0:1], v[0:1] op_sel:[0,1]
.LBB175_152:                            ; =>This Inner Loop Header: Depth=1
	v_mov_b32_e32 v14, v12
	v_add_u32_e32 v18, -8, v18
	v_lshlrev_b64 v[96:97], 2, v[14:15]
	v_mov_b32_e32 v14, v13
	ds_read2st64_b32 v[22:23], v19 offset1:4
	s_add_i32 s16, s16, 16
	v_cmp_eq_u32_e32 vcc, 0, v18
	v_lshlrev_b64 v[100:101], 2, v[14:15]
	v_add_u32_e32 v14, 0x200, v12
	s_or_b64 s[14:15], vcc, s[14:15]
	v_add_co_u32_e32 v100, vcc, v7, v100
	v_add_u32_e32 v20, 0x200, v13
	v_mov_b32_e32 v21, v15
	ds_read2st64_b32 v[24:25], v19 offset0:8 offset1:12
	ds_read2st64_b32 v[74:75], v19 offset0:16 offset1:20
	v_add_co_u32_e64 v96, s[2:3], v7, v96
	v_addc_co_u32_e32 v101, vcc, v69, v101, vcc
	v_lshlrev_b64 v[102:103], 2, v[14:15]
	v_lshlrev_b64 v[98:99], 2, v[20:21]
	v_addc_co_u32_e64 v97, s[2:3], v69, v97, s[2:3]
	v_add_u32_e32 v14, 0x400, v12
	v_add_co_u32_e32 v102, vcc, v7, v102
	v_add_u32_e32 v72, 0x400, v13
	v_mov_b32_e32 v73, v15
	ds_read2st64_b32 v[78:79], v19 offset0:24 offset1:28
	v_add_co_u32_e64 v98, s[2:3], v7, v98
	v_addc_co_u32_e32 v103, vcc, v69, v103, vcc
	v_lshlrev_b64 v[104:105], 2, v[14:15]
	ds_read2st64_b32 v[82:83], v19 offset0:32 offset1:36
	ds_read2st64_b32 v[86:87], v19 offset0:40 offset1:44
	;; [unrolled: 1-line block ×4, first 2 shown]
	v_lshlrev_b64 v[72:73], 2, v[72:73]
	v_addc_co_u32_e64 v99, s[2:3], v69, v99, s[2:3]
	v_add_u32_e32 v14, 0x600, v12
	s_waitcnt lgkmcnt(7)
	global_store_dword v[96:97], v22, off
	global_store_dword v[100:101], v23, off
	s_waitcnt lgkmcnt(6)
	global_store_dword v[102:103], v24, off
	global_store_dword v[98:99], v25, off
	v_add_co_u32_e32 v22, vcc, v7, v104
	v_add_u32_e32 v76, 0x600, v13
	v_mov_b32_e32 v77, v15
	v_add_co_u32_e64 v72, s[2:3], v7, v72
	v_addc_co_u32_e32 v23, vcc, v69, v105, vcc
	v_lshlrev_b64 v[24:25], 2, v[14:15]
	v_lshlrev_b64 v[76:77], 2, v[76:77]
	v_addc_co_u32_e64 v73, s[2:3], v69, v73, s[2:3]
	v_add_u32_e32 v14, 0x800, v12
	s_waitcnt lgkmcnt(5)
	global_store_dword v[22:23], v74, off
	global_store_dword v[72:73], v75, off
	v_add_co_u32_e32 v22, vcc, v7, v24
	v_add_u32_e32 v80, 0x800, v13
	v_mov_b32_e32 v81, v15
	v_add_co_u32_e64 v76, s[2:3], v7, v76
	v_addc_co_u32_e32 v23, vcc, v69, v25, vcc
	v_lshlrev_b64 v[24:25], 2, v[14:15]
	v_lshlrev_b64 v[80:81], 2, v[80:81]
	v_addc_co_u32_e64 v77, s[2:3], v69, v77, s[2:3]
	v_add_u32_e32 v14, 0xa00, v12
	;; [unrolled: 12-line block ×4, first 2 shown]
	s_waitcnt lgkmcnt(2)
	global_store_dword v[22:23], v86, off
	global_store_dword v[84:85], v87, off
	v_add_co_u32_e32 v22, vcc, v7, v24
	v_add_u32_e32 v92, 0xe00, v13
	v_mov_b32_e32 v93, v15
	v_add_co_u32_e64 v88, s[2:3], v7, v88
	v_addc_co_u32_e32 v23, vcc, v69, v25, vcc
	v_lshlrev_b64 v[24:25], 2, v[14:15]
	v_lshlrev_b64 v[92:93], 2, v[92:93]
	v_addc_co_u32_e64 v89, s[2:3], v69, v89, s[2:3]
	s_waitcnt lgkmcnt(1)
	global_store_dword v[22:23], v90, off
	global_store_dword v[88:89], v91, off
	v_add_co_u32_e32 v22, vcc, v7, v24
	v_add_u32_e32 v19, 0x4000, v19
	v_add_u32_e32 v13, 0x1000, v13
	v_mov_b32_e32 v20, s16
	v_add_co_u32_e64 v92, s[2:3], v7, v92
	v_add_u32_e32 v12, 0x1000, v12
	v_addc_co_u32_e32 v23, vcc, v69, v25, vcc
	v_addc_co_u32_e64 v93, s[2:3], v69, v93, s[2:3]
	s_waitcnt lgkmcnt(0)
	global_store_dword v[22:23], v94, off
	global_store_dword v[92:93], v95, off
	s_andn2_b64 exec, exec, s[14:15]
	s_cbranch_execnz .LBB175_152
; %bb.153:
	s_or_b64 exec, exec, s[14:15]
.LBB175_154:
	s_or_b64 exec, exec, s[12:13]
	v_and_b32_e32 v1, 7, v17
	v_cmp_ne_u32_e32 vcc, 0, v1
	s_and_saveexec_b64 s[12:13], vcc
	s_cbranch_execz .LBB175_157
; %bb.155:
	v_lshlrev_b32_e32 v14, 2, v0
	v_lshl_or_b32 v17, v20, 10, v14
	s_mov_b64 s[14:15], 0
	v_mov_b32_e32 v15, 0
.LBB175_156:                            ; =>This Inner Loop Header: Depth=1
	ds_read2st64_b32 v[18:19], v17 offset1:4
	v_mov_b32_e32 v14, v12
	v_add_u32_e32 v1, -1, v1
	v_lshlrev_b64 v[20:21], 2, v[14:15]
	v_mov_b32_e32 v14, v13
	v_cmp_eq_u32_e32 vcc, 0, v1
	v_add_co_u32_e64 v20, s[2:3], v7, v20
	v_lshlrev_b64 v[22:23], 2, v[14:15]
	v_add_u32_e32 v12, 0x200, v12
	v_add_u32_e32 v17, 0x800, v17
	;; [unrolled: 1-line block ×3, first 2 shown]
	v_addc_co_u32_e64 v21, s[2:3], v69, v21, s[2:3]
	s_or_b64 s[14:15], vcc, s[14:15]
	v_add_co_u32_e32 v22, vcc, v7, v22
	v_addc_co_u32_e32 v23, vcc, v69, v23, vcc
	s_waitcnt lgkmcnt(0)
	global_store_dword v[20:21], v18, off
	global_store_dword v[22:23], v19, off
	s_andn2_b64 exec, exec, s[14:15]
	s_cbranch_execnz .LBB175_156
.LBB175_157:
	s_or_b64 exec, exec, s[12:13]
	v_add_u32_e32 v1, 1, v16
	v_and_b32_e32 v13, 0x1fffffe, v1
	v_cmp_ne_u32_e32 vcc, v1, v13
	v_lshl_or_b32 v12, v13, 8, v0
	s_orn2_b64 s[2:3], vcc, exec
.LBB175_158:
	s_or_b64 exec, exec, s[10:11]
	s_andn2_b64 s[6:7], s[6:7], exec
	s_and_b64 s[2:3], s[2:3], exec
	s_or_b64 s[6:7], s[6:7], s[2:3]
.LBB175_159:
	s_or_b64 exec, exec, s[8:9]
	s_and_b64 exec, exec, s[6:7]
	s_cbranch_execz .LBB175_162
; %bb.160:
	v_lshlrev_b32_e32 v1, 2, v12
	s_mov_b64 s[2:3], 0
	v_mov_b32_e32 v13, 0
.LBB175_161:                            ; =>This Inner Loop Header: Depth=1
	v_lshlrev_b64 v[14:15], 2, v[12:13]
	ds_read_b32 v16, v1
	v_add_co_u32_e32 v14, vcc, v7, v14
	v_add_u32_e32 v12, 0x100, v12
	v_addc_co_u32_e32 v15, vcc, v69, v15, vcc
	v_cmp_ge_u32_e32 vcc, v12, v2
	v_add_u32_e32 v1, 0x400, v1
	s_or_b64 s[2:3], vcc, s[2:3]
	s_waitcnt lgkmcnt(0)
	global_store_dword v[14:15], v16, off
	s_andn2_b64 exec, exec, s[2:3]
	s_cbranch_execnz .LBB175_161
.LBB175_162:
	s_or_b64 exec, exec, s[4:5]
.LBB175_163:
	s_cmpk_lg_i32 s33, 0xf00
	s_cselect_b64 s[2:3], -1, 0
	s_and_b64 s[0:1], s[0:1], s[38:39]
	v_cndmask_b32_e64 v12, v60, 0, s[0:1]
	s_mul_hi_u32 s0, s33, 0x88888889
	s_lshr_b32 s0, s0, 3
	v_mad_i32_i24 v13, v0, -15, s33
	v_cmp_eq_u32_e32 vcc, s0, v0
	v_cmp_ne_u32_e64 s[0:1], 0, v13
	v_cndmask_b32_e64 v14, 1, v12, s[0:1]
	v_cmp_ne_u32_e64 s[0:1], 1, v13
	v_cndmask_b32_e64 v15, 1, v59, s[0:1]
	;; [unrolled: 2-line block ×15, first 2 shown]
	s_and_b64 vcc, vcc, s[36:37]
	v_cndmask_b32_e32 v46, v46, v13, vcc
	v_cndmask_b32_e32 v47, v47, v72, vcc
	;; [unrolled: 1-line block ×15, first 2 shown]
	v_mov_b32_e32 v12, s53
	v_add_co_u32_e32 v10, vcc, s52, v10
	v_addc_co_u32_e32 v11, vcc, v12, v11, vcc
	v_cndmask_b32_e64 v1, 0, 1, s[38:39]
	v_add_co_u32_e32 v12, vcc, v10, v26
	v_addc_co_u32_e32 v13, vcc, v11, v27, vcc
	v_lshlrev_b32_e32 v10, 2, v1
	v_add_co_u32_e32 v10, vcc, v10, v12
	v_addc_co_u32_e32 v11, vcc, 0, v13, vcc
	v_add_co_u32_e32 v14, vcc, -4, v10
	v_addc_co_u32_e32 v15, vcc, -1, v11, vcc
	v_cmp_eq_u32_e32 vcc, 0, v51
	v_cndmask_b32_e64 v11, 1, 2, vcc
	v_cmp_eq_u32_e32 vcc, 0, v50
	v_cndmask_b32_e64 v26, 1, 2, vcc
	v_cmp_eq_u32_e32 vcc, 0, v17
	v_and_b32_e32 v11, v26, v11
	v_cmp_ne_u32_e64 s[24:25], 0, v17
	v_cndmask_b32_e64 v17, 1, 2, vcc
	v_cmp_eq_u32_e32 vcc, 0, v18
	v_and_b32_e32 v11, v11, v17
	v_cndmask_b32_e64 v17, 1, 2, vcc
	v_cmp_eq_u32_e32 vcc, 0, v19
	v_and_b32_e32 v11, v11, v17
	v_cndmask_b32_e64 v17, 1, 2, vcc
	v_cmp_eq_u32_e32 vcc, 0, v20
	v_and_b32_e32 v11, v11, v17
	v_cndmask_b32_e64 v17, 1, 2, vcc
	v_cmp_eq_u32_e32 vcc, 0, v21
	v_and_b32_e32 v11, v11, v17
	v_cndmask_b32_e64 v17, 1, 2, vcc
	v_cmp_eq_u32_e32 vcc, 0, v22
	v_and_b32_e32 v11, v11, v17
	v_cndmask_b32_e64 v17, 1, 2, vcc
	v_cmp_eq_u32_e32 vcc, 0, v23
	v_and_b32_e32 v11, v11, v17
	v_cndmask_b32_e64 v17, 1, 2, vcc
	v_cmp_eq_u32_e32 vcc, 0, v24
	v_and_b32_e32 v11, v11, v17
	v_cndmask_b32_e64 v17, 1, 2, vcc
	v_cmp_eq_u32_e32 vcc, 0, v25
	v_and_b32_e32 v11, v11, v17
	v_cndmask_b32_e64 v17, 1, 2, vcc
	v_cmp_eq_u32_e32 vcc, 0, v49
	v_and_b32_e32 v11, v11, v17
	v_cndmask_b32_e64 v17, 1, 2, vcc
	v_cmp_eq_u32_e32 vcc, 0, v48
	s_and_b64 s[2:3], s[2:3], s[36:37]
	v_and_b32_e32 v11, v11, v17
	v_cndmask_b32_e64 v17, 1, 2, vcc
	v_cmp_eq_u32_e32 vcc, 0, v47
	v_sub_u32_e32 v7, v2, v1
	v_cndmask_b32_e64 v16, 0, 1, s[2:3]
	v_and_b32_e32 v11, v11, v17
	v_cndmask_b32_e64 v17, 1, 2, vcc
	v_cmp_eq_u32_e32 vcc, 0, v46
	v_add_u32_e32 v7, v7, v16
	v_and_b32_e32 v11, v11, v17
	v_cndmask_b32_e64 v17, 1, 2, vcc
	s_movk_i32 s30, 0x100
	v_and_b32_e32 v11, v11, v17
	v_cmp_gt_u32_e32 vcc, s30, v7
	v_add_u32_e32 v10, v6, v1
	v_cmp_ne_u32_e64 s[28:29], 0, v51
	v_cmp_ne_u32_e64 s[26:27], 0, v50
	;; [unrolled: 1-line block ×14, first 2 shown]
	s_mov_b64 s[34:35], -1
	v_cmp_gt_i16_e64 s[30:31], 2, v11
	s_barrier
	s_cbranch_vccz .LBB175_170
; %bb.164:
	s_and_saveexec_b64 s[34:35], s[30:31]
	s_cbranch_execz .LBB175_169
; %bb.165:
	v_cmp_ne_u16_e32 vcc, 1, v11
	s_mov_b64 s[38:39], 0
	s_and_saveexec_b64 s[30:31], vcc
	s_xor_b64 s[30:31], exec, s[30:31]
	s_cbranch_execnz .LBB175_231
; %bb.166:
	s_andn2_saveexec_b64 s[30:31], s[30:31]
	s_cbranch_execnz .LBB175_247
.LBB175_167:
	s_or_b64 exec, exec, s[30:31]
	s_and_b64 exec, exec, s[38:39]
	s_cbranch_execz .LBB175_169
.LBB175_168:
	v_sub_u32_e32 v18, v3, v10
	v_mov_b32_e32 v19, 0
	v_lshlrev_b64 v[18:19], 2, v[18:19]
	v_add_co_u32_e32 v18, vcc, v14, v18
	v_addc_co_u32_e32 v19, vcc, v15, v19, vcc
	global_store_dword v[18:19], v44, off
.LBB175_169:
	s_or_b64 exec, exec, s[34:35]
	s_mov_b64 s[34:35], 0
.LBB175_170:
	s_and_b64 vcc, exec, s[34:35]
	s_cbranch_vccz .LBB175_192
; %bb.171:
	v_cmp_gt_i16_e32 vcc, 2, v11
	s_and_saveexec_b64 s[30:31], vcc
	s_cbranch_execz .LBB175_176
; %bb.172:
	v_cmp_ne_u16_e32 vcc, 1, v11
	s_mov_b64 s[38:39], 0
	s_and_saveexec_b64 s[34:35], vcc
	s_xor_b64 s[34:35], exec, s[34:35]
	s_cbranch_execnz .LBB175_248
; %bb.173:
	s_andn2_saveexec_b64 s[0:1], s[34:35]
	s_cbranch_execnz .LBB175_264
.LBB175_174:
	s_or_b64 exec, exec, s[0:1]
	s_and_b64 exec, exec, s[38:39]
	s_cbranch_execz .LBB175_176
.LBB175_175:
	v_sub_u32_e32 v3, v3, v10
	v_lshlrev_b32_e32 v3, 2, v3
	ds_write_b32 v3, v44
.LBB175_176:
	s_or_b64 exec, exec, s[30:31]
	v_cmp_lt_u32_e32 vcc, v0, v7
	s_waitcnt lgkmcnt(0)
	s_barrier
	s_and_saveexec_b64 s[2:3], vcc
	s_cbranch_execz .LBB175_191
; %bb.177:
	v_add_u32_e32 v5, v2, v16
	v_xad_u32 v3, v0, -1, v5
	v_sub_u32_e32 v3, v3, v1
	s_movk_i32 s0, 0x1900
	v_cmp_gt_u32_e64 s[4:5], s0, v3
	s_movk_i32 s0, 0x18ff
	v_cmp_lt_u32_e32 vcc, s0, v3
	v_mov_b32_e32 v4, v0
	s_and_saveexec_b64 s[6:7], vcc
	s_cbranch_execz .LBB175_188
; %bb.178:
	v_sub_u32_e32 v4, v0, v5
	v_add_u32_e32 v1, v4, v1
	v_or_b32_e32 v1, 0xff, v1
	v_cmp_ge_u32_e32 vcc, v1, v0
	s_mov_b64 s[0:1], -1
	v_mov_b32_e32 v4, v0
	s_and_saveexec_b64 s[8:9], vcc
	s_cbranch_execz .LBB175_187
; %bb.179:
	v_lshrrev_b32_e32 v3, 8, v3
	v_add_u32_e32 v4, -1, v3
	v_or_b32_e32 v1, 0x100, v0
	v_lshrrev_b32_e32 v5, 1, v4
	v_add_u32_e32 v17, 1, v5
	v_cmp_lt_u32_e32 vcc, 13, v4
	v_mov_b32_e32 v20, 0
	v_lshlrev_b32_e32 v16, 2, v0
	v_pk_mov_b32 v[4:5], v[0:1], v[0:1] op_sel:[0,1]
	s_and_saveexec_b64 s[10:11], vcc
	s_cbranch_execz .LBB175_183
; %bb.180:
	v_and_b32_e32 v18, -8, v17
	s_mov_b32 s14, 0
	s_mov_b64 s[12:13], 0
	v_mov_b32_e32 v11, 0
	v_mov_b32_e32 v19, v16
	v_pk_mov_b32 v[4:5], v[0:1], v[0:1] op_sel:[0,1]
.LBB175_181:                            ; =>This Inner Loop Header: Depth=1
	v_mov_b32_e32 v10, v4
	v_add_u32_e32 v18, -8, v18
	v_lshlrev_b64 v[52:53], 2, v[10:11]
	v_mov_b32_e32 v10, v5
	ds_read2st64_b32 v[22:23], v19 offset1:4
	s_add_i32 s14, s14, 16
	v_cmp_eq_u32_e32 vcc, 0, v18
	v_lshlrev_b64 v[56:57], 2, v[10:11]
	v_add_u32_e32 v10, 0x200, v4
	s_or_b64 s[12:13], vcc, s[12:13]
	v_add_co_u32_e32 v56, vcc, v14, v56
	v_add_u32_e32 v20, 0x200, v5
	v_mov_b32_e32 v21, v11
	ds_read2st64_b32 v[24:25], v19 offset0:8 offset1:12
	ds_read2st64_b32 v[28:29], v19 offset0:16 offset1:20
	v_add_co_u32_e64 v52, s[0:1], v14, v52
	v_addc_co_u32_e32 v57, vcc, v15, v57, vcc
	v_lshlrev_b64 v[58:59], 2, v[10:11]
	v_lshlrev_b64 v[54:55], 2, v[20:21]
	v_addc_co_u32_e64 v53, s[0:1], v15, v53, s[0:1]
	v_add_u32_e32 v10, 0x400, v4
	v_add_co_u32_e32 v58, vcc, v14, v58
	v_add_u32_e32 v26, 0x400, v5
	v_mov_b32_e32 v27, v11
	ds_read2st64_b32 v[32:33], v19 offset0:24 offset1:28
	v_add_co_u32_e64 v54, s[0:1], v14, v54
	v_addc_co_u32_e32 v59, vcc, v15, v59, vcc
	v_lshlrev_b64 v[60:61], 2, v[10:11]
	ds_read2st64_b32 v[36:37], v19 offset0:32 offset1:36
	ds_read2st64_b32 v[42:43], v19 offset0:40 offset1:44
	ds_read2st64_b32 v[46:47], v19 offset0:48 offset1:52
	ds_read2st64_b32 v[50:51], v19 offset0:56 offset1:60
	v_lshlrev_b64 v[26:27], 2, v[26:27]
	v_addc_co_u32_e64 v55, s[0:1], v15, v55, s[0:1]
	v_add_u32_e32 v10, 0x600, v4
	s_waitcnt lgkmcnt(7)
	global_store_dword v[52:53], v22, off
	global_store_dword v[56:57], v23, off
	s_waitcnt lgkmcnt(6)
	global_store_dword v[58:59], v24, off
	global_store_dword v[54:55], v25, off
	v_add_co_u32_e32 v22, vcc, v14, v60
	v_add_u32_e32 v30, 0x600, v5
	v_mov_b32_e32 v31, v11
	v_add_co_u32_e64 v26, s[0:1], v14, v26
	v_addc_co_u32_e32 v23, vcc, v15, v61, vcc
	v_lshlrev_b64 v[24:25], 2, v[10:11]
	v_lshlrev_b64 v[30:31], 2, v[30:31]
	v_addc_co_u32_e64 v27, s[0:1], v15, v27, s[0:1]
	v_add_u32_e32 v10, 0x800, v4
	s_waitcnt lgkmcnt(5)
	global_store_dword v[22:23], v28, off
	global_store_dword v[26:27], v29, off
	v_add_co_u32_e32 v22, vcc, v14, v24
	v_add_u32_e32 v34, 0x800, v5
	v_mov_b32_e32 v35, v11
	v_add_co_u32_e64 v30, s[0:1], v14, v30
	v_addc_co_u32_e32 v23, vcc, v15, v25, vcc
	v_lshlrev_b64 v[24:25], 2, v[10:11]
	v_lshlrev_b64 v[34:35], 2, v[34:35]
	v_addc_co_u32_e64 v31, s[0:1], v15, v31, s[0:1]
	v_add_u32_e32 v10, 0xa00, v4
	s_waitcnt lgkmcnt(4)
	global_store_dword v[22:23], v32, off
	global_store_dword v[30:31], v33, off
	v_add_co_u32_e32 v22, vcc, v14, v24
	v_add_u32_e32 v38, 0xa00, v5
	v_mov_b32_e32 v39, v11
	v_add_co_u32_e64 v34, s[0:1], v14, v34
	v_addc_co_u32_e32 v23, vcc, v15, v25, vcc
	v_lshlrev_b64 v[24:25], 2, v[10:11]
	v_lshlrev_b64 v[38:39], 2, v[38:39]
	v_addc_co_u32_e64 v35, s[0:1], v15, v35, s[0:1]
	v_add_u32_e32 v10, 0xc00, v4
	s_waitcnt lgkmcnt(3)
	global_store_dword v[22:23], v36, off
	global_store_dword v[34:35], v37, off
	v_add_co_u32_e32 v22, vcc, v14, v24
	v_add_u32_e32 v44, 0xc00, v5
	v_mov_b32_e32 v45, v11
	v_add_co_u32_e64 v38, s[0:1], v14, v38
	v_addc_co_u32_e32 v23, vcc, v15, v25, vcc
	v_lshlrev_b64 v[24:25], 2, v[10:11]
	v_lshlrev_b64 v[44:45], 2, v[44:45]
	v_addc_co_u32_e64 v39, s[0:1], v15, v39, s[0:1]
	v_add_u32_e32 v10, 0xe00, v4
	s_waitcnt lgkmcnt(2)
	global_store_dword v[22:23], v42, off
	global_store_dword v[38:39], v43, off
	v_add_co_u32_e32 v22, vcc, v14, v24
	v_add_u32_e32 v48, 0xe00, v5
	v_mov_b32_e32 v49, v11
	v_add_co_u32_e64 v44, s[0:1], v14, v44
	v_addc_co_u32_e32 v23, vcc, v15, v25, vcc
	v_lshlrev_b64 v[24:25], 2, v[10:11]
	v_lshlrev_b64 v[48:49], 2, v[48:49]
	v_addc_co_u32_e64 v45, s[0:1], v15, v45, s[0:1]
	s_waitcnt lgkmcnt(1)
	global_store_dword v[22:23], v46, off
	global_store_dword v[44:45], v47, off
	v_add_co_u32_e32 v22, vcc, v14, v24
	v_add_u32_e32 v19, 0x4000, v19
	v_add_u32_e32 v5, 0x1000, v5
	v_mov_b32_e32 v20, s14
	v_add_co_u32_e64 v48, s[0:1], v14, v48
	v_add_u32_e32 v4, 0x1000, v4
	v_addc_co_u32_e32 v23, vcc, v15, v25, vcc
	v_addc_co_u32_e64 v49, s[0:1], v15, v49, s[0:1]
	s_waitcnt lgkmcnt(0)
	global_store_dword v[22:23], v50, off
	global_store_dword v[48:49], v51, off
	s_andn2_b64 exec, exec, s[12:13]
	s_cbranch_execnz .LBB175_181
; %bb.182:
	s_or_b64 exec, exec, s[12:13]
.LBB175_183:
	s_or_b64 exec, exec, s[10:11]
	v_and_b32_e32 v1, 7, v17
	v_cmp_ne_u32_e32 vcc, 0, v1
	s_and_saveexec_b64 s[10:11], vcc
	s_cbranch_execz .LBB175_186
; %bb.184:
	v_lshl_or_b32 v16, v20, 10, v16
	s_mov_b64 s[12:13], 0
	v_mov_b32_e32 v11, 0
.LBB175_185:                            ; =>This Inner Loop Header: Depth=1
	ds_read2st64_b32 v[18:19], v16 offset1:4
	v_mov_b32_e32 v10, v4
	v_add_u32_e32 v1, -1, v1
	v_lshlrev_b64 v[20:21], 2, v[10:11]
	v_mov_b32_e32 v10, v5
	v_cmp_eq_u32_e32 vcc, 0, v1
	v_add_co_u32_e64 v20, s[0:1], v14, v20
	v_lshlrev_b64 v[22:23], 2, v[10:11]
	v_add_u32_e32 v4, 0x200, v4
	v_add_u32_e32 v16, 0x800, v16
	;; [unrolled: 1-line block ×3, first 2 shown]
	v_addc_co_u32_e64 v21, s[0:1], v15, v21, s[0:1]
	s_or_b64 s[12:13], vcc, s[12:13]
	v_add_co_u32_e32 v22, vcc, v14, v22
	v_addc_co_u32_e32 v23, vcc, v15, v23, vcc
	s_waitcnt lgkmcnt(0)
	global_store_dword v[20:21], v18, off
	global_store_dword v[22:23], v19, off
	s_andn2_b64 exec, exec, s[12:13]
	s_cbranch_execnz .LBB175_185
.LBB175_186:
	s_or_b64 exec, exec, s[10:11]
	v_add_u32_e32 v1, 1, v3
	v_and_b32_e32 v3, 0x1fffffe, v1
	v_cmp_ne_u32_e32 vcc, v1, v3
	v_lshl_or_b32 v4, v3, 8, v0
	s_orn2_b64 s[0:1], vcc, exec
.LBB175_187:
	s_or_b64 exec, exec, s[8:9]
	s_andn2_b64 s[4:5], s[4:5], exec
	s_and_b64 s[0:1], s[0:1], exec
	s_or_b64 s[4:5], s[4:5], s[0:1]
.LBB175_188:
	s_or_b64 exec, exec, s[6:7]
	s_and_b64 exec, exec, s[4:5]
	s_cbranch_execz .LBB175_191
; %bb.189:
	v_lshlrev_b32_e32 v1, 2, v4
	s_mov_b64 s[0:1], 0
	v_mov_b32_e32 v5, 0
.LBB175_190:                            ; =>This Inner Loop Header: Depth=1
	v_lshlrev_b64 v[10:11], 2, v[4:5]
	ds_read_b32 v3, v1
	v_add_co_u32_e32 v10, vcc, v14, v10
	v_add_u32_e32 v4, 0x100, v4
	v_addc_co_u32_e32 v11, vcc, v15, v11, vcc
	v_cmp_ge_u32_e32 vcc, v4, v7
	v_add_u32_e32 v1, 0x400, v1
	s_or_b64 s[0:1], vcc, s[0:1]
	s_waitcnt lgkmcnt(0)
	global_store_dword v[10:11], v3, off
	s_andn2_b64 exec, exec, s[0:1]
	s_cbranch_execnz .LBB175_190
.LBB175_191:
	s_or_b64 exec, exec, s[2:3]
.LBB175_192:
	s_movk_i32 s0, 0xff
	v_cmp_eq_u32_e32 vcc, s0, v0
	s_and_b64 s[0:1], vcc, s[36:37]
	s_and_saveexec_b64 s[2:3], s[0:1]
	s_cbranch_execz .LBB175_195
; %bb.193:
	v_add_co_u32_e32 v0, vcc, v2, v6
	v_addc_co_u32_e64 v1, s[0:1], 0, 0, vcc
	v_add_co_u32_e32 v0, vcc, v0, v8
	v_mov_b32_e32 v3, 0
	v_addc_co_u32_e32 v1, vcc, v1, v9, vcc
	s_cmpk_lg_i32 s33, 0xf00
	global_store_dwordx2 v3, v[0:1], s[54:55]
	s_cbranch_scc1 .LBB175_195
; %bb.194:
	v_lshlrev_b64 v[0:1], 2, v[2:3]
	v_add_co_u32_e32 v0, vcc, v12, v0
	v_addc_co_u32_e32 v1, vcc, v13, v1, vcc
	global_store_dword v[0:1], v40, off offset:-4
.LBB175_195:
	s_endpgm
.LBB175_196:
	s_or_b64 exec, exec, s[8:9]
	v_mov_b32_e32 v60, s12
	s_and_saveexec_b64 s[2:3], s[6:7]
	s_cbranch_execnz .LBB175_88
	s_branch .LBB175_89
.LBB175_197:
	s_and_saveexec_b64 s[42:43], s[30:31]
	s_cbranch_execnz .LBB175_265
; %bb.198:
	s_or_b64 exec, exec, s[42:43]
	s_and_saveexec_b64 s[42:43], s[28:29]
	s_cbranch_execnz .LBB175_266
.LBB175_199:
	s_or_b64 exec, exec, s[42:43]
	s_and_saveexec_b64 s[42:43], s[26:27]
	s_cbranch_execnz .LBB175_267
.LBB175_200:
	s_or_b64 exec, exec, s[42:43]
	s_and_saveexec_b64 s[42:43], s[24:25]
	s_cbranch_execnz .LBB175_268
.LBB175_201:
	s_or_b64 exec, exec, s[42:43]
	s_and_saveexec_b64 s[42:43], s[22:23]
	s_cbranch_execnz .LBB175_269
.LBB175_202:
	s_or_b64 exec, exec, s[42:43]
	s_and_saveexec_b64 s[42:43], s[20:21]
	s_cbranch_execnz .LBB175_270
.LBB175_203:
	s_or_b64 exec, exec, s[42:43]
	s_and_saveexec_b64 s[42:43], s[18:19]
	s_cbranch_execnz .LBB175_271
.LBB175_204:
	s_or_b64 exec, exec, s[42:43]
	s_and_saveexec_b64 s[42:43], s[16:17]
	s_cbranch_execnz .LBB175_272
.LBB175_205:
	s_or_b64 exec, exec, s[42:43]
	s_and_saveexec_b64 s[42:43], s[14:15]
	s_cbranch_execnz .LBB175_273
.LBB175_206:
	s_or_b64 exec, exec, s[42:43]
	s_and_saveexec_b64 s[42:43], s[12:13]
	s_cbranch_execnz .LBB175_274
.LBB175_207:
	s_or_b64 exec, exec, s[42:43]
	s_and_saveexec_b64 s[42:43], s[10:11]
	s_cbranch_execnz .LBB175_275
.LBB175_208:
	s_or_b64 exec, exec, s[42:43]
	s_and_saveexec_b64 s[42:43], s[8:9]
	s_cbranch_execnz .LBB175_276
.LBB175_209:
	s_or_b64 exec, exec, s[42:43]
	s_and_saveexec_b64 s[42:43], s[6:7]
	s_cbranch_execnz .LBB175_277
.LBB175_210:
	s_or_b64 exec, exec, s[42:43]
	s_and_saveexec_b64 s[42:43], s[4:5]
	s_cbranch_execz .LBB175_212
.LBB175_211:
	v_sub_u32_e32 v74, v4, v6
	v_mov_b32_e32 v75, 0
	v_lshlrev_b64 v[74:75], 2, v[74:75]
	v_add_co_u32_e32 v74, vcc, v7, v74
	v_addc_co_u32_e32 v75, vcc, v69, v75, vcc
	global_store_dword v[74:75], v13, off
.LBB175_212:
	s_or_b64 exec, exec, s[42:43]
	s_and_b64 s[42:43], s[2:3], exec
	s_andn2_saveexec_b64 s[34:35], s[34:35]
	s_cbranch_execz .LBB175_138
.LBB175_213:
	v_sub_u32_e32 v74, v5, v6
	v_mov_b32_e32 v75, 0
	v_lshlrev_b64 v[76:77], 2, v[74:75]
	v_add_co_u32_e32 v76, vcc, v7, v76
	v_addc_co_u32_e32 v77, vcc, v69, v77, vcc
	v_sub_u32_e32 v74, v39, v6
	global_store_dword v[76:77], v24, off
	v_lshlrev_b64 v[76:77], 2, v[74:75]
	v_add_co_u32_e32 v76, vcc, v7, v76
	v_addc_co_u32_e32 v77, vcc, v69, v77, vcc
	v_sub_u32_e32 v74, v38, v6
	global_store_dword v[76:77], v25, off
	;; [unrolled: 5-line block ×12, first 2 shown]
	v_lshlrev_b64 v[76:77], 2, v[74:75]
	v_add_co_u32_e32 v76, vcc, v7, v76
	v_sub_u32_e32 v74, v4, v6
	v_addc_co_u32_e32 v77, vcc, v69, v77, vcc
	v_lshlrev_b64 v[74:75], 2, v[74:75]
	v_add_co_u32_e32 v74, vcc, v7, v74
	v_addc_co_u32_e32 v75, vcc, v69, v75, vcc
	s_or_b64 s[42:43], s[42:43], exec
	global_store_dword v[76:77], v12, off
	global_store_dword v[74:75], v13, off
	s_or_b64 exec, exec, s[34:35]
	s_and_b64 exec, exec, s[42:43]
	s_cbranch_execnz .LBB175_139
	s_branch .LBB175_140
.LBB175_214:
	s_and_saveexec_b64 s[42:43], s[30:31]
	s_cbranch_execnz .LBB175_278
; %bb.215:
	s_or_b64 exec, exec, s[42:43]
	s_and_saveexec_b64 s[30:31], s[28:29]
	s_cbranch_execnz .LBB175_279
.LBB175_216:
	s_or_b64 exec, exec, s[30:31]
	s_and_saveexec_b64 s[28:29], s[26:27]
	s_cbranch_execnz .LBB175_280
.LBB175_217:
	s_or_b64 exec, exec, s[28:29]
	s_and_saveexec_b64 s[26:27], s[24:25]
	s_cbranch_execnz .LBB175_281
.LBB175_218:
	s_or_b64 exec, exec, s[26:27]
	s_and_saveexec_b64 s[24:25], s[22:23]
	s_cbranch_execnz .LBB175_282
.LBB175_219:
	s_or_b64 exec, exec, s[24:25]
	s_and_saveexec_b64 s[22:23], s[20:21]
	s_cbranch_execnz .LBB175_283
.LBB175_220:
	s_or_b64 exec, exec, s[22:23]
	s_and_saveexec_b64 s[20:21], s[18:19]
	s_cbranch_execnz .LBB175_284
.LBB175_221:
	s_or_b64 exec, exec, s[20:21]
	s_and_saveexec_b64 s[18:19], s[16:17]
	s_cbranch_execnz .LBB175_285
.LBB175_222:
	s_or_b64 exec, exec, s[18:19]
	s_and_saveexec_b64 s[16:17], s[14:15]
	s_cbranch_execnz .LBB175_286
.LBB175_223:
	s_or_b64 exec, exec, s[16:17]
	s_and_saveexec_b64 s[14:15], s[12:13]
	s_cbranch_execnz .LBB175_287
.LBB175_224:
	s_or_b64 exec, exec, s[14:15]
	s_and_saveexec_b64 s[12:13], s[10:11]
	s_cbranch_execnz .LBB175_288
.LBB175_225:
	s_or_b64 exec, exec, s[12:13]
	s_and_saveexec_b64 s[10:11], s[8:9]
	s_cbranch_execnz .LBB175_289
.LBB175_226:
	s_or_b64 exec, exec, s[10:11]
	s_and_saveexec_b64 s[8:9], s[6:7]
	s_cbranch_execnz .LBB175_290
.LBB175_227:
	s_or_b64 exec, exec, s[8:9]
	s_and_saveexec_b64 s[6:7], s[4:5]
	s_cbranch_execz .LBB175_229
.LBB175_228:
	v_sub_u32_e32 v12, v4, v6
	v_lshlrev_b32_e32 v12, 2, v12
	ds_write_b32 v12, v13
.LBB175_229:
	s_or_b64 exec, exec, s[6:7]
	s_and_b64 s[42:43], s[2:3], exec
                                        ; implicit-def: $vgpr12
                                        ; implicit-def: $vgpr14
                                        ; implicit-def: $vgpr16
                                        ; implicit-def: $vgpr18
                                        ; implicit-def: $vgpr20
                                        ; implicit-def: $vgpr22
                                        ; implicit-def: $vgpr24
	s_andn2_saveexec_b64 s[2:3], s[40:41]
	s_cbranch_execz .LBB175_145
.LBB175_230:
	v_sub_u32_e32 v72, v5, v6
	v_lshlrev_b32_e32 v72, 2, v72
	ds_write_b32 v72, v24
	v_sub_u32_e32 v24, v39, v6
	v_lshlrev_b32_e32 v24, 2, v24
	ds_write_b32 v24, v25
	;; [unrolled: 3-line block ×13, first 2 shown]
	v_sub_u32_e32 v12, v4, v6
	v_lshlrev_b32_e32 v12, 2, v12
	s_or_b64 s[42:43], s[42:43], exec
	ds_write_b32 v12, v13
	s_or_b64 exec, exec, s[2:3]
	s_and_b64 exec, exec, s[42:43]
	s_cbranch_execnz .LBB175_146
	s_branch .LBB175_147
.LBB175_231:
	s_and_saveexec_b64 s[38:39], s[28:29]
	s_cbranch_execnz .LBB175_291
; %bb.232:
	s_or_b64 exec, exec, s[38:39]
	s_and_saveexec_b64 s[38:39], s[26:27]
	s_cbranch_execnz .LBB175_292
.LBB175_233:
	s_or_b64 exec, exec, s[38:39]
	s_and_saveexec_b64 s[38:39], s[24:25]
	s_cbranch_execnz .LBB175_293
.LBB175_234:
	s_or_b64 exec, exec, s[38:39]
	s_and_saveexec_b64 s[38:39], s[22:23]
	s_cbranch_execnz .LBB175_294
.LBB175_235:
	s_or_b64 exec, exec, s[38:39]
	s_and_saveexec_b64 s[38:39], s[20:21]
	s_cbranch_execnz .LBB175_295
.LBB175_236:
	s_or_b64 exec, exec, s[38:39]
	s_and_saveexec_b64 s[38:39], s[18:19]
	s_cbranch_execnz .LBB175_296
.LBB175_237:
	s_or_b64 exec, exec, s[38:39]
	s_and_saveexec_b64 s[38:39], s[16:17]
	s_cbranch_execnz .LBB175_297
.LBB175_238:
	s_or_b64 exec, exec, s[38:39]
	s_and_saveexec_b64 s[38:39], s[14:15]
	s_cbranch_execnz .LBB175_298
.LBB175_239:
	s_or_b64 exec, exec, s[38:39]
	s_and_saveexec_b64 s[38:39], s[12:13]
	s_cbranch_execnz .LBB175_299
.LBB175_240:
	s_or_b64 exec, exec, s[38:39]
	s_and_saveexec_b64 s[38:39], s[10:11]
	s_cbranch_execnz .LBB175_300
.LBB175_241:
	s_or_b64 exec, exec, s[38:39]
	s_and_saveexec_b64 s[38:39], s[8:9]
	s_cbranch_execnz .LBB175_301
.LBB175_242:
	s_or_b64 exec, exec, s[38:39]
	s_and_saveexec_b64 s[38:39], s[6:7]
	s_cbranch_execnz .LBB175_302
.LBB175_243:
	s_or_b64 exec, exec, s[38:39]
	s_and_saveexec_b64 s[38:39], s[4:5]
	s_cbranch_execnz .LBB175_303
.LBB175_244:
	s_or_b64 exec, exec, s[38:39]
	s_and_saveexec_b64 s[38:39], s[2:3]
	s_cbranch_execz .LBB175_246
.LBB175_245:
	v_sub_u32_e32 v18, v4, v10
	v_mov_b32_e32 v19, 0
	v_lshlrev_b64 v[18:19], 2, v[18:19]
	v_add_co_u32_e32 v18, vcc, v14, v18
	v_addc_co_u32_e32 v19, vcc, v15, v19, vcc
	global_store_dword v[18:19], v41, off
.LBB175_246:
	s_or_b64 exec, exec, s[38:39]
	s_and_b64 s[38:39], s[0:1], exec
	s_andn2_saveexec_b64 s[30:31], s[30:31]
	s_cbranch_execz .LBB175_167
.LBB175_247:
	v_sub_u32_e32 v18, v5, v10
	v_mov_b32_e32 v19, 0
	v_lshlrev_b64 v[20:21], 2, v[18:19]
	v_add_co_u32_e32 v20, vcc, v14, v20
	v_addc_co_u32_e32 v21, vcc, v15, v21, vcc
	v_sub_u32_e32 v18, v39, v10
	global_store_dword v[20:21], v71, off
	v_lshlrev_b64 v[20:21], 2, v[18:19]
	v_add_co_u32_e32 v20, vcc, v14, v20
	v_addc_co_u32_e32 v21, vcc, v15, v21, vcc
	v_sub_u32_e32 v18, v38, v10
	global_store_dword v[20:21], v70, off
	;; [unrolled: 5-line block ×12, first 2 shown]
	v_lshlrev_b64 v[20:21], 2, v[18:19]
	v_add_co_u32_e32 v20, vcc, v14, v20
	v_sub_u32_e32 v18, v4, v10
	v_addc_co_u32_e32 v21, vcc, v15, v21, vcc
	v_lshlrev_b64 v[18:19], 2, v[18:19]
	v_add_co_u32_e32 v18, vcc, v14, v18
	v_addc_co_u32_e32 v19, vcc, v15, v19, vcc
	s_or_b64 s[38:39], s[38:39], exec
	global_store_dword v[20:21], v42, off
	global_store_dword v[18:19], v41, off
	s_or_b64 exec, exec, s[30:31]
	s_and_b64 exec, exec, s[38:39]
	s_cbranch_execnz .LBB175_168
	s_branch .LBB175_169
.LBB175_248:
	s_and_saveexec_b64 s[38:39], s[28:29]
	s_cbranch_execnz .LBB175_304
; %bb.249:
	s_or_b64 exec, exec, s[38:39]
	s_and_saveexec_b64 s[28:29], s[26:27]
	s_cbranch_execnz .LBB175_305
.LBB175_250:
	s_or_b64 exec, exec, s[28:29]
	s_and_saveexec_b64 s[26:27], s[24:25]
	s_cbranch_execnz .LBB175_306
.LBB175_251:
	s_or_b64 exec, exec, s[26:27]
	s_and_saveexec_b64 s[24:25], s[22:23]
	s_cbranch_execnz .LBB175_307
.LBB175_252:
	s_or_b64 exec, exec, s[24:25]
	s_and_saveexec_b64 s[22:23], s[20:21]
	s_cbranch_execnz .LBB175_308
.LBB175_253:
	s_or_b64 exec, exec, s[22:23]
	s_and_saveexec_b64 s[20:21], s[18:19]
	s_cbranch_execnz .LBB175_309
.LBB175_254:
	s_or_b64 exec, exec, s[20:21]
	s_and_saveexec_b64 s[18:19], s[16:17]
	s_cbranch_execnz .LBB175_310
.LBB175_255:
	s_or_b64 exec, exec, s[18:19]
	s_and_saveexec_b64 s[16:17], s[14:15]
	s_cbranch_execnz .LBB175_311
.LBB175_256:
	s_or_b64 exec, exec, s[16:17]
	s_and_saveexec_b64 s[14:15], s[12:13]
	s_cbranch_execnz .LBB175_312
.LBB175_257:
	s_or_b64 exec, exec, s[14:15]
	s_and_saveexec_b64 s[12:13], s[10:11]
	s_cbranch_execnz .LBB175_313
.LBB175_258:
	s_or_b64 exec, exec, s[12:13]
	s_and_saveexec_b64 s[10:11], s[8:9]
	s_cbranch_execnz .LBB175_314
.LBB175_259:
	s_or_b64 exec, exec, s[10:11]
	s_and_saveexec_b64 s[8:9], s[6:7]
	s_cbranch_execnz .LBB175_315
.LBB175_260:
	s_or_b64 exec, exec, s[8:9]
	s_and_saveexec_b64 s[6:7], s[4:5]
	s_cbranch_execnz .LBB175_316
.LBB175_261:
	s_or_b64 exec, exec, s[6:7]
	s_and_saveexec_b64 s[4:5], s[2:3]
	s_cbranch_execz .LBB175_263
.LBB175_262:
	v_sub_u32_e32 v4, v4, v10
	v_lshlrev_b32_e32 v4, 2, v4
	ds_write_b32 v4, v41
.LBB175_263:
	s_or_b64 exec, exec, s[4:5]
	s_and_b64 s[38:39], s[0:1], exec
                                        ; implicit-def: $vgpr41
                                        ; implicit-def: $vgpr42
                                        ; implicit-def: $vgpr43
                                        ; implicit-def: $vgpr45
                                        ; implicit-def: $vgpr61
                                        ; implicit-def: $vgpr62
                                        ; implicit-def: $vgpr63
                                        ; implicit-def: $vgpr64
                                        ; implicit-def: $vgpr65
                                        ; implicit-def: $vgpr66
                                        ; implicit-def: $vgpr67
                                        ; implicit-def: $vgpr68
                                        ; implicit-def: $vgpr70
                                        ; implicit-def: $vgpr71
                                        ; implicit-def: $vgpr39
                                        ; implicit-def: $vgpr38
                                        ; implicit-def: $vgpr37
                                        ; implicit-def: $vgpr36
                                        ; implicit-def: $vgpr35
                                        ; implicit-def: $vgpr34
                                        ; implicit-def: $vgpr33
                                        ; implicit-def: $vgpr32
                                        ; implicit-def: $vgpr31
                                        ; implicit-def: $vgpr30
                                        ; implicit-def: $vgpr29
                                        ; implicit-def: $vgpr28
                                        ; implicit-def: $vgpr4
	s_andn2_saveexec_b64 s[0:1], s[34:35]
	s_cbranch_execz .LBB175_174
.LBB175_264:
	v_sub_u32_e32 v5, v5, v10
	v_lshlrev_b32_e32 v5, 2, v5
	ds_write_b32 v5, v71
	v_sub_u32_e32 v5, v39, v10
	v_lshlrev_b32_e32 v5, 2, v5
	ds_write_b32 v5, v70
	;; [unrolled: 3-line block ×12, first 2 shown]
	v_sub_u32_e32 v5, v28, v10
	v_sub_u32_e32 v4, v4, v10
	v_lshlrev_b32_e32 v5, 2, v5
	v_lshlrev_b32_e32 v4, 2, v4
	s_or_b64 s[38:39], s[38:39], exec
	ds_write_b32 v5, v42
	ds_write_b32 v4, v41
	s_or_b64 exec, exec, s[0:1]
	s_and_b64 exec, exec, s[38:39]
	s_cbranch_execnz .LBB175_175
	s_branch .LBB175_176
.LBB175_265:
	v_sub_u32_e32 v74, v5, v6
	v_mov_b32_e32 v75, 0
	v_lshlrev_b64 v[74:75], 2, v[74:75]
	v_add_co_u32_e32 v74, vcc, v7, v74
	v_addc_co_u32_e32 v75, vcc, v69, v75, vcc
	global_store_dword v[74:75], v24, off
	s_or_b64 exec, exec, s[42:43]
	s_and_saveexec_b64 s[42:43], s[28:29]
	s_cbranch_execz .LBB175_199
.LBB175_266:
	v_sub_u32_e32 v74, v39, v6
	v_mov_b32_e32 v75, 0
	v_lshlrev_b64 v[74:75], 2, v[74:75]
	v_add_co_u32_e32 v74, vcc, v7, v74
	v_addc_co_u32_e32 v75, vcc, v69, v75, vcc
	global_store_dword v[74:75], v25, off
	s_or_b64 exec, exec, s[42:43]
	s_and_saveexec_b64 s[42:43], s[26:27]
	s_cbranch_execz .LBB175_200
.LBB175_267:
	v_sub_u32_e32 v74, v38, v6
	v_mov_b32_e32 v75, 0
	v_lshlrev_b64 v[74:75], 2, v[74:75]
	v_add_co_u32_e32 v74, vcc, v7, v74
	v_addc_co_u32_e32 v75, vcc, v69, v75, vcc
	global_store_dword v[74:75], v22, off
	s_or_b64 exec, exec, s[42:43]
	s_and_saveexec_b64 s[42:43], s[24:25]
	s_cbranch_execz .LBB175_201
.LBB175_268:
	v_sub_u32_e32 v74, v37, v6
	v_mov_b32_e32 v75, 0
	v_lshlrev_b64 v[74:75], 2, v[74:75]
	v_add_co_u32_e32 v74, vcc, v7, v74
	v_addc_co_u32_e32 v75, vcc, v69, v75, vcc
	global_store_dword v[74:75], v23, off
	s_or_b64 exec, exec, s[42:43]
	s_and_saveexec_b64 s[42:43], s[22:23]
	s_cbranch_execz .LBB175_202
.LBB175_269:
	v_sub_u32_e32 v74, v36, v6
	v_mov_b32_e32 v75, 0
	v_lshlrev_b64 v[74:75], 2, v[74:75]
	v_add_co_u32_e32 v74, vcc, v7, v74
	v_addc_co_u32_e32 v75, vcc, v69, v75, vcc
	global_store_dword v[74:75], v20, off
	s_or_b64 exec, exec, s[42:43]
	s_and_saveexec_b64 s[42:43], s[20:21]
	s_cbranch_execz .LBB175_203
.LBB175_270:
	v_sub_u32_e32 v74, v35, v6
	v_mov_b32_e32 v75, 0
	v_lshlrev_b64 v[74:75], 2, v[74:75]
	v_add_co_u32_e32 v74, vcc, v7, v74
	v_addc_co_u32_e32 v75, vcc, v69, v75, vcc
	global_store_dword v[74:75], v21, off
	s_or_b64 exec, exec, s[42:43]
	s_and_saveexec_b64 s[42:43], s[18:19]
	s_cbranch_execz .LBB175_204
.LBB175_271:
	v_sub_u32_e32 v74, v34, v6
	v_mov_b32_e32 v75, 0
	v_lshlrev_b64 v[74:75], 2, v[74:75]
	v_add_co_u32_e32 v74, vcc, v7, v74
	v_addc_co_u32_e32 v75, vcc, v69, v75, vcc
	global_store_dword v[74:75], v18, off
	s_or_b64 exec, exec, s[42:43]
	s_and_saveexec_b64 s[42:43], s[16:17]
	s_cbranch_execz .LBB175_205
.LBB175_272:
	v_sub_u32_e32 v74, v33, v6
	v_mov_b32_e32 v75, 0
	v_lshlrev_b64 v[74:75], 2, v[74:75]
	v_add_co_u32_e32 v74, vcc, v7, v74
	v_addc_co_u32_e32 v75, vcc, v69, v75, vcc
	global_store_dword v[74:75], v19, off
	s_or_b64 exec, exec, s[42:43]
	s_and_saveexec_b64 s[42:43], s[14:15]
	s_cbranch_execz .LBB175_206
.LBB175_273:
	v_sub_u32_e32 v74, v32, v6
	v_mov_b32_e32 v75, 0
	v_lshlrev_b64 v[74:75], 2, v[74:75]
	v_add_co_u32_e32 v74, vcc, v7, v74
	v_addc_co_u32_e32 v75, vcc, v69, v75, vcc
	global_store_dword v[74:75], v16, off
	s_or_b64 exec, exec, s[42:43]
	s_and_saveexec_b64 s[42:43], s[12:13]
	s_cbranch_execz .LBB175_207
.LBB175_274:
	v_sub_u32_e32 v74, v31, v6
	v_mov_b32_e32 v75, 0
	v_lshlrev_b64 v[74:75], 2, v[74:75]
	v_add_co_u32_e32 v74, vcc, v7, v74
	v_addc_co_u32_e32 v75, vcc, v69, v75, vcc
	global_store_dword v[74:75], v17, off
	s_or_b64 exec, exec, s[42:43]
	s_and_saveexec_b64 s[42:43], s[10:11]
	s_cbranch_execz .LBB175_208
.LBB175_275:
	v_sub_u32_e32 v74, v30, v6
	v_mov_b32_e32 v75, 0
	v_lshlrev_b64 v[74:75], 2, v[74:75]
	v_add_co_u32_e32 v74, vcc, v7, v74
	v_addc_co_u32_e32 v75, vcc, v69, v75, vcc
	global_store_dword v[74:75], v14, off
	s_or_b64 exec, exec, s[42:43]
	s_and_saveexec_b64 s[42:43], s[8:9]
	s_cbranch_execz .LBB175_209
.LBB175_276:
	v_sub_u32_e32 v74, v29, v6
	v_mov_b32_e32 v75, 0
	v_lshlrev_b64 v[74:75], 2, v[74:75]
	v_add_co_u32_e32 v74, vcc, v7, v74
	v_addc_co_u32_e32 v75, vcc, v69, v75, vcc
	global_store_dword v[74:75], v15, off
	s_or_b64 exec, exec, s[42:43]
	s_and_saveexec_b64 s[42:43], s[6:7]
	s_cbranch_execz .LBB175_210
.LBB175_277:
	v_sub_u32_e32 v74, v28, v6
	v_mov_b32_e32 v75, 0
	v_lshlrev_b64 v[74:75], 2, v[74:75]
	v_add_co_u32_e32 v74, vcc, v7, v74
	v_addc_co_u32_e32 v75, vcc, v69, v75, vcc
	global_store_dword v[74:75], v12, off
	s_or_b64 exec, exec, s[42:43]
	s_and_saveexec_b64 s[42:43], s[4:5]
	s_cbranch_execnz .LBB175_211
	s_branch .LBB175_212
.LBB175_278:
	v_sub_u32_e32 v72, v5, v6
	v_lshlrev_b32_e32 v72, 2, v72
	ds_write_b32 v72, v24
	s_or_b64 exec, exec, s[42:43]
	s_and_saveexec_b64 s[30:31], s[28:29]
	s_cbranch_execz .LBB175_216
.LBB175_279:
	v_sub_u32_e32 v24, v39, v6
	v_lshlrev_b32_e32 v24, 2, v24
	ds_write_b32 v24, v25
	s_or_b64 exec, exec, s[30:31]
	s_and_saveexec_b64 s[28:29], s[26:27]
	s_cbranch_execz .LBB175_217
.LBB175_280:
	v_sub_u32_e32 v24, v38, v6
	v_lshlrev_b32_e32 v24, 2, v24
	ds_write_b32 v24, v22
	s_or_b64 exec, exec, s[28:29]
	s_and_saveexec_b64 s[26:27], s[24:25]
	s_cbranch_execz .LBB175_218
.LBB175_281:
	v_sub_u32_e32 v22, v37, v6
	v_lshlrev_b32_e32 v22, 2, v22
	ds_write_b32 v22, v23
	s_or_b64 exec, exec, s[26:27]
	s_and_saveexec_b64 s[24:25], s[22:23]
	s_cbranch_execz .LBB175_219
.LBB175_282:
	v_sub_u32_e32 v22, v36, v6
	v_lshlrev_b32_e32 v22, 2, v22
	ds_write_b32 v22, v20
	s_or_b64 exec, exec, s[24:25]
	s_and_saveexec_b64 s[22:23], s[20:21]
	s_cbranch_execz .LBB175_220
.LBB175_283:
	v_sub_u32_e32 v20, v35, v6
	v_lshlrev_b32_e32 v20, 2, v20
	ds_write_b32 v20, v21
	s_or_b64 exec, exec, s[22:23]
	s_and_saveexec_b64 s[20:21], s[18:19]
	s_cbranch_execz .LBB175_221
.LBB175_284:
	v_sub_u32_e32 v20, v34, v6
	v_lshlrev_b32_e32 v20, 2, v20
	ds_write_b32 v20, v18
	s_or_b64 exec, exec, s[20:21]
	s_and_saveexec_b64 s[18:19], s[16:17]
	s_cbranch_execz .LBB175_222
.LBB175_285:
	v_sub_u32_e32 v18, v33, v6
	v_lshlrev_b32_e32 v18, 2, v18
	ds_write_b32 v18, v19
	s_or_b64 exec, exec, s[18:19]
	s_and_saveexec_b64 s[16:17], s[14:15]
	s_cbranch_execz .LBB175_223
.LBB175_286:
	v_sub_u32_e32 v18, v32, v6
	v_lshlrev_b32_e32 v18, 2, v18
	ds_write_b32 v18, v16
	s_or_b64 exec, exec, s[16:17]
	s_and_saveexec_b64 s[14:15], s[12:13]
	s_cbranch_execz .LBB175_224
.LBB175_287:
	v_sub_u32_e32 v16, v31, v6
	v_lshlrev_b32_e32 v16, 2, v16
	ds_write_b32 v16, v17
	s_or_b64 exec, exec, s[14:15]
	s_and_saveexec_b64 s[12:13], s[10:11]
	s_cbranch_execz .LBB175_225
.LBB175_288:
	v_sub_u32_e32 v16, v30, v6
	v_lshlrev_b32_e32 v16, 2, v16
	ds_write_b32 v16, v14
	s_or_b64 exec, exec, s[12:13]
	s_and_saveexec_b64 s[10:11], s[8:9]
	s_cbranch_execz .LBB175_226
.LBB175_289:
	v_sub_u32_e32 v14, v29, v6
	v_lshlrev_b32_e32 v14, 2, v14
	ds_write_b32 v14, v15
	s_or_b64 exec, exec, s[10:11]
	s_and_saveexec_b64 s[8:9], s[6:7]
	s_cbranch_execz .LBB175_227
.LBB175_290:
	v_sub_u32_e32 v14, v28, v6
	v_lshlrev_b32_e32 v14, 2, v14
	ds_write_b32 v14, v12
	s_or_b64 exec, exec, s[8:9]
	s_and_saveexec_b64 s[6:7], s[4:5]
	s_cbranch_execnz .LBB175_228
	s_branch .LBB175_229
.LBB175_291:
	v_sub_u32_e32 v18, v5, v10
	v_mov_b32_e32 v19, 0
	v_lshlrev_b64 v[18:19], 2, v[18:19]
	v_add_co_u32_e32 v18, vcc, v14, v18
	v_addc_co_u32_e32 v19, vcc, v15, v19, vcc
	global_store_dword v[18:19], v71, off
	s_or_b64 exec, exec, s[38:39]
	s_and_saveexec_b64 s[38:39], s[26:27]
	s_cbranch_execz .LBB175_233
.LBB175_292:
	v_sub_u32_e32 v18, v39, v10
	v_mov_b32_e32 v19, 0
	v_lshlrev_b64 v[18:19], 2, v[18:19]
	v_add_co_u32_e32 v18, vcc, v14, v18
	v_addc_co_u32_e32 v19, vcc, v15, v19, vcc
	global_store_dword v[18:19], v70, off
	s_or_b64 exec, exec, s[38:39]
	s_and_saveexec_b64 s[38:39], s[24:25]
	s_cbranch_execz .LBB175_234
.LBB175_293:
	v_sub_u32_e32 v18, v38, v10
	v_mov_b32_e32 v19, 0
	v_lshlrev_b64 v[18:19], 2, v[18:19]
	v_add_co_u32_e32 v18, vcc, v14, v18
	v_addc_co_u32_e32 v19, vcc, v15, v19, vcc
	global_store_dword v[18:19], v68, off
	s_or_b64 exec, exec, s[38:39]
	s_and_saveexec_b64 s[38:39], s[22:23]
	s_cbranch_execz .LBB175_235
.LBB175_294:
	v_sub_u32_e32 v18, v37, v10
	v_mov_b32_e32 v19, 0
	v_lshlrev_b64 v[18:19], 2, v[18:19]
	v_add_co_u32_e32 v18, vcc, v14, v18
	v_addc_co_u32_e32 v19, vcc, v15, v19, vcc
	global_store_dword v[18:19], v67, off
	s_or_b64 exec, exec, s[38:39]
	s_and_saveexec_b64 s[38:39], s[20:21]
	s_cbranch_execz .LBB175_236
.LBB175_295:
	v_sub_u32_e32 v18, v36, v10
	v_mov_b32_e32 v19, 0
	v_lshlrev_b64 v[18:19], 2, v[18:19]
	v_add_co_u32_e32 v18, vcc, v14, v18
	v_addc_co_u32_e32 v19, vcc, v15, v19, vcc
	global_store_dword v[18:19], v66, off
	s_or_b64 exec, exec, s[38:39]
	s_and_saveexec_b64 s[38:39], s[18:19]
	s_cbranch_execz .LBB175_237
.LBB175_296:
	v_sub_u32_e32 v18, v35, v10
	v_mov_b32_e32 v19, 0
	v_lshlrev_b64 v[18:19], 2, v[18:19]
	v_add_co_u32_e32 v18, vcc, v14, v18
	v_addc_co_u32_e32 v19, vcc, v15, v19, vcc
	global_store_dword v[18:19], v65, off
	s_or_b64 exec, exec, s[38:39]
	s_and_saveexec_b64 s[38:39], s[16:17]
	s_cbranch_execz .LBB175_238
.LBB175_297:
	v_sub_u32_e32 v18, v34, v10
	v_mov_b32_e32 v19, 0
	v_lshlrev_b64 v[18:19], 2, v[18:19]
	v_add_co_u32_e32 v18, vcc, v14, v18
	v_addc_co_u32_e32 v19, vcc, v15, v19, vcc
	global_store_dword v[18:19], v64, off
	s_or_b64 exec, exec, s[38:39]
	s_and_saveexec_b64 s[38:39], s[14:15]
	s_cbranch_execz .LBB175_239
.LBB175_298:
	v_sub_u32_e32 v18, v33, v10
	v_mov_b32_e32 v19, 0
	v_lshlrev_b64 v[18:19], 2, v[18:19]
	v_add_co_u32_e32 v18, vcc, v14, v18
	v_addc_co_u32_e32 v19, vcc, v15, v19, vcc
	global_store_dword v[18:19], v63, off
	s_or_b64 exec, exec, s[38:39]
	s_and_saveexec_b64 s[38:39], s[12:13]
	s_cbranch_execz .LBB175_240
.LBB175_299:
	v_sub_u32_e32 v18, v32, v10
	v_mov_b32_e32 v19, 0
	v_lshlrev_b64 v[18:19], 2, v[18:19]
	v_add_co_u32_e32 v18, vcc, v14, v18
	v_addc_co_u32_e32 v19, vcc, v15, v19, vcc
	global_store_dword v[18:19], v62, off
	s_or_b64 exec, exec, s[38:39]
	s_and_saveexec_b64 s[38:39], s[10:11]
	s_cbranch_execz .LBB175_241
.LBB175_300:
	v_sub_u32_e32 v18, v31, v10
	v_mov_b32_e32 v19, 0
	v_lshlrev_b64 v[18:19], 2, v[18:19]
	v_add_co_u32_e32 v18, vcc, v14, v18
	v_addc_co_u32_e32 v19, vcc, v15, v19, vcc
	global_store_dword v[18:19], v61, off
	s_or_b64 exec, exec, s[38:39]
	s_and_saveexec_b64 s[38:39], s[8:9]
	s_cbranch_execz .LBB175_242
.LBB175_301:
	v_sub_u32_e32 v18, v30, v10
	v_mov_b32_e32 v19, 0
	v_lshlrev_b64 v[18:19], 2, v[18:19]
	v_add_co_u32_e32 v18, vcc, v14, v18
	v_addc_co_u32_e32 v19, vcc, v15, v19, vcc
	global_store_dword v[18:19], v45, off
	s_or_b64 exec, exec, s[38:39]
	s_and_saveexec_b64 s[38:39], s[6:7]
	s_cbranch_execz .LBB175_243
.LBB175_302:
	v_sub_u32_e32 v18, v29, v10
	v_mov_b32_e32 v19, 0
	v_lshlrev_b64 v[18:19], 2, v[18:19]
	v_add_co_u32_e32 v18, vcc, v14, v18
	v_addc_co_u32_e32 v19, vcc, v15, v19, vcc
	global_store_dword v[18:19], v43, off
	s_or_b64 exec, exec, s[38:39]
	s_and_saveexec_b64 s[38:39], s[4:5]
	s_cbranch_execz .LBB175_244
.LBB175_303:
	v_sub_u32_e32 v18, v28, v10
	v_mov_b32_e32 v19, 0
	v_lshlrev_b64 v[18:19], 2, v[18:19]
	v_add_co_u32_e32 v18, vcc, v14, v18
	v_addc_co_u32_e32 v19, vcc, v15, v19, vcc
	global_store_dword v[18:19], v42, off
	s_or_b64 exec, exec, s[38:39]
	s_and_saveexec_b64 s[38:39], s[2:3]
	s_cbranch_execnz .LBB175_245
	s_branch .LBB175_246
.LBB175_304:
	v_sub_u32_e32 v5, v5, v10
	v_lshlrev_b32_e32 v5, 2, v5
	ds_write_b32 v5, v71
	s_or_b64 exec, exec, s[38:39]
	s_and_saveexec_b64 s[28:29], s[26:27]
	s_cbranch_execz .LBB175_250
.LBB175_305:
	v_sub_u32_e32 v5, v39, v10
	v_lshlrev_b32_e32 v5, 2, v5
	ds_write_b32 v5, v70
	s_or_b64 exec, exec, s[28:29]
	s_and_saveexec_b64 s[26:27], s[24:25]
	s_cbranch_execz .LBB175_251
.LBB175_306:
	v_sub_u32_e32 v5, v38, v10
	v_lshlrev_b32_e32 v5, 2, v5
	ds_write_b32 v5, v68
	s_or_b64 exec, exec, s[26:27]
	s_and_saveexec_b64 s[24:25], s[22:23]
	s_cbranch_execz .LBB175_252
.LBB175_307:
	v_sub_u32_e32 v5, v37, v10
	v_lshlrev_b32_e32 v5, 2, v5
	ds_write_b32 v5, v67
	s_or_b64 exec, exec, s[24:25]
	s_and_saveexec_b64 s[22:23], s[20:21]
	s_cbranch_execz .LBB175_253
.LBB175_308:
	v_sub_u32_e32 v5, v36, v10
	v_lshlrev_b32_e32 v5, 2, v5
	ds_write_b32 v5, v66
	s_or_b64 exec, exec, s[22:23]
	s_and_saveexec_b64 s[20:21], s[18:19]
	s_cbranch_execz .LBB175_254
.LBB175_309:
	v_sub_u32_e32 v5, v35, v10
	v_lshlrev_b32_e32 v5, 2, v5
	ds_write_b32 v5, v65
	s_or_b64 exec, exec, s[20:21]
	s_and_saveexec_b64 s[18:19], s[16:17]
	s_cbranch_execz .LBB175_255
.LBB175_310:
	v_sub_u32_e32 v5, v34, v10
	v_lshlrev_b32_e32 v5, 2, v5
	ds_write_b32 v5, v64
	s_or_b64 exec, exec, s[18:19]
	s_and_saveexec_b64 s[16:17], s[14:15]
	s_cbranch_execz .LBB175_256
.LBB175_311:
	v_sub_u32_e32 v5, v33, v10
	v_lshlrev_b32_e32 v5, 2, v5
	ds_write_b32 v5, v63
	s_or_b64 exec, exec, s[16:17]
	s_and_saveexec_b64 s[14:15], s[12:13]
	s_cbranch_execz .LBB175_257
.LBB175_312:
	v_sub_u32_e32 v5, v32, v10
	v_lshlrev_b32_e32 v5, 2, v5
	ds_write_b32 v5, v62
	s_or_b64 exec, exec, s[14:15]
	s_and_saveexec_b64 s[12:13], s[10:11]
	s_cbranch_execz .LBB175_258
.LBB175_313:
	v_sub_u32_e32 v5, v31, v10
	v_lshlrev_b32_e32 v5, 2, v5
	ds_write_b32 v5, v61
	s_or_b64 exec, exec, s[12:13]
	s_and_saveexec_b64 s[10:11], s[8:9]
	s_cbranch_execz .LBB175_259
.LBB175_314:
	v_sub_u32_e32 v5, v30, v10
	v_lshlrev_b32_e32 v5, 2, v5
	ds_write_b32 v5, v45
	s_or_b64 exec, exec, s[10:11]
	s_and_saveexec_b64 s[8:9], s[6:7]
	s_cbranch_execz .LBB175_260
.LBB175_315:
	v_sub_u32_e32 v5, v29, v10
	v_lshlrev_b32_e32 v5, 2, v5
	ds_write_b32 v5, v43
	s_or_b64 exec, exec, s[8:9]
	s_and_saveexec_b64 s[6:7], s[4:5]
	s_cbranch_execz .LBB175_261
.LBB175_316:
	v_sub_u32_e32 v5, v28, v10
	v_lshlrev_b32_e32 v5, 2, v5
	ds_write_b32 v5, v42
	s_or_b64 exec, exec, s[6:7]
	s_and_saveexec_b64 s[4:5], s[2:3]
	s_cbranch_execnz .LBB175_262
	s_branch .LBB175_263
	.section	.rodata,"a",@progbits
	.p2align	6, 0x0
	.amdhsa_kernel _ZN7rocprim17ROCPRIM_400000_NS6detail17trampoline_kernelINS0_14default_configENS1_29reduce_by_key_config_selectorIffN6thrust23THRUST_200600_302600_NS4plusIfEEEEZZNS1_33reduce_by_key_impl_wrapped_configILNS1_25lookback_scan_determinismE0ES3_S9_NS6_6detail15normal_iteratorINS6_10device_ptrIfEEEESG_SG_SG_PmS8_NS6_8equal_toIfEEEE10hipError_tPvRmT2_T3_mT4_T5_T6_T7_T8_P12ihipStream_tbENKUlT_T0_E_clISt17integral_constantIbLb1EES11_EEDaSW_SX_EUlSW_E_NS1_11comp_targetILNS1_3genE4ELNS1_11target_archE910ELNS1_3gpuE8ELNS1_3repE0EEENS1_30default_config_static_selectorELNS0_4arch9wavefront6targetE1EEEvT1_
		.amdhsa_group_segment_fixed_size 15360
		.amdhsa_private_segment_fixed_size 0
		.amdhsa_kernarg_size 120
		.amdhsa_user_sgpr_count 6
		.amdhsa_user_sgpr_private_segment_buffer 1
		.amdhsa_user_sgpr_dispatch_ptr 0
		.amdhsa_user_sgpr_queue_ptr 0
		.amdhsa_user_sgpr_kernarg_segment_ptr 1
		.amdhsa_user_sgpr_dispatch_id 0
		.amdhsa_user_sgpr_flat_scratch_init 0
		.amdhsa_user_sgpr_kernarg_preload_length 0
		.amdhsa_user_sgpr_kernarg_preload_offset 0
		.amdhsa_user_sgpr_private_segment_size 0
		.amdhsa_uses_dynamic_stack 0
		.amdhsa_system_sgpr_private_segment_wavefront_offset 0
		.amdhsa_system_sgpr_workgroup_id_x 1
		.amdhsa_system_sgpr_workgroup_id_y 0
		.amdhsa_system_sgpr_workgroup_id_z 0
		.amdhsa_system_sgpr_workgroup_info 0
		.amdhsa_system_vgpr_workitem_id 0
		.amdhsa_next_free_vgpr 106
		.amdhsa_next_free_sgpr 66
		.amdhsa_accum_offset 108
		.amdhsa_reserve_vcc 1
		.amdhsa_reserve_flat_scratch 0
		.amdhsa_float_round_mode_32 0
		.amdhsa_float_round_mode_16_64 0
		.amdhsa_float_denorm_mode_32 3
		.amdhsa_float_denorm_mode_16_64 3
		.amdhsa_dx10_clamp 1
		.amdhsa_ieee_mode 1
		.amdhsa_fp16_overflow 0
		.amdhsa_tg_split 0
		.amdhsa_exception_fp_ieee_invalid_op 0
		.amdhsa_exception_fp_denorm_src 0
		.amdhsa_exception_fp_ieee_div_zero 0
		.amdhsa_exception_fp_ieee_overflow 0
		.amdhsa_exception_fp_ieee_underflow 0
		.amdhsa_exception_fp_ieee_inexact 0
		.amdhsa_exception_int_div_zero 0
	.end_amdhsa_kernel
	.section	.text._ZN7rocprim17ROCPRIM_400000_NS6detail17trampoline_kernelINS0_14default_configENS1_29reduce_by_key_config_selectorIffN6thrust23THRUST_200600_302600_NS4plusIfEEEEZZNS1_33reduce_by_key_impl_wrapped_configILNS1_25lookback_scan_determinismE0ES3_S9_NS6_6detail15normal_iteratorINS6_10device_ptrIfEEEESG_SG_SG_PmS8_NS6_8equal_toIfEEEE10hipError_tPvRmT2_T3_mT4_T5_T6_T7_T8_P12ihipStream_tbENKUlT_T0_E_clISt17integral_constantIbLb1EES11_EEDaSW_SX_EUlSW_E_NS1_11comp_targetILNS1_3genE4ELNS1_11target_archE910ELNS1_3gpuE8ELNS1_3repE0EEENS1_30default_config_static_selectorELNS0_4arch9wavefront6targetE1EEEvT1_,"axG",@progbits,_ZN7rocprim17ROCPRIM_400000_NS6detail17trampoline_kernelINS0_14default_configENS1_29reduce_by_key_config_selectorIffN6thrust23THRUST_200600_302600_NS4plusIfEEEEZZNS1_33reduce_by_key_impl_wrapped_configILNS1_25lookback_scan_determinismE0ES3_S9_NS6_6detail15normal_iteratorINS6_10device_ptrIfEEEESG_SG_SG_PmS8_NS6_8equal_toIfEEEE10hipError_tPvRmT2_T3_mT4_T5_T6_T7_T8_P12ihipStream_tbENKUlT_T0_E_clISt17integral_constantIbLb1EES11_EEDaSW_SX_EUlSW_E_NS1_11comp_targetILNS1_3genE4ELNS1_11target_archE910ELNS1_3gpuE8ELNS1_3repE0EEENS1_30default_config_static_selectorELNS0_4arch9wavefront6targetE1EEEvT1_,comdat
.Lfunc_end175:
	.size	_ZN7rocprim17ROCPRIM_400000_NS6detail17trampoline_kernelINS0_14default_configENS1_29reduce_by_key_config_selectorIffN6thrust23THRUST_200600_302600_NS4plusIfEEEEZZNS1_33reduce_by_key_impl_wrapped_configILNS1_25lookback_scan_determinismE0ES3_S9_NS6_6detail15normal_iteratorINS6_10device_ptrIfEEEESG_SG_SG_PmS8_NS6_8equal_toIfEEEE10hipError_tPvRmT2_T3_mT4_T5_T6_T7_T8_P12ihipStream_tbENKUlT_T0_E_clISt17integral_constantIbLb1EES11_EEDaSW_SX_EUlSW_E_NS1_11comp_targetILNS1_3genE4ELNS1_11target_archE910ELNS1_3gpuE8ELNS1_3repE0EEENS1_30default_config_static_selectorELNS0_4arch9wavefront6targetE1EEEvT1_, .Lfunc_end175-_ZN7rocprim17ROCPRIM_400000_NS6detail17trampoline_kernelINS0_14default_configENS1_29reduce_by_key_config_selectorIffN6thrust23THRUST_200600_302600_NS4plusIfEEEEZZNS1_33reduce_by_key_impl_wrapped_configILNS1_25lookback_scan_determinismE0ES3_S9_NS6_6detail15normal_iteratorINS6_10device_ptrIfEEEESG_SG_SG_PmS8_NS6_8equal_toIfEEEE10hipError_tPvRmT2_T3_mT4_T5_T6_T7_T8_P12ihipStream_tbENKUlT_T0_E_clISt17integral_constantIbLb1EES11_EEDaSW_SX_EUlSW_E_NS1_11comp_targetILNS1_3genE4ELNS1_11target_archE910ELNS1_3gpuE8ELNS1_3repE0EEENS1_30default_config_static_selectorELNS0_4arch9wavefront6targetE1EEEvT1_
                                        ; -- End function
	.section	.AMDGPU.csdata,"",@progbits
; Kernel info:
; codeLenInByte = 17560
; NumSgprs: 70
; NumVgprs: 106
; NumAgprs: 0
; TotalNumVgprs: 106
; ScratchSize: 0
; MemoryBound: 0
; FloatMode: 240
; IeeeMode: 1
; LDSByteSize: 15360 bytes/workgroup (compile time only)
; SGPRBlocks: 8
; VGPRBlocks: 13
; NumSGPRsForWavesPerEU: 70
; NumVGPRsForWavesPerEU: 106
; AccumOffset: 108
; Occupancy: 4
; WaveLimiterHint : 1
; COMPUTE_PGM_RSRC2:SCRATCH_EN: 0
; COMPUTE_PGM_RSRC2:USER_SGPR: 6
; COMPUTE_PGM_RSRC2:TRAP_HANDLER: 0
; COMPUTE_PGM_RSRC2:TGID_X_EN: 1
; COMPUTE_PGM_RSRC2:TGID_Y_EN: 0
; COMPUTE_PGM_RSRC2:TGID_Z_EN: 0
; COMPUTE_PGM_RSRC2:TIDIG_COMP_CNT: 0
; COMPUTE_PGM_RSRC3_GFX90A:ACCUM_OFFSET: 26
; COMPUTE_PGM_RSRC3_GFX90A:TG_SPLIT: 0
	.section	.text._ZN7rocprim17ROCPRIM_400000_NS6detail17trampoline_kernelINS0_14default_configENS1_29reduce_by_key_config_selectorIffN6thrust23THRUST_200600_302600_NS4plusIfEEEEZZNS1_33reduce_by_key_impl_wrapped_configILNS1_25lookback_scan_determinismE0ES3_S9_NS6_6detail15normal_iteratorINS6_10device_ptrIfEEEESG_SG_SG_PmS8_NS6_8equal_toIfEEEE10hipError_tPvRmT2_T3_mT4_T5_T6_T7_T8_P12ihipStream_tbENKUlT_T0_E_clISt17integral_constantIbLb1EES11_EEDaSW_SX_EUlSW_E_NS1_11comp_targetILNS1_3genE3ELNS1_11target_archE908ELNS1_3gpuE7ELNS1_3repE0EEENS1_30default_config_static_selectorELNS0_4arch9wavefront6targetE1EEEvT1_,"axG",@progbits,_ZN7rocprim17ROCPRIM_400000_NS6detail17trampoline_kernelINS0_14default_configENS1_29reduce_by_key_config_selectorIffN6thrust23THRUST_200600_302600_NS4plusIfEEEEZZNS1_33reduce_by_key_impl_wrapped_configILNS1_25lookback_scan_determinismE0ES3_S9_NS6_6detail15normal_iteratorINS6_10device_ptrIfEEEESG_SG_SG_PmS8_NS6_8equal_toIfEEEE10hipError_tPvRmT2_T3_mT4_T5_T6_T7_T8_P12ihipStream_tbENKUlT_T0_E_clISt17integral_constantIbLb1EES11_EEDaSW_SX_EUlSW_E_NS1_11comp_targetILNS1_3genE3ELNS1_11target_archE908ELNS1_3gpuE7ELNS1_3repE0EEENS1_30default_config_static_selectorELNS0_4arch9wavefront6targetE1EEEvT1_,comdat
	.protected	_ZN7rocprim17ROCPRIM_400000_NS6detail17trampoline_kernelINS0_14default_configENS1_29reduce_by_key_config_selectorIffN6thrust23THRUST_200600_302600_NS4plusIfEEEEZZNS1_33reduce_by_key_impl_wrapped_configILNS1_25lookback_scan_determinismE0ES3_S9_NS6_6detail15normal_iteratorINS6_10device_ptrIfEEEESG_SG_SG_PmS8_NS6_8equal_toIfEEEE10hipError_tPvRmT2_T3_mT4_T5_T6_T7_T8_P12ihipStream_tbENKUlT_T0_E_clISt17integral_constantIbLb1EES11_EEDaSW_SX_EUlSW_E_NS1_11comp_targetILNS1_3genE3ELNS1_11target_archE908ELNS1_3gpuE7ELNS1_3repE0EEENS1_30default_config_static_selectorELNS0_4arch9wavefront6targetE1EEEvT1_ ; -- Begin function _ZN7rocprim17ROCPRIM_400000_NS6detail17trampoline_kernelINS0_14default_configENS1_29reduce_by_key_config_selectorIffN6thrust23THRUST_200600_302600_NS4plusIfEEEEZZNS1_33reduce_by_key_impl_wrapped_configILNS1_25lookback_scan_determinismE0ES3_S9_NS6_6detail15normal_iteratorINS6_10device_ptrIfEEEESG_SG_SG_PmS8_NS6_8equal_toIfEEEE10hipError_tPvRmT2_T3_mT4_T5_T6_T7_T8_P12ihipStream_tbENKUlT_T0_E_clISt17integral_constantIbLb1EES11_EEDaSW_SX_EUlSW_E_NS1_11comp_targetILNS1_3genE3ELNS1_11target_archE908ELNS1_3gpuE7ELNS1_3repE0EEENS1_30default_config_static_selectorELNS0_4arch9wavefront6targetE1EEEvT1_
	.globl	_ZN7rocprim17ROCPRIM_400000_NS6detail17trampoline_kernelINS0_14default_configENS1_29reduce_by_key_config_selectorIffN6thrust23THRUST_200600_302600_NS4plusIfEEEEZZNS1_33reduce_by_key_impl_wrapped_configILNS1_25lookback_scan_determinismE0ES3_S9_NS6_6detail15normal_iteratorINS6_10device_ptrIfEEEESG_SG_SG_PmS8_NS6_8equal_toIfEEEE10hipError_tPvRmT2_T3_mT4_T5_T6_T7_T8_P12ihipStream_tbENKUlT_T0_E_clISt17integral_constantIbLb1EES11_EEDaSW_SX_EUlSW_E_NS1_11comp_targetILNS1_3genE3ELNS1_11target_archE908ELNS1_3gpuE7ELNS1_3repE0EEENS1_30default_config_static_selectorELNS0_4arch9wavefront6targetE1EEEvT1_
	.p2align	8
	.type	_ZN7rocprim17ROCPRIM_400000_NS6detail17trampoline_kernelINS0_14default_configENS1_29reduce_by_key_config_selectorIffN6thrust23THRUST_200600_302600_NS4plusIfEEEEZZNS1_33reduce_by_key_impl_wrapped_configILNS1_25lookback_scan_determinismE0ES3_S9_NS6_6detail15normal_iteratorINS6_10device_ptrIfEEEESG_SG_SG_PmS8_NS6_8equal_toIfEEEE10hipError_tPvRmT2_T3_mT4_T5_T6_T7_T8_P12ihipStream_tbENKUlT_T0_E_clISt17integral_constantIbLb1EES11_EEDaSW_SX_EUlSW_E_NS1_11comp_targetILNS1_3genE3ELNS1_11target_archE908ELNS1_3gpuE7ELNS1_3repE0EEENS1_30default_config_static_selectorELNS0_4arch9wavefront6targetE1EEEvT1_,@function
_ZN7rocprim17ROCPRIM_400000_NS6detail17trampoline_kernelINS0_14default_configENS1_29reduce_by_key_config_selectorIffN6thrust23THRUST_200600_302600_NS4plusIfEEEEZZNS1_33reduce_by_key_impl_wrapped_configILNS1_25lookback_scan_determinismE0ES3_S9_NS6_6detail15normal_iteratorINS6_10device_ptrIfEEEESG_SG_SG_PmS8_NS6_8equal_toIfEEEE10hipError_tPvRmT2_T3_mT4_T5_T6_T7_T8_P12ihipStream_tbENKUlT_T0_E_clISt17integral_constantIbLb1EES11_EEDaSW_SX_EUlSW_E_NS1_11comp_targetILNS1_3genE3ELNS1_11target_archE908ELNS1_3gpuE7ELNS1_3repE0EEENS1_30default_config_static_selectorELNS0_4arch9wavefront6targetE1EEEvT1_: ; @_ZN7rocprim17ROCPRIM_400000_NS6detail17trampoline_kernelINS0_14default_configENS1_29reduce_by_key_config_selectorIffN6thrust23THRUST_200600_302600_NS4plusIfEEEEZZNS1_33reduce_by_key_impl_wrapped_configILNS1_25lookback_scan_determinismE0ES3_S9_NS6_6detail15normal_iteratorINS6_10device_ptrIfEEEESG_SG_SG_PmS8_NS6_8equal_toIfEEEE10hipError_tPvRmT2_T3_mT4_T5_T6_T7_T8_P12ihipStream_tbENKUlT_T0_E_clISt17integral_constantIbLb1EES11_EEDaSW_SX_EUlSW_E_NS1_11comp_targetILNS1_3genE3ELNS1_11target_archE908ELNS1_3gpuE7ELNS1_3repE0EEENS1_30default_config_static_selectorELNS0_4arch9wavefront6targetE1EEEvT1_
; %bb.0:
	.section	.rodata,"a",@progbits
	.p2align	6, 0x0
	.amdhsa_kernel _ZN7rocprim17ROCPRIM_400000_NS6detail17trampoline_kernelINS0_14default_configENS1_29reduce_by_key_config_selectorIffN6thrust23THRUST_200600_302600_NS4plusIfEEEEZZNS1_33reduce_by_key_impl_wrapped_configILNS1_25lookback_scan_determinismE0ES3_S9_NS6_6detail15normal_iteratorINS6_10device_ptrIfEEEESG_SG_SG_PmS8_NS6_8equal_toIfEEEE10hipError_tPvRmT2_T3_mT4_T5_T6_T7_T8_P12ihipStream_tbENKUlT_T0_E_clISt17integral_constantIbLb1EES11_EEDaSW_SX_EUlSW_E_NS1_11comp_targetILNS1_3genE3ELNS1_11target_archE908ELNS1_3gpuE7ELNS1_3repE0EEENS1_30default_config_static_selectorELNS0_4arch9wavefront6targetE1EEEvT1_
		.amdhsa_group_segment_fixed_size 0
		.amdhsa_private_segment_fixed_size 0
		.amdhsa_kernarg_size 120
		.amdhsa_user_sgpr_count 6
		.amdhsa_user_sgpr_private_segment_buffer 1
		.amdhsa_user_sgpr_dispatch_ptr 0
		.amdhsa_user_sgpr_queue_ptr 0
		.amdhsa_user_sgpr_kernarg_segment_ptr 1
		.amdhsa_user_sgpr_dispatch_id 0
		.amdhsa_user_sgpr_flat_scratch_init 0
		.amdhsa_user_sgpr_kernarg_preload_length 0
		.amdhsa_user_sgpr_kernarg_preload_offset 0
		.amdhsa_user_sgpr_private_segment_size 0
		.amdhsa_uses_dynamic_stack 0
		.amdhsa_system_sgpr_private_segment_wavefront_offset 0
		.amdhsa_system_sgpr_workgroup_id_x 1
		.amdhsa_system_sgpr_workgroup_id_y 0
		.amdhsa_system_sgpr_workgroup_id_z 0
		.amdhsa_system_sgpr_workgroup_info 0
		.amdhsa_system_vgpr_workitem_id 0
		.amdhsa_next_free_vgpr 1
		.amdhsa_next_free_sgpr 0
		.amdhsa_accum_offset 4
		.amdhsa_reserve_vcc 0
		.amdhsa_reserve_flat_scratch 0
		.amdhsa_float_round_mode_32 0
		.amdhsa_float_round_mode_16_64 0
		.amdhsa_float_denorm_mode_32 3
		.amdhsa_float_denorm_mode_16_64 3
		.amdhsa_dx10_clamp 1
		.amdhsa_ieee_mode 1
		.amdhsa_fp16_overflow 0
		.amdhsa_tg_split 0
		.amdhsa_exception_fp_ieee_invalid_op 0
		.amdhsa_exception_fp_denorm_src 0
		.amdhsa_exception_fp_ieee_div_zero 0
		.amdhsa_exception_fp_ieee_overflow 0
		.amdhsa_exception_fp_ieee_underflow 0
		.amdhsa_exception_fp_ieee_inexact 0
		.amdhsa_exception_int_div_zero 0
	.end_amdhsa_kernel
	.section	.text._ZN7rocprim17ROCPRIM_400000_NS6detail17trampoline_kernelINS0_14default_configENS1_29reduce_by_key_config_selectorIffN6thrust23THRUST_200600_302600_NS4plusIfEEEEZZNS1_33reduce_by_key_impl_wrapped_configILNS1_25lookback_scan_determinismE0ES3_S9_NS6_6detail15normal_iteratorINS6_10device_ptrIfEEEESG_SG_SG_PmS8_NS6_8equal_toIfEEEE10hipError_tPvRmT2_T3_mT4_T5_T6_T7_T8_P12ihipStream_tbENKUlT_T0_E_clISt17integral_constantIbLb1EES11_EEDaSW_SX_EUlSW_E_NS1_11comp_targetILNS1_3genE3ELNS1_11target_archE908ELNS1_3gpuE7ELNS1_3repE0EEENS1_30default_config_static_selectorELNS0_4arch9wavefront6targetE1EEEvT1_,"axG",@progbits,_ZN7rocprim17ROCPRIM_400000_NS6detail17trampoline_kernelINS0_14default_configENS1_29reduce_by_key_config_selectorIffN6thrust23THRUST_200600_302600_NS4plusIfEEEEZZNS1_33reduce_by_key_impl_wrapped_configILNS1_25lookback_scan_determinismE0ES3_S9_NS6_6detail15normal_iteratorINS6_10device_ptrIfEEEESG_SG_SG_PmS8_NS6_8equal_toIfEEEE10hipError_tPvRmT2_T3_mT4_T5_T6_T7_T8_P12ihipStream_tbENKUlT_T0_E_clISt17integral_constantIbLb1EES11_EEDaSW_SX_EUlSW_E_NS1_11comp_targetILNS1_3genE3ELNS1_11target_archE908ELNS1_3gpuE7ELNS1_3repE0EEENS1_30default_config_static_selectorELNS0_4arch9wavefront6targetE1EEEvT1_,comdat
.Lfunc_end176:
	.size	_ZN7rocprim17ROCPRIM_400000_NS6detail17trampoline_kernelINS0_14default_configENS1_29reduce_by_key_config_selectorIffN6thrust23THRUST_200600_302600_NS4plusIfEEEEZZNS1_33reduce_by_key_impl_wrapped_configILNS1_25lookback_scan_determinismE0ES3_S9_NS6_6detail15normal_iteratorINS6_10device_ptrIfEEEESG_SG_SG_PmS8_NS6_8equal_toIfEEEE10hipError_tPvRmT2_T3_mT4_T5_T6_T7_T8_P12ihipStream_tbENKUlT_T0_E_clISt17integral_constantIbLb1EES11_EEDaSW_SX_EUlSW_E_NS1_11comp_targetILNS1_3genE3ELNS1_11target_archE908ELNS1_3gpuE7ELNS1_3repE0EEENS1_30default_config_static_selectorELNS0_4arch9wavefront6targetE1EEEvT1_, .Lfunc_end176-_ZN7rocprim17ROCPRIM_400000_NS6detail17trampoline_kernelINS0_14default_configENS1_29reduce_by_key_config_selectorIffN6thrust23THRUST_200600_302600_NS4plusIfEEEEZZNS1_33reduce_by_key_impl_wrapped_configILNS1_25lookback_scan_determinismE0ES3_S9_NS6_6detail15normal_iteratorINS6_10device_ptrIfEEEESG_SG_SG_PmS8_NS6_8equal_toIfEEEE10hipError_tPvRmT2_T3_mT4_T5_T6_T7_T8_P12ihipStream_tbENKUlT_T0_E_clISt17integral_constantIbLb1EES11_EEDaSW_SX_EUlSW_E_NS1_11comp_targetILNS1_3genE3ELNS1_11target_archE908ELNS1_3gpuE7ELNS1_3repE0EEENS1_30default_config_static_selectorELNS0_4arch9wavefront6targetE1EEEvT1_
                                        ; -- End function
	.section	.AMDGPU.csdata,"",@progbits
; Kernel info:
; codeLenInByte = 0
; NumSgprs: 4
; NumVgprs: 0
; NumAgprs: 0
; TotalNumVgprs: 0
; ScratchSize: 0
; MemoryBound: 0
; FloatMode: 240
; IeeeMode: 1
; LDSByteSize: 0 bytes/workgroup (compile time only)
; SGPRBlocks: 0
; VGPRBlocks: 0
; NumSGPRsForWavesPerEU: 4
; NumVGPRsForWavesPerEU: 1
; AccumOffset: 4
; Occupancy: 8
; WaveLimiterHint : 0
; COMPUTE_PGM_RSRC2:SCRATCH_EN: 0
; COMPUTE_PGM_RSRC2:USER_SGPR: 6
; COMPUTE_PGM_RSRC2:TRAP_HANDLER: 0
; COMPUTE_PGM_RSRC2:TGID_X_EN: 1
; COMPUTE_PGM_RSRC2:TGID_Y_EN: 0
; COMPUTE_PGM_RSRC2:TGID_Z_EN: 0
; COMPUTE_PGM_RSRC2:TIDIG_COMP_CNT: 0
; COMPUTE_PGM_RSRC3_GFX90A:ACCUM_OFFSET: 0
; COMPUTE_PGM_RSRC3_GFX90A:TG_SPLIT: 0
	.section	.text._ZN7rocprim17ROCPRIM_400000_NS6detail17trampoline_kernelINS0_14default_configENS1_29reduce_by_key_config_selectorIffN6thrust23THRUST_200600_302600_NS4plusIfEEEEZZNS1_33reduce_by_key_impl_wrapped_configILNS1_25lookback_scan_determinismE0ES3_S9_NS6_6detail15normal_iteratorINS6_10device_ptrIfEEEESG_SG_SG_PmS8_NS6_8equal_toIfEEEE10hipError_tPvRmT2_T3_mT4_T5_T6_T7_T8_P12ihipStream_tbENKUlT_T0_E_clISt17integral_constantIbLb1EES11_EEDaSW_SX_EUlSW_E_NS1_11comp_targetILNS1_3genE2ELNS1_11target_archE906ELNS1_3gpuE6ELNS1_3repE0EEENS1_30default_config_static_selectorELNS0_4arch9wavefront6targetE1EEEvT1_,"axG",@progbits,_ZN7rocprim17ROCPRIM_400000_NS6detail17trampoline_kernelINS0_14default_configENS1_29reduce_by_key_config_selectorIffN6thrust23THRUST_200600_302600_NS4plusIfEEEEZZNS1_33reduce_by_key_impl_wrapped_configILNS1_25lookback_scan_determinismE0ES3_S9_NS6_6detail15normal_iteratorINS6_10device_ptrIfEEEESG_SG_SG_PmS8_NS6_8equal_toIfEEEE10hipError_tPvRmT2_T3_mT4_T5_T6_T7_T8_P12ihipStream_tbENKUlT_T0_E_clISt17integral_constantIbLb1EES11_EEDaSW_SX_EUlSW_E_NS1_11comp_targetILNS1_3genE2ELNS1_11target_archE906ELNS1_3gpuE6ELNS1_3repE0EEENS1_30default_config_static_selectorELNS0_4arch9wavefront6targetE1EEEvT1_,comdat
	.protected	_ZN7rocprim17ROCPRIM_400000_NS6detail17trampoline_kernelINS0_14default_configENS1_29reduce_by_key_config_selectorIffN6thrust23THRUST_200600_302600_NS4plusIfEEEEZZNS1_33reduce_by_key_impl_wrapped_configILNS1_25lookback_scan_determinismE0ES3_S9_NS6_6detail15normal_iteratorINS6_10device_ptrIfEEEESG_SG_SG_PmS8_NS6_8equal_toIfEEEE10hipError_tPvRmT2_T3_mT4_T5_T6_T7_T8_P12ihipStream_tbENKUlT_T0_E_clISt17integral_constantIbLb1EES11_EEDaSW_SX_EUlSW_E_NS1_11comp_targetILNS1_3genE2ELNS1_11target_archE906ELNS1_3gpuE6ELNS1_3repE0EEENS1_30default_config_static_selectorELNS0_4arch9wavefront6targetE1EEEvT1_ ; -- Begin function _ZN7rocprim17ROCPRIM_400000_NS6detail17trampoline_kernelINS0_14default_configENS1_29reduce_by_key_config_selectorIffN6thrust23THRUST_200600_302600_NS4plusIfEEEEZZNS1_33reduce_by_key_impl_wrapped_configILNS1_25lookback_scan_determinismE0ES3_S9_NS6_6detail15normal_iteratorINS6_10device_ptrIfEEEESG_SG_SG_PmS8_NS6_8equal_toIfEEEE10hipError_tPvRmT2_T3_mT4_T5_T6_T7_T8_P12ihipStream_tbENKUlT_T0_E_clISt17integral_constantIbLb1EES11_EEDaSW_SX_EUlSW_E_NS1_11comp_targetILNS1_3genE2ELNS1_11target_archE906ELNS1_3gpuE6ELNS1_3repE0EEENS1_30default_config_static_selectorELNS0_4arch9wavefront6targetE1EEEvT1_
	.globl	_ZN7rocprim17ROCPRIM_400000_NS6detail17trampoline_kernelINS0_14default_configENS1_29reduce_by_key_config_selectorIffN6thrust23THRUST_200600_302600_NS4plusIfEEEEZZNS1_33reduce_by_key_impl_wrapped_configILNS1_25lookback_scan_determinismE0ES3_S9_NS6_6detail15normal_iteratorINS6_10device_ptrIfEEEESG_SG_SG_PmS8_NS6_8equal_toIfEEEE10hipError_tPvRmT2_T3_mT4_T5_T6_T7_T8_P12ihipStream_tbENKUlT_T0_E_clISt17integral_constantIbLb1EES11_EEDaSW_SX_EUlSW_E_NS1_11comp_targetILNS1_3genE2ELNS1_11target_archE906ELNS1_3gpuE6ELNS1_3repE0EEENS1_30default_config_static_selectorELNS0_4arch9wavefront6targetE1EEEvT1_
	.p2align	8
	.type	_ZN7rocprim17ROCPRIM_400000_NS6detail17trampoline_kernelINS0_14default_configENS1_29reduce_by_key_config_selectorIffN6thrust23THRUST_200600_302600_NS4plusIfEEEEZZNS1_33reduce_by_key_impl_wrapped_configILNS1_25lookback_scan_determinismE0ES3_S9_NS6_6detail15normal_iteratorINS6_10device_ptrIfEEEESG_SG_SG_PmS8_NS6_8equal_toIfEEEE10hipError_tPvRmT2_T3_mT4_T5_T6_T7_T8_P12ihipStream_tbENKUlT_T0_E_clISt17integral_constantIbLb1EES11_EEDaSW_SX_EUlSW_E_NS1_11comp_targetILNS1_3genE2ELNS1_11target_archE906ELNS1_3gpuE6ELNS1_3repE0EEENS1_30default_config_static_selectorELNS0_4arch9wavefront6targetE1EEEvT1_,@function
_ZN7rocprim17ROCPRIM_400000_NS6detail17trampoline_kernelINS0_14default_configENS1_29reduce_by_key_config_selectorIffN6thrust23THRUST_200600_302600_NS4plusIfEEEEZZNS1_33reduce_by_key_impl_wrapped_configILNS1_25lookback_scan_determinismE0ES3_S9_NS6_6detail15normal_iteratorINS6_10device_ptrIfEEEESG_SG_SG_PmS8_NS6_8equal_toIfEEEE10hipError_tPvRmT2_T3_mT4_T5_T6_T7_T8_P12ihipStream_tbENKUlT_T0_E_clISt17integral_constantIbLb1EES11_EEDaSW_SX_EUlSW_E_NS1_11comp_targetILNS1_3genE2ELNS1_11target_archE906ELNS1_3gpuE6ELNS1_3repE0EEENS1_30default_config_static_selectorELNS0_4arch9wavefront6targetE1EEEvT1_: ; @_ZN7rocprim17ROCPRIM_400000_NS6detail17trampoline_kernelINS0_14default_configENS1_29reduce_by_key_config_selectorIffN6thrust23THRUST_200600_302600_NS4plusIfEEEEZZNS1_33reduce_by_key_impl_wrapped_configILNS1_25lookback_scan_determinismE0ES3_S9_NS6_6detail15normal_iteratorINS6_10device_ptrIfEEEESG_SG_SG_PmS8_NS6_8equal_toIfEEEE10hipError_tPvRmT2_T3_mT4_T5_T6_T7_T8_P12ihipStream_tbENKUlT_T0_E_clISt17integral_constantIbLb1EES11_EEDaSW_SX_EUlSW_E_NS1_11comp_targetILNS1_3genE2ELNS1_11target_archE906ELNS1_3gpuE6ELNS1_3repE0EEENS1_30default_config_static_selectorELNS0_4arch9wavefront6targetE1EEEvT1_
; %bb.0:
	.section	.rodata,"a",@progbits
	.p2align	6, 0x0
	.amdhsa_kernel _ZN7rocprim17ROCPRIM_400000_NS6detail17trampoline_kernelINS0_14default_configENS1_29reduce_by_key_config_selectorIffN6thrust23THRUST_200600_302600_NS4plusIfEEEEZZNS1_33reduce_by_key_impl_wrapped_configILNS1_25lookback_scan_determinismE0ES3_S9_NS6_6detail15normal_iteratorINS6_10device_ptrIfEEEESG_SG_SG_PmS8_NS6_8equal_toIfEEEE10hipError_tPvRmT2_T3_mT4_T5_T6_T7_T8_P12ihipStream_tbENKUlT_T0_E_clISt17integral_constantIbLb1EES11_EEDaSW_SX_EUlSW_E_NS1_11comp_targetILNS1_3genE2ELNS1_11target_archE906ELNS1_3gpuE6ELNS1_3repE0EEENS1_30default_config_static_selectorELNS0_4arch9wavefront6targetE1EEEvT1_
		.amdhsa_group_segment_fixed_size 0
		.amdhsa_private_segment_fixed_size 0
		.amdhsa_kernarg_size 120
		.amdhsa_user_sgpr_count 6
		.amdhsa_user_sgpr_private_segment_buffer 1
		.amdhsa_user_sgpr_dispatch_ptr 0
		.amdhsa_user_sgpr_queue_ptr 0
		.amdhsa_user_sgpr_kernarg_segment_ptr 1
		.amdhsa_user_sgpr_dispatch_id 0
		.amdhsa_user_sgpr_flat_scratch_init 0
		.amdhsa_user_sgpr_kernarg_preload_length 0
		.amdhsa_user_sgpr_kernarg_preload_offset 0
		.amdhsa_user_sgpr_private_segment_size 0
		.amdhsa_uses_dynamic_stack 0
		.amdhsa_system_sgpr_private_segment_wavefront_offset 0
		.amdhsa_system_sgpr_workgroup_id_x 1
		.amdhsa_system_sgpr_workgroup_id_y 0
		.amdhsa_system_sgpr_workgroup_id_z 0
		.amdhsa_system_sgpr_workgroup_info 0
		.amdhsa_system_vgpr_workitem_id 0
		.amdhsa_next_free_vgpr 1
		.amdhsa_next_free_sgpr 0
		.amdhsa_accum_offset 4
		.amdhsa_reserve_vcc 0
		.amdhsa_reserve_flat_scratch 0
		.amdhsa_float_round_mode_32 0
		.amdhsa_float_round_mode_16_64 0
		.amdhsa_float_denorm_mode_32 3
		.amdhsa_float_denorm_mode_16_64 3
		.amdhsa_dx10_clamp 1
		.amdhsa_ieee_mode 1
		.amdhsa_fp16_overflow 0
		.amdhsa_tg_split 0
		.amdhsa_exception_fp_ieee_invalid_op 0
		.amdhsa_exception_fp_denorm_src 0
		.amdhsa_exception_fp_ieee_div_zero 0
		.amdhsa_exception_fp_ieee_overflow 0
		.amdhsa_exception_fp_ieee_underflow 0
		.amdhsa_exception_fp_ieee_inexact 0
		.amdhsa_exception_int_div_zero 0
	.end_amdhsa_kernel
	.section	.text._ZN7rocprim17ROCPRIM_400000_NS6detail17trampoline_kernelINS0_14default_configENS1_29reduce_by_key_config_selectorIffN6thrust23THRUST_200600_302600_NS4plusIfEEEEZZNS1_33reduce_by_key_impl_wrapped_configILNS1_25lookback_scan_determinismE0ES3_S9_NS6_6detail15normal_iteratorINS6_10device_ptrIfEEEESG_SG_SG_PmS8_NS6_8equal_toIfEEEE10hipError_tPvRmT2_T3_mT4_T5_T6_T7_T8_P12ihipStream_tbENKUlT_T0_E_clISt17integral_constantIbLb1EES11_EEDaSW_SX_EUlSW_E_NS1_11comp_targetILNS1_3genE2ELNS1_11target_archE906ELNS1_3gpuE6ELNS1_3repE0EEENS1_30default_config_static_selectorELNS0_4arch9wavefront6targetE1EEEvT1_,"axG",@progbits,_ZN7rocprim17ROCPRIM_400000_NS6detail17trampoline_kernelINS0_14default_configENS1_29reduce_by_key_config_selectorIffN6thrust23THRUST_200600_302600_NS4plusIfEEEEZZNS1_33reduce_by_key_impl_wrapped_configILNS1_25lookback_scan_determinismE0ES3_S9_NS6_6detail15normal_iteratorINS6_10device_ptrIfEEEESG_SG_SG_PmS8_NS6_8equal_toIfEEEE10hipError_tPvRmT2_T3_mT4_T5_T6_T7_T8_P12ihipStream_tbENKUlT_T0_E_clISt17integral_constantIbLb1EES11_EEDaSW_SX_EUlSW_E_NS1_11comp_targetILNS1_3genE2ELNS1_11target_archE906ELNS1_3gpuE6ELNS1_3repE0EEENS1_30default_config_static_selectorELNS0_4arch9wavefront6targetE1EEEvT1_,comdat
.Lfunc_end177:
	.size	_ZN7rocprim17ROCPRIM_400000_NS6detail17trampoline_kernelINS0_14default_configENS1_29reduce_by_key_config_selectorIffN6thrust23THRUST_200600_302600_NS4plusIfEEEEZZNS1_33reduce_by_key_impl_wrapped_configILNS1_25lookback_scan_determinismE0ES3_S9_NS6_6detail15normal_iteratorINS6_10device_ptrIfEEEESG_SG_SG_PmS8_NS6_8equal_toIfEEEE10hipError_tPvRmT2_T3_mT4_T5_T6_T7_T8_P12ihipStream_tbENKUlT_T0_E_clISt17integral_constantIbLb1EES11_EEDaSW_SX_EUlSW_E_NS1_11comp_targetILNS1_3genE2ELNS1_11target_archE906ELNS1_3gpuE6ELNS1_3repE0EEENS1_30default_config_static_selectorELNS0_4arch9wavefront6targetE1EEEvT1_, .Lfunc_end177-_ZN7rocprim17ROCPRIM_400000_NS6detail17trampoline_kernelINS0_14default_configENS1_29reduce_by_key_config_selectorIffN6thrust23THRUST_200600_302600_NS4plusIfEEEEZZNS1_33reduce_by_key_impl_wrapped_configILNS1_25lookback_scan_determinismE0ES3_S9_NS6_6detail15normal_iteratorINS6_10device_ptrIfEEEESG_SG_SG_PmS8_NS6_8equal_toIfEEEE10hipError_tPvRmT2_T3_mT4_T5_T6_T7_T8_P12ihipStream_tbENKUlT_T0_E_clISt17integral_constantIbLb1EES11_EEDaSW_SX_EUlSW_E_NS1_11comp_targetILNS1_3genE2ELNS1_11target_archE906ELNS1_3gpuE6ELNS1_3repE0EEENS1_30default_config_static_selectorELNS0_4arch9wavefront6targetE1EEEvT1_
                                        ; -- End function
	.section	.AMDGPU.csdata,"",@progbits
; Kernel info:
; codeLenInByte = 0
; NumSgprs: 4
; NumVgprs: 0
; NumAgprs: 0
; TotalNumVgprs: 0
; ScratchSize: 0
; MemoryBound: 0
; FloatMode: 240
; IeeeMode: 1
; LDSByteSize: 0 bytes/workgroup (compile time only)
; SGPRBlocks: 0
; VGPRBlocks: 0
; NumSGPRsForWavesPerEU: 4
; NumVGPRsForWavesPerEU: 1
; AccumOffset: 4
; Occupancy: 8
; WaveLimiterHint : 0
; COMPUTE_PGM_RSRC2:SCRATCH_EN: 0
; COMPUTE_PGM_RSRC2:USER_SGPR: 6
; COMPUTE_PGM_RSRC2:TRAP_HANDLER: 0
; COMPUTE_PGM_RSRC2:TGID_X_EN: 1
; COMPUTE_PGM_RSRC2:TGID_Y_EN: 0
; COMPUTE_PGM_RSRC2:TGID_Z_EN: 0
; COMPUTE_PGM_RSRC2:TIDIG_COMP_CNT: 0
; COMPUTE_PGM_RSRC3_GFX90A:ACCUM_OFFSET: 0
; COMPUTE_PGM_RSRC3_GFX90A:TG_SPLIT: 0
	.section	.text._ZN7rocprim17ROCPRIM_400000_NS6detail17trampoline_kernelINS0_14default_configENS1_29reduce_by_key_config_selectorIffN6thrust23THRUST_200600_302600_NS4plusIfEEEEZZNS1_33reduce_by_key_impl_wrapped_configILNS1_25lookback_scan_determinismE0ES3_S9_NS6_6detail15normal_iteratorINS6_10device_ptrIfEEEESG_SG_SG_PmS8_NS6_8equal_toIfEEEE10hipError_tPvRmT2_T3_mT4_T5_T6_T7_T8_P12ihipStream_tbENKUlT_T0_E_clISt17integral_constantIbLb1EES11_EEDaSW_SX_EUlSW_E_NS1_11comp_targetILNS1_3genE10ELNS1_11target_archE1201ELNS1_3gpuE5ELNS1_3repE0EEENS1_30default_config_static_selectorELNS0_4arch9wavefront6targetE1EEEvT1_,"axG",@progbits,_ZN7rocprim17ROCPRIM_400000_NS6detail17trampoline_kernelINS0_14default_configENS1_29reduce_by_key_config_selectorIffN6thrust23THRUST_200600_302600_NS4plusIfEEEEZZNS1_33reduce_by_key_impl_wrapped_configILNS1_25lookback_scan_determinismE0ES3_S9_NS6_6detail15normal_iteratorINS6_10device_ptrIfEEEESG_SG_SG_PmS8_NS6_8equal_toIfEEEE10hipError_tPvRmT2_T3_mT4_T5_T6_T7_T8_P12ihipStream_tbENKUlT_T0_E_clISt17integral_constantIbLb1EES11_EEDaSW_SX_EUlSW_E_NS1_11comp_targetILNS1_3genE10ELNS1_11target_archE1201ELNS1_3gpuE5ELNS1_3repE0EEENS1_30default_config_static_selectorELNS0_4arch9wavefront6targetE1EEEvT1_,comdat
	.protected	_ZN7rocprim17ROCPRIM_400000_NS6detail17trampoline_kernelINS0_14default_configENS1_29reduce_by_key_config_selectorIffN6thrust23THRUST_200600_302600_NS4plusIfEEEEZZNS1_33reduce_by_key_impl_wrapped_configILNS1_25lookback_scan_determinismE0ES3_S9_NS6_6detail15normal_iteratorINS6_10device_ptrIfEEEESG_SG_SG_PmS8_NS6_8equal_toIfEEEE10hipError_tPvRmT2_T3_mT4_T5_T6_T7_T8_P12ihipStream_tbENKUlT_T0_E_clISt17integral_constantIbLb1EES11_EEDaSW_SX_EUlSW_E_NS1_11comp_targetILNS1_3genE10ELNS1_11target_archE1201ELNS1_3gpuE5ELNS1_3repE0EEENS1_30default_config_static_selectorELNS0_4arch9wavefront6targetE1EEEvT1_ ; -- Begin function _ZN7rocprim17ROCPRIM_400000_NS6detail17trampoline_kernelINS0_14default_configENS1_29reduce_by_key_config_selectorIffN6thrust23THRUST_200600_302600_NS4plusIfEEEEZZNS1_33reduce_by_key_impl_wrapped_configILNS1_25lookback_scan_determinismE0ES3_S9_NS6_6detail15normal_iteratorINS6_10device_ptrIfEEEESG_SG_SG_PmS8_NS6_8equal_toIfEEEE10hipError_tPvRmT2_T3_mT4_T5_T6_T7_T8_P12ihipStream_tbENKUlT_T0_E_clISt17integral_constantIbLb1EES11_EEDaSW_SX_EUlSW_E_NS1_11comp_targetILNS1_3genE10ELNS1_11target_archE1201ELNS1_3gpuE5ELNS1_3repE0EEENS1_30default_config_static_selectorELNS0_4arch9wavefront6targetE1EEEvT1_
	.globl	_ZN7rocprim17ROCPRIM_400000_NS6detail17trampoline_kernelINS0_14default_configENS1_29reduce_by_key_config_selectorIffN6thrust23THRUST_200600_302600_NS4plusIfEEEEZZNS1_33reduce_by_key_impl_wrapped_configILNS1_25lookback_scan_determinismE0ES3_S9_NS6_6detail15normal_iteratorINS6_10device_ptrIfEEEESG_SG_SG_PmS8_NS6_8equal_toIfEEEE10hipError_tPvRmT2_T3_mT4_T5_T6_T7_T8_P12ihipStream_tbENKUlT_T0_E_clISt17integral_constantIbLb1EES11_EEDaSW_SX_EUlSW_E_NS1_11comp_targetILNS1_3genE10ELNS1_11target_archE1201ELNS1_3gpuE5ELNS1_3repE0EEENS1_30default_config_static_selectorELNS0_4arch9wavefront6targetE1EEEvT1_
	.p2align	8
	.type	_ZN7rocprim17ROCPRIM_400000_NS6detail17trampoline_kernelINS0_14default_configENS1_29reduce_by_key_config_selectorIffN6thrust23THRUST_200600_302600_NS4plusIfEEEEZZNS1_33reduce_by_key_impl_wrapped_configILNS1_25lookback_scan_determinismE0ES3_S9_NS6_6detail15normal_iteratorINS6_10device_ptrIfEEEESG_SG_SG_PmS8_NS6_8equal_toIfEEEE10hipError_tPvRmT2_T3_mT4_T5_T6_T7_T8_P12ihipStream_tbENKUlT_T0_E_clISt17integral_constantIbLb1EES11_EEDaSW_SX_EUlSW_E_NS1_11comp_targetILNS1_3genE10ELNS1_11target_archE1201ELNS1_3gpuE5ELNS1_3repE0EEENS1_30default_config_static_selectorELNS0_4arch9wavefront6targetE1EEEvT1_,@function
_ZN7rocprim17ROCPRIM_400000_NS6detail17trampoline_kernelINS0_14default_configENS1_29reduce_by_key_config_selectorIffN6thrust23THRUST_200600_302600_NS4plusIfEEEEZZNS1_33reduce_by_key_impl_wrapped_configILNS1_25lookback_scan_determinismE0ES3_S9_NS6_6detail15normal_iteratorINS6_10device_ptrIfEEEESG_SG_SG_PmS8_NS6_8equal_toIfEEEE10hipError_tPvRmT2_T3_mT4_T5_T6_T7_T8_P12ihipStream_tbENKUlT_T0_E_clISt17integral_constantIbLb1EES11_EEDaSW_SX_EUlSW_E_NS1_11comp_targetILNS1_3genE10ELNS1_11target_archE1201ELNS1_3gpuE5ELNS1_3repE0EEENS1_30default_config_static_selectorELNS0_4arch9wavefront6targetE1EEEvT1_: ; @_ZN7rocprim17ROCPRIM_400000_NS6detail17trampoline_kernelINS0_14default_configENS1_29reduce_by_key_config_selectorIffN6thrust23THRUST_200600_302600_NS4plusIfEEEEZZNS1_33reduce_by_key_impl_wrapped_configILNS1_25lookback_scan_determinismE0ES3_S9_NS6_6detail15normal_iteratorINS6_10device_ptrIfEEEESG_SG_SG_PmS8_NS6_8equal_toIfEEEE10hipError_tPvRmT2_T3_mT4_T5_T6_T7_T8_P12ihipStream_tbENKUlT_T0_E_clISt17integral_constantIbLb1EES11_EEDaSW_SX_EUlSW_E_NS1_11comp_targetILNS1_3genE10ELNS1_11target_archE1201ELNS1_3gpuE5ELNS1_3repE0EEENS1_30default_config_static_selectorELNS0_4arch9wavefront6targetE1EEEvT1_
; %bb.0:
	.section	.rodata,"a",@progbits
	.p2align	6, 0x0
	.amdhsa_kernel _ZN7rocprim17ROCPRIM_400000_NS6detail17trampoline_kernelINS0_14default_configENS1_29reduce_by_key_config_selectorIffN6thrust23THRUST_200600_302600_NS4plusIfEEEEZZNS1_33reduce_by_key_impl_wrapped_configILNS1_25lookback_scan_determinismE0ES3_S9_NS6_6detail15normal_iteratorINS6_10device_ptrIfEEEESG_SG_SG_PmS8_NS6_8equal_toIfEEEE10hipError_tPvRmT2_T3_mT4_T5_T6_T7_T8_P12ihipStream_tbENKUlT_T0_E_clISt17integral_constantIbLb1EES11_EEDaSW_SX_EUlSW_E_NS1_11comp_targetILNS1_3genE10ELNS1_11target_archE1201ELNS1_3gpuE5ELNS1_3repE0EEENS1_30default_config_static_selectorELNS0_4arch9wavefront6targetE1EEEvT1_
		.amdhsa_group_segment_fixed_size 0
		.amdhsa_private_segment_fixed_size 0
		.amdhsa_kernarg_size 120
		.amdhsa_user_sgpr_count 6
		.amdhsa_user_sgpr_private_segment_buffer 1
		.amdhsa_user_sgpr_dispatch_ptr 0
		.amdhsa_user_sgpr_queue_ptr 0
		.amdhsa_user_sgpr_kernarg_segment_ptr 1
		.amdhsa_user_sgpr_dispatch_id 0
		.amdhsa_user_sgpr_flat_scratch_init 0
		.amdhsa_user_sgpr_kernarg_preload_length 0
		.amdhsa_user_sgpr_kernarg_preload_offset 0
		.amdhsa_user_sgpr_private_segment_size 0
		.amdhsa_uses_dynamic_stack 0
		.amdhsa_system_sgpr_private_segment_wavefront_offset 0
		.amdhsa_system_sgpr_workgroup_id_x 1
		.amdhsa_system_sgpr_workgroup_id_y 0
		.amdhsa_system_sgpr_workgroup_id_z 0
		.amdhsa_system_sgpr_workgroup_info 0
		.amdhsa_system_vgpr_workitem_id 0
		.amdhsa_next_free_vgpr 1
		.amdhsa_next_free_sgpr 0
		.amdhsa_accum_offset 4
		.amdhsa_reserve_vcc 0
		.amdhsa_reserve_flat_scratch 0
		.amdhsa_float_round_mode_32 0
		.amdhsa_float_round_mode_16_64 0
		.amdhsa_float_denorm_mode_32 3
		.amdhsa_float_denorm_mode_16_64 3
		.amdhsa_dx10_clamp 1
		.amdhsa_ieee_mode 1
		.amdhsa_fp16_overflow 0
		.amdhsa_tg_split 0
		.amdhsa_exception_fp_ieee_invalid_op 0
		.amdhsa_exception_fp_denorm_src 0
		.amdhsa_exception_fp_ieee_div_zero 0
		.amdhsa_exception_fp_ieee_overflow 0
		.amdhsa_exception_fp_ieee_underflow 0
		.amdhsa_exception_fp_ieee_inexact 0
		.amdhsa_exception_int_div_zero 0
	.end_amdhsa_kernel
	.section	.text._ZN7rocprim17ROCPRIM_400000_NS6detail17trampoline_kernelINS0_14default_configENS1_29reduce_by_key_config_selectorIffN6thrust23THRUST_200600_302600_NS4plusIfEEEEZZNS1_33reduce_by_key_impl_wrapped_configILNS1_25lookback_scan_determinismE0ES3_S9_NS6_6detail15normal_iteratorINS6_10device_ptrIfEEEESG_SG_SG_PmS8_NS6_8equal_toIfEEEE10hipError_tPvRmT2_T3_mT4_T5_T6_T7_T8_P12ihipStream_tbENKUlT_T0_E_clISt17integral_constantIbLb1EES11_EEDaSW_SX_EUlSW_E_NS1_11comp_targetILNS1_3genE10ELNS1_11target_archE1201ELNS1_3gpuE5ELNS1_3repE0EEENS1_30default_config_static_selectorELNS0_4arch9wavefront6targetE1EEEvT1_,"axG",@progbits,_ZN7rocprim17ROCPRIM_400000_NS6detail17trampoline_kernelINS0_14default_configENS1_29reduce_by_key_config_selectorIffN6thrust23THRUST_200600_302600_NS4plusIfEEEEZZNS1_33reduce_by_key_impl_wrapped_configILNS1_25lookback_scan_determinismE0ES3_S9_NS6_6detail15normal_iteratorINS6_10device_ptrIfEEEESG_SG_SG_PmS8_NS6_8equal_toIfEEEE10hipError_tPvRmT2_T3_mT4_T5_T6_T7_T8_P12ihipStream_tbENKUlT_T0_E_clISt17integral_constantIbLb1EES11_EEDaSW_SX_EUlSW_E_NS1_11comp_targetILNS1_3genE10ELNS1_11target_archE1201ELNS1_3gpuE5ELNS1_3repE0EEENS1_30default_config_static_selectorELNS0_4arch9wavefront6targetE1EEEvT1_,comdat
.Lfunc_end178:
	.size	_ZN7rocprim17ROCPRIM_400000_NS6detail17trampoline_kernelINS0_14default_configENS1_29reduce_by_key_config_selectorIffN6thrust23THRUST_200600_302600_NS4plusIfEEEEZZNS1_33reduce_by_key_impl_wrapped_configILNS1_25lookback_scan_determinismE0ES3_S9_NS6_6detail15normal_iteratorINS6_10device_ptrIfEEEESG_SG_SG_PmS8_NS6_8equal_toIfEEEE10hipError_tPvRmT2_T3_mT4_T5_T6_T7_T8_P12ihipStream_tbENKUlT_T0_E_clISt17integral_constantIbLb1EES11_EEDaSW_SX_EUlSW_E_NS1_11comp_targetILNS1_3genE10ELNS1_11target_archE1201ELNS1_3gpuE5ELNS1_3repE0EEENS1_30default_config_static_selectorELNS0_4arch9wavefront6targetE1EEEvT1_, .Lfunc_end178-_ZN7rocprim17ROCPRIM_400000_NS6detail17trampoline_kernelINS0_14default_configENS1_29reduce_by_key_config_selectorIffN6thrust23THRUST_200600_302600_NS4plusIfEEEEZZNS1_33reduce_by_key_impl_wrapped_configILNS1_25lookback_scan_determinismE0ES3_S9_NS6_6detail15normal_iteratorINS6_10device_ptrIfEEEESG_SG_SG_PmS8_NS6_8equal_toIfEEEE10hipError_tPvRmT2_T3_mT4_T5_T6_T7_T8_P12ihipStream_tbENKUlT_T0_E_clISt17integral_constantIbLb1EES11_EEDaSW_SX_EUlSW_E_NS1_11comp_targetILNS1_3genE10ELNS1_11target_archE1201ELNS1_3gpuE5ELNS1_3repE0EEENS1_30default_config_static_selectorELNS0_4arch9wavefront6targetE1EEEvT1_
                                        ; -- End function
	.section	.AMDGPU.csdata,"",@progbits
; Kernel info:
; codeLenInByte = 0
; NumSgprs: 4
; NumVgprs: 0
; NumAgprs: 0
; TotalNumVgprs: 0
; ScratchSize: 0
; MemoryBound: 0
; FloatMode: 240
; IeeeMode: 1
; LDSByteSize: 0 bytes/workgroup (compile time only)
; SGPRBlocks: 0
; VGPRBlocks: 0
; NumSGPRsForWavesPerEU: 4
; NumVGPRsForWavesPerEU: 1
; AccumOffset: 4
; Occupancy: 8
; WaveLimiterHint : 0
; COMPUTE_PGM_RSRC2:SCRATCH_EN: 0
; COMPUTE_PGM_RSRC2:USER_SGPR: 6
; COMPUTE_PGM_RSRC2:TRAP_HANDLER: 0
; COMPUTE_PGM_RSRC2:TGID_X_EN: 1
; COMPUTE_PGM_RSRC2:TGID_Y_EN: 0
; COMPUTE_PGM_RSRC2:TGID_Z_EN: 0
; COMPUTE_PGM_RSRC2:TIDIG_COMP_CNT: 0
; COMPUTE_PGM_RSRC3_GFX90A:ACCUM_OFFSET: 0
; COMPUTE_PGM_RSRC3_GFX90A:TG_SPLIT: 0
	.section	.text._ZN7rocprim17ROCPRIM_400000_NS6detail17trampoline_kernelINS0_14default_configENS1_29reduce_by_key_config_selectorIffN6thrust23THRUST_200600_302600_NS4plusIfEEEEZZNS1_33reduce_by_key_impl_wrapped_configILNS1_25lookback_scan_determinismE0ES3_S9_NS6_6detail15normal_iteratorINS6_10device_ptrIfEEEESG_SG_SG_PmS8_NS6_8equal_toIfEEEE10hipError_tPvRmT2_T3_mT4_T5_T6_T7_T8_P12ihipStream_tbENKUlT_T0_E_clISt17integral_constantIbLb1EES11_EEDaSW_SX_EUlSW_E_NS1_11comp_targetILNS1_3genE10ELNS1_11target_archE1200ELNS1_3gpuE4ELNS1_3repE0EEENS1_30default_config_static_selectorELNS0_4arch9wavefront6targetE1EEEvT1_,"axG",@progbits,_ZN7rocprim17ROCPRIM_400000_NS6detail17trampoline_kernelINS0_14default_configENS1_29reduce_by_key_config_selectorIffN6thrust23THRUST_200600_302600_NS4plusIfEEEEZZNS1_33reduce_by_key_impl_wrapped_configILNS1_25lookback_scan_determinismE0ES3_S9_NS6_6detail15normal_iteratorINS6_10device_ptrIfEEEESG_SG_SG_PmS8_NS6_8equal_toIfEEEE10hipError_tPvRmT2_T3_mT4_T5_T6_T7_T8_P12ihipStream_tbENKUlT_T0_E_clISt17integral_constantIbLb1EES11_EEDaSW_SX_EUlSW_E_NS1_11comp_targetILNS1_3genE10ELNS1_11target_archE1200ELNS1_3gpuE4ELNS1_3repE0EEENS1_30default_config_static_selectorELNS0_4arch9wavefront6targetE1EEEvT1_,comdat
	.protected	_ZN7rocprim17ROCPRIM_400000_NS6detail17trampoline_kernelINS0_14default_configENS1_29reduce_by_key_config_selectorIffN6thrust23THRUST_200600_302600_NS4plusIfEEEEZZNS1_33reduce_by_key_impl_wrapped_configILNS1_25lookback_scan_determinismE0ES3_S9_NS6_6detail15normal_iteratorINS6_10device_ptrIfEEEESG_SG_SG_PmS8_NS6_8equal_toIfEEEE10hipError_tPvRmT2_T3_mT4_T5_T6_T7_T8_P12ihipStream_tbENKUlT_T0_E_clISt17integral_constantIbLb1EES11_EEDaSW_SX_EUlSW_E_NS1_11comp_targetILNS1_3genE10ELNS1_11target_archE1200ELNS1_3gpuE4ELNS1_3repE0EEENS1_30default_config_static_selectorELNS0_4arch9wavefront6targetE1EEEvT1_ ; -- Begin function _ZN7rocprim17ROCPRIM_400000_NS6detail17trampoline_kernelINS0_14default_configENS1_29reduce_by_key_config_selectorIffN6thrust23THRUST_200600_302600_NS4plusIfEEEEZZNS1_33reduce_by_key_impl_wrapped_configILNS1_25lookback_scan_determinismE0ES3_S9_NS6_6detail15normal_iteratorINS6_10device_ptrIfEEEESG_SG_SG_PmS8_NS6_8equal_toIfEEEE10hipError_tPvRmT2_T3_mT4_T5_T6_T7_T8_P12ihipStream_tbENKUlT_T0_E_clISt17integral_constantIbLb1EES11_EEDaSW_SX_EUlSW_E_NS1_11comp_targetILNS1_3genE10ELNS1_11target_archE1200ELNS1_3gpuE4ELNS1_3repE0EEENS1_30default_config_static_selectorELNS0_4arch9wavefront6targetE1EEEvT1_
	.globl	_ZN7rocprim17ROCPRIM_400000_NS6detail17trampoline_kernelINS0_14default_configENS1_29reduce_by_key_config_selectorIffN6thrust23THRUST_200600_302600_NS4plusIfEEEEZZNS1_33reduce_by_key_impl_wrapped_configILNS1_25lookback_scan_determinismE0ES3_S9_NS6_6detail15normal_iteratorINS6_10device_ptrIfEEEESG_SG_SG_PmS8_NS6_8equal_toIfEEEE10hipError_tPvRmT2_T3_mT4_T5_T6_T7_T8_P12ihipStream_tbENKUlT_T0_E_clISt17integral_constantIbLb1EES11_EEDaSW_SX_EUlSW_E_NS1_11comp_targetILNS1_3genE10ELNS1_11target_archE1200ELNS1_3gpuE4ELNS1_3repE0EEENS1_30default_config_static_selectorELNS0_4arch9wavefront6targetE1EEEvT1_
	.p2align	8
	.type	_ZN7rocprim17ROCPRIM_400000_NS6detail17trampoline_kernelINS0_14default_configENS1_29reduce_by_key_config_selectorIffN6thrust23THRUST_200600_302600_NS4plusIfEEEEZZNS1_33reduce_by_key_impl_wrapped_configILNS1_25lookback_scan_determinismE0ES3_S9_NS6_6detail15normal_iteratorINS6_10device_ptrIfEEEESG_SG_SG_PmS8_NS6_8equal_toIfEEEE10hipError_tPvRmT2_T3_mT4_T5_T6_T7_T8_P12ihipStream_tbENKUlT_T0_E_clISt17integral_constantIbLb1EES11_EEDaSW_SX_EUlSW_E_NS1_11comp_targetILNS1_3genE10ELNS1_11target_archE1200ELNS1_3gpuE4ELNS1_3repE0EEENS1_30default_config_static_selectorELNS0_4arch9wavefront6targetE1EEEvT1_,@function
_ZN7rocprim17ROCPRIM_400000_NS6detail17trampoline_kernelINS0_14default_configENS1_29reduce_by_key_config_selectorIffN6thrust23THRUST_200600_302600_NS4plusIfEEEEZZNS1_33reduce_by_key_impl_wrapped_configILNS1_25lookback_scan_determinismE0ES3_S9_NS6_6detail15normal_iteratorINS6_10device_ptrIfEEEESG_SG_SG_PmS8_NS6_8equal_toIfEEEE10hipError_tPvRmT2_T3_mT4_T5_T6_T7_T8_P12ihipStream_tbENKUlT_T0_E_clISt17integral_constantIbLb1EES11_EEDaSW_SX_EUlSW_E_NS1_11comp_targetILNS1_3genE10ELNS1_11target_archE1200ELNS1_3gpuE4ELNS1_3repE0EEENS1_30default_config_static_selectorELNS0_4arch9wavefront6targetE1EEEvT1_: ; @_ZN7rocprim17ROCPRIM_400000_NS6detail17trampoline_kernelINS0_14default_configENS1_29reduce_by_key_config_selectorIffN6thrust23THRUST_200600_302600_NS4plusIfEEEEZZNS1_33reduce_by_key_impl_wrapped_configILNS1_25lookback_scan_determinismE0ES3_S9_NS6_6detail15normal_iteratorINS6_10device_ptrIfEEEESG_SG_SG_PmS8_NS6_8equal_toIfEEEE10hipError_tPvRmT2_T3_mT4_T5_T6_T7_T8_P12ihipStream_tbENKUlT_T0_E_clISt17integral_constantIbLb1EES11_EEDaSW_SX_EUlSW_E_NS1_11comp_targetILNS1_3genE10ELNS1_11target_archE1200ELNS1_3gpuE4ELNS1_3repE0EEENS1_30default_config_static_selectorELNS0_4arch9wavefront6targetE1EEEvT1_
; %bb.0:
	.section	.rodata,"a",@progbits
	.p2align	6, 0x0
	.amdhsa_kernel _ZN7rocprim17ROCPRIM_400000_NS6detail17trampoline_kernelINS0_14default_configENS1_29reduce_by_key_config_selectorIffN6thrust23THRUST_200600_302600_NS4plusIfEEEEZZNS1_33reduce_by_key_impl_wrapped_configILNS1_25lookback_scan_determinismE0ES3_S9_NS6_6detail15normal_iteratorINS6_10device_ptrIfEEEESG_SG_SG_PmS8_NS6_8equal_toIfEEEE10hipError_tPvRmT2_T3_mT4_T5_T6_T7_T8_P12ihipStream_tbENKUlT_T0_E_clISt17integral_constantIbLb1EES11_EEDaSW_SX_EUlSW_E_NS1_11comp_targetILNS1_3genE10ELNS1_11target_archE1200ELNS1_3gpuE4ELNS1_3repE0EEENS1_30default_config_static_selectorELNS0_4arch9wavefront6targetE1EEEvT1_
		.amdhsa_group_segment_fixed_size 0
		.amdhsa_private_segment_fixed_size 0
		.amdhsa_kernarg_size 120
		.amdhsa_user_sgpr_count 6
		.amdhsa_user_sgpr_private_segment_buffer 1
		.amdhsa_user_sgpr_dispatch_ptr 0
		.amdhsa_user_sgpr_queue_ptr 0
		.amdhsa_user_sgpr_kernarg_segment_ptr 1
		.amdhsa_user_sgpr_dispatch_id 0
		.amdhsa_user_sgpr_flat_scratch_init 0
		.amdhsa_user_sgpr_kernarg_preload_length 0
		.amdhsa_user_sgpr_kernarg_preload_offset 0
		.amdhsa_user_sgpr_private_segment_size 0
		.amdhsa_uses_dynamic_stack 0
		.amdhsa_system_sgpr_private_segment_wavefront_offset 0
		.amdhsa_system_sgpr_workgroup_id_x 1
		.amdhsa_system_sgpr_workgroup_id_y 0
		.amdhsa_system_sgpr_workgroup_id_z 0
		.amdhsa_system_sgpr_workgroup_info 0
		.amdhsa_system_vgpr_workitem_id 0
		.amdhsa_next_free_vgpr 1
		.amdhsa_next_free_sgpr 0
		.amdhsa_accum_offset 4
		.amdhsa_reserve_vcc 0
		.amdhsa_reserve_flat_scratch 0
		.amdhsa_float_round_mode_32 0
		.amdhsa_float_round_mode_16_64 0
		.amdhsa_float_denorm_mode_32 3
		.amdhsa_float_denorm_mode_16_64 3
		.amdhsa_dx10_clamp 1
		.amdhsa_ieee_mode 1
		.amdhsa_fp16_overflow 0
		.amdhsa_tg_split 0
		.amdhsa_exception_fp_ieee_invalid_op 0
		.amdhsa_exception_fp_denorm_src 0
		.amdhsa_exception_fp_ieee_div_zero 0
		.amdhsa_exception_fp_ieee_overflow 0
		.amdhsa_exception_fp_ieee_underflow 0
		.amdhsa_exception_fp_ieee_inexact 0
		.amdhsa_exception_int_div_zero 0
	.end_amdhsa_kernel
	.section	.text._ZN7rocprim17ROCPRIM_400000_NS6detail17trampoline_kernelINS0_14default_configENS1_29reduce_by_key_config_selectorIffN6thrust23THRUST_200600_302600_NS4plusIfEEEEZZNS1_33reduce_by_key_impl_wrapped_configILNS1_25lookback_scan_determinismE0ES3_S9_NS6_6detail15normal_iteratorINS6_10device_ptrIfEEEESG_SG_SG_PmS8_NS6_8equal_toIfEEEE10hipError_tPvRmT2_T3_mT4_T5_T6_T7_T8_P12ihipStream_tbENKUlT_T0_E_clISt17integral_constantIbLb1EES11_EEDaSW_SX_EUlSW_E_NS1_11comp_targetILNS1_3genE10ELNS1_11target_archE1200ELNS1_3gpuE4ELNS1_3repE0EEENS1_30default_config_static_selectorELNS0_4arch9wavefront6targetE1EEEvT1_,"axG",@progbits,_ZN7rocprim17ROCPRIM_400000_NS6detail17trampoline_kernelINS0_14default_configENS1_29reduce_by_key_config_selectorIffN6thrust23THRUST_200600_302600_NS4plusIfEEEEZZNS1_33reduce_by_key_impl_wrapped_configILNS1_25lookback_scan_determinismE0ES3_S9_NS6_6detail15normal_iteratorINS6_10device_ptrIfEEEESG_SG_SG_PmS8_NS6_8equal_toIfEEEE10hipError_tPvRmT2_T3_mT4_T5_T6_T7_T8_P12ihipStream_tbENKUlT_T0_E_clISt17integral_constantIbLb1EES11_EEDaSW_SX_EUlSW_E_NS1_11comp_targetILNS1_3genE10ELNS1_11target_archE1200ELNS1_3gpuE4ELNS1_3repE0EEENS1_30default_config_static_selectorELNS0_4arch9wavefront6targetE1EEEvT1_,comdat
.Lfunc_end179:
	.size	_ZN7rocprim17ROCPRIM_400000_NS6detail17trampoline_kernelINS0_14default_configENS1_29reduce_by_key_config_selectorIffN6thrust23THRUST_200600_302600_NS4plusIfEEEEZZNS1_33reduce_by_key_impl_wrapped_configILNS1_25lookback_scan_determinismE0ES3_S9_NS6_6detail15normal_iteratorINS6_10device_ptrIfEEEESG_SG_SG_PmS8_NS6_8equal_toIfEEEE10hipError_tPvRmT2_T3_mT4_T5_T6_T7_T8_P12ihipStream_tbENKUlT_T0_E_clISt17integral_constantIbLb1EES11_EEDaSW_SX_EUlSW_E_NS1_11comp_targetILNS1_3genE10ELNS1_11target_archE1200ELNS1_3gpuE4ELNS1_3repE0EEENS1_30default_config_static_selectorELNS0_4arch9wavefront6targetE1EEEvT1_, .Lfunc_end179-_ZN7rocprim17ROCPRIM_400000_NS6detail17trampoline_kernelINS0_14default_configENS1_29reduce_by_key_config_selectorIffN6thrust23THRUST_200600_302600_NS4plusIfEEEEZZNS1_33reduce_by_key_impl_wrapped_configILNS1_25lookback_scan_determinismE0ES3_S9_NS6_6detail15normal_iteratorINS6_10device_ptrIfEEEESG_SG_SG_PmS8_NS6_8equal_toIfEEEE10hipError_tPvRmT2_T3_mT4_T5_T6_T7_T8_P12ihipStream_tbENKUlT_T0_E_clISt17integral_constantIbLb1EES11_EEDaSW_SX_EUlSW_E_NS1_11comp_targetILNS1_3genE10ELNS1_11target_archE1200ELNS1_3gpuE4ELNS1_3repE0EEENS1_30default_config_static_selectorELNS0_4arch9wavefront6targetE1EEEvT1_
                                        ; -- End function
	.section	.AMDGPU.csdata,"",@progbits
; Kernel info:
; codeLenInByte = 0
; NumSgprs: 4
; NumVgprs: 0
; NumAgprs: 0
; TotalNumVgprs: 0
; ScratchSize: 0
; MemoryBound: 0
; FloatMode: 240
; IeeeMode: 1
; LDSByteSize: 0 bytes/workgroup (compile time only)
; SGPRBlocks: 0
; VGPRBlocks: 0
; NumSGPRsForWavesPerEU: 4
; NumVGPRsForWavesPerEU: 1
; AccumOffset: 4
; Occupancy: 8
; WaveLimiterHint : 0
; COMPUTE_PGM_RSRC2:SCRATCH_EN: 0
; COMPUTE_PGM_RSRC2:USER_SGPR: 6
; COMPUTE_PGM_RSRC2:TRAP_HANDLER: 0
; COMPUTE_PGM_RSRC2:TGID_X_EN: 1
; COMPUTE_PGM_RSRC2:TGID_Y_EN: 0
; COMPUTE_PGM_RSRC2:TGID_Z_EN: 0
; COMPUTE_PGM_RSRC2:TIDIG_COMP_CNT: 0
; COMPUTE_PGM_RSRC3_GFX90A:ACCUM_OFFSET: 0
; COMPUTE_PGM_RSRC3_GFX90A:TG_SPLIT: 0
	.section	.text._ZN7rocprim17ROCPRIM_400000_NS6detail17trampoline_kernelINS0_14default_configENS1_29reduce_by_key_config_selectorIffN6thrust23THRUST_200600_302600_NS4plusIfEEEEZZNS1_33reduce_by_key_impl_wrapped_configILNS1_25lookback_scan_determinismE0ES3_S9_NS6_6detail15normal_iteratorINS6_10device_ptrIfEEEESG_SG_SG_PmS8_NS6_8equal_toIfEEEE10hipError_tPvRmT2_T3_mT4_T5_T6_T7_T8_P12ihipStream_tbENKUlT_T0_E_clISt17integral_constantIbLb1EES11_EEDaSW_SX_EUlSW_E_NS1_11comp_targetILNS1_3genE9ELNS1_11target_archE1100ELNS1_3gpuE3ELNS1_3repE0EEENS1_30default_config_static_selectorELNS0_4arch9wavefront6targetE1EEEvT1_,"axG",@progbits,_ZN7rocprim17ROCPRIM_400000_NS6detail17trampoline_kernelINS0_14default_configENS1_29reduce_by_key_config_selectorIffN6thrust23THRUST_200600_302600_NS4plusIfEEEEZZNS1_33reduce_by_key_impl_wrapped_configILNS1_25lookback_scan_determinismE0ES3_S9_NS6_6detail15normal_iteratorINS6_10device_ptrIfEEEESG_SG_SG_PmS8_NS6_8equal_toIfEEEE10hipError_tPvRmT2_T3_mT4_T5_T6_T7_T8_P12ihipStream_tbENKUlT_T0_E_clISt17integral_constantIbLb1EES11_EEDaSW_SX_EUlSW_E_NS1_11comp_targetILNS1_3genE9ELNS1_11target_archE1100ELNS1_3gpuE3ELNS1_3repE0EEENS1_30default_config_static_selectorELNS0_4arch9wavefront6targetE1EEEvT1_,comdat
	.protected	_ZN7rocprim17ROCPRIM_400000_NS6detail17trampoline_kernelINS0_14default_configENS1_29reduce_by_key_config_selectorIffN6thrust23THRUST_200600_302600_NS4plusIfEEEEZZNS1_33reduce_by_key_impl_wrapped_configILNS1_25lookback_scan_determinismE0ES3_S9_NS6_6detail15normal_iteratorINS6_10device_ptrIfEEEESG_SG_SG_PmS8_NS6_8equal_toIfEEEE10hipError_tPvRmT2_T3_mT4_T5_T6_T7_T8_P12ihipStream_tbENKUlT_T0_E_clISt17integral_constantIbLb1EES11_EEDaSW_SX_EUlSW_E_NS1_11comp_targetILNS1_3genE9ELNS1_11target_archE1100ELNS1_3gpuE3ELNS1_3repE0EEENS1_30default_config_static_selectorELNS0_4arch9wavefront6targetE1EEEvT1_ ; -- Begin function _ZN7rocprim17ROCPRIM_400000_NS6detail17trampoline_kernelINS0_14default_configENS1_29reduce_by_key_config_selectorIffN6thrust23THRUST_200600_302600_NS4plusIfEEEEZZNS1_33reduce_by_key_impl_wrapped_configILNS1_25lookback_scan_determinismE0ES3_S9_NS6_6detail15normal_iteratorINS6_10device_ptrIfEEEESG_SG_SG_PmS8_NS6_8equal_toIfEEEE10hipError_tPvRmT2_T3_mT4_T5_T6_T7_T8_P12ihipStream_tbENKUlT_T0_E_clISt17integral_constantIbLb1EES11_EEDaSW_SX_EUlSW_E_NS1_11comp_targetILNS1_3genE9ELNS1_11target_archE1100ELNS1_3gpuE3ELNS1_3repE0EEENS1_30default_config_static_selectorELNS0_4arch9wavefront6targetE1EEEvT1_
	.globl	_ZN7rocprim17ROCPRIM_400000_NS6detail17trampoline_kernelINS0_14default_configENS1_29reduce_by_key_config_selectorIffN6thrust23THRUST_200600_302600_NS4plusIfEEEEZZNS1_33reduce_by_key_impl_wrapped_configILNS1_25lookback_scan_determinismE0ES3_S9_NS6_6detail15normal_iteratorINS6_10device_ptrIfEEEESG_SG_SG_PmS8_NS6_8equal_toIfEEEE10hipError_tPvRmT2_T3_mT4_T5_T6_T7_T8_P12ihipStream_tbENKUlT_T0_E_clISt17integral_constantIbLb1EES11_EEDaSW_SX_EUlSW_E_NS1_11comp_targetILNS1_3genE9ELNS1_11target_archE1100ELNS1_3gpuE3ELNS1_3repE0EEENS1_30default_config_static_selectorELNS0_4arch9wavefront6targetE1EEEvT1_
	.p2align	8
	.type	_ZN7rocprim17ROCPRIM_400000_NS6detail17trampoline_kernelINS0_14default_configENS1_29reduce_by_key_config_selectorIffN6thrust23THRUST_200600_302600_NS4plusIfEEEEZZNS1_33reduce_by_key_impl_wrapped_configILNS1_25lookback_scan_determinismE0ES3_S9_NS6_6detail15normal_iteratorINS6_10device_ptrIfEEEESG_SG_SG_PmS8_NS6_8equal_toIfEEEE10hipError_tPvRmT2_T3_mT4_T5_T6_T7_T8_P12ihipStream_tbENKUlT_T0_E_clISt17integral_constantIbLb1EES11_EEDaSW_SX_EUlSW_E_NS1_11comp_targetILNS1_3genE9ELNS1_11target_archE1100ELNS1_3gpuE3ELNS1_3repE0EEENS1_30default_config_static_selectorELNS0_4arch9wavefront6targetE1EEEvT1_,@function
_ZN7rocprim17ROCPRIM_400000_NS6detail17trampoline_kernelINS0_14default_configENS1_29reduce_by_key_config_selectorIffN6thrust23THRUST_200600_302600_NS4plusIfEEEEZZNS1_33reduce_by_key_impl_wrapped_configILNS1_25lookback_scan_determinismE0ES3_S9_NS6_6detail15normal_iteratorINS6_10device_ptrIfEEEESG_SG_SG_PmS8_NS6_8equal_toIfEEEE10hipError_tPvRmT2_T3_mT4_T5_T6_T7_T8_P12ihipStream_tbENKUlT_T0_E_clISt17integral_constantIbLb1EES11_EEDaSW_SX_EUlSW_E_NS1_11comp_targetILNS1_3genE9ELNS1_11target_archE1100ELNS1_3gpuE3ELNS1_3repE0EEENS1_30default_config_static_selectorELNS0_4arch9wavefront6targetE1EEEvT1_: ; @_ZN7rocprim17ROCPRIM_400000_NS6detail17trampoline_kernelINS0_14default_configENS1_29reduce_by_key_config_selectorIffN6thrust23THRUST_200600_302600_NS4plusIfEEEEZZNS1_33reduce_by_key_impl_wrapped_configILNS1_25lookback_scan_determinismE0ES3_S9_NS6_6detail15normal_iteratorINS6_10device_ptrIfEEEESG_SG_SG_PmS8_NS6_8equal_toIfEEEE10hipError_tPvRmT2_T3_mT4_T5_T6_T7_T8_P12ihipStream_tbENKUlT_T0_E_clISt17integral_constantIbLb1EES11_EEDaSW_SX_EUlSW_E_NS1_11comp_targetILNS1_3genE9ELNS1_11target_archE1100ELNS1_3gpuE3ELNS1_3repE0EEENS1_30default_config_static_selectorELNS0_4arch9wavefront6targetE1EEEvT1_
; %bb.0:
	.section	.rodata,"a",@progbits
	.p2align	6, 0x0
	.amdhsa_kernel _ZN7rocprim17ROCPRIM_400000_NS6detail17trampoline_kernelINS0_14default_configENS1_29reduce_by_key_config_selectorIffN6thrust23THRUST_200600_302600_NS4plusIfEEEEZZNS1_33reduce_by_key_impl_wrapped_configILNS1_25lookback_scan_determinismE0ES3_S9_NS6_6detail15normal_iteratorINS6_10device_ptrIfEEEESG_SG_SG_PmS8_NS6_8equal_toIfEEEE10hipError_tPvRmT2_T3_mT4_T5_T6_T7_T8_P12ihipStream_tbENKUlT_T0_E_clISt17integral_constantIbLb1EES11_EEDaSW_SX_EUlSW_E_NS1_11comp_targetILNS1_3genE9ELNS1_11target_archE1100ELNS1_3gpuE3ELNS1_3repE0EEENS1_30default_config_static_selectorELNS0_4arch9wavefront6targetE1EEEvT1_
		.amdhsa_group_segment_fixed_size 0
		.amdhsa_private_segment_fixed_size 0
		.amdhsa_kernarg_size 120
		.amdhsa_user_sgpr_count 6
		.amdhsa_user_sgpr_private_segment_buffer 1
		.amdhsa_user_sgpr_dispatch_ptr 0
		.amdhsa_user_sgpr_queue_ptr 0
		.amdhsa_user_sgpr_kernarg_segment_ptr 1
		.amdhsa_user_sgpr_dispatch_id 0
		.amdhsa_user_sgpr_flat_scratch_init 0
		.amdhsa_user_sgpr_kernarg_preload_length 0
		.amdhsa_user_sgpr_kernarg_preload_offset 0
		.amdhsa_user_sgpr_private_segment_size 0
		.amdhsa_uses_dynamic_stack 0
		.amdhsa_system_sgpr_private_segment_wavefront_offset 0
		.amdhsa_system_sgpr_workgroup_id_x 1
		.amdhsa_system_sgpr_workgroup_id_y 0
		.amdhsa_system_sgpr_workgroup_id_z 0
		.amdhsa_system_sgpr_workgroup_info 0
		.amdhsa_system_vgpr_workitem_id 0
		.amdhsa_next_free_vgpr 1
		.amdhsa_next_free_sgpr 0
		.amdhsa_accum_offset 4
		.amdhsa_reserve_vcc 0
		.amdhsa_reserve_flat_scratch 0
		.amdhsa_float_round_mode_32 0
		.amdhsa_float_round_mode_16_64 0
		.amdhsa_float_denorm_mode_32 3
		.amdhsa_float_denorm_mode_16_64 3
		.amdhsa_dx10_clamp 1
		.amdhsa_ieee_mode 1
		.amdhsa_fp16_overflow 0
		.amdhsa_tg_split 0
		.amdhsa_exception_fp_ieee_invalid_op 0
		.amdhsa_exception_fp_denorm_src 0
		.amdhsa_exception_fp_ieee_div_zero 0
		.amdhsa_exception_fp_ieee_overflow 0
		.amdhsa_exception_fp_ieee_underflow 0
		.amdhsa_exception_fp_ieee_inexact 0
		.amdhsa_exception_int_div_zero 0
	.end_amdhsa_kernel
	.section	.text._ZN7rocprim17ROCPRIM_400000_NS6detail17trampoline_kernelINS0_14default_configENS1_29reduce_by_key_config_selectorIffN6thrust23THRUST_200600_302600_NS4plusIfEEEEZZNS1_33reduce_by_key_impl_wrapped_configILNS1_25lookback_scan_determinismE0ES3_S9_NS6_6detail15normal_iteratorINS6_10device_ptrIfEEEESG_SG_SG_PmS8_NS6_8equal_toIfEEEE10hipError_tPvRmT2_T3_mT4_T5_T6_T7_T8_P12ihipStream_tbENKUlT_T0_E_clISt17integral_constantIbLb1EES11_EEDaSW_SX_EUlSW_E_NS1_11comp_targetILNS1_3genE9ELNS1_11target_archE1100ELNS1_3gpuE3ELNS1_3repE0EEENS1_30default_config_static_selectorELNS0_4arch9wavefront6targetE1EEEvT1_,"axG",@progbits,_ZN7rocprim17ROCPRIM_400000_NS6detail17trampoline_kernelINS0_14default_configENS1_29reduce_by_key_config_selectorIffN6thrust23THRUST_200600_302600_NS4plusIfEEEEZZNS1_33reduce_by_key_impl_wrapped_configILNS1_25lookback_scan_determinismE0ES3_S9_NS6_6detail15normal_iteratorINS6_10device_ptrIfEEEESG_SG_SG_PmS8_NS6_8equal_toIfEEEE10hipError_tPvRmT2_T3_mT4_T5_T6_T7_T8_P12ihipStream_tbENKUlT_T0_E_clISt17integral_constantIbLb1EES11_EEDaSW_SX_EUlSW_E_NS1_11comp_targetILNS1_3genE9ELNS1_11target_archE1100ELNS1_3gpuE3ELNS1_3repE0EEENS1_30default_config_static_selectorELNS0_4arch9wavefront6targetE1EEEvT1_,comdat
.Lfunc_end180:
	.size	_ZN7rocprim17ROCPRIM_400000_NS6detail17trampoline_kernelINS0_14default_configENS1_29reduce_by_key_config_selectorIffN6thrust23THRUST_200600_302600_NS4plusIfEEEEZZNS1_33reduce_by_key_impl_wrapped_configILNS1_25lookback_scan_determinismE0ES3_S9_NS6_6detail15normal_iteratorINS6_10device_ptrIfEEEESG_SG_SG_PmS8_NS6_8equal_toIfEEEE10hipError_tPvRmT2_T3_mT4_T5_T6_T7_T8_P12ihipStream_tbENKUlT_T0_E_clISt17integral_constantIbLb1EES11_EEDaSW_SX_EUlSW_E_NS1_11comp_targetILNS1_3genE9ELNS1_11target_archE1100ELNS1_3gpuE3ELNS1_3repE0EEENS1_30default_config_static_selectorELNS0_4arch9wavefront6targetE1EEEvT1_, .Lfunc_end180-_ZN7rocprim17ROCPRIM_400000_NS6detail17trampoline_kernelINS0_14default_configENS1_29reduce_by_key_config_selectorIffN6thrust23THRUST_200600_302600_NS4plusIfEEEEZZNS1_33reduce_by_key_impl_wrapped_configILNS1_25lookback_scan_determinismE0ES3_S9_NS6_6detail15normal_iteratorINS6_10device_ptrIfEEEESG_SG_SG_PmS8_NS6_8equal_toIfEEEE10hipError_tPvRmT2_T3_mT4_T5_T6_T7_T8_P12ihipStream_tbENKUlT_T0_E_clISt17integral_constantIbLb1EES11_EEDaSW_SX_EUlSW_E_NS1_11comp_targetILNS1_3genE9ELNS1_11target_archE1100ELNS1_3gpuE3ELNS1_3repE0EEENS1_30default_config_static_selectorELNS0_4arch9wavefront6targetE1EEEvT1_
                                        ; -- End function
	.section	.AMDGPU.csdata,"",@progbits
; Kernel info:
; codeLenInByte = 0
; NumSgprs: 4
; NumVgprs: 0
; NumAgprs: 0
; TotalNumVgprs: 0
; ScratchSize: 0
; MemoryBound: 0
; FloatMode: 240
; IeeeMode: 1
; LDSByteSize: 0 bytes/workgroup (compile time only)
; SGPRBlocks: 0
; VGPRBlocks: 0
; NumSGPRsForWavesPerEU: 4
; NumVGPRsForWavesPerEU: 1
; AccumOffset: 4
; Occupancy: 8
; WaveLimiterHint : 0
; COMPUTE_PGM_RSRC2:SCRATCH_EN: 0
; COMPUTE_PGM_RSRC2:USER_SGPR: 6
; COMPUTE_PGM_RSRC2:TRAP_HANDLER: 0
; COMPUTE_PGM_RSRC2:TGID_X_EN: 1
; COMPUTE_PGM_RSRC2:TGID_Y_EN: 0
; COMPUTE_PGM_RSRC2:TGID_Z_EN: 0
; COMPUTE_PGM_RSRC2:TIDIG_COMP_CNT: 0
; COMPUTE_PGM_RSRC3_GFX90A:ACCUM_OFFSET: 0
; COMPUTE_PGM_RSRC3_GFX90A:TG_SPLIT: 0
	.section	.text._ZN7rocprim17ROCPRIM_400000_NS6detail17trampoline_kernelINS0_14default_configENS1_29reduce_by_key_config_selectorIffN6thrust23THRUST_200600_302600_NS4plusIfEEEEZZNS1_33reduce_by_key_impl_wrapped_configILNS1_25lookback_scan_determinismE0ES3_S9_NS6_6detail15normal_iteratorINS6_10device_ptrIfEEEESG_SG_SG_PmS8_NS6_8equal_toIfEEEE10hipError_tPvRmT2_T3_mT4_T5_T6_T7_T8_P12ihipStream_tbENKUlT_T0_E_clISt17integral_constantIbLb1EES11_EEDaSW_SX_EUlSW_E_NS1_11comp_targetILNS1_3genE8ELNS1_11target_archE1030ELNS1_3gpuE2ELNS1_3repE0EEENS1_30default_config_static_selectorELNS0_4arch9wavefront6targetE1EEEvT1_,"axG",@progbits,_ZN7rocprim17ROCPRIM_400000_NS6detail17trampoline_kernelINS0_14default_configENS1_29reduce_by_key_config_selectorIffN6thrust23THRUST_200600_302600_NS4plusIfEEEEZZNS1_33reduce_by_key_impl_wrapped_configILNS1_25lookback_scan_determinismE0ES3_S9_NS6_6detail15normal_iteratorINS6_10device_ptrIfEEEESG_SG_SG_PmS8_NS6_8equal_toIfEEEE10hipError_tPvRmT2_T3_mT4_T5_T6_T7_T8_P12ihipStream_tbENKUlT_T0_E_clISt17integral_constantIbLb1EES11_EEDaSW_SX_EUlSW_E_NS1_11comp_targetILNS1_3genE8ELNS1_11target_archE1030ELNS1_3gpuE2ELNS1_3repE0EEENS1_30default_config_static_selectorELNS0_4arch9wavefront6targetE1EEEvT1_,comdat
	.protected	_ZN7rocprim17ROCPRIM_400000_NS6detail17trampoline_kernelINS0_14default_configENS1_29reduce_by_key_config_selectorIffN6thrust23THRUST_200600_302600_NS4plusIfEEEEZZNS1_33reduce_by_key_impl_wrapped_configILNS1_25lookback_scan_determinismE0ES3_S9_NS6_6detail15normal_iteratorINS6_10device_ptrIfEEEESG_SG_SG_PmS8_NS6_8equal_toIfEEEE10hipError_tPvRmT2_T3_mT4_T5_T6_T7_T8_P12ihipStream_tbENKUlT_T0_E_clISt17integral_constantIbLb1EES11_EEDaSW_SX_EUlSW_E_NS1_11comp_targetILNS1_3genE8ELNS1_11target_archE1030ELNS1_3gpuE2ELNS1_3repE0EEENS1_30default_config_static_selectorELNS0_4arch9wavefront6targetE1EEEvT1_ ; -- Begin function _ZN7rocprim17ROCPRIM_400000_NS6detail17trampoline_kernelINS0_14default_configENS1_29reduce_by_key_config_selectorIffN6thrust23THRUST_200600_302600_NS4plusIfEEEEZZNS1_33reduce_by_key_impl_wrapped_configILNS1_25lookback_scan_determinismE0ES3_S9_NS6_6detail15normal_iteratorINS6_10device_ptrIfEEEESG_SG_SG_PmS8_NS6_8equal_toIfEEEE10hipError_tPvRmT2_T3_mT4_T5_T6_T7_T8_P12ihipStream_tbENKUlT_T0_E_clISt17integral_constantIbLb1EES11_EEDaSW_SX_EUlSW_E_NS1_11comp_targetILNS1_3genE8ELNS1_11target_archE1030ELNS1_3gpuE2ELNS1_3repE0EEENS1_30default_config_static_selectorELNS0_4arch9wavefront6targetE1EEEvT1_
	.globl	_ZN7rocprim17ROCPRIM_400000_NS6detail17trampoline_kernelINS0_14default_configENS1_29reduce_by_key_config_selectorIffN6thrust23THRUST_200600_302600_NS4plusIfEEEEZZNS1_33reduce_by_key_impl_wrapped_configILNS1_25lookback_scan_determinismE0ES3_S9_NS6_6detail15normal_iteratorINS6_10device_ptrIfEEEESG_SG_SG_PmS8_NS6_8equal_toIfEEEE10hipError_tPvRmT2_T3_mT4_T5_T6_T7_T8_P12ihipStream_tbENKUlT_T0_E_clISt17integral_constantIbLb1EES11_EEDaSW_SX_EUlSW_E_NS1_11comp_targetILNS1_3genE8ELNS1_11target_archE1030ELNS1_3gpuE2ELNS1_3repE0EEENS1_30default_config_static_selectorELNS0_4arch9wavefront6targetE1EEEvT1_
	.p2align	8
	.type	_ZN7rocprim17ROCPRIM_400000_NS6detail17trampoline_kernelINS0_14default_configENS1_29reduce_by_key_config_selectorIffN6thrust23THRUST_200600_302600_NS4plusIfEEEEZZNS1_33reduce_by_key_impl_wrapped_configILNS1_25lookback_scan_determinismE0ES3_S9_NS6_6detail15normal_iteratorINS6_10device_ptrIfEEEESG_SG_SG_PmS8_NS6_8equal_toIfEEEE10hipError_tPvRmT2_T3_mT4_T5_T6_T7_T8_P12ihipStream_tbENKUlT_T0_E_clISt17integral_constantIbLb1EES11_EEDaSW_SX_EUlSW_E_NS1_11comp_targetILNS1_3genE8ELNS1_11target_archE1030ELNS1_3gpuE2ELNS1_3repE0EEENS1_30default_config_static_selectorELNS0_4arch9wavefront6targetE1EEEvT1_,@function
_ZN7rocprim17ROCPRIM_400000_NS6detail17trampoline_kernelINS0_14default_configENS1_29reduce_by_key_config_selectorIffN6thrust23THRUST_200600_302600_NS4plusIfEEEEZZNS1_33reduce_by_key_impl_wrapped_configILNS1_25lookback_scan_determinismE0ES3_S9_NS6_6detail15normal_iteratorINS6_10device_ptrIfEEEESG_SG_SG_PmS8_NS6_8equal_toIfEEEE10hipError_tPvRmT2_T3_mT4_T5_T6_T7_T8_P12ihipStream_tbENKUlT_T0_E_clISt17integral_constantIbLb1EES11_EEDaSW_SX_EUlSW_E_NS1_11comp_targetILNS1_3genE8ELNS1_11target_archE1030ELNS1_3gpuE2ELNS1_3repE0EEENS1_30default_config_static_selectorELNS0_4arch9wavefront6targetE1EEEvT1_: ; @_ZN7rocprim17ROCPRIM_400000_NS6detail17trampoline_kernelINS0_14default_configENS1_29reduce_by_key_config_selectorIffN6thrust23THRUST_200600_302600_NS4plusIfEEEEZZNS1_33reduce_by_key_impl_wrapped_configILNS1_25lookback_scan_determinismE0ES3_S9_NS6_6detail15normal_iteratorINS6_10device_ptrIfEEEESG_SG_SG_PmS8_NS6_8equal_toIfEEEE10hipError_tPvRmT2_T3_mT4_T5_T6_T7_T8_P12ihipStream_tbENKUlT_T0_E_clISt17integral_constantIbLb1EES11_EEDaSW_SX_EUlSW_E_NS1_11comp_targetILNS1_3genE8ELNS1_11target_archE1030ELNS1_3gpuE2ELNS1_3repE0EEENS1_30default_config_static_selectorELNS0_4arch9wavefront6targetE1EEEvT1_
; %bb.0:
	.section	.rodata,"a",@progbits
	.p2align	6, 0x0
	.amdhsa_kernel _ZN7rocprim17ROCPRIM_400000_NS6detail17trampoline_kernelINS0_14default_configENS1_29reduce_by_key_config_selectorIffN6thrust23THRUST_200600_302600_NS4plusIfEEEEZZNS1_33reduce_by_key_impl_wrapped_configILNS1_25lookback_scan_determinismE0ES3_S9_NS6_6detail15normal_iteratorINS6_10device_ptrIfEEEESG_SG_SG_PmS8_NS6_8equal_toIfEEEE10hipError_tPvRmT2_T3_mT4_T5_T6_T7_T8_P12ihipStream_tbENKUlT_T0_E_clISt17integral_constantIbLb1EES11_EEDaSW_SX_EUlSW_E_NS1_11comp_targetILNS1_3genE8ELNS1_11target_archE1030ELNS1_3gpuE2ELNS1_3repE0EEENS1_30default_config_static_selectorELNS0_4arch9wavefront6targetE1EEEvT1_
		.amdhsa_group_segment_fixed_size 0
		.amdhsa_private_segment_fixed_size 0
		.amdhsa_kernarg_size 120
		.amdhsa_user_sgpr_count 6
		.amdhsa_user_sgpr_private_segment_buffer 1
		.amdhsa_user_sgpr_dispatch_ptr 0
		.amdhsa_user_sgpr_queue_ptr 0
		.amdhsa_user_sgpr_kernarg_segment_ptr 1
		.amdhsa_user_sgpr_dispatch_id 0
		.amdhsa_user_sgpr_flat_scratch_init 0
		.amdhsa_user_sgpr_kernarg_preload_length 0
		.amdhsa_user_sgpr_kernarg_preload_offset 0
		.amdhsa_user_sgpr_private_segment_size 0
		.amdhsa_uses_dynamic_stack 0
		.amdhsa_system_sgpr_private_segment_wavefront_offset 0
		.amdhsa_system_sgpr_workgroup_id_x 1
		.amdhsa_system_sgpr_workgroup_id_y 0
		.amdhsa_system_sgpr_workgroup_id_z 0
		.amdhsa_system_sgpr_workgroup_info 0
		.amdhsa_system_vgpr_workitem_id 0
		.amdhsa_next_free_vgpr 1
		.amdhsa_next_free_sgpr 0
		.amdhsa_accum_offset 4
		.amdhsa_reserve_vcc 0
		.amdhsa_reserve_flat_scratch 0
		.amdhsa_float_round_mode_32 0
		.amdhsa_float_round_mode_16_64 0
		.amdhsa_float_denorm_mode_32 3
		.amdhsa_float_denorm_mode_16_64 3
		.amdhsa_dx10_clamp 1
		.amdhsa_ieee_mode 1
		.amdhsa_fp16_overflow 0
		.amdhsa_tg_split 0
		.amdhsa_exception_fp_ieee_invalid_op 0
		.amdhsa_exception_fp_denorm_src 0
		.amdhsa_exception_fp_ieee_div_zero 0
		.amdhsa_exception_fp_ieee_overflow 0
		.amdhsa_exception_fp_ieee_underflow 0
		.amdhsa_exception_fp_ieee_inexact 0
		.amdhsa_exception_int_div_zero 0
	.end_amdhsa_kernel
	.section	.text._ZN7rocprim17ROCPRIM_400000_NS6detail17trampoline_kernelINS0_14default_configENS1_29reduce_by_key_config_selectorIffN6thrust23THRUST_200600_302600_NS4plusIfEEEEZZNS1_33reduce_by_key_impl_wrapped_configILNS1_25lookback_scan_determinismE0ES3_S9_NS6_6detail15normal_iteratorINS6_10device_ptrIfEEEESG_SG_SG_PmS8_NS6_8equal_toIfEEEE10hipError_tPvRmT2_T3_mT4_T5_T6_T7_T8_P12ihipStream_tbENKUlT_T0_E_clISt17integral_constantIbLb1EES11_EEDaSW_SX_EUlSW_E_NS1_11comp_targetILNS1_3genE8ELNS1_11target_archE1030ELNS1_3gpuE2ELNS1_3repE0EEENS1_30default_config_static_selectorELNS0_4arch9wavefront6targetE1EEEvT1_,"axG",@progbits,_ZN7rocprim17ROCPRIM_400000_NS6detail17trampoline_kernelINS0_14default_configENS1_29reduce_by_key_config_selectorIffN6thrust23THRUST_200600_302600_NS4plusIfEEEEZZNS1_33reduce_by_key_impl_wrapped_configILNS1_25lookback_scan_determinismE0ES3_S9_NS6_6detail15normal_iteratorINS6_10device_ptrIfEEEESG_SG_SG_PmS8_NS6_8equal_toIfEEEE10hipError_tPvRmT2_T3_mT4_T5_T6_T7_T8_P12ihipStream_tbENKUlT_T0_E_clISt17integral_constantIbLb1EES11_EEDaSW_SX_EUlSW_E_NS1_11comp_targetILNS1_3genE8ELNS1_11target_archE1030ELNS1_3gpuE2ELNS1_3repE0EEENS1_30default_config_static_selectorELNS0_4arch9wavefront6targetE1EEEvT1_,comdat
.Lfunc_end181:
	.size	_ZN7rocprim17ROCPRIM_400000_NS6detail17trampoline_kernelINS0_14default_configENS1_29reduce_by_key_config_selectorIffN6thrust23THRUST_200600_302600_NS4plusIfEEEEZZNS1_33reduce_by_key_impl_wrapped_configILNS1_25lookback_scan_determinismE0ES3_S9_NS6_6detail15normal_iteratorINS6_10device_ptrIfEEEESG_SG_SG_PmS8_NS6_8equal_toIfEEEE10hipError_tPvRmT2_T3_mT4_T5_T6_T7_T8_P12ihipStream_tbENKUlT_T0_E_clISt17integral_constantIbLb1EES11_EEDaSW_SX_EUlSW_E_NS1_11comp_targetILNS1_3genE8ELNS1_11target_archE1030ELNS1_3gpuE2ELNS1_3repE0EEENS1_30default_config_static_selectorELNS0_4arch9wavefront6targetE1EEEvT1_, .Lfunc_end181-_ZN7rocprim17ROCPRIM_400000_NS6detail17trampoline_kernelINS0_14default_configENS1_29reduce_by_key_config_selectorIffN6thrust23THRUST_200600_302600_NS4plusIfEEEEZZNS1_33reduce_by_key_impl_wrapped_configILNS1_25lookback_scan_determinismE0ES3_S9_NS6_6detail15normal_iteratorINS6_10device_ptrIfEEEESG_SG_SG_PmS8_NS6_8equal_toIfEEEE10hipError_tPvRmT2_T3_mT4_T5_T6_T7_T8_P12ihipStream_tbENKUlT_T0_E_clISt17integral_constantIbLb1EES11_EEDaSW_SX_EUlSW_E_NS1_11comp_targetILNS1_3genE8ELNS1_11target_archE1030ELNS1_3gpuE2ELNS1_3repE0EEENS1_30default_config_static_selectorELNS0_4arch9wavefront6targetE1EEEvT1_
                                        ; -- End function
	.section	.AMDGPU.csdata,"",@progbits
; Kernel info:
; codeLenInByte = 0
; NumSgprs: 4
; NumVgprs: 0
; NumAgprs: 0
; TotalNumVgprs: 0
; ScratchSize: 0
; MemoryBound: 0
; FloatMode: 240
; IeeeMode: 1
; LDSByteSize: 0 bytes/workgroup (compile time only)
; SGPRBlocks: 0
; VGPRBlocks: 0
; NumSGPRsForWavesPerEU: 4
; NumVGPRsForWavesPerEU: 1
; AccumOffset: 4
; Occupancy: 8
; WaveLimiterHint : 0
; COMPUTE_PGM_RSRC2:SCRATCH_EN: 0
; COMPUTE_PGM_RSRC2:USER_SGPR: 6
; COMPUTE_PGM_RSRC2:TRAP_HANDLER: 0
; COMPUTE_PGM_RSRC2:TGID_X_EN: 1
; COMPUTE_PGM_RSRC2:TGID_Y_EN: 0
; COMPUTE_PGM_RSRC2:TGID_Z_EN: 0
; COMPUTE_PGM_RSRC2:TIDIG_COMP_CNT: 0
; COMPUTE_PGM_RSRC3_GFX90A:ACCUM_OFFSET: 0
; COMPUTE_PGM_RSRC3_GFX90A:TG_SPLIT: 0
	.section	.text._ZN7rocprim17ROCPRIM_400000_NS6detail17trampoline_kernelINS0_14default_configENS1_29reduce_by_key_config_selectorIffN6thrust23THRUST_200600_302600_NS4plusIfEEEEZZNS1_33reduce_by_key_impl_wrapped_configILNS1_25lookback_scan_determinismE0ES3_S9_NS6_6detail15normal_iteratorINS6_10device_ptrIfEEEESG_SG_SG_PmS8_NS6_8equal_toIfEEEE10hipError_tPvRmT2_T3_mT4_T5_T6_T7_T8_P12ihipStream_tbENKUlT_T0_E_clISt17integral_constantIbLb1EES10_IbLb0EEEEDaSW_SX_EUlSW_E_NS1_11comp_targetILNS1_3genE0ELNS1_11target_archE4294967295ELNS1_3gpuE0ELNS1_3repE0EEENS1_30default_config_static_selectorELNS0_4arch9wavefront6targetE1EEEvT1_,"axG",@progbits,_ZN7rocprim17ROCPRIM_400000_NS6detail17trampoline_kernelINS0_14default_configENS1_29reduce_by_key_config_selectorIffN6thrust23THRUST_200600_302600_NS4plusIfEEEEZZNS1_33reduce_by_key_impl_wrapped_configILNS1_25lookback_scan_determinismE0ES3_S9_NS6_6detail15normal_iteratorINS6_10device_ptrIfEEEESG_SG_SG_PmS8_NS6_8equal_toIfEEEE10hipError_tPvRmT2_T3_mT4_T5_T6_T7_T8_P12ihipStream_tbENKUlT_T0_E_clISt17integral_constantIbLb1EES10_IbLb0EEEEDaSW_SX_EUlSW_E_NS1_11comp_targetILNS1_3genE0ELNS1_11target_archE4294967295ELNS1_3gpuE0ELNS1_3repE0EEENS1_30default_config_static_selectorELNS0_4arch9wavefront6targetE1EEEvT1_,comdat
	.protected	_ZN7rocprim17ROCPRIM_400000_NS6detail17trampoline_kernelINS0_14default_configENS1_29reduce_by_key_config_selectorIffN6thrust23THRUST_200600_302600_NS4plusIfEEEEZZNS1_33reduce_by_key_impl_wrapped_configILNS1_25lookback_scan_determinismE0ES3_S9_NS6_6detail15normal_iteratorINS6_10device_ptrIfEEEESG_SG_SG_PmS8_NS6_8equal_toIfEEEE10hipError_tPvRmT2_T3_mT4_T5_T6_T7_T8_P12ihipStream_tbENKUlT_T0_E_clISt17integral_constantIbLb1EES10_IbLb0EEEEDaSW_SX_EUlSW_E_NS1_11comp_targetILNS1_3genE0ELNS1_11target_archE4294967295ELNS1_3gpuE0ELNS1_3repE0EEENS1_30default_config_static_selectorELNS0_4arch9wavefront6targetE1EEEvT1_ ; -- Begin function _ZN7rocprim17ROCPRIM_400000_NS6detail17trampoline_kernelINS0_14default_configENS1_29reduce_by_key_config_selectorIffN6thrust23THRUST_200600_302600_NS4plusIfEEEEZZNS1_33reduce_by_key_impl_wrapped_configILNS1_25lookback_scan_determinismE0ES3_S9_NS6_6detail15normal_iteratorINS6_10device_ptrIfEEEESG_SG_SG_PmS8_NS6_8equal_toIfEEEE10hipError_tPvRmT2_T3_mT4_T5_T6_T7_T8_P12ihipStream_tbENKUlT_T0_E_clISt17integral_constantIbLb1EES10_IbLb0EEEEDaSW_SX_EUlSW_E_NS1_11comp_targetILNS1_3genE0ELNS1_11target_archE4294967295ELNS1_3gpuE0ELNS1_3repE0EEENS1_30default_config_static_selectorELNS0_4arch9wavefront6targetE1EEEvT1_
	.globl	_ZN7rocprim17ROCPRIM_400000_NS6detail17trampoline_kernelINS0_14default_configENS1_29reduce_by_key_config_selectorIffN6thrust23THRUST_200600_302600_NS4plusIfEEEEZZNS1_33reduce_by_key_impl_wrapped_configILNS1_25lookback_scan_determinismE0ES3_S9_NS6_6detail15normal_iteratorINS6_10device_ptrIfEEEESG_SG_SG_PmS8_NS6_8equal_toIfEEEE10hipError_tPvRmT2_T3_mT4_T5_T6_T7_T8_P12ihipStream_tbENKUlT_T0_E_clISt17integral_constantIbLb1EES10_IbLb0EEEEDaSW_SX_EUlSW_E_NS1_11comp_targetILNS1_3genE0ELNS1_11target_archE4294967295ELNS1_3gpuE0ELNS1_3repE0EEENS1_30default_config_static_selectorELNS0_4arch9wavefront6targetE1EEEvT1_
	.p2align	8
	.type	_ZN7rocprim17ROCPRIM_400000_NS6detail17trampoline_kernelINS0_14default_configENS1_29reduce_by_key_config_selectorIffN6thrust23THRUST_200600_302600_NS4plusIfEEEEZZNS1_33reduce_by_key_impl_wrapped_configILNS1_25lookback_scan_determinismE0ES3_S9_NS6_6detail15normal_iteratorINS6_10device_ptrIfEEEESG_SG_SG_PmS8_NS6_8equal_toIfEEEE10hipError_tPvRmT2_T3_mT4_T5_T6_T7_T8_P12ihipStream_tbENKUlT_T0_E_clISt17integral_constantIbLb1EES10_IbLb0EEEEDaSW_SX_EUlSW_E_NS1_11comp_targetILNS1_3genE0ELNS1_11target_archE4294967295ELNS1_3gpuE0ELNS1_3repE0EEENS1_30default_config_static_selectorELNS0_4arch9wavefront6targetE1EEEvT1_,@function
_ZN7rocprim17ROCPRIM_400000_NS6detail17trampoline_kernelINS0_14default_configENS1_29reduce_by_key_config_selectorIffN6thrust23THRUST_200600_302600_NS4plusIfEEEEZZNS1_33reduce_by_key_impl_wrapped_configILNS1_25lookback_scan_determinismE0ES3_S9_NS6_6detail15normal_iteratorINS6_10device_ptrIfEEEESG_SG_SG_PmS8_NS6_8equal_toIfEEEE10hipError_tPvRmT2_T3_mT4_T5_T6_T7_T8_P12ihipStream_tbENKUlT_T0_E_clISt17integral_constantIbLb1EES10_IbLb0EEEEDaSW_SX_EUlSW_E_NS1_11comp_targetILNS1_3genE0ELNS1_11target_archE4294967295ELNS1_3gpuE0ELNS1_3repE0EEENS1_30default_config_static_selectorELNS0_4arch9wavefront6targetE1EEEvT1_: ; @_ZN7rocprim17ROCPRIM_400000_NS6detail17trampoline_kernelINS0_14default_configENS1_29reduce_by_key_config_selectorIffN6thrust23THRUST_200600_302600_NS4plusIfEEEEZZNS1_33reduce_by_key_impl_wrapped_configILNS1_25lookback_scan_determinismE0ES3_S9_NS6_6detail15normal_iteratorINS6_10device_ptrIfEEEESG_SG_SG_PmS8_NS6_8equal_toIfEEEE10hipError_tPvRmT2_T3_mT4_T5_T6_T7_T8_P12ihipStream_tbENKUlT_T0_E_clISt17integral_constantIbLb1EES10_IbLb0EEEEDaSW_SX_EUlSW_E_NS1_11comp_targetILNS1_3genE0ELNS1_11target_archE4294967295ELNS1_3gpuE0ELNS1_3repE0EEENS1_30default_config_static_selectorELNS0_4arch9wavefront6targetE1EEEvT1_
; %bb.0:
	.section	.rodata,"a",@progbits
	.p2align	6, 0x0
	.amdhsa_kernel _ZN7rocprim17ROCPRIM_400000_NS6detail17trampoline_kernelINS0_14default_configENS1_29reduce_by_key_config_selectorIffN6thrust23THRUST_200600_302600_NS4plusIfEEEEZZNS1_33reduce_by_key_impl_wrapped_configILNS1_25lookback_scan_determinismE0ES3_S9_NS6_6detail15normal_iteratorINS6_10device_ptrIfEEEESG_SG_SG_PmS8_NS6_8equal_toIfEEEE10hipError_tPvRmT2_T3_mT4_T5_T6_T7_T8_P12ihipStream_tbENKUlT_T0_E_clISt17integral_constantIbLb1EES10_IbLb0EEEEDaSW_SX_EUlSW_E_NS1_11comp_targetILNS1_3genE0ELNS1_11target_archE4294967295ELNS1_3gpuE0ELNS1_3repE0EEENS1_30default_config_static_selectorELNS0_4arch9wavefront6targetE1EEEvT1_
		.amdhsa_group_segment_fixed_size 0
		.amdhsa_private_segment_fixed_size 0
		.amdhsa_kernarg_size 120
		.amdhsa_user_sgpr_count 6
		.amdhsa_user_sgpr_private_segment_buffer 1
		.amdhsa_user_sgpr_dispatch_ptr 0
		.amdhsa_user_sgpr_queue_ptr 0
		.amdhsa_user_sgpr_kernarg_segment_ptr 1
		.amdhsa_user_sgpr_dispatch_id 0
		.amdhsa_user_sgpr_flat_scratch_init 0
		.amdhsa_user_sgpr_kernarg_preload_length 0
		.amdhsa_user_sgpr_kernarg_preload_offset 0
		.amdhsa_user_sgpr_private_segment_size 0
		.amdhsa_uses_dynamic_stack 0
		.amdhsa_system_sgpr_private_segment_wavefront_offset 0
		.amdhsa_system_sgpr_workgroup_id_x 1
		.amdhsa_system_sgpr_workgroup_id_y 0
		.amdhsa_system_sgpr_workgroup_id_z 0
		.amdhsa_system_sgpr_workgroup_info 0
		.amdhsa_system_vgpr_workitem_id 0
		.amdhsa_next_free_vgpr 1
		.amdhsa_next_free_sgpr 0
		.amdhsa_accum_offset 4
		.amdhsa_reserve_vcc 0
		.amdhsa_reserve_flat_scratch 0
		.amdhsa_float_round_mode_32 0
		.amdhsa_float_round_mode_16_64 0
		.amdhsa_float_denorm_mode_32 3
		.amdhsa_float_denorm_mode_16_64 3
		.amdhsa_dx10_clamp 1
		.amdhsa_ieee_mode 1
		.amdhsa_fp16_overflow 0
		.amdhsa_tg_split 0
		.amdhsa_exception_fp_ieee_invalid_op 0
		.amdhsa_exception_fp_denorm_src 0
		.amdhsa_exception_fp_ieee_div_zero 0
		.amdhsa_exception_fp_ieee_overflow 0
		.amdhsa_exception_fp_ieee_underflow 0
		.amdhsa_exception_fp_ieee_inexact 0
		.amdhsa_exception_int_div_zero 0
	.end_amdhsa_kernel
	.section	.text._ZN7rocprim17ROCPRIM_400000_NS6detail17trampoline_kernelINS0_14default_configENS1_29reduce_by_key_config_selectorIffN6thrust23THRUST_200600_302600_NS4plusIfEEEEZZNS1_33reduce_by_key_impl_wrapped_configILNS1_25lookback_scan_determinismE0ES3_S9_NS6_6detail15normal_iteratorINS6_10device_ptrIfEEEESG_SG_SG_PmS8_NS6_8equal_toIfEEEE10hipError_tPvRmT2_T3_mT4_T5_T6_T7_T8_P12ihipStream_tbENKUlT_T0_E_clISt17integral_constantIbLb1EES10_IbLb0EEEEDaSW_SX_EUlSW_E_NS1_11comp_targetILNS1_3genE0ELNS1_11target_archE4294967295ELNS1_3gpuE0ELNS1_3repE0EEENS1_30default_config_static_selectorELNS0_4arch9wavefront6targetE1EEEvT1_,"axG",@progbits,_ZN7rocprim17ROCPRIM_400000_NS6detail17trampoline_kernelINS0_14default_configENS1_29reduce_by_key_config_selectorIffN6thrust23THRUST_200600_302600_NS4plusIfEEEEZZNS1_33reduce_by_key_impl_wrapped_configILNS1_25lookback_scan_determinismE0ES3_S9_NS6_6detail15normal_iteratorINS6_10device_ptrIfEEEESG_SG_SG_PmS8_NS6_8equal_toIfEEEE10hipError_tPvRmT2_T3_mT4_T5_T6_T7_T8_P12ihipStream_tbENKUlT_T0_E_clISt17integral_constantIbLb1EES10_IbLb0EEEEDaSW_SX_EUlSW_E_NS1_11comp_targetILNS1_3genE0ELNS1_11target_archE4294967295ELNS1_3gpuE0ELNS1_3repE0EEENS1_30default_config_static_selectorELNS0_4arch9wavefront6targetE1EEEvT1_,comdat
.Lfunc_end182:
	.size	_ZN7rocprim17ROCPRIM_400000_NS6detail17trampoline_kernelINS0_14default_configENS1_29reduce_by_key_config_selectorIffN6thrust23THRUST_200600_302600_NS4plusIfEEEEZZNS1_33reduce_by_key_impl_wrapped_configILNS1_25lookback_scan_determinismE0ES3_S9_NS6_6detail15normal_iteratorINS6_10device_ptrIfEEEESG_SG_SG_PmS8_NS6_8equal_toIfEEEE10hipError_tPvRmT2_T3_mT4_T5_T6_T7_T8_P12ihipStream_tbENKUlT_T0_E_clISt17integral_constantIbLb1EES10_IbLb0EEEEDaSW_SX_EUlSW_E_NS1_11comp_targetILNS1_3genE0ELNS1_11target_archE4294967295ELNS1_3gpuE0ELNS1_3repE0EEENS1_30default_config_static_selectorELNS0_4arch9wavefront6targetE1EEEvT1_, .Lfunc_end182-_ZN7rocprim17ROCPRIM_400000_NS6detail17trampoline_kernelINS0_14default_configENS1_29reduce_by_key_config_selectorIffN6thrust23THRUST_200600_302600_NS4plusIfEEEEZZNS1_33reduce_by_key_impl_wrapped_configILNS1_25lookback_scan_determinismE0ES3_S9_NS6_6detail15normal_iteratorINS6_10device_ptrIfEEEESG_SG_SG_PmS8_NS6_8equal_toIfEEEE10hipError_tPvRmT2_T3_mT4_T5_T6_T7_T8_P12ihipStream_tbENKUlT_T0_E_clISt17integral_constantIbLb1EES10_IbLb0EEEEDaSW_SX_EUlSW_E_NS1_11comp_targetILNS1_3genE0ELNS1_11target_archE4294967295ELNS1_3gpuE0ELNS1_3repE0EEENS1_30default_config_static_selectorELNS0_4arch9wavefront6targetE1EEEvT1_
                                        ; -- End function
	.section	.AMDGPU.csdata,"",@progbits
; Kernel info:
; codeLenInByte = 0
; NumSgprs: 4
; NumVgprs: 0
; NumAgprs: 0
; TotalNumVgprs: 0
; ScratchSize: 0
; MemoryBound: 0
; FloatMode: 240
; IeeeMode: 1
; LDSByteSize: 0 bytes/workgroup (compile time only)
; SGPRBlocks: 0
; VGPRBlocks: 0
; NumSGPRsForWavesPerEU: 4
; NumVGPRsForWavesPerEU: 1
; AccumOffset: 4
; Occupancy: 8
; WaveLimiterHint : 0
; COMPUTE_PGM_RSRC2:SCRATCH_EN: 0
; COMPUTE_PGM_RSRC2:USER_SGPR: 6
; COMPUTE_PGM_RSRC2:TRAP_HANDLER: 0
; COMPUTE_PGM_RSRC2:TGID_X_EN: 1
; COMPUTE_PGM_RSRC2:TGID_Y_EN: 0
; COMPUTE_PGM_RSRC2:TGID_Z_EN: 0
; COMPUTE_PGM_RSRC2:TIDIG_COMP_CNT: 0
; COMPUTE_PGM_RSRC3_GFX90A:ACCUM_OFFSET: 0
; COMPUTE_PGM_RSRC3_GFX90A:TG_SPLIT: 0
	.section	.text._ZN7rocprim17ROCPRIM_400000_NS6detail17trampoline_kernelINS0_14default_configENS1_29reduce_by_key_config_selectorIffN6thrust23THRUST_200600_302600_NS4plusIfEEEEZZNS1_33reduce_by_key_impl_wrapped_configILNS1_25lookback_scan_determinismE0ES3_S9_NS6_6detail15normal_iteratorINS6_10device_ptrIfEEEESG_SG_SG_PmS8_NS6_8equal_toIfEEEE10hipError_tPvRmT2_T3_mT4_T5_T6_T7_T8_P12ihipStream_tbENKUlT_T0_E_clISt17integral_constantIbLb1EES10_IbLb0EEEEDaSW_SX_EUlSW_E_NS1_11comp_targetILNS1_3genE5ELNS1_11target_archE942ELNS1_3gpuE9ELNS1_3repE0EEENS1_30default_config_static_selectorELNS0_4arch9wavefront6targetE1EEEvT1_,"axG",@progbits,_ZN7rocprim17ROCPRIM_400000_NS6detail17trampoline_kernelINS0_14default_configENS1_29reduce_by_key_config_selectorIffN6thrust23THRUST_200600_302600_NS4plusIfEEEEZZNS1_33reduce_by_key_impl_wrapped_configILNS1_25lookback_scan_determinismE0ES3_S9_NS6_6detail15normal_iteratorINS6_10device_ptrIfEEEESG_SG_SG_PmS8_NS6_8equal_toIfEEEE10hipError_tPvRmT2_T3_mT4_T5_T6_T7_T8_P12ihipStream_tbENKUlT_T0_E_clISt17integral_constantIbLb1EES10_IbLb0EEEEDaSW_SX_EUlSW_E_NS1_11comp_targetILNS1_3genE5ELNS1_11target_archE942ELNS1_3gpuE9ELNS1_3repE0EEENS1_30default_config_static_selectorELNS0_4arch9wavefront6targetE1EEEvT1_,comdat
	.protected	_ZN7rocprim17ROCPRIM_400000_NS6detail17trampoline_kernelINS0_14default_configENS1_29reduce_by_key_config_selectorIffN6thrust23THRUST_200600_302600_NS4plusIfEEEEZZNS1_33reduce_by_key_impl_wrapped_configILNS1_25lookback_scan_determinismE0ES3_S9_NS6_6detail15normal_iteratorINS6_10device_ptrIfEEEESG_SG_SG_PmS8_NS6_8equal_toIfEEEE10hipError_tPvRmT2_T3_mT4_T5_T6_T7_T8_P12ihipStream_tbENKUlT_T0_E_clISt17integral_constantIbLb1EES10_IbLb0EEEEDaSW_SX_EUlSW_E_NS1_11comp_targetILNS1_3genE5ELNS1_11target_archE942ELNS1_3gpuE9ELNS1_3repE0EEENS1_30default_config_static_selectorELNS0_4arch9wavefront6targetE1EEEvT1_ ; -- Begin function _ZN7rocprim17ROCPRIM_400000_NS6detail17trampoline_kernelINS0_14default_configENS1_29reduce_by_key_config_selectorIffN6thrust23THRUST_200600_302600_NS4plusIfEEEEZZNS1_33reduce_by_key_impl_wrapped_configILNS1_25lookback_scan_determinismE0ES3_S9_NS6_6detail15normal_iteratorINS6_10device_ptrIfEEEESG_SG_SG_PmS8_NS6_8equal_toIfEEEE10hipError_tPvRmT2_T3_mT4_T5_T6_T7_T8_P12ihipStream_tbENKUlT_T0_E_clISt17integral_constantIbLb1EES10_IbLb0EEEEDaSW_SX_EUlSW_E_NS1_11comp_targetILNS1_3genE5ELNS1_11target_archE942ELNS1_3gpuE9ELNS1_3repE0EEENS1_30default_config_static_selectorELNS0_4arch9wavefront6targetE1EEEvT1_
	.globl	_ZN7rocprim17ROCPRIM_400000_NS6detail17trampoline_kernelINS0_14default_configENS1_29reduce_by_key_config_selectorIffN6thrust23THRUST_200600_302600_NS4plusIfEEEEZZNS1_33reduce_by_key_impl_wrapped_configILNS1_25lookback_scan_determinismE0ES3_S9_NS6_6detail15normal_iteratorINS6_10device_ptrIfEEEESG_SG_SG_PmS8_NS6_8equal_toIfEEEE10hipError_tPvRmT2_T3_mT4_T5_T6_T7_T8_P12ihipStream_tbENKUlT_T0_E_clISt17integral_constantIbLb1EES10_IbLb0EEEEDaSW_SX_EUlSW_E_NS1_11comp_targetILNS1_3genE5ELNS1_11target_archE942ELNS1_3gpuE9ELNS1_3repE0EEENS1_30default_config_static_selectorELNS0_4arch9wavefront6targetE1EEEvT1_
	.p2align	8
	.type	_ZN7rocprim17ROCPRIM_400000_NS6detail17trampoline_kernelINS0_14default_configENS1_29reduce_by_key_config_selectorIffN6thrust23THRUST_200600_302600_NS4plusIfEEEEZZNS1_33reduce_by_key_impl_wrapped_configILNS1_25lookback_scan_determinismE0ES3_S9_NS6_6detail15normal_iteratorINS6_10device_ptrIfEEEESG_SG_SG_PmS8_NS6_8equal_toIfEEEE10hipError_tPvRmT2_T3_mT4_T5_T6_T7_T8_P12ihipStream_tbENKUlT_T0_E_clISt17integral_constantIbLb1EES10_IbLb0EEEEDaSW_SX_EUlSW_E_NS1_11comp_targetILNS1_3genE5ELNS1_11target_archE942ELNS1_3gpuE9ELNS1_3repE0EEENS1_30default_config_static_selectorELNS0_4arch9wavefront6targetE1EEEvT1_,@function
_ZN7rocprim17ROCPRIM_400000_NS6detail17trampoline_kernelINS0_14default_configENS1_29reduce_by_key_config_selectorIffN6thrust23THRUST_200600_302600_NS4plusIfEEEEZZNS1_33reduce_by_key_impl_wrapped_configILNS1_25lookback_scan_determinismE0ES3_S9_NS6_6detail15normal_iteratorINS6_10device_ptrIfEEEESG_SG_SG_PmS8_NS6_8equal_toIfEEEE10hipError_tPvRmT2_T3_mT4_T5_T6_T7_T8_P12ihipStream_tbENKUlT_T0_E_clISt17integral_constantIbLb1EES10_IbLb0EEEEDaSW_SX_EUlSW_E_NS1_11comp_targetILNS1_3genE5ELNS1_11target_archE942ELNS1_3gpuE9ELNS1_3repE0EEENS1_30default_config_static_selectorELNS0_4arch9wavefront6targetE1EEEvT1_: ; @_ZN7rocprim17ROCPRIM_400000_NS6detail17trampoline_kernelINS0_14default_configENS1_29reduce_by_key_config_selectorIffN6thrust23THRUST_200600_302600_NS4plusIfEEEEZZNS1_33reduce_by_key_impl_wrapped_configILNS1_25lookback_scan_determinismE0ES3_S9_NS6_6detail15normal_iteratorINS6_10device_ptrIfEEEESG_SG_SG_PmS8_NS6_8equal_toIfEEEE10hipError_tPvRmT2_T3_mT4_T5_T6_T7_T8_P12ihipStream_tbENKUlT_T0_E_clISt17integral_constantIbLb1EES10_IbLb0EEEEDaSW_SX_EUlSW_E_NS1_11comp_targetILNS1_3genE5ELNS1_11target_archE942ELNS1_3gpuE9ELNS1_3repE0EEENS1_30default_config_static_selectorELNS0_4arch9wavefront6targetE1EEEvT1_
; %bb.0:
	.section	.rodata,"a",@progbits
	.p2align	6, 0x0
	.amdhsa_kernel _ZN7rocprim17ROCPRIM_400000_NS6detail17trampoline_kernelINS0_14default_configENS1_29reduce_by_key_config_selectorIffN6thrust23THRUST_200600_302600_NS4plusIfEEEEZZNS1_33reduce_by_key_impl_wrapped_configILNS1_25lookback_scan_determinismE0ES3_S9_NS6_6detail15normal_iteratorINS6_10device_ptrIfEEEESG_SG_SG_PmS8_NS6_8equal_toIfEEEE10hipError_tPvRmT2_T3_mT4_T5_T6_T7_T8_P12ihipStream_tbENKUlT_T0_E_clISt17integral_constantIbLb1EES10_IbLb0EEEEDaSW_SX_EUlSW_E_NS1_11comp_targetILNS1_3genE5ELNS1_11target_archE942ELNS1_3gpuE9ELNS1_3repE0EEENS1_30default_config_static_selectorELNS0_4arch9wavefront6targetE1EEEvT1_
		.amdhsa_group_segment_fixed_size 0
		.amdhsa_private_segment_fixed_size 0
		.amdhsa_kernarg_size 120
		.amdhsa_user_sgpr_count 6
		.amdhsa_user_sgpr_private_segment_buffer 1
		.amdhsa_user_sgpr_dispatch_ptr 0
		.amdhsa_user_sgpr_queue_ptr 0
		.amdhsa_user_sgpr_kernarg_segment_ptr 1
		.amdhsa_user_sgpr_dispatch_id 0
		.amdhsa_user_sgpr_flat_scratch_init 0
		.amdhsa_user_sgpr_kernarg_preload_length 0
		.amdhsa_user_sgpr_kernarg_preload_offset 0
		.amdhsa_user_sgpr_private_segment_size 0
		.amdhsa_uses_dynamic_stack 0
		.amdhsa_system_sgpr_private_segment_wavefront_offset 0
		.amdhsa_system_sgpr_workgroup_id_x 1
		.amdhsa_system_sgpr_workgroup_id_y 0
		.amdhsa_system_sgpr_workgroup_id_z 0
		.amdhsa_system_sgpr_workgroup_info 0
		.amdhsa_system_vgpr_workitem_id 0
		.amdhsa_next_free_vgpr 1
		.amdhsa_next_free_sgpr 0
		.amdhsa_accum_offset 4
		.amdhsa_reserve_vcc 0
		.amdhsa_reserve_flat_scratch 0
		.amdhsa_float_round_mode_32 0
		.amdhsa_float_round_mode_16_64 0
		.amdhsa_float_denorm_mode_32 3
		.amdhsa_float_denorm_mode_16_64 3
		.amdhsa_dx10_clamp 1
		.amdhsa_ieee_mode 1
		.amdhsa_fp16_overflow 0
		.amdhsa_tg_split 0
		.amdhsa_exception_fp_ieee_invalid_op 0
		.amdhsa_exception_fp_denorm_src 0
		.amdhsa_exception_fp_ieee_div_zero 0
		.amdhsa_exception_fp_ieee_overflow 0
		.amdhsa_exception_fp_ieee_underflow 0
		.amdhsa_exception_fp_ieee_inexact 0
		.amdhsa_exception_int_div_zero 0
	.end_amdhsa_kernel
	.section	.text._ZN7rocprim17ROCPRIM_400000_NS6detail17trampoline_kernelINS0_14default_configENS1_29reduce_by_key_config_selectorIffN6thrust23THRUST_200600_302600_NS4plusIfEEEEZZNS1_33reduce_by_key_impl_wrapped_configILNS1_25lookback_scan_determinismE0ES3_S9_NS6_6detail15normal_iteratorINS6_10device_ptrIfEEEESG_SG_SG_PmS8_NS6_8equal_toIfEEEE10hipError_tPvRmT2_T3_mT4_T5_T6_T7_T8_P12ihipStream_tbENKUlT_T0_E_clISt17integral_constantIbLb1EES10_IbLb0EEEEDaSW_SX_EUlSW_E_NS1_11comp_targetILNS1_3genE5ELNS1_11target_archE942ELNS1_3gpuE9ELNS1_3repE0EEENS1_30default_config_static_selectorELNS0_4arch9wavefront6targetE1EEEvT1_,"axG",@progbits,_ZN7rocprim17ROCPRIM_400000_NS6detail17trampoline_kernelINS0_14default_configENS1_29reduce_by_key_config_selectorIffN6thrust23THRUST_200600_302600_NS4plusIfEEEEZZNS1_33reduce_by_key_impl_wrapped_configILNS1_25lookback_scan_determinismE0ES3_S9_NS6_6detail15normal_iteratorINS6_10device_ptrIfEEEESG_SG_SG_PmS8_NS6_8equal_toIfEEEE10hipError_tPvRmT2_T3_mT4_T5_T6_T7_T8_P12ihipStream_tbENKUlT_T0_E_clISt17integral_constantIbLb1EES10_IbLb0EEEEDaSW_SX_EUlSW_E_NS1_11comp_targetILNS1_3genE5ELNS1_11target_archE942ELNS1_3gpuE9ELNS1_3repE0EEENS1_30default_config_static_selectorELNS0_4arch9wavefront6targetE1EEEvT1_,comdat
.Lfunc_end183:
	.size	_ZN7rocprim17ROCPRIM_400000_NS6detail17trampoline_kernelINS0_14default_configENS1_29reduce_by_key_config_selectorIffN6thrust23THRUST_200600_302600_NS4plusIfEEEEZZNS1_33reduce_by_key_impl_wrapped_configILNS1_25lookback_scan_determinismE0ES3_S9_NS6_6detail15normal_iteratorINS6_10device_ptrIfEEEESG_SG_SG_PmS8_NS6_8equal_toIfEEEE10hipError_tPvRmT2_T3_mT4_T5_T6_T7_T8_P12ihipStream_tbENKUlT_T0_E_clISt17integral_constantIbLb1EES10_IbLb0EEEEDaSW_SX_EUlSW_E_NS1_11comp_targetILNS1_3genE5ELNS1_11target_archE942ELNS1_3gpuE9ELNS1_3repE0EEENS1_30default_config_static_selectorELNS0_4arch9wavefront6targetE1EEEvT1_, .Lfunc_end183-_ZN7rocprim17ROCPRIM_400000_NS6detail17trampoline_kernelINS0_14default_configENS1_29reduce_by_key_config_selectorIffN6thrust23THRUST_200600_302600_NS4plusIfEEEEZZNS1_33reduce_by_key_impl_wrapped_configILNS1_25lookback_scan_determinismE0ES3_S9_NS6_6detail15normal_iteratorINS6_10device_ptrIfEEEESG_SG_SG_PmS8_NS6_8equal_toIfEEEE10hipError_tPvRmT2_T3_mT4_T5_T6_T7_T8_P12ihipStream_tbENKUlT_T0_E_clISt17integral_constantIbLb1EES10_IbLb0EEEEDaSW_SX_EUlSW_E_NS1_11comp_targetILNS1_3genE5ELNS1_11target_archE942ELNS1_3gpuE9ELNS1_3repE0EEENS1_30default_config_static_selectorELNS0_4arch9wavefront6targetE1EEEvT1_
                                        ; -- End function
	.section	.AMDGPU.csdata,"",@progbits
; Kernel info:
; codeLenInByte = 0
; NumSgprs: 4
; NumVgprs: 0
; NumAgprs: 0
; TotalNumVgprs: 0
; ScratchSize: 0
; MemoryBound: 0
; FloatMode: 240
; IeeeMode: 1
; LDSByteSize: 0 bytes/workgroup (compile time only)
; SGPRBlocks: 0
; VGPRBlocks: 0
; NumSGPRsForWavesPerEU: 4
; NumVGPRsForWavesPerEU: 1
; AccumOffset: 4
; Occupancy: 8
; WaveLimiterHint : 0
; COMPUTE_PGM_RSRC2:SCRATCH_EN: 0
; COMPUTE_PGM_RSRC2:USER_SGPR: 6
; COMPUTE_PGM_RSRC2:TRAP_HANDLER: 0
; COMPUTE_PGM_RSRC2:TGID_X_EN: 1
; COMPUTE_PGM_RSRC2:TGID_Y_EN: 0
; COMPUTE_PGM_RSRC2:TGID_Z_EN: 0
; COMPUTE_PGM_RSRC2:TIDIG_COMP_CNT: 0
; COMPUTE_PGM_RSRC3_GFX90A:ACCUM_OFFSET: 0
; COMPUTE_PGM_RSRC3_GFX90A:TG_SPLIT: 0
	.section	.text._ZN7rocprim17ROCPRIM_400000_NS6detail17trampoline_kernelINS0_14default_configENS1_29reduce_by_key_config_selectorIffN6thrust23THRUST_200600_302600_NS4plusIfEEEEZZNS1_33reduce_by_key_impl_wrapped_configILNS1_25lookback_scan_determinismE0ES3_S9_NS6_6detail15normal_iteratorINS6_10device_ptrIfEEEESG_SG_SG_PmS8_NS6_8equal_toIfEEEE10hipError_tPvRmT2_T3_mT4_T5_T6_T7_T8_P12ihipStream_tbENKUlT_T0_E_clISt17integral_constantIbLb1EES10_IbLb0EEEEDaSW_SX_EUlSW_E_NS1_11comp_targetILNS1_3genE4ELNS1_11target_archE910ELNS1_3gpuE8ELNS1_3repE0EEENS1_30default_config_static_selectorELNS0_4arch9wavefront6targetE1EEEvT1_,"axG",@progbits,_ZN7rocprim17ROCPRIM_400000_NS6detail17trampoline_kernelINS0_14default_configENS1_29reduce_by_key_config_selectorIffN6thrust23THRUST_200600_302600_NS4plusIfEEEEZZNS1_33reduce_by_key_impl_wrapped_configILNS1_25lookback_scan_determinismE0ES3_S9_NS6_6detail15normal_iteratorINS6_10device_ptrIfEEEESG_SG_SG_PmS8_NS6_8equal_toIfEEEE10hipError_tPvRmT2_T3_mT4_T5_T6_T7_T8_P12ihipStream_tbENKUlT_T0_E_clISt17integral_constantIbLb1EES10_IbLb0EEEEDaSW_SX_EUlSW_E_NS1_11comp_targetILNS1_3genE4ELNS1_11target_archE910ELNS1_3gpuE8ELNS1_3repE0EEENS1_30default_config_static_selectorELNS0_4arch9wavefront6targetE1EEEvT1_,comdat
	.protected	_ZN7rocprim17ROCPRIM_400000_NS6detail17trampoline_kernelINS0_14default_configENS1_29reduce_by_key_config_selectorIffN6thrust23THRUST_200600_302600_NS4plusIfEEEEZZNS1_33reduce_by_key_impl_wrapped_configILNS1_25lookback_scan_determinismE0ES3_S9_NS6_6detail15normal_iteratorINS6_10device_ptrIfEEEESG_SG_SG_PmS8_NS6_8equal_toIfEEEE10hipError_tPvRmT2_T3_mT4_T5_T6_T7_T8_P12ihipStream_tbENKUlT_T0_E_clISt17integral_constantIbLb1EES10_IbLb0EEEEDaSW_SX_EUlSW_E_NS1_11comp_targetILNS1_3genE4ELNS1_11target_archE910ELNS1_3gpuE8ELNS1_3repE0EEENS1_30default_config_static_selectorELNS0_4arch9wavefront6targetE1EEEvT1_ ; -- Begin function _ZN7rocprim17ROCPRIM_400000_NS6detail17trampoline_kernelINS0_14default_configENS1_29reduce_by_key_config_selectorIffN6thrust23THRUST_200600_302600_NS4plusIfEEEEZZNS1_33reduce_by_key_impl_wrapped_configILNS1_25lookback_scan_determinismE0ES3_S9_NS6_6detail15normal_iteratorINS6_10device_ptrIfEEEESG_SG_SG_PmS8_NS6_8equal_toIfEEEE10hipError_tPvRmT2_T3_mT4_T5_T6_T7_T8_P12ihipStream_tbENKUlT_T0_E_clISt17integral_constantIbLb1EES10_IbLb0EEEEDaSW_SX_EUlSW_E_NS1_11comp_targetILNS1_3genE4ELNS1_11target_archE910ELNS1_3gpuE8ELNS1_3repE0EEENS1_30default_config_static_selectorELNS0_4arch9wavefront6targetE1EEEvT1_
	.globl	_ZN7rocprim17ROCPRIM_400000_NS6detail17trampoline_kernelINS0_14default_configENS1_29reduce_by_key_config_selectorIffN6thrust23THRUST_200600_302600_NS4plusIfEEEEZZNS1_33reduce_by_key_impl_wrapped_configILNS1_25lookback_scan_determinismE0ES3_S9_NS6_6detail15normal_iteratorINS6_10device_ptrIfEEEESG_SG_SG_PmS8_NS6_8equal_toIfEEEE10hipError_tPvRmT2_T3_mT4_T5_T6_T7_T8_P12ihipStream_tbENKUlT_T0_E_clISt17integral_constantIbLb1EES10_IbLb0EEEEDaSW_SX_EUlSW_E_NS1_11comp_targetILNS1_3genE4ELNS1_11target_archE910ELNS1_3gpuE8ELNS1_3repE0EEENS1_30default_config_static_selectorELNS0_4arch9wavefront6targetE1EEEvT1_
	.p2align	8
	.type	_ZN7rocprim17ROCPRIM_400000_NS6detail17trampoline_kernelINS0_14default_configENS1_29reduce_by_key_config_selectorIffN6thrust23THRUST_200600_302600_NS4plusIfEEEEZZNS1_33reduce_by_key_impl_wrapped_configILNS1_25lookback_scan_determinismE0ES3_S9_NS6_6detail15normal_iteratorINS6_10device_ptrIfEEEESG_SG_SG_PmS8_NS6_8equal_toIfEEEE10hipError_tPvRmT2_T3_mT4_T5_T6_T7_T8_P12ihipStream_tbENKUlT_T0_E_clISt17integral_constantIbLb1EES10_IbLb0EEEEDaSW_SX_EUlSW_E_NS1_11comp_targetILNS1_3genE4ELNS1_11target_archE910ELNS1_3gpuE8ELNS1_3repE0EEENS1_30default_config_static_selectorELNS0_4arch9wavefront6targetE1EEEvT1_,@function
_ZN7rocprim17ROCPRIM_400000_NS6detail17trampoline_kernelINS0_14default_configENS1_29reduce_by_key_config_selectorIffN6thrust23THRUST_200600_302600_NS4plusIfEEEEZZNS1_33reduce_by_key_impl_wrapped_configILNS1_25lookback_scan_determinismE0ES3_S9_NS6_6detail15normal_iteratorINS6_10device_ptrIfEEEESG_SG_SG_PmS8_NS6_8equal_toIfEEEE10hipError_tPvRmT2_T3_mT4_T5_T6_T7_T8_P12ihipStream_tbENKUlT_T0_E_clISt17integral_constantIbLb1EES10_IbLb0EEEEDaSW_SX_EUlSW_E_NS1_11comp_targetILNS1_3genE4ELNS1_11target_archE910ELNS1_3gpuE8ELNS1_3repE0EEENS1_30default_config_static_selectorELNS0_4arch9wavefront6targetE1EEEvT1_: ; @_ZN7rocprim17ROCPRIM_400000_NS6detail17trampoline_kernelINS0_14default_configENS1_29reduce_by_key_config_selectorIffN6thrust23THRUST_200600_302600_NS4plusIfEEEEZZNS1_33reduce_by_key_impl_wrapped_configILNS1_25lookback_scan_determinismE0ES3_S9_NS6_6detail15normal_iteratorINS6_10device_ptrIfEEEESG_SG_SG_PmS8_NS6_8equal_toIfEEEE10hipError_tPvRmT2_T3_mT4_T5_T6_T7_T8_P12ihipStream_tbENKUlT_T0_E_clISt17integral_constantIbLb1EES10_IbLb0EEEEDaSW_SX_EUlSW_E_NS1_11comp_targetILNS1_3genE4ELNS1_11target_archE910ELNS1_3gpuE8ELNS1_3repE0EEENS1_30default_config_static_selectorELNS0_4arch9wavefront6targetE1EEEvT1_
; %bb.0:
	s_load_dwordx8 s[36:43], s[4:5], 0x0
	s_load_dwordx4 s[52:55], s[4:5], 0x20
	s_load_dwordx8 s[44:51], s[4:5], 0x38
	s_load_dwordx2 s[60:61], s[4:5], 0x68
	s_load_dwordx4 s[56:59], s[4:5], 0x58
	s_waitcnt lgkmcnt(0)
	s_lshl_b64 s[0:1], s[38:39], 2
	s_add_u32 s2, s36, s0
	s_addc_u32 s3, s37, s1
	s_add_u32 s4, s40, s0
	s_addc_u32 s5, s41, s1
	s_mul_i32 s0, s48, s47
	s_mul_hi_u32 s1, s48, s46
	s_add_i32 s0, s1, s0
	s_mul_i32 s1, s49, s46
	s_add_i32 s8, s0, s1
	s_mul_i32 s0, s6, 0xf00
	s_mov_b32 s1, 0
	s_lshl_b64 s[0:1], s[0:1], 2
	s_add_u32 s7, s2, s0
	s_mul_i32 s9, s48, s46
	s_addc_u32 s48, s3, s1
	s_add_u32 s49, s4, s0
	s_addc_u32 s62, s5, s1
	s_add_u32 s38, s9, s6
	s_addc_u32 s39, s8, 0
	s_add_u32 s2, s50, -1
	s_addc_u32 s3, s51, -1
	s_cmp_eq_u64 s[38:39], s[2:3]
	s_cselect_b64 s[34:35], -1, 0
	s_cmp_lg_u64 s[38:39], s[2:3]
	s_mov_b64 s[0:1], -1
	s_cselect_b64 s[40:41], -1, 0
	s_mul_i32 s33, s2, 0xfffff100
	s_and_b64 vcc, exec, s[34:35]
	s_cbranch_vccnz .LBB184_2
; %bb.1:
	v_lshlrev_b32_e32 v11, 2, v0
	v_mov_b32_e32 v1, s48
	v_add_co_u32_e32 v2, vcc, s7, v11
	v_addc_co_u32_e32 v3, vcc, 0, v1, vcc
	v_add_co_u32_e32 v4, vcc, 0x1000, v2
	v_addc_co_u32_e32 v5, vcc, 0, v3, vcc
	flat_load_dword v1, v[2:3]
	flat_load_dword v12, v[2:3] offset:1024
	flat_load_dword v13, v[2:3] offset:2048
	;; [unrolled: 1-line block ×3, first 2 shown]
	flat_load_dword v15, v[4:5]
	flat_load_dword v16, v[4:5] offset:1024
	flat_load_dword v17, v[4:5] offset:2048
	;; [unrolled: 1-line block ×3, first 2 shown]
	v_add_co_u32_e32 v4, vcc, 0x2000, v2
	v_addc_co_u32_e32 v5, vcc, 0, v3, vcc
	v_add_co_u32_e32 v2, vcc, 0x3000, v2
	v_addc_co_u32_e32 v3, vcc, 0, v3, vcc
	flat_load_dword v19, v[4:5]
	flat_load_dword v20, v[4:5] offset:1024
	flat_load_dword v21, v[4:5] offset:2048
	;; [unrolled: 1-line block ×3, first 2 shown]
	flat_load_dword v23, v[2:3]
	flat_load_dword v24, v[2:3] offset:1024
	flat_load_dword v25, v[2:3] offset:2048
	v_mov_b32_e32 v3, s62
	v_add_co_u32_e32 v2, vcc, s49, v11
	s_movk_i32 s0, 0x1000
	v_addc_co_u32_e32 v3, vcc, 0, v3, vcc
	v_add_co_u32_e32 v4, vcc, s0, v2
	s_movk_i32 s1, 0x2000
	v_addc_co_u32_e32 v5, vcc, 0, v3, vcc
	v_add_co_u32_e32 v6, vcc, s1, v2
	s_movk_i32 s2, 0x3000
	v_addc_co_u32_e32 v7, vcc, 0, v3, vcc
	v_mad_u32_u24 v10, v0, 56, v11
	v_add_co_u32_e32 v8, vcc, s2, v2
	v_addc_co_u32_e32 v9, vcc, 0, v3, vcc
	s_waitcnt vmcnt(0) lgkmcnt(0)
	ds_write2st64_b32 v11, v1, v12 offset1:4
	ds_write2st64_b32 v11, v13, v14 offset0:8 offset1:12
	ds_write2st64_b32 v11, v15, v16 offset0:16 offset1:20
	;; [unrolled: 1-line block ×6, first 2 shown]
	ds_write_b32 v11, v25 offset:14336
	s_waitcnt lgkmcnt(0)
	s_barrier
	ds_read2_b32 v[24:25], v10 offset1:1
	ds_read2_b32 v[22:23], v10 offset0:2 offset1:3
	ds_read2_b32 v[20:21], v10 offset0:4 offset1:5
	;; [unrolled: 1-line block ×6, first 2 shown]
	ds_read_b32 v1, v10 offset:56
	s_waitcnt lgkmcnt(0)
	s_barrier
	flat_load_dword v26, v[2:3]
	flat_load_dword v27, v[2:3] offset:1024
	flat_load_dword v28, v[2:3] offset:2048
	flat_load_dword v29, v[2:3] offset:3072
	flat_load_dword v30, v[4:5]
	flat_load_dword v31, v[4:5] offset:1024
	flat_load_dword v32, v[4:5] offset:2048
	flat_load_dword v33, v[4:5] offset:3072
	;; [unrolled: 4-line block ×3, first 2 shown]
	flat_load_dword v38, v[8:9]
	flat_load_dword v39, v[8:9] offset:1024
	flat_load_dword v40, v[8:9] offset:2048
	v_mov_b32_e32 v8, v24
	v_mov_b32_e32 v9, v22
	v_mov_b32_e32 v4, v20
	v_mov_b32_e32 v5, v18
	v_mov_b32_e32 v2, v16
	v_mov_b32_e32 v3, v14
	v_mov_b32_e32 v6, v12
	s_waitcnt vmcnt(0) lgkmcnt(0)
	ds_write2st64_b32 v11, v26, v27 offset1:4
	ds_write2st64_b32 v11, v28, v29 offset0:8 offset1:12
	ds_write2st64_b32 v11, v30, v31 offset0:16 offset1:20
	;; [unrolled: 1-line block ×6, first 2 shown]
	ds_write_b32 v11, v40 offset:14336
	s_waitcnt lgkmcnt(0)
	s_barrier
	s_add_i32 s33, s33, s56
	s_cbranch_execz .LBB184_3
	s_branch .LBB184_50
.LBB184_2:
                                        ; implicit-def: $vgpr1
                                        ; implicit-def: $vgpr12
                                        ; implicit-def: $vgpr14
                                        ; implicit-def: $vgpr16
                                        ; implicit-def: $vgpr18
                                        ; implicit-def: $vgpr20
                                        ; implicit-def: $vgpr22
                                        ; implicit-def: $vgpr24
                                        ; implicit-def: $vgpr10
                                        ; implicit-def: $vgpr2_vgpr3
                                        ; implicit-def: $vgpr4_vgpr5
                                        ; implicit-def: $vgpr8_vgpr9
                                        ; implicit-def: $vgpr6_vgpr7
	s_andn2_b64 vcc, exec, s[0:1]
	s_add_i32 s33, s33, s56
	s_cbranch_vccnz .LBB184_50
.LBB184_3:
	v_cmp_gt_u32_e32 vcc, s33, v0
                                        ; implicit-def: $vgpr1
	s_and_saveexec_b64 s[2:3], vcc
	s_cbranch_execz .LBB184_5
; %bb.4:
	v_lshlrev_b32_e32 v1, 2, v0
	v_mov_b32_e32 v3, s48
	v_add_co_u32_e64 v2, s[0:1], s7, v1
	v_addc_co_u32_e64 v3, s[0:1], 0, v3, s[0:1]
	flat_load_dword v1, v[2:3]
.LBB184_5:
	s_or_b64 exec, exec, s[2:3]
	v_or_b32_e32 v2, 0x100, v0
	v_cmp_gt_u32_e64 s[0:1], s33, v2
                                        ; implicit-def: $vgpr10
	s_and_saveexec_b64 s[4:5], s[0:1]
	s_cbranch_execz .LBB184_7
; %bb.6:
	v_lshlrev_b32_e32 v2, 2, v0
	v_mov_b32_e32 v3, s48
	v_add_co_u32_e64 v2, s[2:3], s7, v2
	v_addc_co_u32_e64 v3, s[2:3], 0, v3, s[2:3]
	flat_load_dword v10, v[2:3] offset:1024
.LBB184_7:
	s_or_b64 exec, exec, s[4:5]
	v_or_b32_e32 v2, 0x200, v0
	v_cmp_gt_u32_e64 s[2:3], s33, v2
                                        ; implicit-def: $vgpr12
	s_and_saveexec_b64 s[8:9], s[2:3]
	s_cbranch_execz .LBB184_9
; %bb.8:
	v_lshlrev_b32_e32 v2, 2, v0
	v_mov_b32_e32 v3, s48
	v_add_co_u32_e64 v2, s[4:5], s7, v2
	v_addc_co_u32_e64 v3, s[4:5], 0, v3, s[4:5]
	flat_load_dword v12, v[2:3] offset:2048
.LBB184_9:
	s_or_b64 exec, exec, s[8:9]
	v_or_b32_e32 v2, 0x300, v0
	v_cmp_gt_u32_e64 s[4:5], s33, v2
                                        ; implicit-def: $vgpr13
	s_and_saveexec_b64 s[10:11], s[4:5]
	s_cbranch_execz .LBB184_11
; %bb.10:
	v_lshlrev_b32_e32 v2, 2, v0
	v_mov_b32_e32 v3, s48
	v_add_co_u32_e64 v2, s[8:9], s7, v2
	v_addc_co_u32_e64 v3, s[8:9], 0, v3, s[8:9]
	flat_load_dword v13, v[2:3] offset:3072
.LBB184_11:
	s_or_b64 exec, exec, s[10:11]
	v_or_b32_e32 v2, 0x400, v0
	v_cmp_gt_u32_e64 s[28:29], s33, v2
                                        ; implicit-def: $vgpr14
	s_and_saveexec_b64 s[10:11], s[28:29]
	s_cbranch_execz .LBB184_13
; %bb.12:
	v_lshlrev_b32_e32 v3, 2, v2
	v_mov_b32_e32 v5, s48
	v_add_co_u32_e64 v4, s[8:9], s7, v3
	v_addc_co_u32_e64 v5, s[8:9], 0, v5, s[8:9]
	flat_load_dword v14, v[4:5]
.LBB184_13:
	s_or_b64 exec, exec, s[10:11]
	v_or_b32_e32 v3, 0x500, v0
	v_cmp_gt_u32_e64 s[8:9], s33, v3
                                        ; implicit-def: $vgpr15
	s_and_saveexec_b64 s[12:13], s[8:9]
	s_cbranch_execz .LBB184_15
; %bb.14:
	v_lshlrev_b32_e32 v4, 2, v3
	v_mov_b32_e32 v5, s48
	v_add_co_u32_e64 v4, s[10:11], s7, v4
	v_addc_co_u32_e64 v5, s[10:11], 0, v5, s[10:11]
	flat_load_dword v15, v[4:5]
.LBB184_15:
	s_or_b64 exec, exec, s[12:13]
	v_or_b32_e32 v4, 0x600, v0
	v_cmp_gt_u32_e64 s[10:11], s33, v4
                                        ; implicit-def: $vgpr16
	s_and_saveexec_b64 s[14:15], s[10:11]
	s_cbranch_execz .LBB184_17
; %bb.16:
	v_lshlrev_b32_e32 v5, 2, v4
	v_mov_b32_e32 v7, s48
	v_add_co_u32_e64 v6, s[12:13], s7, v5
	v_addc_co_u32_e64 v7, s[12:13], 0, v7, s[12:13]
	flat_load_dword v16, v[6:7]
.LBB184_17:
	s_or_b64 exec, exec, s[14:15]
	v_or_b32_e32 v5, 0x700, v0
	v_cmp_gt_u32_e64 s[12:13], s33, v5
                                        ; implicit-def: $vgpr17
	s_and_saveexec_b64 s[16:17], s[12:13]
	s_cbranch_execz .LBB184_19
; %bb.18:
	v_lshlrev_b32_e32 v6, 2, v5
	v_mov_b32_e32 v7, s48
	v_add_co_u32_e64 v6, s[14:15], s7, v6
	v_addc_co_u32_e64 v7, s[14:15], 0, v7, s[14:15]
	flat_load_dword v17, v[6:7]
.LBB184_19:
	s_or_b64 exec, exec, s[16:17]
	v_or_b32_e32 v6, 0x800, v0
	v_cmp_gt_u32_e64 s[14:15], s33, v6
                                        ; implicit-def: $vgpr18
	s_and_saveexec_b64 s[18:19], s[14:15]
	s_cbranch_execz .LBB184_21
; %bb.20:
	v_lshlrev_b32_e32 v7, 2, v6
	v_mov_b32_e32 v9, s48
	v_add_co_u32_e64 v8, s[16:17], s7, v7
	v_addc_co_u32_e64 v9, s[16:17], 0, v9, s[16:17]
	flat_load_dword v18, v[8:9]
.LBB184_21:
	s_or_b64 exec, exec, s[18:19]
	v_or_b32_e32 v8, 0x900, v0
	v_cmp_gt_u32_e64 s[16:17], s33, v8
                                        ; implicit-def: $vgpr19
	s_and_saveexec_b64 s[20:21], s[16:17]
	s_cbranch_execz .LBB184_23
; %bb.22:
	v_lshlrev_b32_e32 v7, 2, v8
	v_mov_b32_e32 v9, s48
	v_add_co_u32_e64 v20, s[18:19], s7, v7
	v_addc_co_u32_e64 v21, s[18:19], 0, v9, s[18:19]
	flat_load_dword v19, v[20:21]
.LBB184_23:
	s_or_b64 exec, exec, s[20:21]
	v_or_b32_e32 v9, 0xa00, v0
	v_cmp_gt_u32_e64 s[18:19], s33, v9
                                        ; implicit-def: $vgpr20
	s_and_saveexec_b64 s[22:23], s[18:19]
	s_cbranch_execz .LBB184_25
; %bb.24:
	v_lshlrev_b32_e32 v7, 2, v9
	v_mov_b32_e32 v11, s48
	v_add_co_u32_e64 v20, s[20:21], s7, v7
	v_addc_co_u32_e64 v21, s[20:21], 0, v11, s[20:21]
	flat_load_dword v20, v[20:21]
.LBB184_25:
	s_or_b64 exec, exec, s[22:23]
	v_or_b32_e32 v11, 0xb00, v0
	v_cmp_gt_u32_e64 s[20:21], s33, v11
                                        ; implicit-def: $vgpr21
	s_and_saveexec_b64 s[24:25], s[20:21]
	s_cbranch_execz .LBB184_27
; %bb.26:
	v_lshlrev_b32_e32 v7, 2, v11
	v_mov_b32_e32 v21, s48
	v_add_co_u32_e64 v22, s[22:23], s7, v7
	v_addc_co_u32_e64 v23, s[22:23], 0, v21, s[22:23]
	flat_load_dword v21, v[22:23]
.LBB184_27:
	s_or_b64 exec, exec, s[24:25]
	v_or_b32_e32 v26, 0xc00, v0
	v_cmp_gt_u32_e64 s[22:23], s33, v26
                                        ; implicit-def: $vgpr22
	s_and_saveexec_b64 s[26:27], s[22:23]
	s_cbranch_execz .LBB184_29
; %bb.28:
	v_lshlrev_b32_e32 v7, 2, v26
	v_mov_b32_e32 v23, s48
	v_add_co_u32_e64 v22, s[24:25], s7, v7
	v_addc_co_u32_e64 v23, s[24:25], 0, v23, s[24:25]
	flat_load_dword v22, v[22:23]
.LBB184_29:
	s_or_b64 exec, exec, s[26:27]
	v_or_b32_e32 v27, 0xd00, v0
	v_cmp_gt_u32_e64 s[24:25], s33, v27
                                        ; implicit-def: $vgpr23
	s_and_saveexec_b64 s[30:31], s[24:25]
	s_cbranch_execz .LBB184_31
; %bb.30:
	v_lshlrev_b32_e32 v7, 2, v27
	v_mov_b32_e32 v23, s48
	v_add_co_u32_e64 v24, s[26:27], s7, v7
	v_addc_co_u32_e64 v25, s[26:27], 0, v23, s[26:27]
	flat_load_dword v23, v[24:25]
.LBB184_31:
	s_or_b64 exec, exec, s[30:31]
	v_or_b32_e32 v28, 0xe00, v0
	v_cmp_gt_u32_e64 s[26:27], s33, v28
                                        ; implicit-def: $vgpr24
	s_and_saveexec_b64 s[36:37], s[26:27]
	s_cbranch_execz .LBB184_33
; %bb.32:
	v_lshlrev_b32_e32 v7, 2, v28
	v_mov_b32_e32 v25, s48
	v_add_co_u32_e64 v24, s[30:31], s7, v7
	v_addc_co_u32_e64 v25, s[30:31], 0, v25, s[30:31]
	flat_load_dword v24, v[24:25]
.LBB184_33:
	s_or_b64 exec, exec, s[36:37]
	v_lshlrev_b32_e32 v7, 2, v0
	s_waitcnt vmcnt(0) lgkmcnt(0)
	ds_write2st64_b32 v7, v1, v10 offset1:4
	ds_write2st64_b32 v7, v12, v13 offset0:8 offset1:12
	ds_write2st64_b32 v7, v14, v15 offset0:16 offset1:20
	;; [unrolled: 1-line block ×6, first 2 shown]
	ds_write_b32 v7, v24 offset:14336
	v_mad_u32_u24 v10, v0, 56, v7
	s_waitcnt lgkmcnt(0)
	s_barrier
	ds_read2_b32 v[24:25], v10 offset1:1
	ds_read2_b32 v[22:23], v10 offset0:2 offset1:3
	ds_read2_b32 v[20:21], v10 offset0:4 offset1:5
	;; [unrolled: 1-line block ×6, first 2 shown]
	ds_read_b32 v1, v10 offset:56
	s_waitcnt lgkmcnt(0)
	s_barrier
	s_waitcnt lgkmcnt(0)
                                        ; implicit-def: $vgpr29
	s_and_saveexec_b64 s[30:31], vcc
	s_cbranch_execnz .LBB184_57
; %bb.34:
	s_or_b64 exec, exec, s[30:31]
                                        ; implicit-def: $vgpr30
	s_and_saveexec_b64 s[30:31], s[0:1]
	s_cbranch_execnz .LBB184_58
.LBB184_35:
	s_or_b64 exec, exec, s[30:31]
                                        ; implicit-def: $vgpr31
	s_and_saveexec_b64 s[0:1], s[2:3]
	s_cbranch_execnz .LBB184_59
.LBB184_36:
	s_or_b64 exec, exec, s[0:1]
                                        ; implicit-def: $vgpr32
	s_and_saveexec_b64 s[0:1], s[4:5]
	s_cbranch_execnz .LBB184_60
.LBB184_37:
	s_or_b64 exec, exec, s[0:1]
                                        ; implicit-def: $vgpr33
	s_and_saveexec_b64 s[0:1], s[28:29]
	s_cbranch_execnz .LBB184_61
.LBB184_38:
	s_or_b64 exec, exec, s[0:1]
                                        ; implicit-def: $vgpr2
	s_and_saveexec_b64 s[0:1], s[8:9]
	s_cbranch_execnz .LBB184_62
.LBB184_39:
	s_or_b64 exec, exec, s[0:1]
                                        ; implicit-def: $vgpr3
	s_and_saveexec_b64 s[0:1], s[10:11]
	s_cbranch_execnz .LBB184_63
.LBB184_40:
	s_or_b64 exec, exec, s[0:1]
                                        ; implicit-def: $vgpr4
	s_and_saveexec_b64 s[0:1], s[12:13]
	s_cbranch_execnz .LBB184_64
.LBB184_41:
	s_or_b64 exec, exec, s[0:1]
                                        ; implicit-def: $vgpr5
	s_and_saveexec_b64 s[0:1], s[14:15]
	s_cbranch_execnz .LBB184_65
.LBB184_42:
	s_or_b64 exec, exec, s[0:1]
                                        ; implicit-def: $vgpr6
	s_and_saveexec_b64 s[0:1], s[16:17]
	s_cbranch_execnz .LBB184_66
.LBB184_43:
	s_or_b64 exec, exec, s[0:1]
                                        ; implicit-def: $vgpr8
	s_and_saveexec_b64 s[0:1], s[18:19]
	s_cbranch_execnz .LBB184_67
.LBB184_44:
	s_or_b64 exec, exec, s[0:1]
                                        ; implicit-def: $vgpr9
	s_and_saveexec_b64 s[0:1], s[20:21]
	s_cbranch_execnz .LBB184_68
.LBB184_45:
	s_or_b64 exec, exec, s[0:1]
                                        ; implicit-def: $vgpr11
	s_and_saveexec_b64 s[0:1], s[22:23]
	s_cbranch_execnz .LBB184_69
.LBB184_46:
	s_or_b64 exec, exec, s[0:1]
                                        ; implicit-def: $vgpr26
	s_and_saveexec_b64 s[0:1], s[24:25]
	s_cbranch_execnz .LBB184_70
.LBB184_47:
	s_or_b64 exec, exec, s[0:1]
                                        ; implicit-def: $vgpr27
	s_and_saveexec_b64 s[0:1], s[26:27]
	s_cbranch_execz .LBB184_49
.LBB184_48:
	v_lshlrev_b32_e32 v27, 2, v28
	v_mov_b32_e32 v28, s62
	v_add_co_u32_e32 v34, vcc, s49, v27
	v_addc_co_u32_e32 v35, vcc, 0, v28, vcc
	flat_load_dword v27, v[34:35]
.LBB184_49:
	s_or_b64 exec, exec, s[0:1]
	s_waitcnt vmcnt(0) lgkmcnt(0)
	ds_write2st64_b32 v7, v29, v30 offset1:4
	ds_write2st64_b32 v7, v31, v32 offset0:8 offset1:12
	ds_write2st64_b32 v7, v33, v2 offset0:16 offset1:20
	;; [unrolled: 1-line block ×6, first 2 shown]
	ds_write_b32 v7, v27 offset:14336
	v_mov_b32_e32 v8, v24
	v_mov_b32_e32 v9, v22
	;; [unrolled: 1-line block ×7, first 2 shown]
	s_waitcnt lgkmcnt(0)
	s_barrier
.LBB184_50:
	ds_read2_b32 v[38:39], v10 offset1:1
	ds_read2_b32 v[36:37], v10 offset0:2 offset1:3
	ds_read2_b32 v[34:35], v10 offset0:4 offset1:5
	ds_read2_b32 v[32:33], v10 offset0:6 offset1:7
	ds_read2_b32 v[30:31], v10 offset0:8 offset1:9
	ds_read2_b32 v[28:29], v10 offset0:10 offset1:11
	ds_read2_b32 v[26:27], v10 offset0:12 offset1:13
	ds_read_b32 v68, v10 offset:56
	s_cmp_eq_u64 s[38:39], 0
	s_cselect_b64 s[36:37], -1, 0
	s_cmp_lg_u64 s[38:39], 0
	s_mov_b64 s[2:3], 0
	s_cselect_b64 s[4:5], -1, 0
	s_and_b64 vcc, exec, s[40:41]
	s_waitcnt lgkmcnt(0)
	s_barrier
	s_cbranch_vccz .LBB184_56
; %bb.51:
	s_and_b64 vcc, exec, s[4:5]
	s_cbranch_vccz .LBB184_71
; %bb.52:
	v_mov_b32_e32 v7, s48
	v_add_co_u32_e64 v10, vcc, -4, s7
	v_addc_co_u32_e32 v11, vcc, -1, v7, vcc
	flat_load_dword v7, v[10:11]
	v_lshlrev_b32_e32 v10, 2, v0
	v_cmp_ne_u32_e32 vcc, 0, v0
	ds_write_b32 v10, v1
	s_waitcnt lgkmcnt(0)
	s_barrier
	s_and_saveexec_b64 s[0:1], vcc
	s_cbranch_execz .LBB184_54
; %bb.53:
	s_waitcnt vmcnt(0)
	v_add_u32_e32 v7, -4, v10
	ds_read_b32 v7, v7
.LBB184_54:
	s_or_b64 exec, exec, s[0:1]
	v_cmp_neq_f32_e32 vcc, v8, v25
	v_cndmask_b32_e64 v59, 0, 1, vcc
	v_cmp_neq_f32_e32 vcc, v9, v25
	v_cndmask_b32_e64 v58, 0, 1, vcc
	;; [unrolled: 2-line block ×14, first 2 shown]
	s_waitcnt vmcnt(0) lgkmcnt(0)
	v_cmp_neq_f32_e64 s[0:1], v7, v24
	s_mov_b64 s[2:3], -1
.LBB184_55:
                                        ; implicit-def: $sgpr10
	s_branch .LBB184_83
.LBB184_56:
                                        ; implicit-def: $sgpr0_sgpr1
                                        ; implicit-def: $vgpr46
                                        ; implicit-def: $vgpr47
                                        ; implicit-def: $vgpr48
                                        ; implicit-def: $vgpr49
                                        ; implicit-def: $vgpr50
                                        ; implicit-def: $vgpr51
                                        ; implicit-def: $vgpr52
                                        ; implicit-def: $vgpr53
                                        ; implicit-def: $vgpr54
                                        ; implicit-def: $vgpr55
                                        ; implicit-def: $vgpr56
                                        ; implicit-def: $vgpr57
                                        ; implicit-def: $vgpr58
                                        ; implicit-def: $vgpr59
                                        ; implicit-def: $sgpr10
	s_cbranch_execnz .LBB184_75
	s_branch .LBB184_83
.LBB184_57:
	v_mov_b32_e32 v29, s62
	v_add_co_u32_e32 v30, vcc, s49, v7
	v_addc_co_u32_e32 v31, vcc, 0, v29, vcc
	flat_load_dword v29, v[30:31]
	s_or_b64 exec, exec, s[30:31]
                                        ; implicit-def: $vgpr30
	s_and_saveexec_b64 s[30:31], s[0:1]
	s_cbranch_execz .LBB184_35
.LBB184_58:
	v_mov_b32_e32 v31, s62
	v_add_co_u32_e32 v30, vcc, s49, v7
	v_addc_co_u32_e32 v31, vcc, 0, v31, vcc
	flat_load_dword v30, v[30:31] offset:1024
	s_or_b64 exec, exec, s[30:31]
                                        ; implicit-def: $vgpr31
	s_and_saveexec_b64 s[0:1], s[2:3]
	s_cbranch_execz .LBB184_36
.LBB184_59:
	v_mov_b32_e32 v31, s62
	v_add_co_u32_e32 v32, vcc, s49, v7
	v_addc_co_u32_e32 v33, vcc, 0, v31, vcc
	flat_load_dword v31, v[32:33] offset:2048
	s_or_b64 exec, exec, s[0:1]
                                        ; implicit-def: $vgpr32
	s_and_saveexec_b64 s[0:1], s[4:5]
	s_cbranch_execz .LBB184_37
.LBB184_60:
	v_mov_b32_e32 v33, s62
	v_add_co_u32_e32 v32, vcc, s49, v7
	v_addc_co_u32_e32 v33, vcc, 0, v33, vcc
	flat_load_dword v32, v[32:33] offset:3072
	s_or_b64 exec, exec, s[0:1]
                                        ; implicit-def: $vgpr33
	s_and_saveexec_b64 s[0:1], s[28:29]
	s_cbranch_execz .LBB184_38
.LBB184_61:
	v_lshlrev_b32_e32 v2, 2, v2
	v_mov_b32_e32 v33, s62
	v_add_co_u32_e32 v34, vcc, s49, v2
	v_addc_co_u32_e32 v35, vcc, 0, v33, vcc
	flat_load_dword v33, v[34:35]
	s_or_b64 exec, exec, s[0:1]
                                        ; implicit-def: $vgpr2
	s_and_saveexec_b64 s[0:1], s[8:9]
	s_cbranch_execz .LBB184_39
.LBB184_62:
	v_lshlrev_b32_e32 v2, 2, v3
	v_mov_b32_e32 v3, s62
	v_add_co_u32_e32 v2, vcc, s49, v2
	v_addc_co_u32_e32 v3, vcc, 0, v3, vcc
	flat_load_dword v2, v[2:3]
	s_or_b64 exec, exec, s[0:1]
                                        ; implicit-def: $vgpr3
	s_and_saveexec_b64 s[0:1], s[10:11]
	s_cbranch_execz .LBB184_40
.LBB184_63:
	v_lshlrev_b32_e32 v3, 2, v4
	v_mov_b32_e32 v4, s62
	v_add_co_u32_e32 v34, vcc, s49, v3
	v_addc_co_u32_e32 v35, vcc, 0, v4, vcc
	flat_load_dword v3, v[34:35]
	s_or_b64 exec, exec, s[0:1]
                                        ; implicit-def: $vgpr4
	s_and_saveexec_b64 s[0:1], s[12:13]
	s_cbranch_execz .LBB184_41
.LBB184_64:
	v_lshlrev_b32_e32 v4, 2, v5
	v_mov_b32_e32 v5, s62
	v_add_co_u32_e32 v4, vcc, s49, v4
	v_addc_co_u32_e32 v5, vcc, 0, v5, vcc
	flat_load_dword v4, v[4:5]
	s_or_b64 exec, exec, s[0:1]
                                        ; implicit-def: $vgpr5
	s_and_saveexec_b64 s[0:1], s[14:15]
	s_cbranch_execz .LBB184_42
.LBB184_65:
	v_lshlrev_b32_e32 v5, 2, v6
	v_mov_b32_e32 v6, s62
	v_add_co_u32_e32 v34, vcc, s49, v5
	v_addc_co_u32_e32 v35, vcc, 0, v6, vcc
	flat_load_dword v5, v[34:35]
	s_or_b64 exec, exec, s[0:1]
                                        ; implicit-def: $vgpr6
	s_and_saveexec_b64 s[0:1], s[16:17]
	s_cbranch_execz .LBB184_43
.LBB184_66:
	v_lshlrev_b32_e32 v6, 2, v8
	v_mov_b32_e32 v8, s62
	v_add_co_u32_e32 v34, vcc, s49, v6
	v_addc_co_u32_e32 v35, vcc, 0, v8, vcc
	flat_load_dword v6, v[34:35]
	s_or_b64 exec, exec, s[0:1]
                                        ; implicit-def: $vgpr8
	s_and_saveexec_b64 s[0:1], s[18:19]
	s_cbranch_execz .LBB184_44
.LBB184_67:
	v_lshlrev_b32_e32 v8, 2, v9
	v_mov_b32_e32 v9, s62
	v_add_co_u32_e32 v8, vcc, s49, v8
	v_addc_co_u32_e32 v9, vcc, 0, v9, vcc
	flat_load_dword v8, v[8:9]
	s_or_b64 exec, exec, s[0:1]
                                        ; implicit-def: $vgpr9
	s_and_saveexec_b64 s[0:1], s[20:21]
	s_cbranch_execz .LBB184_45
.LBB184_68:
	v_lshlrev_b32_e32 v9, 2, v11
	v_mov_b32_e32 v11, s62
	v_add_co_u32_e32 v34, vcc, s49, v9
	v_addc_co_u32_e32 v35, vcc, 0, v11, vcc
	flat_load_dword v9, v[34:35]
	s_or_b64 exec, exec, s[0:1]
                                        ; implicit-def: $vgpr11
	s_and_saveexec_b64 s[0:1], s[22:23]
	s_cbranch_execz .LBB184_46
.LBB184_69:
	v_lshlrev_b32_e32 v11, 2, v26
	v_mov_b32_e32 v26, s62
	v_add_co_u32_e32 v34, vcc, s49, v11
	v_addc_co_u32_e32 v35, vcc, 0, v26, vcc
	flat_load_dword v11, v[34:35]
	s_or_b64 exec, exec, s[0:1]
                                        ; implicit-def: $vgpr26
	s_and_saveexec_b64 s[0:1], s[24:25]
	s_cbranch_execz .LBB184_47
.LBB184_70:
	v_lshlrev_b32_e32 v26, 2, v27
	v_mov_b32_e32 v27, s62
	v_add_co_u32_e32 v26, vcc, s49, v26
	v_addc_co_u32_e32 v27, vcc, 0, v27, vcc
	flat_load_dword v26, v[26:27]
	s_or_b64 exec, exec, s[0:1]
                                        ; implicit-def: $vgpr27
	s_and_saveexec_b64 s[0:1], s[26:27]
	s_cbranch_execnz .LBB184_48
	s_branch .LBB184_49
.LBB184_71:
                                        ; implicit-def: $sgpr0_sgpr1
                                        ; implicit-def: $vgpr46
                                        ; implicit-def: $vgpr47
                                        ; implicit-def: $vgpr48
                                        ; implicit-def: $vgpr49
                                        ; implicit-def: $vgpr50
                                        ; implicit-def: $vgpr51
                                        ; implicit-def: $vgpr52
                                        ; implicit-def: $vgpr53
                                        ; implicit-def: $vgpr54
                                        ; implicit-def: $vgpr55
                                        ; implicit-def: $vgpr56
                                        ; implicit-def: $vgpr57
                                        ; implicit-def: $vgpr58
                                        ; implicit-def: $vgpr59
	s_cbranch_execz .LBB184_55
; %bb.72:
	v_cmp_neq_f32_e32 vcc, v25, v8
	v_cndmask_b32_e64 v59, 0, 1, vcc
	v_cmp_neq_f32_e32 vcc, v25, v9
	v_cndmask_b32_e64 v58, 0, 1, vcc
	;; [unrolled: 2-line block ×13, first 2 shown]
	v_cmp_neq_f32_e32 vcc, v13, v1
	v_lshlrev_b32_e32 v7, 2, v0
	v_cndmask_b32_e64 v46, 0, 1, vcc
	v_cmp_ne_u32_e32 vcc, 0, v0
	ds_write_b32 v7, v1
	s_waitcnt lgkmcnt(0)
	s_barrier
	s_waitcnt lgkmcnt(0)
                                        ; implicit-def: $sgpr0_sgpr1
	s_and_saveexec_b64 s[8:9], vcc
	s_xor_b64 s[8:9], exec, s[8:9]
	s_cbranch_execz .LBB184_74
; %bb.73:
	v_add_u32_e32 v2, -4, v7
	ds_read_b32 v2, v2
	s_or_b64 s[2:3], s[2:3], exec
	s_waitcnt lgkmcnt(0)
	v_cmp_neq_f32_e32 vcc, v2, v24
	s_and_b64 s[0:1], vcc, exec
.LBB184_74:
	s_or_b64 exec, exec, s[8:9]
	s_mov_b32 s10, 1
	s_branch .LBB184_83
.LBB184_75:
	s_mul_hi_u32 s1, s38, 0xfffff100
	s_mul_i32 s0, s39, 0xfffff100
	s_sub_i32 s1, s1, s38
	s_add_i32 s1, s1, s0
	s_mul_i32 s0, s38, 0xfffff100
	s_add_u32 s8, s0, s56
	s_addc_u32 s9, s1, s57
	s_and_b64 vcc, exec, s[4:5]
	s_cbranch_vccz .LBB184_80
; %bb.76:
	v_mov_b32_e32 v3, s48
	v_add_co_u32_e64 v2, vcc, -4, s7
	v_addc_co_u32_e32 v3, vcc, -1, v3, vcc
	flat_load_dword v6, v[2:3]
	v_mad_u32_u24 v4, v0, 15, 14
	v_mov_b32_e32 v5, 0
	v_cmp_gt_u64_e32 vcc, s[8:9], v[4:5]
	v_cmp_neq_f32_e64 s[0:1], v13, v1
	v_mad_u32_u24 v4, v0, 15, 13
	s_and_b64 s[2:3], vcc, s[0:1]
	v_cmp_gt_u64_e32 vcc, s[8:9], v[4:5]
	v_cmp_neq_f32_e64 s[0:1], v12, v13
	v_mad_u32_u24 v4, v0, 15, 12
	s_and_b64 s[4:5], vcc, s[0:1]
	;; [unrolled: 4-line block ×13, first 2 shown]
	v_cmp_gt_u64_e32 vcc, s[8:9], v[4:5]
	v_cmp_neq_f32_e64 s[0:1], v24, v25
	v_lshlrev_b32_e32 v3, 2, v0
	v_mul_u32_u24_e32 v2, 15, v0
	s_and_b64 s[0:1], vcc, s[0:1]
	v_cmp_ne_u32_e32 vcc, 0, v0
	ds_write_b32 v3, v1
	s_waitcnt lgkmcnt(0)
	s_barrier
	s_and_saveexec_b64 s[38:39], vcc
	s_cbranch_execz .LBB184_78
; %bb.77:
	v_add_u32_e32 v3, -4, v3
	s_waitcnt vmcnt(0)
	ds_read_b32 v6, v3
.LBB184_78:
	s_or_b64 exec, exec, s[38:39]
	v_mov_b32_e32 v3, v5
	v_cndmask_b32_e64 v59, 0, 1, s[0:1]
	v_cmp_gt_u64_e32 vcc, s[8:9], v[2:3]
	s_waitcnt vmcnt(0) lgkmcnt(0)
	v_cmp_neq_f32_e64 s[0:1], v6, v24
	v_cndmask_b32_e64 v46, 0, 1, s[2:3]
	v_cndmask_b32_e64 v47, 0, 1, s[4:5]
	;; [unrolled: 1-line block ×13, first 2 shown]
	s_and_b64 s[0:1], vcc, s[0:1]
	s_mov_b64 s[2:3], -1
.LBB184_79:
                                        ; implicit-def: $sgpr10
	v_mov_b32_e32 v60, s10
	s_and_saveexec_b64 s[4:5], s[2:3]
	s_cbranch_execnz .LBB184_84
	s_branch .LBB184_85
.LBB184_80:
                                        ; implicit-def: $sgpr0_sgpr1
                                        ; implicit-def: $vgpr46
                                        ; implicit-def: $vgpr47
                                        ; implicit-def: $vgpr48
                                        ; implicit-def: $vgpr49
                                        ; implicit-def: $vgpr50
                                        ; implicit-def: $vgpr51
                                        ; implicit-def: $vgpr52
                                        ; implicit-def: $vgpr53
                                        ; implicit-def: $vgpr54
                                        ; implicit-def: $vgpr55
                                        ; implicit-def: $vgpr56
                                        ; implicit-def: $vgpr57
                                        ; implicit-def: $vgpr58
                                        ; implicit-def: $vgpr59
	s_cbranch_execz .LBB184_79
; %bb.81:
	v_mad_u32_u24 v2, v0, 15, 14
	v_mov_b32_e32 v3, 0
	v_cmp_gt_u64_e32 vcc, s[8:9], v[2:3]
	v_cmp_neq_f32_e64 s[0:1], v13, v1
	s_and_b64 s[0:1], vcc, s[0:1]
	v_mad_u32_u24 v2, v0, 15, 13
	v_cndmask_b32_e64 v46, 0, 1, s[0:1]
	v_cmp_gt_u64_e32 vcc, s[8:9], v[2:3]
	v_cmp_neq_f32_e64 s[0:1], v12, v13
	s_and_b64 s[0:1], vcc, s[0:1]
	v_mad_u32_u24 v2, v0, 15, 12
	v_cndmask_b32_e64 v47, 0, 1, s[0:1]
	;; [unrolled: 5-line block ×13, first 2 shown]
	v_cmp_gt_u64_e32 vcc, s[8:9], v[2:3]
	v_cmp_neq_f32_e64 s[0:1], v24, v25
	s_and_b64 s[0:1], vcc, s[0:1]
	v_lshlrev_b32_e32 v4, 2, v0
	s_mov_b32 s10, 1
	v_cndmask_b32_e64 v59, 0, 1, s[0:1]
	v_cmp_ne_u32_e32 vcc, 0, v0
	ds_write_b32 v4, v1
	s_waitcnt lgkmcnt(0)
	s_barrier
	s_waitcnt lgkmcnt(0)
                                        ; implicit-def: $sgpr0_sgpr1
	s_and_saveexec_b64 s[4:5], vcc
	s_cbranch_execz .LBB184_192
; %bb.82:
	v_add_u32_e32 v2, -4, v4
	ds_read_b32 v4, v2
	v_mul_u32_u24_e32 v2, 15, v0
	v_cmp_gt_u64_e32 vcc, s[8:9], v[2:3]
	s_or_b64 s[2:3], s[2:3], exec
	s_waitcnt lgkmcnt(0)
	v_cmp_neq_f32_e64 s[0:1], v4, v24
	s_and_b64 s[0:1], vcc, s[0:1]
	s_and_b64 s[0:1], s[0:1], exec
	s_or_b64 exec, exec, s[4:5]
.LBB184_83:
	v_mov_b32_e32 v60, s10
	s_and_saveexec_b64 s[4:5], s[2:3]
.LBB184_84:
	v_cndmask_b32_e64 v60, 0, 1, s[0:1]
.LBB184_85:
	s_or_b64 exec, exec, s[4:5]
	s_cmp_eq_u64 s[46:47], 0
	v_add3_u32 v2, v59, v60, v58
	s_cselect_b64 s[38:39], -1, 0
	s_cmp_lg_u32 s6, 0
	v_add_f32_e32 v76, v38, v39
	v_cmp_eq_u32_e64 s[24:25], 0, v59
	v_cmp_eq_u32_e64 s[22:23], 0, v58
	;; [unrolled: 1-line block ×3, first 2 shown]
	v_add3_u32 v75, v2, v57, v56
	v_cmp_eq_u32_e64 s[20:21], 0, v56
	v_cmp_eq_u32_e64 s[16:17], 0, v55
	;; [unrolled: 1-line block ×10, first 2 shown]
	v_cmp_eq_u32_e32 vcc, 0, v46
	v_mbcnt_lo_u32_b32 v74, -1, 0
	v_lshrrev_b32_e32 v72, 6, v0
	v_or_b32_e32 v73, 63, v0
	s_cbranch_scc0 .LBB184_116
; %bb.86:
	v_cndmask_b32_e64 v2, v39, v76, s[24:25]
	v_add_f32_e32 v2, v36, v2
	v_cndmask_b32_e64 v2, v36, v2, s[22:23]
	v_add_f32_e32 v2, v37, v2
	;; [unrolled: 2-line block ×11, first 2 shown]
	v_cndmask_b32_e64 v2, v26, v2, s[2:3]
	v_add3_u32 v3, v75, v55, v54
	v_add_f32_e32 v2, v27, v2
	v_add3_u32 v3, v3, v53, v52
	v_cndmask_b32_e64 v2, v27, v2, s[0:1]
	v_add3_u32 v3, v3, v51, v50
	v_add_f32_e32 v2, v68, v2
	v_add3_u32 v3, v3, v49, v48
	v_cndmask_b32_e32 v2, v68, v2, vcc
	v_add3_u32 v3, v3, v47, v46
	v_mbcnt_hi_u32_b32 v43, -1, v74
	v_mov_b32_dpp v6, v2 row_shr:1 row_mask:0xf bank_mask:0xf
	v_and_b32_e32 v4, 15, v43
	v_add_f32_e32 v6, v2, v6
	v_cmp_eq_u32_e32 vcc, 0, v3
	v_mov_b32_dpp v5, v3 row_shr:1 row_mask:0xf bank_mask:0xf
	v_cndmask_b32_e32 v6, v2, v6, vcc
	v_cmp_eq_u32_e32 vcc, 0, v4
	v_cndmask_b32_e64 v5, v5, 0, vcc
	v_cndmask_b32_e32 v2, v6, v2, vcc
	v_add_u32_e32 v3, v5, v3
	v_cmp_eq_u32_e32 vcc, 0, v3
	v_mov_b32_dpp v6, v2 row_shr:2 row_mask:0xf bank_mask:0xf
	v_add_f32_e32 v6, v2, v6
	v_mov_b32_dpp v5, v3 row_shr:2 row_mask:0xf bank_mask:0xf
	v_cndmask_b32_e32 v6, v2, v6, vcc
	v_cmp_lt_u32_e32 vcc, 1, v4
	v_cndmask_b32_e32 v2, v2, v6, vcc
	v_cndmask_b32_e32 v5, 0, v5, vcc
	v_add_u32_e32 v3, v3, v5
	v_mov_b32_dpp v6, v2 row_shr:4 row_mask:0xf bank_mask:0xf
	v_add_f32_e32 v6, v2, v6
	v_cmp_eq_u32_e32 vcc, 0, v3
	v_mov_b32_dpp v5, v3 row_shr:4 row_mask:0xf bank_mask:0xf
	v_cndmask_b32_e32 v6, v2, v6, vcc
	v_cmp_lt_u32_e32 vcc, 3, v4
	v_cndmask_b32_e32 v2, v2, v6, vcc
	v_cndmask_b32_e32 v5, 0, v5, vcc
	v_add_u32_e32 v3, v5, v3
	v_mov_b32_dpp v6, v2 row_shr:8 row_mask:0xf bank_mask:0xf
	v_add_f32_e32 v6, v2, v6
	v_cmp_eq_u32_e32 vcc, 0, v3
	v_mov_b32_dpp v5, v3 row_shr:8 row_mask:0xf bank_mask:0xf
	v_cndmask_b32_e32 v6, v2, v6, vcc
	v_cmp_lt_u32_e32 vcc, 7, v4
	v_cndmask_b32_e32 v2, v2, v6, vcc
	v_cndmask_b32_e32 v4, 0, v5, vcc
	v_add_u32_e32 v3, v4, v3
	v_mov_b32_dpp v5, v2 row_bcast:15 row_mask:0xf bank_mask:0xf
	v_bfe_i32 v6, v43, 4, 1
	v_mov_b32_dpp v4, v3 row_bcast:15 row_mask:0xf bank_mask:0xf
	v_and_b32_e32 v7, 16, v43
	v_add_f32_e32 v5, v2, v5
	v_cmp_eq_u32_e32 vcc, 0, v3
	v_cndmask_b32_e32 v5, v2, v5, vcc
	v_and_b32_e32 v4, v6, v4
	v_cmp_eq_u32_e32 vcc, 0, v7
	v_add_u32_e32 v4, v4, v3
	v_cndmask_b32_e32 v3, v5, v2, vcc
	v_cmp_eq_u32_e32 vcc, 0, v4
	v_mov_b32_dpp v2, v4 row_bcast:31 row_mask:0xf bank_mask:0xf
	v_mov_b32_dpp v5, v3 row_bcast:31 row_mask:0xf bank_mask:0xf
	v_add_f32_e32 v5, v3, v5
	v_cndmask_b32_e32 v6, v3, v5, vcc
	v_cmp_lt_u32_e32 vcc, 31, v43
	v_cndmask_b32_e32 v2, 0, v2, vcc
	v_add_u32_e32 v2, v2, v4
	v_cmp_eq_u32_e64 s[26:27], v73, v0
	v_lshlrev_b32_e32 v5, 3, v72
	v_cndmask_b32_e32 v4, v3, v6, vcc
	s_and_saveexec_b64 s[30:31], s[26:27]
	s_cbranch_execz .LBB184_88
; %bb.87:
	v_cndmask_b32_e32 v3, v3, v6, vcc
	ds_write_b64 v5, v[2:3] offset:2064
.LBB184_88:
	s_or_b64 exec, exec, s[30:31]
	v_cmp_gt_u32_e32 vcc, 4, v0
	s_waitcnt lgkmcnt(0)
	s_barrier
	s_and_saveexec_b64 s[30:31], vcc
	s_cbranch_execz .LBB184_90
; %bb.89:
	v_lshlrev_b32_e32 v3, 3, v0
	ds_read_b64 v[6:7], v3 offset:2064
	v_and_b32_e32 v8, 3, v43
	v_cmp_lt_u32_e64 s[26:27], 1, v8
	s_waitcnt lgkmcnt(0)
	v_mov_b32_dpp v10, v7 row_shr:1 row_mask:0xf bank_mask:0xf
	v_add_f32_e32 v10, v7, v10
	v_cmp_eq_u32_e32 vcc, 0, v6
	v_mov_b32_dpp v9, v6 row_shr:1 row_mask:0xf bank_mask:0xf
	v_cndmask_b32_e32 v10, v7, v10, vcc
	v_cmp_eq_u32_e32 vcc, 0, v8
	v_cndmask_b32_e64 v9, v9, 0, vcc
	v_add_u32_e32 v6, v9, v6
	v_cndmask_b32_e32 v7, v10, v7, vcc
	v_cmp_eq_u32_e32 vcc, 0, v6
	v_mov_b32_dpp v9, v6 row_shr:2 row_mask:0xf bank_mask:0xf
	v_mov_b32_dpp v10, v7 row_shr:2 row_mask:0xf bank_mask:0xf
	v_add_f32_e32 v10, v7, v10
	v_cndmask_b32_e64 v8, 0, v9, s[26:27]
	s_and_b64 vcc, s[26:27], vcc
	v_add_u32_e32 v6, v8, v6
	v_cndmask_b32_e32 v7, v7, v10, vcc
	ds_write_b64 v3, v[6:7] offset:2064
.LBB184_90:
	s_or_b64 exec, exec, s[30:31]
	v_cmp_gt_u32_e32 vcc, 64, v0
	v_cmp_lt_u32_e64 s[26:27], 63, v0
	v_mov_b32_e32 v40, 0
	v_mov_b32_e32 v41, 0
	s_waitcnt lgkmcnt(0)
	s_barrier
	s_and_saveexec_b64 s[30:31], s[26:27]
	s_cbranch_execz .LBB184_92
; %bb.91:
	ds_read_b64 v[40:41], v5 offset:2056
	v_cmp_eq_u32_e64 s[26:27], 0, v2
	s_waitcnt lgkmcnt(0)
	v_add_u32_e32 v3, v40, v2
	v_add_f32_e32 v5, v4, v41
	v_cndmask_b32_e64 v4, v4, v5, s[26:27]
	v_mov_b32_e32 v2, v3
.LBB184_92:
	s_or_b64 exec, exec, s[30:31]
	v_add_u32_e32 v3, -1, v43
	v_and_b32_e32 v5, 64, v43
	v_cmp_lt_i32_e64 s[26:27], v3, v5
	v_cndmask_b32_e64 v3, v3, v43, s[26:27]
	v_lshlrev_b32_e32 v3, 2, v3
	ds_bpermute_b32 v61, v3, v2
	ds_bpermute_b32 v62, v3, v4
	v_cmp_eq_u32_e64 s[26:27], 0, v43
	s_and_saveexec_b64 s[40:41], vcc
	s_cbranch_execz .LBB184_115
; %bb.93:
	v_mov_b32_e32 v11, 0
	ds_read_b64 v[2:3], v11 offset:2088
	s_waitcnt lgkmcnt(0)
	v_readfirstlane_b32 s7, v3
	s_and_saveexec_b64 s[30:31], s[26:27]
	s_cbranch_execz .LBB184_95
; %bb.94:
	s_add_i32 s46, s6, 64
	s_mov_b32 s47, 0
	s_lshl_b64 s[48:49], s[46:47], 4
	s_add_u32 s48, s44, s48
	s_addc_u32 s49, s45, s49
	s_and_b32 s51, s7, 0xff000000
	s_mov_b32 s50, s47
	s_and_b32 s57, s7, 0xff0000
	s_mov_b32 s56, s47
	s_or_b64 s[50:51], s[56:57], s[50:51]
	s_and_b32 s57, s7, 0xff00
	s_or_b64 s[50:51], s[50:51], s[56:57]
	s_and_b32 s57, s7, 0xff
	s_or_b64 s[46:47], s[50:51], s[56:57]
	v_mov_b32_e32 v9, s47
	v_mov_b32_e32 v10, 1
	;; [unrolled: 1-line block ×3, first 2 shown]
	v_pk_mov_b32 v[4:5], s[48:49], s[48:49] op_sel:[0,1]
	;;#ASMSTART
	global_store_dwordx4 v[4:5], v[8:11] off	
s_waitcnt vmcnt(0)
	;;#ASMEND
.LBB184_95:
	s_or_b64 exec, exec, s[30:31]
	v_xad_u32 v42, v43, -1, s6
	v_add_u32_e32 v10, 64, v42
	v_lshlrev_b64 v[4:5], 4, v[10:11]
	v_mov_b32_e32 v6, s45
	v_add_co_u32_e32 v4, vcc, s44, v4
	s_mov_b32 s30, 0x70605
	v_addc_co_u32_e32 v5, vcc, v6, v5, vcc
	;;#ASMSTART
	global_load_dwordx4 v[6:9], v[4:5] off glc	
s_waitcnt vmcnt(0)
	;;#ASMEND
	v_perm_b32 v45, v7, v8, s30
	s_mov_b32 s30, 0x1000706
	v_perm_b32 v63, v7, v8, s30
	s_mov_b32 s30, 0x2010007
	v_perm_b32 v64, v7, v8, s30
	v_lshlrev_b32_e32 v45, 8, v45
	s_mov_b32 s30, 0xc0c0500
	v_alignbit_b32 v9, v7, v6, 8
	v_alignbit_b32 v44, v7, v6, 16
	;; [unrolled: 1-line block ×3, first 2 shown]
	v_perm_b32 v7, v45, v7, s30
	v_lshlrev_b32_e32 v45, 16, v63
	v_and_b32_e32 v45, 0xff0000, v45
	v_lshlrev_b32_e32 v63, 24, v64
	v_or3_b32 v7, v7, v45, v63
	v_cmp_eq_u16_sdwa s[46:47], v8, v11 src0_sel:BYTE_0 src1_sel:DWORD
	s_and_saveexec_b64 s[30:31], s[46:47]
	s_cbranch_execz .LBB184_101
; %bb.96:
	s_mov_b32 s48, 1
	s_mov_b64 s[46:47], 0
	v_mov_b32_e32 v10, 0
.LBB184_97:                             ; =>This Loop Header: Depth=1
                                        ;     Child Loop BB184_98 Depth 2
	s_max_u32 s49, s48, 1
.LBB184_98:                             ;   Parent Loop BB184_97 Depth=1
                                        ; =>  This Inner Loop Header: Depth=2
	s_add_i32 s49, s49, -1
	s_cmp_eq_u32 s49, 0
	s_sleep 1
	s_cbranch_scc0 .LBB184_98
; %bb.99:                               ;   in Loop: Header=BB184_97 Depth=1
	s_cmp_lt_u32 s48, 32
	s_cselect_b64 s[50:51], -1, 0
	s_cmp_lg_u64 s[50:51], 0
	s_addc_u32 s48, s48, 0
	;;#ASMSTART
	global_load_dwordx4 v[6:9], v[4:5] off glc	
s_waitcnt vmcnt(0)
	;;#ASMEND
	v_cmp_ne_u16_sdwa s[50:51], v8, v10 src0_sel:BYTE_0 src1_sel:DWORD
	s_or_b64 s[46:47], s[50:51], s[46:47]
	s_andn2_b64 exec, exec, s[46:47]
	s_cbranch_execnz .LBB184_97
; %bb.100:
	s_or_b64 exec, exec, s[46:47]
	s_mov_b32 s46, 0x70605
	v_perm_b32 v4, v7, v8, s46
	s_mov_b32 s46, 0x1000706
	v_perm_b32 v5, v7, v8, s46
	;; [unrolled: 2-line block ×3, first 2 shown]
	v_lshlrev_b32_e32 v4, 8, v4
	s_mov_b32 s46, 0xc0c0500
	v_lshlrev_b32_e32 v5, 16, v5
	v_alignbit_b32 v9, v7, v6, 8
	v_alignbit_b32 v44, v7, v6, 16
	;; [unrolled: 1-line block ×3, first 2 shown]
	v_perm_b32 v4, v4, v7, s46
	v_lshlrev_b32_e32 v7, 24, v11
	v_and_b32_e32 v5, 0xff0000, v5
	v_or3_b32 v7, v4, v5, v7
.LBB184_101:
	s_or_b64 exec, exec, s[30:31]
	v_and_b32_e32 v64, 63, v43
	v_cmp_ne_u32_e32 vcc, 63, v64
	v_lshlrev_b32_e32 v5, 8, v9
	v_addc_co_u32_e32 v9, vcc, 0, v43, vcc
	v_lshlrev_b32_e32 v4, 16, v44
	s_mov_b32 s48, 0x4020c0c
	v_mov_b32_e32 v63, 2
	v_lshlrev_b32_e32 v65, 2, v9
	v_perm_b32 v4, v10, v4, s48
	v_and_b32_e32 v5, 0xff00, v5
	v_and_b32_e32 v6, 0xff, v6
	v_cmp_eq_u16_sdwa s[30:31], v8, v63 src0_sel:BYTE_0 src1_sel:DWORD
	v_lshlrev_b64 v[10:11], v43, -1
	ds_bpermute_b32 v9, v65, v7
	v_or3_b32 v4, v4, v5, v6
	v_and_b32_e32 v5, s31, v11
	v_or_b32_e32 v5, 0x80000000, v5
	v_and_b32_e32 v6, s30, v10
	v_ffbl_b32_e32 v5, v5
	v_add_u32_e32 v5, 32, v5
	v_ffbl_b32_e32 v6, v6
	v_min_u32_e32 v5, v6, v5
	s_waitcnt lgkmcnt(0)
	v_add_f32_e32 v9, v7, v9
	v_cmp_eq_u32_e32 vcc, 0, v4
	v_cndmask_b32_e32 v9, v7, v9, vcc
	v_cmp_lt_u32_e32 vcc, v64, v5
	v_cmp_gt_u32_e64 s[30:31], 62, v64
	v_cndmask_b32_e32 v7, v7, v9, vcc
	v_cndmask_b32_e64 v9, 0, 1, s[30:31]
	ds_bpermute_b32 v6, v65, v4
	v_lshlrev_b32_e32 v9, 1, v9
	v_add_lshl_u32 v66, v9, v43, 2
	ds_bpermute_b32 v9, v66, v7
	v_add_u32_e32 v67, 2, v64
	s_waitcnt lgkmcnt(1)
	v_cndmask_b32_e32 v6, 0, v6, vcc
	v_add_u32_e32 v4, v6, v4
	v_cmp_eq_u32_e32 vcc, 0, v4
	s_waitcnt lgkmcnt(0)
	v_add_f32_e32 v9, v7, v9
	v_cndmask_b32_e32 v9, v7, v9, vcc
	v_cmp_gt_u32_e32 vcc, v67, v5
	v_cmp_gt_u32_e64 s[30:31], 60, v64
	v_cndmask_b32_e32 v7, v9, v7, vcc
	v_cndmask_b32_e64 v9, 0, 1, s[30:31]
	ds_bpermute_b32 v6, v66, v4
	v_lshlrev_b32_e32 v9, 2, v9
	v_add_lshl_u32 v69, v9, v43, 2
	ds_bpermute_b32 v9, v69, v7
	v_add_u32_e32 v70, 4, v64
	s_waitcnt lgkmcnt(1)
	v_cndmask_b32_e64 v6, v6, 0, vcc
	v_add_u32_e32 v4, v4, v6
	v_cmp_eq_u32_e32 vcc, 0, v4
	s_waitcnt lgkmcnt(0)
	v_add_f32_e32 v9, v7, v9
	v_cndmask_b32_e32 v9, v7, v9, vcc
	v_cmp_gt_u32_e32 vcc, v70, v5
	v_cmp_gt_u32_e64 s[30:31], 56, v64
	v_cndmask_b32_e32 v7, v9, v7, vcc
	v_cndmask_b32_e64 v9, 0, 1, s[30:31]
	ds_bpermute_b32 v6, v69, v4
	v_lshlrev_b32_e32 v9, 3, v9
	v_add_lshl_u32 v71, v9, v43, 2
	ds_bpermute_b32 v9, v71, v7
	v_add_u32_e32 v77, 8, v64
	s_waitcnt lgkmcnt(1)
	v_cndmask_b32_e64 v6, v6, 0, vcc
	;; [unrolled: 16-line block ×3, first 2 shown]
	v_add_u32_e32 v4, v4, v6
	ds_bpermute_b32 v6, v78, v4
	s_waitcnt lgkmcnt(1)
	v_add_f32_e32 v9, v7, v9
	v_cmp_eq_u32_e32 vcc, 0, v4
	v_cndmask_b32_e32 v9, v7, v9, vcc
	v_cmp_gt_u32_e32 vcc, v79, v5
	v_cmp_gt_u32_e64 s[30:31], 32, v64
	v_cndmask_b32_e32 v7, v9, v7, vcc
	v_cndmask_b32_e64 v9, 0, 1, s[30:31]
	v_lshlrev_b32_e32 v9, 5, v9
	v_add_lshl_u32 v80, v9, v43, 2
	ds_bpermute_b32 v9, v80, v7
	s_waitcnt lgkmcnt(1)
	v_cndmask_b32_e64 v6, v6, 0, vcc
	v_add_u32_e32 v4, v4, v6
	ds_bpermute_b32 v6, v80, v4
	v_add_u32_e32 v81, 32, v64
	s_waitcnt lgkmcnt(1)
	v_add_f32_e32 v9, v7, v9
	v_cmp_eq_u32_e32 vcc, 0, v4
	v_cndmask_b32_e32 v9, v7, v9, vcc
	v_cmp_gt_u32_e32 vcc, v81, v5
	s_waitcnt lgkmcnt(0)
	v_cndmask_b32_e64 v5, v6, 0, vcc
	v_cndmask_b32_e32 v7, v9, v7, vcc
	v_add_u32_e32 v6, v5, v4
	v_mov_b32_e32 v43, 0
	s_mov_b32 s49, 0x70605
	s_mov_b32 s50, 0x1000706
	;; [unrolled: 1-line block ×4, first 2 shown]
	s_branch .LBB184_103
.LBB184_102:                            ;   in Loop: Header=BB184_103 Depth=1
	s_or_b64 exec, exec, s[30:31]
	v_lshlrev_b32_e32 v44, 16, v82
	v_lshlrev_b32_e32 v9, 8, v9
	v_perm_b32 v44, v83, v44, s48
	v_and_b32_e32 v9, 0xff00, v9
	v_and_b32_e32 v6, 0xff, v6
	v_cmp_eq_u16_sdwa s[30:31], v8, v63 src0_sel:BYTE_0 src1_sel:DWORD
	ds_bpermute_b32 v45, v65, v7
	v_or3_b32 v6, v44, v9, v6
	v_and_b32_e32 v9, s31, v11
	v_or_b32_e32 v9, 0x80000000, v9
	v_and_b32_e32 v44, s30, v10
	v_ffbl_b32_e32 v9, v9
	v_add_u32_e32 v9, 32, v9
	v_ffbl_b32_e32 v44, v44
	v_min_u32_e32 v9, v44, v9
	s_waitcnt lgkmcnt(0)
	v_add_f32_e32 v45, v7, v45
	v_cmp_eq_u32_e32 vcc, 0, v6
	ds_bpermute_b32 v44, v65, v6
	v_cndmask_b32_e32 v45, v7, v45, vcc
	v_cmp_lt_u32_e32 vcc, v64, v9
	v_cndmask_b32_e32 v7, v7, v45, vcc
	ds_bpermute_b32 v45, v66, v7
	s_waitcnt lgkmcnt(1)
	v_cndmask_b32_e32 v44, 0, v44, vcc
	v_add_u32_e32 v6, v44, v6
	v_cmp_eq_u32_e32 vcc, 0, v6
	ds_bpermute_b32 v44, v66, v6
	s_waitcnt lgkmcnt(1)
	v_add_f32_e32 v45, v7, v45
	v_cndmask_b32_e32 v45, v7, v45, vcc
	v_cmp_gt_u32_e32 vcc, v67, v9
	v_cndmask_b32_e32 v7, v45, v7, vcc
	ds_bpermute_b32 v45, v69, v7
	s_waitcnt lgkmcnt(1)
	v_cndmask_b32_e64 v44, v44, 0, vcc
	v_add_u32_e32 v6, v6, v44
	v_cmp_eq_u32_e32 vcc, 0, v6
	ds_bpermute_b32 v44, v69, v6
	s_waitcnt lgkmcnt(1)
	v_add_f32_e32 v45, v7, v45
	v_cndmask_b32_e32 v45, v7, v45, vcc
	v_cmp_gt_u32_e32 vcc, v70, v9
	v_cndmask_b32_e32 v7, v45, v7, vcc
	ds_bpermute_b32 v45, v71, v7
	s_waitcnt lgkmcnt(1)
	v_cndmask_b32_e64 v44, v44, 0, vcc
	v_add_u32_e32 v6, v6, v44
	ds_bpermute_b32 v44, v71, v6
	v_cmp_eq_u32_e32 vcc, 0, v6
	s_waitcnt lgkmcnt(1)
	v_add_f32_e32 v45, v7, v45
	v_cndmask_b32_e32 v45, v7, v45, vcc
	v_cmp_gt_u32_e32 vcc, v77, v9
	v_cndmask_b32_e32 v7, v45, v7, vcc
	ds_bpermute_b32 v45, v78, v7
	s_waitcnt lgkmcnt(1)
	v_cndmask_b32_e64 v44, v44, 0, vcc
	v_add_u32_e32 v6, v6, v44
	ds_bpermute_b32 v44, v78, v6
	v_cmp_eq_u32_e32 vcc, 0, v6
	;; [unrolled: 11-line block ×3, first 2 shown]
	s_waitcnt lgkmcnt(1)
	v_add_f32_e32 v45, v7, v45
	v_cndmask_b32_e32 v45, v7, v45, vcc
	v_cmp_gt_u32_e32 vcc, v81, v9
	v_cndmask_b32_e32 v7, v45, v7, vcc
	s_waitcnt lgkmcnt(0)
	v_cndmask_b32_e64 v9, v44, 0, vcc
	v_add_f32_e32 v7, v5, v7
	v_cmp_eq_u32_e32 vcc, 0, v4
	v_subrev_u32_e32 v42, 64, v42
	v_add3_u32 v6, v6, v4, v9
	v_cndmask_b32_e32 v7, v5, v7, vcc
.LBB184_103:                            ; =>This Loop Header: Depth=1
                                        ;     Child Loop BB184_106 Depth 2
                                        ;       Child Loop BB184_107 Depth 3
	v_cmp_ne_u16_sdwa s[30:31], v8, v63 src0_sel:BYTE_0 src1_sel:DWORD
	v_cndmask_b32_e64 v4, 0, 1, s[30:31]
	;;#ASMSTART
	;;#ASMEND
	v_cmp_ne_u32_e32 vcc, 0, v4
	v_mov_b32_e32 v5, v7
	s_cmp_lg_u64 vcc, exec
	v_mov_b32_e32 v4, v6
	s_cbranch_scc1 .LBB184_110
; %bb.104:                              ;   in Loop: Header=BB184_103 Depth=1
	v_lshlrev_b64 v[6:7], 4, v[42:43]
	v_mov_b32_e32 v8, s45
	v_add_co_u32_e32 v44, vcc, s44, v6
	v_addc_co_u32_e32 v45, vcc, v8, v7, vcc
	;;#ASMSTART
	global_load_dwordx4 v[6:9], v[44:45] off glc	
s_waitcnt vmcnt(0)
	;;#ASMEND
	v_perm_b32 v84, v7, v8, s49
	v_perm_b32 v85, v7, v8, s50
	v_lshlrev_b32_e32 v84, 8, v84
	v_alignbit_b32 v9, v7, v6, 8
	v_alignbit_b32 v82, v7, v6, 16
	;; [unrolled: 1-line block ×3, first 2 shown]
	v_perm_b32 v86, v7, v8, s51
	v_perm_b32 v7, v84, v7, s56
	v_lshlrev_b32_e32 v84, 16, v85
	v_and_b32_e32 v84, 0xff0000, v84
	v_lshlrev_b32_e32 v85, 24, v86
	v_or3_b32 v7, v7, v84, v85
	v_cmp_eq_u16_sdwa s[46:47], v8, v43 src0_sel:BYTE_0 src1_sel:DWORD
	s_and_saveexec_b64 s[30:31], s[46:47]
	s_cbranch_execz .LBB184_102
; %bb.105:                              ;   in Loop: Header=BB184_103 Depth=1
	s_mov_b32 s57, 1
	s_mov_b64 s[46:47], 0
.LBB184_106:                            ;   Parent Loop BB184_103 Depth=1
                                        ; =>  This Loop Header: Depth=2
                                        ;       Child Loop BB184_107 Depth 3
	s_max_u32 s62, s57, 1
.LBB184_107:                            ;   Parent Loop BB184_103 Depth=1
                                        ;     Parent Loop BB184_106 Depth=2
                                        ; =>    This Inner Loop Header: Depth=3
	s_add_i32 s62, s62, -1
	s_cmp_eq_u32 s62, 0
	s_sleep 1
	s_cbranch_scc0 .LBB184_107
; %bb.108:                              ;   in Loop: Header=BB184_106 Depth=2
	s_cmp_lt_u32 s57, 32
	s_cselect_b64 s[62:63], -1, 0
	s_cmp_lg_u64 s[62:63], 0
	s_addc_u32 s57, s57, 0
	;;#ASMSTART
	global_load_dwordx4 v[6:9], v[44:45] off glc	
s_waitcnt vmcnt(0)
	;;#ASMEND
	v_cmp_ne_u16_sdwa s[62:63], v8, v43 src0_sel:BYTE_0 src1_sel:DWORD
	s_or_b64 s[46:47], s[62:63], s[46:47]
	s_andn2_b64 exec, exec, s[46:47]
	s_cbranch_execnz .LBB184_106
; %bb.109:                              ;   in Loop: Header=BB184_103 Depth=1
	s_or_b64 exec, exec, s[46:47]
	v_perm_b32 v44, v7, v8, s49
	v_perm_b32 v45, v7, v8, s50
	v_lshlrev_b32_e32 v44, 8, v44
	v_alignbit_b32 v9, v7, v6, 8
	v_alignbit_b32 v82, v7, v6, 16
	;; [unrolled: 1-line block ×3, first 2 shown]
	v_perm_b32 v84, v7, v8, s51
	v_perm_b32 v7, v44, v7, s56
	v_lshlrev_b32_e32 v44, 16, v45
	v_lshlrev_b32_e32 v45, 24, v84
	v_and_b32_e32 v44, 0xff0000, v44
	v_or3_b32 v7, v7, v44, v45
	s_branch .LBB184_102
.LBB184_110:                            ;   in Loop: Header=BB184_103 Depth=1
                                        ; implicit-def: $vgpr7
                                        ; implicit-def: $vgpr6
                                        ; implicit-def: $vgpr8
	s_cbranch_execz .LBB184_103
; %bb.111:
	s_and_saveexec_b64 s[30:31], s[26:27]
	s_cbranch_execz .LBB184_113
; %bb.112:
	s_mov_b32 s47, 0
	v_add_f32_e32 v7, s7, v5
	v_mov_b32_e32 v8, s7
	v_cmp_eq_u32_e32 vcc, 0, v2
	s_add_i32 s46, s6, 64
	v_cndmask_b32_e32 v7, v8, v7, vcc
	s_lshl_b64 s[6:7], s[46:47], 4
	s_add_u32 s6, s44, s6
	v_and_b32_e32 v8, 0xff000000, v7
	v_and_b32_e32 v10, 0xff0000, v7
	s_addc_u32 s7, s45, s7
	v_or_b32_e32 v8, v10, v8
	v_and_b32_e32 v10, 0xff00, v7
	v_and_b32_e32 v7, 0xff, v7
	v_add_u32_e32 v6, v4, v2
	v_mov_b32_e32 v9, 0
	v_or3_b32 v7, v8, v10, v7
	v_mov_b32_e32 v8, 2
	v_pk_mov_b32 v[10:11], s[6:7], s[6:7] op_sel:[0,1]
	;;#ASMSTART
	global_store_dwordx4 v[10:11], v[6:9] off	
s_waitcnt vmcnt(0)
	;;#ASMEND
	ds_write_b128 v9, v[2:5] offset:2048
.LBB184_113:
	s_or_b64 exec, exec, s[30:31]
	v_cmp_eq_u32_e32 vcc, 0, v0
	s_and_b64 exec, exec, vcc
	s_cbranch_execz .LBB184_115
; %bb.114:
	v_mov_b32_e32 v2, 0
	ds_write_b64 v2, v[4:5] offset:2088
.LBB184_115:
	s_or_b64 exec, exec, s[40:41]
	v_mov_b32_e32 v4, 0
	s_waitcnt lgkmcnt(0)
	s_barrier
	ds_read_b64 v[2:3], v4 offset:2088
	v_cndmask_b32_e64 v5, v62, v41, s[26:27]
	v_cndmask_b32_e64 v6, v61, v40, s[26:27]
	v_cmp_eq_u32_e32 vcc, 0, v6
	s_waitcnt lgkmcnt(0)
	v_add_f32_e32 v7, v5, v3
	v_cndmask_b32_e32 v5, v5, v7, vcc
	v_cmp_eq_u32_e32 vcc, 0, v0
	v_cndmask_b32_e32 v71, v5, v3, vcc
	v_cndmask_b32_e64 v3, v6, 0, vcc
	v_add_u32_e32 v7, v2, v3
	v_add_f32_e32 v2, v38, v71
	v_cmp_eq_u32_e32 vcc, 0, v60
	v_cndmask_b32_e32 v70, v38, v2, vcc
	v_add_f32_e32 v2, v39, v70
	v_cndmask_b32_e64 v69, v39, v2, s[24:25]
	v_add_f32_e32 v2, v36, v69
	v_cndmask_b32_e64 v67, v36, v2, s[22:23]
	;; [unrolled: 2-line block ×11, first 2 shown]
	s_barrier
	ds_read_b128 v[2:5], v4 offset:2048
	v_add_f32_e32 v6, v26, v42
	v_cndmask_b32_e64 v41, v26, v6, s[2:3]
	v_add_f32_e32 v6, v27, v41
	v_cndmask_b32_e64 v44, v27, v6, s[0:1]
	s_waitcnt lgkmcnt(0)
	v_add_f32_e32 v5, v5, v3
	v_cmp_eq_u32_e32 vcc, 0, v2
	v_cndmask_b32_e32 v40, v3, v5, vcc
	v_mov_b32_e32 v6, v4
	v_mov_b32_e32 v5, v7
	s_branch .LBB184_128
.LBB184_116:
                                        ; implicit-def: $vgpr2
                                        ; implicit-def: $vgpr40
                                        ; implicit-def: $vgpr6
                                        ; implicit-def: $vgpr44
                                        ; implicit-def: $vgpr41
                                        ; implicit-def: $vgpr42
                                        ; implicit-def: $vgpr43
                                        ; implicit-def: $vgpr45
                                        ; implicit-def: $vgpr61
                                        ; implicit-def: $vgpr62
                                        ; implicit-def: $vgpr63
                                        ; implicit-def: $vgpr64
                                        ; implicit-def: $vgpr65
                                        ; implicit-def: $vgpr66
                                        ; implicit-def: $vgpr67
                                        ; implicit-def: $vgpr69
                                        ; implicit-def: $vgpr70
                                        ; implicit-def: $vgpr71
	s_cbranch_execz .LBB184_128
; %bb.117:
	s_and_b64 s[0:1], s[38:39], exec
	s_cselect_b32 s1, 0, s61
	s_cselect_b32 s0, 0, s60
	s_cmp_eq_u64 s[0:1], 0
	v_mov_b32_e32 v6, v38
	s_cbranch_scc1 .LBB184_119
; %bb.118:
	v_mov_b32_e32 v2, 0
	global_load_dword v6, v2, s[0:1]
.LBB184_119:
	v_cmp_eq_u32_e64 s[0:1], 0, v59
	v_cndmask_b32_e64 v2, v39, v76, s[0:1]
	v_add_f32_e32 v2, v36, v2
	v_cmp_eq_u32_e64 s[2:3], 0, v58
	v_cndmask_b32_e64 v2, v36, v2, s[2:3]
	v_add_f32_e32 v2, v37, v2
	;; [unrolled: 3-line block ×11, first 2 shown]
	v_cmp_eq_u32_e64 s[22:23], 0, v48
	v_cndmask_b32_e64 v2, v26, v2, s[22:23]
	v_add3_u32 v3, v75, v55, v54
	v_add_f32_e32 v2, v27, v2
	v_cmp_eq_u32_e32 vcc, 0, v47
	v_add3_u32 v3, v3, v53, v52
	v_cndmask_b32_e32 v2, v27, v2, vcc
	v_add3_u32 v3, v3, v51, v50
	v_add_f32_e32 v2, v68, v2
	v_cmp_eq_u32_e64 s[24:25], 0, v46
	v_add3_u32 v3, v3, v49, v48
	v_cndmask_b32_e64 v2, v68, v2, s[24:25]
	v_add3_u32 v3, v3, v47, v46
	v_mbcnt_hi_u32_b32 v7, -1, v74
	v_mov_b32_dpp v8, v2 row_shr:1 row_mask:0xf bank_mask:0xf
	v_and_b32_e32 v4, 15, v7
	v_add_f32_e32 v8, v2, v8
	v_cmp_eq_u32_e64 s[24:25], 0, v3
	v_mov_b32_dpp v5, v3 row_shr:1 row_mask:0xf bank_mask:0xf
	v_cndmask_b32_e64 v8, v2, v8, s[24:25]
	v_cmp_eq_u32_e64 s[24:25], 0, v4
	v_cndmask_b32_e64 v5, v5, 0, s[24:25]
	v_cndmask_b32_e64 v2, v8, v2, s[24:25]
	v_add_u32_e32 v3, v5, v3
	v_cmp_eq_u32_e64 s[24:25], 0, v3
	v_mov_b32_dpp v8, v2 row_shr:2 row_mask:0xf bank_mask:0xf
	v_add_f32_e32 v8, v2, v8
	v_mov_b32_dpp v5, v3 row_shr:2 row_mask:0xf bank_mask:0xf
	v_cndmask_b32_e64 v8, v2, v8, s[24:25]
	v_cmp_lt_u32_e64 s[24:25], 1, v4
	v_cndmask_b32_e64 v2, v2, v8, s[24:25]
	v_cndmask_b32_e64 v5, 0, v5, s[24:25]
	v_add_u32_e32 v3, v3, v5
	v_mov_b32_dpp v8, v2 row_shr:4 row_mask:0xf bank_mask:0xf
	v_add_f32_e32 v8, v2, v8
	v_cmp_eq_u32_e64 s[24:25], 0, v3
	v_mov_b32_dpp v5, v3 row_shr:4 row_mask:0xf bank_mask:0xf
	v_cndmask_b32_e64 v8, v2, v8, s[24:25]
	v_cmp_lt_u32_e64 s[24:25], 3, v4
	v_cndmask_b32_e64 v2, v2, v8, s[24:25]
	v_cndmask_b32_e64 v5, 0, v5, s[24:25]
	v_add_u32_e32 v3, v5, v3
	v_mov_b32_dpp v8, v2 row_shr:8 row_mask:0xf bank_mask:0xf
	v_add_f32_e32 v8, v2, v8
	v_cmp_eq_u32_e64 s[24:25], 0, v3
	v_mov_b32_dpp v5, v3 row_shr:8 row_mask:0xf bank_mask:0xf
	v_cndmask_b32_e64 v8, v2, v8, s[24:25]
	v_cmp_lt_u32_e64 s[24:25], 7, v4
	v_cndmask_b32_e64 v2, v2, v8, s[24:25]
	v_cndmask_b32_e64 v4, 0, v5, s[24:25]
	v_add_u32_e32 v3, v4, v3
	v_mov_b32_dpp v5, v2 row_bcast:15 row_mask:0xf bank_mask:0xf
	v_bfe_i32 v8, v7, 4, 1
	v_mov_b32_dpp v4, v3 row_bcast:15 row_mask:0xf bank_mask:0xf
	v_and_b32_e32 v9, 16, v7
	v_add_f32_e32 v5, v2, v5
	v_cmp_eq_u32_e64 s[24:25], 0, v3
	v_cndmask_b32_e64 v5, v2, v5, s[24:25]
	v_and_b32_e32 v4, v8, v4
	v_cmp_eq_u32_e64 s[24:25], 0, v9
	v_add_u32_e32 v3, v4, v3
	v_cndmask_b32_e64 v4, v5, v2, s[24:25]
	v_cmp_eq_u32_e64 s[24:25], 0, v3
	v_mov_b32_dpp v2, v3 row_bcast:31 row_mask:0xf bank_mask:0xf
	v_mov_b32_dpp v5, v4 row_bcast:31 row_mask:0xf bank_mask:0xf
	v_add_f32_e32 v5, v4, v5
	v_cndmask_b32_e64 v5, v4, v5, s[24:25]
	v_cmp_lt_u32_e64 s[24:25], 31, v7
	v_cndmask_b32_e64 v2, 0, v2, s[24:25]
	v_add_u32_e32 v2, v2, v3
	v_cmp_eq_u32_e64 s[26:27], v73, v0
	v_cndmask_b32_e64 v3, v4, v5, s[24:25]
	s_and_saveexec_b64 s[24:25], s[26:27]
	s_cbranch_execz .LBB184_121
; %bb.120:
	v_lshlrev_b32_e32 v4, 3, v72
	ds_write_b64 v4, v[2:3] offset:2064
.LBB184_121:
	s_or_b64 exec, exec, s[24:25]
	v_cmp_gt_u32_e64 s[24:25], 4, v0
	s_waitcnt lgkmcnt(0)
	s_barrier
	s_and_saveexec_b64 s[28:29], s[24:25]
	s_cbranch_execz .LBB184_123
; %bb.122:
	v_lshlrev_b32_e32 v8, 3, v0
	ds_read_b64 v[4:5], v8 offset:2064
	v_and_b32_e32 v9, 3, v7
	v_cmp_lt_u32_e64 s[26:27], 1, v9
	s_waitcnt lgkmcnt(0)
	v_mov_b32_dpp v11, v5 row_shr:1 row_mask:0xf bank_mask:0xf
	v_add_f32_e32 v11, v5, v11
	v_cmp_eq_u32_e64 s[24:25], 0, v4
	v_mov_b32_dpp v10, v4 row_shr:1 row_mask:0xf bank_mask:0xf
	v_cndmask_b32_e64 v11, v5, v11, s[24:25]
	v_cmp_eq_u32_e64 s[24:25], 0, v9
	v_cndmask_b32_e64 v10, v10, 0, s[24:25]
	v_add_u32_e32 v4, v10, v4
	v_cndmask_b32_e64 v5, v11, v5, s[24:25]
	v_cmp_eq_u32_e64 s[24:25], 0, v4
	v_mov_b32_dpp v10, v4 row_shr:2 row_mask:0xf bank_mask:0xf
	v_mov_b32_dpp v11, v5 row_shr:2 row_mask:0xf bank_mask:0xf
	v_add_f32_e32 v11, v5, v11
	v_cndmask_b32_e64 v9, 0, v10, s[26:27]
	s_and_b64 s[24:25], s[26:27], s[24:25]
	v_add_u32_e32 v4, v9, v4
	v_cndmask_b32_e64 v5, v5, v11, s[24:25]
	ds_write_b64 v8, v[4:5] offset:2064
.LBB184_123:
	s_or_b64 exec, exec, s[28:29]
	v_cmp_lt_u32_e64 s[24:25], 63, v0
	v_mov_b32_e32 v8, 0
	v_mov_b32_e32 v4, 0
	s_waitcnt vmcnt(0)
	v_mov_b32_e32 v9, v6
	s_waitcnt lgkmcnt(0)
	s_barrier
	s_and_saveexec_b64 s[26:27], s[24:25]
	s_cbranch_execz .LBB184_125
; %bb.124:
	v_lshlrev_b32_e32 v4, 3, v72
	ds_read_b64 v[4:5], v4 offset:2056
	s_waitcnt lgkmcnt(0)
	v_add_f32_e32 v9, v6, v5
	v_cmp_eq_u32_e64 s[24:25], 0, v4
	v_cndmask_b32_e64 v9, v5, v9, s[24:25]
.LBB184_125:
	s_or_b64 exec, exec, s[26:27]
	v_add_f32_e32 v10, v3, v9
	v_cmp_eq_u32_e64 s[24:25], 0, v2
	v_add_u32_e32 v5, v4, v2
	v_cndmask_b32_e64 v2, v3, v10, s[24:25]
	v_add_u32_e32 v3, -1, v7
	v_and_b32_e32 v10, 64, v7
	v_cmp_lt_i32_e64 s[24:25], v3, v10
	v_cndmask_b32_e64 v3, v3, v7, s[24:25]
	v_lshlrev_b32_e32 v3, 2, v3
	ds_bpermute_b32 v5, v3, v5
	ds_bpermute_b32 v2, v3, v2
	v_cmp_eq_u32_e64 s[24:25], 0, v7
	v_cmp_eq_u32_e64 s[26:27], 0, v60
	s_waitcnt lgkmcnt(1)
	v_cndmask_b32_e64 v5, v5, v4, s[24:25]
	s_waitcnt lgkmcnt(0)
	v_cndmask_b32_e64 v71, v2, v9, s[24:25]
	v_cmp_eq_u32_e64 s[24:25], 0, v0
	v_cndmask_b32_e64 v2, v71, v6, s[24:25]
	v_add_f32_e32 v2, v38, v2
	v_cndmask_b32_e64 v70, v38, v2, s[26:27]
	v_add_f32_e32 v2, v39, v70
	v_cndmask_b32_e64 v69, v39, v2, s[0:1]
	v_add_f32_e32 v2, v36, v69
	v_cndmask_b32_e64 v67, v36, v2, s[2:3]
	v_add_f32_e32 v2, v37, v67
	v_cndmask_b32_e64 v66, v37, v2, s[4:5]
	v_add_f32_e32 v2, v34, v66
	v_cndmask_b32_e64 v65, v34, v2, s[6:7]
	v_add_f32_e32 v2, v35, v65
	v_cndmask_b32_e64 v64, v35, v2, s[8:9]
	v_add_f32_e32 v2, v32, v64
	v_cndmask_b32_e64 v63, v32, v2, s[10:11]
	v_add_f32_e32 v2, v33, v63
	v_cndmask_b32_e64 v62, v33, v2, s[12:13]
	v_add_f32_e32 v2, v30, v62
	v_cndmask_b32_e64 v61, v30, v2, s[14:15]
	v_add_f32_e32 v2, v31, v61
	v_cndmask_b32_e64 v45, v31, v2, s[16:17]
	v_add_f32_e32 v2, v28, v45
	v_cndmask_b32_e64 v43, v28, v2, s[20:21]
	ds_read_b64 v[2:3], v8 offset:2088
	v_add_f32_e32 v4, v29, v43
	v_cndmask_b32_e64 v42, v29, v4, s[18:19]
	v_add_f32_e32 v4, v26, v42
	v_cndmask_b32_e64 v41, v26, v4, s[22:23]
	s_waitcnt lgkmcnt(0)
	v_add_f32_e32 v4, v6, v3
	v_cmp_eq_u32_e64 s[0:1], 0, v2
	v_add_f32_e32 v7, v27, v41
	v_cndmask_b32_e64 v40, v3, v4, s[0:1]
	s_and_saveexec_b64 s[0:1], s[24:25]
	s_cbranch_execz .LBB184_127
; %bb.126:
	s_add_u32 s2, s44, 0x400
	v_and_b32_e32 v3, 0xff000000, v40
	v_and_b32_e32 v4, 0xff0000, v40
	s_addc_u32 s3, s45, 0
	v_or_b32_e32 v3, v4, v3
	v_and_b32_e32 v4, 0xff00, v40
	v_and_b32_e32 v8, 0xff, v40
	v_mov_b32_e32 v5, 0
	v_or3_b32 v3, v3, v4, v8
	v_mov_b32_e32 v4, 2
	v_pk_mov_b32 v[8:9], s[2:3], s[2:3] op_sel:[0,1]
	;;#ASMSTART
	global_store_dwordx4 v[8:9], v[2:5] off	
s_waitcnt vmcnt(0)
	;;#ASMEND
	v_mov_b32_e32 v71, v6
.LBB184_127:
	s_or_b64 exec, exec, s[0:1]
	v_cndmask_b32_e32 v44, v27, v7, vcc
	v_mov_b32_e32 v6, 0
.LBB184_128:
	s_and_b64 s[0:1], s[38:39], exec
	s_cselect_b32 s1, 0, s59
	s_cselect_b32 s0, 0, s58
	s_cmp_eq_u64 s[0:1], 0
	v_pk_mov_b32 v[8:9], 0, 0
	s_barrier
	s_cbranch_scc1 .LBB184_130
; %bb.129:
	v_mov_b32_e32 v3, 0
	global_load_dwordx2 v[8:9], v3, s[0:1]
.LBB184_130:
	s_waitcnt vmcnt(0)
	v_lshlrev_b64 v[10:11], 2, v[8:9]
	v_mov_b32_e32 v7, s43
	v_add_co_u32_e32 v68, vcc, s42, v10
	v_addc_co_u32_e32 v72, vcc, v7, v11, vcc
	v_mov_b32_e32 v7, 0
	v_lshlrev_b64 v[26:27], 2, v[6:7]
	v_add_co_u32_e32 v7, vcc, v68, v26
	v_addc_co_u32_e32 v68, vcc, v72, v27, vcc
	v_cmp_eq_u32_e32 vcc, 0, v60
	v_cndmask_b32_e64 v72, 1, 2, vcc
	v_cmp_eq_u32_e32 vcc, 0, v59
	v_cndmask_b32_e64 v73, 1, 2, vcc
	v_cmp_eq_u32_e32 vcc, 0, v58
	v_and_b32_e32 v72, v73, v72
	v_cndmask_b32_e64 v73, 1, 2, vcc
	v_cmp_eq_u32_e32 vcc, 0, v57
	v_add_u32_e32 v39, v5, v60
	v_and_b32_e32 v72, v72, v73
	v_cndmask_b32_e64 v73, 1, 2, vcc
	v_cmp_eq_u32_e32 vcc, 0, v56
	v_add_u32_e32 v38, v39, v59
	;; [unrolled: 4-line block ×12, first 2 shown]
	v_and_b32_e32 v72, v72, v73
	v_cndmask_b32_e64 v73, 1, 2, vcc
	s_movk_i32 s30, 0x100
	v_add_u32_e32 v4, v28, v48
	v_and_b32_e32 v72, v72, v73
	v_cmp_gt_u32_e32 vcc, s30, v2
	v_add_u32_e32 v3, v4, v47
	v_cmp_ne_u32_e64 s[28:29], 0, v60
	v_cmp_ne_u32_e64 s[26:27], 0, v59
	;; [unrolled: 1-line block ×15, first 2 shown]
	s_mov_b64 s[38:39], -1
	v_cmp_gt_i16_e64 s[30:31], 2, v72
	s_cbranch_vccz .LBB184_137
; %bb.131:
	s_and_saveexec_b64 s[38:39], s[30:31]
	s_cbranch_execz .LBB184_136
; %bb.132:
	v_cmp_ne_u16_e32 vcc, 1, v72
	s_mov_b64 s[40:41], 0
	s_and_saveexec_b64 s[30:31], vcc
	s_xor_b64 s[30:31], exec, s[30:31]
	s_cbranch_execnz .LBB184_193
; %bb.133:
	s_andn2_saveexec_b64 s[30:31], s[30:31]
	s_cbranch_execnz .LBB184_209
.LBB184_134:
	s_or_b64 exec, exec, s[30:31]
	s_and_b64 exec, exec, s[40:41]
	s_cbranch_execz .LBB184_136
.LBB184_135:
	v_sub_u32_e32 v74, v3, v6
	v_mov_b32_e32 v75, 0
	v_lshlrev_b64 v[74:75], 2, v[74:75]
	v_add_co_u32_e32 v74, vcc, v7, v74
	v_addc_co_u32_e32 v75, vcc, v68, v75, vcc
	global_store_dword v[74:75], v1, off
.LBB184_136:
	s_or_b64 exec, exec, s[38:39]
	s_mov_b64 s[38:39], 0
.LBB184_137:
	s_and_b64 vcc, exec, s[38:39]
	s_cbranch_vccz .LBB184_159
; %bb.138:
	v_cmp_gt_i16_e32 vcc, 2, v72
	s_and_saveexec_b64 s[30:31], vcc
	s_cbranch_execz .LBB184_143
; %bb.139:
	v_cmp_ne_u16_e32 vcc, 1, v72
	s_mov_b64 s[40:41], 0
	s_and_saveexec_b64 s[38:39], vcc
	s_xor_b64 s[38:39], exec, s[38:39]
	s_cbranch_execnz .LBB184_210
; %bb.140:
	s_andn2_saveexec_b64 s[0:1], s[38:39]
	s_cbranch_execnz .LBB184_226
.LBB184_141:
	s_or_b64 exec, exec, s[0:1]
	s_and_b64 exec, exec, s[40:41]
	s_cbranch_execz .LBB184_143
.LBB184_142:
	v_sub_u32_e32 v12, v3, v6
	v_lshlrev_b32_e32 v12, 2, v12
	ds_write_b32 v12, v1
.LBB184_143:
	s_or_b64 exec, exec, s[30:31]
	v_cmp_lt_u32_e32 vcc, v0, v2
	s_waitcnt lgkmcnt(0)
	s_barrier
	s_and_saveexec_b64 s[2:3], vcc
	s_cbranch_execz .LBB184_158
; %bb.144:
	v_xad_u32 v1, v0, -1, v2
	s_movk_i32 s0, 0x1700
	v_cmp_gt_u32_e64 s[4:5], s0, v1
	s_movk_i32 s0, 0x16ff
	v_cmp_lt_u32_e32 vcc, s0, v1
	v_mov_b32_e32 v12, v0
	s_and_saveexec_b64 s[6:7], vcc
	s_cbranch_execz .LBB184_155
; %bb.145:
	v_sub_u32_e32 v12, v0, v2
	v_or_b32_e32 v12, 0xff, v12
	v_cmp_ge_u32_e32 vcc, v12, v0
	s_mov_b64 s[0:1], -1
	v_mov_b32_e32 v12, v0
	s_and_saveexec_b64 s[8:9], vcc
	s_cbranch_execz .LBB184_154
; %bb.146:
	v_lshrrev_b32_e32 v16, 8, v1
	v_add_u32_e32 v12, -1, v16
	v_or_b32_e32 v1, 0x100, v0
	v_lshrrev_b32_e32 v13, 1, v12
	v_add_u32_e32 v17, 1, v13
	v_cmp_lt_u32_e32 vcc, 13, v12
	v_mov_b32_e32 v20, 0
	v_pk_mov_b32 v[12:13], v[0:1], v[0:1] op_sel:[0,1]
	s_and_saveexec_b64 s[10:11], vcc
	s_cbranch_execz .LBB184_150
; %bb.147:
	v_and_b32_e32 v18, -8, v17
	v_lshlrev_b32_e32 v19, 2, v0
	s_mov_b32 s14, 0
	s_mov_b64 s[12:13], 0
	v_mov_b32_e32 v15, 0
	v_pk_mov_b32 v[12:13], v[0:1], v[0:1] op_sel:[0,1]
.LBB184_148:                            ; =>This Inner Loop Header: Depth=1
	v_mov_b32_e32 v14, v12
	v_add_u32_e32 v18, -8, v18
	v_lshlrev_b64 v[96:97], 2, v[14:15]
	v_mov_b32_e32 v14, v13
	ds_read2st64_b32 v[22:23], v19 offset1:4
	s_add_i32 s14, s14, 16
	v_cmp_eq_u32_e32 vcc, 0, v18
	v_lshlrev_b64 v[100:101], 2, v[14:15]
	v_add_u32_e32 v14, 0x200, v12
	s_or_b64 s[12:13], vcc, s[12:13]
	v_add_co_u32_e32 v100, vcc, v7, v100
	v_add_u32_e32 v20, 0x200, v13
	v_mov_b32_e32 v21, v15
	ds_read2st64_b32 v[24:25], v19 offset0:8 offset1:12
	ds_read2st64_b32 v[74:75], v19 offset0:16 offset1:20
	v_add_co_u32_e64 v96, s[0:1], v7, v96
	v_addc_co_u32_e32 v101, vcc, v68, v101, vcc
	v_lshlrev_b64 v[102:103], 2, v[14:15]
	v_lshlrev_b64 v[98:99], 2, v[20:21]
	v_addc_co_u32_e64 v97, s[0:1], v68, v97, s[0:1]
	v_add_u32_e32 v14, 0x400, v12
	v_add_co_u32_e32 v102, vcc, v7, v102
	v_add_u32_e32 v72, 0x400, v13
	v_mov_b32_e32 v73, v15
	ds_read2st64_b32 v[78:79], v19 offset0:24 offset1:28
	v_add_co_u32_e64 v98, s[0:1], v7, v98
	v_addc_co_u32_e32 v103, vcc, v68, v103, vcc
	v_lshlrev_b64 v[104:105], 2, v[14:15]
	ds_read2st64_b32 v[82:83], v19 offset0:32 offset1:36
	ds_read2st64_b32 v[86:87], v19 offset0:40 offset1:44
	;; [unrolled: 1-line block ×4, first 2 shown]
	v_lshlrev_b64 v[72:73], 2, v[72:73]
	v_addc_co_u32_e64 v99, s[0:1], v68, v99, s[0:1]
	v_add_u32_e32 v14, 0x600, v12
	s_waitcnt lgkmcnt(7)
	global_store_dword v[96:97], v22, off
	global_store_dword v[100:101], v23, off
	s_waitcnt lgkmcnt(6)
	global_store_dword v[102:103], v24, off
	global_store_dword v[98:99], v25, off
	v_add_co_u32_e32 v22, vcc, v7, v104
	v_add_u32_e32 v76, 0x600, v13
	v_mov_b32_e32 v77, v15
	v_add_co_u32_e64 v72, s[0:1], v7, v72
	v_addc_co_u32_e32 v23, vcc, v68, v105, vcc
	v_lshlrev_b64 v[24:25], 2, v[14:15]
	v_lshlrev_b64 v[76:77], 2, v[76:77]
	v_addc_co_u32_e64 v73, s[0:1], v68, v73, s[0:1]
	v_add_u32_e32 v14, 0x800, v12
	s_waitcnt lgkmcnt(5)
	global_store_dword v[22:23], v74, off
	global_store_dword v[72:73], v75, off
	v_add_co_u32_e32 v22, vcc, v7, v24
	v_add_u32_e32 v80, 0x800, v13
	v_mov_b32_e32 v81, v15
	v_add_co_u32_e64 v76, s[0:1], v7, v76
	v_addc_co_u32_e32 v23, vcc, v68, v25, vcc
	v_lshlrev_b64 v[24:25], 2, v[14:15]
	v_lshlrev_b64 v[80:81], 2, v[80:81]
	v_addc_co_u32_e64 v77, s[0:1], v68, v77, s[0:1]
	v_add_u32_e32 v14, 0xa00, v12
	;; [unrolled: 12-line block ×4, first 2 shown]
	s_waitcnt lgkmcnt(2)
	global_store_dword v[22:23], v86, off
	global_store_dword v[84:85], v87, off
	v_add_co_u32_e32 v22, vcc, v7, v24
	v_add_u32_e32 v92, 0xe00, v13
	v_mov_b32_e32 v93, v15
	v_add_co_u32_e64 v88, s[0:1], v7, v88
	v_addc_co_u32_e32 v23, vcc, v68, v25, vcc
	v_lshlrev_b64 v[24:25], 2, v[14:15]
	v_lshlrev_b64 v[92:93], 2, v[92:93]
	v_addc_co_u32_e64 v89, s[0:1], v68, v89, s[0:1]
	s_waitcnt lgkmcnt(1)
	global_store_dword v[22:23], v90, off
	global_store_dword v[88:89], v91, off
	v_add_co_u32_e32 v22, vcc, v7, v24
	v_add_u32_e32 v19, 0x4000, v19
	v_add_u32_e32 v13, 0x1000, v13
	v_mov_b32_e32 v20, s14
	v_add_co_u32_e64 v92, s[0:1], v7, v92
	v_add_u32_e32 v12, 0x1000, v12
	v_addc_co_u32_e32 v23, vcc, v68, v25, vcc
	v_addc_co_u32_e64 v93, s[0:1], v68, v93, s[0:1]
	s_waitcnt lgkmcnt(0)
	global_store_dword v[22:23], v94, off
	global_store_dword v[92:93], v95, off
	s_andn2_b64 exec, exec, s[12:13]
	s_cbranch_execnz .LBB184_148
; %bb.149:
	s_or_b64 exec, exec, s[12:13]
.LBB184_150:
	s_or_b64 exec, exec, s[10:11]
	v_and_b32_e32 v1, 7, v17
	v_cmp_ne_u32_e32 vcc, 0, v1
	s_and_saveexec_b64 s[10:11], vcc
	s_cbranch_execz .LBB184_153
; %bb.151:
	v_lshlrev_b32_e32 v14, 2, v0
	v_lshl_or_b32 v17, v20, 10, v14
	s_mov_b64 s[12:13], 0
	v_mov_b32_e32 v15, 0
.LBB184_152:                            ; =>This Inner Loop Header: Depth=1
	ds_read2st64_b32 v[18:19], v17 offset1:4
	v_mov_b32_e32 v14, v12
	v_add_u32_e32 v1, -1, v1
	v_lshlrev_b64 v[20:21], 2, v[14:15]
	v_mov_b32_e32 v14, v13
	v_cmp_eq_u32_e32 vcc, 0, v1
	v_add_co_u32_e64 v20, s[0:1], v7, v20
	v_lshlrev_b64 v[22:23], 2, v[14:15]
	v_add_u32_e32 v12, 0x200, v12
	v_add_u32_e32 v17, 0x800, v17
	;; [unrolled: 1-line block ×3, first 2 shown]
	v_addc_co_u32_e64 v21, s[0:1], v68, v21, s[0:1]
	s_or_b64 s[12:13], vcc, s[12:13]
	v_add_co_u32_e32 v22, vcc, v7, v22
	v_addc_co_u32_e32 v23, vcc, v68, v23, vcc
	s_waitcnt lgkmcnt(0)
	global_store_dword v[20:21], v18, off
	global_store_dword v[22:23], v19, off
	s_andn2_b64 exec, exec, s[12:13]
	s_cbranch_execnz .LBB184_152
.LBB184_153:
	s_or_b64 exec, exec, s[10:11]
	v_add_u32_e32 v1, 1, v16
	v_and_b32_e32 v13, 0x1fffffe, v1
	v_cmp_ne_u32_e32 vcc, v1, v13
	v_lshl_or_b32 v12, v13, 8, v0
	s_orn2_b64 s[0:1], vcc, exec
.LBB184_154:
	s_or_b64 exec, exec, s[8:9]
	s_andn2_b64 s[4:5], s[4:5], exec
	s_and_b64 s[0:1], s[0:1], exec
	s_or_b64 s[4:5], s[4:5], s[0:1]
.LBB184_155:
	s_or_b64 exec, exec, s[6:7]
	s_and_b64 exec, exec, s[4:5]
	s_cbranch_execz .LBB184_158
; %bb.156:
	v_lshlrev_b32_e32 v1, 2, v12
	s_mov_b64 s[0:1], 0
	v_mov_b32_e32 v13, 0
.LBB184_157:                            ; =>This Inner Loop Header: Depth=1
	v_lshlrev_b64 v[14:15], 2, v[12:13]
	ds_read_b32 v16, v1
	v_add_co_u32_e32 v14, vcc, v7, v14
	v_add_u32_e32 v12, 0x100, v12
	v_addc_co_u32_e32 v15, vcc, v68, v15, vcc
	v_cmp_ge_u32_e32 vcc, v12, v2
	v_add_u32_e32 v1, 0x400, v1
	s_or_b64 s[0:1], vcc, s[0:1]
	s_waitcnt lgkmcnt(0)
	global_store_dword v[14:15], v16, off
	s_andn2_b64 exec, exec, s[0:1]
	s_cbranch_execnz .LBB184_157
.LBB184_158:
	s_or_b64 exec, exec, s[2:3]
.LBB184_159:
	s_cmpk_lg_i32 s33, 0xf00
	s_cselect_b64 s[0:1], -1, 0
	s_and_b64 s[0:1], s[34:35], s[0:1]
	v_cmp_eq_u32_e32 vcc, 0, v0
	v_cndmask_b32_e64 v16, 0, 1, s[0:1]
	s_and_b64 s[0:1], vcc, s[36:37]
	v_cndmask_b32_e64 v12, v60, 0, s[0:1]
	s_mul_hi_u32 s0, s33, 0x88888889
	s_lshr_b32 s0, s0, 3
	v_mad_i32_i24 v13, v0, -15, s33
	v_cmp_eq_u32_e32 vcc, s0, v0
	v_cmp_ne_u32_e64 s[0:1], 0, v13
	v_cndmask_b32_e64 v14, 1, v12, s[0:1]
	v_cmp_ne_u32_e64 s[0:1], 1, v13
	v_cndmask_b32_e64 v15, 1, v59, s[0:1]
	;; [unrolled: 2-line block ×15, first 2 shown]
	s_and_b64 vcc, s[34:35], vcc
	v_cndmask_b32_e32 v46, v46, v13, vcc
	v_cndmask_b32_e32 v47, v47, v72, vcc
	;; [unrolled: 1-line block ×15, first 2 shown]
	v_mov_b32_e32 v12, s53
	v_add_co_u32_e32 v10, vcc, s52, v10
	v_addc_co_u32_e32 v11, vcc, v12, v11, vcc
	v_cndmask_b32_e64 v1, 0, 1, s[36:37]
	v_add_co_u32_e32 v12, vcc, v10, v26
	v_addc_co_u32_e32 v13, vcc, v11, v27, vcc
	v_lshlrev_b32_e32 v10, 2, v1
	v_add_co_u32_e32 v10, vcc, v10, v12
	v_addc_co_u32_e32 v11, vcc, 0, v13, vcc
	v_add_co_u32_e32 v14, vcc, -4, v10
	v_addc_co_u32_e32 v15, vcc, -1, v11, vcc
	v_cmp_eq_u32_e32 vcc, 0, v51
	v_cndmask_b32_e64 v11, 1, 2, vcc
	v_cmp_eq_u32_e32 vcc, 0, v50
	v_cndmask_b32_e64 v26, 1, 2, vcc
	v_cmp_eq_u32_e32 vcc, 0, v17
	v_and_b32_e32 v11, v26, v11
	v_cmp_ne_u32_e64 s[24:25], 0, v17
	v_cndmask_b32_e64 v17, 1, 2, vcc
	v_cmp_eq_u32_e32 vcc, 0, v18
	v_and_b32_e32 v11, v11, v17
	v_cndmask_b32_e64 v17, 1, 2, vcc
	v_cmp_eq_u32_e32 vcc, 0, v19
	v_and_b32_e32 v11, v11, v17
	;; [unrolled: 3-line block ×10, first 2 shown]
	v_cndmask_b32_e64 v17, 1, 2, vcc
	v_cmp_eq_u32_e32 vcc, 0, v47
	v_sub_u32_e32 v7, v2, v1
	v_and_b32_e32 v11, v11, v17
	v_cndmask_b32_e64 v17, 1, 2, vcc
	v_cmp_eq_u32_e32 vcc, 0, v46
	v_add_u32_e32 v7, v7, v16
	v_and_b32_e32 v11, v11, v17
	v_cndmask_b32_e64 v17, 1, 2, vcc
	s_movk_i32 s30, 0x100
	v_and_b32_e32 v11, v11, v17
	v_cmp_gt_u32_e32 vcc, s30, v7
	v_add_u32_e32 v10, v6, v1
	v_cmp_ne_u32_e64 s[28:29], 0, v51
	v_cmp_ne_u32_e64 s[26:27], 0, v50
	;; [unrolled: 1-line block ×14, first 2 shown]
	s_mov_b64 s[36:37], -1
	v_cmp_gt_i16_e64 s[30:31], 2, v11
	s_barrier
	s_cbranch_vccz .LBB184_166
; %bb.160:
	s_and_saveexec_b64 s[36:37], s[30:31]
	s_cbranch_execz .LBB184_165
; %bb.161:
	v_cmp_ne_u16_e32 vcc, 1, v11
	s_mov_b64 s[38:39], 0
	s_and_saveexec_b64 s[30:31], vcc
	s_xor_b64 s[30:31], exec, s[30:31]
	s_cbranch_execnz .LBB184_227
; %bb.162:
	s_andn2_saveexec_b64 s[30:31], s[30:31]
	s_cbranch_execnz .LBB184_243
.LBB184_163:
	s_or_b64 exec, exec, s[30:31]
	s_and_b64 exec, exec, s[38:39]
	s_cbranch_execz .LBB184_165
.LBB184_164:
	v_sub_u32_e32 v18, v3, v10
	v_mov_b32_e32 v19, 0
	v_lshlrev_b64 v[18:19], 2, v[18:19]
	v_add_co_u32_e32 v18, vcc, v14, v18
	v_addc_co_u32_e32 v19, vcc, v15, v19, vcc
	global_store_dword v[18:19], v44, off
.LBB184_165:
	s_or_b64 exec, exec, s[36:37]
	s_mov_b64 s[36:37], 0
.LBB184_166:
	s_and_b64 vcc, exec, s[36:37]
	s_cbranch_vccz .LBB184_188
; %bb.167:
	v_cmp_gt_i16_e32 vcc, 2, v11
	s_and_saveexec_b64 s[30:31], vcc
	s_cbranch_execz .LBB184_172
; %bb.168:
	v_cmp_ne_u16_e32 vcc, 1, v11
	s_mov_b64 s[38:39], 0
	s_and_saveexec_b64 s[36:37], vcc
	s_xor_b64 s[36:37], exec, s[36:37]
	s_cbranch_execnz .LBB184_244
; %bb.169:
	s_andn2_saveexec_b64 s[0:1], s[36:37]
	s_cbranch_execnz .LBB184_260
.LBB184_170:
	s_or_b64 exec, exec, s[0:1]
	s_and_b64 exec, exec, s[38:39]
	s_cbranch_execz .LBB184_172
.LBB184_171:
	v_sub_u32_e32 v3, v3, v10
	v_lshlrev_b32_e32 v3, 2, v3
	ds_write_b32 v3, v44
.LBB184_172:
	s_or_b64 exec, exec, s[30:31]
	v_cmp_lt_u32_e32 vcc, v0, v7
	s_waitcnt lgkmcnt(0)
	s_barrier
	s_and_saveexec_b64 s[2:3], vcc
	s_cbranch_execz .LBB184_187
; %bb.173:
	v_add_u32_e32 v5, v2, v16
	v_xad_u32 v3, v0, -1, v5
	v_sub_u32_e32 v3, v3, v1
	s_movk_i32 s0, 0x1900
	v_cmp_gt_u32_e64 s[4:5], s0, v3
	s_movk_i32 s0, 0x18ff
	v_cmp_lt_u32_e32 vcc, s0, v3
	v_mov_b32_e32 v4, v0
	s_and_saveexec_b64 s[6:7], vcc
	s_cbranch_execz .LBB184_184
; %bb.174:
	v_sub_u32_e32 v4, v0, v5
	v_add_u32_e32 v1, v4, v1
	v_or_b32_e32 v1, 0xff, v1
	v_cmp_ge_u32_e32 vcc, v1, v0
	s_mov_b64 s[0:1], -1
	v_mov_b32_e32 v4, v0
	s_and_saveexec_b64 s[8:9], vcc
	s_cbranch_execz .LBB184_183
; %bb.175:
	v_lshrrev_b32_e32 v3, 8, v3
	v_add_u32_e32 v4, -1, v3
	v_or_b32_e32 v1, 0x100, v0
	v_lshrrev_b32_e32 v5, 1, v4
	v_add_u32_e32 v17, 1, v5
	v_cmp_lt_u32_e32 vcc, 13, v4
	v_mov_b32_e32 v20, 0
	v_lshlrev_b32_e32 v16, 2, v0
	v_pk_mov_b32 v[4:5], v[0:1], v[0:1] op_sel:[0,1]
	s_and_saveexec_b64 s[10:11], vcc
	s_cbranch_execz .LBB184_179
; %bb.176:
	v_and_b32_e32 v18, -8, v17
	s_mov_b32 s14, 0
	s_mov_b64 s[12:13], 0
	v_mov_b32_e32 v11, 0
	v_mov_b32_e32 v19, v16
	v_pk_mov_b32 v[4:5], v[0:1], v[0:1] op_sel:[0,1]
.LBB184_177:                            ; =>This Inner Loop Header: Depth=1
	v_mov_b32_e32 v10, v4
	v_add_u32_e32 v18, -8, v18
	v_lshlrev_b64 v[52:53], 2, v[10:11]
	v_mov_b32_e32 v10, v5
	ds_read2st64_b32 v[22:23], v19 offset1:4
	s_add_i32 s14, s14, 16
	v_cmp_eq_u32_e32 vcc, 0, v18
	v_lshlrev_b64 v[56:57], 2, v[10:11]
	v_add_u32_e32 v10, 0x200, v4
	s_or_b64 s[12:13], vcc, s[12:13]
	v_add_co_u32_e32 v56, vcc, v14, v56
	v_add_u32_e32 v20, 0x200, v5
	v_mov_b32_e32 v21, v11
	ds_read2st64_b32 v[24:25], v19 offset0:8 offset1:12
	ds_read2st64_b32 v[28:29], v19 offset0:16 offset1:20
	v_add_co_u32_e64 v52, s[0:1], v14, v52
	v_addc_co_u32_e32 v57, vcc, v15, v57, vcc
	v_lshlrev_b64 v[58:59], 2, v[10:11]
	v_lshlrev_b64 v[54:55], 2, v[20:21]
	v_addc_co_u32_e64 v53, s[0:1], v15, v53, s[0:1]
	v_add_u32_e32 v10, 0x400, v4
	v_add_co_u32_e32 v58, vcc, v14, v58
	v_add_u32_e32 v26, 0x400, v5
	v_mov_b32_e32 v27, v11
	ds_read2st64_b32 v[32:33], v19 offset0:24 offset1:28
	v_add_co_u32_e64 v54, s[0:1], v14, v54
	v_addc_co_u32_e32 v59, vcc, v15, v59, vcc
	v_lshlrev_b64 v[60:61], 2, v[10:11]
	ds_read2st64_b32 v[36:37], v19 offset0:32 offset1:36
	ds_read2st64_b32 v[42:43], v19 offset0:40 offset1:44
	;; [unrolled: 1-line block ×4, first 2 shown]
	v_lshlrev_b64 v[26:27], 2, v[26:27]
	v_addc_co_u32_e64 v55, s[0:1], v15, v55, s[0:1]
	v_add_u32_e32 v10, 0x600, v4
	s_waitcnt lgkmcnt(7)
	global_store_dword v[52:53], v22, off
	global_store_dword v[56:57], v23, off
	s_waitcnt lgkmcnt(6)
	global_store_dword v[58:59], v24, off
	global_store_dword v[54:55], v25, off
	v_add_co_u32_e32 v22, vcc, v14, v60
	v_add_u32_e32 v30, 0x600, v5
	v_mov_b32_e32 v31, v11
	v_add_co_u32_e64 v26, s[0:1], v14, v26
	v_addc_co_u32_e32 v23, vcc, v15, v61, vcc
	v_lshlrev_b64 v[24:25], 2, v[10:11]
	v_lshlrev_b64 v[30:31], 2, v[30:31]
	v_addc_co_u32_e64 v27, s[0:1], v15, v27, s[0:1]
	v_add_u32_e32 v10, 0x800, v4
	s_waitcnt lgkmcnt(5)
	global_store_dword v[22:23], v28, off
	global_store_dword v[26:27], v29, off
	v_add_co_u32_e32 v22, vcc, v14, v24
	v_add_u32_e32 v34, 0x800, v5
	v_mov_b32_e32 v35, v11
	v_add_co_u32_e64 v30, s[0:1], v14, v30
	v_addc_co_u32_e32 v23, vcc, v15, v25, vcc
	v_lshlrev_b64 v[24:25], 2, v[10:11]
	v_lshlrev_b64 v[34:35], 2, v[34:35]
	v_addc_co_u32_e64 v31, s[0:1], v15, v31, s[0:1]
	v_add_u32_e32 v10, 0xa00, v4
	s_waitcnt lgkmcnt(4)
	global_store_dword v[22:23], v32, off
	global_store_dword v[30:31], v33, off
	v_add_co_u32_e32 v22, vcc, v14, v24
	v_add_u32_e32 v38, 0xa00, v5
	v_mov_b32_e32 v39, v11
	v_add_co_u32_e64 v34, s[0:1], v14, v34
	v_addc_co_u32_e32 v23, vcc, v15, v25, vcc
	v_lshlrev_b64 v[24:25], 2, v[10:11]
	v_lshlrev_b64 v[38:39], 2, v[38:39]
	v_addc_co_u32_e64 v35, s[0:1], v15, v35, s[0:1]
	v_add_u32_e32 v10, 0xc00, v4
	s_waitcnt lgkmcnt(3)
	global_store_dword v[22:23], v36, off
	global_store_dword v[34:35], v37, off
	v_add_co_u32_e32 v22, vcc, v14, v24
	v_add_u32_e32 v44, 0xc00, v5
	v_mov_b32_e32 v45, v11
	v_add_co_u32_e64 v38, s[0:1], v14, v38
	v_addc_co_u32_e32 v23, vcc, v15, v25, vcc
	v_lshlrev_b64 v[24:25], 2, v[10:11]
	v_lshlrev_b64 v[44:45], 2, v[44:45]
	v_addc_co_u32_e64 v39, s[0:1], v15, v39, s[0:1]
	v_add_u32_e32 v10, 0xe00, v4
	s_waitcnt lgkmcnt(2)
	global_store_dword v[22:23], v42, off
	global_store_dword v[38:39], v43, off
	v_add_co_u32_e32 v22, vcc, v14, v24
	v_add_u32_e32 v48, 0xe00, v5
	v_mov_b32_e32 v49, v11
	v_add_co_u32_e64 v44, s[0:1], v14, v44
	v_addc_co_u32_e32 v23, vcc, v15, v25, vcc
	v_lshlrev_b64 v[24:25], 2, v[10:11]
	v_lshlrev_b64 v[48:49], 2, v[48:49]
	v_addc_co_u32_e64 v45, s[0:1], v15, v45, s[0:1]
	s_waitcnt lgkmcnt(1)
	global_store_dword v[22:23], v46, off
	global_store_dword v[44:45], v47, off
	v_add_co_u32_e32 v22, vcc, v14, v24
	v_add_u32_e32 v19, 0x4000, v19
	v_add_u32_e32 v5, 0x1000, v5
	v_mov_b32_e32 v20, s14
	v_add_co_u32_e64 v48, s[0:1], v14, v48
	v_add_u32_e32 v4, 0x1000, v4
	v_addc_co_u32_e32 v23, vcc, v15, v25, vcc
	v_addc_co_u32_e64 v49, s[0:1], v15, v49, s[0:1]
	s_waitcnt lgkmcnt(0)
	global_store_dword v[22:23], v50, off
	global_store_dword v[48:49], v51, off
	s_andn2_b64 exec, exec, s[12:13]
	s_cbranch_execnz .LBB184_177
; %bb.178:
	s_or_b64 exec, exec, s[12:13]
.LBB184_179:
	s_or_b64 exec, exec, s[10:11]
	v_and_b32_e32 v1, 7, v17
	v_cmp_ne_u32_e32 vcc, 0, v1
	s_and_saveexec_b64 s[10:11], vcc
	s_cbranch_execz .LBB184_182
; %bb.180:
	v_lshl_or_b32 v16, v20, 10, v16
	s_mov_b64 s[12:13], 0
	v_mov_b32_e32 v11, 0
.LBB184_181:                            ; =>This Inner Loop Header: Depth=1
	ds_read2st64_b32 v[18:19], v16 offset1:4
	v_mov_b32_e32 v10, v4
	v_add_u32_e32 v1, -1, v1
	v_lshlrev_b64 v[20:21], 2, v[10:11]
	v_mov_b32_e32 v10, v5
	v_cmp_eq_u32_e32 vcc, 0, v1
	v_add_co_u32_e64 v20, s[0:1], v14, v20
	v_lshlrev_b64 v[22:23], 2, v[10:11]
	v_add_u32_e32 v4, 0x200, v4
	v_add_u32_e32 v16, 0x800, v16
	;; [unrolled: 1-line block ×3, first 2 shown]
	v_addc_co_u32_e64 v21, s[0:1], v15, v21, s[0:1]
	s_or_b64 s[12:13], vcc, s[12:13]
	v_add_co_u32_e32 v22, vcc, v14, v22
	v_addc_co_u32_e32 v23, vcc, v15, v23, vcc
	s_waitcnt lgkmcnt(0)
	global_store_dword v[20:21], v18, off
	global_store_dword v[22:23], v19, off
	s_andn2_b64 exec, exec, s[12:13]
	s_cbranch_execnz .LBB184_181
.LBB184_182:
	s_or_b64 exec, exec, s[10:11]
	v_add_u32_e32 v1, 1, v3
	v_and_b32_e32 v3, 0x1fffffe, v1
	v_cmp_ne_u32_e32 vcc, v1, v3
	v_lshl_or_b32 v4, v3, 8, v0
	s_orn2_b64 s[0:1], vcc, exec
.LBB184_183:
	s_or_b64 exec, exec, s[8:9]
	s_andn2_b64 s[4:5], s[4:5], exec
	s_and_b64 s[0:1], s[0:1], exec
	s_or_b64 s[4:5], s[4:5], s[0:1]
.LBB184_184:
	s_or_b64 exec, exec, s[6:7]
	s_and_b64 exec, exec, s[4:5]
	s_cbranch_execz .LBB184_187
; %bb.185:
	v_lshlrev_b32_e32 v1, 2, v4
	s_mov_b64 s[0:1], 0
	v_mov_b32_e32 v5, 0
.LBB184_186:                            ; =>This Inner Loop Header: Depth=1
	v_lshlrev_b64 v[10:11], 2, v[4:5]
	ds_read_b32 v3, v1
	v_add_co_u32_e32 v10, vcc, v14, v10
	v_add_u32_e32 v4, 0x100, v4
	v_addc_co_u32_e32 v11, vcc, v15, v11, vcc
	v_cmp_ge_u32_e32 vcc, v4, v7
	v_add_u32_e32 v1, 0x400, v1
	s_or_b64 s[0:1], vcc, s[0:1]
	s_waitcnt lgkmcnt(0)
	global_store_dword v[10:11], v3, off
	s_andn2_b64 exec, exec, s[0:1]
	s_cbranch_execnz .LBB184_186
.LBB184_187:
	s_or_b64 exec, exec, s[2:3]
.LBB184_188:
	s_movk_i32 s0, 0xff
	v_cmp_eq_u32_e32 vcc, s0, v0
	s_and_b64 s[0:1], vcc, s[34:35]
	s_and_saveexec_b64 s[2:3], s[0:1]
	s_cbranch_execz .LBB184_191
; %bb.189:
	v_add_co_u32_e32 v0, vcc, v2, v6
	v_addc_co_u32_e64 v1, s[0:1], 0, 0, vcc
	v_add_co_u32_e32 v0, vcc, v0, v8
	v_mov_b32_e32 v3, 0
	v_addc_co_u32_e32 v1, vcc, v1, v9, vcc
	s_cmpk_lg_i32 s33, 0xf00
	global_store_dwordx2 v3, v[0:1], s[54:55]
	s_cbranch_scc1 .LBB184_191
; %bb.190:
	v_lshlrev_b64 v[0:1], 2, v[2:3]
	v_add_co_u32_e32 v0, vcc, v12, v0
	v_addc_co_u32_e32 v1, vcc, v13, v1, vcc
	global_store_dword v[0:1], v40, off offset:-4
.LBB184_191:
	s_endpgm
.LBB184_192:
	s_or_b64 exec, exec, s[4:5]
	v_mov_b32_e32 v60, s10
	s_and_saveexec_b64 s[4:5], s[2:3]
	s_cbranch_execnz .LBB184_84
	s_branch .LBB184_85
.LBB184_193:
	s_and_saveexec_b64 s[40:41], s[28:29]
	s_cbranch_execnz .LBB184_261
; %bb.194:
	s_or_b64 exec, exec, s[40:41]
	s_and_saveexec_b64 s[40:41], s[26:27]
	s_cbranch_execnz .LBB184_262
.LBB184_195:
	s_or_b64 exec, exec, s[40:41]
	s_and_saveexec_b64 s[40:41], s[24:25]
	s_cbranch_execnz .LBB184_263
.LBB184_196:
	s_or_b64 exec, exec, s[40:41]
	s_and_saveexec_b64 s[40:41], s[22:23]
	s_cbranch_execnz .LBB184_264
.LBB184_197:
	s_or_b64 exec, exec, s[40:41]
	s_and_saveexec_b64 s[40:41], s[20:21]
	s_cbranch_execnz .LBB184_265
.LBB184_198:
	s_or_b64 exec, exec, s[40:41]
	s_and_saveexec_b64 s[40:41], s[18:19]
	s_cbranch_execnz .LBB184_266
.LBB184_199:
	s_or_b64 exec, exec, s[40:41]
	s_and_saveexec_b64 s[40:41], s[16:17]
	s_cbranch_execnz .LBB184_267
.LBB184_200:
	s_or_b64 exec, exec, s[40:41]
	s_and_saveexec_b64 s[40:41], s[14:15]
	s_cbranch_execnz .LBB184_268
.LBB184_201:
	s_or_b64 exec, exec, s[40:41]
	s_and_saveexec_b64 s[40:41], s[12:13]
	s_cbranch_execnz .LBB184_269
.LBB184_202:
	s_or_b64 exec, exec, s[40:41]
	s_and_saveexec_b64 s[40:41], s[10:11]
	s_cbranch_execnz .LBB184_270
.LBB184_203:
	s_or_b64 exec, exec, s[40:41]
	s_and_saveexec_b64 s[40:41], s[8:9]
	s_cbranch_execnz .LBB184_271
.LBB184_204:
	s_or_b64 exec, exec, s[40:41]
	s_and_saveexec_b64 s[40:41], s[6:7]
	s_cbranch_execnz .LBB184_272
.LBB184_205:
	s_or_b64 exec, exec, s[40:41]
	s_and_saveexec_b64 s[40:41], s[4:5]
	s_cbranch_execnz .LBB184_273
.LBB184_206:
	s_or_b64 exec, exec, s[40:41]
	s_and_saveexec_b64 s[40:41], s[2:3]
	s_cbranch_execz .LBB184_208
.LBB184_207:
	v_sub_u32_e32 v74, v4, v6
	v_mov_b32_e32 v75, 0
	v_lshlrev_b64 v[74:75], 2, v[74:75]
	v_add_co_u32_e32 v74, vcc, v7, v74
	v_addc_co_u32_e32 v75, vcc, v68, v75, vcc
	global_store_dword v[74:75], v13, off
.LBB184_208:
	s_or_b64 exec, exec, s[40:41]
	s_and_b64 s[40:41], s[0:1], exec
	s_andn2_saveexec_b64 s[30:31], s[30:31]
	s_cbranch_execz .LBB184_134
.LBB184_209:
	v_sub_u32_e32 v74, v5, v6
	v_mov_b32_e32 v75, 0
	v_lshlrev_b64 v[76:77], 2, v[74:75]
	v_add_co_u32_e32 v76, vcc, v7, v76
	v_addc_co_u32_e32 v77, vcc, v68, v77, vcc
	v_sub_u32_e32 v74, v39, v6
	global_store_dword v[76:77], v24, off
	v_lshlrev_b64 v[76:77], 2, v[74:75]
	v_add_co_u32_e32 v76, vcc, v7, v76
	v_addc_co_u32_e32 v77, vcc, v68, v77, vcc
	v_sub_u32_e32 v74, v38, v6
	global_store_dword v[76:77], v25, off
	;; [unrolled: 5-line block ×12, first 2 shown]
	v_lshlrev_b64 v[76:77], 2, v[74:75]
	v_add_co_u32_e32 v76, vcc, v7, v76
	v_sub_u32_e32 v74, v4, v6
	v_addc_co_u32_e32 v77, vcc, v68, v77, vcc
	v_lshlrev_b64 v[74:75], 2, v[74:75]
	v_add_co_u32_e32 v74, vcc, v7, v74
	v_addc_co_u32_e32 v75, vcc, v68, v75, vcc
	s_or_b64 s[40:41], s[40:41], exec
	global_store_dword v[76:77], v12, off
	global_store_dword v[74:75], v13, off
	s_or_b64 exec, exec, s[30:31]
	s_and_b64 exec, exec, s[40:41]
	s_cbranch_execnz .LBB184_135
	s_branch .LBB184_136
.LBB184_210:
	s_and_saveexec_b64 s[40:41], s[28:29]
	s_cbranch_execnz .LBB184_274
; %bb.211:
	s_or_b64 exec, exec, s[40:41]
	s_and_saveexec_b64 s[28:29], s[26:27]
	s_cbranch_execnz .LBB184_275
.LBB184_212:
	s_or_b64 exec, exec, s[28:29]
	s_and_saveexec_b64 s[26:27], s[24:25]
	s_cbranch_execnz .LBB184_276
.LBB184_213:
	s_or_b64 exec, exec, s[26:27]
	s_and_saveexec_b64 s[24:25], s[22:23]
	s_cbranch_execnz .LBB184_277
.LBB184_214:
	s_or_b64 exec, exec, s[24:25]
	s_and_saveexec_b64 s[22:23], s[20:21]
	s_cbranch_execnz .LBB184_278
.LBB184_215:
	s_or_b64 exec, exec, s[22:23]
	s_and_saveexec_b64 s[20:21], s[18:19]
	s_cbranch_execnz .LBB184_279
.LBB184_216:
	s_or_b64 exec, exec, s[20:21]
	s_and_saveexec_b64 s[18:19], s[16:17]
	s_cbranch_execnz .LBB184_280
.LBB184_217:
	s_or_b64 exec, exec, s[18:19]
	s_and_saveexec_b64 s[16:17], s[14:15]
	s_cbranch_execnz .LBB184_281
.LBB184_218:
	s_or_b64 exec, exec, s[16:17]
	s_and_saveexec_b64 s[14:15], s[12:13]
	s_cbranch_execnz .LBB184_282
.LBB184_219:
	s_or_b64 exec, exec, s[14:15]
	s_and_saveexec_b64 s[12:13], s[10:11]
	s_cbranch_execnz .LBB184_283
.LBB184_220:
	s_or_b64 exec, exec, s[12:13]
	s_and_saveexec_b64 s[10:11], s[8:9]
	s_cbranch_execnz .LBB184_284
.LBB184_221:
	s_or_b64 exec, exec, s[10:11]
	s_and_saveexec_b64 s[8:9], s[6:7]
	s_cbranch_execnz .LBB184_285
.LBB184_222:
	s_or_b64 exec, exec, s[8:9]
	s_and_saveexec_b64 s[6:7], s[4:5]
	s_cbranch_execnz .LBB184_286
.LBB184_223:
	s_or_b64 exec, exec, s[6:7]
	s_and_saveexec_b64 s[4:5], s[2:3]
	s_cbranch_execz .LBB184_225
.LBB184_224:
	v_sub_u32_e32 v12, v4, v6
	v_lshlrev_b32_e32 v12, 2, v12
	ds_write_b32 v12, v13
.LBB184_225:
	s_or_b64 exec, exec, s[4:5]
	s_and_b64 s[40:41], s[0:1], exec
                                        ; implicit-def: $vgpr12
                                        ; implicit-def: $vgpr14
                                        ; implicit-def: $vgpr16
                                        ; implicit-def: $vgpr18
                                        ; implicit-def: $vgpr20
                                        ; implicit-def: $vgpr22
                                        ; implicit-def: $vgpr24
	s_andn2_saveexec_b64 s[0:1], s[38:39]
	s_cbranch_execz .LBB184_141
.LBB184_226:
	v_sub_u32_e32 v72, v5, v6
	v_lshlrev_b32_e32 v72, 2, v72
	ds_write_b32 v72, v24
	v_sub_u32_e32 v24, v39, v6
	v_lshlrev_b32_e32 v24, 2, v24
	ds_write_b32 v24, v25
	;; [unrolled: 3-line block ×13, first 2 shown]
	v_sub_u32_e32 v12, v4, v6
	v_lshlrev_b32_e32 v12, 2, v12
	s_or_b64 s[40:41], s[40:41], exec
	ds_write_b32 v12, v13
	s_or_b64 exec, exec, s[0:1]
	s_and_b64 exec, exec, s[40:41]
	s_cbranch_execnz .LBB184_142
	s_branch .LBB184_143
.LBB184_227:
	s_and_saveexec_b64 s[38:39], s[28:29]
	s_cbranch_execnz .LBB184_287
; %bb.228:
	s_or_b64 exec, exec, s[38:39]
	s_and_saveexec_b64 s[38:39], s[26:27]
	s_cbranch_execnz .LBB184_288
.LBB184_229:
	s_or_b64 exec, exec, s[38:39]
	s_and_saveexec_b64 s[38:39], s[24:25]
	s_cbranch_execnz .LBB184_289
.LBB184_230:
	s_or_b64 exec, exec, s[38:39]
	s_and_saveexec_b64 s[38:39], s[22:23]
	s_cbranch_execnz .LBB184_290
.LBB184_231:
	s_or_b64 exec, exec, s[38:39]
	s_and_saveexec_b64 s[38:39], s[20:21]
	s_cbranch_execnz .LBB184_291
.LBB184_232:
	s_or_b64 exec, exec, s[38:39]
	s_and_saveexec_b64 s[38:39], s[18:19]
	s_cbranch_execnz .LBB184_292
.LBB184_233:
	s_or_b64 exec, exec, s[38:39]
	s_and_saveexec_b64 s[38:39], s[16:17]
	s_cbranch_execnz .LBB184_293
.LBB184_234:
	s_or_b64 exec, exec, s[38:39]
	s_and_saveexec_b64 s[38:39], s[14:15]
	s_cbranch_execnz .LBB184_294
.LBB184_235:
	s_or_b64 exec, exec, s[38:39]
	s_and_saveexec_b64 s[38:39], s[12:13]
	s_cbranch_execnz .LBB184_295
.LBB184_236:
	s_or_b64 exec, exec, s[38:39]
	s_and_saveexec_b64 s[38:39], s[10:11]
	s_cbranch_execnz .LBB184_296
.LBB184_237:
	s_or_b64 exec, exec, s[38:39]
	s_and_saveexec_b64 s[38:39], s[8:9]
	s_cbranch_execnz .LBB184_297
.LBB184_238:
	s_or_b64 exec, exec, s[38:39]
	s_and_saveexec_b64 s[38:39], s[6:7]
	s_cbranch_execnz .LBB184_298
.LBB184_239:
	s_or_b64 exec, exec, s[38:39]
	s_and_saveexec_b64 s[38:39], s[4:5]
	s_cbranch_execnz .LBB184_299
.LBB184_240:
	s_or_b64 exec, exec, s[38:39]
	s_and_saveexec_b64 s[38:39], s[2:3]
	s_cbranch_execz .LBB184_242
.LBB184_241:
	v_sub_u32_e32 v18, v4, v10
	v_mov_b32_e32 v19, 0
	v_lshlrev_b64 v[18:19], 2, v[18:19]
	v_add_co_u32_e32 v18, vcc, v14, v18
	v_addc_co_u32_e32 v19, vcc, v15, v19, vcc
	global_store_dword v[18:19], v41, off
.LBB184_242:
	s_or_b64 exec, exec, s[38:39]
	s_and_b64 s[38:39], s[0:1], exec
	s_andn2_saveexec_b64 s[30:31], s[30:31]
	s_cbranch_execz .LBB184_163
.LBB184_243:
	v_sub_u32_e32 v18, v5, v10
	v_mov_b32_e32 v19, 0
	v_lshlrev_b64 v[20:21], 2, v[18:19]
	v_add_co_u32_e32 v20, vcc, v14, v20
	v_addc_co_u32_e32 v21, vcc, v15, v21, vcc
	v_sub_u32_e32 v18, v39, v10
	global_store_dword v[20:21], v71, off
	v_lshlrev_b64 v[20:21], 2, v[18:19]
	v_add_co_u32_e32 v20, vcc, v14, v20
	v_addc_co_u32_e32 v21, vcc, v15, v21, vcc
	v_sub_u32_e32 v18, v38, v10
	global_store_dword v[20:21], v70, off
	v_lshlrev_b64 v[20:21], 2, v[18:19]
	v_add_co_u32_e32 v20, vcc, v14, v20
	v_addc_co_u32_e32 v21, vcc, v15, v21, vcc
	v_sub_u32_e32 v18, v37, v10
	global_store_dword v[20:21], v69, off
	v_lshlrev_b64 v[20:21], 2, v[18:19]
	v_add_co_u32_e32 v20, vcc, v14, v20
	v_addc_co_u32_e32 v21, vcc, v15, v21, vcc
	v_sub_u32_e32 v18, v36, v10
	global_store_dword v[20:21], v67, off
	v_lshlrev_b64 v[20:21], 2, v[18:19]
	v_add_co_u32_e32 v20, vcc, v14, v20
	v_addc_co_u32_e32 v21, vcc, v15, v21, vcc
	v_sub_u32_e32 v18, v35, v10
	global_store_dword v[20:21], v66, off
	v_lshlrev_b64 v[20:21], 2, v[18:19]
	v_add_co_u32_e32 v20, vcc, v14, v20
	v_addc_co_u32_e32 v21, vcc, v15, v21, vcc
	v_sub_u32_e32 v18, v34, v10
	global_store_dword v[20:21], v65, off
	v_lshlrev_b64 v[20:21], 2, v[18:19]
	v_add_co_u32_e32 v20, vcc, v14, v20
	v_addc_co_u32_e32 v21, vcc, v15, v21, vcc
	v_sub_u32_e32 v18, v33, v10
	global_store_dword v[20:21], v64, off
	v_lshlrev_b64 v[20:21], 2, v[18:19]
	v_add_co_u32_e32 v20, vcc, v14, v20
	v_addc_co_u32_e32 v21, vcc, v15, v21, vcc
	v_sub_u32_e32 v18, v32, v10
	global_store_dword v[20:21], v63, off
	v_lshlrev_b64 v[20:21], 2, v[18:19]
	v_add_co_u32_e32 v20, vcc, v14, v20
	v_addc_co_u32_e32 v21, vcc, v15, v21, vcc
	v_sub_u32_e32 v18, v31, v10
	global_store_dword v[20:21], v62, off
	v_lshlrev_b64 v[20:21], 2, v[18:19]
	v_add_co_u32_e32 v20, vcc, v14, v20
	v_addc_co_u32_e32 v21, vcc, v15, v21, vcc
	v_sub_u32_e32 v18, v30, v10
	global_store_dword v[20:21], v61, off
	v_lshlrev_b64 v[20:21], 2, v[18:19]
	v_add_co_u32_e32 v20, vcc, v14, v20
	v_addc_co_u32_e32 v21, vcc, v15, v21, vcc
	v_sub_u32_e32 v18, v29, v10
	global_store_dword v[20:21], v45, off
	v_lshlrev_b64 v[20:21], 2, v[18:19]
	v_add_co_u32_e32 v20, vcc, v14, v20
	v_addc_co_u32_e32 v21, vcc, v15, v21, vcc
	v_sub_u32_e32 v18, v28, v10
	global_store_dword v[20:21], v43, off
	v_lshlrev_b64 v[20:21], 2, v[18:19]
	v_add_co_u32_e32 v20, vcc, v14, v20
	v_sub_u32_e32 v18, v4, v10
	v_addc_co_u32_e32 v21, vcc, v15, v21, vcc
	v_lshlrev_b64 v[18:19], 2, v[18:19]
	v_add_co_u32_e32 v18, vcc, v14, v18
	v_addc_co_u32_e32 v19, vcc, v15, v19, vcc
	s_or_b64 s[38:39], s[38:39], exec
	global_store_dword v[20:21], v42, off
	global_store_dword v[18:19], v41, off
	s_or_b64 exec, exec, s[30:31]
	s_and_b64 exec, exec, s[38:39]
	s_cbranch_execnz .LBB184_164
	s_branch .LBB184_165
.LBB184_244:
	s_and_saveexec_b64 s[38:39], s[28:29]
	s_cbranch_execnz .LBB184_300
; %bb.245:
	s_or_b64 exec, exec, s[38:39]
	s_and_saveexec_b64 s[28:29], s[26:27]
	s_cbranch_execnz .LBB184_301
.LBB184_246:
	s_or_b64 exec, exec, s[28:29]
	s_and_saveexec_b64 s[26:27], s[24:25]
	s_cbranch_execnz .LBB184_302
.LBB184_247:
	s_or_b64 exec, exec, s[26:27]
	s_and_saveexec_b64 s[24:25], s[22:23]
	s_cbranch_execnz .LBB184_303
.LBB184_248:
	s_or_b64 exec, exec, s[24:25]
	s_and_saveexec_b64 s[22:23], s[20:21]
	s_cbranch_execnz .LBB184_304
.LBB184_249:
	s_or_b64 exec, exec, s[22:23]
	s_and_saveexec_b64 s[20:21], s[18:19]
	s_cbranch_execnz .LBB184_305
.LBB184_250:
	s_or_b64 exec, exec, s[20:21]
	s_and_saveexec_b64 s[18:19], s[16:17]
	s_cbranch_execnz .LBB184_306
.LBB184_251:
	s_or_b64 exec, exec, s[18:19]
	s_and_saveexec_b64 s[16:17], s[14:15]
	s_cbranch_execnz .LBB184_307
.LBB184_252:
	s_or_b64 exec, exec, s[16:17]
	s_and_saveexec_b64 s[14:15], s[12:13]
	s_cbranch_execnz .LBB184_308
.LBB184_253:
	s_or_b64 exec, exec, s[14:15]
	s_and_saveexec_b64 s[12:13], s[10:11]
	s_cbranch_execnz .LBB184_309
.LBB184_254:
	s_or_b64 exec, exec, s[12:13]
	s_and_saveexec_b64 s[10:11], s[8:9]
	s_cbranch_execnz .LBB184_310
.LBB184_255:
	s_or_b64 exec, exec, s[10:11]
	s_and_saveexec_b64 s[8:9], s[6:7]
	s_cbranch_execnz .LBB184_311
.LBB184_256:
	s_or_b64 exec, exec, s[8:9]
	s_and_saveexec_b64 s[6:7], s[4:5]
	s_cbranch_execnz .LBB184_312
.LBB184_257:
	s_or_b64 exec, exec, s[6:7]
	s_and_saveexec_b64 s[4:5], s[2:3]
	s_cbranch_execz .LBB184_259
.LBB184_258:
	v_sub_u32_e32 v4, v4, v10
	v_lshlrev_b32_e32 v4, 2, v4
	ds_write_b32 v4, v41
.LBB184_259:
	s_or_b64 exec, exec, s[4:5]
	s_and_b64 s[38:39], s[0:1], exec
                                        ; implicit-def: $vgpr41
                                        ; implicit-def: $vgpr42
                                        ; implicit-def: $vgpr43
                                        ; implicit-def: $vgpr45
                                        ; implicit-def: $vgpr61
                                        ; implicit-def: $vgpr62
                                        ; implicit-def: $vgpr63
                                        ; implicit-def: $vgpr64
                                        ; implicit-def: $vgpr65
                                        ; implicit-def: $vgpr66
                                        ; implicit-def: $vgpr67
                                        ; implicit-def: $vgpr69
                                        ; implicit-def: $vgpr70
                                        ; implicit-def: $vgpr71
                                        ; implicit-def: $vgpr39
                                        ; implicit-def: $vgpr38
                                        ; implicit-def: $vgpr37
                                        ; implicit-def: $vgpr36
                                        ; implicit-def: $vgpr35
                                        ; implicit-def: $vgpr34
                                        ; implicit-def: $vgpr33
                                        ; implicit-def: $vgpr32
                                        ; implicit-def: $vgpr31
                                        ; implicit-def: $vgpr30
                                        ; implicit-def: $vgpr29
                                        ; implicit-def: $vgpr28
                                        ; implicit-def: $vgpr4
	s_andn2_saveexec_b64 s[0:1], s[36:37]
	s_cbranch_execz .LBB184_170
.LBB184_260:
	v_sub_u32_e32 v5, v5, v10
	v_lshlrev_b32_e32 v5, 2, v5
	ds_write_b32 v5, v71
	v_sub_u32_e32 v5, v39, v10
	v_lshlrev_b32_e32 v5, 2, v5
	ds_write_b32 v5, v70
	;; [unrolled: 3-line block ×12, first 2 shown]
	v_sub_u32_e32 v5, v28, v10
	v_sub_u32_e32 v4, v4, v10
	v_lshlrev_b32_e32 v5, 2, v5
	v_lshlrev_b32_e32 v4, 2, v4
	s_or_b64 s[38:39], s[38:39], exec
	ds_write_b32 v5, v42
	ds_write_b32 v4, v41
	s_or_b64 exec, exec, s[0:1]
	s_and_b64 exec, exec, s[38:39]
	s_cbranch_execnz .LBB184_171
	s_branch .LBB184_172
.LBB184_261:
	v_sub_u32_e32 v74, v5, v6
	v_mov_b32_e32 v75, 0
	v_lshlrev_b64 v[74:75], 2, v[74:75]
	v_add_co_u32_e32 v74, vcc, v7, v74
	v_addc_co_u32_e32 v75, vcc, v68, v75, vcc
	global_store_dword v[74:75], v24, off
	s_or_b64 exec, exec, s[40:41]
	s_and_saveexec_b64 s[40:41], s[26:27]
	s_cbranch_execz .LBB184_195
.LBB184_262:
	v_sub_u32_e32 v74, v39, v6
	v_mov_b32_e32 v75, 0
	v_lshlrev_b64 v[74:75], 2, v[74:75]
	v_add_co_u32_e32 v74, vcc, v7, v74
	v_addc_co_u32_e32 v75, vcc, v68, v75, vcc
	global_store_dword v[74:75], v25, off
	s_or_b64 exec, exec, s[40:41]
	s_and_saveexec_b64 s[40:41], s[24:25]
	s_cbranch_execz .LBB184_196
.LBB184_263:
	v_sub_u32_e32 v74, v38, v6
	v_mov_b32_e32 v75, 0
	v_lshlrev_b64 v[74:75], 2, v[74:75]
	v_add_co_u32_e32 v74, vcc, v7, v74
	v_addc_co_u32_e32 v75, vcc, v68, v75, vcc
	global_store_dword v[74:75], v22, off
	s_or_b64 exec, exec, s[40:41]
	s_and_saveexec_b64 s[40:41], s[22:23]
	s_cbranch_execz .LBB184_197
.LBB184_264:
	v_sub_u32_e32 v74, v37, v6
	v_mov_b32_e32 v75, 0
	v_lshlrev_b64 v[74:75], 2, v[74:75]
	v_add_co_u32_e32 v74, vcc, v7, v74
	v_addc_co_u32_e32 v75, vcc, v68, v75, vcc
	global_store_dword v[74:75], v23, off
	s_or_b64 exec, exec, s[40:41]
	s_and_saveexec_b64 s[40:41], s[20:21]
	s_cbranch_execz .LBB184_198
.LBB184_265:
	v_sub_u32_e32 v74, v36, v6
	v_mov_b32_e32 v75, 0
	v_lshlrev_b64 v[74:75], 2, v[74:75]
	v_add_co_u32_e32 v74, vcc, v7, v74
	v_addc_co_u32_e32 v75, vcc, v68, v75, vcc
	global_store_dword v[74:75], v20, off
	s_or_b64 exec, exec, s[40:41]
	s_and_saveexec_b64 s[40:41], s[18:19]
	s_cbranch_execz .LBB184_199
.LBB184_266:
	v_sub_u32_e32 v74, v35, v6
	v_mov_b32_e32 v75, 0
	v_lshlrev_b64 v[74:75], 2, v[74:75]
	v_add_co_u32_e32 v74, vcc, v7, v74
	v_addc_co_u32_e32 v75, vcc, v68, v75, vcc
	global_store_dword v[74:75], v21, off
	s_or_b64 exec, exec, s[40:41]
	s_and_saveexec_b64 s[40:41], s[16:17]
	s_cbranch_execz .LBB184_200
.LBB184_267:
	v_sub_u32_e32 v74, v34, v6
	v_mov_b32_e32 v75, 0
	v_lshlrev_b64 v[74:75], 2, v[74:75]
	v_add_co_u32_e32 v74, vcc, v7, v74
	v_addc_co_u32_e32 v75, vcc, v68, v75, vcc
	global_store_dword v[74:75], v18, off
	s_or_b64 exec, exec, s[40:41]
	s_and_saveexec_b64 s[40:41], s[14:15]
	s_cbranch_execz .LBB184_201
.LBB184_268:
	v_sub_u32_e32 v74, v33, v6
	v_mov_b32_e32 v75, 0
	v_lshlrev_b64 v[74:75], 2, v[74:75]
	v_add_co_u32_e32 v74, vcc, v7, v74
	v_addc_co_u32_e32 v75, vcc, v68, v75, vcc
	global_store_dword v[74:75], v19, off
	s_or_b64 exec, exec, s[40:41]
	s_and_saveexec_b64 s[40:41], s[12:13]
	s_cbranch_execz .LBB184_202
.LBB184_269:
	v_sub_u32_e32 v74, v32, v6
	v_mov_b32_e32 v75, 0
	v_lshlrev_b64 v[74:75], 2, v[74:75]
	v_add_co_u32_e32 v74, vcc, v7, v74
	v_addc_co_u32_e32 v75, vcc, v68, v75, vcc
	global_store_dword v[74:75], v16, off
	s_or_b64 exec, exec, s[40:41]
	s_and_saveexec_b64 s[40:41], s[10:11]
	s_cbranch_execz .LBB184_203
.LBB184_270:
	v_sub_u32_e32 v74, v31, v6
	v_mov_b32_e32 v75, 0
	v_lshlrev_b64 v[74:75], 2, v[74:75]
	v_add_co_u32_e32 v74, vcc, v7, v74
	v_addc_co_u32_e32 v75, vcc, v68, v75, vcc
	global_store_dword v[74:75], v17, off
	s_or_b64 exec, exec, s[40:41]
	s_and_saveexec_b64 s[40:41], s[8:9]
	s_cbranch_execz .LBB184_204
.LBB184_271:
	v_sub_u32_e32 v74, v30, v6
	v_mov_b32_e32 v75, 0
	v_lshlrev_b64 v[74:75], 2, v[74:75]
	v_add_co_u32_e32 v74, vcc, v7, v74
	v_addc_co_u32_e32 v75, vcc, v68, v75, vcc
	global_store_dword v[74:75], v14, off
	s_or_b64 exec, exec, s[40:41]
	s_and_saveexec_b64 s[40:41], s[6:7]
	s_cbranch_execz .LBB184_205
.LBB184_272:
	v_sub_u32_e32 v74, v29, v6
	v_mov_b32_e32 v75, 0
	v_lshlrev_b64 v[74:75], 2, v[74:75]
	v_add_co_u32_e32 v74, vcc, v7, v74
	v_addc_co_u32_e32 v75, vcc, v68, v75, vcc
	global_store_dword v[74:75], v15, off
	s_or_b64 exec, exec, s[40:41]
	s_and_saveexec_b64 s[40:41], s[4:5]
	s_cbranch_execz .LBB184_206
.LBB184_273:
	v_sub_u32_e32 v74, v28, v6
	v_mov_b32_e32 v75, 0
	v_lshlrev_b64 v[74:75], 2, v[74:75]
	v_add_co_u32_e32 v74, vcc, v7, v74
	v_addc_co_u32_e32 v75, vcc, v68, v75, vcc
	global_store_dword v[74:75], v12, off
	s_or_b64 exec, exec, s[40:41]
	s_and_saveexec_b64 s[40:41], s[2:3]
	s_cbranch_execnz .LBB184_207
	s_branch .LBB184_208
.LBB184_274:
	v_sub_u32_e32 v72, v5, v6
	v_lshlrev_b32_e32 v72, 2, v72
	ds_write_b32 v72, v24
	s_or_b64 exec, exec, s[40:41]
	s_and_saveexec_b64 s[28:29], s[26:27]
	s_cbranch_execz .LBB184_212
.LBB184_275:
	v_sub_u32_e32 v24, v39, v6
	v_lshlrev_b32_e32 v24, 2, v24
	ds_write_b32 v24, v25
	s_or_b64 exec, exec, s[28:29]
	s_and_saveexec_b64 s[26:27], s[24:25]
	s_cbranch_execz .LBB184_213
.LBB184_276:
	v_sub_u32_e32 v24, v38, v6
	v_lshlrev_b32_e32 v24, 2, v24
	ds_write_b32 v24, v22
	s_or_b64 exec, exec, s[26:27]
	s_and_saveexec_b64 s[24:25], s[22:23]
	s_cbranch_execz .LBB184_214
.LBB184_277:
	v_sub_u32_e32 v22, v37, v6
	v_lshlrev_b32_e32 v22, 2, v22
	ds_write_b32 v22, v23
	s_or_b64 exec, exec, s[24:25]
	s_and_saveexec_b64 s[22:23], s[20:21]
	s_cbranch_execz .LBB184_215
.LBB184_278:
	v_sub_u32_e32 v22, v36, v6
	v_lshlrev_b32_e32 v22, 2, v22
	ds_write_b32 v22, v20
	s_or_b64 exec, exec, s[22:23]
	s_and_saveexec_b64 s[20:21], s[18:19]
	s_cbranch_execz .LBB184_216
.LBB184_279:
	v_sub_u32_e32 v20, v35, v6
	v_lshlrev_b32_e32 v20, 2, v20
	ds_write_b32 v20, v21
	s_or_b64 exec, exec, s[20:21]
	s_and_saveexec_b64 s[18:19], s[16:17]
	s_cbranch_execz .LBB184_217
.LBB184_280:
	v_sub_u32_e32 v20, v34, v6
	v_lshlrev_b32_e32 v20, 2, v20
	ds_write_b32 v20, v18
	s_or_b64 exec, exec, s[18:19]
	s_and_saveexec_b64 s[16:17], s[14:15]
	s_cbranch_execz .LBB184_218
.LBB184_281:
	v_sub_u32_e32 v18, v33, v6
	v_lshlrev_b32_e32 v18, 2, v18
	ds_write_b32 v18, v19
	s_or_b64 exec, exec, s[16:17]
	s_and_saveexec_b64 s[14:15], s[12:13]
	s_cbranch_execz .LBB184_219
.LBB184_282:
	v_sub_u32_e32 v18, v32, v6
	v_lshlrev_b32_e32 v18, 2, v18
	ds_write_b32 v18, v16
	s_or_b64 exec, exec, s[14:15]
	s_and_saveexec_b64 s[12:13], s[10:11]
	s_cbranch_execz .LBB184_220
.LBB184_283:
	v_sub_u32_e32 v16, v31, v6
	v_lshlrev_b32_e32 v16, 2, v16
	ds_write_b32 v16, v17
	s_or_b64 exec, exec, s[12:13]
	s_and_saveexec_b64 s[10:11], s[8:9]
	s_cbranch_execz .LBB184_221
.LBB184_284:
	v_sub_u32_e32 v16, v30, v6
	v_lshlrev_b32_e32 v16, 2, v16
	ds_write_b32 v16, v14
	s_or_b64 exec, exec, s[10:11]
	s_and_saveexec_b64 s[8:9], s[6:7]
	s_cbranch_execz .LBB184_222
.LBB184_285:
	v_sub_u32_e32 v14, v29, v6
	v_lshlrev_b32_e32 v14, 2, v14
	ds_write_b32 v14, v15
	s_or_b64 exec, exec, s[8:9]
	s_and_saveexec_b64 s[6:7], s[4:5]
	s_cbranch_execz .LBB184_223
.LBB184_286:
	v_sub_u32_e32 v14, v28, v6
	v_lshlrev_b32_e32 v14, 2, v14
	ds_write_b32 v14, v12
	s_or_b64 exec, exec, s[6:7]
	s_and_saveexec_b64 s[4:5], s[2:3]
	s_cbranch_execnz .LBB184_224
	s_branch .LBB184_225
.LBB184_287:
	v_sub_u32_e32 v18, v5, v10
	v_mov_b32_e32 v19, 0
	v_lshlrev_b64 v[18:19], 2, v[18:19]
	v_add_co_u32_e32 v18, vcc, v14, v18
	v_addc_co_u32_e32 v19, vcc, v15, v19, vcc
	global_store_dword v[18:19], v71, off
	s_or_b64 exec, exec, s[38:39]
	s_and_saveexec_b64 s[38:39], s[26:27]
	s_cbranch_execz .LBB184_229
.LBB184_288:
	v_sub_u32_e32 v18, v39, v10
	v_mov_b32_e32 v19, 0
	v_lshlrev_b64 v[18:19], 2, v[18:19]
	v_add_co_u32_e32 v18, vcc, v14, v18
	v_addc_co_u32_e32 v19, vcc, v15, v19, vcc
	global_store_dword v[18:19], v70, off
	s_or_b64 exec, exec, s[38:39]
	s_and_saveexec_b64 s[38:39], s[24:25]
	s_cbranch_execz .LBB184_230
.LBB184_289:
	v_sub_u32_e32 v18, v38, v10
	v_mov_b32_e32 v19, 0
	v_lshlrev_b64 v[18:19], 2, v[18:19]
	v_add_co_u32_e32 v18, vcc, v14, v18
	v_addc_co_u32_e32 v19, vcc, v15, v19, vcc
	global_store_dword v[18:19], v69, off
	s_or_b64 exec, exec, s[38:39]
	s_and_saveexec_b64 s[38:39], s[22:23]
	s_cbranch_execz .LBB184_231
.LBB184_290:
	v_sub_u32_e32 v18, v37, v10
	v_mov_b32_e32 v19, 0
	v_lshlrev_b64 v[18:19], 2, v[18:19]
	v_add_co_u32_e32 v18, vcc, v14, v18
	v_addc_co_u32_e32 v19, vcc, v15, v19, vcc
	global_store_dword v[18:19], v67, off
	s_or_b64 exec, exec, s[38:39]
	s_and_saveexec_b64 s[38:39], s[20:21]
	s_cbranch_execz .LBB184_232
.LBB184_291:
	v_sub_u32_e32 v18, v36, v10
	v_mov_b32_e32 v19, 0
	v_lshlrev_b64 v[18:19], 2, v[18:19]
	v_add_co_u32_e32 v18, vcc, v14, v18
	v_addc_co_u32_e32 v19, vcc, v15, v19, vcc
	global_store_dword v[18:19], v66, off
	s_or_b64 exec, exec, s[38:39]
	s_and_saveexec_b64 s[38:39], s[18:19]
	s_cbranch_execz .LBB184_233
.LBB184_292:
	v_sub_u32_e32 v18, v35, v10
	v_mov_b32_e32 v19, 0
	v_lshlrev_b64 v[18:19], 2, v[18:19]
	v_add_co_u32_e32 v18, vcc, v14, v18
	v_addc_co_u32_e32 v19, vcc, v15, v19, vcc
	global_store_dword v[18:19], v65, off
	s_or_b64 exec, exec, s[38:39]
	s_and_saveexec_b64 s[38:39], s[16:17]
	s_cbranch_execz .LBB184_234
.LBB184_293:
	v_sub_u32_e32 v18, v34, v10
	v_mov_b32_e32 v19, 0
	v_lshlrev_b64 v[18:19], 2, v[18:19]
	v_add_co_u32_e32 v18, vcc, v14, v18
	v_addc_co_u32_e32 v19, vcc, v15, v19, vcc
	global_store_dword v[18:19], v64, off
	s_or_b64 exec, exec, s[38:39]
	s_and_saveexec_b64 s[38:39], s[14:15]
	s_cbranch_execz .LBB184_235
.LBB184_294:
	v_sub_u32_e32 v18, v33, v10
	v_mov_b32_e32 v19, 0
	v_lshlrev_b64 v[18:19], 2, v[18:19]
	v_add_co_u32_e32 v18, vcc, v14, v18
	v_addc_co_u32_e32 v19, vcc, v15, v19, vcc
	global_store_dword v[18:19], v63, off
	s_or_b64 exec, exec, s[38:39]
	s_and_saveexec_b64 s[38:39], s[12:13]
	s_cbranch_execz .LBB184_236
.LBB184_295:
	v_sub_u32_e32 v18, v32, v10
	v_mov_b32_e32 v19, 0
	v_lshlrev_b64 v[18:19], 2, v[18:19]
	v_add_co_u32_e32 v18, vcc, v14, v18
	v_addc_co_u32_e32 v19, vcc, v15, v19, vcc
	global_store_dword v[18:19], v62, off
	s_or_b64 exec, exec, s[38:39]
	s_and_saveexec_b64 s[38:39], s[10:11]
	s_cbranch_execz .LBB184_237
.LBB184_296:
	v_sub_u32_e32 v18, v31, v10
	v_mov_b32_e32 v19, 0
	v_lshlrev_b64 v[18:19], 2, v[18:19]
	v_add_co_u32_e32 v18, vcc, v14, v18
	v_addc_co_u32_e32 v19, vcc, v15, v19, vcc
	global_store_dword v[18:19], v61, off
	s_or_b64 exec, exec, s[38:39]
	s_and_saveexec_b64 s[38:39], s[8:9]
	s_cbranch_execz .LBB184_238
.LBB184_297:
	v_sub_u32_e32 v18, v30, v10
	v_mov_b32_e32 v19, 0
	v_lshlrev_b64 v[18:19], 2, v[18:19]
	v_add_co_u32_e32 v18, vcc, v14, v18
	v_addc_co_u32_e32 v19, vcc, v15, v19, vcc
	global_store_dword v[18:19], v45, off
	s_or_b64 exec, exec, s[38:39]
	s_and_saveexec_b64 s[38:39], s[6:7]
	s_cbranch_execz .LBB184_239
.LBB184_298:
	v_sub_u32_e32 v18, v29, v10
	v_mov_b32_e32 v19, 0
	v_lshlrev_b64 v[18:19], 2, v[18:19]
	v_add_co_u32_e32 v18, vcc, v14, v18
	v_addc_co_u32_e32 v19, vcc, v15, v19, vcc
	global_store_dword v[18:19], v43, off
	s_or_b64 exec, exec, s[38:39]
	s_and_saveexec_b64 s[38:39], s[4:5]
	s_cbranch_execz .LBB184_240
.LBB184_299:
	v_sub_u32_e32 v18, v28, v10
	v_mov_b32_e32 v19, 0
	v_lshlrev_b64 v[18:19], 2, v[18:19]
	v_add_co_u32_e32 v18, vcc, v14, v18
	v_addc_co_u32_e32 v19, vcc, v15, v19, vcc
	global_store_dword v[18:19], v42, off
	s_or_b64 exec, exec, s[38:39]
	s_and_saveexec_b64 s[38:39], s[2:3]
	s_cbranch_execnz .LBB184_241
	s_branch .LBB184_242
.LBB184_300:
	v_sub_u32_e32 v5, v5, v10
	v_lshlrev_b32_e32 v5, 2, v5
	ds_write_b32 v5, v71
	s_or_b64 exec, exec, s[38:39]
	s_and_saveexec_b64 s[28:29], s[26:27]
	s_cbranch_execz .LBB184_246
.LBB184_301:
	v_sub_u32_e32 v5, v39, v10
	v_lshlrev_b32_e32 v5, 2, v5
	ds_write_b32 v5, v70
	s_or_b64 exec, exec, s[28:29]
	s_and_saveexec_b64 s[26:27], s[24:25]
	s_cbranch_execz .LBB184_247
.LBB184_302:
	v_sub_u32_e32 v5, v38, v10
	v_lshlrev_b32_e32 v5, 2, v5
	ds_write_b32 v5, v69
	s_or_b64 exec, exec, s[26:27]
	s_and_saveexec_b64 s[24:25], s[22:23]
	s_cbranch_execz .LBB184_248
.LBB184_303:
	v_sub_u32_e32 v5, v37, v10
	v_lshlrev_b32_e32 v5, 2, v5
	ds_write_b32 v5, v67
	s_or_b64 exec, exec, s[24:25]
	s_and_saveexec_b64 s[22:23], s[20:21]
	s_cbranch_execz .LBB184_249
.LBB184_304:
	v_sub_u32_e32 v5, v36, v10
	v_lshlrev_b32_e32 v5, 2, v5
	ds_write_b32 v5, v66
	s_or_b64 exec, exec, s[22:23]
	s_and_saveexec_b64 s[20:21], s[18:19]
	s_cbranch_execz .LBB184_250
.LBB184_305:
	v_sub_u32_e32 v5, v35, v10
	v_lshlrev_b32_e32 v5, 2, v5
	ds_write_b32 v5, v65
	s_or_b64 exec, exec, s[20:21]
	s_and_saveexec_b64 s[18:19], s[16:17]
	s_cbranch_execz .LBB184_251
.LBB184_306:
	v_sub_u32_e32 v5, v34, v10
	v_lshlrev_b32_e32 v5, 2, v5
	ds_write_b32 v5, v64
	s_or_b64 exec, exec, s[18:19]
	s_and_saveexec_b64 s[16:17], s[14:15]
	s_cbranch_execz .LBB184_252
.LBB184_307:
	v_sub_u32_e32 v5, v33, v10
	v_lshlrev_b32_e32 v5, 2, v5
	ds_write_b32 v5, v63
	s_or_b64 exec, exec, s[16:17]
	s_and_saveexec_b64 s[14:15], s[12:13]
	s_cbranch_execz .LBB184_253
.LBB184_308:
	v_sub_u32_e32 v5, v32, v10
	v_lshlrev_b32_e32 v5, 2, v5
	ds_write_b32 v5, v62
	s_or_b64 exec, exec, s[14:15]
	s_and_saveexec_b64 s[12:13], s[10:11]
	s_cbranch_execz .LBB184_254
.LBB184_309:
	v_sub_u32_e32 v5, v31, v10
	v_lshlrev_b32_e32 v5, 2, v5
	ds_write_b32 v5, v61
	s_or_b64 exec, exec, s[12:13]
	s_and_saveexec_b64 s[10:11], s[8:9]
	s_cbranch_execz .LBB184_255
.LBB184_310:
	v_sub_u32_e32 v5, v30, v10
	v_lshlrev_b32_e32 v5, 2, v5
	ds_write_b32 v5, v45
	s_or_b64 exec, exec, s[10:11]
	s_and_saveexec_b64 s[8:9], s[6:7]
	s_cbranch_execz .LBB184_256
.LBB184_311:
	v_sub_u32_e32 v5, v29, v10
	v_lshlrev_b32_e32 v5, 2, v5
	ds_write_b32 v5, v43
	s_or_b64 exec, exec, s[8:9]
	s_and_saveexec_b64 s[6:7], s[4:5]
	s_cbranch_execz .LBB184_257
.LBB184_312:
	v_sub_u32_e32 v5, v28, v10
	v_lshlrev_b32_e32 v5, 2, v5
	ds_write_b32 v5, v42
	s_or_b64 exec, exec, s[6:7]
	s_and_saveexec_b64 s[4:5], s[2:3]
	s_cbranch_execnz .LBB184_258
	s_branch .LBB184_259
	.section	.rodata,"a",@progbits
	.p2align	6, 0x0
	.amdhsa_kernel _ZN7rocprim17ROCPRIM_400000_NS6detail17trampoline_kernelINS0_14default_configENS1_29reduce_by_key_config_selectorIffN6thrust23THRUST_200600_302600_NS4plusIfEEEEZZNS1_33reduce_by_key_impl_wrapped_configILNS1_25lookback_scan_determinismE0ES3_S9_NS6_6detail15normal_iteratorINS6_10device_ptrIfEEEESG_SG_SG_PmS8_NS6_8equal_toIfEEEE10hipError_tPvRmT2_T3_mT4_T5_T6_T7_T8_P12ihipStream_tbENKUlT_T0_E_clISt17integral_constantIbLb1EES10_IbLb0EEEEDaSW_SX_EUlSW_E_NS1_11comp_targetILNS1_3genE4ELNS1_11target_archE910ELNS1_3gpuE8ELNS1_3repE0EEENS1_30default_config_static_selectorELNS0_4arch9wavefront6targetE1EEEvT1_
		.amdhsa_group_segment_fixed_size 15360
		.amdhsa_private_segment_fixed_size 0
		.amdhsa_kernarg_size 120
		.amdhsa_user_sgpr_count 6
		.amdhsa_user_sgpr_private_segment_buffer 1
		.amdhsa_user_sgpr_dispatch_ptr 0
		.amdhsa_user_sgpr_queue_ptr 0
		.amdhsa_user_sgpr_kernarg_segment_ptr 1
		.amdhsa_user_sgpr_dispatch_id 0
		.amdhsa_user_sgpr_flat_scratch_init 0
		.amdhsa_user_sgpr_kernarg_preload_length 0
		.amdhsa_user_sgpr_kernarg_preload_offset 0
		.amdhsa_user_sgpr_private_segment_size 0
		.amdhsa_uses_dynamic_stack 0
		.amdhsa_system_sgpr_private_segment_wavefront_offset 0
		.amdhsa_system_sgpr_workgroup_id_x 1
		.amdhsa_system_sgpr_workgroup_id_y 0
		.amdhsa_system_sgpr_workgroup_id_z 0
		.amdhsa_system_sgpr_workgroup_info 0
		.amdhsa_system_vgpr_workitem_id 0
		.amdhsa_next_free_vgpr 106
		.amdhsa_next_free_sgpr 64
		.amdhsa_accum_offset 108
		.amdhsa_reserve_vcc 1
		.amdhsa_reserve_flat_scratch 0
		.amdhsa_float_round_mode_32 0
		.amdhsa_float_round_mode_16_64 0
		.amdhsa_float_denorm_mode_32 3
		.amdhsa_float_denorm_mode_16_64 3
		.amdhsa_dx10_clamp 1
		.amdhsa_ieee_mode 1
		.amdhsa_fp16_overflow 0
		.amdhsa_tg_split 0
		.amdhsa_exception_fp_ieee_invalid_op 0
		.amdhsa_exception_fp_denorm_src 0
		.amdhsa_exception_fp_ieee_div_zero 0
		.amdhsa_exception_fp_ieee_overflow 0
		.amdhsa_exception_fp_ieee_underflow 0
		.amdhsa_exception_fp_ieee_inexact 0
		.amdhsa_exception_int_div_zero 0
	.end_amdhsa_kernel
	.section	.text._ZN7rocprim17ROCPRIM_400000_NS6detail17trampoline_kernelINS0_14default_configENS1_29reduce_by_key_config_selectorIffN6thrust23THRUST_200600_302600_NS4plusIfEEEEZZNS1_33reduce_by_key_impl_wrapped_configILNS1_25lookback_scan_determinismE0ES3_S9_NS6_6detail15normal_iteratorINS6_10device_ptrIfEEEESG_SG_SG_PmS8_NS6_8equal_toIfEEEE10hipError_tPvRmT2_T3_mT4_T5_T6_T7_T8_P12ihipStream_tbENKUlT_T0_E_clISt17integral_constantIbLb1EES10_IbLb0EEEEDaSW_SX_EUlSW_E_NS1_11comp_targetILNS1_3genE4ELNS1_11target_archE910ELNS1_3gpuE8ELNS1_3repE0EEENS1_30default_config_static_selectorELNS0_4arch9wavefront6targetE1EEEvT1_,"axG",@progbits,_ZN7rocprim17ROCPRIM_400000_NS6detail17trampoline_kernelINS0_14default_configENS1_29reduce_by_key_config_selectorIffN6thrust23THRUST_200600_302600_NS4plusIfEEEEZZNS1_33reduce_by_key_impl_wrapped_configILNS1_25lookback_scan_determinismE0ES3_S9_NS6_6detail15normal_iteratorINS6_10device_ptrIfEEEESG_SG_SG_PmS8_NS6_8equal_toIfEEEE10hipError_tPvRmT2_T3_mT4_T5_T6_T7_T8_P12ihipStream_tbENKUlT_T0_E_clISt17integral_constantIbLb1EES10_IbLb0EEEEDaSW_SX_EUlSW_E_NS1_11comp_targetILNS1_3genE4ELNS1_11target_archE910ELNS1_3gpuE8ELNS1_3repE0EEENS1_30default_config_static_selectorELNS0_4arch9wavefront6targetE1EEEvT1_,comdat
.Lfunc_end184:
	.size	_ZN7rocprim17ROCPRIM_400000_NS6detail17trampoline_kernelINS0_14default_configENS1_29reduce_by_key_config_selectorIffN6thrust23THRUST_200600_302600_NS4plusIfEEEEZZNS1_33reduce_by_key_impl_wrapped_configILNS1_25lookback_scan_determinismE0ES3_S9_NS6_6detail15normal_iteratorINS6_10device_ptrIfEEEESG_SG_SG_PmS8_NS6_8equal_toIfEEEE10hipError_tPvRmT2_T3_mT4_T5_T6_T7_T8_P12ihipStream_tbENKUlT_T0_E_clISt17integral_constantIbLb1EES10_IbLb0EEEEDaSW_SX_EUlSW_E_NS1_11comp_targetILNS1_3genE4ELNS1_11target_archE910ELNS1_3gpuE8ELNS1_3repE0EEENS1_30default_config_static_selectorELNS0_4arch9wavefront6targetE1EEEvT1_, .Lfunc_end184-_ZN7rocprim17ROCPRIM_400000_NS6detail17trampoline_kernelINS0_14default_configENS1_29reduce_by_key_config_selectorIffN6thrust23THRUST_200600_302600_NS4plusIfEEEEZZNS1_33reduce_by_key_impl_wrapped_configILNS1_25lookback_scan_determinismE0ES3_S9_NS6_6detail15normal_iteratorINS6_10device_ptrIfEEEESG_SG_SG_PmS8_NS6_8equal_toIfEEEE10hipError_tPvRmT2_T3_mT4_T5_T6_T7_T8_P12ihipStream_tbENKUlT_T0_E_clISt17integral_constantIbLb1EES10_IbLb0EEEEDaSW_SX_EUlSW_E_NS1_11comp_targetILNS1_3genE4ELNS1_11target_archE910ELNS1_3gpuE8ELNS1_3repE0EEENS1_30default_config_static_selectorELNS0_4arch9wavefront6targetE1EEEvT1_
                                        ; -- End function
	.section	.AMDGPU.csdata,"",@progbits
; Kernel info:
; codeLenInByte = 17576
; NumSgprs: 68
; NumVgprs: 106
; NumAgprs: 0
; TotalNumVgprs: 106
; ScratchSize: 0
; MemoryBound: 0
; FloatMode: 240
; IeeeMode: 1
; LDSByteSize: 15360 bytes/workgroup (compile time only)
; SGPRBlocks: 8
; VGPRBlocks: 13
; NumSGPRsForWavesPerEU: 68
; NumVGPRsForWavesPerEU: 106
; AccumOffset: 108
; Occupancy: 4
; WaveLimiterHint : 1
; COMPUTE_PGM_RSRC2:SCRATCH_EN: 0
; COMPUTE_PGM_RSRC2:USER_SGPR: 6
; COMPUTE_PGM_RSRC2:TRAP_HANDLER: 0
; COMPUTE_PGM_RSRC2:TGID_X_EN: 1
; COMPUTE_PGM_RSRC2:TGID_Y_EN: 0
; COMPUTE_PGM_RSRC2:TGID_Z_EN: 0
; COMPUTE_PGM_RSRC2:TIDIG_COMP_CNT: 0
; COMPUTE_PGM_RSRC3_GFX90A:ACCUM_OFFSET: 26
; COMPUTE_PGM_RSRC3_GFX90A:TG_SPLIT: 0
	.section	.text._ZN7rocprim17ROCPRIM_400000_NS6detail17trampoline_kernelINS0_14default_configENS1_29reduce_by_key_config_selectorIffN6thrust23THRUST_200600_302600_NS4plusIfEEEEZZNS1_33reduce_by_key_impl_wrapped_configILNS1_25lookback_scan_determinismE0ES3_S9_NS6_6detail15normal_iteratorINS6_10device_ptrIfEEEESG_SG_SG_PmS8_NS6_8equal_toIfEEEE10hipError_tPvRmT2_T3_mT4_T5_T6_T7_T8_P12ihipStream_tbENKUlT_T0_E_clISt17integral_constantIbLb1EES10_IbLb0EEEEDaSW_SX_EUlSW_E_NS1_11comp_targetILNS1_3genE3ELNS1_11target_archE908ELNS1_3gpuE7ELNS1_3repE0EEENS1_30default_config_static_selectorELNS0_4arch9wavefront6targetE1EEEvT1_,"axG",@progbits,_ZN7rocprim17ROCPRIM_400000_NS6detail17trampoline_kernelINS0_14default_configENS1_29reduce_by_key_config_selectorIffN6thrust23THRUST_200600_302600_NS4plusIfEEEEZZNS1_33reduce_by_key_impl_wrapped_configILNS1_25lookback_scan_determinismE0ES3_S9_NS6_6detail15normal_iteratorINS6_10device_ptrIfEEEESG_SG_SG_PmS8_NS6_8equal_toIfEEEE10hipError_tPvRmT2_T3_mT4_T5_T6_T7_T8_P12ihipStream_tbENKUlT_T0_E_clISt17integral_constantIbLb1EES10_IbLb0EEEEDaSW_SX_EUlSW_E_NS1_11comp_targetILNS1_3genE3ELNS1_11target_archE908ELNS1_3gpuE7ELNS1_3repE0EEENS1_30default_config_static_selectorELNS0_4arch9wavefront6targetE1EEEvT1_,comdat
	.protected	_ZN7rocprim17ROCPRIM_400000_NS6detail17trampoline_kernelINS0_14default_configENS1_29reduce_by_key_config_selectorIffN6thrust23THRUST_200600_302600_NS4plusIfEEEEZZNS1_33reduce_by_key_impl_wrapped_configILNS1_25lookback_scan_determinismE0ES3_S9_NS6_6detail15normal_iteratorINS6_10device_ptrIfEEEESG_SG_SG_PmS8_NS6_8equal_toIfEEEE10hipError_tPvRmT2_T3_mT4_T5_T6_T7_T8_P12ihipStream_tbENKUlT_T0_E_clISt17integral_constantIbLb1EES10_IbLb0EEEEDaSW_SX_EUlSW_E_NS1_11comp_targetILNS1_3genE3ELNS1_11target_archE908ELNS1_3gpuE7ELNS1_3repE0EEENS1_30default_config_static_selectorELNS0_4arch9wavefront6targetE1EEEvT1_ ; -- Begin function _ZN7rocprim17ROCPRIM_400000_NS6detail17trampoline_kernelINS0_14default_configENS1_29reduce_by_key_config_selectorIffN6thrust23THRUST_200600_302600_NS4plusIfEEEEZZNS1_33reduce_by_key_impl_wrapped_configILNS1_25lookback_scan_determinismE0ES3_S9_NS6_6detail15normal_iteratorINS6_10device_ptrIfEEEESG_SG_SG_PmS8_NS6_8equal_toIfEEEE10hipError_tPvRmT2_T3_mT4_T5_T6_T7_T8_P12ihipStream_tbENKUlT_T0_E_clISt17integral_constantIbLb1EES10_IbLb0EEEEDaSW_SX_EUlSW_E_NS1_11comp_targetILNS1_3genE3ELNS1_11target_archE908ELNS1_3gpuE7ELNS1_3repE0EEENS1_30default_config_static_selectorELNS0_4arch9wavefront6targetE1EEEvT1_
	.globl	_ZN7rocprim17ROCPRIM_400000_NS6detail17trampoline_kernelINS0_14default_configENS1_29reduce_by_key_config_selectorIffN6thrust23THRUST_200600_302600_NS4plusIfEEEEZZNS1_33reduce_by_key_impl_wrapped_configILNS1_25lookback_scan_determinismE0ES3_S9_NS6_6detail15normal_iteratorINS6_10device_ptrIfEEEESG_SG_SG_PmS8_NS6_8equal_toIfEEEE10hipError_tPvRmT2_T3_mT4_T5_T6_T7_T8_P12ihipStream_tbENKUlT_T0_E_clISt17integral_constantIbLb1EES10_IbLb0EEEEDaSW_SX_EUlSW_E_NS1_11comp_targetILNS1_3genE3ELNS1_11target_archE908ELNS1_3gpuE7ELNS1_3repE0EEENS1_30default_config_static_selectorELNS0_4arch9wavefront6targetE1EEEvT1_
	.p2align	8
	.type	_ZN7rocprim17ROCPRIM_400000_NS6detail17trampoline_kernelINS0_14default_configENS1_29reduce_by_key_config_selectorIffN6thrust23THRUST_200600_302600_NS4plusIfEEEEZZNS1_33reduce_by_key_impl_wrapped_configILNS1_25lookback_scan_determinismE0ES3_S9_NS6_6detail15normal_iteratorINS6_10device_ptrIfEEEESG_SG_SG_PmS8_NS6_8equal_toIfEEEE10hipError_tPvRmT2_T3_mT4_T5_T6_T7_T8_P12ihipStream_tbENKUlT_T0_E_clISt17integral_constantIbLb1EES10_IbLb0EEEEDaSW_SX_EUlSW_E_NS1_11comp_targetILNS1_3genE3ELNS1_11target_archE908ELNS1_3gpuE7ELNS1_3repE0EEENS1_30default_config_static_selectorELNS0_4arch9wavefront6targetE1EEEvT1_,@function
_ZN7rocprim17ROCPRIM_400000_NS6detail17trampoline_kernelINS0_14default_configENS1_29reduce_by_key_config_selectorIffN6thrust23THRUST_200600_302600_NS4plusIfEEEEZZNS1_33reduce_by_key_impl_wrapped_configILNS1_25lookback_scan_determinismE0ES3_S9_NS6_6detail15normal_iteratorINS6_10device_ptrIfEEEESG_SG_SG_PmS8_NS6_8equal_toIfEEEE10hipError_tPvRmT2_T3_mT4_T5_T6_T7_T8_P12ihipStream_tbENKUlT_T0_E_clISt17integral_constantIbLb1EES10_IbLb0EEEEDaSW_SX_EUlSW_E_NS1_11comp_targetILNS1_3genE3ELNS1_11target_archE908ELNS1_3gpuE7ELNS1_3repE0EEENS1_30default_config_static_selectorELNS0_4arch9wavefront6targetE1EEEvT1_: ; @_ZN7rocprim17ROCPRIM_400000_NS6detail17trampoline_kernelINS0_14default_configENS1_29reduce_by_key_config_selectorIffN6thrust23THRUST_200600_302600_NS4plusIfEEEEZZNS1_33reduce_by_key_impl_wrapped_configILNS1_25lookback_scan_determinismE0ES3_S9_NS6_6detail15normal_iteratorINS6_10device_ptrIfEEEESG_SG_SG_PmS8_NS6_8equal_toIfEEEE10hipError_tPvRmT2_T3_mT4_T5_T6_T7_T8_P12ihipStream_tbENKUlT_T0_E_clISt17integral_constantIbLb1EES10_IbLb0EEEEDaSW_SX_EUlSW_E_NS1_11comp_targetILNS1_3genE3ELNS1_11target_archE908ELNS1_3gpuE7ELNS1_3repE0EEENS1_30default_config_static_selectorELNS0_4arch9wavefront6targetE1EEEvT1_
; %bb.0:
	.section	.rodata,"a",@progbits
	.p2align	6, 0x0
	.amdhsa_kernel _ZN7rocprim17ROCPRIM_400000_NS6detail17trampoline_kernelINS0_14default_configENS1_29reduce_by_key_config_selectorIffN6thrust23THRUST_200600_302600_NS4plusIfEEEEZZNS1_33reduce_by_key_impl_wrapped_configILNS1_25lookback_scan_determinismE0ES3_S9_NS6_6detail15normal_iteratorINS6_10device_ptrIfEEEESG_SG_SG_PmS8_NS6_8equal_toIfEEEE10hipError_tPvRmT2_T3_mT4_T5_T6_T7_T8_P12ihipStream_tbENKUlT_T0_E_clISt17integral_constantIbLb1EES10_IbLb0EEEEDaSW_SX_EUlSW_E_NS1_11comp_targetILNS1_3genE3ELNS1_11target_archE908ELNS1_3gpuE7ELNS1_3repE0EEENS1_30default_config_static_selectorELNS0_4arch9wavefront6targetE1EEEvT1_
		.amdhsa_group_segment_fixed_size 0
		.amdhsa_private_segment_fixed_size 0
		.amdhsa_kernarg_size 120
		.amdhsa_user_sgpr_count 6
		.amdhsa_user_sgpr_private_segment_buffer 1
		.amdhsa_user_sgpr_dispatch_ptr 0
		.amdhsa_user_sgpr_queue_ptr 0
		.amdhsa_user_sgpr_kernarg_segment_ptr 1
		.amdhsa_user_sgpr_dispatch_id 0
		.amdhsa_user_sgpr_flat_scratch_init 0
		.amdhsa_user_sgpr_kernarg_preload_length 0
		.amdhsa_user_sgpr_kernarg_preload_offset 0
		.amdhsa_user_sgpr_private_segment_size 0
		.amdhsa_uses_dynamic_stack 0
		.amdhsa_system_sgpr_private_segment_wavefront_offset 0
		.amdhsa_system_sgpr_workgroup_id_x 1
		.amdhsa_system_sgpr_workgroup_id_y 0
		.amdhsa_system_sgpr_workgroup_id_z 0
		.amdhsa_system_sgpr_workgroup_info 0
		.amdhsa_system_vgpr_workitem_id 0
		.amdhsa_next_free_vgpr 1
		.amdhsa_next_free_sgpr 0
		.amdhsa_accum_offset 4
		.amdhsa_reserve_vcc 0
		.amdhsa_reserve_flat_scratch 0
		.amdhsa_float_round_mode_32 0
		.amdhsa_float_round_mode_16_64 0
		.amdhsa_float_denorm_mode_32 3
		.amdhsa_float_denorm_mode_16_64 3
		.amdhsa_dx10_clamp 1
		.amdhsa_ieee_mode 1
		.amdhsa_fp16_overflow 0
		.amdhsa_tg_split 0
		.amdhsa_exception_fp_ieee_invalid_op 0
		.amdhsa_exception_fp_denorm_src 0
		.amdhsa_exception_fp_ieee_div_zero 0
		.amdhsa_exception_fp_ieee_overflow 0
		.amdhsa_exception_fp_ieee_underflow 0
		.amdhsa_exception_fp_ieee_inexact 0
		.amdhsa_exception_int_div_zero 0
	.end_amdhsa_kernel
	.section	.text._ZN7rocprim17ROCPRIM_400000_NS6detail17trampoline_kernelINS0_14default_configENS1_29reduce_by_key_config_selectorIffN6thrust23THRUST_200600_302600_NS4plusIfEEEEZZNS1_33reduce_by_key_impl_wrapped_configILNS1_25lookback_scan_determinismE0ES3_S9_NS6_6detail15normal_iteratorINS6_10device_ptrIfEEEESG_SG_SG_PmS8_NS6_8equal_toIfEEEE10hipError_tPvRmT2_T3_mT4_T5_T6_T7_T8_P12ihipStream_tbENKUlT_T0_E_clISt17integral_constantIbLb1EES10_IbLb0EEEEDaSW_SX_EUlSW_E_NS1_11comp_targetILNS1_3genE3ELNS1_11target_archE908ELNS1_3gpuE7ELNS1_3repE0EEENS1_30default_config_static_selectorELNS0_4arch9wavefront6targetE1EEEvT1_,"axG",@progbits,_ZN7rocprim17ROCPRIM_400000_NS6detail17trampoline_kernelINS0_14default_configENS1_29reduce_by_key_config_selectorIffN6thrust23THRUST_200600_302600_NS4plusIfEEEEZZNS1_33reduce_by_key_impl_wrapped_configILNS1_25lookback_scan_determinismE0ES3_S9_NS6_6detail15normal_iteratorINS6_10device_ptrIfEEEESG_SG_SG_PmS8_NS6_8equal_toIfEEEE10hipError_tPvRmT2_T3_mT4_T5_T6_T7_T8_P12ihipStream_tbENKUlT_T0_E_clISt17integral_constantIbLb1EES10_IbLb0EEEEDaSW_SX_EUlSW_E_NS1_11comp_targetILNS1_3genE3ELNS1_11target_archE908ELNS1_3gpuE7ELNS1_3repE0EEENS1_30default_config_static_selectorELNS0_4arch9wavefront6targetE1EEEvT1_,comdat
.Lfunc_end185:
	.size	_ZN7rocprim17ROCPRIM_400000_NS6detail17trampoline_kernelINS0_14default_configENS1_29reduce_by_key_config_selectorIffN6thrust23THRUST_200600_302600_NS4plusIfEEEEZZNS1_33reduce_by_key_impl_wrapped_configILNS1_25lookback_scan_determinismE0ES3_S9_NS6_6detail15normal_iteratorINS6_10device_ptrIfEEEESG_SG_SG_PmS8_NS6_8equal_toIfEEEE10hipError_tPvRmT2_T3_mT4_T5_T6_T7_T8_P12ihipStream_tbENKUlT_T0_E_clISt17integral_constantIbLb1EES10_IbLb0EEEEDaSW_SX_EUlSW_E_NS1_11comp_targetILNS1_3genE3ELNS1_11target_archE908ELNS1_3gpuE7ELNS1_3repE0EEENS1_30default_config_static_selectorELNS0_4arch9wavefront6targetE1EEEvT1_, .Lfunc_end185-_ZN7rocprim17ROCPRIM_400000_NS6detail17trampoline_kernelINS0_14default_configENS1_29reduce_by_key_config_selectorIffN6thrust23THRUST_200600_302600_NS4plusIfEEEEZZNS1_33reduce_by_key_impl_wrapped_configILNS1_25lookback_scan_determinismE0ES3_S9_NS6_6detail15normal_iteratorINS6_10device_ptrIfEEEESG_SG_SG_PmS8_NS6_8equal_toIfEEEE10hipError_tPvRmT2_T3_mT4_T5_T6_T7_T8_P12ihipStream_tbENKUlT_T0_E_clISt17integral_constantIbLb1EES10_IbLb0EEEEDaSW_SX_EUlSW_E_NS1_11comp_targetILNS1_3genE3ELNS1_11target_archE908ELNS1_3gpuE7ELNS1_3repE0EEENS1_30default_config_static_selectorELNS0_4arch9wavefront6targetE1EEEvT1_
                                        ; -- End function
	.section	.AMDGPU.csdata,"",@progbits
; Kernel info:
; codeLenInByte = 0
; NumSgprs: 4
; NumVgprs: 0
; NumAgprs: 0
; TotalNumVgprs: 0
; ScratchSize: 0
; MemoryBound: 0
; FloatMode: 240
; IeeeMode: 1
; LDSByteSize: 0 bytes/workgroup (compile time only)
; SGPRBlocks: 0
; VGPRBlocks: 0
; NumSGPRsForWavesPerEU: 4
; NumVGPRsForWavesPerEU: 1
; AccumOffset: 4
; Occupancy: 8
; WaveLimiterHint : 0
; COMPUTE_PGM_RSRC2:SCRATCH_EN: 0
; COMPUTE_PGM_RSRC2:USER_SGPR: 6
; COMPUTE_PGM_RSRC2:TRAP_HANDLER: 0
; COMPUTE_PGM_RSRC2:TGID_X_EN: 1
; COMPUTE_PGM_RSRC2:TGID_Y_EN: 0
; COMPUTE_PGM_RSRC2:TGID_Z_EN: 0
; COMPUTE_PGM_RSRC2:TIDIG_COMP_CNT: 0
; COMPUTE_PGM_RSRC3_GFX90A:ACCUM_OFFSET: 0
; COMPUTE_PGM_RSRC3_GFX90A:TG_SPLIT: 0
	.section	.text._ZN7rocprim17ROCPRIM_400000_NS6detail17trampoline_kernelINS0_14default_configENS1_29reduce_by_key_config_selectorIffN6thrust23THRUST_200600_302600_NS4plusIfEEEEZZNS1_33reduce_by_key_impl_wrapped_configILNS1_25lookback_scan_determinismE0ES3_S9_NS6_6detail15normal_iteratorINS6_10device_ptrIfEEEESG_SG_SG_PmS8_NS6_8equal_toIfEEEE10hipError_tPvRmT2_T3_mT4_T5_T6_T7_T8_P12ihipStream_tbENKUlT_T0_E_clISt17integral_constantIbLb1EES10_IbLb0EEEEDaSW_SX_EUlSW_E_NS1_11comp_targetILNS1_3genE2ELNS1_11target_archE906ELNS1_3gpuE6ELNS1_3repE0EEENS1_30default_config_static_selectorELNS0_4arch9wavefront6targetE1EEEvT1_,"axG",@progbits,_ZN7rocprim17ROCPRIM_400000_NS6detail17trampoline_kernelINS0_14default_configENS1_29reduce_by_key_config_selectorIffN6thrust23THRUST_200600_302600_NS4plusIfEEEEZZNS1_33reduce_by_key_impl_wrapped_configILNS1_25lookback_scan_determinismE0ES3_S9_NS6_6detail15normal_iteratorINS6_10device_ptrIfEEEESG_SG_SG_PmS8_NS6_8equal_toIfEEEE10hipError_tPvRmT2_T3_mT4_T5_T6_T7_T8_P12ihipStream_tbENKUlT_T0_E_clISt17integral_constantIbLb1EES10_IbLb0EEEEDaSW_SX_EUlSW_E_NS1_11comp_targetILNS1_3genE2ELNS1_11target_archE906ELNS1_3gpuE6ELNS1_3repE0EEENS1_30default_config_static_selectorELNS0_4arch9wavefront6targetE1EEEvT1_,comdat
	.protected	_ZN7rocprim17ROCPRIM_400000_NS6detail17trampoline_kernelINS0_14default_configENS1_29reduce_by_key_config_selectorIffN6thrust23THRUST_200600_302600_NS4plusIfEEEEZZNS1_33reduce_by_key_impl_wrapped_configILNS1_25lookback_scan_determinismE0ES3_S9_NS6_6detail15normal_iteratorINS6_10device_ptrIfEEEESG_SG_SG_PmS8_NS6_8equal_toIfEEEE10hipError_tPvRmT2_T3_mT4_T5_T6_T7_T8_P12ihipStream_tbENKUlT_T0_E_clISt17integral_constantIbLb1EES10_IbLb0EEEEDaSW_SX_EUlSW_E_NS1_11comp_targetILNS1_3genE2ELNS1_11target_archE906ELNS1_3gpuE6ELNS1_3repE0EEENS1_30default_config_static_selectorELNS0_4arch9wavefront6targetE1EEEvT1_ ; -- Begin function _ZN7rocprim17ROCPRIM_400000_NS6detail17trampoline_kernelINS0_14default_configENS1_29reduce_by_key_config_selectorIffN6thrust23THRUST_200600_302600_NS4plusIfEEEEZZNS1_33reduce_by_key_impl_wrapped_configILNS1_25lookback_scan_determinismE0ES3_S9_NS6_6detail15normal_iteratorINS6_10device_ptrIfEEEESG_SG_SG_PmS8_NS6_8equal_toIfEEEE10hipError_tPvRmT2_T3_mT4_T5_T6_T7_T8_P12ihipStream_tbENKUlT_T0_E_clISt17integral_constantIbLb1EES10_IbLb0EEEEDaSW_SX_EUlSW_E_NS1_11comp_targetILNS1_3genE2ELNS1_11target_archE906ELNS1_3gpuE6ELNS1_3repE0EEENS1_30default_config_static_selectorELNS0_4arch9wavefront6targetE1EEEvT1_
	.globl	_ZN7rocprim17ROCPRIM_400000_NS6detail17trampoline_kernelINS0_14default_configENS1_29reduce_by_key_config_selectorIffN6thrust23THRUST_200600_302600_NS4plusIfEEEEZZNS1_33reduce_by_key_impl_wrapped_configILNS1_25lookback_scan_determinismE0ES3_S9_NS6_6detail15normal_iteratorINS6_10device_ptrIfEEEESG_SG_SG_PmS8_NS6_8equal_toIfEEEE10hipError_tPvRmT2_T3_mT4_T5_T6_T7_T8_P12ihipStream_tbENKUlT_T0_E_clISt17integral_constantIbLb1EES10_IbLb0EEEEDaSW_SX_EUlSW_E_NS1_11comp_targetILNS1_3genE2ELNS1_11target_archE906ELNS1_3gpuE6ELNS1_3repE0EEENS1_30default_config_static_selectorELNS0_4arch9wavefront6targetE1EEEvT1_
	.p2align	8
	.type	_ZN7rocprim17ROCPRIM_400000_NS6detail17trampoline_kernelINS0_14default_configENS1_29reduce_by_key_config_selectorIffN6thrust23THRUST_200600_302600_NS4plusIfEEEEZZNS1_33reduce_by_key_impl_wrapped_configILNS1_25lookback_scan_determinismE0ES3_S9_NS6_6detail15normal_iteratorINS6_10device_ptrIfEEEESG_SG_SG_PmS8_NS6_8equal_toIfEEEE10hipError_tPvRmT2_T3_mT4_T5_T6_T7_T8_P12ihipStream_tbENKUlT_T0_E_clISt17integral_constantIbLb1EES10_IbLb0EEEEDaSW_SX_EUlSW_E_NS1_11comp_targetILNS1_3genE2ELNS1_11target_archE906ELNS1_3gpuE6ELNS1_3repE0EEENS1_30default_config_static_selectorELNS0_4arch9wavefront6targetE1EEEvT1_,@function
_ZN7rocprim17ROCPRIM_400000_NS6detail17trampoline_kernelINS0_14default_configENS1_29reduce_by_key_config_selectorIffN6thrust23THRUST_200600_302600_NS4plusIfEEEEZZNS1_33reduce_by_key_impl_wrapped_configILNS1_25lookback_scan_determinismE0ES3_S9_NS6_6detail15normal_iteratorINS6_10device_ptrIfEEEESG_SG_SG_PmS8_NS6_8equal_toIfEEEE10hipError_tPvRmT2_T3_mT4_T5_T6_T7_T8_P12ihipStream_tbENKUlT_T0_E_clISt17integral_constantIbLb1EES10_IbLb0EEEEDaSW_SX_EUlSW_E_NS1_11comp_targetILNS1_3genE2ELNS1_11target_archE906ELNS1_3gpuE6ELNS1_3repE0EEENS1_30default_config_static_selectorELNS0_4arch9wavefront6targetE1EEEvT1_: ; @_ZN7rocprim17ROCPRIM_400000_NS6detail17trampoline_kernelINS0_14default_configENS1_29reduce_by_key_config_selectorIffN6thrust23THRUST_200600_302600_NS4plusIfEEEEZZNS1_33reduce_by_key_impl_wrapped_configILNS1_25lookback_scan_determinismE0ES3_S9_NS6_6detail15normal_iteratorINS6_10device_ptrIfEEEESG_SG_SG_PmS8_NS6_8equal_toIfEEEE10hipError_tPvRmT2_T3_mT4_T5_T6_T7_T8_P12ihipStream_tbENKUlT_T0_E_clISt17integral_constantIbLb1EES10_IbLb0EEEEDaSW_SX_EUlSW_E_NS1_11comp_targetILNS1_3genE2ELNS1_11target_archE906ELNS1_3gpuE6ELNS1_3repE0EEENS1_30default_config_static_selectorELNS0_4arch9wavefront6targetE1EEEvT1_
; %bb.0:
	.section	.rodata,"a",@progbits
	.p2align	6, 0x0
	.amdhsa_kernel _ZN7rocprim17ROCPRIM_400000_NS6detail17trampoline_kernelINS0_14default_configENS1_29reduce_by_key_config_selectorIffN6thrust23THRUST_200600_302600_NS4plusIfEEEEZZNS1_33reduce_by_key_impl_wrapped_configILNS1_25lookback_scan_determinismE0ES3_S9_NS6_6detail15normal_iteratorINS6_10device_ptrIfEEEESG_SG_SG_PmS8_NS6_8equal_toIfEEEE10hipError_tPvRmT2_T3_mT4_T5_T6_T7_T8_P12ihipStream_tbENKUlT_T0_E_clISt17integral_constantIbLb1EES10_IbLb0EEEEDaSW_SX_EUlSW_E_NS1_11comp_targetILNS1_3genE2ELNS1_11target_archE906ELNS1_3gpuE6ELNS1_3repE0EEENS1_30default_config_static_selectorELNS0_4arch9wavefront6targetE1EEEvT1_
		.amdhsa_group_segment_fixed_size 0
		.amdhsa_private_segment_fixed_size 0
		.amdhsa_kernarg_size 120
		.amdhsa_user_sgpr_count 6
		.amdhsa_user_sgpr_private_segment_buffer 1
		.amdhsa_user_sgpr_dispatch_ptr 0
		.amdhsa_user_sgpr_queue_ptr 0
		.amdhsa_user_sgpr_kernarg_segment_ptr 1
		.amdhsa_user_sgpr_dispatch_id 0
		.amdhsa_user_sgpr_flat_scratch_init 0
		.amdhsa_user_sgpr_kernarg_preload_length 0
		.amdhsa_user_sgpr_kernarg_preload_offset 0
		.amdhsa_user_sgpr_private_segment_size 0
		.amdhsa_uses_dynamic_stack 0
		.amdhsa_system_sgpr_private_segment_wavefront_offset 0
		.amdhsa_system_sgpr_workgroup_id_x 1
		.amdhsa_system_sgpr_workgroup_id_y 0
		.amdhsa_system_sgpr_workgroup_id_z 0
		.amdhsa_system_sgpr_workgroup_info 0
		.amdhsa_system_vgpr_workitem_id 0
		.amdhsa_next_free_vgpr 1
		.amdhsa_next_free_sgpr 0
		.amdhsa_accum_offset 4
		.amdhsa_reserve_vcc 0
		.amdhsa_reserve_flat_scratch 0
		.amdhsa_float_round_mode_32 0
		.amdhsa_float_round_mode_16_64 0
		.amdhsa_float_denorm_mode_32 3
		.amdhsa_float_denorm_mode_16_64 3
		.amdhsa_dx10_clamp 1
		.amdhsa_ieee_mode 1
		.amdhsa_fp16_overflow 0
		.amdhsa_tg_split 0
		.amdhsa_exception_fp_ieee_invalid_op 0
		.amdhsa_exception_fp_denorm_src 0
		.amdhsa_exception_fp_ieee_div_zero 0
		.amdhsa_exception_fp_ieee_overflow 0
		.amdhsa_exception_fp_ieee_underflow 0
		.amdhsa_exception_fp_ieee_inexact 0
		.amdhsa_exception_int_div_zero 0
	.end_amdhsa_kernel
	.section	.text._ZN7rocprim17ROCPRIM_400000_NS6detail17trampoline_kernelINS0_14default_configENS1_29reduce_by_key_config_selectorIffN6thrust23THRUST_200600_302600_NS4plusIfEEEEZZNS1_33reduce_by_key_impl_wrapped_configILNS1_25lookback_scan_determinismE0ES3_S9_NS6_6detail15normal_iteratorINS6_10device_ptrIfEEEESG_SG_SG_PmS8_NS6_8equal_toIfEEEE10hipError_tPvRmT2_T3_mT4_T5_T6_T7_T8_P12ihipStream_tbENKUlT_T0_E_clISt17integral_constantIbLb1EES10_IbLb0EEEEDaSW_SX_EUlSW_E_NS1_11comp_targetILNS1_3genE2ELNS1_11target_archE906ELNS1_3gpuE6ELNS1_3repE0EEENS1_30default_config_static_selectorELNS0_4arch9wavefront6targetE1EEEvT1_,"axG",@progbits,_ZN7rocprim17ROCPRIM_400000_NS6detail17trampoline_kernelINS0_14default_configENS1_29reduce_by_key_config_selectorIffN6thrust23THRUST_200600_302600_NS4plusIfEEEEZZNS1_33reduce_by_key_impl_wrapped_configILNS1_25lookback_scan_determinismE0ES3_S9_NS6_6detail15normal_iteratorINS6_10device_ptrIfEEEESG_SG_SG_PmS8_NS6_8equal_toIfEEEE10hipError_tPvRmT2_T3_mT4_T5_T6_T7_T8_P12ihipStream_tbENKUlT_T0_E_clISt17integral_constantIbLb1EES10_IbLb0EEEEDaSW_SX_EUlSW_E_NS1_11comp_targetILNS1_3genE2ELNS1_11target_archE906ELNS1_3gpuE6ELNS1_3repE0EEENS1_30default_config_static_selectorELNS0_4arch9wavefront6targetE1EEEvT1_,comdat
.Lfunc_end186:
	.size	_ZN7rocprim17ROCPRIM_400000_NS6detail17trampoline_kernelINS0_14default_configENS1_29reduce_by_key_config_selectorIffN6thrust23THRUST_200600_302600_NS4plusIfEEEEZZNS1_33reduce_by_key_impl_wrapped_configILNS1_25lookback_scan_determinismE0ES3_S9_NS6_6detail15normal_iteratorINS6_10device_ptrIfEEEESG_SG_SG_PmS8_NS6_8equal_toIfEEEE10hipError_tPvRmT2_T3_mT4_T5_T6_T7_T8_P12ihipStream_tbENKUlT_T0_E_clISt17integral_constantIbLb1EES10_IbLb0EEEEDaSW_SX_EUlSW_E_NS1_11comp_targetILNS1_3genE2ELNS1_11target_archE906ELNS1_3gpuE6ELNS1_3repE0EEENS1_30default_config_static_selectorELNS0_4arch9wavefront6targetE1EEEvT1_, .Lfunc_end186-_ZN7rocprim17ROCPRIM_400000_NS6detail17trampoline_kernelINS0_14default_configENS1_29reduce_by_key_config_selectorIffN6thrust23THRUST_200600_302600_NS4plusIfEEEEZZNS1_33reduce_by_key_impl_wrapped_configILNS1_25lookback_scan_determinismE0ES3_S9_NS6_6detail15normal_iteratorINS6_10device_ptrIfEEEESG_SG_SG_PmS8_NS6_8equal_toIfEEEE10hipError_tPvRmT2_T3_mT4_T5_T6_T7_T8_P12ihipStream_tbENKUlT_T0_E_clISt17integral_constantIbLb1EES10_IbLb0EEEEDaSW_SX_EUlSW_E_NS1_11comp_targetILNS1_3genE2ELNS1_11target_archE906ELNS1_3gpuE6ELNS1_3repE0EEENS1_30default_config_static_selectorELNS0_4arch9wavefront6targetE1EEEvT1_
                                        ; -- End function
	.section	.AMDGPU.csdata,"",@progbits
; Kernel info:
; codeLenInByte = 0
; NumSgprs: 4
; NumVgprs: 0
; NumAgprs: 0
; TotalNumVgprs: 0
; ScratchSize: 0
; MemoryBound: 0
; FloatMode: 240
; IeeeMode: 1
; LDSByteSize: 0 bytes/workgroup (compile time only)
; SGPRBlocks: 0
; VGPRBlocks: 0
; NumSGPRsForWavesPerEU: 4
; NumVGPRsForWavesPerEU: 1
; AccumOffset: 4
; Occupancy: 8
; WaveLimiterHint : 0
; COMPUTE_PGM_RSRC2:SCRATCH_EN: 0
; COMPUTE_PGM_RSRC2:USER_SGPR: 6
; COMPUTE_PGM_RSRC2:TRAP_HANDLER: 0
; COMPUTE_PGM_RSRC2:TGID_X_EN: 1
; COMPUTE_PGM_RSRC2:TGID_Y_EN: 0
; COMPUTE_PGM_RSRC2:TGID_Z_EN: 0
; COMPUTE_PGM_RSRC2:TIDIG_COMP_CNT: 0
; COMPUTE_PGM_RSRC3_GFX90A:ACCUM_OFFSET: 0
; COMPUTE_PGM_RSRC3_GFX90A:TG_SPLIT: 0
	.section	.text._ZN7rocprim17ROCPRIM_400000_NS6detail17trampoline_kernelINS0_14default_configENS1_29reduce_by_key_config_selectorIffN6thrust23THRUST_200600_302600_NS4plusIfEEEEZZNS1_33reduce_by_key_impl_wrapped_configILNS1_25lookback_scan_determinismE0ES3_S9_NS6_6detail15normal_iteratorINS6_10device_ptrIfEEEESG_SG_SG_PmS8_NS6_8equal_toIfEEEE10hipError_tPvRmT2_T3_mT4_T5_T6_T7_T8_P12ihipStream_tbENKUlT_T0_E_clISt17integral_constantIbLb1EES10_IbLb0EEEEDaSW_SX_EUlSW_E_NS1_11comp_targetILNS1_3genE10ELNS1_11target_archE1201ELNS1_3gpuE5ELNS1_3repE0EEENS1_30default_config_static_selectorELNS0_4arch9wavefront6targetE1EEEvT1_,"axG",@progbits,_ZN7rocprim17ROCPRIM_400000_NS6detail17trampoline_kernelINS0_14default_configENS1_29reduce_by_key_config_selectorIffN6thrust23THRUST_200600_302600_NS4plusIfEEEEZZNS1_33reduce_by_key_impl_wrapped_configILNS1_25lookback_scan_determinismE0ES3_S9_NS6_6detail15normal_iteratorINS6_10device_ptrIfEEEESG_SG_SG_PmS8_NS6_8equal_toIfEEEE10hipError_tPvRmT2_T3_mT4_T5_T6_T7_T8_P12ihipStream_tbENKUlT_T0_E_clISt17integral_constantIbLb1EES10_IbLb0EEEEDaSW_SX_EUlSW_E_NS1_11comp_targetILNS1_3genE10ELNS1_11target_archE1201ELNS1_3gpuE5ELNS1_3repE0EEENS1_30default_config_static_selectorELNS0_4arch9wavefront6targetE1EEEvT1_,comdat
	.protected	_ZN7rocprim17ROCPRIM_400000_NS6detail17trampoline_kernelINS0_14default_configENS1_29reduce_by_key_config_selectorIffN6thrust23THRUST_200600_302600_NS4plusIfEEEEZZNS1_33reduce_by_key_impl_wrapped_configILNS1_25lookback_scan_determinismE0ES3_S9_NS6_6detail15normal_iteratorINS6_10device_ptrIfEEEESG_SG_SG_PmS8_NS6_8equal_toIfEEEE10hipError_tPvRmT2_T3_mT4_T5_T6_T7_T8_P12ihipStream_tbENKUlT_T0_E_clISt17integral_constantIbLb1EES10_IbLb0EEEEDaSW_SX_EUlSW_E_NS1_11comp_targetILNS1_3genE10ELNS1_11target_archE1201ELNS1_3gpuE5ELNS1_3repE0EEENS1_30default_config_static_selectorELNS0_4arch9wavefront6targetE1EEEvT1_ ; -- Begin function _ZN7rocprim17ROCPRIM_400000_NS6detail17trampoline_kernelINS0_14default_configENS1_29reduce_by_key_config_selectorIffN6thrust23THRUST_200600_302600_NS4plusIfEEEEZZNS1_33reduce_by_key_impl_wrapped_configILNS1_25lookback_scan_determinismE0ES3_S9_NS6_6detail15normal_iteratorINS6_10device_ptrIfEEEESG_SG_SG_PmS8_NS6_8equal_toIfEEEE10hipError_tPvRmT2_T3_mT4_T5_T6_T7_T8_P12ihipStream_tbENKUlT_T0_E_clISt17integral_constantIbLb1EES10_IbLb0EEEEDaSW_SX_EUlSW_E_NS1_11comp_targetILNS1_3genE10ELNS1_11target_archE1201ELNS1_3gpuE5ELNS1_3repE0EEENS1_30default_config_static_selectorELNS0_4arch9wavefront6targetE1EEEvT1_
	.globl	_ZN7rocprim17ROCPRIM_400000_NS6detail17trampoline_kernelINS0_14default_configENS1_29reduce_by_key_config_selectorIffN6thrust23THRUST_200600_302600_NS4plusIfEEEEZZNS1_33reduce_by_key_impl_wrapped_configILNS1_25lookback_scan_determinismE0ES3_S9_NS6_6detail15normal_iteratorINS6_10device_ptrIfEEEESG_SG_SG_PmS8_NS6_8equal_toIfEEEE10hipError_tPvRmT2_T3_mT4_T5_T6_T7_T8_P12ihipStream_tbENKUlT_T0_E_clISt17integral_constantIbLb1EES10_IbLb0EEEEDaSW_SX_EUlSW_E_NS1_11comp_targetILNS1_3genE10ELNS1_11target_archE1201ELNS1_3gpuE5ELNS1_3repE0EEENS1_30default_config_static_selectorELNS0_4arch9wavefront6targetE1EEEvT1_
	.p2align	8
	.type	_ZN7rocprim17ROCPRIM_400000_NS6detail17trampoline_kernelINS0_14default_configENS1_29reduce_by_key_config_selectorIffN6thrust23THRUST_200600_302600_NS4plusIfEEEEZZNS1_33reduce_by_key_impl_wrapped_configILNS1_25lookback_scan_determinismE0ES3_S9_NS6_6detail15normal_iteratorINS6_10device_ptrIfEEEESG_SG_SG_PmS8_NS6_8equal_toIfEEEE10hipError_tPvRmT2_T3_mT4_T5_T6_T7_T8_P12ihipStream_tbENKUlT_T0_E_clISt17integral_constantIbLb1EES10_IbLb0EEEEDaSW_SX_EUlSW_E_NS1_11comp_targetILNS1_3genE10ELNS1_11target_archE1201ELNS1_3gpuE5ELNS1_3repE0EEENS1_30default_config_static_selectorELNS0_4arch9wavefront6targetE1EEEvT1_,@function
_ZN7rocprim17ROCPRIM_400000_NS6detail17trampoline_kernelINS0_14default_configENS1_29reduce_by_key_config_selectorIffN6thrust23THRUST_200600_302600_NS4plusIfEEEEZZNS1_33reduce_by_key_impl_wrapped_configILNS1_25lookback_scan_determinismE0ES3_S9_NS6_6detail15normal_iteratorINS6_10device_ptrIfEEEESG_SG_SG_PmS8_NS6_8equal_toIfEEEE10hipError_tPvRmT2_T3_mT4_T5_T6_T7_T8_P12ihipStream_tbENKUlT_T0_E_clISt17integral_constantIbLb1EES10_IbLb0EEEEDaSW_SX_EUlSW_E_NS1_11comp_targetILNS1_3genE10ELNS1_11target_archE1201ELNS1_3gpuE5ELNS1_3repE0EEENS1_30default_config_static_selectorELNS0_4arch9wavefront6targetE1EEEvT1_: ; @_ZN7rocprim17ROCPRIM_400000_NS6detail17trampoline_kernelINS0_14default_configENS1_29reduce_by_key_config_selectorIffN6thrust23THRUST_200600_302600_NS4plusIfEEEEZZNS1_33reduce_by_key_impl_wrapped_configILNS1_25lookback_scan_determinismE0ES3_S9_NS6_6detail15normal_iteratorINS6_10device_ptrIfEEEESG_SG_SG_PmS8_NS6_8equal_toIfEEEE10hipError_tPvRmT2_T3_mT4_T5_T6_T7_T8_P12ihipStream_tbENKUlT_T0_E_clISt17integral_constantIbLb1EES10_IbLb0EEEEDaSW_SX_EUlSW_E_NS1_11comp_targetILNS1_3genE10ELNS1_11target_archE1201ELNS1_3gpuE5ELNS1_3repE0EEENS1_30default_config_static_selectorELNS0_4arch9wavefront6targetE1EEEvT1_
; %bb.0:
	.section	.rodata,"a",@progbits
	.p2align	6, 0x0
	.amdhsa_kernel _ZN7rocprim17ROCPRIM_400000_NS6detail17trampoline_kernelINS0_14default_configENS1_29reduce_by_key_config_selectorIffN6thrust23THRUST_200600_302600_NS4plusIfEEEEZZNS1_33reduce_by_key_impl_wrapped_configILNS1_25lookback_scan_determinismE0ES3_S9_NS6_6detail15normal_iteratorINS6_10device_ptrIfEEEESG_SG_SG_PmS8_NS6_8equal_toIfEEEE10hipError_tPvRmT2_T3_mT4_T5_T6_T7_T8_P12ihipStream_tbENKUlT_T0_E_clISt17integral_constantIbLb1EES10_IbLb0EEEEDaSW_SX_EUlSW_E_NS1_11comp_targetILNS1_3genE10ELNS1_11target_archE1201ELNS1_3gpuE5ELNS1_3repE0EEENS1_30default_config_static_selectorELNS0_4arch9wavefront6targetE1EEEvT1_
		.amdhsa_group_segment_fixed_size 0
		.amdhsa_private_segment_fixed_size 0
		.amdhsa_kernarg_size 120
		.amdhsa_user_sgpr_count 6
		.amdhsa_user_sgpr_private_segment_buffer 1
		.amdhsa_user_sgpr_dispatch_ptr 0
		.amdhsa_user_sgpr_queue_ptr 0
		.amdhsa_user_sgpr_kernarg_segment_ptr 1
		.amdhsa_user_sgpr_dispatch_id 0
		.amdhsa_user_sgpr_flat_scratch_init 0
		.amdhsa_user_sgpr_kernarg_preload_length 0
		.amdhsa_user_sgpr_kernarg_preload_offset 0
		.amdhsa_user_sgpr_private_segment_size 0
		.amdhsa_uses_dynamic_stack 0
		.amdhsa_system_sgpr_private_segment_wavefront_offset 0
		.amdhsa_system_sgpr_workgroup_id_x 1
		.amdhsa_system_sgpr_workgroup_id_y 0
		.amdhsa_system_sgpr_workgroup_id_z 0
		.amdhsa_system_sgpr_workgroup_info 0
		.amdhsa_system_vgpr_workitem_id 0
		.amdhsa_next_free_vgpr 1
		.amdhsa_next_free_sgpr 0
		.amdhsa_accum_offset 4
		.amdhsa_reserve_vcc 0
		.amdhsa_reserve_flat_scratch 0
		.amdhsa_float_round_mode_32 0
		.amdhsa_float_round_mode_16_64 0
		.amdhsa_float_denorm_mode_32 3
		.amdhsa_float_denorm_mode_16_64 3
		.amdhsa_dx10_clamp 1
		.amdhsa_ieee_mode 1
		.amdhsa_fp16_overflow 0
		.amdhsa_tg_split 0
		.amdhsa_exception_fp_ieee_invalid_op 0
		.amdhsa_exception_fp_denorm_src 0
		.amdhsa_exception_fp_ieee_div_zero 0
		.amdhsa_exception_fp_ieee_overflow 0
		.amdhsa_exception_fp_ieee_underflow 0
		.amdhsa_exception_fp_ieee_inexact 0
		.amdhsa_exception_int_div_zero 0
	.end_amdhsa_kernel
	.section	.text._ZN7rocprim17ROCPRIM_400000_NS6detail17trampoline_kernelINS0_14default_configENS1_29reduce_by_key_config_selectorIffN6thrust23THRUST_200600_302600_NS4plusIfEEEEZZNS1_33reduce_by_key_impl_wrapped_configILNS1_25lookback_scan_determinismE0ES3_S9_NS6_6detail15normal_iteratorINS6_10device_ptrIfEEEESG_SG_SG_PmS8_NS6_8equal_toIfEEEE10hipError_tPvRmT2_T3_mT4_T5_T6_T7_T8_P12ihipStream_tbENKUlT_T0_E_clISt17integral_constantIbLb1EES10_IbLb0EEEEDaSW_SX_EUlSW_E_NS1_11comp_targetILNS1_3genE10ELNS1_11target_archE1201ELNS1_3gpuE5ELNS1_3repE0EEENS1_30default_config_static_selectorELNS0_4arch9wavefront6targetE1EEEvT1_,"axG",@progbits,_ZN7rocprim17ROCPRIM_400000_NS6detail17trampoline_kernelINS0_14default_configENS1_29reduce_by_key_config_selectorIffN6thrust23THRUST_200600_302600_NS4plusIfEEEEZZNS1_33reduce_by_key_impl_wrapped_configILNS1_25lookback_scan_determinismE0ES3_S9_NS6_6detail15normal_iteratorINS6_10device_ptrIfEEEESG_SG_SG_PmS8_NS6_8equal_toIfEEEE10hipError_tPvRmT2_T3_mT4_T5_T6_T7_T8_P12ihipStream_tbENKUlT_T0_E_clISt17integral_constantIbLb1EES10_IbLb0EEEEDaSW_SX_EUlSW_E_NS1_11comp_targetILNS1_3genE10ELNS1_11target_archE1201ELNS1_3gpuE5ELNS1_3repE0EEENS1_30default_config_static_selectorELNS0_4arch9wavefront6targetE1EEEvT1_,comdat
.Lfunc_end187:
	.size	_ZN7rocprim17ROCPRIM_400000_NS6detail17trampoline_kernelINS0_14default_configENS1_29reduce_by_key_config_selectorIffN6thrust23THRUST_200600_302600_NS4plusIfEEEEZZNS1_33reduce_by_key_impl_wrapped_configILNS1_25lookback_scan_determinismE0ES3_S9_NS6_6detail15normal_iteratorINS6_10device_ptrIfEEEESG_SG_SG_PmS8_NS6_8equal_toIfEEEE10hipError_tPvRmT2_T3_mT4_T5_T6_T7_T8_P12ihipStream_tbENKUlT_T0_E_clISt17integral_constantIbLb1EES10_IbLb0EEEEDaSW_SX_EUlSW_E_NS1_11comp_targetILNS1_3genE10ELNS1_11target_archE1201ELNS1_3gpuE5ELNS1_3repE0EEENS1_30default_config_static_selectorELNS0_4arch9wavefront6targetE1EEEvT1_, .Lfunc_end187-_ZN7rocprim17ROCPRIM_400000_NS6detail17trampoline_kernelINS0_14default_configENS1_29reduce_by_key_config_selectorIffN6thrust23THRUST_200600_302600_NS4plusIfEEEEZZNS1_33reduce_by_key_impl_wrapped_configILNS1_25lookback_scan_determinismE0ES3_S9_NS6_6detail15normal_iteratorINS6_10device_ptrIfEEEESG_SG_SG_PmS8_NS6_8equal_toIfEEEE10hipError_tPvRmT2_T3_mT4_T5_T6_T7_T8_P12ihipStream_tbENKUlT_T0_E_clISt17integral_constantIbLb1EES10_IbLb0EEEEDaSW_SX_EUlSW_E_NS1_11comp_targetILNS1_3genE10ELNS1_11target_archE1201ELNS1_3gpuE5ELNS1_3repE0EEENS1_30default_config_static_selectorELNS0_4arch9wavefront6targetE1EEEvT1_
                                        ; -- End function
	.section	.AMDGPU.csdata,"",@progbits
; Kernel info:
; codeLenInByte = 0
; NumSgprs: 4
; NumVgprs: 0
; NumAgprs: 0
; TotalNumVgprs: 0
; ScratchSize: 0
; MemoryBound: 0
; FloatMode: 240
; IeeeMode: 1
; LDSByteSize: 0 bytes/workgroup (compile time only)
; SGPRBlocks: 0
; VGPRBlocks: 0
; NumSGPRsForWavesPerEU: 4
; NumVGPRsForWavesPerEU: 1
; AccumOffset: 4
; Occupancy: 8
; WaveLimiterHint : 0
; COMPUTE_PGM_RSRC2:SCRATCH_EN: 0
; COMPUTE_PGM_RSRC2:USER_SGPR: 6
; COMPUTE_PGM_RSRC2:TRAP_HANDLER: 0
; COMPUTE_PGM_RSRC2:TGID_X_EN: 1
; COMPUTE_PGM_RSRC2:TGID_Y_EN: 0
; COMPUTE_PGM_RSRC2:TGID_Z_EN: 0
; COMPUTE_PGM_RSRC2:TIDIG_COMP_CNT: 0
; COMPUTE_PGM_RSRC3_GFX90A:ACCUM_OFFSET: 0
; COMPUTE_PGM_RSRC3_GFX90A:TG_SPLIT: 0
	.section	.text._ZN7rocprim17ROCPRIM_400000_NS6detail17trampoline_kernelINS0_14default_configENS1_29reduce_by_key_config_selectorIffN6thrust23THRUST_200600_302600_NS4plusIfEEEEZZNS1_33reduce_by_key_impl_wrapped_configILNS1_25lookback_scan_determinismE0ES3_S9_NS6_6detail15normal_iteratorINS6_10device_ptrIfEEEESG_SG_SG_PmS8_NS6_8equal_toIfEEEE10hipError_tPvRmT2_T3_mT4_T5_T6_T7_T8_P12ihipStream_tbENKUlT_T0_E_clISt17integral_constantIbLb1EES10_IbLb0EEEEDaSW_SX_EUlSW_E_NS1_11comp_targetILNS1_3genE10ELNS1_11target_archE1200ELNS1_3gpuE4ELNS1_3repE0EEENS1_30default_config_static_selectorELNS0_4arch9wavefront6targetE1EEEvT1_,"axG",@progbits,_ZN7rocprim17ROCPRIM_400000_NS6detail17trampoline_kernelINS0_14default_configENS1_29reduce_by_key_config_selectorIffN6thrust23THRUST_200600_302600_NS4plusIfEEEEZZNS1_33reduce_by_key_impl_wrapped_configILNS1_25lookback_scan_determinismE0ES3_S9_NS6_6detail15normal_iteratorINS6_10device_ptrIfEEEESG_SG_SG_PmS8_NS6_8equal_toIfEEEE10hipError_tPvRmT2_T3_mT4_T5_T6_T7_T8_P12ihipStream_tbENKUlT_T0_E_clISt17integral_constantIbLb1EES10_IbLb0EEEEDaSW_SX_EUlSW_E_NS1_11comp_targetILNS1_3genE10ELNS1_11target_archE1200ELNS1_3gpuE4ELNS1_3repE0EEENS1_30default_config_static_selectorELNS0_4arch9wavefront6targetE1EEEvT1_,comdat
	.protected	_ZN7rocprim17ROCPRIM_400000_NS6detail17trampoline_kernelINS0_14default_configENS1_29reduce_by_key_config_selectorIffN6thrust23THRUST_200600_302600_NS4plusIfEEEEZZNS1_33reduce_by_key_impl_wrapped_configILNS1_25lookback_scan_determinismE0ES3_S9_NS6_6detail15normal_iteratorINS6_10device_ptrIfEEEESG_SG_SG_PmS8_NS6_8equal_toIfEEEE10hipError_tPvRmT2_T3_mT4_T5_T6_T7_T8_P12ihipStream_tbENKUlT_T0_E_clISt17integral_constantIbLb1EES10_IbLb0EEEEDaSW_SX_EUlSW_E_NS1_11comp_targetILNS1_3genE10ELNS1_11target_archE1200ELNS1_3gpuE4ELNS1_3repE0EEENS1_30default_config_static_selectorELNS0_4arch9wavefront6targetE1EEEvT1_ ; -- Begin function _ZN7rocprim17ROCPRIM_400000_NS6detail17trampoline_kernelINS0_14default_configENS1_29reduce_by_key_config_selectorIffN6thrust23THRUST_200600_302600_NS4plusIfEEEEZZNS1_33reduce_by_key_impl_wrapped_configILNS1_25lookback_scan_determinismE0ES3_S9_NS6_6detail15normal_iteratorINS6_10device_ptrIfEEEESG_SG_SG_PmS8_NS6_8equal_toIfEEEE10hipError_tPvRmT2_T3_mT4_T5_T6_T7_T8_P12ihipStream_tbENKUlT_T0_E_clISt17integral_constantIbLb1EES10_IbLb0EEEEDaSW_SX_EUlSW_E_NS1_11comp_targetILNS1_3genE10ELNS1_11target_archE1200ELNS1_3gpuE4ELNS1_3repE0EEENS1_30default_config_static_selectorELNS0_4arch9wavefront6targetE1EEEvT1_
	.globl	_ZN7rocprim17ROCPRIM_400000_NS6detail17trampoline_kernelINS0_14default_configENS1_29reduce_by_key_config_selectorIffN6thrust23THRUST_200600_302600_NS4plusIfEEEEZZNS1_33reduce_by_key_impl_wrapped_configILNS1_25lookback_scan_determinismE0ES3_S9_NS6_6detail15normal_iteratorINS6_10device_ptrIfEEEESG_SG_SG_PmS8_NS6_8equal_toIfEEEE10hipError_tPvRmT2_T3_mT4_T5_T6_T7_T8_P12ihipStream_tbENKUlT_T0_E_clISt17integral_constantIbLb1EES10_IbLb0EEEEDaSW_SX_EUlSW_E_NS1_11comp_targetILNS1_3genE10ELNS1_11target_archE1200ELNS1_3gpuE4ELNS1_3repE0EEENS1_30default_config_static_selectorELNS0_4arch9wavefront6targetE1EEEvT1_
	.p2align	8
	.type	_ZN7rocprim17ROCPRIM_400000_NS6detail17trampoline_kernelINS0_14default_configENS1_29reduce_by_key_config_selectorIffN6thrust23THRUST_200600_302600_NS4plusIfEEEEZZNS1_33reduce_by_key_impl_wrapped_configILNS1_25lookback_scan_determinismE0ES3_S9_NS6_6detail15normal_iteratorINS6_10device_ptrIfEEEESG_SG_SG_PmS8_NS6_8equal_toIfEEEE10hipError_tPvRmT2_T3_mT4_T5_T6_T7_T8_P12ihipStream_tbENKUlT_T0_E_clISt17integral_constantIbLb1EES10_IbLb0EEEEDaSW_SX_EUlSW_E_NS1_11comp_targetILNS1_3genE10ELNS1_11target_archE1200ELNS1_3gpuE4ELNS1_3repE0EEENS1_30default_config_static_selectorELNS0_4arch9wavefront6targetE1EEEvT1_,@function
_ZN7rocprim17ROCPRIM_400000_NS6detail17trampoline_kernelINS0_14default_configENS1_29reduce_by_key_config_selectorIffN6thrust23THRUST_200600_302600_NS4plusIfEEEEZZNS1_33reduce_by_key_impl_wrapped_configILNS1_25lookback_scan_determinismE0ES3_S9_NS6_6detail15normal_iteratorINS6_10device_ptrIfEEEESG_SG_SG_PmS8_NS6_8equal_toIfEEEE10hipError_tPvRmT2_T3_mT4_T5_T6_T7_T8_P12ihipStream_tbENKUlT_T0_E_clISt17integral_constantIbLb1EES10_IbLb0EEEEDaSW_SX_EUlSW_E_NS1_11comp_targetILNS1_3genE10ELNS1_11target_archE1200ELNS1_3gpuE4ELNS1_3repE0EEENS1_30default_config_static_selectorELNS0_4arch9wavefront6targetE1EEEvT1_: ; @_ZN7rocprim17ROCPRIM_400000_NS6detail17trampoline_kernelINS0_14default_configENS1_29reduce_by_key_config_selectorIffN6thrust23THRUST_200600_302600_NS4plusIfEEEEZZNS1_33reduce_by_key_impl_wrapped_configILNS1_25lookback_scan_determinismE0ES3_S9_NS6_6detail15normal_iteratorINS6_10device_ptrIfEEEESG_SG_SG_PmS8_NS6_8equal_toIfEEEE10hipError_tPvRmT2_T3_mT4_T5_T6_T7_T8_P12ihipStream_tbENKUlT_T0_E_clISt17integral_constantIbLb1EES10_IbLb0EEEEDaSW_SX_EUlSW_E_NS1_11comp_targetILNS1_3genE10ELNS1_11target_archE1200ELNS1_3gpuE4ELNS1_3repE0EEENS1_30default_config_static_selectorELNS0_4arch9wavefront6targetE1EEEvT1_
; %bb.0:
	.section	.rodata,"a",@progbits
	.p2align	6, 0x0
	.amdhsa_kernel _ZN7rocprim17ROCPRIM_400000_NS6detail17trampoline_kernelINS0_14default_configENS1_29reduce_by_key_config_selectorIffN6thrust23THRUST_200600_302600_NS4plusIfEEEEZZNS1_33reduce_by_key_impl_wrapped_configILNS1_25lookback_scan_determinismE0ES3_S9_NS6_6detail15normal_iteratorINS6_10device_ptrIfEEEESG_SG_SG_PmS8_NS6_8equal_toIfEEEE10hipError_tPvRmT2_T3_mT4_T5_T6_T7_T8_P12ihipStream_tbENKUlT_T0_E_clISt17integral_constantIbLb1EES10_IbLb0EEEEDaSW_SX_EUlSW_E_NS1_11comp_targetILNS1_3genE10ELNS1_11target_archE1200ELNS1_3gpuE4ELNS1_3repE0EEENS1_30default_config_static_selectorELNS0_4arch9wavefront6targetE1EEEvT1_
		.amdhsa_group_segment_fixed_size 0
		.amdhsa_private_segment_fixed_size 0
		.amdhsa_kernarg_size 120
		.amdhsa_user_sgpr_count 6
		.amdhsa_user_sgpr_private_segment_buffer 1
		.amdhsa_user_sgpr_dispatch_ptr 0
		.amdhsa_user_sgpr_queue_ptr 0
		.amdhsa_user_sgpr_kernarg_segment_ptr 1
		.amdhsa_user_sgpr_dispatch_id 0
		.amdhsa_user_sgpr_flat_scratch_init 0
		.amdhsa_user_sgpr_kernarg_preload_length 0
		.amdhsa_user_sgpr_kernarg_preload_offset 0
		.amdhsa_user_sgpr_private_segment_size 0
		.amdhsa_uses_dynamic_stack 0
		.amdhsa_system_sgpr_private_segment_wavefront_offset 0
		.amdhsa_system_sgpr_workgroup_id_x 1
		.amdhsa_system_sgpr_workgroup_id_y 0
		.amdhsa_system_sgpr_workgroup_id_z 0
		.amdhsa_system_sgpr_workgroup_info 0
		.amdhsa_system_vgpr_workitem_id 0
		.amdhsa_next_free_vgpr 1
		.amdhsa_next_free_sgpr 0
		.amdhsa_accum_offset 4
		.amdhsa_reserve_vcc 0
		.amdhsa_reserve_flat_scratch 0
		.amdhsa_float_round_mode_32 0
		.amdhsa_float_round_mode_16_64 0
		.amdhsa_float_denorm_mode_32 3
		.amdhsa_float_denorm_mode_16_64 3
		.amdhsa_dx10_clamp 1
		.amdhsa_ieee_mode 1
		.amdhsa_fp16_overflow 0
		.amdhsa_tg_split 0
		.amdhsa_exception_fp_ieee_invalid_op 0
		.amdhsa_exception_fp_denorm_src 0
		.amdhsa_exception_fp_ieee_div_zero 0
		.amdhsa_exception_fp_ieee_overflow 0
		.amdhsa_exception_fp_ieee_underflow 0
		.amdhsa_exception_fp_ieee_inexact 0
		.amdhsa_exception_int_div_zero 0
	.end_amdhsa_kernel
	.section	.text._ZN7rocprim17ROCPRIM_400000_NS6detail17trampoline_kernelINS0_14default_configENS1_29reduce_by_key_config_selectorIffN6thrust23THRUST_200600_302600_NS4plusIfEEEEZZNS1_33reduce_by_key_impl_wrapped_configILNS1_25lookback_scan_determinismE0ES3_S9_NS6_6detail15normal_iteratorINS6_10device_ptrIfEEEESG_SG_SG_PmS8_NS6_8equal_toIfEEEE10hipError_tPvRmT2_T3_mT4_T5_T6_T7_T8_P12ihipStream_tbENKUlT_T0_E_clISt17integral_constantIbLb1EES10_IbLb0EEEEDaSW_SX_EUlSW_E_NS1_11comp_targetILNS1_3genE10ELNS1_11target_archE1200ELNS1_3gpuE4ELNS1_3repE0EEENS1_30default_config_static_selectorELNS0_4arch9wavefront6targetE1EEEvT1_,"axG",@progbits,_ZN7rocprim17ROCPRIM_400000_NS6detail17trampoline_kernelINS0_14default_configENS1_29reduce_by_key_config_selectorIffN6thrust23THRUST_200600_302600_NS4plusIfEEEEZZNS1_33reduce_by_key_impl_wrapped_configILNS1_25lookback_scan_determinismE0ES3_S9_NS6_6detail15normal_iteratorINS6_10device_ptrIfEEEESG_SG_SG_PmS8_NS6_8equal_toIfEEEE10hipError_tPvRmT2_T3_mT4_T5_T6_T7_T8_P12ihipStream_tbENKUlT_T0_E_clISt17integral_constantIbLb1EES10_IbLb0EEEEDaSW_SX_EUlSW_E_NS1_11comp_targetILNS1_3genE10ELNS1_11target_archE1200ELNS1_3gpuE4ELNS1_3repE0EEENS1_30default_config_static_selectorELNS0_4arch9wavefront6targetE1EEEvT1_,comdat
.Lfunc_end188:
	.size	_ZN7rocprim17ROCPRIM_400000_NS6detail17trampoline_kernelINS0_14default_configENS1_29reduce_by_key_config_selectorIffN6thrust23THRUST_200600_302600_NS4plusIfEEEEZZNS1_33reduce_by_key_impl_wrapped_configILNS1_25lookback_scan_determinismE0ES3_S9_NS6_6detail15normal_iteratorINS6_10device_ptrIfEEEESG_SG_SG_PmS8_NS6_8equal_toIfEEEE10hipError_tPvRmT2_T3_mT4_T5_T6_T7_T8_P12ihipStream_tbENKUlT_T0_E_clISt17integral_constantIbLb1EES10_IbLb0EEEEDaSW_SX_EUlSW_E_NS1_11comp_targetILNS1_3genE10ELNS1_11target_archE1200ELNS1_3gpuE4ELNS1_3repE0EEENS1_30default_config_static_selectorELNS0_4arch9wavefront6targetE1EEEvT1_, .Lfunc_end188-_ZN7rocprim17ROCPRIM_400000_NS6detail17trampoline_kernelINS0_14default_configENS1_29reduce_by_key_config_selectorIffN6thrust23THRUST_200600_302600_NS4plusIfEEEEZZNS1_33reduce_by_key_impl_wrapped_configILNS1_25lookback_scan_determinismE0ES3_S9_NS6_6detail15normal_iteratorINS6_10device_ptrIfEEEESG_SG_SG_PmS8_NS6_8equal_toIfEEEE10hipError_tPvRmT2_T3_mT4_T5_T6_T7_T8_P12ihipStream_tbENKUlT_T0_E_clISt17integral_constantIbLb1EES10_IbLb0EEEEDaSW_SX_EUlSW_E_NS1_11comp_targetILNS1_3genE10ELNS1_11target_archE1200ELNS1_3gpuE4ELNS1_3repE0EEENS1_30default_config_static_selectorELNS0_4arch9wavefront6targetE1EEEvT1_
                                        ; -- End function
	.section	.AMDGPU.csdata,"",@progbits
; Kernel info:
; codeLenInByte = 0
; NumSgprs: 4
; NumVgprs: 0
; NumAgprs: 0
; TotalNumVgprs: 0
; ScratchSize: 0
; MemoryBound: 0
; FloatMode: 240
; IeeeMode: 1
; LDSByteSize: 0 bytes/workgroup (compile time only)
; SGPRBlocks: 0
; VGPRBlocks: 0
; NumSGPRsForWavesPerEU: 4
; NumVGPRsForWavesPerEU: 1
; AccumOffset: 4
; Occupancy: 8
; WaveLimiterHint : 0
; COMPUTE_PGM_RSRC2:SCRATCH_EN: 0
; COMPUTE_PGM_RSRC2:USER_SGPR: 6
; COMPUTE_PGM_RSRC2:TRAP_HANDLER: 0
; COMPUTE_PGM_RSRC2:TGID_X_EN: 1
; COMPUTE_PGM_RSRC2:TGID_Y_EN: 0
; COMPUTE_PGM_RSRC2:TGID_Z_EN: 0
; COMPUTE_PGM_RSRC2:TIDIG_COMP_CNT: 0
; COMPUTE_PGM_RSRC3_GFX90A:ACCUM_OFFSET: 0
; COMPUTE_PGM_RSRC3_GFX90A:TG_SPLIT: 0
	.section	.text._ZN7rocprim17ROCPRIM_400000_NS6detail17trampoline_kernelINS0_14default_configENS1_29reduce_by_key_config_selectorIffN6thrust23THRUST_200600_302600_NS4plusIfEEEEZZNS1_33reduce_by_key_impl_wrapped_configILNS1_25lookback_scan_determinismE0ES3_S9_NS6_6detail15normal_iteratorINS6_10device_ptrIfEEEESG_SG_SG_PmS8_NS6_8equal_toIfEEEE10hipError_tPvRmT2_T3_mT4_T5_T6_T7_T8_P12ihipStream_tbENKUlT_T0_E_clISt17integral_constantIbLb1EES10_IbLb0EEEEDaSW_SX_EUlSW_E_NS1_11comp_targetILNS1_3genE9ELNS1_11target_archE1100ELNS1_3gpuE3ELNS1_3repE0EEENS1_30default_config_static_selectorELNS0_4arch9wavefront6targetE1EEEvT1_,"axG",@progbits,_ZN7rocprim17ROCPRIM_400000_NS6detail17trampoline_kernelINS0_14default_configENS1_29reduce_by_key_config_selectorIffN6thrust23THRUST_200600_302600_NS4plusIfEEEEZZNS1_33reduce_by_key_impl_wrapped_configILNS1_25lookback_scan_determinismE0ES3_S9_NS6_6detail15normal_iteratorINS6_10device_ptrIfEEEESG_SG_SG_PmS8_NS6_8equal_toIfEEEE10hipError_tPvRmT2_T3_mT4_T5_T6_T7_T8_P12ihipStream_tbENKUlT_T0_E_clISt17integral_constantIbLb1EES10_IbLb0EEEEDaSW_SX_EUlSW_E_NS1_11comp_targetILNS1_3genE9ELNS1_11target_archE1100ELNS1_3gpuE3ELNS1_3repE0EEENS1_30default_config_static_selectorELNS0_4arch9wavefront6targetE1EEEvT1_,comdat
	.protected	_ZN7rocprim17ROCPRIM_400000_NS6detail17trampoline_kernelINS0_14default_configENS1_29reduce_by_key_config_selectorIffN6thrust23THRUST_200600_302600_NS4plusIfEEEEZZNS1_33reduce_by_key_impl_wrapped_configILNS1_25lookback_scan_determinismE0ES3_S9_NS6_6detail15normal_iteratorINS6_10device_ptrIfEEEESG_SG_SG_PmS8_NS6_8equal_toIfEEEE10hipError_tPvRmT2_T3_mT4_T5_T6_T7_T8_P12ihipStream_tbENKUlT_T0_E_clISt17integral_constantIbLb1EES10_IbLb0EEEEDaSW_SX_EUlSW_E_NS1_11comp_targetILNS1_3genE9ELNS1_11target_archE1100ELNS1_3gpuE3ELNS1_3repE0EEENS1_30default_config_static_selectorELNS0_4arch9wavefront6targetE1EEEvT1_ ; -- Begin function _ZN7rocprim17ROCPRIM_400000_NS6detail17trampoline_kernelINS0_14default_configENS1_29reduce_by_key_config_selectorIffN6thrust23THRUST_200600_302600_NS4plusIfEEEEZZNS1_33reduce_by_key_impl_wrapped_configILNS1_25lookback_scan_determinismE0ES3_S9_NS6_6detail15normal_iteratorINS6_10device_ptrIfEEEESG_SG_SG_PmS8_NS6_8equal_toIfEEEE10hipError_tPvRmT2_T3_mT4_T5_T6_T7_T8_P12ihipStream_tbENKUlT_T0_E_clISt17integral_constantIbLb1EES10_IbLb0EEEEDaSW_SX_EUlSW_E_NS1_11comp_targetILNS1_3genE9ELNS1_11target_archE1100ELNS1_3gpuE3ELNS1_3repE0EEENS1_30default_config_static_selectorELNS0_4arch9wavefront6targetE1EEEvT1_
	.globl	_ZN7rocprim17ROCPRIM_400000_NS6detail17trampoline_kernelINS0_14default_configENS1_29reduce_by_key_config_selectorIffN6thrust23THRUST_200600_302600_NS4plusIfEEEEZZNS1_33reduce_by_key_impl_wrapped_configILNS1_25lookback_scan_determinismE0ES3_S9_NS6_6detail15normal_iteratorINS6_10device_ptrIfEEEESG_SG_SG_PmS8_NS6_8equal_toIfEEEE10hipError_tPvRmT2_T3_mT4_T5_T6_T7_T8_P12ihipStream_tbENKUlT_T0_E_clISt17integral_constantIbLb1EES10_IbLb0EEEEDaSW_SX_EUlSW_E_NS1_11comp_targetILNS1_3genE9ELNS1_11target_archE1100ELNS1_3gpuE3ELNS1_3repE0EEENS1_30default_config_static_selectorELNS0_4arch9wavefront6targetE1EEEvT1_
	.p2align	8
	.type	_ZN7rocprim17ROCPRIM_400000_NS6detail17trampoline_kernelINS0_14default_configENS1_29reduce_by_key_config_selectorIffN6thrust23THRUST_200600_302600_NS4plusIfEEEEZZNS1_33reduce_by_key_impl_wrapped_configILNS1_25lookback_scan_determinismE0ES3_S9_NS6_6detail15normal_iteratorINS6_10device_ptrIfEEEESG_SG_SG_PmS8_NS6_8equal_toIfEEEE10hipError_tPvRmT2_T3_mT4_T5_T6_T7_T8_P12ihipStream_tbENKUlT_T0_E_clISt17integral_constantIbLb1EES10_IbLb0EEEEDaSW_SX_EUlSW_E_NS1_11comp_targetILNS1_3genE9ELNS1_11target_archE1100ELNS1_3gpuE3ELNS1_3repE0EEENS1_30default_config_static_selectorELNS0_4arch9wavefront6targetE1EEEvT1_,@function
_ZN7rocprim17ROCPRIM_400000_NS6detail17trampoline_kernelINS0_14default_configENS1_29reduce_by_key_config_selectorIffN6thrust23THRUST_200600_302600_NS4plusIfEEEEZZNS1_33reduce_by_key_impl_wrapped_configILNS1_25lookback_scan_determinismE0ES3_S9_NS6_6detail15normal_iteratorINS6_10device_ptrIfEEEESG_SG_SG_PmS8_NS6_8equal_toIfEEEE10hipError_tPvRmT2_T3_mT4_T5_T6_T7_T8_P12ihipStream_tbENKUlT_T0_E_clISt17integral_constantIbLb1EES10_IbLb0EEEEDaSW_SX_EUlSW_E_NS1_11comp_targetILNS1_3genE9ELNS1_11target_archE1100ELNS1_3gpuE3ELNS1_3repE0EEENS1_30default_config_static_selectorELNS0_4arch9wavefront6targetE1EEEvT1_: ; @_ZN7rocprim17ROCPRIM_400000_NS6detail17trampoline_kernelINS0_14default_configENS1_29reduce_by_key_config_selectorIffN6thrust23THRUST_200600_302600_NS4plusIfEEEEZZNS1_33reduce_by_key_impl_wrapped_configILNS1_25lookback_scan_determinismE0ES3_S9_NS6_6detail15normal_iteratorINS6_10device_ptrIfEEEESG_SG_SG_PmS8_NS6_8equal_toIfEEEE10hipError_tPvRmT2_T3_mT4_T5_T6_T7_T8_P12ihipStream_tbENKUlT_T0_E_clISt17integral_constantIbLb1EES10_IbLb0EEEEDaSW_SX_EUlSW_E_NS1_11comp_targetILNS1_3genE9ELNS1_11target_archE1100ELNS1_3gpuE3ELNS1_3repE0EEENS1_30default_config_static_selectorELNS0_4arch9wavefront6targetE1EEEvT1_
; %bb.0:
	.section	.rodata,"a",@progbits
	.p2align	6, 0x0
	.amdhsa_kernel _ZN7rocprim17ROCPRIM_400000_NS6detail17trampoline_kernelINS0_14default_configENS1_29reduce_by_key_config_selectorIffN6thrust23THRUST_200600_302600_NS4plusIfEEEEZZNS1_33reduce_by_key_impl_wrapped_configILNS1_25lookback_scan_determinismE0ES3_S9_NS6_6detail15normal_iteratorINS6_10device_ptrIfEEEESG_SG_SG_PmS8_NS6_8equal_toIfEEEE10hipError_tPvRmT2_T3_mT4_T5_T6_T7_T8_P12ihipStream_tbENKUlT_T0_E_clISt17integral_constantIbLb1EES10_IbLb0EEEEDaSW_SX_EUlSW_E_NS1_11comp_targetILNS1_3genE9ELNS1_11target_archE1100ELNS1_3gpuE3ELNS1_3repE0EEENS1_30default_config_static_selectorELNS0_4arch9wavefront6targetE1EEEvT1_
		.amdhsa_group_segment_fixed_size 0
		.amdhsa_private_segment_fixed_size 0
		.amdhsa_kernarg_size 120
		.amdhsa_user_sgpr_count 6
		.amdhsa_user_sgpr_private_segment_buffer 1
		.amdhsa_user_sgpr_dispatch_ptr 0
		.amdhsa_user_sgpr_queue_ptr 0
		.amdhsa_user_sgpr_kernarg_segment_ptr 1
		.amdhsa_user_sgpr_dispatch_id 0
		.amdhsa_user_sgpr_flat_scratch_init 0
		.amdhsa_user_sgpr_kernarg_preload_length 0
		.amdhsa_user_sgpr_kernarg_preload_offset 0
		.amdhsa_user_sgpr_private_segment_size 0
		.amdhsa_uses_dynamic_stack 0
		.amdhsa_system_sgpr_private_segment_wavefront_offset 0
		.amdhsa_system_sgpr_workgroup_id_x 1
		.amdhsa_system_sgpr_workgroup_id_y 0
		.amdhsa_system_sgpr_workgroup_id_z 0
		.amdhsa_system_sgpr_workgroup_info 0
		.amdhsa_system_vgpr_workitem_id 0
		.amdhsa_next_free_vgpr 1
		.amdhsa_next_free_sgpr 0
		.amdhsa_accum_offset 4
		.amdhsa_reserve_vcc 0
		.amdhsa_reserve_flat_scratch 0
		.amdhsa_float_round_mode_32 0
		.amdhsa_float_round_mode_16_64 0
		.amdhsa_float_denorm_mode_32 3
		.amdhsa_float_denorm_mode_16_64 3
		.amdhsa_dx10_clamp 1
		.amdhsa_ieee_mode 1
		.amdhsa_fp16_overflow 0
		.amdhsa_tg_split 0
		.amdhsa_exception_fp_ieee_invalid_op 0
		.amdhsa_exception_fp_denorm_src 0
		.amdhsa_exception_fp_ieee_div_zero 0
		.amdhsa_exception_fp_ieee_overflow 0
		.amdhsa_exception_fp_ieee_underflow 0
		.amdhsa_exception_fp_ieee_inexact 0
		.amdhsa_exception_int_div_zero 0
	.end_amdhsa_kernel
	.section	.text._ZN7rocprim17ROCPRIM_400000_NS6detail17trampoline_kernelINS0_14default_configENS1_29reduce_by_key_config_selectorIffN6thrust23THRUST_200600_302600_NS4plusIfEEEEZZNS1_33reduce_by_key_impl_wrapped_configILNS1_25lookback_scan_determinismE0ES3_S9_NS6_6detail15normal_iteratorINS6_10device_ptrIfEEEESG_SG_SG_PmS8_NS6_8equal_toIfEEEE10hipError_tPvRmT2_T3_mT4_T5_T6_T7_T8_P12ihipStream_tbENKUlT_T0_E_clISt17integral_constantIbLb1EES10_IbLb0EEEEDaSW_SX_EUlSW_E_NS1_11comp_targetILNS1_3genE9ELNS1_11target_archE1100ELNS1_3gpuE3ELNS1_3repE0EEENS1_30default_config_static_selectorELNS0_4arch9wavefront6targetE1EEEvT1_,"axG",@progbits,_ZN7rocprim17ROCPRIM_400000_NS6detail17trampoline_kernelINS0_14default_configENS1_29reduce_by_key_config_selectorIffN6thrust23THRUST_200600_302600_NS4plusIfEEEEZZNS1_33reduce_by_key_impl_wrapped_configILNS1_25lookback_scan_determinismE0ES3_S9_NS6_6detail15normal_iteratorINS6_10device_ptrIfEEEESG_SG_SG_PmS8_NS6_8equal_toIfEEEE10hipError_tPvRmT2_T3_mT4_T5_T6_T7_T8_P12ihipStream_tbENKUlT_T0_E_clISt17integral_constantIbLb1EES10_IbLb0EEEEDaSW_SX_EUlSW_E_NS1_11comp_targetILNS1_3genE9ELNS1_11target_archE1100ELNS1_3gpuE3ELNS1_3repE0EEENS1_30default_config_static_selectorELNS0_4arch9wavefront6targetE1EEEvT1_,comdat
.Lfunc_end189:
	.size	_ZN7rocprim17ROCPRIM_400000_NS6detail17trampoline_kernelINS0_14default_configENS1_29reduce_by_key_config_selectorIffN6thrust23THRUST_200600_302600_NS4plusIfEEEEZZNS1_33reduce_by_key_impl_wrapped_configILNS1_25lookback_scan_determinismE0ES3_S9_NS6_6detail15normal_iteratorINS6_10device_ptrIfEEEESG_SG_SG_PmS8_NS6_8equal_toIfEEEE10hipError_tPvRmT2_T3_mT4_T5_T6_T7_T8_P12ihipStream_tbENKUlT_T0_E_clISt17integral_constantIbLb1EES10_IbLb0EEEEDaSW_SX_EUlSW_E_NS1_11comp_targetILNS1_3genE9ELNS1_11target_archE1100ELNS1_3gpuE3ELNS1_3repE0EEENS1_30default_config_static_selectorELNS0_4arch9wavefront6targetE1EEEvT1_, .Lfunc_end189-_ZN7rocprim17ROCPRIM_400000_NS6detail17trampoline_kernelINS0_14default_configENS1_29reduce_by_key_config_selectorIffN6thrust23THRUST_200600_302600_NS4plusIfEEEEZZNS1_33reduce_by_key_impl_wrapped_configILNS1_25lookback_scan_determinismE0ES3_S9_NS6_6detail15normal_iteratorINS6_10device_ptrIfEEEESG_SG_SG_PmS8_NS6_8equal_toIfEEEE10hipError_tPvRmT2_T3_mT4_T5_T6_T7_T8_P12ihipStream_tbENKUlT_T0_E_clISt17integral_constantIbLb1EES10_IbLb0EEEEDaSW_SX_EUlSW_E_NS1_11comp_targetILNS1_3genE9ELNS1_11target_archE1100ELNS1_3gpuE3ELNS1_3repE0EEENS1_30default_config_static_selectorELNS0_4arch9wavefront6targetE1EEEvT1_
                                        ; -- End function
	.section	.AMDGPU.csdata,"",@progbits
; Kernel info:
; codeLenInByte = 0
; NumSgprs: 4
; NumVgprs: 0
; NumAgprs: 0
; TotalNumVgprs: 0
; ScratchSize: 0
; MemoryBound: 0
; FloatMode: 240
; IeeeMode: 1
; LDSByteSize: 0 bytes/workgroup (compile time only)
; SGPRBlocks: 0
; VGPRBlocks: 0
; NumSGPRsForWavesPerEU: 4
; NumVGPRsForWavesPerEU: 1
; AccumOffset: 4
; Occupancy: 8
; WaveLimiterHint : 0
; COMPUTE_PGM_RSRC2:SCRATCH_EN: 0
; COMPUTE_PGM_RSRC2:USER_SGPR: 6
; COMPUTE_PGM_RSRC2:TRAP_HANDLER: 0
; COMPUTE_PGM_RSRC2:TGID_X_EN: 1
; COMPUTE_PGM_RSRC2:TGID_Y_EN: 0
; COMPUTE_PGM_RSRC2:TGID_Z_EN: 0
; COMPUTE_PGM_RSRC2:TIDIG_COMP_CNT: 0
; COMPUTE_PGM_RSRC3_GFX90A:ACCUM_OFFSET: 0
; COMPUTE_PGM_RSRC3_GFX90A:TG_SPLIT: 0
	.section	.text._ZN7rocprim17ROCPRIM_400000_NS6detail17trampoline_kernelINS0_14default_configENS1_29reduce_by_key_config_selectorIffN6thrust23THRUST_200600_302600_NS4plusIfEEEEZZNS1_33reduce_by_key_impl_wrapped_configILNS1_25lookback_scan_determinismE0ES3_S9_NS6_6detail15normal_iteratorINS6_10device_ptrIfEEEESG_SG_SG_PmS8_NS6_8equal_toIfEEEE10hipError_tPvRmT2_T3_mT4_T5_T6_T7_T8_P12ihipStream_tbENKUlT_T0_E_clISt17integral_constantIbLb1EES10_IbLb0EEEEDaSW_SX_EUlSW_E_NS1_11comp_targetILNS1_3genE8ELNS1_11target_archE1030ELNS1_3gpuE2ELNS1_3repE0EEENS1_30default_config_static_selectorELNS0_4arch9wavefront6targetE1EEEvT1_,"axG",@progbits,_ZN7rocprim17ROCPRIM_400000_NS6detail17trampoline_kernelINS0_14default_configENS1_29reduce_by_key_config_selectorIffN6thrust23THRUST_200600_302600_NS4plusIfEEEEZZNS1_33reduce_by_key_impl_wrapped_configILNS1_25lookback_scan_determinismE0ES3_S9_NS6_6detail15normal_iteratorINS6_10device_ptrIfEEEESG_SG_SG_PmS8_NS6_8equal_toIfEEEE10hipError_tPvRmT2_T3_mT4_T5_T6_T7_T8_P12ihipStream_tbENKUlT_T0_E_clISt17integral_constantIbLb1EES10_IbLb0EEEEDaSW_SX_EUlSW_E_NS1_11comp_targetILNS1_3genE8ELNS1_11target_archE1030ELNS1_3gpuE2ELNS1_3repE0EEENS1_30default_config_static_selectorELNS0_4arch9wavefront6targetE1EEEvT1_,comdat
	.protected	_ZN7rocprim17ROCPRIM_400000_NS6detail17trampoline_kernelINS0_14default_configENS1_29reduce_by_key_config_selectorIffN6thrust23THRUST_200600_302600_NS4plusIfEEEEZZNS1_33reduce_by_key_impl_wrapped_configILNS1_25lookback_scan_determinismE0ES3_S9_NS6_6detail15normal_iteratorINS6_10device_ptrIfEEEESG_SG_SG_PmS8_NS6_8equal_toIfEEEE10hipError_tPvRmT2_T3_mT4_T5_T6_T7_T8_P12ihipStream_tbENKUlT_T0_E_clISt17integral_constantIbLb1EES10_IbLb0EEEEDaSW_SX_EUlSW_E_NS1_11comp_targetILNS1_3genE8ELNS1_11target_archE1030ELNS1_3gpuE2ELNS1_3repE0EEENS1_30default_config_static_selectorELNS0_4arch9wavefront6targetE1EEEvT1_ ; -- Begin function _ZN7rocprim17ROCPRIM_400000_NS6detail17trampoline_kernelINS0_14default_configENS1_29reduce_by_key_config_selectorIffN6thrust23THRUST_200600_302600_NS4plusIfEEEEZZNS1_33reduce_by_key_impl_wrapped_configILNS1_25lookback_scan_determinismE0ES3_S9_NS6_6detail15normal_iteratorINS6_10device_ptrIfEEEESG_SG_SG_PmS8_NS6_8equal_toIfEEEE10hipError_tPvRmT2_T3_mT4_T5_T6_T7_T8_P12ihipStream_tbENKUlT_T0_E_clISt17integral_constantIbLb1EES10_IbLb0EEEEDaSW_SX_EUlSW_E_NS1_11comp_targetILNS1_3genE8ELNS1_11target_archE1030ELNS1_3gpuE2ELNS1_3repE0EEENS1_30default_config_static_selectorELNS0_4arch9wavefront6targetE1EEEvT1_
	.globl	_ZN7rocprim17ROCPRIM_400000_NS6detail17trampoline_kernelINS0_14default_configENS1_29reduce_by_key_config_selectorIffN6thrust23THRUST_200600_302600_NS4plusIfEEEEZZNS1_33reduce_by_key_impl_wrapped_configILNS1_25lookback_scan_determinismE0ES3_S9_NS6_6detail15normal_iteratorINS6_10device_ptrIfEEEESG_SG_SG_PmS8_NS6_8equal_toIfEEEE10hipError_tPvRmT2_T3_mT4_T5_T6_T7_T8_P12ihipStream_tbENKUlT_T0_E_clISt17integral_constantIbLb1EES10_IbLb0EEEEDaSW_SX_EUlSW_E_NS1_11comp_targetILNS1_3genE8ELNS1_11target_archE1030ELNS1_3gpuE2ELNS1_3repE0EEENS1_30default_config_static_selectorELNS0_4arch9wavefront6targetE1EEEvT1_
	.p2align	8
	.type	_ZN7rocprim17ROCPRIM_400000_NS6detail17trampoline_kernelINS0_14default_configENS1_29reduce_by_key_config_selectorIffN6thrust23THRUST_200600_302600_NS4plusIfEEEEZZNS1_33reduce_by_key_impl_wrapped_configILNS1_25lookback_scan_determinismE0ES3_S9_NS6_6detail15normal_iteratorINS6_10device_ptrIfEEEESG_SG_SG_PmS8_NS6_8equal_toIfEEEE10hipError_tPvRmT2_T3_mT4_T5_T6_T7_T8_P12ihipStream_tbENKUlT_T0_E_clISt17integral_constantIbLb1EES10_IbLb0EEEEDaSW_SX_EUlSW_E_NS1_11comp_targetILNS1_3genE8ELNS1_11target_archE1030ELNS1_3gpuE2ELNS1_3repE0EEENS1_30default_config_static_selectorELNS0_4arch9wavefront6targetE1EEEvT1_,@function
_ZN7rocprim17ROCPRIM_400000_NS6detail17trampoline_kernelINS0_14default_configENS1_29reduce_by_key_config_selectorIffN6thrust23THRUST_200600_302600_NS4plusIfEEEEZZNS1_33reduce_by_key_impl_wrapped_configILNS1_25lookback_scan_determinismE0ES3_S9_NS6_6detail15normal_iteratorINS6_10device_ptrIfEEEESG_SG_SG_PmS8_NS6_8equal_toIfEEEE10hipError_tPvRmT2_T3_mT4_T5_T6_T7_T8_P12ihipStream_tbENKUlT_T0_E_clISt17integral_constantIbLb1EES10_IbLb0EEEEDaSW_SX_EUlSW_E_NS1_11comp_targetILNS1_3genE8ELNS1_11target_archE1030ELNS1_3gpuE2ELNS1_3repE0EEENS1_30default_config_static_selectorELNS0_4arch9wavefront6targetE1EEEvT1_: ; @_ZN7rocprim17ROCPRIM_400000_NS6detail17trampoline_kernelINS0_14default_configENS1_29reduce_by_key_config_selectorIffN6thrust23THRUST_200600_302600_NS4plusIfEEEEZZNS1_33reduce_by_key_impl_wrapped_configILNS1_25lookback_scan_determinismE0ES3_S9_NS6_6detail15normal_iteratorINS6_10device_ptrIfEEEESG_SG_SG_PmS8_NS6_8equal_toIfEEEE10hipError_tPvRmT2_T3_mT4_T5_T6_T7_T8_P12ihipStream_tbENKUlT_T0_E_clISt17integral_constantIbLb1EES10_IbLb0EEEEDaSW_SX_EUlSW_E_NS1_11comp_targetILNS1_3genE8ELNS1_11target_archE1030ELNS1_3gpuE2ELNS1_3repE0EEENS1_30default_config_static_selectorELNS0_4arch9wavefront6targetE1EEEvT1_
; %bb.0:
	.section	.rodata,"a",@progbits
	.p2align	6, 0x0
	.amdhsa_kernel _ZN7rocprim17ROCPRIM_400000_NS6detail17trampoline_kernelINS0_14default_configENS1_29reduce_by_key_config_selectorIffN6thrust23THRUST_200600_302600_NS4plusIfEEEEZZNS1_33reduce_by_key_impl_wrapped_configILNS1_25lookback_scan_determinismE0ES3_S9_NS6_6detail15normal_iteratorINS6_10device_ptrIfEEEESG_SG_SG_PmS8_NS6_8equal_toIfEEEE10hipError_tPvRmT2_T3_mT4_T5_T6_T7_T8_P12ihipStream_tbENKUlT_T0_E_clISt17integral_constantIbLb1EES10_IbLb0EEEEDaSW_SX_EUlSW_E_NS1_11comp_targetILNS1_3genE8ELNS1_11target_archE1030ELNS1_3gpuE2ELNS1_3repE0EEENS1_30default_config_static_selectorELNS0_4arch9wavefront6targetE1EEEvT1_
		.amdhsa_group_segment_fixed_size 0
		.amdhsa_private_segment_fixed_size 0
		.amdhsa_kernarg_size 120
		.amdhsa_user_sgpr_count 6
		.amdhsa_user_sgpr_private_segment_buffer 1
		.amdhsa_user_sgpr_dispatch_ptr 0
		.amdhsa_user_sgpr_queue_ptr 0
		.amdhsa_user_sgpr_kernarg_segment_ptr 1
		.amdhsa_user_sgpr_dispatch_id 0
		.amdhsa_user_sgpr_flat_scratch_init 0
		.amdhsa_user_sgpr_kernarg_preload_length 0
		.amdhsa_user_sgpr_kernarg_preload_offset 0
		.amdhsa_user_sgpr_private_segment_size 0
		.amdhsa_uses_dynamic_stack 0
		.amdhsa_system_sgpr_private_segment_wavefront_offset 0
		.amdhsa_system_sgpr_workgroup_id_x 1
		.amdhsa_system_sgpr_workgroup_id_y 0
		.amdhsa_system_sgpr_workgroup_id_z 0
		.amdhsa_system_sgpr_workgroup_info 0
		.amdhsa_system_vgpr_workitem_id 0
		.amdhsa_next_free_vgpr 1
		.amdhsa_next_free_sgpr 0
		.amdhsa_accum_offset 4
		.amdhsa_reserve_vcc 0
		.amdhsa_reserve_flat_scratch 0
		.amdhsa_float_round_mode_32 0
		.amdhsa_float_round_mode_16_64 0
		.amdhsa_float_denorm_mode_32 3
		.amdhsa_float_denorm_mode_16_64 3
		.amdhsa_dx10_clamp 1
		.amdhsa_ieee_mode 1
		.amdhsa_fp16_overflow 0
		.amdhsa_tg_split 0
		.amdhsa_exception_fp_ieee_invalid_op 0
		.amdhsa_exception_fp_denorm_src 0
		.amdhsa_exception_fp_ieee_div_zero 0
		.amdhsa_exception_fp_ieee_overflow 0
		.amdhsa_exception_fp_ieee_underflow 0
		.amdhsa_exception_fp_ieee_inexact 0
		.amdhsa_exception_int_div_zero 0
	.end_amdhsa_kernel
	.section	.text._ZN7rocprim17ROCPRIM_400000_NS6detail17trampoline_kernelINS0_14default_configENS1_29reduce_by_key_config_selectorIffN6thrust23THRUST_200600_302600_NS4plusIfEEEEZZNS1_33reduce_by_key_impl_wrapped_configILNS1_25lookback_scan_determinismE0ES3_S9_NS6_6detail15normal_iteratorINS6_10device_ptrIfEEEESG_SG_SG_PmS8_NS6_8equal_toIfEEEE10hipError_tPvRmT2_T3_mT4_T5_T6_T7_T8_P12ihipStream_tbENKUlT_T0_E_clISt17integral_constantIbLb1EES10_IbLb0EEEEDaSW_SX_EUlSW_E_NS1_11comp_targetILNS1_3genE8ELNS1_11target_archE1030ELNS1_3gpuE2ELNS1_3repE0EEENS1_30default_config_static_selectorELNS0_4arch9wavefront6targetE1EEEvT1_,"axG",@progbits,_ZN7rocprim17ROCPRIM_400000_NS6detail17trampoline_kernelINS0_14default_configENS1_29reduce_by_key_config_selectorIffN6thrust23THRUST_200600_302600_NS4plusIfEEEEZZNS1_33reduce_by_key_impl_wrapped_configILNS1_25lookback_scan_determinismE0ES3_S9_NS6_6detail15normal_iteratorINS6_10device_ptrIfEEEESG_SG_SG_PmS8_NS6_8equal_toIfEEEE10hipError_tPvRmT2_T3_mT4_T5_T6_T7_T8_P12ihipStream_tbENKUlT_T0_E_clISt17integral_constantIbLb1EES10_IbLb0EEEEDaSW_SX_EUlSW_E_NS1_11comp_targetILNS1_3genE8ELNS1_11target_archE1030ELNS1_3gpuE2ELNS1_3repE0EEENS1_30default_config_static_selectorELNS0_4arch9wavefront6targetE1EEEvT1_,comdat
.Lfunc_end190:
	.size	_ZN7rocprim17ROCPRIM_400000_NS6detail17trampoline_kernelINS0_14default_configENS1_29reduce_by_key_config_selectorIffN6thrust23THRUST_200600_302600_NS4plusIfEEEEZZNS1_33reduce_by_key_impl_wrapped_configILNS1_25lookback_scan_determinismE0ES3_S9_NS6_6detail15normal_iteratorINS6_10device_ptrIfEEEESG_SG_SG_PmS8_NS6_8equal_toIfEEEE10hipError_tPvRmT2_T3_mT4_T5_T6_T7_T8_P12ihipStream_tbENKUlT_T0_E_clISt17integral_constantIbLb1EES10_IbLb0EEEEDaSW_SX_EUlSW_E_NS1_11comp_targetILNS1_3genE8ELNS1_11target_archE1030ELNS1_3gpuE2ELNS1_3repE0EEENS1_30default_config_static_selectorELNS0_4arch9wavefront6targetE1EEEvT1_, .Lfunc_end190-_ZN7rocprim17ROCPRIM_400000_NS6detail17trampoline_kernelINS0_14default_configENS1_29reduce_by_key_config_selectorIffN6thrust23THRUST_200600_302600_NS4plusIfEEEEZZNS1_33reduce_by_key_impl_wrapped_configILNS1_25lookback_scan_determinismE0ES3_S9_NS6_6detail15normal_iteratorINS6_10device_ptrIfEEEESG_SG_SG_PmS8_NS6_8equal_toIfEEEE10hipError_tPvRmT2_T3_mT4_T5_T6_T7_T8_P12ihipStream_tbENKUlT_T0_E_clISt17integral_constantIbLb1EES10_IbLb0EEEEDaSW_SX_EUlSW_E_NS1_11comp_targetILNS1_3genE8ELNS1_11target_archE1030ELNS1_3gpuE2ELNS1_3repE0EEENS1_30default_config_static_selectorELNS0_4arch9wavefront6targetE1EEEvT1_
                                        ; -- End function
	.section	.AMDGPU.csdata,"",@progbits
; Kernel info:
; codeLenInByte = 0
; NumSgprs: 4
; NumVgprs: 0
; NumAgprs: 0
; TotalNumVgprs: 0
; ScratchSize: 0
; MemoryBound: 0
; FloatMode: 240
; IeeeMode: 1
; LDSByteSize: 0 bytes/workgroup (compile time only)
; SGPRBlocks: 0
; VGPRBlocks: 0
; NumSGPRsForWavesPerEU: 4
; NumVGPRsForWavesPerEU: 1
; AccumOffset: 4
; Occupancy: 8
; WaveLimiterHint : 0
; COMPUTE_PGM_RSRC2:SCRATCH_EN: 0
; COMPUTE_PGM_RSRC2:USER_SGPR: 6
; COMPUTE_PGM_RSRC2:TRAP_HANDLER: 0
; COMPUTE_PGM_RSRC2:TGID_X_EN: 1
; COMPUTE_PGM_RSRC2:TGID_Y_EN: 0
; COMPUTE_PGM_RSRC2:TGID_Z_EN: 0
; COMPUTE_PGM_RSRC2:TIDIG_COMP_CNT: 0
; COMPUTE_PGM_RSRC3_GFX90A:ACCUM_OFFSET: 0
; COMPUTE_PGM_RSRC3_GFX90A:TG_SPLIT: 0
	.section	.text._ZN7rocprim17ROCPRIM_400000_NS6detail17trampoline_kernelINS0_14default_configENS1_29reduce_by_key_config_selectorIffN6thrust23THRUST_200600_302600_NS4plusIfEEEEZZNS1_33reduce_by_key_impl_wrapped_configILNS1_25lookback_scan_determinismE0ES3_S9_NS6_6detail15normal_iteratorINS6_10device_ptrIfEEEESG_SG_SG_PmS8_NS6_8equal_toIfEEEE10hipError_tPvRmT2_T3_mT4_T5_T6_T7_T8_P12ihipStream_tbENKUlT_T0_E_clISt17integral_constantIbLb0EES10_IbLb1EEEEDaSW_SX_EUlSW_E_NS1_11comp_targetILNS1_3genE0ELNS1_11target_archE4294967295ELNS1_3gpuE0ELNS1_3repE0EEENS1_30default_config_static_selectorELNS0_4arch9wavefront6targetE1EEEvT1_,"axG",@progbits,_ZN7rocprim17ROCPRIM_400000_NS6detail17trampoline_kernelINS0_14default_configENS1_29reduce_by_key_config_selectorIffN6thrust23THRUST_200600_302600_NS4plusIfEEEEZZNS1_33reduce_by_key_impl_wrapped_configILNS1_25lookback_scan_determinismE0ES3_S9_NS6_6detail15normal_iteratorINS6_10device_ptrIfEEEESG_SG_SG_PmS8_NS6_8equal_toIfEEEE10hipError_tPvRmT2_T3_mT4_T5_T6_T7_T8_P12ihipStream_tbENKUlT_T0_E_clISt17integral_constantIbLb0EES10_IbLb1EEEEDaSW_SX_EUlSW_E_NS1_11comp_targetILNS1_3genE0ELNS1_11target_archE4294967295ELNS1_3gpuE0ELNS1_3repE0EEENS1_30default_config_static_selectorELNS0_4arch9wavefront6targetE1EEEvT1_,comdat
	.protected	_ZN7rocprim17ROCPRIM_400000_NS6detail17trampoline_kernelINS0_14default_configENS1_29reduce_by_key_config_selectorIffN6thrust23THRUST_200600_302600_NS4plusIfEEEEZZNS1_33reduce_by_key_impl_wrapped_configILNS1_25lookback_scan_determinismE0ES3_S9_NS6_6detail15normal_iteratorINS6_10device_ptrIfEEEESG_SG_SG_PmS8_NS6_8equal_toIfEEEE10hipError_tPvRmT2_T3_mT4_T5_T6_T7_T8_P12ihipStream_tbENKUlT_T0_E_clISt17integral_constantIbLb0EES10_IbLb1EEEEDaSW_SX_EUlSW_E_NS1_11comp_targetILNS1_3genE0ELNS1_11target_archE4294967295ELNS1_3gpuE0ELNS1_3repE0EEENS1_30default_config_static_selectorELNS0_4arch9wavefront6targetE1EEEvT1_ ; -- Begin function _ZN7rocprim17ROCPRIM_400000_NS6detail17trampoline_kernelINS0_14default_configENS1_29reduce_by_key_config_selectorIffN6thrust23THRUST_200600_302600_NS4plusIfEEEEZZNS1_33reduce_by_key_impl_wrapped_configILNS1_25lookback_scan_determinismE0ES3_S9_NS6_6detail15normal_iteratorINS6_10device_ptrIfEEEESG_SG_SG_PmS8_NS6_8equal_toIfEEEE10hipError_tPvRmT2_T3_mT4_T5_T6_T7_T8_P12ihipStream_tbENKUlT_T0_E_clISt17integral_constantIbLb0EES10_IbLb1EEEEDaSW_SX_EUlSW_E_NS1_11comp_targetILNS1_3genE0ELNS1_11target_archE4294967295ELNS1_3gpuE0ELNS1_3repE0EEENS1_30default_config_static_selectorELNS0_4arch9wavefront6targetE1EEEvT1_
	.globl	_ZN7rocprim17ROCPRIM_400000_NS6detail17trampoline_kernelINS0_14default_configENS1_29reduce_by_key_config_selectorIffN6thrust23THRUST_200600_302600_NS4plusIfEEEEZZNS1_33reduce_by_key_impl_wrapped_configILNS1_25lookback_scan_determinismE0ES3_S9_NS6_6detail15normal_iteratorINS6_10device_ptrIfEEEESG_SG_SG_PmS8_NS6_8equal_toIfEEEE10hipError_tPvRmT2_T3_mT4_T5_T6_T7_T8_P12ihipStream_tbENKUlT_T0_E_clISt17integral_constantIbLb0EES10_IbLb1EEEEDaSW_SX_EUlSW_E_NS1_11comp_targetILNS1_3genE0ELNS1_11target_archE4294967295ELNS1_3gpuE0ELNS1_3repE0EEENS1_30default_config_static_selectorELNS0_4arch9wavefront6targetE1EEEvT1_
	.p2align	8
	.type	_ZN7rocprim17ROCPRIM_400000_NS6detail17trampoline_kernelINS0_14default_configENS1_29reduce_by_key_config_selectorIffN6thrust23THRUST_200600_302600_NS4plusIfEEEEZZNS1_33reduce_by_key_impl_wrapped_configILNS1_25lookback_scan_determinismE0ES3_S9_NS6_6detail15normal_iteratorINS6_10device_ptrIfEEEESG_SG_SG_PmS8_NS6_8equal_toIfEEEE10hipError_tPvRmT2_T3_mT4_T5_T6_T7_T8_P12ihipStream_tbENKUlT_T0_E_clISt17integral_constantIbLb0EES10_IbLb1EEEEDaSW_SX_EUlSW_E_NS1_11comp_targetILNS1_3genE0ELNS1_11target_archE4294967295ELNS1_3gpuE0ELNS1_3repE0EEENS1_30default_config_static_selectorELNS0_4arch9wavefront6targetE1EEEvT1_,@function
_ZN7rocprim17ROCPRIM_400000_NS6detail17trampoline_kernelINS0_14default_configENS1_29reduce_by_key_config_selectorIffN6thrust23THRUST_200600_302600_NS4plusIfEEEEZZNS1_33reduce_by_key_impl_wrapped_configILNS1_25lookback_scan_determinismE0ES3_S9_NS6_6detail15normal_iteratorINS6_10device_ptrIfEEEESG_SG_SG_PmS8_NS6_8equal_toIfEEEE10hipError_tPvRmT2_T3_mT4_T5_T6_T7_T8_P12ihipStream_tbENKUlT_T0_E_clISt17integral_constantIbLb0EES10_IbLb1EEEEDaSW_SX_EUlSW_E_NS1_11comp_targetILNS1_3genE0ELNS1_11target_archE4294967295ELNS1_3gpuE0ELNS1_3repE0EEENS1_30default_config_static_selectorELNS0_4arch9wavefront6targetE1EEEvT1_: ; @_ZN7rocprim17ROCPRIM_400000_NS6detail17trampoline_kernelINS0_14default_configENS1_29reduce_by_key_config_selectorIffN6thrust23THRUST_200600_302600_NS4plusIfEEEEZZNS1_33reduce_by_key_impl_wrapped_configILNS1_25lookback_scan_determinismE0ES3_S9_NS6_6detail15normal_iteratorINS6_10device_ptrIfEEEESG_SG_SG_PmS8_NS6_8equal_toIfEEEE10hipError_tPvRmT2_T3_mT4_T5_T6_T7_T8_P12ihipStream_tbENKUlT_T0_E_clISt17integral_constantIbLb0EES10_IbLb1EEEEDaSW_SX_EUlSW_E_NS1_11comp_targetILNS1_3genE0ELNS1_11target_archE4294967295ELNS1_3gpuE0ELNS1_3repE0EEENS1_30default_config_static_selectorELNS0_4arch9wavefront6targetE1EEEvT1_
; %bb.0:
	.section	.rodata,"a",@progbits
	.p2align	6, 0x0
	.amdhsa_kernel _ZN7rocprim17ROCPRIM_400000_NS6detail17trampoline_kernelINS0_14default_configENS1_29reduce_by_key_config_selectorIffN6thrust23THRUST_200600_302600_NS4plusIfEEEEZZNS1_33reduce_by_key_impl_wrapped_configILNS1_25lookback_scan_determinismE0ES3_S9_NS6_6detail15normal_iteratorINS6_10device_ptrIfEEEESG_SG_SG_PmS8_NS6_8equal_toIfEEEE10hipError_tPvRmT2_T3_mT4_T5_T6_T7_T8_P12ihipStream_tbENKUlT_T0_E_clISt17integral_constantIbLb0EES10_IbLb1EEEEDaSW_SX_EUlSW_E_NS1_11comp_targetILNS1_3genE0ELNS1_11target_archE4294967295ELNS1_3gpuE0ELNS1_3repE0EEENS1_30default_config_static_selectorELNS0_4arch9wavefront6targetE1EEEvT1_
		.amdhsa_group_segment_fixed_size 0
		.amdhsa_private_segment_fixed_size 0
		.amdhsa_kernarg_size 120
		.amdhsa_user_sgpr_count 6
		.amdhsa_user_sgpr_private_segment_buffer 1
		.amdhsa_user_sgpr_dispatch_ptr 0
		.amdhsa_user_sgpr_queue_ptr 0
		.amdhsa_user_sgpr_kernarg_segment_ptr 1
		.amdhsa_user_sgpr_dispatch_id 0
		.amdhsa_user_sgpr_flat_scratch_init 0
		.amdhsa_user_sgpr_kernarg_preload_length 0
		.amdhsa_user_sgpr_kernarg_preload_offset 0
		.amdhsa_user_sgpr_private_segment_size 0
		.amdhsa_uses_dynamic_stack 0
		.amdhsa_system_sgpr_private_segment_wavefront_offset 0
		.amdhsa_system_sgpr_workgroup_id_x 1
		.amdhsa_system_sgpr_workgroup_id_y 0
		.amdhsa_system_sgpr_workgroup_id_z 0
		.amdhsa_system_sgpr_workgroup_info 0
		.amdhsa_system_vgpr_workitem_id 0
		.amdhsa_next_free_vgpr 1
		.amdhsa_next_free_sgpr 0
		.amdhsa_accum_offset 4
		.amdhsa_reserve_vcc 0
		.amdhsa_reserve_flat_scratch 0
		.amdhsa_float_round_mode_32 0
		.amdhsa_float_round_mode_16_64 0
		.amdhsa_float_denorm_mode_32 3
		.amdhsa_float_denorm_mode_16_64 3
		.amdhsa_dx10_clamp 1
		.amdhsa_ieee_mode 1
		.amdhsa_fp16_overflow 0
		.amdhsa_tg_split 0
		.amdhsa_exception_fp_ieee_invalid_op 0
		.amdhsa_exception_fp_denorm_src 0
		.amdhsa_exception_fp_ieee_div_zero 0
		.amdhsa_exception_fp_ieee_overflow 0
		.amdhsa_exception_fp_ieee_underflow 0
		.amdhsa_exception_fp_ieee_inexact 0
		.amdhsa_exception_int_div_zero 0
	.end_amdhsa_kernel
	.section	.text._ZN7rocprim17ROCPRIM_400000_NS6detail17trampoline_kernelINS0_14default_configENS1_29reduce_by_key_config_selectorIffN6thrust23THRUST_200600_302600_NS4plusIfEEEEZZNS1_33reduce_by_key_impl_wrapped_configILNS1_25lookback_scan_determinismE0ES3_S9_NS6_6detail15normal_iteratorINS6_10device_ptrIfEEEESG_SG_SG_PmS8_NS6_8equal_toIfEEEE10hipError_tPvRmT2_T3_mT4_T5_T6_T7_T8_P12ihipStream_tbENKUlT_T0_E_clISt17integral_constantIbLb0EES10_IbLb1EEEEDaSW_SX_EUlSW_E_NS1_11comp_targetILNS1_3genE0ELNS1_11target_archE4294967295ELNS1_3gpuE0ELNS1_3repE0EEENS1_30default_config_static_selectorELNS0_4arch9wavefront6targetE1EEEvT1_,"axG",@progbits,_ZN7rocprim17ROCPRIM_400000_NS6detail17trampoline_kernelINS0_14default_configENS1_29reduce_by_key_config_selectorIffN6thrust23THRUST_200600_302600_NS4plusIfEEEEZZNS1_33reduce_by_key_impl_wrapped_configILNS1_25lookback_scan_determinismE0ES3_S9_NS6_6detail15normal_iteratorINS6_10device_ptrIfEEEESG_SG_SG_PmS8_NS6_8equal_toIfEEEE10hipError_tPvRmT2_T3_mT4_T5_T6_T7_T8_P12ihipStream_tbENKUlT_T0_E_clISt17integral_constantIbLb0EES10_IbLb1EEEEDaSW_SX_EUlSW_E_NS1_11comp_targetILNS1_3genE0ELNS1_11target_archE4294967295ELNS1_3gpuE0ELNS1_3repE0EEENS1_30default_config_static_selectorELNS0_4arch9wavefront6targetE1EEEvT1_,comdat
.Lfunc_end191:
	.size	_ZN7rocprim17ROCPRIM_400000_NS6detail17trampoline_kernelINS0_14default_configENS1_29reduce_by_key_config_selectorIffN6thrust23THRUST_200600_302600_NS4plusIfEEEEZZNS1_33reduce_by_key_impl_wrapped_configILNS1_25lookback_scan_determinismE0ES3_S9_NS6_6detail15normal_iteratorINS6_10device_ptrIfEEEESG_SG_SG_PmS8_NS6_8equal_toIfEEEE10hipError_tPvRmT2_T3_mT4_T5_T6_T7_T8_P12ihipStream_tbENKUlT_T0_E_clISt17integral_constantIbLb0EES10_IbLb1EEEEDaSW_SX_EUlSW_E_NS1_11comp_targetILNS1_3genE0ELNS1_11target_archE4294967295ELNS1_3gpuE0ELNS1_3repE0EEENS1_30default_config_static_selectorELNS0_4arch9wavefront6targetE1EEEvT1_, .Lfunc_end191-_ZN7rocprim17ROCPRIM_400000_NS6detail17trampoline_kernelINS0_14default_configENS1_29reduce_by_key_config_selectorIffN6thrust23THRUST_200600_302600_NS4plusIfEEEEZZNS1_33reduce_by_key_impl_wrapped_configILNS1_25lookback_scan_determinismE0ES3_S9_NS6_6detail15normal_iteratorINS6_10device_ptrIfEEEESG_SG_SG_PmS8_NS6_8equal_toIfEEEE10hipError_tPvRmT2_T3_mT4_T5_T6_T7_T8_P12ihipStream_tbENKUlT_T0_E_clISt17integral_constantIbLb0EES10_IbLb1EEEEDaSW_SX_EUlSW_E_NS1_11comp_targetILNS1_3genE0ELNS1_11target_archE4294967295ELNS1_3gpuE0ELNS1_3repE0EEENS1_30default_config_static_selectorELNS0_4arch9wavefront6targetE1EEEvT1_
                                        ; -- End function
	.section	.AMDGPU.csdata,"",@progbits
; Kernel info:
; codeLenInByte = 0
; NumSgprs: 4
; NumVgprs: 0
; NumAgprs: 0
; TotalNumVgprs: 0
; ScratchSize: 0
; MemoryBound: 0
; FloatMode: 240
; IeeeMode: 1
; LDSByteSize: 0 bytes/workgroup (compile time only)
; SGPRBlocks: 0
; VGPRBlocks: 0
; NumSGPRsForWavesPerEU: 4
; NumVGPRsForWavesPerEU: 1
; AccumOffset: 4
; Occupancy: 8
; WaveLimiterHint : 0
; COMPUTE_PGM_RSRC2:SCRATCH_EN: 0
; COMPUTE_PGM_RSRC2:USER_SGPR: 6
; COMPUTE_PGM_RSRC2:TRAP_HANDLER: 0
; COMPUTE_PGM_RSRC2:TGID_X_EN: 1
; COMPUTE_PGM_RSRC2:TGID_Y_EN: 0
; COMPUTE_PGM_RSRC2:TGID_Z_EN: 0
; COMPUTE_PGM_RSRC2:TIDIG_COMP_CNT: 0
; COMPUTE_PGM_RSRC3_GFX90A:ACCUM_OFFSET: 0
; COMPUTE_PGM_RSRC3_GFX90A:TG_SPLIT: 0
	.section	.text._ZN7rocprim17ROCPRIM_400000_NS6detail17trampoline_kernelINS0_14default_configENS1_29reduce_by_key_config_selectorIffN6thrust23THRUST_200600_302600_NS4plusIfEEEEZZNS1_33reduce_by_key_impl_wrapped_configILNS1_25lookback_scan_determinismE0ES3_S9_NS6_6detail15normal_iteratorINS6_10device_ptrIfEEEESG_SG_SG_PmS8_NS6_8equal_toIfEEEE10hipError_tPvRmT2_T3_mT4_T5_T6_T7_T8_P12ihipStream_tbENKUlT_T0_E_clISt17integral_constantIbLb0EES10_IbLb1EEEEDaSW_SX_EUlSW_E_NS1_11comp_targetILNS1_3genE5ELNS1_11target_archE942ELNS1_3gpuE9ELNS1_3repE0EEENS1_30default_config_static_selectorELNS0_4arch9wavefront6targetE1EEEvT1_,"axG",@progbits,_ZN7rocprim17ROCPRIM_400000_NS6detail17trampoline_kernelINS0_14default_configENS1_29reduce_by_key_config_selectorIffN6thrust23THRUST_200600_302600_NS4plusIfEEEEZZNS1_33reduce_by_key_impl_wrapped_configILNS1_25lookback_scan_determinismE0ES3_S9_NS6_6detail15normal_iteratorINS6_10device_ptrIfEEEESG_SG_SG_PmS8_NS6_8equal_toIfEEEE10hipError_tPvRmT2_T3_mT4_T5_T6_T7_T8_P12ihipStream_tbENKUlT_T0_E_clISt17integral_constantIbLb0EES10_IbLb1EEEEDaSW_SX_EUlSW_E_NS1_11comp_targetILNS1_3genE5ELNS1_11target_archE942ELNS1_3gpuE9ELNS1_3repE0EEENS1_30default_config_static_selectorELNS0_4arch9wavefront6targetE1EEEvT1_,comdat
	.protected	_ZN7rocprim17ROCPRIM_400000_NS6detail17trampoline_kernelINS0_14default_configENS1_29reduce_by_key_config_selectorIffN6thrust23THRUST_200600_302600_NS4plusIfEEEEZZNS1_33reduce_by_key_impl_wrapped_configILNS1_25lookback_scan_determinismE0ES3_S9_NS6_6detail15normal_iteratorINS6_10device_ptrIfEEEESG_SG_SG_PmS8_NS6_8equal_toIfEEEE10hipError_tPvRmT2_T3_mT4_T5_T6_T7_T8_P12ihipStream_tbENKUlT_T0_E_clISt17integral_constantIbLb0EES10_IbLb1EEEEDaSW_SX_EUlSW_E_NS1_11comp_targetILNS1_3genE5ELNS1_11target_archE942ELNS1_3gpuE9ELNS1_3repE0EEENS1_30default_config_static_selectorELNS0_4arch9wavefront6targetE1EEEvT1_ ; -- Begin function _ZN7rocprim17ROCPRIM_400000_NS6detail17trampoline_kernelINS0_14default_configENS1_29reduce_by_key_config_selectorIffN6thrust23THRUST_200600_302600_NS4plusIfEEEEZZNS1_33reduce_by_key_impl_wrapped_configILNS1_25lookback_scan_determinismE0ES3_S9_NS6_6detail15normal_iteratorINS6_10device_ptrIfEEEESG_SG_SG_PmS8_NS6_8equal_toIfEEEE10hipError_tPvRmT2_T3_mT4_T5_T6_T7_T8_P12ihipStream_tbENKUlT_T0_E_clISt17integral_constantIbLb0EES10_IbLb1EEEEDaSW_SX_EUlSW_E_NS1_11comp_targetILNS1_3genE5ELNS1_11target_archE942ELNS1_3gpuE9ELNS1_3repE0EEENS1_30default_config_static_selectorELNS0_4arch9wavefront6targetE1EEEvT1_
	.globl	_ZN7rocprim17ROCPRIM_400000_NS6detail17trampoline_kernelINS0_14default_configENS1_29reduce_by_key_config_selectorIffN6thrust23THRUST_200600_302600_NS4plusIfEEEEZZNS1_33reduce_by_key_impl_wrapped_configILNS1_25lookback_scan_determinismE0ES3_S9_NS6_6detail15normal_iteratorINS6_10device_ptrIfEEEESG_SG_SG_PmS8_NS6_8equal_toIfEEEE10hipError_tPvRmT2_T3_mT4_T5_T6_T7_T8_P12ihipStream_tbENKUlT_T0_E_clISt17integral_constantIbLb0EES10_IbLb1EEEEDaSW_SX_EUlSW_E_NS1_11comp_targetILNS1_3genE5ELNS1_11target_archE942ELNS1_3gpuE9ELNS1_3repE0EEENS1_30default_config_static_selectorELNS0_4arch9wavefront6targetE1EEEvT1_
	.p2align	8
	.type	_ZN7rocprim17ROCPRIM_400000_NS6detail17trampoline_kernelINS0_14default_configENS1_29reduce_by_key_config_selectorIffN6thrust23THRUST_200600_302600_NS4plusIfEEEEZZNS1_33reduce_by_key_impl_wrapped_configILNS1_25lookback_scan_determinismE0ES3_S9_NS6_6detail15normal_iteratorINS6_10device_ptrIfEEEESG_SG_SG_PmS8_NS6_8equal_toIfEEEE10hipError_tPvRmT2_T3_mT4_T5_T6_T7_T8_P12ihipStream_tbENKUlT_T0_E_clISt17integral_constantIbLb0EES10_IbLb1EEEEDaSW_SX_EUlSW_E_NS1_11comp_targetILNS1_3genE5ELNS1_11target_archE942ELNS1_3gpuE9ELNS1_3repE0EEENS1_30default_config_static_selectorELNS0_4arch9wavefront6targetE1EEEvT1_,@function
_ZN7rocprim17ROCPRIM_400000_NS6detail17trampoline_kernelINS0_14default_configENS1_29reduce_by_key_config_selectorIffN6thrust23THRUST_200600_302600_NS4plusIfEEEEZZNS1_33reduce_by_key_impl_wrapped_configILNS1_25lookback_scan_determinismE0ES3_S9_NS6_6detail15normal_iteratorINS6_10device_ptrIfEEEESG_SG_SG_PmS8_NS6_8equal_toIfEEEE10hipError_tPvRmT2_T3_mT4_T5_T6_T7_T8_P12ihipStream_tbENKUlT_T0_E_clISt17integral_constantIbLb0EES10_IbLb1EEEEDaSW_SX_EUlSW_E_NS1_11comp_targetILNS1_3genE5ELNS1_11target_archE942ELNS1_3gpuE9ELNS1_3repE0EEENS1_30default_config_static_selectorELNS0_4arch9wavefront6targetE1EEEvT1_: ; @_ZN7rocprim17ROCPRIM_400000_NS6detail17trampoline_kernelINS0_14default_configENS1_29reduce_by_key_config_selectorIffN6thrust23THRUST_200600_302600_NS4plusIfEEEEZZNS1_33reduce_by_key_impl_wrapped_configILNS1_25lookback_scan_determinismE0ES3_S9_NS6_6detail15normal_iteratorINS6_10device_ptrIfEEEESG_SG_SG_PmS8_NS6_8equal_toIfEEEE10hipError_tPvRmT2_T3_mT4_T5_T6_T7_T8_P12ihipStream_tbENKUlT_T0_E_clISt17integral_constantIbLb0EES10_IbLb1EEEEDaSW_SX_EUlSW_E_NS1_11comp_targetILNS1_3genE5ELNS1_11target_archE942ELNS1_3gpuE9ELNS1_3repE0EEENS1_30default_config_static_selectorELNS0_4arch9wavefront6targetE1EEEvT1_
; %bb.0:
	.section	.rodata,"a",@progbits
	.p2align	6, 0x0
	.amdhsa_kernel _ZN7rocprim17ROCPRIM_400000_NS6detail17trampoline_kernelINS0_14default_configENS1_29reduce_by_key_config_selectorIffN6thrust23THRUST_200600_302600_NS4plusIfEEEEZZNS1_33reduce_by_key_impl_wrapped_configILNS1_25lookback_scan_determinismE0ES3_S9_NS6_6detail15normal_iteratorINS6_10device_ptrIfEEEESG_SG_SG_PmS8_NS6_8equal_toIfEEEE10hipError_tPvRmT2_T3_mT4_T5_T6_T7_T8_P12ihipStream_tbENKUlT_T0_E_clISt17integral_constantIbLb0EES10_IbLb1EEEEDaSW_SX_EUlSW_E_NS1_11comp_targetILNS1_3genE5ELNS1_11target_archE942ELNS1_3gpuE9ELNS1_3repE0EEENS1_30default_config_static_selectorELNS0_4arch9wavefront6targetE1EEEvT1_
		.amdhsa_group_segment_fixed_size 0
		.amdhsa_private_segment_fixed_size 0
		.amdhsa_kernarg_size 120
		.amdhsa_user_sgpr_count 6
		.amdhsa_user_sgpr_private_segment_buffer 1
		.amdhsa_user_sgpr_dispatch_ptr 0
		.amdhsa_user_sgpr_queue_ptr 0
		.amdhsa_user_sgpr_kernarg_segment_ptr 1
		.amdhsa_user_sgpr_dispatch_id 0
		.amdhsa_user_sgpr_flat_scratch_init 0
		.amdhsa_user_sgpr_kernarg_preload_length 0
		.amdhsa_user_sgpr_kernarg_preload_offset 0
		.amdhsa_user_sgpr_private_segment_size 0
		.amdhsa_uses_dynamic_stack 0
		.amdhsa_system_sgpr_private_segment_wavefront_offset 0
		.amdhsa_system_sgpr_workgroup_id_x 1
		.amdhsa_system_sgpr_workgroup_id_y 0
		.amdhsa_system_sgpr_workgroup_id_z 0
		.amdhsa_system_sgpr_workgroup_info 0
		.amdhsa_system_vgpr_workitem_id 0
		.amdhsa_next_free_vgpr 1
		.amdhsa_next_free_sgpr 0
		.amdhsa_accum_offset 4
		.amdhsa_reserve_vcc 0
		.amdhsa_reserve_flat_scratch 0
		.amdhsa_float_round_mode_32 0
		.amdhsa_float_round_mode_16_64 0
		.amdhsa_float_denorm_mode_32 3
		.amdhsa_float_denorm_mode_16_64 3
		.amdhsa_dx10_clamp 1
		.amdhsa_ieee_mode 1
		.amdhsa_fp16_overflow 0
		.amdhsa_tg_split 0
		.amdhsa_exception_fp_ieee_invalid_op 0
		.amdhsa_exception_fp_denorm_src 0
		.amdhsa_exception_fp_ieee_div_zero 0
		.amdhsa_exception_fp_ieee_overflow 0
		.amdhsa_exception_fp_ieee_underflow 0
		.amdhsa_exception_fp_ieee_inexact 0
		.amdhsa_exception_int_div_zero 0
	.end_amdhsa_kernel
	.section	.text._ZN7rocprim17ROCPRIM_400000_NS6detail17trampoline_kernelINS0_14default_configENS1_29reduce_by_key_config_selectorIffN6thrust23THRUST_200600_302600_NS4plusIfEEEEZZNS1_33reduce_by_key_impl_wrapped_configILNS1_25lookback_scan_determinismE0ES3_S9_NS6_6detail15normal_iteratorINS6_10device_ptrIfEEEESG_SG_SG_PmS8_NS6_8equal_toIfEEEE10hipError_tPvRmT2_T3_mT4_T5_T6_T7_T8_P12ihipStream_tbENKUlT_T0_E_clISt17integral_constantIbLb0EES10_IbLb1EEEEDaSW_SX_EUlSW_E_NS1_11comp_targetILNS1_3genE5ELNS1_11target_archE942ELNS1_3gpuE9ELNS1_3repE0EEENS1_30default_config_static_selectorELNS0_4arch9wavefront6targetE1EEEvT1_,"axG",@progbits,_ZN7rocprim17ROCPRIM_400000_NS6detail17trampoline_kernelINS0_14default_configENS1_29reduce_by_key_config_selectorIffN6thrust23THRUST_200600_302600_NS4plusIfEEEEZZNS1_33reduce_by_key_impl_wrapped_configILNS1_25lookback_scan_determinismE0ES3_S9_NS6_6detail15normal_iteratorINS6_10device_ptrIfEEEESG_SG_SG_PmS8_NS6_8equal_toIfEEEE10hipError_tPvRmT2_T3_mT4_T5_T6_T7_T8_P12ihipStream_tbENKUlT_T0_E_clISt17integral_constantIbLb0EES10_IbLb1EEEEDaSW_SX_EUlSW_E_NS1_11comp_targetILNS1_3genE5ELNS1_11target_archE942ELNS1_3gpuE9ELNS1_3repE0EEENS1_30default_config_static_selectorELNS0_4arch9wavefront6targetE1EEEvT1_,comdat
.Lfunc_end192:
	.size	_ZN7rocprim17ROCPRIM_400000_NS6detail17trampoline_kernelINS0_14default_configENS1_29reduce_by_key_config_selectorIffN6thrust23THRUST_200600_302600_NS4plusIfEEEEZZNS1_33reduce_by_key_impl_wrapped_configILNS1_25lookback_scan_determinismE0ES3_S9_NS6_6detail15normal_iteratorINS6_10device_ptrIfEEEESG_SG_SG_PmS8_NS6_8equal_toIfEEEE10hipError_tPvRmT2_T3_mT4_T5_T6_T7_T8_P12ihipStream_tbENKUlT_T0_E_clISt17integral_constantIbLb0EES10_IbLb1EEEEDaSW_SX_EUlSW_E_NS1_11comp_targetILNS1_3genE5ELNS1_11target_archE942ELNS1_3gpuE9ELNS1_3repE0EEENS1_30default_config_static_selectorELNS0_4arch9wavefront6targetE1EEEvT1_, .Lfunc_end192-_ZN7rocprim17ROCPRIM_400000_NS6detail17trampoline_kernelINS0_14default_configENS1_29reduce_by_key_config_selectorIffN6thrust23THRUST_200600_302600_NS4plusIfEEEEZZNS1_33reduce_by_key_impl_wrapped_configILNS1_25lookback_scan_determinismE0ES3_S9_NS6_6detail15normal_iteratorINS6_10device_ptrIfEEEESG_SG_SG_PmS8_NS6_8equal_toIfEEEE10hipError_tPvRmT2_T3_mT4_T5_T6_T7_T8_P12ihipStream_tbENKUlT_T0_E_clISt17integral_constantIbLb0EES10_IbLb1EEEEDaSW_SX_EUlSW_E_NS1_11comp_targetILNS1_3genE5ELNS1_11target_archE942ELNS1_3gpuE9ELNS1_3repE0EEENS1_30default_config_static_selectorELNS0_4arch9wavefront6targetE1EEEvT1_
                                        ; -- End function
	.section	.AMDGPU.csdata,"",@progbits
; Kernel info:
; codeLenInByte = 0
; NumSgprs: 4
; NumVgprs: 0
; NumAgprs: 0
; TotalNumVgprs: 0
; ScratchSize: 0
; MemoryBound: 0
; FloatMode: 240
; IeeeMode: 1
; LDSByteSize: 0 bytes/workgroup (compile time only)
; SGPRBlocks: 0
; VGPRBlocks: 0
; NumSGPRsForWavesPerEU: 4
; NumVGPRsForWavesPerEU: 1
; AccumOffset: 4
; Occupancy: 8
; WaveLimiterHint : 0
; COMPUTE_PGM_RSRC2:SCRATCH_EN: 0
; COMPUTE_PGM_RSRC2:USER_SGPR: 6
; COMPUTE_PGM_RSRC2:TRAP_HANDLER: 0
; COMPUTE_PGM_RSRC2:TGID_X_EN: 1
; COMPUTE_PGM_RSRC2:TGID_Y_EN: 0
; COMPUTE_PGM_RSRC2:TGID_Z_EN: 0
; COMPUTE_PGM_RSRC2:TIDIG_COMP_CNT: 0
; COMPUTE_PGM_RSRC3_GFX90A:ACCUM_OFFSET: 0
; COMPUTE_PGM_RSRC3_GFX90A:TG_SPLIT: 0
	.section	.text._ZN7rocprim17ROCPRIM_400000_NS6detail17trampoline_kernelINS0_14default_configENS1_29reduce_by_key_config_selectorIffN6thrust23THRUST_200600_302600_NS4plusIfEEEEZZNS1_33reduce_by_key_impl_wrapped_configILNS1_25lookback_scan_determinismE0ES3_S9_NS6_6detail15normal_iteratorINS6_10device_ptrIfEEEESG_SG_SG_PmS8_NS6_8equal_toIfEEEE10hipError_tPvRmT2_T3_mT4_T5_T6_T7_T8_P12ihipStream_tbENKUlT_T0_E_clISt17integral_constantIbLb0EES10_IbLb1EEEEDaSW_SX_EUlSW_E_NS1_11comp_targetILNS1_3genE4ELNS1_11target_archE910ELNS1_3gpuE8ELNS1_3repE0EEENS1_30default_config_static_selectorELNS0_4arch9wavefront6targetE1EEEvT1_,"axG",@progbits,_ZN7rocprim17ROCPRIM_400000_NS6detail17trampoline_kernelINS0_14default_configENS1_29reduce_by_key_config_selectorIffN6thrust23THRUST_200600_302600_NS4plusIfEEEEZZNS1_33reduce_by_key_impl_wrapped_configILNS1_25lookback_scan_determinismE0ES3_S9_NS6_6detail15normal_iteratorINS6_10device_ptrIfEEEESG_SG_SG_PmS8_NS6_8equal_toIfEEEE10hipError_tPvRmT2_T3_mT4_T5_T6_T7_T8_P12ihipStream_tbENKUlT_T0_E_clISt17integral_constantIbLb0EES10_IbLb1EEEEDaSW_SX_EUlSW_E_NS1_11comp_targetILNS1_3genE4ELNS1_11target_archE910ELNS1_3gpuE8ELNS1_3repE0EEENS1_30default_config_static_selectorELNS0_4arch9wavefront6targetE1EEEvT1_,comdat
	.protected	_ZN7rocprim17ROCPRIM_400000_NS6detail17trampoline_kernelINS0_14default_configENS1_29reduce_by_key_config_selectorIffN6thrust23THRUST_200600_302600_NS4plusIfEEEEZZNS1_33reduce_by_key_impl_wrapped_configILNS1_25lookback_scan_determinismE0ES3_S9_NS6_6detail15normal_iteratorINS6_10device_ptrIfEEEESG_SG_SG_PmS8_NS6_8equal_toIfEEEE10hipError_tPvRmT2_T3_mT4_T5_T6_T7_T8_P12ihipStream_tbENKUlT_T0_E_clISt17integral_constantIbLb0EES10_IbLb1EEEEDaSW_SX_EUlSW_E_NS1_11comp_targetILNS1_3genE4ELNS1_11target_archE910ELNS1_3gpuE8ELNS1_3repE0EEENS1_30default_config_static_selectorELNS0_4arch9wavefront6targetE1EEEvT1_ ; -- Begin function _ZN7rocprim17ROCPRIM_400000_NS6detail17trampoline_kernelINS0_14default_configENS1_29reduce_by_key_config_selectorIffN6thrust23THRUST_200600_302600_NS4plusIfEEEEZZNS1_33reduce_by_key_impl_wrapped_configILNS1_25lookback_scan_determinismE0ES3_S9_NS6_6detail15normal_iteratorINS6_10device_ptrIfEEEESG_SG_SG_PmS8_NS6_8equal_toIfEEEE10hipError_tPvRmT2_T3_mT4_T5_T6_T7_T8_P12ihipStream_tbENKUlT_T0_E_clISt17integral_constantIbLb0EES10_IbLb1EEEEDaSW_SX_EUlSW_E_NS1_11comp_targetILNS1_3genE4ELNS1_11target_archE910ELNS1_3gpuE8ELNS1_3repE0EEENS1_30default_config_static_selectorELNS0_4arch9wavefront6targetE1EEEvT1_
	.globl	_ZN7rocprim17ROCPRIM_400000_NS6detail17trampoline_kernelINS0_14default_configENS1_29reduce_by_key_config_selectorIffN6thrust23THRUST_200600_302600_NS4plusIfEEEEZZNS1_33reduce_by_key_impl_wrapped_configILNS1_25lookback_scan_determinismE0ES3_S9_NS6_6detail15normal_iteratorINS6_10device_ptrIfEEEESG_SG_SG_PmS8_NS6_8equal_toIfEEEE10hipError_tPvRmT2_T3_mT4_T5_T6_T7_T8_P12ihipStream_tbENKUlT_T0_E_clISt17integral_constantIbLb0EES10_IbLb1EEEEDaSW_SX_EUlSW_E_NS1_11comp_targetILNS1_3genE4ELNS1_11target_archE910ELNS1_3gpuE8ELNS1_3repE0EEENS1_30default_config_static_selectorELNS0_4arch9wavefront6targetE1EEEvT1_
	.p2align	8
	.type	_ZN7rocprim17ROCPRIM_400000_NS6detail17trampoline_kernelINS0_14default_configENS1_29reduce_by_key_config_selectorIffN6thrust23THRUST_200600_302600_NS4plusIfEEEEZZNS1_33reduce_by_key_impl_wrapped_configILNS1_25lookback_scan_determinismE0ES3_S9_NS6_6detail15normal_iteratorINS6_10device_ptrIfEEEESG_SG_SG_PmS8_NS6_8equal_toIfEEEE10hipError_tPvRmT2_T3_mT4_T5_T6_T7_T8_P12ihipStream_tbENKUlT_T0_E_clISt17integral_constantIbLb0EES10_IbLb1EEEEDaSW_SX_EUlSW_E_NS1_11comp_targetILNS1_3genE4ELNS1_11target_archE910ELNS1_3gpuE8ELNS1_3repE0EEENS1_30default_config_static_selectorELNS0_4arch9wavefront6targetE1EEEvT1_,@function
_ZN7rocprim17ROCPRIM_400000_NS6detail17trampoline_kernelINS0_14default_configENS1_29reduce_by_key_config_selectorIffN6thrust23THRUST_200600_302600_NS4plusIfEEEEZZNS1_33reduce_by_key_impl_wrapped_configILNS1_25lookback_scan_determinismE0ES3_S9_NS6_6detail15normal_iteratorINS6_10device_ptrIfEEEESG_SG_SG_PmS8_NS6_8equal_toIfEEEE10hipError_tPvRmT2_T3_mT4_T5_T6_T7_T8_P12ihipStream_tbENKUlT_T0_E_clISt17integral_constantIbLb0EES10_IbLb1EEEEDaSW_SX_EUlSW_E_NS1_11comp_targetILNS1_3genE4ELNS1_11target_archE910ELNS1_3gpuE8ELNS1_3repE0EEENS1_30default_config_static_selectorELNS0_4arch9wavefront6targetE1EEEvT1_: ; @_ZN7rocprim17ROCPRIM_400000_NS6detail17trampoline_kernelINS0_14default_configENS1_29reduce_by_key_config_selectorIffN6thrust23THRUST_200600_302600_NS4plusIfEEEEZZNS1_33reduce_by_key_impl_wrapped_configILNS1_25lookback_scan_determinismE0ES3_S9_NS6_6detail15normal_iteratorINS6_10device_ptrIfEEEESG_SG_SG_PmS8_NS6_8equal_toIfEEEE10hipError_tPvRmT2_T3_mT4_T5_T6_T7_T8_P12ihipStream_tbENKUlT_T0_E_clISt17integral_constantIbLb0EES10_IbLb1EEEEDaSW_SX_EUlSW_E_NS1_11comp_targetILNS1_3genE4ELNS1_11target_archE910ELNS1_3gpuE8ELNS1_3repE0EEENS1_30default_config_static_selectorELNS0_4arch9wavefront6targetE1EEEvT1_
; %bb.0:
	s_load_dwordx8 s[36:43], s[4:5], 0x0
	s_load_dwordx4 s[52:55], s[4:5], 0x20
	s_load_dwordx8 s[44:51], s[4:5], 0x38
	s_load_dwordx2 s[60:61], s[4:5], 0x68
	s_load_dwordx4 s[56:59], s[4:5], 0x58
	v_cmp_ne_u32_e64 s[2:3], 0, v0
	v_cmp_eq_u32_e64 s[0:1], 0, v0
	s_and_saveexec_b64 s[6:7], s[0:1]
	s_cbranch_execz .LBB193_4
; %bb.1:
	s_mov_b64 s[10:11], exec
	v_mbcnt_lo_u32_b32 v1, s10, 0
	v_mbcnt_hi_u32_b32 v1, s11, v1
	v_cmp_eq_u32_e32 vcc, 0, v1
                                        ; implicit-def: $vgpr2
	s_and_saveexec_b64 s[8:9], vcc
	s_cbranch_execz .LBB193_3
; %bb.2:
	s_load_dwordx2 s[4:5], s[4:5], 0x70
	s_bcnt1_i32_b64 s10, s[10:11]
	v_mov_b32_e32 v2, 0
	v_mov_b32_e32 v3, s10
	s_waitcnt lgkmcnt(0)
	global_atomic_add v2, v2, v3, s[4:5] glc
.LBB193_3:
	s_or_b64 exec, exec, s[8:9]
	s_waitcnt vmcnt(0)
	v_readfirstlane_b32 s4, v2
	v_add_u32_e32 v1, s4, v1
	v_mov_b32_e32 v2, 0
	ds_write_b32 v2, v1
.LBB193_4:
	s_or_b64 exec, exec, s[6:7]
	v_mov_b32_e32 v3, 0
	s_waitcnt lgkmcnt(0)
	s_lshl_b64 s[4:5], s[38:39], 2
	s_barrier
	ds_read_b32 v1, v3
	s_add_u32 s6, s36, s4
	s_addc_u32 s7, s37, s5
	s_add_u32 s4, s40, s4
	s_mul_i32 s8, s48, s47
	s_mul_hi_u32 s9, s48, s46
	s_addc_u32 s5, s41, s5
	s_add_i32 s8, s9, s8
	s_mul_i32 s9, s49, s46
	s_add_i32 s8, s8, s9
	s_mul_i32 s9, s48, s46
	s_waitcnt lgkmcnt(0)
	v_readfirstlane_b32 s62, v1
	s_movk_i32 s10, 0xf00
	v_mul_lo_u32 v2, v1, s10
	s_add_u32 s40, s9, s62
	v_lshlrev_b64 v[2:3], 2, v[2:3]
	s_addc_u32 s41, s8, 0
	v_mov_b32_e32 v1, s7
	v_add_co_u32_e32 v11, vcc, s6, v2
	s_add_u32 s6, s50, -1
	v_addc_co_u32_e32 v41, vcc, v1, v3, vcc
	s_addc_u32 s7, s51, -1
	v_mov_b32_e32 v1, s5
	v_add_co_u32_e32 v10, vcc, s4, v2
	s_cmp_eq_u64 s[40:41], s[6:7]
	v_addc_co_u32_e32 v26, vcc, v1, v3, vcc
	s_cselect_b64 s[36:37], -1, 0
	s_cmp_lg_u64 s[40:41], s[6:7]
	s_mov_b64 s[4:5], -1
	s_cselect_b64 s[48:49], -1, 0
	s_mul_i32 s33, s6, 0xfffff100
	s_and_b64 vcc, exec, s[36:37]
	s_barrier
	s_cbranch_vccnz .LBB193_6
; %bb.5:
	v_lshlrev_b32_e32 v27, 2, v0
	v_add_co_u32_e32 v2, vcc, v11, v27
	v_addc_co_u32_e32 v3, vcc, 0, v41, vcc
	v_add_co_u32_e32 v4, vcc, 0x1000, v2
	v_addc_co_u32_e32 v5, vcc, 0, v3, vcc
	flat_load_dword v1, v[2:3]
	flat_load_dword v12, v[2:3] offset:1024
	flat_load_dword v13, v[2:3] offset:2048
	;; [unrolled: 1-line block ×3, first 2 shown]
	flat_load_dword v15, v[4:5]
	flat_load_dword v16, v[4:5] offset:1024
	flat_load_dword v17, v[4:5] offset:2048
	;; [unrolled: 1-line block ×3, first 2 shown]
	v_add_co_u32_e32 v4, vcc, 0x2000, v2
	v_addc_co_u32_e32 v5, vcc, 0, v3, vcc
	v_add_co_u32_e32 v2, vcc, 0x3000, v2
	v_addc_co_u32_e32 v3, vcc, 0, v3, vcc
	flat_load_dword v19, v[4:5]
	flat_load_dword v20, v[4:5] offset:1024
	flat_load_dword v21, v[4:5] offset:2048
	;; [unrolled: 1-line block ×3, first 2 shown]
	flat_load_dword v23, v[2:3]
	flat_load_dword v24, v[2:3] offset:1024
	flat_load_dword v25, v[2:3] offset:2048
	v_add_co_u32_e32 v2, vcc, v10, v27
	s_movk_i32 s4, 0x1000
	v_addc_co_u32_e32 v3, vcc, 0, v26, vcc
	v_add_co_u32_e32 v4, vcc, s4, v2
	s_movk_i32 s5, 0x2000
	v_addc_co_u32_e32 v5, vcc, 0, v3, vcc
	;; [unrolled: 3-line block ×3, first 2 shown]
	v_mad_u32_u24 v40, v0, 56, v27
	v_add_co_u32_e32 v8, vcc, s6, v2
	v_addc_co_u32_e32 v9, vcc, 0, v3, vcc
	s_waitcnt vmcnt(0) lgkmcnt(0)
	ds_write2st64_b32 v27, v1, v12 offset1:4
	ds_write2st64_b32 v27, v13, v14 offset0:8 offset1:12
	ds_write2st64_b32 v27, v15, v16 offset0:16 offset1:20
	;; [unrolled: 1-line block ×6, first 2 shown]
	ds_write_b32 v27, v25 offset:14336
	s_waitcnt lgkmcnt(0)
	s_barrier
	ds_read2_b32 v[24:25], v40 offset1:1
	ds_read2_b32 v[22:23], v40 offset0:2 offset1:3
	ds_read2_b32 v[20:21], v40 offset0:4 offset1:5
	;; [unrolled: 1-line block ×6, first 2 shown]
	ds_read_b32 v1, v40 offset:56
	s_waitcnt lgkmcnt(0)
	s_barrier
	flat_load_dword v28, v[2:3]
	flat_load_dword v29, v[2:3] offset:1024
	flat_load_dword v30, v[2:3] offset:2048
	flat_load_dword v31, v[2:3] offset:3072
	flat_load_dword v32, v[4:5]
	flat_load_dword v33, v[4:5] offset:1024
	flat_load_dword v34, v[4:5] offset:2048
	flat_load_dword v35, v[4:5] offset:3072
	;; [unrolled: 4-line block ×3, first 2 shown]
	flat_load_dword v42, v[8:9]
	flat_load_dword v43, v[8:9] offset:1024
	flat_load_dword v44, v[8:9] offset:2048
	v_mov_b32_e32 v8, v24
	v_mov_b32_e32 v9, v22
	;; [unrolled: 1-line block ×7, first 2 shown]
	s_waitcnt vmcnt(0) lgkmcnt(0)
	ds_write2st64_b32 v27, v28, v29 offset1:4
	ds_write2st64_b32 v27, v30, v31 offset0:8 offset1:12
	ds_write2st64_b32 v27, v32, v33 offset0:16 offset1:20
	;; [unrolled: 1-line block ×6, first 2 shown]
	ds_write_b32 v27, v44 offset:14336
	s_waitcnt lgkmcnt(0)
	s_barrier
	s_add_i32 s33, s33, s56
	s_cbranch_execz .LBB193_7
	s_branch .LBB193_54
.LBB193_6:
                                        ; implicit-def: $vgpr1
                                        ; implicit-def: $vgpr12
                                        ; implicit-def: $vgpr14
                                        ; implicit-def: $vgpr16
                                        ; implicit-def: $vgpr18
                                        ; implicit-def: $vgpr20
                                        ; implicit-def: $vgpr22
                                        ; implicit-def: $vgpr24
                                        ; implicit-def: $vgpr40
                                        ; implicit-def: $vgpr2_vgpr3
                                        ; implicit-def: $vgpr4_vgpr5
                                        ; implicit-def: $vgpr8_vgpr9
                                        ; implicit-def: $vgpr6_vgpr7
	s_andn2_b64 vcc, exec, s[4:5]
	s_add_i32 s33, s33, s56
	s_cbranch_vccnz .LBB193_54
.LBB193_7:
	v_cmp_gt_u32_e32 vcc, s33, v0
                                        ; implicit-def: $vgpr1
	s_and_saveexec_b64 s[6:7], vcc
	s_cbranch_execz .LBB193_9
; %bb.8:
	v_lshlrev_b32_e32 v1, 2, v0
	v_add_co_u32_e64 v2, s[4:5], v11, v1
	v_addc_co_u32_e64 v3, s[4:5], 0, v41, s[4:5]
	flat_load_dword v1, v[2:3]
.LBB193_9:
	s_or_b64 exec, exec, s[6:7]
	v_or_b32_e32 v2, 0x100, v0
	v_cmp_gt_u32_e64 s[4:5], s33, v2
                                        ; implicit-def: $vgpr12
	s_and_saveexec_b64 s[8:9], s[4:5]
	s_cbranch_execz .LBB193_11
; %bb.10:
	v_lshlrev_b32_e32 v2, 2, v0
	v_add_co_u32_e64 v2, s[6:7], v11, v2
	v_addc_co_u32_e64 v3, s[6:7], 0, v41, s[6:7]
	flat_load_dword v12, v[2:3] offset:1024
.LBB193_11:
	s_or_b64 exec, exec, s[8:9]
	v_or_b32_e32 v2, 0x200, v0
	v_cmp_gt_u32_e64 s[6:7], s33, v2
                                        ; implicit-def: $vgpr13
	s_and_saveexec_b64 s[10:11], s[6:7]
	s_cbranch_execz .LBB193_13
; %bb.12:
	v_lshlrev_b32_e32 v2, 2, v0
	v_add_co_u32_e64 v2, s[8:9], v11, v2
	v_addc_co_u32_e64 v3, s[8:9], 0, v41, s[8:9]
	flat_load_dword v13, v[2:3] offset:2048
.LBB193_13:
	s_or_b64 exec, exec, s[10:11]
	v_or_b32_e32 v2, 0x300, v0
	v_cmp_gt_u32_e64 s[8:9], s33, v2
                                        ; implicit-def: $vgpr14
	s_and_saveexec_b64 s[12:13], s[8:9]
	s_cbranch_execz .LBB193_15
; %bb.14:
	v_lshlrev_b32_e32 v2, 2, v0
	v_add_co_u32_e64 v2, s[10:11], v11, v2
	v_addc_co_u32_e64 v3, s[10:11], 0, v41, s[10:11]
	flat_load_dword v14, v[2:3] offset:3072
.LBB193_15:
	s_or_b64 exec, exec, s[12:13]
	v_or_b32_e32 v2, 0x400, v0
	v_cmp_gt_u32_e64 s[10:11], s33, v2
	v_lshlrev_b32_e32 v2, 2, v2
                                        ; implicit-def: $vgpr15
	s_and_saveexec_b64 s[14:15], s[10:11]
	s_cbranch_execz .LBB193_17
; %bb.16:
	v_add_co_u32_e64 v4, s[12:13], v11, v2
	v_addc_co_u32_e64 v5, s[12:13], 0, v41, s[12:13]
	flat_load_dword v15, v[4:5]
.LBB193_17:
	s_or_b64 exec, exec, s[14:15]
	v_or_b32_e32 v3, 0x500, v0
	v_cmp_gt_u32_e64 s[12:13], s33, v3
	v_lshlrev_b32_e32 v3, 2, v3
                                        ; implicit-def: $vgpr16
	s_and_saveexec_b64 s[16:17], s[12:13]
	s_cbranch_execz .LBB193_19
; %bb.18:
	v_add_co_u32_e64 v4, s[14:15], v11, v3
	v_addc_co_u32_e64 v5, s[14:15], 0, v41, s[14:15]
	flat_load_dword v16, v[4:5]
.LBB193_19:
	s_or_b64 exec, exec, s[16:17]
	v_or_b32_e32 v4, 0x600, v0
	v_cmp_gt_u32_e64 s[14:15], s33, v4
	v_lshlrev_b32_e32 v4, 2, v4
                                        ; implicit-def: $vgpr17
	s_and_saveexec_b64 s[18:19], s[14:15]
	s_cbranch_execz .LBB193_21
; %bb.20:
	v_add_co_u32_e64 v6, s[16:17], v11, v4
	v_addc_co_u32_e64 v7, s[16:17], 0, v41, s[16:17]
	flat_load_dword v17, v[6:7]
.LBB193_21:
	s_or_b64 exec, exec, s[18:19]
	v_or_b32_e32 v5, 0x700, v0
	v_cmp_gt_u32_e64 s[16:17], s33, v5
	v_lshlrev_b32_e32 v5, 2, v5
                                        ; implicit-def: $vgpr18
	s_and_saveexec_b64 s[20:21], s[16:17]
	s_cbranch_execz .LBB193_23
; %bb.22:
	v_add_co_u32_e64 v6, s[18:19], v11, v5
	v_addc_co_u32_e64 v7, s[18:19], 0, v41, s[18:19]
	flat_load_dword v18, v[6:7]
.LBB193_23:
	s_or_b64 exec, exec, s[20:21]
	v_or_b32_e32 v6, 0x800, v0
	v_cmp_gt_u32_e64 s[18:19], s33, v6
	v_lshlrev_b32_e32 v6, 2, v6
                                        ; implicit-def: $vgpr19
	s_and_saveexec_b64 s[22:23], s[18:19]
	s_cbranch_execz .LBB193_25
; %bb.24:
	v_add_co_u32_e64 v8, s[20:21], v11, v6
	v_addc_co_u32_e64 v9, s[20:21], 0, v41, s[20:21]
	flat_load_dword v19, v[8:9]
.LBB193_25:
	s_or_b64 exec, exec, s[22:23]
	v_or_b32_e32 v7, 0x900, v0
	v_cmp_gt_u32_e64 s[20:21], s33, v7
	v_lshlrev_b32_e32 v7, 2, v7
                                        ; implicit-def: $vgpr20
	s_and_saveexec_b64 s[24:25], s[20:21]
	s_cbranch_execz .LBB193_27
; %bb.26:
	v_add_co_u32_e64 v8, s[22:23], v11, v7
	v_addc_co_u32_e64 v9, s[22:23], 0, v41, s[22:23]
	flat_load_dword v20, v[8:9]
.LBB193_27:
	s_or_b64 exec, exec, s[24:25]
	v_or_b32_e32 v8, 0xa00, v0
	v_cmp_gt_u32_e64 s[22:23], s33, v8
	v_lshlrev_b32_e32 v9, 2, v8
                                        ; implicit-def: $vgpr21
	s_and_saveexec_b64 s[26:27], s[22:23]
	s_cbranch_execz .LBB193_29
; %bb.28:
	v_add_co_u32_e64 v22, s[24:25], v11, v9
	v_addc_co_u32_e64 v23, s[24:25], 0, v41, s[24:25]
	flat_load_dword v21, v[22:23]
.LBB193_29:
	s_or_b64 exec, exec, s[26:27]
	v_or_b32_e32 v8, 0xb00, v0
	v_cmp_gt_u32_e64 s[24:25], s33, v8
	v_lshlrev_b32_e32 v27, 2, v8
                                        ; implicit-def: $vgpr22
	s_and_saveexec_b64 s[28:29], s[24:25]
	s_cbranch_execz .LBB193_31
; %bb.30:
	v_add_co_u32_e64 v22, s[26:27], v11, v27
	v_addc_co_u32_e64 v23, s[26:27], 0, v41, s[26:27]
	flat_load_dword v22, v[22:23]
.LBB193_31:
	s_or_b64 exec, exec, s[28:29]
	v_or_b32_e32 v8, 0xc00, v0
	v_cmp_gt_u32_e64 s[26:27], s33, v8
	v_lshlrev_b32_e32 v28, 2, v8
                                        ; implicit-def: $vgpr23
	s_and_saveexec_b64 s[30:31], s[26:27]
	s_cbranch_execz .LBB193_33
; %bb.32:
	v_add_co_u32_e64 v24, s[28:29], v11, v28
	v_addc_co_u32_e64 v25, s[28:29], 0, v41, s[28:29]
	flat_load_dword v23, v[24:25]
.LBB193_33:
	s_or_b64 exec, exec, s[30:31]
	v_or_b32_e32 v8, 0xd00, v0
	v_cmp_gt_u32_e64 s[28:29], s33, v8
	v_lshlrev_b32_e32 v29, 2, v8
                                        ; implicit-def: $vgpr24
	s_and_saveexec_b64 s[34:35], s[28:29]
	s_cbranch_execz .LBB193_35
; %bb.34:
	v_add_co_u32_e64 v24, s[30:31], v11, v29
	v_addc_co_u32_e64 v25, s[30:31], 0, v41, s[30:31]
	flat_load_dword v24, v[24:25]
.LBB193_35:
	s_or_b64 exec, exec, s[34:35]
	v_or_b32_e32 v8, 0xe00, v0
	v_cmp_gt_u32_e64 s[30:31], s33, v8
	v_lshlrev_b32_e32 v30, 2, v8
                                        ; implicit-def: $vgpr25
	s_and_saveexec_b64 s[38:39], s[30:31]
	s_cbranch_execz .LBB193_37
; %bb.36:
	v_add_co_u32_e64 v32, s[34:35], v11, v30
	v_addc_co_u32_e64 v33, s[34:35], 0, v41, s[34:35]
	flat_load_dword v25, v[32:33]
.LBB193_37:
	s_or_b64 exec, exec, s[38:39]
	v_lshlrev_b32_e32 v8, 2, v0
	v_mad_u32_u24 v40, v0, 56, v8
	s_waitcnt vmcnt(0) lgkmcnt(0)
	ds_write2st64_b32 v8, v1, v12 offset1:4
	ds_write2st64_b32 v8, v13, v14 offset0:8 offset1:12
	ds_write2st64_b32 v8, v15, v16 offset0:16 offset1:20
	;; [unrolled: 1-line block ×6, first 2 shown]
	ds_write_b32 v8, v25 offset:14336
	s_waitcnt lgkmcnt(0)
	s_barrier
	ds_read2_b32 v[24:25], v40 offset1:1
	ds_read2_b32 v[22:23], v40 offset0:2 offset1:3
	ds_read2_b32 v[20:21], v40 offset0:4 offset1:5
	;; [unrolled: 1-line block ×6, first 2 shown]
	ds_read_b32 v1, v40 offset:56
	s_waitcnt lgkmcnt(0)
	s_barrier
	s_waitcnt lgkmcnt(0)
                                        ; implicit-def: $vgpr31
	s_and_saveexec_b64 s[34:35], vcc
	s_cbranch_execnz .LBB193_61
; %bb.38:
	s_or_b64 exec, exec, s[34:35]
                                        ; implicit-def: $vgpr32
	s_and_saveexec_b64 s[34:35], s[4:5]
	s_cbranch_execnz .LBB193_62
.LBB193_39:
	s_or_b64 exec, exec, s[34:35]
                                        ; implicit-def: $vgpr33
	s_and_saveexec_b64 s[4:5], s[6:7]
	s_cbranch_execnz .LBB193_63
.LBB193_40:
	s_or_b64 exec, exec, s[4:5]
                                        ; implicit-def: $vgpr34
	s_and_saveexec_b64 s[4:5], s[8:9]
	s_cbranch_execnz .LBB193_64
.LBB193_41:
	s_or_b64 exec, exec, s[4:5]
                                        ; implicit-def: $vgpr35
	s_and_saveexec_b64 s[4:5], s[10:11]
	s_cbranch_execnz .LBB193_65
.LBB193_42:
	s_or_b64 exec, exec, s[4:5]
                                        ; implicit-def: $vgpr2
	s_and_saveexec_b64 s[4:5], s[12:13]
	s_cbranch_execnz .LBB193_66
.LBB193_43:
	s_or_b64 exec, exec, s[4:5]
                                        ; implicit-def: $vgpr3
	s_and_saveexec_b64 s[4:5], s[14:15]
	s_cbranch_execnz .LBB193_67
.LBB193_44:
	s_or_b64 exec, exec, s[4:5]
                                        ; implicit-def: $vgpr4
	s_and_saveexec_b64 s[4:5], s[16:17]
	s_cbranch_execnz .LBB193_68
.LBB193_45:
	s_or_b64 exec, exec, s[4:5]
                                        ; implicit-def: $vgpr5
	s_and_saveexec_b64 s[4:5], s[18:19]
	s_cbranch_execnz .LBB193_69
.LBB193_46:
	s_or_b64 exec, exec, s[4:5]
                                        ; implicit-def: $vgpr6
	s_and_saveexec_b64 s[4:5], s[20:21]
	s_cbranch_execnz .LBB193_70
.LBB193_47:
	s_or_b64 exec, exec, s[4:5]
                                        ; implicit-def: $vgpr7
	s_and_saveexec_b64 s[4:5], s[22:23]
	s_cbranch_execnz .LBB193_71
.LBB193_48:
	s_or_b64 exec, exec, s[4:5]
                                        ; implicit-def: $vgpr9
	s_and_saveexec_b64 s[4:5], s[24:25]
	s_cbranch_execnz .LBB193_72
.LBB193_49:
	s_or_b64 exec, exec, s[4:5]
                                        ; implicit-def: $vgpr27
	s_and_saveexec_b64 s[4:5], s[26:27]
	s_cbranch_execnz .LBB193_73
.LBB193_50:
	s_or_b64 exec, exec, s[4:5]
                                        ; implicit-def: $vgpr28
	s_and_saveexec_b64 s[4:5], s[28:29]
	s_cbranch_execnz .LBB193_74
.LBB193_51:
	s_or_b64 exec, exec, s[4:5]
                                        ; implicit-def: $vgpr29
	s_and_saveexec_b64 s[4:5], s[30:31]
	s_cbranch_execz .LBB193_53
.LBB193_52:
	v_add_co_u32_e32 v36, vcc, v10, v30
	v_addc_co_u32_e32 v37, vcc, 0, v26, vcc
	flat_load_dword v29, v[36:37]
.LBB193_53:
	s_or_b64 exec, exec, s[4:5]
	s_waitcnt vmcnt(0) lgkmcnt(0)
	ds_write2st64_b32 v8, v31, v32 offset1:4
	ds_write2st64_b32 v8, v33, v34 offset0:8 offset1:12
	ds_write2st64_b32 v8, v35, v2 offset0:16 offset1:20
	;; [unrolled: 1-line block ×6, first 2 shown]
	ds_write_b32 v8, v29 offset:14336
	v_mov_b32_e32 v8, v24
	v_mov_b32_e32 v9, v22
	;; [unrolled: 1-line block ×7, first 2 shown]
	s_waitcnt lgkmcnt(0)
	s_barrier
.LBB193_54:
	ds_read2_b32 v[38:39], v40 offset1:1
	ds_read2_b32 v[36:37], v40 offset0:2 offset1:3
	ds_read2_b32 v[34:35], v40 offset0:4 offset1:5
	;; [unrolled: 1-line block ×6, first 2 shown]
	ds_read_b32 v71, v40 offset:56
	s_cmp_eq_u64 s[40:41], 0
	s_cselect_b64 s[38:39], -1, 0
	s_cmp_lg_u64 s[40:41], 0
	s_mov_b64 s[34:35], 0
	s_cselect_b64 s[6:7], -1, 0
	s_and_b64 vcc, exec, s[48:49]
	s_waitcnt lgkmcnt(0)
	s_barrier
	s_cbranch_vccz .LBB193_60
; %bb.55:
	s_and_b64 vcc, exec, s[6:7]
	s_cbranch_vccz .LBB193_75
; %bb.56:
	v_add_co_u32_e32 v42, vcc, -4, v11
	v_addc_co_u32_e32 v43, vcc, -1, v41, vcc
	flat_load_dword v7, v[42:43]
	v_lshlrev_b32_e32 v10, 2, v0
	ds_write_b32 v10, v1
	s_waitcnt lgkmcnt(0)
	s_barrier
	s_and_saveexec_b64 s[4:5], s[2:3]
	s_cbranch_execz .LBB193_58
; %bb.57:
	s_waitcnt vmcnt(0)
	v_add_u32_e32 v7, -4, v10
	ds_read_b32 v7, v7
.LBB193_58:
	s_or_b64 exec, exec, s[4:5]
	v_cmp_neq_f32_e32 vcc, v8, v25
	v_cndmask_b32_e64 v67, 0, 1, vcc
	v_cmp_neq_f32_e32 vcc, v9, v25
	v_cndmask_b32_e64 v66, 0, 1, vcc
	;; [unrolled: 2-line block ×14, first 2 shown]
	s_waitcnt vmcnt(0) lgkmcnt(0)
	v_cmp_neq_f32_e64 s[4:5], v7, v24
	s_mov_b64 s[34:35], -1
.LBB193_59:
                                        ; implicit-def: $sgpr10
	s_branch .LBB193_87
.LBB193_60:
                                        ; implicit-def: $sgpr4_sgpr5
                                        ; implicit-def: $vgpr60
                                        ; implicit-def: $vgpr57
                                        ; implicit-def: $vgpr55
                                        ; implicit-def: $vgpr53
                                        ; implicit-def: $vgpr51
                                        ; implicit-def: $vgpr49
                                        ; implicit-def: $vgpr47
                                        ; implicit-def: $vgpr61
                                        ; implicit-def: $vgpr62
                                        ; implicit-def: $vgpr63
                                        ; implicit-def: $vgpr64
                                        ; implicit-def: $vgpr65
                                        ; implicit-def: $vgpr66
                                        ; implicit-def: $vgpr67
                                        ; implicit-def: $sgpr10
	s_cbranch_execnz .LBB193_79
	s_branch .LBB193_87
.LBB193_61:
	v_add_co_u32_e32 v32, vcc, v10, v8
	v_addc_co_u32_e32 v33, vcc, 0, v26, vcc
	flat_load_dword v31, v[32:33]
	s_or_b64 exec, exec, s[34:35]
                                        ; implicit-def: $vgpr32
	s_and_saveexec_b64 s[34:35], s[4:5]
	s_cbranch_execz .LBB193_39
.LBB193_62:
	v_add_co_u32_e32 v32, vcc, v10, v8
	v_addc_co_u32_e32 v33, vcc, 0, v26, vcc
	flat_load_dword v32, v[32:33] offset:1024
	s_or_b64 exec, exec, s[34:35]
                                        ; implicit-def: $vgpr33
	s_and_saveexec_b64 s[4:5], s[6:7]
	s_cbranch_execz .LBB193_40
.LBB193_63:
	v_add_co_u32_e32 v34, vcc, v10, v8
	v_addc_co_u32_e32 v35, vcc, 0, v26, vcc
	flat_load_dword v33, v[34:35] offset:2048
	s_or_b64 exec, exec, s[4:5]
                                        ; implicit-def: $vgpr34
	s_and_saveexec_b64 s[4:5], s[8:9]
	s_cbranch_execz .LBB193_41
.LBB193_64:
	v_add_co_u32_e32 v34, vcc, v10, v8
	v_addc_co_u32_e32 v35, vcc, 0, v26, vcc
	flat_load_dword v34, v[34:35] offset:3072
	s_or_b64 exec, exec, s[4:5]
                                        ; implicit-def: $vgpr35
	s_and_saveexec_b64 s[4:5], s[10:11]
	s_cbranch_execz .LBB193_42
.LBB193_65:
	v_add_co_u32_e32 v36, vcc, v10, v2
	v_addc_co_u32_e32 v37, vcc, 0, v26, vcc
	flat_load_dword v35, v[36:37]
	s_or_b64 exec, exec, s[4:5]
                                        ; implicit-def: $vgpr2
	s_and_saveexec_b64 s[4:5], s[12:13]
	s_cbranch_execz .LBB193_43
.LBB193_66:
	v_add_co_u32_e32 v2, vcc, v10, v3
	v_addc_co_u32_e32 v3, vcc, 0, v26, vcc
	flat_load_dword v2, v[2:3]
	s_or_b64 exec, exec, s[4:5]
                                        ; implicit-def: $vgpr3
	s_and_saveexec_b64 s[4:5], s[14:15]
	s_cbranch_execz .LBB193_44
.LBB193_67:
	v_add_co_u32_e32 v36, vcc, v10, v4
	v_addc_co_u32_e32 v37, vcc, 0, v26, vcc
	flat_load_dword v3, v[36:37]
	s_or_b64 exec, exec, s[4:5]
                                        ; implicit-def: $vgpr4
	s_and_saveexec_b64 s[4:5], s[16:17]
	s_cbranch_execz .LBB193_45
.LBB193_68:
	v_add_co_u32_e32 v4, vcc, v10, v5
	v_addc_co_u32_e32 v5, vcc, 0, v26, vcc
	flat_load_dword v4, v[4:5]
	s_or_b64 exec, exec, s[4:5]
                                        ; implicit-def: $vgpr5
	s_and_saveexec_b64 s[4:5], s[18:19]
	s_cbranch_execz .LBB193_46
.LBB193_69:
	v_add_co_u32_e32 v36, vcc, v10, v6
	v_addc_co_u32_e32 v37, vcc, 0, v26, vcc
	flat_load_dword v5, v[36:37]
	s_or_b64 exec, exec, s[4:5]
                                        ; implicit-def: $vgpr6
	s_and_saveexec_b64 s[4:5], s[20:21]
	s_cbranch_execz .LBB193_47
.LBB193_70:
	v_add_co_u32_e32 v6, vcc, v10, v7
	v_addc_co_u32_e32 v7, vcc, 0, v26, vcc
	flat_load_dword v6, v[6:7]
	s_or_b64 exec, exec, s[4:5]
                                        ; implicit-def: $vgpr7
	s_and_saveexec_b64 s[4:5], s[22:23]
	s_cbranch_execz .LBB193_48
.LBB193_71:
	v_add_co_u32_e32 v36, vcc, v10, v9
	v_addc_co_u32_e32 v37, vcc, 0, v26, vcc
	flat_load_dword v7, v[36:37]
	s_or_b64 exec, exec, s[4:5]
                                        ; implicit-def: $vgpr9
	s_and_saveexec_b64 s[4:5], s[24:25]
	s_cbranch_execz .LBB193_49
.LBB193_72:
	v_add_co_u32_e32 v36, vcc, v10, v27
	v_addc_co_u32_e32 v37, vcc, 0, v26, vcc
	flat_load_dword v9, v[36:37]
	s_or_b64 exec, exec, s[4:5]
                                        ; implicit-def: $vgpr27
	s_and_saveexec_b64 s[4:5], s[26:27]
	s_cbranch_execz .LBB193_50
.LBB193_73:
	v_add_co_u32_e32 v36, vcc, v10, v28
	v_addc_co_u32_e32 v37, vcc, 0, v26, vcc
	flat_load_dword v27, v[36:37]
	s_or_b64 exec, exec, s[4:5]
                                        ; implicit-def: $vgpr28
	s_and_saveexec_b64 s[4:5], s[28:29]
	s_cbranch_execz .LBB193_51
.LBB193_74:
	v_add_co_u32_e32 v28, vcc, v10, v29
	v_addc_co_u32_e32 v29, vcc, 0, v26, vcc
	flat_load_dword v28, v[28:29]
	s_or_b64 exec, exec, s[4:5]
                                        ; implicit-def: $vgpr29
	s_and_saveexec_b64 s[4:5], s[30:31]
	s_cbranch_execnz .LBB193_52
	s_branch .LBB193_53
.LBB193_75:
                                        ; implicit-def: $sgpr4_sgpr5
                                        ; implicit-def: $vgpr60
                                        ; implicit-def: $vgpr57
                                        ; implicit-def: $vgpr55
                                        ; implicit-def: $vgpr53
                                        ; implicit-def: $vgpr51
                                        ; implicit-def: $vgpr49
                                        ; implicit-def: $vgpr47
                                        ; implicit-def: $vgpr61
                                        ; implicit-def: $vgpr62
                                        ; implicit-def: $vgpr63
                                        ; implicit-def: $vgpr64
                                        ; implicit-def: $vgpr65
                                        ; implicit-def: $vgpr66
                                        ; implicit-def: $vgpr67
	s_cbranch_execz .LBB193_59
; %bb.76:
	v_cmp_neq_f32_e32 vcc, v25, v8
	v_cndmask_b32_e64 v67, 0, 1, vcc
	v_cmp_neq_f32_e32 vcc, v25, v9
	v_cndmask_b32_e64 v66, 0, 1, vcc
	;; [unrolled: 2-line block ×13, first 2 shown]
	v_cmp_neq_f32_e32 vcc, v13, v1
	v_lshlrev_b32_e32 v7, 2, v0
	v_cndmask_b32_e64 v60, 0, 1, vcc
	ds_write_b32 v7, v1
	s_waitcnt lgkmcnt(0)
	s_barrier
	s_waitcnt lgkmcnt(0)
                                        ; implicit-def: $sgpr4_sgpr5
	s_and_saveexec_b64 s[8:9], s[2:3]
	s_xor_b64 s[8:9], exec, s[8:9]
	s_cbranch_execz .LBB193_78
; %bb.77:
	v_add_u32_e32 v2, -4, v7
	ds_read_b32 v2, v2
	s_or_b64 s[34:35], s[34:35], exec
	s_waitcnt lgkmcnt(0)
	v_cmp_neq_f32_e32 vcc, v2, v24
	s_and_b64 s[4:5], vcc, exec
.LBB193_78:
	s_or_b64 exec, exec, s[8:9]
	s_mov_b32 s10, 1
	s_branch .LBB193_87
.LBB193_79:
	s_mul_hi_u32 s5, s40, 0xfffff100
	s_mul_i32 s4, s41, 0xfffff100
	s_sub_i32 s5, s5, s40
	s_add_i32 s5, s5, s4
	s_mul_i32 s4, s40, 0xfffff100
	s_add_u32 s40, s4, s56
	s_addc_u32 s41, s5, s57
	s_and_b64 vcc, exec, s[6:7]
	v_cmp_neq_f32_e64 s[30:31], v13, v1
	v_cmp_neq_f32_e64 s[28:29], v12, v13
	;; [unrolled: 1-line block ×14, first 2 shown]
	v_mad_u32_u24 v2, v0, 15, 14
	v_mad_u32_u24 v56, v0, 15, 13
	;; [unrolled: 1-line block ×14, first 2 shown]
	s_cbranch_vccz .LBB193_84
; %bb.80:
	v_add_co_u32_e32 v58, vcc, -4, v11
	v_addc_co_u32_e32 v59, vcc, -1, v41, vcc
	flat_load_dword v68, v[58:59]
	v_mov_b32_e32 v3, 0
	v_cmp_gt_u64_e32 vcc, s[40:41], v[2:3]
	v_mov_b32_e32 v57, v3
	s_and_b64 s[30:31], vcc, s[30:31]
	v_cmp_gt_u64_e32 vcc, s[40:41], v[56:57]
	v_mov_b32_e32 v55, v3
	s_and_b64 s[28:29], vcc, s[28:29]
	;; [unrolled: 3-line block ×13, first 2 shown]
	v_cmp_gt_u64_e32 vcc, s[40:41], v[4:5]
	v_lshlrev_b32_e32 v59, 2, v0
	v_mul_u32_u24_e32 v58, 15, v0
	s_and_b64 s[4:5], vcc, s[4:5]
	ds_write_b32 v59, v1
	s_waitcnt lgkmcnt(0)
	s_barrier
	s_and_saveexec_b64 s[34:35], s[2:3]
	s_cbranch_execz .LBB193_82
; %bb.81:
	v_add_u32_e32 v5, -4, v59
	s_waitcnt vmcnt(0)
	ds_read_b32 v68, v5
.LBB193_82:
	s_or_b64 exec, exec, s[34:35]
	v_mov_b32_e32 v59, v3
	v_cndmask_b32_e64 v67, 0, 1, s[4:5]
	v_cmp_gt_u64_e32 vcc, s[40:41], v[58:59]
	s_waitcnt vmcnt(0) lgkmcnt(0)
	v_cmp_neq_f32_e64 s[4:5], v68, v24
	v_cndmask_b32_e64 v60, 0, 1, s[30:31]
	v_cndmask_b32_e64 v57, 0, 1, s[28:29]
	v_cndmask_b32_e64 v55, 0, 1, s[26:27]
	v_cndmask_b32_e64 v53, 0, 1, s[24:25]
	v_cndmask_b32_e64 v51, 0, 1, s[22:23]
	v_cndmask_b32_e64 v49, 0, 1, s[20:21]
	v_cndmask_b32_e64 v47, 0, 1, s[18:19]
	v_cndmask_b32_e64 v61, 0, 1, s[16:17]
	v_cndmask_b32_e64 v62, 0, 1, s[14:15]
	v_cndmask_b32_e64 v63, 0, 1, s[12:13]
	v_cndmask_b32_e64 v64, 0, 1, s[10:11]
	v_cndmask_b32_e64 v65, 0, 1, s[8:9]
	v_cndmask_b32_e64 v66, 0, 1, s[6:7]
	s_and_b64 s[4:5], vcc, s[4:5]
	s_mov_b64 s[34:35], -1
.LBB193_83:
                                        ; implicit-def: $sgpr10
	v_mov_b32_e32 v46, s10
	s_and_saveexec_b64 s[2:3], s[34:35]
	s_cbranch_execnz .LBB193_88
	s_branch .LBB193_89
.LBB193_84:
                                        ; implicit-def: $sgpr4_sgpr5
                                        ; implicit-def: $vgpr60
                                        ; implicit-def: $vgpr57
                                        ; implicit-def: $vgpr55
                                        ; implicit-def: $vgpr53
                                        ; implicit-def: $vgpr51
                                        ; implicit-def: $vgpr49
                                        ; implicit-def: $vgpr47
                                        ; implicit-def: $vgpr61
                                        ; implicit-def: $vgpr62
                                        ; implicit-def: $vgpr63
                                        ; implicit-def: $vgpr64
                                        ; implicit-def: $vgpr65
                                        ; implicit-def: $vgpr66
                                        ; implicit-def: $vgpr67
	s_cbranch_execz .LBB193_83
; %bb.85:
	v_mov_b32_e32 v3, 0
	v_cmp_gt_u64_e32 vcc, s[40:41], v[2:3]
	v_cmp_neq_f32_e64 s[4:5], v13, v1
	s_and_b64 s[4:5], vcc, s[4:5]
	v_mov_b32_e32 v57, v3
	v_cndmask_b32_e64 v60, 0, 1, s[4:5]
	v_cmp_gt_u64_e32 vcc, s[40:41], v[56:57]
	v_cmp_neq_f32_e64 s[4:5], v12, v13
	s_and_b64 s[4:5], vcc, s[4:5]
	v_mov_b32_e32 v55, v3
	v_cndmask_b32_e64 v57, 0, 1, s[4:5]
	;; [unrolled: 5-line block ×13, first 2 shown]
	v_cmp_gt_u64_e32 vcc, s[40:41], v[4:5]
	v_cmp_neq_f32_e64 s[4:5], v24, v25
	s_and_b64 s[4:5], vcc, s[4:5]
	v_lshlrev_b32_e32 v58, 2, v0
	s_mov_b32 s10, 1
	v_cndmask_b32_e64 v67, 0, 1, s[4:5]
	ds_write_b32 v58, v1
	s_waitcnt lgkmcnt(0)
	s_barrier
	s_waitcnt lgkmcnt(0)
                                        ; implicit-def: $sgpr4_sgpr5
	s_and_saveexec_b64 s[6:7], s[2:3]
	s_cbranch_execz .LBB193_192
; %bb.86:
	v_add_u32_e32 v2, -4, v58
	ds_read_b32 v4, v2
	v_mul_u32_u24_e32 v2, 15, v0
	v_cmp_gt_u64_e32 vcc, s[40:41], v[2:3]
	s_or_b64 s[34:35], s[34:35], exec
	s_waitcnt lgkmcnt(0)
	v_cmp_neq_f32_e64 s[2:3], v4, v24
	s_and_b64 s[2:3], vcc, s[2:3]
	s_and_b64 s[4:5], s[2:3], exec
	s_or_b64 exec, exec, s[6:7]
.LBB193_87:
	v_mov_b32_e32 v46, s10
	s_and_saveexec_b64 s[2:3], s[34:35]
.LBB193_88:
	v_cndmask_b32_e64 v46, 0, 1, s[4:5]
.LBB193_89:
	s_or_b64 exec, exec, s[2:3]
	s_cmp_eq_u64 s[46:47], 0
	v_add3_u32 v2, v67, v46, v66
	s_cselect_b64 s[34:35], -1, 0
	s_cmp_lg_u32 s62, 0
	v_add_f32_e32 v76, v38, v39
	v_cmp_eq_u32_e64 s[26:27], 0, v67
	v_cmp_eq_u32_e64 s[24:25], 0, v66
	;; [unrolled: 1-line block ×3, first 2 shown]
	v_add3_u32 v75, v2, v65, v64
	v_cmp_eq_u32_e64 s[22:23], 0, v64
	v_cmp_eq_u32_e64 s[18:19], 0, v63
	;; [unrolled: 1-line block ×10, first 2 shown]
	v_cmp_eq_u32_e32 vcc, 0, v60
	v_mbcnt_lo_u32_b32 v74, -1, 0
	v_lshrrev_b32_e32 v72, 6, v0
	v_or_b32_e32 v73, 63, v0
	s_cbranch_scc0 .LBB193_116
; %bb.90:
	v_cndmask_b32_e64 v2, v39, v76, s[26:27]
	v_add_f32_e32 v2, v36, v2
	v_cndmask_b32_e64 v2, v36, v2, s[24:25]
	v_add_f32_e32 v2, v37, v2
	;; [unrolled: 2-line block ×11, first 2 shown]
	v_cndmask_b32_e64 v2, v26, v2, s[4:5]
	v_add3_u32 v3, v75, v63, v62
	v_add_f32_e32 v2, v27, v2
	v_add3_u32 v3, v3, v61, v47
	v_cndmask_b32_e64 v2, v27, v2, s[2:3]
	v_add3_u32 v3, v3, v49, v51
	v_add_f32_e32 v2, v71, v2
	v_add3_u32 v3, v3, v53, v55
	v_cndmask_b32_e32 v2, v71, v2, vcc
	v_add3_u32 v3, v3, v57, v60
	v_mbcnt_hi_u32_b32 v43, -1, v74
	v_mov_b32_dpp v6, v2 row_shr:1 row_mask:0xf bank_mask:0xf
	v_and_b32_e32 v4, 15, v43
	v_add_f32_e32 v6, v2, v6
	v_cmp_eq_u32_e32 vcc, 0, v3
	v_mov_b32_dpp v5, v3 row_shr:1 row_mask:0xf bank_mask:0xf
	v_cndmask_b32_e32 v6, v2, v6, vcc
	v_cmp_eq_u32_e32 vcc, 0, v4
	v_cndmask_b32_e64 v5, v5, 0, vcc
	v_cndmask_b32_e32 v2, v6, v2, vcc
	v_add_u32_e32 v3, v5, v3
	v_cmp_eq_u32_e32 vcc, 0, v3
	v_mov_b32_dpp v6, v2 row_shr:2 row_mask:0xf bank_mask:0xf
	v_add_f32_e32 v6, v2, v6
	v_mov_b32_dpp v5, v3 row_shr:2 row_mask:0xf bank_mask:0xf
	v_cndmask_b32_e32 v6, v2, v6, vcc
	v_cmp_lt_u32_e32 vcc, 1, v4
	v_cndmask_b32_e32 v2, v2, v6, vcc
	v_cndmask_b32_e32 v5, 0, v5, vcc
	v_add_u32_e32 v3, v3, v5
	v_mov_b32_dpp v6, v2 row_shr:4 row_mask:0xf bank_mask:0xf
	v_add_f32_e32 v6, v2, v6
	v_cmp_eq_u32_e32 vcc, 0, v3
	v_mov_b32_dpp v5, v3 row_shr:4 row_mask:0xf bank_mask:0xf
	v_cndmask_b32_e32 v6, v2, v6, vcc
	v_cmp_lt_u32_e32 vcc, 3, v4
	v_cndmask_b32_e32 v2, v2, v6, vcc
	v_cndmask_b32_e32 v5, 0, v5, vcc
	v_add_u32_e32 v3, v5, v3
	v_mov_b32_dpp v6, v2 row_shr:8 row_mask:0xf bank_mask:0xf
	v_add_f32_e32 v6, v2, v6
	v_cmp_eq_u32_e32 vcc, 0, v3
	v_mov_b32_dpp v5, v3 row_shr:8 row_mask:0xf bank_mask:0xf
	v_cndmask_b32_e32 v6, v2, v6, vcc
	v_cmp_lt_u32_e32 vcc, 7, v4
	v_cndmask_b32_e32 v2, v2, v6, vcc
	v_cndmask_b32_e32 v4, 0, v5, vcc
	v_add_u32_e32 v3, v4, v3
	v_mov_b32_dpp v5, v2 row_bcast:15 row_mask:0xf bank_mask:0xf
	v_bfe_i32 v6, v43, 4, 1
	v_mov_b32_dpp v4, v3 row_bcast:15 row_mask:0xf bank_mask:0xf
	v_and_b32_e32 v7, 16, v43
	v_add_f32_e32 v5, v2, v5
	v_cmp_eq_u32_e32 vcc, 0, v3
	v_cndmask_b32_e32 v5, v2, v5, vcc
	v_and_b32_e32 v4, v6, v4
	v_cmp_eq_u32_e32 vcc, 0, v7
	v_add_u32_e32 v4, v4, v3
	v_cndmask_b32_e32 v3, v5, v2, vcc
	v_cmp_eq_u32_e32 vcc, 0, v4
	v_mov_b32_dpp v2, v4 row_bcast:31 row_mask:0xf bank_mask:0xf
	v_mov_b32_dpp v5, v3 row_bcast:31 row_mask:0xf bank_mask:0xf
	v_add_f32_e32 v5, v3, v5
	v_cndmask_b32_e32 v6, v3, v5, vcc
	v_cmp_lt_u32_e32 vcc, 31, v43
	v_cndmask_b32_e32 v2, 0, v2, vcc
	v_add_u32_e32 v2, v2, v4
	v_cmp_eq_u32_e64 s[28:29], v73, v0
	v_lshlrev_b32_e32 v5, 3, v72
	v_cndmask_b32_e32 v4, v3, v6, vcc
	s_and_saveexec_b64 s[30:31], s[28:29]
	s_cbranch_execz .LBB193_92
; %bb.91:
	v_cndmask_b32_e32 v3, v3, v6, vcc
	ds_write_b64 v5, v[2:3] offset:2064
.LBB193_92:
	s_or_b64 exec, exec, s[30:31]
	v_cmp_gt_u32_e32 vcc, 4, v0
	s_waitcnt lgkmcnt(0)
	s_barrier
	s_and_saveexec_b64 s[30:31], vcc
	s_cbranch_execz .LBB193_94
; %bb.93:
	v_lshlrev_b32_e32 v3, 3, v0
	ds_read_b64 v[6:7], v3 offset:2064
	v_and_b32_e32 v8, 3, v43
	v_cmp_lt_u32_e64 s[28:29], 1, v8
	s_waitcnt lgkmcnt(0)
	v_mov_b32_dpp v10, v7 row_shr:1 row_mask:0xf bank_mask:0xf
	v_add_f32_e32 v10, v7, v10
	v_cmp_eq_u32_e32 vcc, 0, v6
	v_mov_b32_dpp v9, v6 row_shr:1 row_mask:0xf bank_mask:0xf
	v_cndmask_b32_e32 v10, v7, v10, vcc
	v_cmp_eq_u32_e32 vcc, 0, v8
	v_cndmask_b32_e64 v9, v9, 0, vcc
	v_add_u32_e32 v6, v9, v6
	v_cndmask_b32_e32 v7, v10, v7, vcc
	v_cmp_eq_u32_e32 vcc, 0, v6
	v_mov_b32_dpp v9, v6 row_shr:2 row_mask:0xf bank_mask:0xf
	v_mov_b32_dpp v10, v7 row_shr:2 row_mask:0xf bank_mask:0xf
	v_add_f32_e32 v10, v7, v10
	v_cndmask_b32_e64 v8, 0, v9, s[28:29]
	s_and_b64 vcc, s[28:29], vcc
	v_add_u32_e32 v6, v8, v6
	v_cndmask_b32_e32 v7, v7, v10, vcc
	ds_write_b64 v3, v[6:7] offset:2064
.LBB193_94:
	s_or_b64 exec, exec, s[30:31]
	v_cmp_gt_u32_e32 vcc, 64, v0
	v_cmp_lt_u32_e64 s[28:29], 63, v0
	v_mov_b32_e32 v40, 0
	v_mov_b32_e32 v41, 0
	s_waitcnt lgkmcnt(0)
	s_barrier
	s_and_saveexec_b64 s[30:31], s[28:29]
	s_cbranch_execz .LBB193_96
; %bb.95:
	ds_read_b64 v[40:41], v5 offset:2056
	v_cmp_eq_u32_e64 s[28:29], 0, v2
	s_waitcnt lgkmcnt(0)
	v_add_u32_e32 v3, v40, v2
	v_add_f32_e32 v5, v4, v41
	v_cndmask_b32_e64 v4, v4, v5, s[28:29]
	v_mov_b32_e32 v2, v3
.LBB193_96:
	s_or_b64 exec, exec, s[30:31]
	v_add_u32_e32 v3, -1, v43
	v_and_b32_e32 v5, 64, v43
	v_cmp_lt_i32_e64 s[28:29], v3, v5
	v_cndmask_b32_e64 v3, v3, v43, s[28:29]
	v_lshlrev_b32_e32 v3, 2, v3
	ds_bpermute_b32 v48, v3, v2
	ds_bpermute_b32 v50, v3, v4
	v_cmp_eq_u32_e64 s[28:29], 0, v43
	s_and_saveexec_b64 s[40:41], vcc
	s_cbranch_execz .LBB193_115
; %bb.97:
	v_mov_b32_e32 v11, 0
	ds_read_b64 v[2:3], v11 offset:2088
	s_waitcnt lgkmcnt(0)
	v_readfirstlane_b32 s48, v3
	s_and_saveexec_b64 s[30:31], s[28:29]
	s_cbranch_execz .LBB193_99
; %bb.98:
	s_add_i32 s46, s62, 64
	s_mov_b32 s47, 0
	s_lshl_b64 s[50:51], s[46:47], 4
	s_add_u32 s50, s44, s50
	s_addc_u32 s51, s45, s51
	s_and_b32 s57, s48, 0xff000000
	s_mov_b32 s56, s47
	s_and_b32 s65, s48, 0xff0000
	s_mov_b32 s64, s47
	s_or_b64 s[56:57], s[64:65], s[56:57]
	s_and_b32 s65, s48, 0xff00
	s_or_b64 s[56:57], s[56:57], s[64:65]
	s_and_b32 s65, s48, 0xff
	s_or_b64 s[46:47], s[56:57], s[64:65]
	v_mov_b32_e32 v9, s47
	v_mov_b32_e32 v10, 1
	;; [unrolled: 1-line block ×3, first 2 shown]
	v_pk_mov_b32 v[4:5], s[50:51], s[50:51] op_sel:[0,1]
	;;#ASMSTART
	global_store_dwordx4 v[4:5], v[8:11] off	
s_waitcnt vmcnt(0)
	;;#ASMEND
.LBB193_99:
	s_or_b64 exec, exec, s[30:31]
	v_xad_u32 v42, v43, -1, s62
	v_add_u32_e32 v10, 64, v42
	v_lshlrev_b64 v[4:5], 4, v[10:11]
	v_mov_b32_e32 v6, s45
	v_add_co_u32_e32 v4, vcc, s44, v4
	s_mov_b32 s30, 0x70605
	v_addc_co_u32_e32 v5, vcc, v6, v5, vcc
	;;#ASMSTART
	global_load_dwordx4 v[6:9], v[4:5] off glc	
s_waitcnt vmcnt(0)
	;;#ASMEND
	v_perm_b32 v45, v7, v8, s30
	s_mov_b32 s30, 0x1000706
	v_perm_b32 v52, v7, v8, s30
	s_mov_b32 s30, 0x2010007
	v_perm_b32 v54, v7, v8, s30
	v_lshlrev_b32_e32 v45, 8, v45
	s_mov_b32 s30, 0xc0c0500
	v_alignbit_b32 v9, v7, v6, 8
	v_alignbit_b32 v44, v7, v6, 16
	;; [unrolled: 1-line block ×3, first 2 shown]
	v_perm_b32 v7, v45, v7, s30
	v_lshlrev_b32_e32 v45, 16, v52
	v_and_b32_e32 v45, 0xff0000, v45
	v_lshlrev_b32_e32 v52, 24, v54
	v_or3_b32 v7, v7, v45, v52
	v_cmp_eq_u16_sdwa s[46:47], v8, v11 src0_sel:BYTE_0 src1_sel:DWORD
	s_and_saveexec_b64 s[30:31], s[46:47]
	s_cbranch_execz .LBB193_103
; %bb.100:
	s_mov_b64 s[46:47], 0
	v_mov_b32_e32 v10, 0
.LBB193_101:                            ; =>This Inner Loop Header: Depth=1
	;;#ASMSTART
	global_load_dwordx4 v[6:9], v[4:5] off glc	
s_waitcnt vmcnt(0)
	;;#ASMEND
	v_cmp_ne_u16_sdwa s[50:51], v8, v10 src0_sel:BYTE_0 src1_sel:DWORD
	s_or_b64 s[46:47], s[50:51], s[46:47]
	s_andn2_b64 exec, exec, s[46:47]
	s_cbranch_execnz .LBB193_101
; %bb.102:
	s_or_b64 exec, exec, s[46:47]
	s_mov_b32 s46, 0x70605
	v_perm_b32 v4, v7, v8, s46
	s_mov_b32 s46, 0x1000706
	v_perm_b32 v5, v7, v8, s46
	;; [unrolled: 2-line block ×3, first 2 shown]
	v_lshlrev_b32_e32 v4, 8, v4
	s_mov_b32 s46, 0xc0c0500
	v_lshlrev_b32_e32 v5, 16, v5
	v_alignbit_b32 v9, v7, v6, 8
	v_alignbit_b32 v44, v7, v6, 16
	v_alignbit_b32 v10, v7, v6, 24
	v_perm_b32 v4, v4, v7, s46
	v_lshlrev_b32_e32 v7, 24, v11
	v_and_b32_e32 v5, 0xff0000, v5
	v_or3_b32 v7, v4, v5, v7
.LBB193_103:
	s_or_b64 exec, exec, s[30:31]
	v_and_b32_e32 v54, 63, v43
	v_cmp_ne_u32_e32 vcc, 63, v54
	v_lshlrev_b32_e32 v5, 8, v9
	v_addc_co_u32_e32 v9, vcc, 0, v43, vcc
	v_lshlrev_b32_e32 v4, 16, v44
	s_mov_b32 s49, 0x4020c0c
	v_mov_b32_e32 v52, 2
	v_lshlrev_b32_e32 v56, 2, v9
	v_perm_b32 v4, v10, v4, s49
	v_and_b32_e32 v5, 0xff00, v5
	v_and_b32_e32 v6, 0xff, v6
	v_cmp_eq_u16_sdwa s[30:31], v8, v52 src0_sel:BYTE_0 src1_sel:DWORD
	v_lshlrev_b64 v[10:11], v43, -1
	ds_bpermute_b32 v9, v56, v7
	v_or3_b32 v4, v4, v5, v6
	v_and_b32_e32 v5, s31, v11
	v_or_b32_e32 v5, 0x80000000, v5
	v_and_b32_e32 v6, s30, v10
	v_ffbl_b32_e32 v5, v5
	v_add_u32_e32 v5, 32, v5
	v_ffbl_b32_e32 v6, v6
	v_min_u32_e32 v5, v6, v5
	s_waitcnt lgkmcnt(0)
	v_add_f32_e32 v9, v7, v9
	v_cmp_eq_u32_e32 vcc, 0, v4
	v_cndmask_b32_e32 v9, v7, v9, vcc
	v_cmp_lt_u32_e32 vcc, v54, v5
	v_cmp_gt_u32_e64 s[30:31], 62, v54
	v_cndmask_b32_e32 v7, v7, v9, vcc
	v_cndmask_b32_e64 v9, 0, 1, s[30:31]
	ds_bpermute_b32 v6, v56, v4
	v_lshlrev_b32_e32 v9, 1, v9
	v_add_lshl_u32 v58, v9, v43, 2
	ds_bpermute_b32 v9, v58, v7
	v_add_u32_e32 v59, 2, v54
	s_waitcnt lgkmcnt(1)
	v_cndmask_b32_e32 v6, 0, v6, vcc
	v_add_u32_e32 v4, v6, v4
	v_cmp_eq_u32_e32 vcc, 0, v4
	s_waitcnt lgkmcnt(0)
	v_add_f32_e32 v9, v7, v9
	v_cndmask_b32_e32 v9, v7, v9, vcc
	v_cmp_gt_u32_e32 vcc, v59, v5
	v_cmp_gt_u32_e64 s[30:31], 60, v54
	v_cndmask_b32_e32 v7, v9, v7, vcc
	v_cndmask_b32_e64 v9, 0, 1, s[30:31]
	ds_bpermute_b32 v6, v58, v4
	v_lshlrev_b32_e32 v9, 2, v9
	v_add_lshl_u32 v68, v9, v43, 2
	ds_bpermute_b32 v9, v68, v7
	v_add_u32_e32 v69, 4, v54
	s_waitcnt lgkmcnt(1)
	v_cndmask_b32_e64 v6, v6, 0, vcc
	v_add_u32_e32 v4, v4, v6
	v_cmp_eq_u32_e32 vcc, 0, v4
	s_waitcnt lgkmcnt(0)
	v_add_f32_e32 v9, v7, v9
	v_cndmask_b32_e32 v9, v7, v9, vcc
	v_cmp_gt_u32_e32 vcc, v69, v5
	v_cmp_gt_u32_e64 s[30:31], 56, v54
	v_cndmask_b32_e32 v7, v9, v7, vcc
	v_cndmask_b32_e64 v9, 0, 1, s[30:31]
	ds_bpermute_b32 v6, v68, v4
	v_lshlrev_b32_e32 v9, 3, v9
	v_add_lshl_u32 v70, v9, v43, 2
	ds_bpermute_b32 v9, v70, v7
	v_add_u32_e32 v77, 8, v54
	s_waitcnt lgkmcnt(1)
	v_cndmask_b32_e64 v6, v6, 0, vcc
	;; [unrolled: 16-line block ×3, first 2 shown]
	v_add_u32_e32 v4, v4, v6
	ds_bpermute_b32 v6, v78, v4
	s_waitcnt lgkmcnt(1)
	v_add_f32_e32 v9, v7, v9
	v_cmp_eq_u32_e32 vcc, 0, v4
	v_cndmask_b32_e32 v9, v7, v9, vcc
	v_cmp_gt_u32_e32 vcc, v79, v5
	v_cmp_gt_u32_e64 s[30:31], 32, v54
	v_cndmask_b32_e32 v7, v9, v7, vcc
	v_cndmask_b32_e64 v9, 0, 1, s[30:31]
	v_lshlrev_b32_e32 v9, 5, v9
	v_add_lshl_u32 v80, v9, v43, 2
	ds_bpermute_b32 v9, v80, v7
	s_waitcnt lgkmcnt(1)
	v_cndmask_b32_e64 v6, v6, 0, vcc
	v_add_u32_e32 v4, v4, v6
	ds_bpermute_b32 v6, v80, v4
	v_add_u32_e32 v81, 32, v54
	s_waitcnt lgkmcnt(1)
	v_add_f32_e32 v9, v7, v9
	v_cmp_eq_u32_e32 vcc, 0, v4
	v_cndmask_b32_e32 v9, v7, v9, vcc
	v_cmp_gt_u32_e32 vcc, v81, v5
	s_waitcnt lgkmcnt(0)
	v_cndmask_b32_e64 v5, v6, 0, vcc
	v_cndmask_b32_e32 v7, v9, v7, vcc
	v_add_u32_e32 v6, v5, v4
	v_mov_b32_e32 v43, 0
	s_mov_b32 s50, 0x70605
	s_mov_b32 s51, 0x1000706
	;; [unrolled: 1-line block ×4, first 2 shown]
	s_branch .LBB193_105
.LBB193_104:                            ;   in Loop: Header=BB193_105 Depth=1
	s_or_b64 exec, exec, s[30:31]
	v_lshlrev_b32_e32 v44, 16, v82
	v_lshlrev_b32_e32 v9, 8, v9
	v_perm_b32 v44, v83, v44, s49
	v_and_b32_e32 v9, 0xff00, v9
	v_and_b32_e32 v6, 0xff, v6
	v_cmp_eq_u16_sdwa s[30:31], v8, v52 src0_sel:BYTE_0 src1_sel:DWORD
	ds_bpermute_b32 v45, v56, v7
	v_or3_b32 v6, v44, v9, v6
	v_and_b32_e32 v9, s31, v11
	v_or_b32_e32 v9, 0x80000000, v9
	v_and_b32_e32 v44, s30, v10
	v_ffbl_b32_e32 v9, v9
	v_add_u32_e32 v9, 32, v9
	v_ffbl_b32_e32 v44, v44
	v_min_u32_e32 v9, v44, v9
	s_waitcnt lgkmcnt(0)
	v_add_f32_e32 v45, v7, v45
	v_cmp_eq_u32_e32 vcc, 0, v6
	ds_bpermute_b32 v44, v56, v6
	v_cndmask_b32_e32 v45, v7, v45, vcc
	v_cmp_lt_u32_e32 vcc, v54, v9
	v_cndmask_b32_e32 v7, v7, v45, vcc
	ds_bpermute_b32 v45, v58, v7
	s_waitcnt lgkmcnt(1)
	v_cndmask_b32_e32 v44, 0, v44, vcc
	v_add_u32_e32 v6, v44, v6
	v_cmp_eq_u32_e32 vcc, 0, v6
	ds_bpermute_b32 v44, v58, v6
	s_waitcnt lgkmcnt(1)
	v_add_f32_e32 v45, v7, v45
	v_cndmask_b32_e32 v45, v7, v45, vcc
	v_cmp_gt_u32_e32 vcc, v59, v9
	v_cndmask_b32_e32 v7, v45, v7, vcc
	ds_bpermute_b32 v45, v68, v7
	s_waitcnt lgkmcnt(1)
	v_cndmask_b32_e64 v44, v44, 0, vcc
	v_add_u32_e32 v6, v6, v44
	v_cmp_eq_u32_e32 vcc, 0, v6
	ds_bpermute_b32 v44, v68, v6
	s_waitcnt lgkmcnt(1)
	v_add_f32_e32 v45, v7, v45
	v_cndmask_b32_e32 v45, v7, v45, vcc
	v_cmp_gt_u32_e32 vcc, v69, v9
	v_cndmask_b32_e32 v7, v45, v7, vcc
	ds_bpermute_b32 v45, v70, v7
	s_waitcnt lgkmcnt(1)
	v_cndmask_b32_e64 v44, v44, 0, vcc
	v_add_u32_e32 v6, v6, v44
	ds_bpermute_b32 v44, v70, v6
	v_cmp_eq_u32_e32 vcc, 0, v6
	s_waitcnt lgkmcnt(1)
	v_add_f32_e32 v45, v7, v45
	v_cndmask_b32_e32 v45, v7, v45, vcc
	v_cmp_gt_u32_e32 vcc, v77, v9
	v_cndmask_b32_e32 v7, v45, v7, vcc
	ds_bpermute_b32 v45, v78, v7
	s_waitcnt lgkmcnt(1)
	v_cndmask_b32_e64 v44, v44, 0, vcc
	v_add_u32_e32 v6, v6, v44
	ds_bpermute_b32 v44, v78, v6
	v_cmp_eq_u32_e32 vcc, 0, v6
	s_waitcnt lgkmcnt(1)
	v_add_f32_e32 v45, v7, v45
	v_cndmask_b32_e32 v45, v7, v45, vcc
	v_cmp_gt_u32_e32 vcc, v79, v9
	v_cndmask_b32_e32 v7, v45, v7, vcc
	ds_bpermute_b32 v45, v80, v7
	s_waitcnt lgkmcnt(1)
	v_cndmask_b32_e64 v44, v44, 0, vcc
	v_add_u32_e32 v6, v6, v44
	ds_bpermute_b32 v44, v80, v6
	v_cmp_eq_u32_e32 vcc, 0, v6
	s_waitcnt lgkmcnt(1)
	v_add_f32_e32 v45, v7, v45
	v_cndmask_b32_e32 v45, v7, v45, vcc
	v_cmp_gt_u32_e32 vcc, v81, v9
	v_cndmask_b32_e32 v7, v45, v7, vcc
	s_waitcnt lgkmcnt(0)
	v_cndmask_b32_e64 v9, v44, 0, vcc
	v_add_f32_e32 v7, v5, v7
	v_cmp_eq_u32_e32 vcc, 0, v4
	v_subrev_u32_e32 v42, 64, v42
	v_add3_u32 v6, v6, v4, v9
	v_cndmask_b32_e32 v7, v5, v7, vcc
.LBB193_105:                            ; =>This Loop Header: Depth=1
                                        ;     Child Loop BB193_108 Depth 2
	v_cmp_ne_u16_sdwa s[30:31], v8, v52 src0_sel:BYTE_0 src1_sel:DWORD
	v_cndmask_b32_e64 v4, 0, 1, s[30:31]
	;;#ASMSTART
	;;#ASMEND
	v_cmp_ne_u32_e32 vcc, 0, v4
	v_mov_b32_e32 v5, v7
	s_cmp_lg_u64 vcc, exec
	v_mov_b32_e32 v4, v6
	s_cbranch_scc1 .LBB193_110
; %bb.106:                              ;   in Loop: Header=BB193_105 Depth=1
	v_lshlrev_b64 v[6:7], 4, v[42:43]
	v_mov_b32_e32 v8, s45
	v_add_co_u32_e32 v44, vcc, s44, v6
	v_addc_co_u32_e32 v45, vcc, v8, v7, vcc
	;;#ASMSTART
	global_load_dwordx4 v[6:9], v[44:45] off glc	
s_waitcnt vmcnt(0)
	;;#ASMEND
	v_perm_b32 v84, v7, v8, s50
	v_perm_b32 v85, v7, v8, s51
	v_lshlrev_b32_e32 v84, 8, v84
	v_alignbit_b32 v9, v7, v6, 8
	v_alignbit_b32 v82, v7, v6, 16
	;; [unrolled: 1-line block ×3, first 2 shown]
	v_perm_b32 v86, v7, v8, s56
	v_perm_b32 v7, v84, v7, s57
	v_lshlrev_b32_e32 v84, 16, v85
	v_and_b32_e32 v84, 0xff0000, v84
	v_lshlrev_b32_e32 v85, 24, v86
	v_or3_b32 v7, v7, v84, v85
	v_cmp_eq_u16_sdwa s[46:47], v8, v43 src0_sel:BYTE_0 src1_sel:DWORD
	s_and_saveexec_b64 s[30:31], s[46:47]
	s_cbranch_execz .LBB193_104
; %bb.107:                              ;   in Loop: Header=BB193_105 Depth=1
	s_mov_b64 s[46:47], 0
.LBB193_108:                            ;   Parent Loop BB193_105 Depth=1
                                        ; =>  This Inner Loop Header: Depth=2
	;;#ASMSTART
	global_load_dwordx4 v[6:9], v[44:45] off glc	
s_waitcnt vmcnt(0)
	;;#ASMEND
	v_cmp_ne_u16_sdwa s[64:65], v8, v43 src0_sel:BYTE_0 src1_sel:DWORD
	s_or_b64 s[46:47], s[64:65], s[46:47]
	s_andn2_b64 exec, exec, s[46:47]
	s_cbranch_execnz .LBB193_108
; %bb.109:                              ;   in Loop: Header=BB193_105 Depth=1
	s_or_b64 exec, exec, s[46:47]
	v_perm_b32 v44, v7, v8, s50
	v_perm_b32 v45, v7, v8, s51
	v_lshlrev_b32_e32 v44, 8, v44
	v_alignbit_b32 v9, v7, v6, 8
	v_alignbit_b32 v82, v7, v6, 16
	;; [unrolled: 1-line block ×3, first 2 shown]
	v_perm_b32 v84, v7, v8, s56
	v_perm_b32 v7, v44, v7, s57
	v_lshlrev_b32_e32 v44, 16, v45
	v_lshlrev_b32_e32 v45, 24, v84
	v_and_b32_e32 v44, 0xff0000, v44
	v_or3_b32 v7, v7, v44, v45
	s_branch .LBB193_104
.LBB193_110:                            ;   in Loop: Header=BB193_105 Depth=1
                                        ; implicit-def: $vgpr7
                                        ; implicit-def: $vgpr6
                                        ; implicit-def: $vgpr8
	s_cbranch_execz .LBB193_105
; %bb.111:
	s_and_saveexec_b64 s[30:31], s[28:29]
	s_cbranch_execz .LBB193_113
; %bb.112:
	s_mov_b32 s47, 0
	v_add_f32_e32 v7, s48, v5
	v_mov_b32_e32 v8, s48
	v_cmp_eq_u32_e32 vcc, 0, v2
	s_add_i32 s46, s62, 64
	v_cndmask_b32_e32 v7, v8, v7, vcc
	s_lshl_b64 s[46:47], s[46:47], 4
	s_add_u32 s46, s44, s46
	v_and_b32_e32 v8, 0xff000000, v7
	v_and_b32_e32 v10, 0xff0000, v7
	s_addc_u32 s47, s45, s47
	v_or_b32_e32 v8, v10, v8
	v_and_b32_e32 v10, 0xff00, v7
	v_and_b32_e32 v7, 0xff, v7
	v_add_u32_e32 v6, v4, v2
	v_mov_b32_e32 v9, 0
	v_or3_b32 v7, v8, v10, v7
	v_mov_b32_e32 v8, 2
	v_pk_mov_b32 v[10:11], s[46:47], s[46:47] op_sel:[0,1]
	;;#ASMSTART
	global_store_dwordx4 v[10:11], v[6:9] off	
s_waitcnt vmcnt(0)
	;;#ASMEND
	ds_write_b128 v9, v[2:5] offset:2048
.LBB193_113:
	s_or_b64 exec, exec, s[30:31]
	s_and_b64 exec, exec, s[0:1]
	s_cbranch_execz .LBB193_115
; %bb.114:
	v_mov_b32_e32 v2, 0
	ds_write_b64 v2, v[4:5] offset:2088
.LBB193_115:
	s_or_b64 exec, exec, s[40:41]
	v_mov_b32_e32 v4, 0
	s_waitcnt lgkmcnt(0)
	s_barrier
	ds_read_b64 v[2:3], v4 offset:2088
	v_cndmask_b32_e64 v5, v50, v41, s[28:29]
	v_cndmask_b32_e64 v6, v48, v40, s[28:29]
	v_cmp_eq_u32_e32 vcc, 0, v6
	s_waitcnt lgkmcnt(0)
	v_add_f32_e32 v7, v5, v3
	v_cndmask_b32_e32 v5, v5, v7, vcc
	v_cndmask_b32_e64 v70, v5, v3, s[0:1]
	v_cndmask_b32_e64 v3, v6, 0, s[0:1]
	v_add_u32_e32 v7, v2, v3
	v_add_f32_e32 v2, v38, v70
	v_cmp_eq_u32_e32 vcc, 0, v46
	v_cndmask_b32_e32 v69, v38, v2, vcc
	v_add_f32_e32 v2, v39, v69
	v_cndmask_b32_e64 v68, v39, v2, s[26:27]
	v_add_f32_e32 v2, v36, v68
	v_cndmask_b32_e64 v59, v36, v2, s[24:25]
	;; [unrolled: 2-line block ×11, first 2 shown]
	s_barrier
	ds_read_b128 v[2:5], v4 offset:2048
	v_add_f32_e32 v6, v26, v42
	v_cndmask_b32_e64 v41, v26, v6, s[4:5]
	v_add_f32_e32 v6, v27, v41
	v_cndmask_b32_e64 v44, v27, v6, s[2:3]
	s_waitcnt lgkmcnt(0)
	v_add_f32_e32 v5, v5, v3
	v_cmp_eq_u32_e32 vcc, 0, v2
	v_cndmask_b32_e32 v40, v3, v5, vcc
	v_mov_b32_e32 v6, v4
	v_mov_b32_e32 v5, v7
	s_branch .LBB193_128
.LBB193_116:
                                        ; implicit-def: $vgpr2
                                        ; implicit-def: $vgpr40
                                        ; implicit-def: $vgpr6
                                        ; implicit-def: $vgpr44
                                        ; implicit-def: $vgpr41
                                        ; implicit-def: $vgpr42
                                        ; implicit-def: $vgpr43
                                        ; implicit-def: $vgpr45
                                        ; implicit-def: $vgpr48
                                        ; implicit-def: $vgpr50
                                        ; implicit-def: $vgpr52
                                        ; implicit-def: $vgpr54
                                        ; implicit-def: $vgpr56
                                        ; implicit-def: $vgpr58
                                        ; implicit-def: $vgpr59
                                        ; implicit-def: $vgpr68
                                        ; implicit-def: $vgpr69
                                        ; implicit-def: $vgpr70
	s_cbranch_execz .LBB193_128
; %bb.117:
	s_and_b64 s[2:3], s[34:35], exec
	s_cselect_b32 s3, 0, s61
	s_cselect_b32 s2, 0, s60
	s_cmp_eq_u64 s[2:3], 0
	v_mov_b32_e32 v6, v38
	s_cbranch_scc1 .LBB193_119
; %bb.118:
	v_mov_b32_e32 v2, 0
	global_load_dword v6, v2, s[2:3]
.LBB193_119:
	v_cmp_eq_u32_e64 s[2:3], 0, v67
	v_cndmask_b32_e64 v2, v39, v76, s[2:3]
	v_add_f32_e32 v2, v36, v2
	v_cmp_eq_u32_e64 s[4:5], 0, v66
	v_cndmask_b32_e64 v2, v36, v2, s[4:5]
	v_add_f32_e32 v2, v37, v2
	;; [unrolled: 3-line block ×11, first 2 shown]
	v_cmp_eq_u32_e64 s[24:25], 0, v55
	v_cndmask_b32_e64 v2, v26, v2, s[24:25]
	v_add3_u32 v3, v75, v63, v62
	v_add_f32_e32 v2, v27, v2
	v_cmp_eq_u32_e32 vcc, 0, v57
	v_add3_u32 v3, v3, v61, v47
	v_cndmask_b32_e32 v2, v27, v2, vcc
	v_add3_u32 v3, v3, v49, v51
	v_add_f32_e32 v2, v71, v2
	v_cmp_eq_u32_e64 s[26:27], 0, v60
	v_add3_u32 v3, v3, v53, v55
	v_cndmask_b32_e64 v2, v71, v2, s[26:27]
	v_add3_u32 v3, v3, v57, v60
	v_mbcnt_hi_u32_b32 v7, -1, v74
	v_mov_b32_dpp v8, v2 row_shr:1 row_mask:0xf bank_mask:0xf
	v_and_b32_e32 v4, 15, v7
	v_add_f32_e32 v8, v2, v8
	v_cmp_eq_u32_e64 s[26:27], 0, v3
	v_mov_b32_dpp v5, v3 row_shr:1 row_mask:0xf bank_mask:0xf
	v_cndmask_b32_e64 v8, v2, v8, s[26:27]
	v_cmp_eq_u32_e64 s[26:27], 0, v4
	v_cndmask_b32_e64 v5, v5, 0, s[26:27]
	v_cndmask_b32_e64 v2, v8, v2, s[26:27]
	v_add_u32_e32 v3, v5, v3
	v_cmp_eq_u32_e64 s[26:27], 0, v3
	v_mov_b32_dpp v8, v2 row_shr:2 row_mask:0xf bank_mask:0xf
	v_add_f32_e32 v8, v2, v8
	v_mov_b32_dpp v5, v3 row_shr:2 row_mask:0xf bank_mask:0xf
	v_cndmask_b32_e64 v8, v2, v8, s[26:27]
	v_cmp_lt_u32_e64 s[26:27], 1, v4
	v_cndmask_b32_e64 v2, v2, v8, s[26:27]
	v_cndmask_b32_e64 v5, 0, v5, s[26:27]
	v_add_u32_e32 v3, v3, v5
	v_mov_b32_dpp v8, v2 row_shr:4 row_mask:0xf bank_mask:0xf
	v_add_f32_e32 v8, v2, v8
	v_cmp_eq_u32_e64 s[26:27], 0, v3
	v_mov_b32_dpp v5, v3 row_shr:4 row_mask:0xf bank_mask:0xf
	v_cndmask_b32_e64 v8, v2, v8, s[26:27]
	v_cmp_lt_u32_e64 s[26:27], 3, v4
	v_cndmask_b32_e64 v2, v2, v8, s[26:27]
	v_cndmask_b32_e64 v5, 0, v5, s[26:27]
	v_add_u32_e32 v3, v5, v3
	v_mov_b32_dpp v8, v2 row_shr:8 row_mask:0xf bank_mask:0xf
	v_add_f32_e32 v8, v2, v8
	v_cmp_eq_u32_e64 s[26:27], 0, v3
	v_mov_b32_dpp v5, v3 row_shr:8 row_mask:0xf bank_mask:0xf
	v_cndmask_b32_e64 v8, v2, v8, s[26:27]
	v_cmp_lt_u32_e64 s[26:27], 7, v4
	v_cndmask_b32_e64 v2, v2, v8, s[26:27]
	v_cndmask_b32_e64 v4, 0, v5, s[26:27]
	v_add_u32_e32 v3, v4, v3
	v_mov_b32_dpp v5, v2 row_bcast:15 row_mask:0xf bank_mask:0xf
	v_bfe_i32 v8, v7, 4, 1
	v_mov_b32_dpp v4, v3 row_bcast:15 row_mask:0xf bank_mask:0xf
	v_and_b32_e32 v9, 16, v7
	v_add_f32_e32 v5, v2, v5
	v_cmp_eq_u32_e64 s[26:27], 0, v3
	v_cndmask_b32_e64 v5, v2, v5, s[26:27]
	v_and_b32_e32 v4, v8, v4
	v_cmp_eq_u32_e64 s[26:27], 0, v9
	v_add_u32_e32 v3, v4, v3
	v_cndmask_b32_e64 v4, v5, v2, s[26:27]
	v_cmp_eq_u32_e64 s[26:27], 0, v3
	v_mov_b32_dpp v2, v3 row_bcast:31 row_mask:0xf bank_mask:0xf
	v_mov_b32_dpp v5, v4 row_bcast:31 row_mask:0xf bank_mask:0xf
	v_add_f32_e32 v5, v4, v5
	v_cndmask_b32_e64 v5, v4, v5, s[26:27]
	v_cmp_lt_u32_e64 s[26:27], 31, v7
	v_cndmask_b32_e64 v2, 0, v2, s[26:27]
	v_add_u32_e32 v2, v2, v3
	v_cmp_eq_u32_e64 s[28:29], v73, v0
	v_cndmask_b32_e64 v3, v4, v5, s[26:27]
	v_lshlrev_b32_e32 v5, 3, v72
	s_and_saveexec_b64 s[26:27], s[28:29]
	s_cbranch_execz .LBB193_121
; %bb.120:
	ds_write_b64 v5, v[2:3] offset:2064
.LBB193_121:
	s_or_b64 exec, exec, s[26:27]
	v_cmp_gt_u32_e64 s[26:27], 4, v0
	s_waitcnt lgkmcnt(0)
	s_barrier
	s_and_saveexec_b64 s[30:31], s[26:27]
	s_cbranch_execz .LBB193_123
; %bb.122:
	v_lshlrev_b32_e32 v4, 3, v0
	ds_read_b64 v[8:9], v4 offset:2064
	v_and_b32_e32 v10, 3, v7
	v_cmp_lt_u32_e64 s[28:29], 1, v10
	s_waitcnt lgkmcnt(0)
	v_mov_b32_dpp v40, v9 row_shr:1 row_mask:0xf bank_mask:0xf
	v_add_f32_e32 v40, v9, v40
	v_cmp_eq_u32_e64 s[26:27], 0, v8
	v_mov_b32_dpp v11, v8 row_shr:1 row_mask:0xf bank_mask:0xf
	v_cndmask_b32_e64 v40, v9, v40, s[26:27]
	v_cmp_eq_u32_e64 s[26:27], 0, v10
	v_cndmask_b32_e64 v11, v11, 0, s[26:27]
	v_add_u32_e32 v8, v11, v8
	v_cndmask_b32_e64 v9, v40, v9, s[26:27]
	v_cmp_eq_u32_e64 s[26:27], 0, v8
	v_mov_b32_dpp v11, v8 row_shr:2 row_mask:0xf bank_mask:0xf
	v_mov_b32_dpp v40, v9 row_shr:2 row_mask:0xf bank_mask:0xf
	v_add_f32_e32 v40, v9, v40
	v_cndmask_b32_e64 v10, 0, v11, s[28:29]
	s_and_b64 s[26:27], s[28:29], s[26:27]
	v_add_u32_e32 v8, v10, v8
	v_cndmask_b32_e64 v9, v9, v40, s[26:27]
	ds_write_b64 v4, v[8:9] offset:2064
.LBB193_123:
	s_or_b64 exec, exec, s[30:31]
	v_cmp_lt_u32_e64 s[26:27], 63, v0
	v_mov_b32_e32 v8, 0
	v_mov_b32_e32 v4, 0
	s_waitcnt vmcnt(0)
	v_mov_b32_e32 v9, v6
	s_waitcnt lgkmcnt(0)
	s_barrier
	s_and_saveexec_b64 s[28:29], s[26:27]
	s_cbranch_execz .LBB193_125
; %bb.124:
	ds_read_b64 v[4:5], v5 offset:2056
	s_waitcnt lgkmcnt(0)
	v_add_f32_e32 v9, v6, v5
	v_cmp_eq_u32_e64 s[26:27], 0, v4
	v_cndmask_b32_e64 v9, v5, v9, s[26:27]
.LBB193_125:
	s_or_b64 exec, exec, s[28:29]
	v_add_f32_e32 v10, v3, v9
	v_cmp_eq_u32_e64 s[26:27], 0, v2
	v_add_u32_e32 v5, v4, v2
	v_cndmask_b32_e64 v2, v3, v10, s[26:27]
	v_add_u32_e32 v3, -1, v7
	v_and_b32_e32 v10, 64, v7
	v_cmp_lt_i32_e64 s[26:27], v3, v10
	v_cndmask_b32_e64 v3, v3, v7, s[26:27]
	v_lshlrev_b32_e32 v3, 2, v3
	ds_bpermute_b32 v2, v3, v2
	ds_bpermute_b32 v5, v3, v5
	v_cmp_eq_u32_e64 s[26:27], 0, v7
	s_waitcnt lgkmcnt(1)
	v_cndmask_b32_e64 v70, v2, v9, s[26:27]
	v_cndmask_b32_e64 v2, v70, v6, s[0:1]
	s_waitcnt lgkmcnt(0)
	v_cndmask_b32_e64 v5, v5, v4, s[26:27]
	v_add_f32_e32 v2, v38, v2
	v_cmp_eq_u32_e64 s[26:27], 0, v46
	v_cndmask_b32_e64 v69, v38, v2, s[26:27]
	v_add_f32_e32 v2, v39, v69
	v_cndmask_b32_e64 v68, v39, v2, s[2:3]
	v_add_f32_e32 v2, v36, v68
	;; [unrolled: 2-line block ×10, first 2 shown]
	v_cndmask_b32_e64 v43, v28, v2, s[22:23]
	ds_read_b64 v[2:3], v8 offset:2088
	v_add_f32_e32 v4, v29, v43
	v_cndmask_b32_e64 v42, v29, v4, s[20:21]
	v_add_f32_e32 v4, v26, v42
	v_cndmask_b32_e64 v41, v26, v4, s[24:25]
	s_waitcnt lgkmcnt(0)
	v_add_f32_e32 v4, v6, v3
	v_cmp_eq_u32_e64 s[2:3], 0, v2
	v_add_f32_e32 v7, v27, v41
	v_cndmask_b32_e64 v40, v3, v4, s[2:3]
	s_and_saveexec_b64 s[2:3], s[0:1]
	s_cbranch_execz .LBB193_127
; %bb.126:
	s_add_u32 s4, s44, 0x400
	v_and_b32_e32 v3, 0xff000000, v40
	v_and_b32_e32 v4, 0xff0000, v40
	s_addc_u32 s5, s45, 0
	v_or_b32_e32 v3, v4, v3
	v_and_b32_e32 v4, 0xff00, v40
	v_and_b32_e32 v8, 0xff, v40
	v_mov_b32_e32 v5, 0
	v_or3_b32 v3, v3, v4, v8
	v_mov_b32_e32 v4, 2
	v_pk_mov_b32 v[8:9], s[4:5], s[4:5] op_sel:[0,1]
	;;#ASMSTART
	global_store_dwordx4 v[8:9], v[2:5] off	
s_waitcnt vmcnt(0)
	;;#ASMEND
	v_mov_b32_e32 v70, v6
.LBB193_127:
	s_or_b64 exec, exec, s[2:3]
	v_cndmask_b32_e32 v44, v27, v7, vcc
	v_mov_b32_e32 v6, 0
.LBB193_128:
	s_and_b64 s[2:3], s[34:35], exec
	s_cselect_b32 s3, 0, s59
	s_cselect_b32 s2, 0, s58
	s_cmp_eq_u64 s[2:3], 0
	v_pk_mov_b32 v[8:9], 0, 0
	s_barrier
	s_cbranch_scc1 .LBB193_130
; %bb.129:
	v_mov_b32_e32 v3, 0
	global_load_dwordx2 v[8:9], v3, s[2:3]
.LBB193_130:
	s_waitcnt vmcnt(0)
	v_lshlrev_b64 v[10:11], 2, v[8:9]
	v_mov_b32_e32 v7, s43
	v_add_co_u32_e32 v71, vcc, s42, v10
	v_addc_co_u32_e32 v72, vcc, v7, v11, vcc
	v_mov_b32_e32 v7, 0
	v_lshlrev_b64 v[26:27], 2, v[6:7]
	v_add_co_u32_e32 v7, vcc, v71, v26
	v_addc_co_u32_e32 v71, vcc, v72, v27, vcc
	v_cmp_eq_u32_e32 vcc, 0, v46
	v_cndmask_b32_e64 v72, 1, 2, vcc
	v_cmp_eq_u32_e32 vcc, 0, v67
	v_cndmask_b32_e64 v73, 1, 2, vcc
	v_cmp_eq_u32_e32 vcc, 0, v66
	v_and_b32_e32 v72, v73, v72
	v_cndmask_b32_e64 v73, 1, 2, vcc
	v_cmp_eq_u32_e32 vcc, 0, v65
	v_add_u32_e32 v39, v5, v46
	v_and_b32_e32 v72, v72, v73
	v_cndmask_b32_e64 v73, 1, 2, vcc
	v_cmp_eq_u32_e32 vcc, 0, v64
	v_add_u32_e32 v38, v39, v67
	;; [unrolled: 4-line block ×12, first 2 shown]
	v_and_b32_e32 v72, v72, v73
	v_cndmask_b32_e64 v73, 1, 2, vcc
	s_movk_i32 s34, 0x100
	v_add_u32_e32 v4, v28, v55
	v_and_b32_e32 v72, v72, v73
	v_cmp_gt_u32_e32 vcc, s34, v2
	v_add_u32_e32 v3, v4, v57
	v_cmp_ne_u32_e64 s[30:31], 0, v46
	v_cmp_ne_u32_e64 s[28:29], 0, v67
	;; [unrolled: 1-line block ×15, first 2 shown]
	s_mov_b64 s[40:41], -1
	v_cmp_gt_i16_e64 s[34:35], 2, v72
	s_cbranch_vccz .LBB193_137
; %bb.131:
	s_and_saveexec_b64 s[40:41], s[34:35]
	s_cbranch_execz .LBB193_136
; %bb.132:
	v_cmp_ne_u16_e32 vcc, 1, v72
	s_mov_b64 s[42:43], 0
	s_and_saveexec_b64 s[34:35], vcc
	s_xor_b64 s[34:35], exec, s[34:35]
	s_cbranch_execnz .LBB193_193
; %bb.133:
	s_andn2_saveexec_b64 s[34:35], s[34:35]
	s_cbranch_execnz .LBB193_209
.LBB193_134:
	s_or_b64 exec, exec, s[34:35]
	s_and_b64 exec, exec, s[42:43]
	s_cbranch_execz .LBB193_136
.LBB193_135:
	v_sub_u32_e32 v74, v3, v6
	v_mov_b32_e32 v75, 0
	v_lshlrev_b64 v[74:75], 2, v[74:75]
	v_add_co_u32_e32 v74, vcc, v7, v74
	v_addc_co_u32_e32 v75, vcc, v71, v75, vcc
	global_store_dword v[74:75], v1, off
.LBB193_136:
	s_or_b64 exec, exec, s[40:41]
	s_mov_b64 s[40:41], 0
.LBB193_137:
	s_and_b64 vcc, exec, s[40:41]
	s_cbranch_vccz .LBB193_159
; %bb.138:
	v_cmp_gt_i16_e32 vcc, 2, v72
	s_and_saveexec_b64 s[34:35], vcc
	s_cbranch_execz .LBB193_143
; %bb.139:
	v_cmp_ne_u16_e32 vcc, 1, v72
	s_mov_b64 s[42:43], 0
	s_and_saveexec_b64 s[40:41], vcc
	s_xor_b64 s[40:41], exec, s[40:41]
	s_cbranch_execnz .LBB193_210
; %bb.140:
	s_andn2_saveexec_b64 s[2:3], s[40:41]
	s_cbranch_execnz .LBB193_226
.LBB193_141:
	s_or_b64 exec, exec, s[2:3]
	s_and_b64 exec, exec, s[42:43]
	s_cbranch_execz .LBB193_143
.LBB193_142:
	v_sub_u32_e32 v12, v3, v6
	v_lshlrev_b32_e32 v12, 2, v12
	ds_write_b32 v12, v1
.LBB193_143:
	s_or_b64 exec, exec, s[34:35]
	v_cmp_lt_u32_e32 vcc, v0, v2
	s_waitcnt lgkmcnt(0)
	s_barrier
	s_and_saveexec_b64 s[4:5], vcc
	s_cbranch_execz .LBB193_158
; %bb.144:
	v_xad_u32 v1, v0, -1, v2
	s_movk_i32 s2, 0x1700
	v_cmp_gt_u32_e64 s[6:7], s2, v1
	s_movk_i32 s2, 0x16ff
	v_cmp_lt_u32_e32 vcc, s2, v1
	v_mov_b32_e32 v12, v0
	s_and_saveexec_b64 s[8:9], vcc
	s_cbranch_execz .LBB193_155
; %bb.145:
	v_sub_u32_e32 v12, v0, v2
	v_or_b32_e32 v12, 0xff, v12
	v_cmp_ge_u32_e32 vcc, v12, v0
	s_mov_b64 s[2:3], -1
	v_mov_b32_e32 v12, v0
	s_and_saveexec_b64 s[10:11], vcc
	s_cbranch_execz .LBB193_154
; %bb.146:
	v_lshrrev_b32_e32 v16, 8, v1
	v_add_u32_e32 v12, -1, v16
	v_or_b32_e32 v1, 0x100, v0
	v_lshrrev_b32_e32 v13, 1, v12
	v_add_u32_e32 v17, 1, v13
	v_cmp_lt_u32_e32 vcc, 13, v12
	v_mov_b32_e32 v20, 0
	v_pk_mov_b32 v[12:13], v[0:1], v[0:1] op_sel:[0,1]
	s_and_saveexec_b64 s[12:13], vcc
	s_cbranch_execz .LBB193_150
; %bb.147:
	v_and_b32_e32 v18, -8, v17
	v_lshlrev_b32_e32 v19, 2, v0
	s_mov_b32 s16, 0
	s_mov_b64 s[14:15], 0
	v_mov_b32_e32 v15, 0
	v_pk_mov_b32 v[12:13], v[0:1], v[0:1] op_sel:[0,1]
.LBB193_148:                            ; =>This Inner Loop Header: Depth=1
	v_mov_b32_e32 v14, v12
	v_add_u32_e32 v18, -8, v18
	v_lshlrev_b64 v[96:97], 2, v[14:15]
	v_mov_b32_e32 v14, v13
	ds_read2st64_b32 v[22:23], v19 offset1:4
	s_add_i32 s16, s16, 16
	v_cmp_eq_u32_e32 vcc, 0, v18
	v_lshlrev_b64 v[100:101], 2, v[14:15]
	v_add_u32_e32 v14, 0x200, v12
	s_or_b64 s[14:15], vcc, s[14:15]
	v_add_co_u32_e32 v100, vcc, v7, v100
	v_add_u32_e32 v20, 0x200, v13
	v_mov_b32_e32 v21, v15
	ds_read2st64_b32 v[24:25], v19 offset0:8 offset1:12
	ds_read2st64_b32 v[74:75], v19 offset0:16 offset1:20
	v_add_co_u32_e64 v96, s[2:3], v7, v96
	v_addc_co_u32_e32 v101, vcc, v71, v101, vcc
	v_lshlrev_b64 v[102:103], 2, v[14:15]
	v_lshlrev_b64 v[98:99], 2, v[20:21]
	v_addc_co_u32_e64 v97, s[2:3], v71, v97, s[2:3]
	v_add_u32_e32 v14, 0x400, v12
	v_add_co_u32_e32 v102, vcc, v7, v102
	v_add_u32_e32 v72, 0x400, v13
	v_mov_b32_e32 v73, v15
	ds_read2st64_b32 v[78:79], v19 offset0:24 offset1:28
	v_add_co_u32_e64 v98, s[2:3], v7, v98
	v_addc_co_u32_e32 v103, vcc, v71, v103, vcc
	v_lshlrev_b64 v[104:105], 2, v[14:15]
	ds_read2st64_b32 v[82:83], v19 offset0:32 offset1:36
	ds_read2st64_b32 v[86:87], v19 offset0:40 offset1:44
	;; [unrolled: 1-line block ×4, first 2 shown]
	v_lshlrev_b64 v[72:73], 2, v[72:73]
	v_addc_co_u32_e64 v99, s[2:3], v71, v99, s[2:3]
	v_add_u32_e32 v14, 0x600, v12
	s_waitcnt lgkmcnt(7)
	global_store_dword v[96:97], v22, off
	global_store_dword v[100:101], v23, off
	s_waitcnt lgkmcnt(6)
	global_store_dword v[102:103], v24, off
	global_store_dword v[98:99], v25, off
	v_add_co_u32_e32 v22, vcc, v7, v104
	v_add_u32_e32 v76, 0x600, v13
	v_mov_b32_e32 v77, v15
	v_add_co_u32_e64 v72, s[2:3], v7, v72
	v_addc_co_u32_e32 v23, vcc, v71, v105, vcc
	v_lshlrev_b64 v[24:25], 2, v[14:15]
	v_lshlrev_b64 v[76:77], 2, v[76:77]
	v_addc_co_u32_e64 v73, s[2:3], v71, v73, s[2:3]
	v_add_u32_e32 v14, 0x800, v12
	s_waitcnt lgkmcnt(5)
	global_store_dword v[22:23], v74, off
	global_store_dword v[72:73], v75, off
	v_add_co_u32_e32 v22, vcc, v7, v24
	v_add_u32_e32 v80, 0x800, v13
	v_mov_b32_e32 v81, v15
	v_add_co_u32_e64 v76, s[2:3], v7, v76
	v_addc_co_u32_e32 v23, vcc, v71, v25, vcc
	v_lshlrev_b64 v[24:25], 2, v[14:15]
	v_lshlrev_b64 v[80:81], 2, v[80:81]
	v_addc_co_u32_e64 v77, s[2:3], v71, v77, s[2:3]
	v_add_u32_e32 v14, 0xa00, v12
	;; [unrolled: 12-line block ×4, first 2 shown]
	s_waitcnt lgkmcnt(2)
	global_store_dword v[22:23], v86, off
	global_store_dword v[84:85], v87, off
	v_add_co_u32_e32 v22, vcc, v7, v24
	v_add_u32_e32 v92, 0xe00, v13
	v_mov_b32_e32 v93, v15
	v_add_co_u32_e64 v88, s[2:3], v7, v88
	v_addc_co_u32_e32 v23, vcc, v71, v25, vcc
	v_lshlrev_b64 v[24:25], 2, v[14:15]
	v_lshlrev_b64 v[92:93], 2, v[92:93]
	v_addc_co_u32_e64 v89, s[2:3], v71, v89, s[2:3]
	s_waitcnt lgkmcnt(1)
	global_store_dword v[22:23], v90, off
	global_store_dword v[88:89], v91, off
	v_add_co_u32_e32 v22, vcc, v7, v24
	v_add_u32_e32 v19, 0x4000, v19
	v_add_u32_e32 v13, 0x1000, v13
	v_mov_b32_e32 v20, s16
	v_add_co_u32_e64 v92, s[2:3], v7, v92
	v_add_u32_e32 v12, 0x1000, v12
	v_addc_co_u32_e32 v23, vcc, v71, v25, vcc
	v_addc_co_u32_e64 v93, s[2:3], v71, v93, s[2:3]
	s_waitcnt lgkmcnt(0)
	global_store_dword v[22:23], v94, off
	global_store_dword v[92:93], v95, off
	s_andn2_b64 exec, exec, s[14:15]
	s_cbranch_execnz .LBB193_148
; %bb.149:
	s_or_b64 exec, exec, s[14:15]
.LBB193_150:
	s_or_b64 exec, exec, s[12:13]
	v_and_b32_e32 v1, 7, v17
	v_cmp_ne_u32_e32 vcc, 0, v1
	s_and_saveexec_b64 s[12:13], vcc
	s_cbranch_execz .LBB193_153
; %bb.151:
	v_lshlrev_b32_e32 v14, 2, v0
	v_lshl_or_b32 v17, v20, 10, v14
	s_mov_b64 s[14:15], 0
	v_mov_b32_e32 v15, 0
.LBB193_152:                            ; =>This Inner Loop Header: Depth=1
	ds_read2st64_b32 v[18:19], v17 offset1:4
	v_mov_b32_e32 v14, v12
	v_add_u32_e32 v1, -1, v1
	v_lshlrev_b64 v[20:21], 2, v[14:15]
	v_mov_b32_e32 v14, v13
	v_cmp_eq_u32_e32 vcc, 0, v1
	v_add_co_u32_e64 v20, s[2:3], v7, v20
	v_lshlrev_b64 v[22:23], 2, v[14:15]
	v_add_u32_e32 v12, 0x200, v12
	v_add_u32_e32 v17, 0x800, v17
	;; [unrolled: 1-line block ×3, first 2 shown]
	v_addc_co_u32_e64 v21, s[2:3], v71, v21, s[2:3]
	s_or_b64 s[14:15], vcc, s[14:15]
	v_add_co_u32_e32 v22, vcc, v7, v22
	v_addc_co_u32_e32 v23, vcc, v71, v23, vcc
	s_waitcnt lgkmcnt(0)
	global_store_dword v[20:21], v18, off
	global_store_dword v[22:23], v19, off
	s_andn2_b64 exec, exec, s[14:15]
	s_cbranch_execnz .LBB193_152
.LBB193_153:
	s_or_b64 exec, exec, s[12:13]
	v_add_u32_e32 v1, 1, v16
	v_and_b32_e32 v13, 0x1fffffe, v1
	v_cmp_ne_u32_e32 vcc, v1, v13
	v_lshl_or_b32 v12, v13, 8, v0
	s_orn2_b64 s[2:3], vcc, exec
.LBB193_154:
	s_or_b64 exec, exec, s[10:11]
	s_andn2_b64 s[6:7], s[6:7], exec
	s_and_b64 s[2:3], s[2:3], exec
	s_or_b64 s[6:7], s[6:7], s[2:3]
.LBB193_155:
	s_or_b64 exec, exec, s[8:9]
	s_and_b64 exec, exec, s[6:7]
	s_cbranch_execz .LBB193_158
; %bb.156:
	v_lshlrev_b32_e32 v1, 2, v12
	s_mov_b64 s[2:3], 0
	v_mov_b32_e32 v13, 0
.LBB193_157:                            ; =>This Inner Loop Header: Depth=1
	v_lshlrev_b64 v[14:15], 2, v[12:13]
	ds_read_b32 v16, v1
	v_add_co_u32_e32 v14, vcc, v7, v14
	v_add_u32_e32 v12, 0x100, v12
	v_addc_co_u32_e32 v15, vcc, v71, v15, vcc
	v_cmp_ge_u32_e32 vcc, v12, v2
	v_add_u32_e32 v1, 0x400, v1
	s_or_b64 s[2:3], vcc, s[2:3]
	s_waitcnt lgkmcnt(0)
	global_store_dword v[14:15], v16, off
	s_andn2_b64 exec, exec, s[2:3]
	s_cbranch_execnz .LBB193_157
.LBB193_158:
	s_or_b64 exec, exec, s[4:5]
.LBB193_159:
	s_cmpk_lg_i32 s33, 0xf00
	s_cselect_b64 s[2:3], -1, 0
	s_and_b64 s[0:1], s[0:1], s[38:39]
	v_cndmask_b32_e64 v12, v46, 0, s[0:1]
	s_mul_hi_u32 s0, s33, 0x88888889
	s_lshr_b32 s0, s0, 3
	v_mad_i32_i24 v13, v0, -15, s33
	v_cmp_eq_u32_e32 vcc, s0, v0
	v_cmp_ne_u32_e64 s[0:1], 0, v13
	v_cndmask_b32_e64 v14, 1, v12, s[0:1]
	v_cmp_ne_u32_e64 s[0:1], 1, v13
	v_cndmask_b32_e64 v15, 1, v67, s[0:1]
	v_cmp_ne_u32_e64 s[0:1], 2, v13
	v_cndmask_b32_e64 v17, 1, v66, s[0:1]
	v_cmp_ne_u32_e64 s[0:1], 3, v13
	v_cndmask_b32_e64 v18, 1, v65, s[0:1]
	v_cmp_ne_u32_e64 s[0:1], 4, v13
	v_cndmask_b32_e64 v19, 1, v64, s[0:1]
	v_cmp_ne_u32_e64 s[0:1], 5, v13
	v_cndmask_b32_e64 v20, 1, v63, s[0:1]
	v_cmp_ne_u32_e64 s[0:1], 6, v13
	v_cndmask_b32_e64 v21, 1, v62, s[0:1]
	v_cmp_ne_u32_e64 s[0:1], 7, v13
	v_cndmask_b32_e64 v22, 1, v61, s[0:1]
	v_cmp_ne_u32_e64 s[0:1], 8, v13
	v_cndmask_b32_e64 v23, 1, v47, s[0:1]
	v_cmp_ne_u32_e64 s[0:1], 9, v13
	v_cndmask_b32_e64 v24, 1, v49, s[0:1]
	v_cmp_ne_u32_e64 s[0:1], 10, v13
	v_cndmask_b32_e64 v25, 1, v51, s[0:1]
	v_cmp_ne_u32_e64 s[0:1], 11, v13
	v_cndmask_b32_e64 v46, 1, v53, s[0:1]
	v_cmp_ne_u32_e64 s[0:1], 12, v13
	v_cndmask_b32_e64 v71, 1, v55, s[0:1]
	v_cmp_ne_u32_e64 s[0:1], 13, v13
	v_cndmask_b32_e64 v72, 1, v57, s[0:1]
	v_cmp_ne_u32_e64 s[0:1], 14, v13
	v_cndmask_b32_e64 v13, 1, v60, s[0:1]
	s_and_b64 vcc, vcc, s[36:37]
	v_cndmask_b32_e32 v60, v60, v13, vcc
	v_cndmask_b32_e32 v57, v57, v72, vcc
	;; [unrolled: 1-line block ×15, first 2 shown]
	v_mov_b32_e32 v12, s53
	v_add_co_u32_e32 v10, vcc, s52, v10
	v_addc_co_u32_e32 v11, vcc, v12, v11, vcc
	v_cndmask_b32_e64 v1, 0, 1, s[38:39]
	v_add_co_u32_e32 v12, vcc, v10, v26
	v_addc_co_u32_e32 v13, vcc, v11, v27, vcc
	v_lshlrev_b32_e32 v10, 2, v1
	v_add_co_u32_e32 v10, vcc, v10, v12
	v_addc_co_u32_e32 v11, vcc, 0, v13, vcc
	v_add_co_u32_e32 v14, vcc, -4, v10
	v_addc_co_u32_e32 v15, vcc, -1, v11, vcc
	v_cmp_eq_u32_e32 vcc, 0, v49
	v_cndmask_b32_e64 v11, 1, 2, vcc
	v_cmp_eq_u32_e32 vcc, 0, v47
	v_cndmask_b32_e64 v26, 1, 2, vcc
	v_cmp_eq_u32_e32 vcc, 0, v17
	v_and_b32_e32 v11, v26, v11
	v_cmp_ne_u32_e64 s[24:25], 0, v17
	v_cndmask_b32_e64 v17, 1, 2, vcc
	v_cmp_eq_u32_e32 vcc, 0, v18
	v_and_b32_e32 v11, v11, v17
	v_cndmask_b32_e64 v17, 1, 2, vcc
	v_cmp_eq_u32_e32 vcc, 0, v19
	v_and_b32_e32 v11, v11, v17
	;; [unrolled: 3-line block ×9, first 2 shown]
	v_cndmask_b32_e64 v17, 1, 2, vcc
	v_cmp_eq_u32_e32 vcc, 0, v55
	s_and_b64 s[2:3], s[2:3], s[36:37]
	v_and_b32_e32 v11, v11, v17
	v_cndmask_b32_e64 v17, 1, 2, vcc
	v_cmp_eq_u32_e32 vcc, 0, v57
	v_sub_u32_e32 v7, v2, v1
	v_cndmask_b32_e64 v16, 0, 1, s[2:3]
	v_and_b32_e32 v11, v11, v17
	v_cndmask_b32_e64 v17, 1, 2, vcc
	v_cmp_eq_u32_e32 vcc, 0, v60
	v_add_u32_e32 v7, v7, v16
	v_and_b32_e32 v11, v11, v17
	v_cndmask_b32_e64 v17, 1, 2, vcc
	s_movk_i32 s30, 0x100
	v_and_b32_e32 v11, v11, v17
	v_cmp_gt_u32_e32 vcc, s30, v7
	v_add_u32_e32 v10, v6, v1
	v_cmp_ne_u32_e64 s[28:29], 0, v49
	v_cmp_ne_u32_e64 s[26:27], 0, v47
	;; [unrolled: 1-line block ×14, first 2 shown]
	s_mov_b64 s[34:35], -1
	v_cmp_gt_i16_e64 s[30:31], 2, v11
	s_barrier
	s_cbranch_vccz .LBB193_166
; %bb.160:
	s_and_saveexec_b64 s[34:35], s[30:31]
	s_cbranch_execz .LBB193_165
; %bb.161:
	v_cmp_ne_u16_e32 vcc, 1, v11
	s_mov_b64 s[38:39], 0
	s_and_saveexec_b64 s[30:31], vcc
	s_xor_b64 s[30:31], exec, s[30:31]
	s_cbranch_execnz .LBB193_227
; %bb.162:
	s_andn2_saveexec_b64 s[30:31], s[30:31]
	s_cbranch_execnz .LBB193_243
.LBB193_163:
	s_or_b64 exec, exec, s[30:31]
	s_and_b64 exec, exec, s[38:39]
	s_cbranch_execz .LBB193_165
.LBB193_164:
	v_sub_u32_e32 v18, v3, v10
	v_mov_b32_e32 v19, 0
	v_lshlrev_b64 v[18:19], 2, v[18:19]
	v_add_co_u32_e32 v18, vcc, v14, v18
	v_addc_co_u32_e32 v19, vcc, v15, v19, vcc
	global_store_dword v[18:19], v44, off
.LBB193_165:
	s_or_b64 exec, exec, s[34:35]
	s_mov_b64 s[34:35], 0
.LBB193_166:
	s_and_b64 vcc, exec, s[34:35]
	s_cbranch_vccz .LBB193_188
; %bb.167:
	v_cmp_gt_i16_e32 vcc, 2, v11
	s_and_saveexec_b64 s[30:31], vcc
	s_cbranch_execz .LBB193_172
; %bb.168:
	v_cmp_ne_u16_e32 vcc, 1, v11
	s_mov_b64 s[38:39], 0
	s_and_saveexec_b64 s[34:35], vcc
	s_xor_b64 s[34:35], exec, s[34:35]
	s_cbranch_execnz .LBB193_244
; %bb.169:
	s_andn2_saveexec_b64 s[0:1], s[34:35]
	s_cbranch_execnz .LBB193_260
.LBB193_170:
	s_or_b64 exec, exec, s[0:1]
	s_and_b64 exec, exec, s[38:39]
	s_cbranch_execz .LBB193_172
.LBB193_171:
	v_sub_u32_e32 v3, v3, v10
	v_lshlrev_b32_e32 v3, 2, v3
	ds_write_b32 v3, v44
.LBB193_172:
	s_or_b64 exec, exec, s[30:31]
	v_cmp_lt_u32_e32 vcc, v0, v7
	s_waitcnt lgkmcnt(0)
	s_barrier
	s_and_saveexec_b64 s[2:3], vcc
	s_cbranch_execz .LBB193_187
; %bb.173:
	v_add_u32_e32 v5, v2, v16
	v_xad_u32 v3, v0, -1, v5
	v_sub_u32_e32 v3, v3, v1
	s_movk_i32 s0, 0x1900
	v_cmp_gt_u32_e64 s[4:5], s0, v3
	s_movk_i32 s0, 0x18ff
	v_cmp_lt_u32_e32 vcc, s0, v3
	v_mov_b32_e32 v4, v0
	s_and_saveexec_b64 s[6:7], vcc
	s_cbranch_execz .LBB193_184
; %bb.174:
	v_sub_u32_e32 v4, v0, v5
	v_add_u32_e32 v1, v4, v1
	v_or_b32_e32 v1, 0xff, v1
	v_cmp_ge_u32_e32 vcc, v1, v0
	s_mov_b64 s[0:1], -1
	v_mov_b32_e32 v4, v0
	s_and_saveexec_b64 s[8:9], vcc
	s_cbranch_execz .LBB193_183
; %bb.175:
	v_lshrrev_b32_e32 v3, 8, v3
	v_add_u32_e32 v4, -1, v3
	v_or_b32_e32 v1, 0x100, v0
	v_lshrrev_b32_e32 v5, 1, v4
	v_add_u32_e32 v17, 1, v5
	v_cmp_lt_u32_e32 vcc, 13, v4
	v_mov_b32_e32 v20, 0
	v_lshlrev_b32_e32 v16, 2, v0
	v_pk_mov_b32 v[4:5], v[0:1], v[0:1] op_sel:[0,1]
	s_and_saveexec_b64 s[10:11], vcc
	s_cbranch_execz .LBB193_179
; %bb.176:
	v_and_b32_e32 v18, -8, v17
	s_mov_b32 s14, 0
	s_mov_b64 s[12:13], 0
	v_mov_b32_e32 v11, 0
	v_mov_b32_e32 v19, v16
	v_pk_mov_b32 v[4:5], v[0:1], v[0:1] op_sel:[0,1]
.LBB193_177:                            ; =>This Inner Loop Header: Depth=1
	v_mov_b32_e32 v10, v4
	v_add_u32_e32 v18, -8, v18
	v_lshlrev_b64 v[52:53], 2, v[10:11]
	v_mov_b32_e32 v10, v5
	ds_read2st64_b32 v[22:23], v19 offset1:4
	s_add_i32 s14, s14, 16
	v_cmp_eq_u32_e32 vcc, 0, v18
	v_lshlrev_b64 v[56:57], 2, v[10:11]
	v_add_u32_e32 v10, 0x200, v4
	s_or_b64 s[12:13], vcc, s[12:13]
	v_add_co_u32_e32 v56, vcc, v14, v56
	v_add_u32_e32 v20, 0x200, v5
	v_mov_b32_e32 v21, v11
	ds_read2st64_b32 v[24:25], v19 offset0:8 offset1:12
	ds_read2st64_b32 v[28:29], v19 offset0:16 offset1:20
	v_add_co_u32_e64 v52, s[0:1], v14, v52
	v_addc_co_u32_e32 v57, vcc, v15, v57, vcc
	v_lshlrev_b64 v[58:59], 2, v[10:11]
	v_lshlrev_b64 v[54:55], 2, v[20:21]
	v_addc_co_u32_e64 v53, s[0:1], v15, v53, s[0:1]
	v_add_u32_e32 v10, 0x400, v4
	v_add_co_u32_e32 v58, vcc, v14, v58
	v_add_u32_e32 v26, 0x400, v5
	v_mov_b32_e32 v27, v11
	ds_read2st64_b32 v[32:33], v19 offset0:24 offset1:28
	v_add_co_u32_e64 v54, s[0:1], v14, v54
	v_addc_co_u32_e32 v59, vcc, v15, v59, vcc
	v_lshlrev_b64 v[60:61], 2, v[10:11]
	ds_read2st64_b32 v[36:37], v19 offset0:32 offset1:36
	ds_read2st64_b32 v[42:43], v19 offset0:40 offset1:44
	;; [unrolled: 1-line block ×4, first 2 shown]
	v_lshlrev_b64 v[26:27], 2, v[26:27]
	v_addc_co_u32_e64 v55, s[0:1], v15, v55, s[0:1]
	v_add_u32_e32 v10, 0x600, v4
	s_waitcnt lgkmcnt(7)
	global_store_dword v[52:53], v22, off
	global_store_dword v[56:57], v23, off
	s_waitcnt lgkmcnt(6)
	global_store_dword v[58:59], v24, off
	global_store_dword v[54:55], v25, off
	v_add_co_u32_e32 v22, vcc, v14, v60
	v_add_u32_e32 v30, 0x600, v5
	v_mov_b32_e32 v31, v11
	v_add_co_u32_e64 v26, s[0:1], v14, v26
	v_addc_co_u32_e32 v23, vcc, v15, v61, vcc
	v_lshlrev_b64 v[24:25], 2, v[10:11]
	v_lshlrev_b64 v[30:31], 2, v[30:31]
	v_addc_co_u32_e64 v27, s[0:1], v15, v27, s[0:1]
	v_add_u32_e32 v10, 0x800, v4
	s_waitcnt lgkmcnt(5)
	global_store_dword v[22:23], v28, off
	global_store_dword v[26:27], v29, off
	v_add_co_u32_e32 v22, vcc, v14, v24
	v_add_u32_e32 v34, 0x800, v5
	v_mov_b32_e32 v35, v11
	v_add_co_u32_e64 v30, s[0:1], v14, v30
	v_addc_co_u32_e32 v23, vcc, v15, v25, vcc
	v_lshlrev_b64 v[24:25], 2, v[10:11]
	v_lshlrev_b64 v[34:35], 2, v[34:35]
	v_addc_co_u32_e64 v31, s[0:1], v15, v31, s[0:1]
	v_add_u32_e32 v10, 0xa00, v4
	;; [unrolled: 12-line block ×4, first 2 shown]
	s_waitcnt lgkmcnt(2)
	global_store_dword v[22:23], v42, off
	global_store_dword v[38:39], v43, off
	v_add_co_u32_e32 v22, vcc, v14, v24
	v_add_u32_e32 v48, 0xe00, v5
	v_mov_b32_e32 v49, v11
	v_add_co_u32_e64 v44, s[0:1], v14, v44
	v_addc_co_u32_e32 v23, vcc, v15, v25, vcc
	v_lshlrev_b64 v[24:25], 2, v[10:11]
	v_lshlrev_b64 v[48:49], 2, v[48:49]
	v_addc_co_u32_e64 v45, s[0:1], v15, v45, s[0:1]
	s_waitcnt lgkmcnt(1)
	global_store_dword v[22:23], v46, off
	global_store_dword v[44:45], v47, off
	v_add_co_u32_e32 v22, vcc, v14, v24
	v_add_u32_e32 v19, 0x4000, v19
	v_add_u32_e32 v5, 0x1000, v5
	v_mov_b32_e32 v20, s14
	v_add_co_u32_e64 v48, s[0:1], v14, v48
	v_add_u32_e32 v4, 0x1000, v4
	v_addc_co_u32_e32 v23, vcc, v15, v25, vcc
	v_addc_co_u32_e64 v49, s[0:1], v15, v49, s[0:1]
	s_waitcnt lgkmcnt(0)
	global_store_dword v[22:23], v50, off
	global_store_dword v[48:49], v51, off
	s_andn2_b64 exec, exec, s[12:13]
	s_cbranch_execnz .LBB193_177
; %bb.178:
	s_or_b64 exec, exec, s[12:13]
.LBB193_179:
	s_or_b64 exec, exec, s[10:11]
	v_and_b32_e32 v1, 7, v17
	v_cmp_ne_u32_e32 vcc, 0, v1
	s_and_saveexec_b64 s[10:11], vcc
	s_cbranch_execz .LBB193_182
; %bb.180:
	v_lshl_or_b32 v16, v20, 10, v16
	s_mov_b64 s[12:13], 0
	v_mov_b32_e32 v11, 0
.LBB193_181:                            ; =>This Inner Loop Header: Depth=1
	ds_read2st64_b32 v[18:19], v16 offset1:4
	v_mov_b32_e32 v10, v4
	v_add_u32_e32 v1, -1, v1
	v_lshlrev_b64 v[20:21], 2, v[10:11]
	v_mov_b32_e32 v10, v5
	v_cmp_eq_u32_e32 vcc, 0, v1
	v_add_co_u32_e64 v20, s[0:1], v14, v20
	v_lshlrev_b64 v[22:23], 2, v[10:11]
	v_add_u32_e32 v4, 0x200, v4
	v_add_u32_e32 v16, 0x800, v16
	;; [unrolled: 1-line block ×3, first 2 shown]
	v_addc_co_u32_e64 v21, s[0:1], v15, v21, s[0:1]
	s_or_b64 s[12:13], vcc, s[12:13]
	v_add_co_u32_e32 v22, vcc, v14, v22
	v_addc_co_u32_e32 v23, vcc, v15, v23, vcc
	s_waitcnt lgkmcnt(0)
	global_store_dword v[20:21], v18, off
	global_store_dword v[22:23], v19, off
	s_andn2_b64 exec, exec, s[12:13]
	s_cbranch_execnz .LBB193_181
.LBB193_182:
	s_or_b64 exec, exec, s[10:11]
	v_add_u32_e32 v1, 1, v3
	v_and_b32_e32 v3, 0x1fffffe, v1
	v_cmp_ne_u32_e32 vcc, v1, v3
	v_lshl_or_b32 v4, v3, 8, v0
	s_orn2_b64 s[0:1], vcc, exec
.LBB193_183:
	s_or_b64 exec, exec, s[8:9]
	s_andn2_b64 s[4:5], s[4:5], exec
	s_and_b64 s[0:1], s[0:1], exec
	s_or_b64 s[4:5], s[4:5], s[0:1]
.LBB193_184:
	s_or_b64 exec, exec, s[6:7]
	s_and_b64 exec, exec, s[4:5]
	s_cbranch_execz .LBB193_187
; %bb.185:
	v_lshlrev_b32_e32 v1, 2, v4
	s_mov_b64 s[0:1], 0
	v_mov_b32_e32 v5, 0
.LBB193_186:                            ; =>This Inner Loop Header: Depth=1
	v_lshlrev_b64 v[10:11], 2, v[4:5]
	ds_read_b32 v3, v1
	v_add_co_u32_e32 v10, vcc, v14, v10
	v_add_u32_e32 v4, 0x100, v4
	v_addc_co_u32_e32 v11, vcc, v15, v11, vcc
	v_cmp_ge_u32_e32 vcc, v4, v7
	v_add_u32_e32 v1, 0x400, v1
	s_or_b64 s[0:1], vcc, s[0:1]
	s_waitcnt lgkmcnt(0)
	global_store_dword v[10:11], v3, off
	s_andn2_b64 exec, exec, s[0:1]
	s_cbranch_execnz .LBB193_186
.LBB193_187:
	s_or_b64 exec, exec, s[2:3]
.LBB193_188:
	s_movk_i32 s0, 0xff
	v_cmp_eq_u32_e32 vcc, s0, v0
	s_and_b64 s[0:1], vcc, s[36:37]
	s_and_saveexec_b64 s[2:3], s[0:1]
	s_cbranch_execz .LBB193_191
; %bb.189:
	v_add_co_u32_e32 v0, vcc, v2, v6
	v_addc_co_u32_e64 v1, s[0:1], 0, 0, vcc
	v_add_co_u32_e32 v0, vcc, v0, v8
	v_mov_b32_e32 v3, 0
	v_addc_co_u32_e32 v1, vcc, v1, v9, vcc
	s_cmpk_lg_i32 s33, 0xf00
	global_store_dwordx2 v3, v[0:1], s[54:55]
	s_cbranch_scc1 .LBB193_191
; %bb.190:
	v_lshlrev_b64 v[0:1], 2, v[2:3]
	v_add_co_u32_e32 v0, vcc, v12, v0
	v_addc_co_u32_e32 v1, vcc, v13, v1, vcc
	global_store_dword v[0:1], v40, off offset:-4
.LBB193_191:
	s_endpgm
.LBB193_192:
	s_or_b64 exec, exec, s[6:7]
	v_mov_b32_e32 v46, s10
	s_and_saveexec_b64 s[2:3], s[34:35]
	s_cbranch_execnz .LBB193_88
	s_branch .LBB193_89
.LBB193_193:
	s_and_saveexec_b64 s[42:43], s[30:31]
	s_cbranch_execnz .LBB193_261
; %bb.194:
	s_or_b64 exec, exec, s[42:43]
	s_and_saveexec_b64 s[42:43], s[28:29]
	s_cbranch_execnz .LBB193_262
.LBB193_195:
	s_or_b64 exec, exec, s[42:43]
	s_and_saveexec_b64 s[42:43], s[26:27]
	s_cbranch_execnz .LBB193_263
.LBB193_196:
	s_or_b64 exec, exec, s[42:43]
	s_and_saveexec_b64 s[42:43], s[24:25]
	s_cbranch_execnz .LBB193_264
.LBB193_197:
	s_or_b64 exec, exec, s[42:43]
	s_and_saveexec_b64 s[42:43], s[22:23]
	s_cbranch_execnz .LBB193_265
.LBB193_198:
	s_or_b64 exec, exec, s[42:43]
	s_and_saveexec_b64 s[42:43], s[20:21]
	s_cbranch_execnz .LBB193_266
.LBB193_199:
	s_or_b64 exec, exec, s[42:43]
	s_and_saveexec_b64 s[42:43], s[18:19]
	s_cbranch_execnz .LBB193_267
.LBB193_200:
	s_or_b64 exec, exec, s[42:43]
	s_and_saveexec_b64 s[42:43], s[16:17]
	s_cbranch_execnz .LBB193_268
.LBB193_201:
	s_or_b64 exec, exec, s[42:43]
	s_and_saveexec_b64 s[42:43], s[14:15]
	s_cbranch_execnz .LBB193_269
.LBB193_202:
	s_or_b64 exec, exec, s[42:43]
	s_and_saveexec_b64 s[42:43], s[12:13]
	s_cbranch_execnz .LBB193_270
.LBB193_203:
	s_or_b64 exec, exec, s[42:43]
	s_and_saveexec_b64 s[42:43], s[10:11]
	s_cbranch_execnz .LBB193_271
.LBB193_204:
	s_or_b64 exec, exec, s[42:43]
	s_and_saveexec_b64 s[42:43], s[8:9]
	s_cbranch_execnz .LBB193_272
.LBB193_205:
	s_or_b64 exec, exec, s[42:43]
	s_and_saveexec_b64 s[42:43], s[6:7]
	s_cbranch_execnz .LBB193_273
.LBB193_206:
	s_or_b64 exec, exec, s[42:43]
	s_and_saveexec_b64 s[42:43], s[4:5]
	s_cbranch_execz .LBB193_208
.LBB193_207:
	v_sub_u32_e32 v74, v4, v6
	v_mov_b32_e32 v75, 0
	v_lshlrev_b64 v[74:75], 2, v[74:75]
	v_add_co_u32_e32 v74, vcc, v7, v74
	v_addc_co_u32_e32 v75, vcc, v71, v75, vcc
	global_store_dword v[74:75], v13, off
.LBB193_208:
	s_or_b64 exec, exec, s[42:43]
	s_and_b64 s[42:43], s[2:3], exec
	s_andn2_saveexec_b64 s[34:35], s[34:35]
	s_cbranch_execz .LBB193_134
.LBB193_209:
	v_sub_u32_e32 v74, v5, v6
	v_mov_b32_e32 v75, 0
	v_lshlrev_b64 v[76:77], 2, v[74:75]
	v_add_co_u32_e32 v76, vcc, v7, v76
	v_addc_co_u32_e32 v77, vcc, v71, v77, vcc
	v_sub_u32_e32 v74, v39, v6
	global_store_dword v[76:77], v24, off
	v_lshlrev_b64 v[76:77], 2, v[74:75]
	v_add_co_u32_e32 v76, vcc, v7, v76
	v_addc_co_u32_e32 v77, vcc, v71, v77, vcc
	v_sub_u32_e32 v74, v38, v6
	global_store_dword v[76:77], v25, off
	;; [unrolled: 5-line block ×12, first 2 shown]
	v_lshlrev_b64 v[76:77], 2, v[74:75]
	v_add_co_u32_e32 v76, vcc, v7, v76
	v_sub_u32_e32 v74, v4, v6
	v_addc_co_u32_e32 v77, vcc, v71, v77, vcc
	v_lshlrev_b64 v[74:75], 2, v[74:75]
	v_add_co_u32_e32 v74, vcc, v7, v74
	v_addc_co_u32_e32 v75, vcc, v71, v75, vcc
	s_or_b64 s[42:43], s[42:43], exec
	global_store_dword v[76:77], v12, off
	global_store_dword v[74:75], v13, off
	s_or_b64 exec, exec, s[34:35]
	s_and_b64 exec, exec, s[42:43]
	s_cbranch_execnz .LBB193_135
	s_branch .LBB193_136
.LBB193_210:
	s_and_saveexec_b64 s[42:43], s[30:31]
	s_cbranch_execnz .LBB193_274
; %bb.211:
	s_or_b64 exec, exec, s[42:43]
	s_and_saveexec_b64 s[30:31], s[28:29]
	s_cbranch_execnz .LBB193_275
.LBB193_212:
	s_or_b64 exec, exec, s[30:31]
	s_and_saveexec_b64 s[28:29], s[26:27]
	s_cbranch_execnz .LBB193_276
.LBB193_213:
	s_or_b64 exec, exec, s[28:29]
	s_and_saveexec_b64 s[26:27], s[24:25]
	s_cbranch_execnz .LBB193_277
.LBB193_214:
	s_or_b64 exec, exec, s[26:27]
	s_and_saveexec_b64 s[24:25], s[22:23]
	s_cbranch_execnz .LBB193_278
.LBB193_215:
	s_or_b64 exec, exec, s[24:25]
	s_and_saveexec_b64 s[22:23], s[20:21]
	s_cbranch_execnz .LBB193_279
.LBB193_216:
	s_or_b64 exec, exec, s[22:23]
	s_and_saveexec_b64 s[20:21], s[18:19]
	s_cbranch_execnz .LBB193_280
.LBB193_217:
	s_or_b64 exec, exec, s[20:21]
	s_and_saveexec_b64 s[18:19], s[16:17]
	s_cbranch_execnz .LBB193_281
.LBB193_218:
	s_or_b64 exec, exec, s[18:19]
	s_and_saveexec_b64 s[16:17], s[14:15]
	s_cbranch_execnz .LBB193_282
.LBB193_219:
	s_or_b64 exec, exec, s[16:17]
	s_and_saveexec_b64 s[14:15], s[12:13]
	s_cbranch_execnz .LBB193_283
.LBB193_220:
	s_or_b64 exec, exec, s[14:15]
	s_and_saveexec_b64 s[12:13], s[10:11]
	s_cbranch_execnz .LBB193_284
.LBB193_221:
	s_or_b64 exec, exec, s[12:13]
	s_and_saveexec_b64 s[10:11], s[8:9]
	s_cbranch_execnz .LBB193_285
.LBB193_222:
	s_or_b64 exec, exec, s[10:11]
	s_and_saveexec_b64 s[8:9], s[6:7]
	s_cbranch_execnz .LBB193_286
.LBB193_223:
	s_or_b64 exec, exec, s[8:9]
	s_and_saveexec_b64 s[6:7], s[4:5]
	s_cbranch_execz .LBB193_225
.LBB193_224:
	v_sub_u32_e32 v12, v4, v6
	v_lshlrev_b32_e32 v12, 2, v12
	ds_write_b32 v12, v13
.LBB193_225:
	s_or_b64 exec, exec, s[6:7]
	s_and_b64 s[42:43], s[2:3], exec
                                        ; implicit-def: $vgpr12
                                        ; implicit-def: $vgpr14
                                        ; implicit-def: $vgpr16
                                        ; implicit-def: $vgpr18
                                        ; implicit-def: $vgpr20
                                        ; implicit-def: $vgpr22
                                        ; implicit-def: $vgpr24
	s_andn2_saveexec_b64 s[2:3], s[40:41]
	s_cbranch_execz .LBB193_141
.LBB193_226:
	v_sub_u32_e32 v72, v5, v6
	v_lshlrev_b32_e32 v72, 2, v72
	ds_write_b32 v72, v24
	v_sub_u32_e32 v24, v39, v6
	v_lshlrev_b32_e32 v24, 2, v24
	ds_write_b32 v24, v25
	;; [unrolled: 3-line block ×13, first 2 shown]
	v_sub_u32_e32 v12, v4, v6
	v_lshlrev_b32_e32 v12, 2, v12
	s_or_b64 s[42:43], s[42:43], exec
	ds_write_b32 v12, v13
	s_or_b64 exec, exec, s[2:3]
	s_and_b64 exec, exec, s[42:43]
	s_cbranch_execnz .LBB193_142
	s_branch .LBB193_143
.LBB193_227:
	s_and_saveexec_b64 s[38:39], s[28:29]
	s_cbranch_execnz .LBB193_287
; %bb.228:
	s_or_b64 exec, exec, s[38:39]
	s_and_saveexec_b64 s[38:39], s[26:27]
	s_cbranch_execnz .LBB193_288
.LBB193_229:
	s_or_b64 exec, exec, s[38:39]
	s_and_saveexec_b64 s[38:39], s[24:25]
	s_cbranch_execnz .LBB193_289
.LBB193_230:
	s_or_b64 exec, exec, s[38:39]
	s_and_saveexec_b64 s[38:39], s[22:23]
	s_cbranch_execnz .LBB193_290
.LBB193_231:
	s_or_b64 exec, exec, s[38:39]
	s_and_saveexec_b64 s[38:39], s[20:21]
	s_cbranch_execnz .LBB193_291
.LBB193_232:
	s_or_b64 exec, exec, s[38:39]
	s_and_saveexec_b64 s[38:39], s[18:19]
	s_cbranch_execnz .LBB193_292
.LBB193_233:
	s_or_b64 exec, exec, s[38:39]
	s_and_saveexec_b64 s[38:39], s[16:17]
	s_cbranch_execnz .LBB193_293
.LBB193_234:
	s_or_b64 exec, exec, s[38:39]
	s_and_saveexec_b64 s[38:39], s[14:15]
	s_cbranch_execnz .LBB193_294
.LBB193_235:
	s_or_b64 exec, exec, s[38:39]
	s_and_saveexec_b64 s[38:39], s[12:13]
	s_cbranch_execnz .LBB193_295
.LBB193_236:
	s_or_b64 exec, exec, s[38:39]
	s_and_saveexec_b64 s[38:39], s[10:11]
	s_cbranch_execnz .LBB193_296
.LBB193_237:
	s_or_b64 exec, exec, s[38:39]
	s_and_saveexec_b64 s[38:39], s[8:9]
	s_cbranch_execnz .LBB193_297
.LBB193_238:
	s_or_b64 exec, exec, s[38:39]
	s_and_saveexec_b64 s[38:39], s[6:7]
	s_cbranch_execnz .LBB193_298
.LBB193_239:
	s_or_b64 exec, exec, s[38:39]
	s_and_saveexec_b64 s[38:39], s[4:5]
	s_cbranch_execnz .LBB193_299
.LBB193_240:
	s_or_b64 exec, exec, s[38:39]
	s_and_saveexec_b64 s[38:39], s[2:3]
	s_cbranch_execz .LBB193_242
.LBB193_241:
	v_sub_u32_e32 v18, v4, v10
	v_mov_b32_e32 v19, 0
	v_lshlrev_b64 v[18:19], 2, v[18:19]
	v_add_co_u32_e32 v18, vcc, v14, v18
	v_addc_co_u32_e32 v19, vcc, v15, v19, vcc
	global_store_dword v[18:19], v41, off
.LBB193_242:
	s_or_b64 exec, exec, s[38:39]
	s_and_b64 s[38:39], s[0:1], exec
	s_andn2_saveexec_b64 s[30:31], s[30:31]
	s_cbranch_execz .LBB193_163
.LBB193_243:
	v_sub_u32_e32 v18, v5, v10
	v_mov_b32_e32 v19, 0
	v_lshlrev_b64 v[20:21], 2, v[18:19]
	v_add_co_u32_e32 v20, vcc, v14, v20
	v_addc_co_u32_e32 v21, vcc, v15, v21, vcc
	v_sub_u32_e32 v18, v39, v10
	global_store_dword v[20:21], v70, off
	v_lshlrev_b64 v[20:21], 2, v[18:19]
	v_add_co_u32_e32 v20, vcc, v14, v20
	v_addc_co_u32_e32 v21, vcc, v15, v21, vcc
	v_sub_u32_e32 v18, v38, v10
	global_store_dword v[20:21], v69, off
	;; [unrolled: 5-line block ×12, first 2 shown]
	v_lshlrev_b64 v[20:21], 2, v[18:19]
	v_add_co_u32_e32 v20, vcc, v14, v20
	v_sub_u32_e32 v18, v4, v10
	v_addc_co_u32_e32 v21, vcc, v15, v21, vcc
	v_lshlrev_b64 v[18:19], 2, v[18:19]
	v_add_co_u32_e32 v18, vcc, v14, v18
	v_addc_co_u32_e32 v19, vcc, v15, v19, vcc
	s_or_b64 s[38:39], s[38:39], exec
	global_store_dword v[20:21], v42, off
	global_store_dword v[18:19], v41, off
	s_or_b64 exec, exec, s[30:31]
	s_and_b64 exec, exec, s[38:39]
	s_cbranch_execnz .LBB193_164
	s_branch .LBB193_165
.LBB193_244:
	s_and_saveexec_b64 s[38:39], s[28:29]
	s_cbranch_execnz .LBB193_300
; %bb.245:
	s_or_b64 exec, exec, s[38:39]
	s_and_saveexec_b64 s[28:29], s[26:27]
	s_cbranch_execnz .LBB193_301
.LBB193_246:
	s_or_b64 exec, exec, s[28:29]
	s_and_saveexec_b64 s[26:27], s[24:25]
	s_cbranch_execnz .LBB193_302
.LBB193_247:
	s_or_b64 exec, exec, s[26:27]
	s_and_saveexec_b64 s[24:25], s[22:23]
	s_cbranch_execnz .LBB193_303
.LBB193_248:
	s_or_b64 exec, exec, s[24:25]
	s_and_saveexec_b64 s[22:23], s[20:21]
	s_cbranch_execnz .LBB193_304
.LBB193_249:
	s_or_b64 exec, exec, s[22:23]
	s_and_saveexec_b64 s[20:21], s[18:19]
	s_cbranch_execnz .LBB193_305
.LBB193_250:
	s_or_b64 exec, exec, s[20:21]
	s_and_saveexec_b64 s[18:19], s[16:17]
	s_cbranch_execnz .LBB193_306
.LBB193_251:
	s_or_b64 exec, exec, s[18:19]
	s_and_saveexec_b64 s[16:17], s[14:15]
	s_cbranch_execnz .LBB193_307
.LBB193_252:
	s_or_b64 exec, exec, s[16:17]
	s_and_saveexec_b64 s[14:15], s[12:13]
	s_cbranch_execnz .LBB193_308
.LBB193_253:
	s_or_b64 exec, exec, s[14:15]
	s_and_saveexec_b64 s[12:13], s[10:11]
	s_cbranch_execnz .LBB193_309
.LBB193_254:
	s_or_b64 exec, exec, s[12:13]
	s_and_saveexec_b64 s[10:11], s[8:9]
	s_cbranch_execnz .LBB193_310
.LBB193_255:
	s_or_b64 exec, exec, s[10:11]
	s_and_saveexec_b64 s[8:9], s[6:7]
	s_cbranch_execnz .LBB193_311
.LBB193_256:
	s_or_b64 exec, exec, s[8:9]
	s_and_saveexec_b64 s[6:7], s[4:5]
	s_cbranch_execnz .LBB193_312
.LBB193_257:
	s_or_b64 exec, exec, s[6:7]
	s_and_saveexec_b64 s[4:5], s[2:3]
	s_cbranch_execz .LBB193_259
.LBB193_258:
	v_sub_u32_e32 v4, v4, v10
	v_lshlrev_b32_e32 v4, 2, v4
	ds_write_b32 v4, v41
.LBB193_259:
	s_or_b64 exec, exec, s[4:5]
	s_and_b64 s[38:39], s[0:1], exec
                                        ; implicit-def: $vgpr41
                                        ; implicit-def: $vgpr42
                                        ; implicit-def: $vgpr43
                                        ; implicit-def: $vgpr45
                                        ; implicit-def: $vgpr48
                                        ; implicit-def: $vgpr50
                                        ; implicit-def: $vgpr52
                                        ; implicit-def: $vgpr54
                                        ; implicit-def: $vgpr56
                                        ; implicit-def: $vgpr58
                                        ; implicit-def: $vgpr59
                                        ; implicit-def: $vgpr68
                                        ; implicit-def: $vgpr69
                                        ; implicit-def: $vgpr70
                                        ; implicit-def: $vgpr39
                                        ; implicit-def: $vgpr38
                                        ; implicit-def: $vgpr37
                                        ; implicit-def: $vgpr36
                                        ; implicit-def: $vgpr35
                                        ; implicit-def: $vgpr34
                                        ; implicit-def: $vgpr33
                                        ; implicit-def: $vgpr32
                                        ; implicit-def: $vgpr31
                                        ; implicit-def: $vgpr30
                                        ; implicit-def: $vgpr29
                                        ; implicit-def: $vgpr28
                                        ; implicit-def: $vgpr4
	s_andn2_saveexec_b64 s[0:1], s[34:35]
	s_cbranch_execz .LBB193_170
.LBB193_260:
	v_sub_u32_e32 v5, v5, v10
	v_lshlrev_b32_e32 v5, 2, v5
	ds_write_b32 v5, v70
	v_sub_u32_e32 v5, v39, v10
	v_lshlrev_b32_e32 v5, 2, v5
	ds_write_b32 v5, v69
	;; [unrolled: 3-line block ×12, first 2 shown]
	v_sub_u32_e32 v5, v28, v10
	v_sub_u32_e32 v4, v4, v10
	v_lshlrev_b32_e32 v5, 2, v5
	v_lshlrev_b32_e32 v4, 2, v4
	s_or_b64 s[38:39], s[38:39], exec
	ds_write_b32 v5, v42
	ds_write_b32 v4, v41
	s_or_b64 exec, exec, s[0:1]
	s_and_b64 exec, exec, s[38:39]
	s_cbranch_execnz .LBB193_171
	s_branch .LBB193_172
.LBB193_261:
	v_sub_u32_e32 v74, v5, v6
	v_mov_b32_e32 v75, 0
	v_lshlrev_b64 v[74:75], 2, v[74:75]
	v_add_co_u32_e32 v74, vcc, v7, v74
	v_addc_co_u32_e32 v75, vcc, v71, v75, vcc
	global_store_dword v[74:75], v24, off
	s_or_b64 exec, exec, s[42:43]
	s_and_saveexec_b64 s[42:43], s[28:29]
	s_cbranch_execz .LBB193_195
.LBB193_262:
	v_sub_u32_e32 v74, v39, v6
	v_mov_b32_e32 v75, 0
	v_lshlrev_b64 v[74:75], 2, v[74:75]
	v_add_co_u32_e32 v74, vcc, v7, v74
	v_addc_co_u32_e32 v75, vcc, v71, v75, vcc
	global_store_dword v[74:75], v25, off
	s_or_b64 exec, exec, s[42:43]
	s_and_saveexec_b64 s[42:43], s[26:27]
	s_cbranch_execz .LBB193_196
.LBB193_263:
	v_sub_u32_e32 v74, v38, v6
	v_mov_b32_e32 v75, 0
	v_lshlrev_b64 v[74:75], 2, v[74:75]
	v_add_co_u32_e32 v74, vcc, v7, v74
	v_addc_co_u32_e32 v75, vcc, v71, v75, vcc
	global_store_dword v[74:75], v22, off
	s_or_b64 exec, exec, s[42:43]
	s_and_saveexec_b64 s[42:43], s[24:25]
	s_cbranch_execz .LBB193_197
.LBB193_264:
	v_sub_u32_e32 v74, v37, v6
	v_mov_b32_e32 v75, 0
	v_lshlrev_b64 v[74:75], 2, v[74:75]
	v_add_co_u32_e32 v74, vcc, v7, v74
	v_addc_co_u32_e32 v75, vcc, v71, v75, vcc
	global_store_dword v[74:75], v23, off
	s_or_b64 exec, exec, s[42:43]
	s_and_saveexec_b64 s[42:43], s[22:23]
	s_cbranch_execz .LBB193_198
.LBB193_265:
	v_sub_u32_e32 v74, v36, v6
	v_mov_b32_e32 v75, 0
	v_lshlrev_b64 v[74:75], 2, v[74:75]
	v_add_co_u32_e32 v74, vcc, v7, v74
	v_addc_co_u32_e32 v75, vcc, v71, v75, vcc
	global_store_dword v[74:75], v20, off
	s_or_b64 exec, exec, s[42:43]
	s_and_saveexec_b64 s[42:43], s[20:21]
	s_cbranch_execz .LBB193_199
.LBB193_266:
	v_sub_u32_e32 v74, v35, v6
	v_mov_b32_e32 v75, 0
	v_lshlrev_b64 v[74:75], 2, v[74:75]
	v_add_co_u32_e32 v74, vcc, v7, v74
	v_addc_co_u32_e32 v75, vcc, v71, v75, vcc
	global_store_dword v[74:75], v21, off
	s_or_b64 exec, exec, s[42:43]
	s_and_saveexec_b64 s[42:43], s[18:19]
	s_cbranch_execz .LBB193_200
.LBB193_267:
	v_sub_u32_e32 v74, v34, v6
	v_mov_b32_e32 v75, 0
	v_lshlrev_b64 v[74:75], 2, v[74:75]
	v_add_co_u32_e32 v74, vcc, v7, v74
	v_addc_co_u32_e32 v75, vcc, v71, v75, vcc
	global_store_dword v[74:75], v18, off
	s_or_b64 exec, exec, s[42:43]
	s_and_saveexec_b64 s[42:43], s[16:17]
	s_cbranch_execz .LBB193_201
.LBB193_268:
	v_sub_u32_e32 v74, v33, v6
	v_mov_b32_e32 v75, 0
	v_lshlrev_b64 v[74:75], 2, v[74:75]
	v_add_co_u32_e32 v74, vcc, v7, v74
	v_addc_co_u32_e32 v75, vcc, v71, v75, vcc
	global_store_dword v[74:75], v19, off
	s_or_b64 exec, exec, s[42:43]
	s_and_saveexec_b64 s[42:43], s[14:15]
	s_cbranch_execz .LBB193_202
.LBB193_269:
	v_sub_u32_e32 v74, v32, v6
	v_mov_b32_e32 v75, 0
	v_lshlrev_b64 v[74:75], 2, v[74:75]
	v_add_co_u32_e32 v74, vcc, v7, v74
	v_addc_co_u32_e32 v75, vcc, v71, v75, vcc
	global_store_dword v[74:75], v16, off
	s_or_b64 exec, exec, s[42:43]
	s_and_saveexec_b64 s[42:43], s[12:13]
	s_cbranch_execz .LBB193_203
.LBB193_270:
	v_sub_u32_e32 v74, v31, v6
	v_mov_b32_e32 v75, 0
	v_lshlrev_b64 v[74:75], 2, v[74:75]
	v_add_co_u32_e32 v74, vcc, v7, v74
	v_addc_co_u32_e32 v75, vcc, v71, v75, vcc
	global_store_dword v[74:75], v17, off
	s_or_b64 exec, exec, s[42:43]
	s_and_saveexec_b64 s[42:43], s[10:11]
	s_cbranch_execz .LBB193_204
.LBB193_271:
	v_sub_u32_e32 v74, v30, v6
	v_mov_b32_e32 v75, 0
	v_lshlrev_b64 v[74:75], 2, v[74:75]
	v_add_co_u32_e32 v74, vcc, v7, v74
	v_addc_co_u32_e32 v75, vcc, v71, v75, vcc
	global_store_dword v[74:75], v14, off
	s_or_b64 exec, exec, s[42:43]
	s_and_saveexec_b64 s[42:43], s[8:9]
	s_cbranch_execz .LBB193_205
.LBB193_272:
	v_sub_u32_e32 v74, v29, v6
	v_mov_b32_e32 v75, 0
	v_lshlrev_b64 v[74:75], 2, v[74:75]
	v_add_co_u32_e32 v74, vcc, v7, v74
	v_addc_co_u32_e32 v75, vcc, v71, v75, vcc
	global_store_dword v[74:75], v15, off
	s_or_b64 exec, exec, s[42:43]
	s_and_saveexec_b64 s[42:43], s[6:7]
	s_cbranch_execz .LBB193_206
.LBB193_273:
	v_sub_u32_e32 v74, v28, v6
	v_mov_b32_e32 v75, 0
	v_lshlrev_b64 v[74:75], 2, v[74:75]
	v_add_co_u32_e32 v74, vcc, v7, v74
	v_addc_co_u32_e32 v75, vcc, v71, v75, vcc
	global_store_dword v[74:75], v12, off
	s_or_b64 exec, exec, s[42:43]
	s_and_saveexec_b64 s[42:43], s[4:5]
	s_cbranch_execnz .LBB193_207
	s_branch .LBB193_208
.LBB193_274:
	v_sub_u32_e32 v72, v5, v6
	v_lshlrev_b32_e32 v72, 2, v72
	ds_write_b32 v72, v24
	s_or_b64 exec, exec, s[42:43]
	s_and_saveexec_b64 s[30:31], s[28:29]
	s_cbranch_execz .LBB193_212
.LBB193_275:
	v_sub_u32_e32 v24, v39, v6
	v_lshlrev_b32_e32 v24, 2, v24
	ds_write_b32 v24, v25
	s_or_b64 exec, exec, s[30:31]
	s_and_saveexec_b64 s[28:29], s[26:27]
	s_cbranch_execz .LBB193_213
.LBB193_276:
	v_sub_u32_e32 v24, v38, v6
	v_lshlrev_b32_e32 v24, 2, v24
	ds_write_b32 v24, v22
	s_or_b64 exec, exec, s[28:29]
	s_and_saveexec_b64 s[26:27], s[24:25]
	s_cbranch_execz .LBB193_214
.LBB193_277:
	v_sub_u32_e32 v22, v37, v6
	v_lshlrev_b32_e32 v22, 2, v22
	ds_write_b32 v22, v23
	s_or_b64 exec, exec, s[26:27]
	s_and_saveexec_b64 s[24:25], s[22:23]
	s_cbranch_execz .LBB193_215
.LBB193_278:
	v_sub_u32_e32 v22, v36, v6
	v_lshlrev_b32_e32 v22, 2, v22
	ds_write_b32 v22, v20
	s_or_b64 exec, exec, s[24:25]
	s_and_saveexec_b64 s[22:23], s[20:21]
	s_cbranch_execz .LBB193_216
.LBB193_279:
	v_sub_u32_e32 v20, v35, v6
	v_lshlrev_b32_e32 v20, 2, v20
	ds_write_b32 v20, v21
	s_or_b64 exec, exec, s[22:23]
	s_and_saveexec_b64 s[20:21], s[18:19]
	s_cbranch_execz .LBB193_217
.LBB193_280:
	v_sub_u32_e32 v20, v34, v6
	v_lshlrev_b32_e32 v20, 2, v20
	ds_write_b32 v20, v18
	s_or_b64 exec, exec, s[20:21]
	s_and_saveexec_b64 s[18:19], s[16:17]
	s_cbranch_execz .LBB193_218
.LBB193_281:
	v_sub_u32_e32 v18, v33, v6
	v_lshlrev_b32_e32 v18, 2, v18
	ds_write_b32 v18, v19
	s_or_b64 exec, exec, s[18:19]
	s_and_saveexec_b64 s[16:17], s[14:15]
	s_cbranch_execz .LBB193_219
.LBB193_282:
	v_sub_u32_e32 v18, v32, v6
	v_lshlrev_b32_e32 v18, 2, v18
	ds_write_b32 v18, v16
	s_or_b64 exec, exec, s[16:17]
	s_and_saveexec_b64 s[14:15], s[12:13]
	s_cbranch_execz .LBB193_220
.LBB193_283:
	v_sub_u32_e32 v16, v31, v6
	v_lshlrev_b32_e32 v16, 2, v16
	ds_write_b32 v16, v17
	s_or_b64 exec, exec, s[14:15]
	s_and_saveexec_b64 s[12:13], s[10:11]
	s_cbranch_execz .LBB193_221
.LBB193_284:
	v_sub_u32_e32 v16, v30, v6
	v_lshlrev_b32_e32 v16, 2, v16
	ds_write_b32 v16, v14
	s_or_b64 exec, exec, s[12:13]
	s_and_saveexec_b64 s[10:11], s[8:9]
	s_cbranch_execz .LBB193_222
.LBB193_285:
	v_sub_u32_e32 v14, v29, v6
	v_lshlrev_b32_e32 v14, 2, v14
	ds_write_b32 v14, v15
	s_or_b64 exec, exec, s[10:11]
	s_and_saveexec_b64 s[8:9], s[6:7]
	s_cbranch_execz .LBB193_223
.LBB193_286:
	v_sub_u32_e32 v14, v28, v6
	v_lshlrev_b32_e32 v14, 2, v14
	ds_write_b32 v14, v12
	s_or_b64 exec, exec, s[8:9]
	s_and_saveexec_b64 s[6:7], s[4:5]
	s_cbranch_execnz .LBB193_224
	s_branch .LBB193_225
.LBB193_287:
	v_sub_u32_e32 v18, v5, v10
	v_mov_b32_e32 v19, 0
	v_lshlrev_b64 v[18:19], 2, v[18:19]
	v_add_co_u32_e32 v18, vcc, v14, v18
	v_addc_co_u32_e32 v19, vcc, v15, v19, vcc
	global_store_dword v[18:19], v70, off
	s_or_b64 exec, exec, s[38:39]
	s_and_saveexec_b64 s[38:39], s[26:27]
	s_cbranch_execz .LBB193_229
.LBB193_288:
	v_sub_u32_e32 v18, v39, v10
	v_mov_b32_e32 v19, 0
	v_lshlrev_b64 v[18:19], 2, v[18:19]
	v_add_co_u32_e32 v18, vcc, v14, v18
	v_addc_co_u32_e32 v19, vcc, v15, v19, vcc
	global_store_dword v[18:19], v69, off
	s_or_b64 exec, exec, s[38:39]
	s_and_saveexec_b64 s[38:39], s[24:25]
	s_cbranch_execz .LBB193_230
.LBB193_289:
	v_sub_u32_e32 v18, v38, v10
	v_mov_b32_e32 v19, 0
	v_lshlrev_b64 v[18:19], 2, v[18:19]
	v_add_co_u32_e32 v18, vcc, v14, v18
	v_addc_co_u32_e32 v19, vcc, v15, v19, vcc
	global_store_dword v[18:19], v68, off
	s_or_b64 exec, exec, s[38:39]
	s_and_saveexec_b64 s[38:39], s[22:23]
	s_cbranch_execz .LBB193_231
.LBB193_290:
	v_sub_u32_e32 v18, v37, v10
	v_mov_b32_e32 v19, 0
	v_lshlrev_b64 v[18:19], 2, v[18:19]
	v_add_co_u32_e32 v18, vcc, v14, v18
	v_addc_co_u32_e32 v19, vcc, v15, v19, vcc
	global_store_dword v[18:19], v59, off
	s_or_b64 exec, exec, s[38:39]
	s_and_saveexec_b64 s[38:39], s[20:21]
	s_cbranch_execz .LBB193_232
.LBB193_291:
	v_sub_u32_e32 v18, v36, v10
	v_mov_b32_e32 v19, 0
	v_lshlrev_b64 v[18:19], 2, v[18:19]
	v_add_co_u32_e32 v18, vcc, v14, v18
	v_addc_co_u32_e32 v19, vcc, v15, v19, vcc
	global_store_dword v[18:19], v58, off
	s_or_b64 exec, exec, s[38:39]
	s_and_saveexec_b64 s[38:39], s[18:19]
	s_cbranch_execz .LBB193_233
.LBB193_292:
	v_sub_u32_e32 v18, v35, v10
	v_mov_b32_e32 v19, 0
	v_lshlrev_b64 v[18:19], 2, v[18:19]
	v_add_co_u32_e32 v18, vcc, v14, v18
	v_addc_co_u32_e32 v19, vcc, v15, v19, vcc
	global_store_dword v[18:19], v56, off
	s_or_b64 exec, exec, s[38:39]
	s_and_saveexec_b64 s[38:39], s[16:17]
	s_cbranch_execz .LBB193_234
.LBB193_293:
	v_sub_u32_e32 v18, v34, v10
	v_mov_b32_e32 v19, 0
	v_lshlrev_b64 v[18:19], 2, v[18:19]
	v_add_co_u32_e32 v18, vcc, v14, v18
	v_addc_co_u32_e32 v19, vcc, v15, v19, vcc
	global_store_dword v[18:19], v54, off
	s_or_b64 exec, exec, s[38:39]
	s_and_saveexec_b64 s[38:39], s[14:15]
	s_cbranch_execz .LBB193_235
.LBB193_294:
	v_sub_u32_e32 v18, v33, v10
	v_mov_b32_e32 v19, 0
	v_lshlrev_b64 v[18:19], 2, v[18:19]
	v_add_co_u32_e32 v18, vcc, v14, v18
	v_addc_co_u32_e32 v19, vcc, v15, v19, vcc
	global_store_dword v[18:19], v52, off
	s_or_b64 exec, exec, s[38:39]
	s_and_saveexec_b64 s[38:39], s[12:13]
	s_cbranch_execz .LBB193_236
.LBB193_295:
	v_sub_u32_e32 v18, v32, v10
	v_mov_b32_e32 v19, 0
	v_lshlrev_b64 v[18:19], 2, v[18:19]
	v_add_co_u32_e32 v18, vcc, v14, v18
	v_addc_co_u32_e32 v19, vcc, v15, v19, vcc
	global_store_dword v[18:19], v50, off
	s_or_b64 exec, exec, s[38:39]
	s_and_saveexec_b64 s[38:39], s[10:11]
	s_cbranch_execz .LBB193_237
.LBB193_296:
	v_sub_u32_e32 v18, v31, v10
	v_mov_b32_e32 v19, 0
	v_lshlrev_b64 v[18:19], 2, v[18:19]
	v_add_co_u32_e32 v18, vcc, v14, v18
	v_addc_co_u32_e32 v19, vcc, v15, v19, vcc
	global_store_dword v[18:19], v48, off
	s_or_b64 exec, exec, s[38:39]
	s_and_saveexec_b64 s[38:39], s[8:9]
	s_cbranch_execz .LBB193_238
.LBB193_297:
	v_sub_u32_e32 v18, v30, v10
	v_mov_b32_e32 v19, 0
	v_lshlrev_b64 v[18:19], 2, v[18:19]
	v_add_co_u32_e32 v18, vcc, v14, v18
	v_addc_co_u32_e32 v19, vcc, v15, v19, vcc
	global_store_dword v[18:19], v45, off
	s_or_b64 exec, exec, s[38:39]
	s_and_saveexec_b64 s[38:39], s[6:7]
	s_cbranch_execz .LBB193_239
.LBB193_298:
	v_sub_u32_e32 v18, v29, v10
	v_mov_b32_e32 v19, 0
	v_lshlrev_b64 v[18:19], 2, v[18:19]
	v_add_co_u32_e32 v18, vcc, v14, v18
	v_addc_co_u32_e32 v19, vcc, v15, v19, vcc
	global_store_dword v[18:19], v43, off
	s_or_b64 exec, exec, s[38:39]
	s_and_saveexec_b64 s[38:39], s[4:5]
	s_cbranch_execz .LBB193_240
.LBB193_299:
	v_sub_u32_e32 v18, v28, v10
	v_mov_b32_e32 v19, 0
	v_lshlrev_b64 v[18:19], 2, v[18:19]
	v_add_co_u32_e32 v18, vcc, v14, v18
	v_addc_co_u32_e32 v19, vcc, v15, v19, vcc
	global_store_dword v[18:19], v42, off
	s_or_b64 exec, exec, s[38:39]
	s_and_saveexec_b64 s[38:39], s[2:3]
	s_cbranch_execnz .LBB193_241
	s_branch .LBB193_242
.LBB193_300:
	v_sub_u32_e32 v5, v5, v10
	v_lshlrev_b32_e32 v5, 2, v5
	ds_write_b32 v5, v70
	s_or_b64 exec, exec, s[38:39]
	s_and_saveexec_b64 s[28:29], s[26:27]
	s_cbranch_execz .LBB193_246
.LBB193_301:
	v_sub_u32_e32 v5, v39, v10
	v_lshlrev_b32_e32 v5, 2, v5
	ds_write_b32 v5, v69
	s_or_b64 exec, exec, s[28:29]
	s_and_saveexec_b64 s[26:27], s[24:25]
	s_cbranch_execz .LBB193_247
.LBB193_302:
	v_sub_u32_e32 v5, v38, v10
	v_lshlrev_b32_e32 v5, 2, v5
	ds_write_b32 v5, v68
	s_or_b64 exec, exec, s[26:27]
	s_and_saveexec_b64 s[24:25], s[22:23]
	s_cbranch_execz .LBB193_248
.LBB193_303:
	v_sub_u32_e32 v5, v37, v10
	v_lshlrev_b32_e32 v5, 2, v5
	ds_write_b32 v5, v59
	s_or_b64 exec, exec, s[24:25]
	s_and_saveexec_b64 s[22:23], s[20:21]
	s_cbranch_execz .LBB193_249
.LBB193_304:
	v_sub_u32_e32 v5, v36, v10
	v_lshlrev_b32_e32 v5, 2, v5
	ds_write_b32 v5, v58
	s_or_b64 exec, exec, s[22:23]
	s_and_saveexec_b64 s[20:21], s[18:19]
	s_cbranch_execz .LBB193_250
.LBB193_305:
	v_sub_u32_e32 v5, v35, v10
	v_lshlrev_b32_e32 v5, 2, v5
	ds_write_b32 v5, v56
	s_or_b64 exec, exec, s[20:21]
	s_and_saveexec_b64 s[18:19], s[16:17]
	s_cbranch_execz .LBB193_251
.LBB193_306:
	v_sub_u32_e32 v5, v34, v10
	v_lshlrev_b32_e32 v5, 2, v5
	ds_write_b32 v5, v54
	s_or_b64 exec, exec, s[18:19]
	s_and_saveexec_b64 s[16:17], s[14:15]
	s_cbranch_execz .LBB193_252
.LBB193_307:
	v_sub_u32_e32 v5, v33, v10
	v_lshlrev_b32_e32 v5, 2, v5
	ds_write_b32 v5, v52
	s_or_b64 exec, exec, s[16:17]
	s_and_saveexec_b64 s[14:15], s[12:13]
	s_cbranch_execz .LBB193_253
.LBB193_308:
	v_sub_u32_e32 v5, v32, v10
	v_lshlrev_b32_e32 v5, 2, v5
	ds_write_b32 v5, v50
	s_or_b64 exec, exec, s[14:15]
	s_and_saveexec_b64 s[12:13], s[10:11]
	s_cbranch_execz .LBB193_254
.LBB193_309:
	v_sub_u32_e32 v5, v31, v10
	v_lshlrev_b32_e32 v5, 2, v5
	ds_write_b32 v5, v48
	s_or_b64 exec, exec, s[12:13]
	s_and_saveexec_b64 s[10:11], s[8:9]
	s_cbranch_execz .LBB193_255
.LBB193_310:
	v_sub_u32_e32 v5, v30, v10
	v_lshlrev_b32_e32 v5, 2, v5
	ds_write_b32 v5, v45
	s_or_b64 exec, exec, s[10:11]
	s_and_saveexec_b64 s[8:9], s[6:7]
	s_cbranch_execz .LBB193_256
.LBB193_311:
	v_sub_u32_e32 v5, v29, v10
	v_lshlrev_b32_e32 v5, 2, v5
	ds_write_b32 v5, v43
	s_or_b64 exec, exec, s[8:9]
	s_and_saveexec_b64 s[6:7], s[4:5]
	s_cbranch_execz .LBB193_257
.LBB193_312:
	v_sub_u32_e32 v5, v28, v10
	v_lshlrev_b32_e32 v5, 2, v5
	ds_write_b32 v5, v42
	s_or_b64 exec, exec, s[6:7]
	s_and_saveexec_b64 s[4:5], s[2:3]
	s_cbranch_execnz .LBB193_258
	s_branch .LBB193_259
	.section	.rodata,"a",@progbits
	.p2align	6, 0x0
	.amdhsa_kernel _ZN7rocprim17ROCPRIM_400000_NS6detail17trampoline_kernelINS0_14default_configENS1_29reduce_by_key_config_selectorIffN6thrust23THRUST_200600_302600_NS4plusIfEEEEZZNS1_33reduce_by_key_impl_wrapped_configILNS1_25lookback_scan_determinismE0ES3_S9_NS6_6detail15normal_iteratorINS6_10device_ptrIfEEEESG_SG_SG_PmS8_NS6_8equal_toIfEEEE10hipError_tPvRmT2_T3_mT4_T5_T6_T7_T8_P12ihipStream_tbENKUlT_T0_E_clISt17integral_constantIbLb0EES10_IbLb1EEEEDaSW_SX_EUlSW_E_NS1_11comp_targetILNS1_3genE4ELNS1_11target_archE910ELNS1_3gpuE8ELNS1_3repE0EEENS1_30default_config_static_selectorELNS0_4arch9wavefront6targetE1EEEvT1_
		.amdhsa_group_segment_fixed_size 15360
		.amdhsa_private_segment_fixed_size 0
		.amdhsa_kernarg_size 120
		.amdhsa_user_sgpr_count 6
		.amdhsa_user_sgpr_private_segment_buffer 1
		.amdhsa_user_sgpr_dispatch_ptr 0
		.amdhsa_user_sgpr_queue_ptr 0
		.amdhsa_user_sgpr_kernarg_segment_ptr 1
		.amdhsa_user_sgpr_dispatch_id 0
		.amdhsa_user_sgpr_flat_scratch_init 0
		.amdhsa_user_sgpr_kernarg_preload_length 0
		.amdhsa_user_sgpr_kernarg_preload_offset 0
		.amdhsa_user_sgpr_private_segment_size 0
		.amdhsa_uses_dynamic_stack 0
		.amdhsa_system_sgpr_private_segment_wavefront_offset 0
		.amdhsa_system_sgpr_workgroup_id_x 1
		.amdhsa_system_sgpr_workgroup_id_y 0
		.amdhsa_system_sgpr_workgroup_id_z 0
		.amdhsa_system_sgpr_workgroup_info 0
		.amdhsa_system_vgpr_workitem_id 0
		.amdhsa_next_free_vgpr 106
		.amdhsa_next_free_sgpr 66
		.amdhsa_accum_offset 108
		.amdhsa_reserve_vcc 1
		.amdhsa_reserve_flat_scratch 0
		.amdhsa_float_round_mode_32 0
		.amdhsa_float_round_mode_16_64 0
		.amdhsa_float_denorm_mode_32 3
		.amdhsa_float_denorm_mode_16_64 3
		.amdhsa_dx10_clamp 1
		.amdhsa_ieee_mode 1
		.amdhsa_fp16_overflow 0
		.amdhsa_tg_split 0
		.amdhsa_exception_fp_ieee_invalid_op 0
		.amdhsa_exception_fp_denorm_src 0
		.amdhsa_exception_fp_ieee_div_zero 0
		.amdhsa_exception_fp_ieee_overflow 0
		.amdhsa_exception_fp_ieee_underflow 0
		.amdhsa_exception_fp_ieee_inexact 0
		.amdhsa_exception_int_div_zero 0
	.end_amdhsa_kernel
	.section	.text._ZN7rocprim17ROCPRIM_400000_NS6detail17trampoline_kernelINS0_14default_configENS1_29reduce_by_key_config_selectorIffN6thrust23THRUST_200600_302600_NS4plusIfEEEEZZNS1_33reduce_by_key_impl_wrapped_configILNS1_25lookback_scan_determinismE0ES3_S9_NS6_6detail15normal_iteratorINS6_10device_ptrIfEEEESG_SG_SG_PmS8_NS6_8equal_toIfEEEE10hipError_tPvRmT2_T3_mT4_T5_T6_T7_T8_P12ihipStream_tbENKUlT_T0_E_clISt17integral_constantIbLb0EES10_IbLb1EEEEDaSW_SX_EUlSW_E_NS1_11comp_targetILNS1_3genE4ELNS1_11target_archE910ELNS1_3gpuE8ELNS1_3repE0EEENS1_30default_config_static_selectorELNS0_4arch9wavefront6targetE1EEEvT1_,"axG",@progbits,_ZN7rocprim17ROCPRIM_400000_NS6detail17trampoline_kernelINS0_14default_configENS1_29reduce_by_key_config_selectorIffN6thrust23THRUST_200600_302600_NS4plusIfEEEEZZNS1_33reduce_by_key_impl_wrapped_configILNS1_25lookback_scan_determinismE0ES3_S9_NS6_6detail15normal_iteratorINS6_10device_ptrIfEEEESG_SG_SG_PmS8_NS6_8equal_toIfEEEE10hipError_tPvRmT2_T3_mT4_T5_T6_T7_T8_P12ihipStream_tbENKUlT_T0_E_clISt17integral_constantIbLb0EES10_IbLb1EEEEDaSW_SX_EUlSW_E_NS1_11comp_targetILNS1_3genE4ELNS1_11target_archE910ELNS1_3gpuE8ELNS1_3repE0EEENS1_30default_config_static_selectorELNS0_4arch9wavefront6targetE1EEEvT1_,comdat
.Lfunc_end193:
	.size	_ZN7rocprim17ROCPRIM_400000_NS6detail17trampoline_kernelINS0_14default_configENS1_29reduce_by_key_config_selectorIffN6thrust23THRUST_200600_302600_NS4plusIfEEEEZZNS1_33reduce_by_key_impl_wrapped_configILNS1_25lookback_scan_determinismE0ES3_S9_NS6_6detail15normal_iteratorINS6_10device_ptrIfEEEESG_SG_SG_PmS8_NS6_8equal_toIfEEEE10hipError_tPvRmT2_T3_mT4_T5_T6_T7_T8_P12ihipStream_tbENKUlT_T0_E_clISt17integral_constantIbLb0EES10_IbLb1EEEEDaSW_SX_EUlSW_E_NS1_11comp_targetILNS1_3genE4ELNS1_11target_archE910ELNS1_3gpuE8ELNS1_3repE0EEENS1_30default_config_static_selectorELNS0_4arch9wavefront6targetE1EEEvT1_, .Lfunc_end193-_ZN7rocprim17ROCPRIM_400000_NS6detail17trampoline_kernelINS0_14default_configENS1_29reduce_by_key_config_selectorIffN6thrust23THRUST_200600_302600_NS4plusIfEEEEZZNS1_33reduce_by_key_impl_wrapped_configILNS1_25lookback_scan_determinismE0ES3_S9_NS6_6detail15normal_iteratorINS6_10device_ptrIfEEEESG_SG_SG_PmS8_NS6_8equal_toIfEEEE10hipError_tPvRmT2_T3_mT4_T5_T6_T7_T8_P12ihipStream_tbENKUlT_T0_E_clISt17integral_constantIbLb0EES10_IbLb1EEEEDaSW_SX_EUlSW_E_NS1_11comp_targetILNS1_3genE4ELNS1_11target_archE910ELNS1_3gpuE8ELNS1_3repE0EEENS1_30default_config_static_selectorELNS0_4arch9wavefront6targetE1EEEvT1_
                                        ; -- End function
	.section	.AMDGPU.csdata,"",@progbits
; Kernel info:
; codeLenInByte = 17424
; NumSgprs: 70
; NumVgprs: 106
; NumAgprs: 0
; TotalNumVgprs: 106
; ScratchSize: 0
; MemoryBound: 0
; FloatMode: 240
; IeeeMode: 1
; LDSByteSize: 15360 bytes/workgroup (compile time only)
; SGPRBlocks: 8
; VGPRBlocks: 13
; NumSGPRsForWavesPerEU: 70
; NumVGPRsForWavesPerEU: 106
; AccumOffset: 108
; Occupancy: 4
; WaveLimiterHint : 1
; COMPUTE_PGM_RSRC2:SCRATCH_EN: 0
; COMPUTE_PGM_RSRC2:USER_SGPR: 6
; COMPUTE_PGM_RSRC2:TRAP_HANDLER: 0
; COMPUTE_PGM_RSRC2:TGID_X_EN: 1
; COMPUTE_PGM_RSRC2:TGID_Y_EN: 0
; COMPUTE_PGM_RSRC2:TGID_Z_EN: 0
; COMPUTE_PGM_RSRC2:TIDIG_COMP_CNT: 0
; COMPUTE_PGM_RSRC3_GFX90A:ACCUM_OFFSET: 26
; COMPUTE_PGM_RSRC3_GFX90A:TG_SPLIT: 0
	.section	.text._ZN7rocprim17ROCPRIM_400000_NS6detail17trampoline_kernelINS0_14default_configENS1_29reduce_by_key_config_selectorIffN6thrust23THRUST_200600_302600_NS4plusIfEEEEZZNS1_33reduce_by_key_impl_wrapped_configILNS1_25lookback_scan_determinismE0ES3_S9_NS6_6detail15normal_iteratorINS6_10device_ptrIfEEEESG_SG_SG_PmS8_NS6_8equal_toIfEEEE10hipError_tPvRmT2_T3_mT4_T5_T6_T7_T8_P12ihipStream_tbENKUlT_T0_E_clISt17integral_constantIbLb0EES10_IbLb1EEEEDaSW_SX_EUlSW_E_NS1_11comp_targetILNS1_3genE3ELNS1_11target_archE908ELNS1_3gpuE7ELNS1_3repE0EEENS1_30default_config_static_selectorELNS0_4arch9wavefront6targetE1EEEvT1_,"axG",@progbits,_ZN7rocprim17ROCPRIM_400000_NS6detail17trampoline_kernelINS0_14default_configENS1_29reduce_by_key_config_selectorIffN6thrust23THRUST_200600_302600_NS4plusIfEEEEZZNS1_33reduce_by_key_impl_wrapped_configILNS1_25lookback_scan_determinismE0ES3_S9_NS6_6detail15normal_iteratorINS6_10device_ptrIfEEEESG_SG_SG_PmS8_NS6_8equal_toIfEEEE10hipError_tPvRmT2_T3_mT4_T5_T6_T7_T8_P12ihipStream_tbENKUlT_T0_E_clISt17integral_constantIbLb0EES10_IbLb1EEEEDaSW_SX_EUlSW_E_NS1_11comp_targetILNS1_3genE3ELNS1_11target_archE908ELNS1_3gpuE7ELNS1_3repE0EEENS1_30default_config_static_selectorELNS0_4arch9wavefront6targetE1EEEvT1_,comdat
	.protected	_ZN7rocprim17ROCPRIM_400000_NS6detail17trampoline_kernelINS0_14default_configENS1_29reduce_by_key_config_selectorIffN6thrust23THRUST_200600_302600_NS4plusIfEEEEZZNS1_33reduce_by_key_impl_wrapped_configILNS1_25lookback_scan_determinismE0ES3_S9_NS6_6detail15normal_iteratorINS6_10device_ptrIfEEEESG_SG_SG_PmS8_NS6_8equal_toIfEEEE10hipError_tPvRmT2_T3_mT4_T5_T6_T7_T8_P12ihipStream_tbENKUlT_T0_E_clISt17integral_constantIbLb0EES10_IbLb1EEEEDaSW_SX_EUlSW_E_NS1_11comp_targetILNS1_3genE3ELNS1_11target_archE908ELNS1_3gpuE7ELNS1_3repE0EEENS1_30default_config_static_selectorELNS0_4arch9wavefront6targetE1EEEvT1_ ; -- Begin function _ZN7rocprim17ROCPRIM_400000_NS6detail17trampoline_kernelINS0_14default_configENS1_29reduce_by_key_config_selectorIffN6thrust23THRUST_200600_302600_NS4plusIfEEEEZZNS1_33reduce_by_key_impl_wrapped_configILNS1_25lookback_scan_determinismE0ES3_S9_NS6_6detail15normal_iteratorINS6_10device_ptrIfEEEESG_SG_SG_PmS8_NS6_8equal_toIfEEEE10hipError_tPvRmT2_T3_mT4_T5_T6_T7_T8_P12ihipStream_tbENKUlT_T0_E_clISt17integral_constantIbLb0EES10_IbLb1EEEEDaSW_SX_EUlSW_E_NS1_11comp_targetILNS1_3genE3ELNS1_11target_archE908ELNS1_3gpuE7ELNS1_3repE0EEENS1_30default_config_static_selectorELNS0_4arch9wavefront6targetE1EEEvT1_
	.globl	_ZN7rocprim17ROCPRIM_400000_NS6detail17trampoline_kernelINS0_14default_configENS1_29reduce_by_key_config_selectorIffN6thrust23THRUST_200600_302600_NS4plusIfEEEEZZNS1_33reduce_by_key_impl_wrapped_configILNS1_25lookback_scan_determinismE0ES3_S9_NS6_6detail15normal_iteratorINS6_10device_ptrIfEEEESG_SG_SG_PmS8_NS6_8equal_toIfEEEE10hipError_tPvRmT2_T3_mT4_T5_T6_T7_T8_P12ihipStream_tbENKUlT_T0_E_clISt17integral_constantIbLb0EES10_IbLb1EEEEDaSW_SX_EUlSW_E_NS1_11comp_targetILNS1_3genE3ELNS1_11target_archE908ELNS1_3gpuE7ELNS1_3repE0EEENS1_30default_config_static_selectorELNS0_4arch9wavefront6targetE1EEEvT1_
	.p2align	8
	.type	_ZN7rocprim17ROCPRIM_400000_NS6detail17trampoline_kernelINS0_14default_configENS1_29reduce_by_key_config_selectorIffN6thrust23THRUST_200600_302600_NS4plusIfEEEEZZNS1_33reduce_by_key_impl_wrapped_configILNS1_25lookback_scan_determinismE0ES3_S9_NS6_6detail15normal_iteratorINS6_10device_ptrIfEEEESG_SG_SG_PmS8_NS6_8equal_toIfEEEE10hipError_tPvRmT2_T3_mT4_T5_T6_T7_T8_P12ihipStream_tbENKUlT_T0_E_clISt17integral_constantIbLb0EES10_IbLb1EEEEDaSW_SX_EUlSW_E_NS1_11comp_targetILNS1_3genE3ELNS1_11target_archE908ELNS1_3gpuE7ELNS1_3repE0EEENS1_30default_config_static_selectorELNS0_4arch9wavefront6targetE1EEEvT1_,@function
_ZN7rocprim17ROCPRIM_400000_NS6detail17trampoline_kernelINS0_14default_configENS1_29reduce_by_key_config_selectorIffN6thrust23THRUST_200600_302600_NS4plusIfEEEEZZNS1_33reduce_by_key_impl_wrapped_configILNS1_25lookback_scan_determinismE0ES3_S9_NS6_6detail15normal_iteratorINS6_10device_ptrIfEEEESG_SG_SG_PmS8_NS6_8equal_toIfEEEE10hipError_tPvRmT2_T3_mT4_T5_T6_T7_T8_P12ihipStream_tbENKUlT_T0_E_clISt17integral_constantIbLb0EES10_IbLb1EEEEDaSW_SX_EUlSW_E_NS1_11comp_targetILNS1_3genE3ELNS1_11target_archE908ELNS1_3gpuE7ELNS1_3repE0EEENS1_30default_config_static_selectorELNS0_4arch9wavefront6targetE1EEEvT1_: ; @_ZN7rocprim17ROCPRIM_400000_NS6detail17trampoline_kernelINS0_14default_configENS1_29reduce_by_key_config_selectorIffN6thrust23THRUST_200600_302600_NS4plusIfEEEEZZNS1_33reduce_by_key_impl_wrapped_configILNS1_25lookback_scan_determinismE0ES3_S9_NS6_6detail15normal_iteratorINS6_10device_ptrIfEEEESG_SG_SG_PmS8_NS6_8equal_toIfEEEE10hipError_tPvRmT2_T3_mT4_T5_T6_T7_T8_P12ihipStream_tbENKUlT_T0_E_clISt17integral_constantIbLb0EES10_IbLb1EEEEDaSW_SX_EUlSW_E_NS1_11comp_targetILNS1_3genE3ELNS1_11target_archE908ELNS1_3gpuE7ELNS1_3repE0EEENS1_30default_config_static_selectorELNS0_4arch9wavefront6targetE1EEEvT1_
; %bb.0:
	.section	.rodata,"a",@progbits
	.p2align	6, 0x0
	.amdhsa_kernel _ZN7rocprim17ROCPRIM_400000_NS6detail17trampoline_kernelINS0_14default_configENS1_29reduce_by_key_config_selectorIffN6thrust23THRUST_200600_302600_NS4plusIfEEEEZZNS1_33reduce_by_key_impl_wrapped_configILNS1_25lookback_scan_determinismE0ES3_S9_NS6_6detail15normal_iteratorINS6_10device_ptrIfEEEESG_SG_SG_PmS8_NS6_8equal_toIfEEEE10hipError_tPvRmT2_T3_mT4_T5_T6_T7_T8_P12ihipStream_tbENKUlT_T0_E_clISt17integral_constantIbLb0EES10_IbLb1EEEEDaSW_SX_EUlSW_E_NS1_11comp_targetILNS1_3genE3ELNS1_11target_archE908ELNS1_3gpuE7ELNS1_3repE0EEENS1_30default_config_static_selectorELNS0_4arch9wavefront6targetE1EEEvT1_
		.amdhsa_group_segment_fixed_size 0
		.amdhsa_private_segment_fixed_size 0
		.amdhsa_kernarg_size 120
		.amdhsa_user_sgpr_count 6
		.amdhsa_user_sgpr_private_segment_buffer 1
		.amdhsa_user_sgpr_dispatch_ptr 0
		.amdhsa_user_sgpr_queue_ptr 0
		.amdhsa_user_sgpr_kernarg_segment_ptr 1
		.amdhsa_user_sgpr_dispatch_id 0
		.amdhsa_user_sgpr_flat_scratch_init 0
		.amdhsa_user_sgpr_kernarg_preload_length 0
		.amdhsa_user_sgpr_kernarg_preload_offset 0
		.amdhsa_user_sgpr_private_segment_size 0
		.amdhsa_uses_dynamic_stack 0
		.amdhsa_system_sgpr_private_segment_wavefront_offset 0
		.amdhsa_system_sgpr_workgroup_id_x 1
		.amdhsa_system_sgpr_workgroup_id_y 0
		.amdhsa_system_sgpr_workgroup_id_z 0
		.amdhsa_system_sgpr_workgroup_info 0
		.amdhsa_system_vgpr_workitem_id 0
		.amdhsa_next_free_vgpr 1
		.amdhsa_next_free_sgpr 0
		.amdhsa_accum_offset 4
		.amdhsa_reserve_vcc 0
		.amdhsa_reserve_flat_scratch 0
		.amdhsa_float_round_mode_32 0
		.amdhsa_float_round_mode_16_64 0
		.amdhsa_float_denorm_mode_32 3
		.amdhsa_float_denorm_mode_16_64 3
		.amdhsa_dx10_clamp 1
		.amdhsa_ieee_mode 1
		.amdhsa_fp16_overflow 0
		.amdhsa_tg_split 0
		.amdhsa_exception_fp_ieee_invalid_op 0
		.amdhsa_exception_fp_denorm_src 0
		.amdhsa_exception_fp_ieee_div_zero 0
		.amdhsa_exception_fp_ieee_overflow 0
		.amdhsa_exception_fp_ieee_underflow 0
		.amdhsa_exception_fp_ieee_inexact 0
		.amdhsa_exception_int_div_zero 0
	.end_amdhsa_kernel
	.section	.text._ZN7rocprim17ROCPRIM_400000_NS6detail17trampoline_kernelINS0_14default_configENS1_29reduce_by_key_config_selectorIffN6thrust23THRUST_200600_302600_NS4plusIfEEEEZZNS1_33reduce_by_key_impl_wrapped_configILNS1_25lookback_scan_determinismE0ES3_S9_NS6_6detail15normal_iteratorINS6_10device_ptrIfEEEESG_SG_SG_PmS8_NS6_8equal_toIfEEEE10hipError_tPvRmT2_T3_mT4_T5_T6_T7_T8_P12ihipStream_tbENKUlT_T0_E_clISt17integral_constantIbLb0EES10_IbLb1EEEEDaSW_SX_EUlSW_E_NS1_11comp_targetILNS1_3genE3ELNS1_11target_archE908ELNS1_3gpuE7ELNS1_3repE0EEENS1_30default_config_static_selectorELNS0_4arch9wavefront6targetE1EEEvT1_,"axG",@progbits,_ZN7rocprim17ROCPRIM_400000_NS6detail17trampoline_kernelINS0_14default_configENS1_29reduce_by_key_config_selectorIffN6thrust23THRUST_200600_302600_NS4plusIfEEEEZZNS1_33reduce_by_key_impl_wrapped_configILNS1_25lookback_scan_determinismE0ES3_S9_NS6_6detail15normal_iteratorINS6_10device_ptrIfEEEESG_SG_SG_PmS8_NS6_8equal_toIfEEEE10hipError_tPvRmT2_T3_mT4_T5_T6_T7_T8_P12ihipStream_tbENKUlT_T0_E_clISt17integral_constantIbLb0EES10_IbLb1EEEEDaSW_SX_EUlSW_E_NS1_11comp_targetILNS1_3genE3ELNS1_11target_archE908ELNS1_3gpuE7ELNS1_3repE0EEENS1_30default_config_static_selectorELNS0_4arch9wavefront6targetE1EEEvT1_,comdat
.Lfunc_end194:
	.size	_ZN7rocprim17ROCPRIM_400000_NS6detail17trampoline_kernelINS0_14default_configENS1_29reduce_by_key_config_selectorIffN6thrust23THRUST_200600_302600_NS4plusIfEEEEZZNS1_33reduce_by_key_impl_wrapped_configILNS1_25lookback_scan_determinismE0ES3_S9_NS6_6detail15normal_iteratorINS6_10device_ptrIfEEEESG_SG_SG_PmS8_NS6_8equal_toIfEEEE10hipError_tPvRmT2_T3_mT4_T5_T6_T7_T8_P12ihipStream_tbENKUlT_T0_E_clISt17integral_constantIbLb0EES10_IbLb1EEEEDaSW_SX_EUlSW_E_NS1_11comp_targetILNS1_3genE3ELNS1_11target_archE908ELNS1_3gpuE7ELNS1_3repE0EEENS1_30default_config_static_selectorELNS0_4arch9wavefront6targetE1EEEvT1_, .Lfunc_end194-_ZN7rocprim17ROCPRIM_400000_NS6detail17trampoline_kernelINS0_14default_configENS1_29reduce_by_key_config_selectorIffN6thrust23THRUST_200600_302600_NS4plusIfEEEEZZNS1_33reduce_by_key_impl_wrapped_configILNS1_25lookback_scan_determinismE0ES3_S9_NS6_6detail15normal_iteratorINS6_10device_ptrIfEEEESG_SG_SG_PmS8_NS6_8equal_toIfEEEE10hipError_tPvRmT2_T3_mT4_T5_T6_T7_T8_P12ihipStream_tbENKUlT_T0_E_clISt17integral_constantIbLb0EES10_IbLb1EEEEDaSW_SX_EUlSW_E_NS1_11comp_targetILNS1_3genE3ELNS1_11target_archE908ELNS1_3gpuE7ELNS1_3repE0EEENS1_30default_config_static_selectorELNS0_4arch9wavefront6targetE1EEEvT1_
                                        ; -- End function
	.section	.AMDGPU.csdata,"",@progbits
; Kernel info:
; codeLenInByte = 0
; NumSgprs: 4
; NumVgprs: 0
; NumAgprs: 0
; TotalNumVgprs: 0
; ScratchSize: 0
; MemoryBound: 0
; FloatMode: 240
; IeeeMode: 1
; LDSByteSize: 0 bytes/workgroup (compile time only)
; SGPRBlocks: 0
; VGPRBlocks: 0
; NumSGPRsForWavesPerEU: 4
; NumVGPRsForWavesPerEU: 1
; AccumOffset: 4
; Occupancy: 8
; WaveLimiterHint : 0
; COMPUTE_PGM_RSRC2:SCRATCH_EN: 0
; COMPUTE_PGM_RSRC2:USER_SGPR: 6
; COMPUTE_PGM_RSRC2:TRAP_HANDLER: 0
; COMPUTE_PGM_RSRC2:TGID_X_EN: 1
; COMPUTE_PGM_RSRC2:TGID_Y_EN: 0
; COMPUTE_PGM_RSRC2:TGID_Z_EN: 0
; COMPUTE_PGM_RSRC2:TIDIG_COMP_CNT: 0
; COMPUTE_PGM_RSRC3_GFX90A:ACCUM_OFFSET: 0
; COMPUTE_PGM_RSRC3_GFX90A:TG_SPLIT: 0
	.section	.text._ZN7rocprim17ROCPRIM_400000_NS6detail17trampoline_kernelINS0_14default_configENS1_29reduce_by_key_config_selectorIffN6thrust23THRUST_200600_302600_NS4plusIfEEEEZZNS1_33reduce_by_key_impl_wrapped_configILNS1_25lookback_scan_determinismE0ES3_S9_NS6_6detail15normal_iteratorINS6_10device_ptrIfEEEESG_SG_SG_PmS8_NS6_8equal_toIfEEEE10hipError_tPvRmT2_T3_mT4_T5_T6_T7_T8_P12ihipStream_tbENKUlT_T0_E_clISt17integral_constantIbLb0EES10_IbLb1EEEEDaSW_SX_EUlSW_E_NS1_11comp_targetILNS1_3genE2ELNS1_11target_archE906ELNS1_3gpuE6ELNS1_3repE0EEENS1_30default_config_static_selectorELNS0_4arch9wavefront6targetE1EEEvT1_,"axG",@progbits,_ZN7rocprim17ROCPRIM_400000_NS6detail17trampoline_kernelINS0_14default_configENS1_29reduce_by_key_config_selectorIffN6thrust23THRUST_200600_302600_NS4plusIfEEEEZZNS1_33reduce_by_key_impl_wrapped_configILNS1_25lookback_scan_determinismE0ES3_S9_NS6_6detail15normal_iteratorINS6_10device_ptrIfEEEESG_SG_SG_PmS8_NS6_8equal_toIfEEEE10hipError_tPvRmT2_T3_mT4_T5_T6_T7_T8_P12ihipStream_tbENKUlT_T0_E_clISt17integral_constantIbLb0EES10_IbLb1EEEEDaSW_SX_EUlSW_E_NS1_11comp_targetILNS1_3genE2ELNS1_11target_archE906ELNS1_3gpuE6ELNS1_3repE0EEENS1_30default_config_static_selectorELNS0_4arch9wavefront6targetE1EEEvT1_,comdat
	.protected	_ZN7rocprim17ROCPRIM_400000_NS6detail17trampoline_kernelINS0_14default_configENS1_29reduce_by_key_config_selectorIffN6thrust23THRUST_200600_302600_NS4plusIfEEEEZZNS1_33reduce_by_key_impl_wrapped_configILNS1_25lookback_scan_determinismE0ES3_S9_NS6_6detail15normal_iteratorINS6_10device_ptrIfEEEESG_SG_SG_PmS8_NS6_8equal_toIfEEEE10hipError_tPvRmT2_T3_mT4_T5_T6_T7_T8_P12ihipStream_tbENKUlT_T0_E_clISt17integral_constantIbLb0EES10_IbLb1EEEEDaSW_SX_EUlSW_E_NS1_11comp_targetILNS1_3genE2ELNS1_11target_archE906ELNS1_3gpuE6ELNS1_3repE0EEENS1_30default_config_static_selectorELNS0_4arch9wavefront6targetE1EEEvT1_ ; -- Begin function _ZN7rocprim17ROCPRIM_400000_NS6detail17trampoline_kernelINS0_14default_configENS1_29reduce_by_key_config_selectorIffN6thrust23THRUST_200600_302600_NS4plusIfEEEEZZNS1_33reduce_by_key_impl_wrapped_configILNS1_25lookback_scan_determinismE0ES3_S9_NS6_6detail15normal_iteratorINS6_10device_ptrIfEEEESG_SG_SG_PmS8_NS6_8equal_toIfEEEE10hipError_tPvRmT2_T3_mT4_T5_T6_T7_T8_P12ihipStream_tbENKUlT_T0_E_clISt17integral_constantIbLb0EES10_IbLb1EEEEDaSW_SX_EUlSW_E_NS1_11comp_targetILNS1_3genE2ELNS1_11target_archE906ELNS1_3gpuE6ELNS1_3repE0EEENS1_30default_config_static_selectorELNS0_4arch9wavefront6targetE1EEEvT1_
	.globl	_ZN7rocprim17ROCPRIM_400000_NS6detail17trampoline_kernelINS0_14default_configENS1_29reduce_by_key_config_selectorIffN6thrust23THRUST_200600_302600_NS4plusIfEEEEZZNS1_33reduce_by_key_impl_wrapped_configILNS1_25lookback_scan_determinismE0ES3_S9_NS6_6detail15normal_iteratorINS6_10device_ptrIfEEEESG_SG_SG_PmS8_NS6_8equal_toIfEEEE10hipError_tPvRmT2_T3_mT4_T5_T6_T7_T8_P12ihipStream_tbENKUlT_T0_E_clISt17integral_constantIbLb0EES10_IbLb1EEEEDaSW_SX_EUlSW_E_NS1_11comp_targetILNS1_3genE2ELNS1_11target_archE906ELNS1_3gpuE6ELNS1_3repE0EEENS1_30default_config_static_selectorELNS0_4arch9wavefront6targetE1EEEvT1_
	.p2align	8
	.type	_ZN7rocprim17ROCPRIM_400000_NS6detail17trampoline_kernelINS0_14default_configENS1_29reduce_by_key_config_selectorIffN6thrust23THRUST_200600_302600_NS4plusIfEEEEZZNS1_33reduce_by_key_impl_wrapped_configILNS1_25lookback_scan_determinismE0ES3_S9_NS6_6detail15normal_iteratorINS6_10device_ptrIfEEEESG_SG_SG_PmS8_NS6_8equal_toIfEEEE10hipError_tPvRmT2_T3_mT4_T5_T6_T7_T8_P12ihipStream_tbENKUlT_T0_E_clISt17integral_constantIbLb0EES10_IbLb1EEEEDaSW_SX_EUlSW_E_NS1_11comp_targetILNS1_3genE2ELNS1_11target_archE906ELNS1_3gpuE6ELNS1_3repE0EEENS1_30default_config_static_selectorELNS0_4arch9wavefront6targetE1EEEvT1_,@function
_ZN7rocprim17ROCPRIM_400000_NS6detail17trampoline_kernelINS0_14default_configENS1_29reduce_by_key_config_selectorIffN6thrust23THRUST_200600_302600_NS4plusIfEEEEZZNS1_33reduce_by_key_impl_wrapped_configILNS1_25lookback_scan_determinismE0ES3_S9_NS6_6detail15normal_iteratorINS6_10device_ptrIfEEEESG_SG_SG_PmS8_NS6_8equal_toIfEEEE10hipError_tPvRmT2_T3_mT4_T5_T6_T7_T8_P12ihipStream_tbENKUlT_T0_E_clISt17integral_constantIbLb0EES10_IbLb1EEEEDaSW_SX_EUlSW_E_NS1_11comp_targetILNS1_3genE2ELNS1_11target_archE906ELNS1_3gpuE6ELNS1_3repE0EEENS1_30default_config_static_selectorELNS0_4arch9wavefront6targetE1EEEvT1_: ; @_ZN7rocprim17ROCPRIM_400000_NS6detail17trampoline_kernelINS0_14default_configENS1_29reduce_by_key_config_selectorIffN6thrust23THRUST_200600_302600_NS4plusIfEEEEZZNS1_33reduce_by_key_impl_wrapped_configILNS1_25lookback_scan_determinismE0ES3_S9_NS6_6detail15normal_iteratorINS6_10device_ptrIfEEEESG_SG_SG_PmS8_NS6_8equal_toIfEEEE10hipError_tPvRmT2_T3_mT4_T5_T6_T7_T8_P12ihipStream_tbENKUlT_T0_E_clISt17integral_constantIbLb0EES10_IbLb1EEEEDaSW_SX_EUlSW_E_NS1_11comp_targetILNS1_3genE2ELNS1_11target_archE906ELNS1_3gpuE6ELNS1_3repE0EEENS1_30default_config_static_selectorELNS0_4arch9wavefront6targetE1EEEvT1_
; %bb.0:
	.section	.rodata,"a",@progbits
	.p2align	6, 0x0
	.amdhsa_kernel _ZN7rocprim17ROCPRIM_400000_NS6detail17trampoline_kernelINS0_14default_configENS1_29reduce_by_key_config_selectorIffN6thrust23THRUST_200600_302600_NS4plusIfEEEEZZNS1_33reduce_by_key_impl_wrapped_configILNS1_25lookback_scan_determinismE0ES3_S9_NS6_6detail15normal_iteratorINS6_10device_ptrIfEEEESG_SG_SG_PmS8_NS6_8equal_toIfEEEE10hipError_tPvRmT2_T3_mT4_T5_T6_T7_T8_P12ihipStream_tbENKUlT_T0_E_clISt17integral_constantIbLb0EES10_IbLb1EEEEDaSW_SX_EUlSW_E_NS1_11comp_targetILNS1_3genE2ELNS1_11target_archE906ELNS1_3gpuE6ELNS1_3repE0EEENS1_30default_config_static_selectorELNS0_4arch9wavefront6targetE1EEEvT1_
		.amdhsa_group_segment_fixed_size 0
		.amdhsa_private_segment_fixed_size 0
		.amdhsa_kernarg_size 120
		.amdhsa_user_sgpr_count 6
		.amdhsa_user_sgpr_private_segment_buffer 1
		.amdhsa_user_sgpr_dispatch_ptr 0
		.amdhsa_user_sgpr_queue_ptr 0
		.amdhsa_user_sgpr_kernarg_segment_ptr 1
		.amdhsa_user_sgpr_dispatch_id 0
		.amdhsa_user_sgpr_flat_scratch_init 0
		.amdhsa_user_sgpr_kernarg_preload_length 0
		.amdhsa_user_sgpr_kernarg_preload_offset 0
		.amdhsa_user_sgpr_private_segment_size 0
		.amdhsa_uses_dynamic_stack 0
		.amdhsa_system_sgpr_private_segment_wavefront_offset 0
		.amdhsa_system_sgpr_workgroup_id_x 1
		.amdhsa_system_sgpr_workgroup_id_y 0
		.amdhsa_system_sgpr_workgroup_id_z 0
		.amdhsa_system_sgpr_workgroup_info 0
		.amdhsa_system_vgpr_workitem_id 0
		.amdhsa_next_free_vgpr 1
		.amdhsa_next_free_sgpr 0
		.amdhsa_accum_offset 4
		.amdhsa_reserve_vcc 0
		.amdhsa_reserve_flat_scratch 0
		.amdhsa_float_round_mode_32 0
		.amdhsa_float_round_mode_16_64 0
		.amdhsa_float_denorm_mode_32 3
		.amdhsa_float_denorm_mode_16_64 3
		.amdhsa_dx10_clamp 1
		.amdhsa_ieee_mode 1
		.amdhsa_fp16_overflow 0
		.amdhsa_tg_split 0
		.amdhsa_exception_fp_ieee_invalid_op 0
		.amdhsa_exception_fp_denorm_src 0
		.amdhsa_exception_fp_ieee_div_zero 0
		.amdhsa_exception_fp_ieee_overflow 0
		.amdhsa_exception_fp_ieee_underflow 0
		.amdhsa_exception_fp_ieee_inexact 0
		.amdhsa_exception_int_div_zero 0
	.end_amdhsa_kernel
	.section	.text._ZN7rocprim17ROCPRIM_400000_NS6detail17trampoline_kernelINS0_14default_configENS1_29reduce_by_key_config_selectorIffN6thrust23THRUST_200600_302600_NS4plusIfEEEEZZNS1_33reduce_by_key_impl_wrapped_configILNS1_25lookback_scan_determinismE0ES3_S9_NS6_6detail15normal_iteratorINS6_10device_ptrIfEEEESG_SG_SG_PmS8_NS6_8equal_toIfEEEE10hipError_tPvRmT2_T3_mT4_T5_T6_T7_T8_P12ihipStream_tbENKUlT_T0_E_clISt17integral_constantIbLb0EES10_IbLb1EEEEDaSW_SX_EUlSW_E_NS1_11comp_targetILNS1_3genE2ELNS1_11target_archE906ELNS1_3gpuE6ELNS1_3repE0EEENS1_30default_config_static_selectorELNS0_4arch9wavefront6targetE1EEEvT1_,"axG",@progbits,_ZN7rocprim17ROCPRIM_400000_NS6detail17trampoline_kernelINS0_14default_configENS1_29reduce_by_key_config_selectorIffN6thrust23THRUST_200600_302600_NS4plusIfEEEEZZNS1_33reduce_by_key_impl_wrapped_configILNS1_25lookback_scan_determinismE0ES3_S9_NS6_6detail15normal_iteratorINS6_10device_ptrIfEEEESG_SG_SG_PmS8_NS6_8equal_toIfEEEE10hipError_tPvRmT2_T3_mT4_T5_T6_T7_T8_P12ihipStream_tbENKUlT_T0_E_clISt17integral_constantIbLb0EES10_IbLb1EEEEDaSW_SX_EUlSW_E_NS1_11comp_targetILNS1_3genE2ELNS1_11target_archE906ELNS1_3gpuE6ELNS1_3repE0EEENS1_30default_config_static_selectorELNS0_4arch9wavefront6targetE1EEEvT1_,comdat
.Lfunc_end195:
	.size	_ZN7rocprim17ROCPRIM_400000_NS6detail17trampoline_kernelINS0_14default_configENS1_29reduce_by_key_config_selectorIffN6thrust23THRUST_200600_302600_NS4plusIfEEEEZZNS1_33reduce_by_key_impl_wrapped_configILNS1_25lookback_scan_determinismE0ES3_S9_NS6_6detail15normal_iteratorINS6_10device_ptrIfEEEESG_SG_SG_PmS8_NS6_8equal_toIfEEEE10hipError_tPvRmT2_T3_mT4_T5_T6_T7_T8_P12ihipStream_tbENKUlT_T0_E_clISt17integral_constantIbLb0EES10_IbLb1EEEEDaSW_SX_EUlSW_E_NS1_11comp_targetILNS1_3genE2ELNS1_11target_archE906ELNS1_3gpuE6ELNS1_3repE0EEENS1_30default_config_static_selectorELNS0_4arch9wavefront6targetE1EEEvT1_, .Lfunc_end195-_ZN7rocprim17ROCPRIM_400000_NS6detail17trampoline_kernelINS0_14default_configENS1_29reduce_by_key_config_selectorIffN6thrust23THRUST_200600_302600_NS4plusIfEEEEZZNS1_33reduce_by_key_impl_wrapped_configILNS1_25lookback_scan_determinismE0ES3_S9_NS6_6detail15normal_iteratorINS6_10device_ptrIfEEEESG_SG_SG_PmS8_NS6_8equal_toIfEEEE10hipError_tPvRmT2_T3_mT4_T5_T6_T7_T8_P12ihipStream_tbENKUlT_T0_E_clISt17integral_constantIbLb0EES10_IbLb1EEEEDaSW_SX_EUlSW_E_NS1_11comp_targetILNS1_3genE2ELNS1_11target_archE906ELNS1_3gpuE6ELNS1_3repE0EEENS1_30default_config_static_selectorELNS0_4arch9wavefront6targetE1EEEvT1_
                                        ; -- End function
	.section	.AMDGPU.csdata,"",@progbits
; Kernel info:
; codeLenInByte = 0
; NumSgprs: 4
; NumVgprs: 0
; NumAgprs: 0
; TotalNumVgprs: 0
; ScratchSize: 0
; MemoryBound: 0
; FloatMode: 240
; IeeeMode: 1
; LDSByteSize: 0 bytes/workgroup (compile time only)
; SGPRBlocks: 0
; VGPRBlocks: 0
; NumSGPRsForWavesPerEU: 4
; NumVGPRsForWavesPerEU: 1
; AccumOffset: 4
; Occupancy: 8
; WaveLimiterHint : 0
; COMPUTE_PGM_RSRC2:SCRATCH_EN: 0
; COMPUTE_PGM_RSRC2:USER_SGPR: 6
; COMPUTE_PGM_RSRC2:TRAP_HANDLER: 0
; COMPUTE_PGM_RSRC2:TGID_X_EN: 1
; COMPUTE_PGM_RSRC2:TGID_Y_EN: 0
; COMPUTE_PGM_RSRC2:TGID_Z_EN: 0
; COMPUTE_PGM_RSRC2:TIDIG_COMP_CNT: 0
; COMPUTE_PGM_RSRC3_GFX90A:ACCUM_OFFSET: 0
; COMPUTE_PGM_RSRC3_GFX90A:TG_SPLIT: 0
	.section	.text._ZN7rocprim17ROCPRIM_400000_NS6detail17trampoline_kernelINS0_14default_configENS1_29reduce_by_key_config_selectorIffN6thrust23THRUST_200600_302600_NS4plusIfEEEEZZNS1_33reduce_by_key_impl_wrapped_configILNS1_25lookback_scan_determinismE0ES3_S9_NS6_6detail15normal_iteratorINS6_10device_ptrIfEEEESG_SG_SG_PmS8_NS6_8equal_toIfEEEE10hipError_tPvRmT2_T3_mT4_T5_T6_T7_T8_P12ihipStream_tbENKUlT_T0_E_clISt17integral_constantIbLb0EES10_IbLb1EEEEDaSW_SX_EUlSW_E_NS1_11comp_targetILNS1_3genE10ELNS1_11target_archE1201ELNS1_3gpuE5ELNS1_3repE0EEENS1_30default_config_static_selectorELNS0_4arch9wavefront6targetE1EEEvT1_,"axG",@progbits,_ZN7rocprim17ROCPRIM_400000_NS6detail17trampoline_kernelINS0_14default_configENS1_29reduce_by_key_config_selectorIffN6thrust23THRUST_200600_302600_NS4plusIfEEEEZZNS1_33reduce_by_key_impl_wrapped_configILNS1_25lookback_scan_determinismE0ES3_S9_NS6_6detail15normal_iteratorINS6_10device_ptrIfEEEESG_SG_SG_PmS8_NS6_8equal_toIfEEEE10hipError_tPvRmT2_T3_mT4_T5_T6_T7_T8_P12ihipStream_tbENKUlT_T0_E_clISt17integral_constantIbLb0EES10_IbLb1EEEEDaSW_SX_EUlSW_E_NS1_11comp_targetILNS1_3genE10ELNS1_11target_archE1201ELNS1_3gpuE5ELNS1_3repE0EEENS1_30default_config_static_selectorELNS0_4arch9wavefront6targetE1EEEvT1_,comdat
	.protected	_ZN7rocprim17ROCPRIM_400000_NS6detail17trampoline_kernelINS0_14default_configENS1_29reduce_by_key_config_selectorIffN6thrust23THRUST_200600_302600_NS4plusIfEEEEZZNS1_33reduce_by_key_impl_wrapped_configILNS1_25lookback_scan_determinismE0ES3_S9_NS6_6detail15normal_iteratorINS6_10device_ptrIfEEEESG_SG_SG_PmS8_NS6_8equal_toIfEEEE10hipError_tPvRmT2_T3_mT4_T5_T6_T7_T8_P12ihipStream_tbENKUlT_T0_E_clISt17integral_constantIbLb0EES10_IbLb1EEEEDaSW_SX_EUlSW_E_NS1_11comp_targetILNS1_3genE10ELNS1_11target_archE1201ELNS1_3gpuE5ELNS1_3repE0EEENS1_30default_config_static_selectorELNS0_4arch9wavefront6targetE1EEEvT1_ ; -- Begin function _ZN7rocprim17ROCPRIM_400000_NS6detail17trampoline_kernelINS0_14default_configENS1_29reduce_by_key_config_selectorIffN6thrust23THRUST_200600_302600_NS4plusIfEEEEZZNS1_33reduce_by_key_impl_wrapped_configILNS1_25lookback_scan_determinismE0ES3_S9_NS6_6detail15normal_iteratorINS6_10device_ptrIfEEEESG_SG_SG_PmS8_NS6_8equal_toIfEEEE10hipError_tPvRmT2_T3_mT4_T5_T6_T7_T8_P12ihipStream_tbENKUlT_T0_E_clISt17integral_constantIbLb0EES10_IbLb1EEEEDaSW_SX_EUlSW_E_NS1_11comp_targetILNS1_3genE10ELNS1_11target_archE1201ELNS1_3gpuE5ELNS1_3repE0EEENS1_30default_config_static_selectorELNS0_4arch9wavefront6targetE1EEEvT1_
	.globl	_ZN7rocprim17ROCPRIM_400000_NS6detail17trampoline_kernelINS0_14default_configENS1_29reduce_by_key_config_selectorIffN6thrust23THRUST_200600_302600_NS4plusIfEEEEZZNS1_33reduce_by_key_impl_wrapped_configILNS1_25lookback_scan_determinismE0ES3_S9_NS6_6detail15normal_iteratorINS6_10device_ptrIfEEEESG_SG_SG_PmS8_NS6_8equal_toIfEEEE10hipError_tPvRmT2_T3_mT4_T5_T6_T7_T8_P12ihipStream_tbENKUlT_T0_E_clISt17integral_constantIbLb0EES10_IbLb1EEEEDaSW_SX_EUlSW_E_NS1_11comp_targetILNS1_3genE10ELNS1_11target_archE1201ELNS1_3gpuE5ELNS1_3repE0EEENS1_30default_config_static_selectorELNS0_4arch9wavefront6targetE1EEEvT1_
	.p2align	8
	.type	_ZN7rocprim17ROCPRIM_400000_NS6detail17trampoline_kernelINS0_14default_configENS1_29reduce_by_key_config_selectorIffN6thrust23THRUST_200600_302600_NS4plusIfEEEEZZNS1_33reduce_by_key_impl_wrapped_configILNS1_25lookback_scan_determinismE0ES3_S9_NS6_6detail15normal_iteratorINS6_10device_ptrIfEEEESG_SG_SG_PmS8_NS6_8equal_toIfEEEE10hipError_tPvRmT2_T3_mT4_T5_T6_T7_T8_P12ihipStream_tbENKUlT_T0_E_clISt17integral_constantIbLb0EES10_IbLb1EEEEDaSW_SX_EUlSW_E_NS1_11comp_targetILNS1_3genE10ELNS1_11target_archE1201ELNS1_3gpuE5ELNS1_3repE0EEENS1_30default_config_static_selectorELNS0_4arch9wavefront6targetE1EEEvT1_,@function
_ZN7rocprim17ROCPRIM_400000_NS6detail17trampoline_kernelINS0_14default_configENS1_29reduce_by_key_config_selectorIffN6thrust23THRUST_200600_302600_NS4plusIfEEEEZZNS1_33reduce_by_key_impl_wrapped_configILNS1_25lookback_scan_determinismE0ES3_S9_NS6_6detail15normal_iteratorINS6_10device_ptrIfEEEESG_SG_SG_PmS8_NS6_8equal_toIfEEEE10hipError_tPvRmT2_T3_mT4_T5_T6_T7_T8_P12ihipStream_tbENKUlT_T0_E_clISt17integral_constantIbLb0EES10_IbLb1EEEEDaSW_SX_EUlSW_E_NS1_11comp_targetILNS1_3genE10ELNS1_11target_archE1201ELNS1_3gpuE5ELNS1_3repE0EEENS1_30default_config_static_selectorELNS0_4arch9wavefront6targetE1EEEvT1_: ; @_ZN7rocprim17ROCPRIM_400000_NS6detail17trampoline_kernelINS0_14default_configENS1_29reduce_by_key_config_selectorIffN6thrust23THRUST_200600_302600_NS4plusIfEEEEZZNS1_33reduce_by_key_impl_wrapped_configILNS1_25lookback_scan_determinismE0ES3_S9_NS6_6detail15normal_iteratorINS6_10device_ptrIfEEEESG_SG_SG_PmS8_NS6_8equal_toIfEEEE10hipError_tPvRmT2_T3_mT4_T5_T6_T7_T8_P12ihipStream_tbENKUlT_T0_E_clISt17integral_constantIbLb0EES10_IbLb1EEEEDaSW_SX_EUlSW_E_NS1_11comp_targetILNS1_3genE10ELNS1_11target_archE1201ELNS1_3gpuE5ELNS1_3repE0EEENS1_30default_config_static_selectorELNS0_4arch9wavefront6targetE1EEEvT1_
; %bb.0:
	.section	.rodata,"a",@progbits
	.p2align	6, 0x0
	.amdhsa_kernel _ZN7rocprim17ROCPRIM_400000_NS6detail17trampoline_kernelINS0_14default_configENS1_29reduce_by_key_config_selectorIffN6thrust23THRUST_200600_302600_NS4plusIfEEEEZZNS1_33reduce_by_key_impl_wrapped_configILNS1_25lookback_scan_determinismE0ES3_S9_NS6_6detail15normal_iteratorINS6_10device_ptrIfEEEESG_SG_SG_PmS8_NS6_8equal_toIfEEEE10hipError_tPvRmT2_T3_mT4_T5_T6_T7_T8_P12ihipStream_tbENKUlT_T0_E_clISt17integral_constantIbLb0EES10_IbLb1EEEEDaSW_SX_EUlSW_E_NS1_11comp_targetILNS1_3genE10ELNS1_11target_archE1201ELNS1_3gpuE5ELNS1_3repE0EEENS1_30default_config_static_selectorELNS0_4arch9wavefront6targetE1EEEvT1_
		.amdhsa_group_segment_fixed_size 0
		.amdhsa_private_segment_fixed_size 0
		.amdhsa_kernarg_size 120
		.amdhsa_user_sgpr_count 6
		.amdhsa_user_sgpr_private_segment_buffer 1
		.amdhsa_user_sgpr_dispatch_ptr 0
		.amdhsa_user_sgpr_queue_ptr 0
		.amdhsa_user_sgpr_kernarg_segment_ptr 1
		.amdhsa_user_sgpr_dispatch_id 0
		.amdhsa_user_sgpr_flat_scratch_init 0
		.amdhsa_user_sgpr_kernarg_preload_length 0
		.amdhsa_user_sgpr_kernarg_preload_offset 0
		.amdhsa_user_sgpr_private_segment_size 0
		.amdhsa_uses_dynamic_stack 0
		.amdhsa_system_sgpr_private_segment_wavefront_offset 0
		.amdhsa_system_sgpr_workgroup_id_x 1
		.amdhsa_system_sgpr_workgroup_id_y 0
		.amdhsa_system_sgpr_workgroup_id_z 0
		.amdhsa_system_sgpr_workgroup_info 0
		.amdhsa_system_vgpr_workitem_id 0
		.amdhsa_next_free_vgpr 1
		.amdhsa_next_free_sgpr 0
		.amdhsa_accum_offset 4
		.amdhsa_reserve_vcc 0
		.amdhsa_reserve_flat_scratch 0
		.amdhsa_float_round_mode_32 0
		.amdhsa_float_round_mode_16_64 0
		.amdhsa_float_denorm_mode_32 3
		.amdhsa_float_denorm_mode_16_64 3
		.amdhsa_dx10_clamp 1
		.amdhsa_ieee_mode 1
		.amdhsa_fp16_overflow 0
		.amdhsa_tg_split 0
		.amdhsa_exception_fp_ieee_invalid_op 0
		.amdhsa_exception_fp_denorm_src 0
		.amdhsa_exception_fp_ieee_div_zero 0
		.amdhsa_exception_fp_ieee_overflow 0
		.amdhsa_exception_fp_ieee_underflow 0
		.amdhsa_exception_fp_ieee_inexact 0
		.amdhsa_exception_int_div_zero 0
	.end_amdhsa_kernel
	.section	.text._ZN7rocprim17ROCPRIM_400000_NS6detail17trampoline_kernelINS0_14default_configENS1_29reduce_by_key_config_selectorIffN6thrust23THRUST_200600_302600_NS4plusIfEEEEZZNS1_33reduce_by_key_impl_wrapped_configILNS1_25lookback_scan_determinismE0ES3_S9_NS6_6detail15normal_iteratorINS6_10device_ptrIfEEEESG_SG_SG_PmS8_NS6_8equal_toIfEEEE10hipError_tPvRmT2_T3_mT4_T5_T6_T7_T8_P12ihipStream_tbENKUlT_T0_E_clISt17integral_constantIbLb0EES10_IbLb1EEEEDaSW_SX_EUlSW_E_NS1_11comp_targetILNS1_3genE10ELNS1_11target_archE1201ELNS1_3gpuE5ELNS1_3repE0EEENS1_30default_config_static_selectorELNS0_4arch9wavefront6targetE1EEEvT1_,"axG",@progbits,_ZN7rocprim17ROCPRIM_400000_NS6detail17trampoline_kernelINS0_14default_configENS1_29reduce_by_key_config_selectorIffN6thrust23THRUST_200600_302600_NS4plusIfEEEEZZNS1_33reduce_by_key_impl_wrapped_configILNS1_25lookback_scan_determinismE0ES3_S9_NS6_6detail15normal_iteratorINS6_10device_ptrIfEEEESG_SG_SG_PmS8_NS6_8equal_toIfEEEE10hipError_tPvRmT2_T3_mT4_T5_T6_T7_T8_P12ihipStream_tbENKUlT_T0_E_clISt17integral_constantIbLb0EES10_IbLb1EEEEDaSW_SX_EUlSW_E_NS1_11comp_targetILNS1_3genE10ELNS1_11target_archE1201ELNS1_3gpuE5ELNS1_3repE0EEENS1_30default_config_static_selectorELNS0_4arch9wavefront6targetE1EEEvT1_,comdat
.Lfunc_end196:
	.size	_ZN7rocprim17ROCPRIM_400000_NS6detail17trampoline_kernelINS0_14default_configENS1_29reduce_by_key_config_selectorIffN6thrust23THRUST_200600_302600_NS4plusIfEEEEZZNS1_33reduce_by_key_impl_wrapped_configILNS1_25lookback_scan_determinismE0ES3_S9_NS6_6detail15normal_iteratorINS6_10device_ptrIfEEEESG_SG_SG_PmS8_NS6_8equal_toIfEEEE10hipError_tPvRmT2_T3_mT4_T5_T6_T7_T8_P12ihipStream_tbENKUlT_T0_E_clISt17integral_constantIbLb0EES10_IbLb1EEEEDaSW_SX_EUlSW_E_NS1_11comp_targetILNS1_3genE10ELNS1_11target_archE1201ELNS1_3gpuE5ELNS1_3repE0EEENS1_30default_config_static_selectorELNS0_4arch9wavefront6targetE1EEEvT1_, .Lfunc_end196-_ZN7rocprim17ROCPRIM_400000_NS6detail17trampoline_kernelINS0_14default_configENS1_29reduce_by_key_config_selectorIffN6thrust23THRUST_200600_302600_NS4plusIfEEEEZZNS1_33reduce_by_key_impl_wrapped_configILNS1_25lookback_scan_determinismE0ES3_S9_NS6_6detail15normal_iteratorINS6_10device_ptrIfEEEESG_SG_SG_PmS8_NS6_8equal_toIfEEEE10hipError_tPvRmT2_T3_mT4_T5_T6_T7_T8_P12ihipStream_tbENKUlT_T0_E_clISt17integral_constantIbLb0EES10_IbLb1EEEEDaSW_SX_EUlSW_E_NS1_11comp_targetILNS1_3genE10ELNS1_11target_archE1201ELNS1_3gpuE5ELNS1_3repE0EEENS1_30default_config_static_selectorELNS0_4arch9wavefront6targetE1EEEvT1_
                                        ; -- End function
	.section	.AMDGPU.csdata,"",@progbits
; Kernel info:
; codeLenInByte = 0
; NumSgprs: 4
; NumVgprs: 0
; NumAgprs: 0
; TotalNumVgprs: 0
; ScratchSize: 0
; MemoryBound: 0
; FloatMode: 240
; IeeeMode: 1
; LDSByteSize: 0 bytes/workgroup (compile time only)
; SGPRBlocks: 0
; VGPRBlocks: 0
; NumSGPRsForWavesPerEU: 4
; NumVGPRsForWavesPerEU: 1
; AccumOffset: 4
; Occupancy: 8
; WaveLimiterHint : 0
; COMPUTE_PGM_RSRC2:SCRATCH_EN: 0
; COMPUTE_PGM_RSRC2:USER_SGPR: 6
; COMPUTE_PGM_RSRC2:TRAP_HANDLER: 0
; COMPUTE_PGM_RSRC2:TGID_X_EN: 1
; COMPUTE_PGM_RSRC2:TGID_Y_EN: 0
; COMPUTE_PGM_RSRC2:TGID_Z_EN: 0
; COMPUTE_PGM_RSRC2:TIDIG_COMP_CNT: 0
; COMPUTE_PGM_RSRC3_GFX90A:ACCUM_OFFSET: 0
; COMPUTE_PGM_RSRC3_GFX90A:TG_SPLIT: 0
	.section	.text._ZN7rocprim17ROCPRIM_400000_NS6detail17trampoline_kernelINS0_14default_configENS1_29reduce_by_key_config_selectorIffN6thrust23THRUST_200600_302600_NS4plusIfEEEEZZNS1_33reduce_by_key_impl_wrapped_configILNS1_25lookback_scan_determinismE0ES3_S9_NS6_6detail15normal_iteratorINS6_10device_ptrIfEEEESG_SG_SG_PmS8_NS6_8equal_toIfEEEE10hipError_tPvRmT2_T3_mT4_T5_T6_T7_T8_P12ihipStream_tbENKUlT_T0_E_clISt17integral_constantIbLb0EES10_IbLb1EEEEDaSW_SX_EUlSW_E_NS1_11comp_targetILNS1_3genE10ELNS1_11target_archE1200ELNS1_3gpuE4ELNS1_3repE0EEENS1_30default_config_static_selectorELNS0_4arch9wavefront6targetE1EEEvT1_,"axG",@progbits,_ZN7rocprim17ROCPRIM_400000_NS6detail17trampoline_kernelINS0_14default_configENS1_29reduce_by_key_config_selectorIffN6thrust23THRUST_200600_302600_NS4plusIfEEEEZZNS1_33reduce_by_key_impl_wrapped_configILNS1_25lookback_scan_determinismE0ES3_S9_NS6_6detail15normal_iteratorINS6_10device_ptrIfEEEESG_SG_SG_PmS8_NS6_8equal_toIfEEEE10hipError_tPvRmT2_T3_mT4_T5_T6_T7_T8_P12ihipStream_tbENKUlT_T0_E_clISt17integral_constantIbLb0EES10_IbLb1EEEEDaSW_SX_EUlSW_E_NS1_11comp_targetILNS1_3genE10ELNS1_11target_archE1200ELNS1_3gpuE4ELNS1_3repE0EEENS1_30default_config_static_selectorELNS0_4arch9wavefront6targetE1EEEvT1_,comdat
	.protected	_ZN7rocprim17ROCPRIM_400000_NS6detail17trampoline_kernelINS0_14default_configENS1_29reduce_by_key_config_selectorIffN6thrust23THRUST_200600_302600_NS4plusIfEEEEZZNS1_33reduce_by_key_impl_wrapped_configILNS1_25lookback_scan_determinismE0ES3_S9_NS6_6detail15normal_iteratorINS6_10device_ptrIfEEEESG_SG_SG_PmS8_NS6_8equal_toIfEEEE10hipError_tPvRmT2_T3_mT4_T5_T6_T7_T8_P12ihipStream_tbENKUlT_T0_E_clISt17integral_constantIbLb0EES10_IbLb1EEEEDaSW_SX_EUlSW_E_NS1_11comp_targetILNS1_3genE10ELNS1_11target_archE1200ELNS1_3gpuE4ELNS1_3repE0EEENS1_30default_config_static_selectorELNS0_4arch9wavefront6targetE1EEEvT1_ ; -- Begin function _ZN7rocprim17ROCPRIM_400000_NS6detail17trampoline_kernelINS0_14default_configENS1_29reduce_by_key_config_selectorIffN6thrust23THRUST_200600_302600_NS4plusIfEEEEZZNS1_33reduce_by_key_impl_wrapped_configILNS1_25lookback_scan_determinismE0ES3_S9_NS6_6detail15normal_iteratorINS6_10device_ptrIfEEEESG_SG_SG_PmS8_NS6_8equal_toIfEEEE10hipError_tPvRmT2_T3_mT4_T5_T6_T7_T8_P12ihipStream_tbENKUlT_T0_E_clISt17integral_constantIbLb0EES10_IbLb1EEEEDaSW_SX_EUlSW_E_NS1_11comp_targetILNS1_3genE10ELNS1_11target_archE1200ELNS1_3gpuE4ELNS1_3repE0EEENS1_30default_config_static_selectorELNS0_4arch9wavefront6targetE1EEEvT1_
	.globl	_ZN7rocprim17ROCPRIM_400000_NS6detail17trampoline_kernelINS0_14default_configENS1_29reduce_by_key_config_selectorIffN6thrust23THRUST_200600_302600_NS4plusIfEEEEZZNS1_33reduce_by_key_impl_wrapped_configILNS1_25lookback_scan_determinismE0ES3_S9_NS6_6detail15normal_iteratorINS6_10device_ptrIfEEEESG_SG_SG_PmS8_NS6_8equal_toIfEEEE10hipError_tPvRmT2_T3_mT4_T5_T6_T7_T8_P12ihipStream_tbENKUlT_T0_E_clISt17integral_constantIbLb0EES10_IbLb1EEEEDaSW_SX_EUlSW_E_NS1_11comp_targetILNS1_3genE10ELNS1_11target_archE1200ELNS1_3gpuE4ELNS1_3repE0EEENS1_30default_config_static_selectorELNS0_4arch9wavefront6targetE1EEEvT1_
	.p2align	8
	.type	_ZN7rocprim17ROCPRIM_400000_NS6detail17trampoline_kernelINS0_14default_configENS1_29reduce_by_key_config_selectorIffN6thrust23THRUST_200600_302600_NS4plusIfEEEEZZNS1_33reduce_by_key_impl_wrapped_configILNS1_25lookback_scan_determinismE0ES3_S9_NS6_6detail15normal_iteratorINS6_10device_ptrIfEEEESG_SG_SG_PmS8_NS6_8equal_toIfEEEE10hipError_tPvRmT2_T3_mT4_T5_T6_T7_T8_P12ihipStream_tbENKUlT_T0_E_clISt17integral_constantIbLb0EES10_IbLb1EEEEDaSW_SX_EUlSW_E_NS1_11comp_targetILNS1_3genE10ELNS1_11target_archE1200ELNS1_3gpuE4ELNS1_3repE0EEENS1_30default_config_static_selectorELNS0_4arch9wavefront6targetE1EEEvT1_,@function
_ZN7rocprim17ROCPRIM_400000_NS6detail17trampoline_kernelINS0_14default_configENS1_29reduce_by_key_config_selectorIffN6thrust23THRUST_200600_302600_NS4plusIfEEEEZZNS1_33reduce_by_key_impl_wrapped_configILNS1_25lookback_scan_determinismE0ES3_S9_NS6_6detail15normal_iteratorINS6_10device_ptrIfEEEESG_SG_SG_PmS8_NS6_8equal_toIfEEEE10hipError_tPvRmT2_T3_mT4_T5_T6_T7_T8_P12ihipStream_tbENKUlT_T0_E_clISt17integral_constantIbLb0EES10_IbLb1EEEEDaSW_SX_EUlSW_E_NS1_11comp_targetILNS1_3genE10ELNS1_11target_archE1200ELNS1_3gpuE4ELNS1_3repE0EEENS1_30default_config_static_selectorELNS0_4arch9wavefront6targetE1EEEvT1_: ; @_ZN7rocprim17ROCPRIM_400000_NS6detail17trampoline_kernelINS0_14default_configENS1_29reduce_by_key_config_selectorIffN6thrust23THRUST_200600_302600_NS4plusIfEEEEZZNS1_33reduce_by_key_impl_wrapped_configILNS1_25lookback_scan_determinismE0ES3_S9_NS6_6detail15normal_iteratorINS6_10device_ptrIfEEEESG_SG_SG_PmS8_NS6_8equal_toIfEEEE10hipError_tPvRmT2_T3_mT4_T5_T6_T7_T8_P12ihipStream_tbENKUlT_T0_E_clISt17integral_constantIbLb0EES10_IbLb1EEEEDaSW_SX_EUlSW_E_NS1_11comp_targetILNS1_3genE10ELNS1_11target_archE1200ELNS1_3gpuE4ELNS1_3repE0EEENS1_30default_config_static_selectorELNS0_4arch9wavefront6targetE1EEEvT1_
; %bb.0:
	.section	.rodata,"a",@progbits
	.p2align	6, 0x0
	.amdhsa_kernel _ZN7rocprim17ROCPRIM_400000_NS6detail17trampoline_kernelINS0_14default_configENS1_29reduce_by_key_config_selectorIffN6thrust23THRUST_200600_302600_NS4plusIfEEEEZZNS1_33reduce_by_key_impl_wrapped_configILNS1_25lookback_scan_determinismE0ES3_S9_NS6_6detail15normal_iteratorINS6_10device_ptrIfEEEESG_SG_SG_PmS8_NS6_8equal_toIfEEEE10hipError_tPvRmT2_T3_mT4_T5_T6_T7_T8_P12ihipStream_tbENKUlT_T0_E_clISt17integral_constantIbLb0EES10_IbLb1EEEEDaSW_SX_EUlSW_E_NS1_11comp_targetILNS1_3genE10ELNS1_11target_archE1200ELNS1_3gpuE4ELNS1_3repE0EEENS1_30default_config_static_selectorELNS0_4arch9wavefront6targetE1EEEvT1_
		.amdhsa_group_segment_fixed_size 0
		.amdhsa_private_segment_fixed_size 0
		.amdhsa_kernarg_size 120
		.amdhsa_user_sgpr_count 6
		.amdhsa_user_sgpr_private_segment_buffer 1
		.amdhsa_user_sgpr_dispatch_ptr 0
		.amdhsa_user_sgpr_queue_ptr 0
		.amdhsa_user_sgpr_kernarg_segment_ptr 1
		.amdhsa_user_sgpr_dispatch_id 0
		.amdhsa_user_sgpr_flat_scratch_init 0
		.amdhsa_user_sgpr_kernarg_preload_length 0
		.amdhsa_user_sgpr_kernarg_preload_offset 0
		.amdhsa_user_sgpr_private_segment_size 0
		.amdhsa_uses_dynamic_stack 0
		.amdhsa_system_sgpr_private_segment_wavefront_offset 0
		.amdhsa_system_sgpr_workgroup_id_x 1
		.amdhsa_system_sgpr_workgroup_id_y 0
		.amdhsa_system_sgpr_workgroup_id_z 0
		.amdhsa_system_sgpr_workgroup_info 0
		.amdhsa_system_vgpr_workitem_id 0
		.amdhsa_next_free_vgpr 1
		.amdhsa_next_free_sgpr 0
		.amdhsa_accum_offset 4
		.amdhsa_reserve_vcc 0
		.amdhsa_reserve_flat_scratch 0
		.amdhsa_float_round_mode_32 0
		.amdhsa_float_round_mode_16_64 0
		.amdhsa_float_denorm_mode_32 3
		.amdhsa_float_denorm_mode_16_64 3
		.amdhsa_dx10_clamp 1
		.amdhsa_ieee_mode 1
		.amdhsa_fp16_overflow 0
		.amdhsa_tg_split 0
		.amdhsa_exception_fp_ieee_invalid_op 0
		.amdhsa_exception_fp_denorm_src 0
		.amdhsa_exception_fp_ieee_div_zero 0
		.amdhsa_exception_fp_ieee_overflow 0
		.amdhsa_exception_fp_ieee_underflow 0
		.amdhsa_exception_fp_ieee_inexact 0
		.amdhsa_exception_int_div_zero 0
	.end_amdhsa_kernel
	.section	.text._ZN7rocprim17ROCPRIM_400000_NS6detail17trampoline_kernelINS0_14default_configENS1_29reduce_by_key_config_selectorIffN6thrust23THRUST_200600_302600_NS4plusIfEEEEZZNS1_33reduce_by_key_impl_wrapped_configILNS1_25lookback_scan_determinismE0ES3_S9_NS6_6detail15normal_iteratorINS6_10device_ptrIfEEEESG_SG_SG_PmS8_NS6_8equal_toIfEEEE10hipError_tPvRmT2_T3_mT4_T5_T6_T7_T8_P12ihipStream_tbENKUlT_T0_E_clISt17integral_constantIbLb0EES10_IbLb1EEEEDaSW_SX_EUlSW_E_NS1_11comp_targetILNS1_3genE10ELNS1_11target_archE1200ELNS1_3gpuE4ELNS1_3repE0EEENS1_30default_config_static_selectorELNS0_4arch9wavefront6targetE1EEEvT1_,"axG",@progbits,_ZN7rocprim17ROCPRIM_400000_NS6detail17trampoline_kernelINS0_14default_configENS1_29reduce_by_key_config_selectorIffN6thrust23THRUST_200600_302600_NS4plusIfEEEEZZNS1_33reduce_by_key_impl_wrapped_configILNS1_25lookback_scan_determinismE0ES3_S9_NS6_6detail15normal_iteratorINS6_10device_ptrIfEEEESG_SG_SG_PmS8_NS6_8equal_toIfEEEE10hipError_tPvRmT2_T3_mT4_T5_T6_T7_T8_P12ihipStream_tbENKUlT_T0_E_clISt17integral_constantIbLb0EES10_IbLb1EEEEDaSW_SX_EUlSW_E_NS1_11comp_targetILNS1_3genE10ELNS1_11target_archE1200ELNS1_3gpuE4ELNS1_3repE0EEENS1_30default_config_static_selectorELNS0_4arch9wavefront6targetE1EEEvT1_,comdat
.Lfunc_end197:
	.size	_ZN7rocprim17ROCPRIM_400000_NS6detail17trampoline_kernelINS0_14default_configENS1_29reduce_by_key_config_selectorIffN6thrust23THRUST_200600_302600_NS4plusIfEEEEZZNS1_33reduce_by_key_impl_wrapped_configILNS1_25lookback_scan_determinismE0ES3_S9_NS6_6detail15normal_iteratorINS6_10device_ptrIfEEEESG_SG_SG_PmS8_NS6_8equal_toIfEEEE10hipError_tPvRmT2_T3_mT4_T5_T6_T7_T8_P12ihipStream_tbENKUlT_T0_E_clISt17integral_constantIbLb0EES10_IbLb1EEEEDaSW_SX_EUlSW_E_NS1_11comp_targetILNS1_3genE10ELNS1_11target_archE1200ELNS1_3gpuE4ELNS1_3repE0EEENS1_30default_config_static_selectorELNS0_4arch9wavefront6targetE1EEEvT1_, .Lfunc_end197-_ZN7rocprim17ROCPRIM_400000_NS6detail17trampoline_kernelINS0_14default_configENS1_29reduce_by_key_config_selectorIffN6thrust23THRUST_200600_302600_NS4plusIfEEEEZZNS1_33reduce_by_key_impl_wrapped_configILNS1_25lookback_scan_determinismE0ES3_S9_NS6_6detail15normal_iteratorINS6_10device_ptrIfEEEESG_SG_SG_PmS8_NS6_8equal_toIfEEEE10hipError_tPvRmT2_T3_mT4_T5_T6_T7_T8_P12ihipStream_tbENKUlT_T0_E_clISt17integral_constantIbLb0EES10_IbLb1EEEEDaSW_SX_EUlSW_E_NS1_11comp_targetILNS1_3genE10ELNS1_11target_archE1200ELNS1_3gpuE4ELNS1_3repE0EEENS1_30default_config_static_selectorELNS0_4arch9wavefront6targetE1EEEvT1_
                                        ; -- End function
	.section	.AMDGPU.csdata,"",@progbits
; Kernel info:
; codeLenInByte = 0
; NumSgprs: 4
; NumVgprs: 0
; NumAgprs: 0
; TotalNumVgprs: 0
; ScratchSize: 0
; MemoryBound: 0
; FloatMode: 240
; IeeeMode: 1
; LDSByteSize: 0 bytes/workgroup (compile time only)
; SGPRBlocks: 0
; VGPRBlocks: 0
; NumSGPRsForWavesPerEU: 4
; NumVGPRsForWavesPerEU: 1
; AccumOffset: 4
; Occupancy: 8
; WaveLimiterHint : 0
; COMPUTE_PGM_RSRC2:SCRATCH_EN: 0
; COMPUTE_PGM_RSRC2:USER_SGPR: 6
; COMPUTE_PGM_RSRC2:TRAP_HANDLER: 0
; COMPUTE_PGM_RSRC2:TGID_X_EN: 1
; COMPUTE_PGM_RSRC2:TGID_Y_EN: 0
; COMPUTE_PGM_RSRC2:TGID_Z_EN: 0
; COMPUTE_PGM_RSRC2:TIDIG_COMP_CNT: 0
; COMPUTE_PGM_RSRC3_GFX90A:ACCUM_OFFSET: 0
; COMPUTE_PGM_RSRC3_GFX90A:TG_SPLIT: 0
	.section	.text._ZN7rocprim17ROCPRIM_400000_NS6detail17trampoline_kernelINS0_14default_configENS1_29reduce_by_key_config_selectorIffN6thrust23THRUST_200600_302600_NS4plusIfEEEEZZNS1_33reduce_by_key_impl_wrapped_configILNS1_25lookback_scan_determinismE0ES3_S9_NS6_6detail15normal_iteratorINS6_10device_ptrIfEEEESG_SG_SG_PmS8_NS6_8equal_toIfEEEE10hipError_tPvRmT2_T3_mT4_T5_T6_T7_T8_P12ihipStream_tbENKUlT_T0_E_clISt17integral_constantIbLb0EES10_IbLb1EEEEDaSW_SX_EUlSW_E_NS1_11comp_targetILNS1_3genE9ELNS1_11target_archE1100ELNS1_3gpuE3ELNS1_3repE0EEENS1_30default_config_static_selectorELNS0_4arch9wavefront6targetE1EEEvT1_,"axG",@progbits,_ZN7rocprim17ROCPRIM_400000_NS6detail17trampoline_kernelINS0_14default_configENS1_29reduce_by_key_config_selectorIffN6thrust23THRUST_200600_302600_NS4plusIfEEEEZZNS1_33reduce_by_key_impl_wrapped_configILNS1_25lookback_scan_determinismE0ES3_S9_NS6_6detail15normal_iteratorINS6_10device_ptrIfEEEESG_SG_SG_PmS8_NS6_8equal_toIfEEEE10hipError_tPvRmT2_T3_mT4_T5_T6_T7_T8_P12ihipStream_tbENKUlT_T0_E_clISt17integral_constantIbLb0EES10_IbLb1EEEEDaSW_SX_EUlSW_E_NS1_11comp_targetILNS1_3genE9ELNS1_11target_archE1100ELNS1_3gpuE3ELNS1_3repE0EEENS1_30default_config_static_selectorELNS0_4arch9wavefront6targetE1EEEvT1_,comdat
	.protected	_ZN7rocprim17ROCPRIM_400000_NS6detail17trampoline_kernelINS0_14default_configENS1_29reduce_by_key_config_selectorIffN6thrust23THRUST_200600_302600_NS4plusIfEEEEZZNS1_33reduce_by_key_impl_wrapped_configILNS1_25lookback_scan_determinismE0ES3_S9_NS6_6detail15normal_iteratorINS6_10device_ptrIfEEEESG_SG_SG_PmS8_NS6_8equal_toIfEEEE10hipError_tPvRmT2_T3_mT4_T5_T6_T7_T8_P12ihipStream_tbENKUlT_T0_E_clISt17integral_constantIbLb0EES10_IbLb1EEEEDaSW_SX_EUlSW_E_NS1_11comp_targetILNS1_3genE9ELNS1_11target_archE1100ELNS1_3gpuE3ELNS1_3repE0EEENS1_30default_config_static_selectorELNS0_4arch9wavefront6targetE1EEEvT1_ ; -- Begin function _ZN7rocprim17ROCPRIM_400000_NS6detail17trampoline_kernelINS0_14default_configENS1_29reduce_by_key_config_selectorIffN6thrust23THRUST_200600_302600_NS4plusIfEEEEZZNS1_33reduce_by_key_impl_wrapped_configILNS1_25lookback_scan_determinismE0ES3_S9_NS6_6detail15normal_iteratorINS6_10device_ptrIfEEEESG_SG_SG_PmS8_NS6_8equal_toIfEEEE10hipError_tPvRmT2_T3_mT4_T5_T6_T7_T8_P12ihipStream_tbENKUlT_T0_E_clISt17integral_constantIbLb0EES10_IbLb1EEEEDaSW_SX_EUlSW_E_NS1_11comp_targetILNS1_3genE9ELNS1_11target_archE1100ELNS1_3gpuE3ELNS1_3repE0EEENS1_30default_config_static_selectorELNS0_4arch9wavefront6targetE1EEEvT1_
	.globl	_ZN7rocprim17ROCPRIM_400000_NS6detail17trampoline_kernelINS0_14default_configENS1_29reduce_by_key_config_selectorIffN6thrust23THRUST_200600_302600_NS4plusIfEEEEZZNS1_33reduce_by_key_impl_wrapped_configILNS1_25lookback_scan_determinismE0ES3_S9_NS6_6detail15normal_iteratorINS6_10device_ptrIfEEEESG_SG_SG_PmS8_NS6_8equal_toIfEEEE10hipError_tPvRmT2_T3_mT4_T5_T6_T7_T8_P12ihipStream_tbENKUlT_T0_E_clISt17integral_constantIbLb0EES10_IbLb1EEEEDaSW_SX_EUlSW_E_NS1_11comp_targetILNS1_3genE9ELNS1_11target_archE1100ELNS1_3gpuE3ELNS1_3repE0EEENS1_30default_config_static_selectorELNS0_4arch9wavefront6targetE1EEEvT1_
	.p2align	8
	.type	_ZN7rocprim17ROCPRIM_400000_NS6detail17trampoline_kernelINS0_14default_configENS1_29reduce_by_key_config_selectorIffN6thrust23THRUST_200600_302600_NS4plusIfEEEEZZNS1_33reduce_by_key_impl_wrapped_configILNS1_25lookback_scan_determinismE0ES3_S9_NS6_6detail15normal_iteratorINS6_10device_ptrIfEEEESG_SG_SG_PmS8_NS6_8equal_toIfEEEE10hipError_tPvRmT2_T3_mT4_T5_T6_T7_T8_P12ihipStream_tbENKUlT_T0_E_clISt17integral_constantIbLb0EES10_IbLb1EEEEDaSW_SX_EUlSW_E_NS1_11comp_targetILNS1_3genE9ELNS1_11target_archE1100ELNS1_3gpuE3ELNS1_3repE0EEENS1_30default_config_static_selectorELNS0_4arch9wavefront6targetE1EEEvT1_,@function
_ZN7rocprim17ROCPRIM_400000_NS6detail17trampoline_kernelINS0_14default_configENS1_29reduce_by_key_config_selectorIffN6thrust23THRUST_200600_302600_NS4plusIfEEEEZZNS1_33reduce_by_key_impl_wrapped_configILNS1_25lookback_scan_determinismE0ES3_S9_NS6_6detail15normal_iteratorINS6_10device_ptrIfEEEESG_SG_SG_PmS8_NS6_8equal_toIfEEEE10hipError_tPvRmT2_T3_mT4_T5_T6_T7_T8_P12ihipStream_tbENKUlT_T0_E_clISt17integral_constantIbLb0EES10_IbLb1EEEEDaSW_SX_EUlSW_E_NS1_11comp_targetILNS1_3genE9ELNS1_11target_archE1100ELNS1_3gpuE3ELNS1_3repE0EEENS1_30default_config_static_selectorELNS0_4arch9wavefront6targetE1EEEvT1_: ; @_ZN7rocprim17ROCPRIM_400000_NS6detail17trampoline_kernelINS0_14default_configENS1_29reduce_by_key_config_selectorIffN6thrust23THRUST_200600_302600_NS4plusIfEEEEZZNS1_33reduce_by_key_impl_wrapped_configILNS1_25lookback_scan_determinismE0ES3_S9_NS6_6detail15normal_iteratorINS6_10device_ptrIfEEEESG_SG_SG_PmS8_NS6_8equal_toIfEEEE10hipError_tPvRmT2_T3_mT4_T5_T6_T7_T8_P12ihipStream_tbENKUlT_T0_E_clISt17integral_constantIbLb0EES10_IbLb1EEEEDaSW_SX_EUlSW_E_NS1_11comp_targetILNS1_3genE9ELNS1_11target_archE1100ELNS1_3gpuE3ELNS1_3repE0EEENS1_30default_config_static_selectorELNS0_4arch9wavefront6targetE1EEEvT1_
; %bb.0:
	.section	.rodata,"a",@progbits
	.p2align	6, 0x0
	.amdhsa_kernel _ZN7rocprim17ROCPRIM_400000_NS6detail17trampoline_kernelINS0_14default_configENS1_29reduce_by_key_config_selectorIffN6thrust23THRUST_200600_302600_NS4plusIfEEEEZZNS1_33reduce_by_key_impl_wrapped_configILNS1_25lookback_scan_determinismE0ES3_S9_NS6_6detail15normal_iteratorINS6_10device_ptrIfEEEESG_SG_SG_PmS8_NS6_8equal_toIfEEEE10hipError_tPvRmT2_T3_mT4_T5_T6_T7_T8_P12ihipStream_tbENKUlT_T0_E_clISt17integral_constantIbLb0EES10_IbLb1EEEEDaSW_SX_EUlSW_E_NS1_11comp_targetILNS1_3genE9ELNS1_11target_archE1100ELNS1_3gpuE3ELNS1_3repE0EEENS1_30default_config_static_selectorELNS0_4arch9wavefront6targetE1EEEvT1_
		.amdhsa_group_segment_fixed_size 0
		.amdhsa_private_segment_fixed_size 0
		.amdhsa_kernarg_size 120
		.amdhsa_user_sgpr_count 6
		.amdhsa_user_sgpr_private_segment_buffer 1
		.amdhsa_user_sgpr_dispatch_ptr 0
		.amdhsa_user_sgpr_queue_ptr 0
		.amdhsa_user_sgpr_kernarg_segment_ptr 1
		.amdhsa_user_sgpr_dispatch_id 0
		.amdhsa_user_sgpr_flat_scratch_init 0
		.amdhsa_user_sgpr_kernarg_preload_length 0
		.amdhsa_user_sgpr_kernarg_preload_offset 0
		.amdhsa_user_sgpr_private_segment_size 0
		.amdhsa_uses_dynamic_stack 0
		.amdhsa_system_sgpr_private_segment_wavefront_offset 0
		.amdhsa_system_sgpr_workgroup_id_x 1
		.amdhsa_system_sgpr_workgroup_id_y 0
		.amdhsa_system_sgpr_workgroup_id_z 0
		.amdhsa_system_sgpr_workgroup_info 0
		.amdhsa_system_vgpr_workitem_id 0
		.amdhsa_next_free_vgpr 1
		.amdhsa_next_free_sgpr 0
		.amdhsa_accum_offset 4
		.amdhsa_reserve_vcc 0
		.amdhsa_reserve_flat_scratch 0
		.amdhsa_float_round_mode_32 0
		.amdhsa_float_round_mode_16_64 0
		.amdhsa_float_denorm_mode_32 3
		.amdhsa_float_denorm_mode_16_64 3
		.amdhsa_dx10_clamp 1
		.amdhsa_ieee_mode 1
		.amdhsa_fp16_overflow 0
		.amdhsa_tg_split 0
		.amdhsa_exception_fp_ieee_invalid_op 0
		.amdhsa_exception_fp_denorm_src 0
		.amdhsa_exception_fp_ieee_div_zero 0
		.amdhsa_exception_fp_ieee_overflow 0
		.amdhsa_exception_fp_ieee_underflow 0
		.amdhsa_exception_fp_ieee_inexact 0
		.amdhsa_exception_int_div_zero 0
	.end_amdhsa_kernel
	.section	.text._ZN7rocprim17ROCPRIM_400000_NS6detail17trampoline_kernelINS0_14default_configENS1_29reduce_by_key_config_selectorIffN6thrust23THRUST_200600_302600_NS4plusIfEEEEZZNS1_33reduce_by_key_impl_wrapped_configILNS1_25lookback_scan_determinismE0ES3_S9_NS6_6detail15normal_iteratorINS6_10device_ptrIfEEEESG_SG_SG_PmS8_NS6_8equal_toIfEEEE10hipError_tPvRmT2_T3_mT4_T5_T6_T7_T8_P12ihipStream_tbENKUlT_T0_E_clISt17integral_constantIbLb0EES10_IbLb1EEEEDaSW_SX_EUlSW_E_NS1_11comp_targetILNS1_3genE9ELNS1_11target_archE1100ELNS1_3gpuE3ELNS1_3repE0EEENS1_30default_config_static_selectorELNS0_4arch9wavefront6targetE1EEEvT1_,"axG",@progbits,_ZN7rocprim17ROCPRIM_400000_NS6detail17trampoline_kernelINS0_14default_configENS1_29reduce_by_key_config_selectorIffN6thrust23THRUST_200600_302600_NS4plusIfEEEEZZNS1_33reduce_by_key_impl_wrapped_configILNS1_25lookback_scan_determinismE0ES3_S9_NS6_6detail15normal_iteratorINS6_10device_ptrIfEEEESG_SG_SG_PmS8_NS6_8equal_toIfEEEE10hipError_tPvRmT2_T3_mT4_T5_T6_T7_T8_P12ihipStream_tbENKUlT_T0_E_clISt17integral_constantIbLb0EES10_IbLb1EEEEDaSW_SX_EUlSW_E_NS1_11comp_targetILNS1_3genE9ELNS1_11target_archE1100ELNS1_3gpuE3ELNS1_3repE0EEENS1_30default_config_static_selectorELNS0_4arch9wavefront6targetE1EEEvT1_,comdat
.Lfunc_end198:
	.size	_ZN7rocprim17ROCPRIM_400000_NS6detail17trampoline_kernelINS0_14default_configENS1_29reduce_by_key_config_selectorIffN6thrust23THRUST_200600_302600_NS4plusIfEEEEZZNS1_33reduce_by_key_impl_wrapped_configILNS1_25lookback_scan_determinismE0ES3_S9_NS6_6detail15normal_iteratorINS6_10device_ptrIfEEEESG_SG_SG_PmS8_NS6_8equal_toIfEEEE10hipError_tPvRmT2_T3_mT4_T5_T6_T7_T8_P12ihipStream_tbENKUlT_T0_E_clISt17integral_constantIbLb0EES10_IbLb1EEEEDaSW_SX_EUlSW_E_NS1_11comp_targetILNS1_3genE9ELNS1_11target_archE1100ELNS1_3gpuE3ELNS1_3repE0EEENS1_30default_config_static_selectorELNS0_4arch9wavefront6targetE1EEEvT1_, .Lfunc_end198-_ZN7rocprim17ROCPRIM_400000_NS6detail17trampoline_kernelINS0_14default_configENS1_29reduce_by_key_config_selectorIffN6thrust23THRUST_200600_302600_NS4plusIfEEEEZZNS1_33reduce_by_key_impl_wrapped_configILNS1_25lookback_scan_determinismE0ES3_S9_NS6_6detail15normal_iteratorINS6_10device_ptrIfEEEESG_SG_SG_PmS8_NS6_8equal_toIfEEEE10hipError_tPvRmT2_T3_mT4_T5_T6_T7_T8_P12ihipStream_tbENKUlT_T0_E_clISt17integral_constantIbLb0EES10_IbLb1EEEEDaSW_SX_EUlSW_E_NS1_11comp_targetILNS1_3genE9ELNS1_11target_archE1100ELNS1_3gpuE3ELNS1_3repE0EEENS1_30default_config_static_selectorELNS0_4arch9wavefront6targetE1EEEvT1_
                                        ; -- End function
	.section	.AMDGPU.csdata,"",@progbits
; Kernel info:
; codeLenInByte = 0
; NumSgprs: 4
; NumVgprs: 0
; NumAgprs: 0
; TotalNumVgprs: 0
; ScratchSize: 0
; MemoryBound: 0
; FloatMode: 240
; IeeeMode: 1
; LDSByteSize: 0 bytes/workgroup (compile time only)
; SGPRBlocks: 0
; VGPRBlocks: 0
; NumSGPRsForWavesPerEU: 4
; NumVGPRsForWavesPerEU: 1
; AccumOffset: 4
; Occupancy: 8
; WaveLimiterHint : 0
; COMPUTE_PGM_RSRC2:SCRATCH_EN: 0
; COMPUTE_PGM_RSRC2:USER_SGPR: 6
; COMPUTE_PGM_RSRC2:TRAP_HANDLER: 0
; COMPUTE_PGM_RSRC2:TGID_X_EN: 1
; COMPUTE_PGM_RSRC2:TGID_Y_EN: 0
; COMPUTE_PGM_RSRC2:TGID_Z_EN: 0
; COMPUTE_PGM_RSRC2:TIDIG_COMP_CNT: 0
; COMPUTE_PGM_RSRC3_GFX90A:ACCUM_OFFSET: 0
; COMPUTE_PGM_RSRC3_GFX90A:TG_SPLIT: 0
	.section	.text._ZN7rocprim17ROCPRIM_400000_NS6detail17trampoline_kernelINS0_14default_configENS1_29reduce_by_key_config_selectorIffN6thrust23THRUST_200600_302600_NS4plusIfEEEEZZNS1_33reduce_by_key_impl_wrapped_configILNS1_25lookback_scan_determinismE0ES3_S9_NS6_6detail15normal_iteratorINS6_10device_ptrIfEEEESG_SG_SG_PmS8_NS6_8equal_toIfEEEE10hipError_tPvRmT2_T3_mT4_T5_T6_T7_T8_P12ihipStream_tbENKUlT_T0_E_clISt17integral_constantIbLb0EES10_IbLb1EEEEDaSW_SX_EUlSW_E_NS1_11comp_targetILNS1_3genE8ELNS1_11target_archE1030ELNS1_3gpuE2ELNS1_3repE0EEENS1_30default_config_static_selectorELNS0_4arch9wavefront6targetE1EEEvT1_,"axG",@progbits,_ZN7rocprim17ROCPRIM_400000_NS6detail17trampoline_kernelINS0_14default_configENS1_29reduce_by_key_config_selectorIffN6thrust23THRUST_200600_302600_NS4plusIfEEEEZZNS1_33reduce_by_key_impl_wrapped_configILNS1_25lookback_scan_determinismE0ES3_S9_NS6_6detail15normal_iteratorINS6_10device_ptrIfEEEESG_SG_SG_PmS8_NS6_8equal_toIfEEEE10hipError_tPvRmT2_T3_mT4_T5_T6_T7_T8_P12ihipStream_tbENKUlT_T0_E_clISt17integral_constantIbLb0EES10_IbLb1EEEEDaSW_SX_EUlSW_E_NS1_11comp_targetILNS1_3genE8ELNS1_11target_archE1030ELNS1_3gpuE2ELNS1_3repE0EEENS1_30default_config_static_selectorELNS0_4arch9wavefront6targetE1EEEvT1_,comdat
	.protected	_ZN7rocprim17ROCPRIM_400000_NS6detail17trampoline_kernelINS0_14default_configENS1_29reduce_by_key_config_selectorIffN6thrust23THRUST_200600_302600_NS4plusIfEEEEZZNS1_33reduce_by_key_impl_wrapped_configILNS1_25lookback_scan_determinismE0ES3_S9_NS6_6detail15normal_iteratorINS6_10device_ptrIfEEEESG_SG_SG_PmS8_NS6_8equal_toIfEEEE10hipError_tPvRmT2_T3_mT4_T5_T6_T7_T8_P12ihipStream_tbENKUlT_T0_E_clISt17integral_constantIbLb0EES10_IbLb1EEEEDaSW_SX_EUlSW_E_NS1_11comp_targetILNS1_3genE8ELNS1_11target_archE1030ELNS1_3gpuE2ELNS1_3repE0EEENS1_30default_config_static_selectorELNS0_4arch9wavefront6targetE1EEEvT1_ ; -- Begin function _ZN7rocprim17ROCPRIM_400000_NS6detail17trampoline_kernelINS0_14default_configENS1_29reduce_by_key_config_selectorIffN6thrust23THRUST_200600_302600_NS4plusIfEEEEZZNS1_33reduce_by_key_impl_wrapped_configILNS1_25lookback_scan_determinismE0ES3_S9_NS6_6detail15normal_iteratorINS6_10device_ptrIfEEEESG_SG_SG_PmS8_NS6_8equal_toIfEEEE10hipError_tPvRmT2_T3_mT4_T5_T6_T7_T8_P12ihipStream_tbENKUlT_T0_E_clISt17integral_constantIbLb0EES10_IbLb1EEEEDaSW_SX_EUlSW_E_NS1_11comp_targetILNS1_3genE8ELNS1_11target_archE1030ELNS1_3gpuE2ELNS1_3repE0EEENS1_30default_config_static_selectorELNS0_4arch9wavefront6targetE1EEEvT1_
	.globl	_ZN7rocprim17ROCPRIM_400000_NS6detail17trampoline_kernelINS0_14default_configENS1_29reduce_by_key_config_selectorIffN6thrust23THRUST_200600_302600_NS4plusIfEEEEZZNS1_33reduce_by_key_impl_wrapped_configILNS1_25lookback_scan_determinismE0ES3_S9_NS6_6detail15normal_iteratorINS6_10device_ptrIfEEEESG_SG_SG_PmS8_NS6_8equal_toIfEEEE10hipError_tPvRmT2_T3_mT4_T5_T6_T7_T8_P12ihipStream_tbENKUlT_T0_E_clISt17integral_constantIbLb0EES10_IbLb1EEEEDaSW_SX_EUlSW_E_NS1_11comp_targetILNS1_3genE8ELNS1_11target_archE1030ELNS1_3gpuE2ELNS1_3repE0EEENS1_30default_config_static_selectorELNS0_4arch9wavefront6targetE1EEEvT1_
	.p2align	8
	.type	_ZN7rocprim17ROCPRIM_400000_NS6detail17trampoline_kernelINS0_14default_configENS1_29reduce_by_key_config_selectorIffN6thrust23THRUST_200600_302600_NS4plusIfEEEEZZNS1_33reduce_by_key_impl_wrapped_configILNS1_25lookback_scan_determinismE0ES3_S9_NS6_6detail15normal_iteratorINS6_10device_ptrIfEEEESG_SG_SG_PmS8_NS6_8equal_toIfEEEE10hipError_tPvRmT2_T3_mT4_T5_T6_T7_T8_P12ihipStream_tbENKUlT_T0_E_clISt17integral_constantIbLb0EES10_IbLb1EEEEDaSW_SX_EUlSW_E_NS1_11comp_targetILNS1_3genE8ELNS1_11target_archE1030ELNS1_3gpuE2ELNS1_3repE0EEENS1_30default_config_static_selectorELNS0_4arch9wavefront6targetE1EEEvT1_,@function
_ZN7rocprim17ROCPRIM_400000_NS6detail17trampoline_kernelINS0_14default_configENS1_29reduce_by_key_config_selectorIffN6thrust23THRUST_200600_302600_NS4plusIfEEEEZZNS1_33reduce_by_key_impl_wrapped_configILNS1_25lookback_scan_determinismE0ES3_S9_NS6_6detail15normal_iteratorINS6_10device_ptrIfEEEESG_SG_SG_PmS8_NS6_8equal_toIfEEEE10hipError_tPvRmT2_T3_mT4_T5_T6_T7_T8_P12ihipStream_tbENKUlT_T0_E_clISt17integral_constantIbLb0EES10_IbLb1EEEEDaSW_SX_EUlSW_E_NS1_11comp_targetILNS1_3genE8ELNS1_11target_archE1030ELNS1_3gpuE2ELNS1_3repE0EEENS1_30default_config_static_selectorELNS0_4arch9wavefront6targetE1EEEvT1_: ; @_ZN7rocprim17ROCPRIM_400000_NS6detail17trampoline_kernelINS0_14default_configENS1_29reduce_by_key_config_selectorIffN6thrust23THRUST_200600_302600_NS4plusIfEEEEZZNS1_33reduce_by_key_impl_wrapped_configILNS1_25lookback_scan_determinismE0ES3_S9_NS6_6detail15normal_iteratorINS6_10device_ptrIfEEEESG_SG_SG_PmS8_NS6_8equal_toIfEEEE10hipError_tPvRmT2_T3_mT4_T5_T6_T7_T8_P12ihipStream_tbENKUlT_T0_E_clISt17integral_constantIbLb0EES10_IbLb1EEEEDaSW_SX_EUlSW_E_NS1_11comp_targetILNS1_3genE8ELNS1_11target_archE1030ELNS1_3gpuE2ELNS1_3repE0EEENS1_30default_config_static_selectorELNS0_4arch9wavefront6targetE1EEEvT1_
; %bb.0:
	.section	.rodata,"a",@progbits
	.p2align	6, 0x0
	.amdhsa_kernel _ZN7rocprim17ROCPRIM_400000_NS6detail17trampoline_kernelINS0_14default_configENS1_29reduce_by_key_config_selectorIffN6thrust23THRUST_200600_302600_NS4plusIfEEEEZZNS1_33reduce_by_key_impl_wrapped_configILNS1_25lookback_scan_determinismE0ES3_S9_NS6_6detail15normal_iteratorINS6_10device_ptrIfEEEESG_SG_SG_PmS8_NS6_8equal_toIfEEEE10hipError_tPvRmT2_T3_mT4_T5_T6_T7_T8_P12ihipStream_tbENKUlT_T0_E_clISt17integral_constantIbLb0EES10_IbLb1EEEEDaSW_SX_EUlSW_E_NS1_11comp_targetILNS1_3genE8ELNS1_11target_archE1030ELNS1_3gpuE2ELNS1_3repE0EEENS1_30default_config_static_selectorELNS0_4arch9wavefront6targetE1EEEvT1_
		.amdhsa_group_segment_fixed_size 0
		.amdhsa_private_segment_fixed_size 0
		.amdhsa_kernarg_size 120
		.amdhsa_user_sgpr_count 6
		.amdhsa_user_sgpr_private_segment_buffer 1
		.amdhsa_user_sgpr_dispatch_ptr 0
		.amdhsa_user_sgpr_queue_ptr 0
		.amdhsa_user_sgpr_kernarg_segment_ptr 1
		.amdhsa_user_sgpr_dispatch_id 0
		.amdhsa_user_sgpr_flat_scratch_init 0
		.amdhsa_user_sgpr_kernarg_preload_length 0
		.amdhsa_user_sgpr_kernarg_preload_offset 0
		.amdhsa_user_sgpr_private_segment_size 0
		.amdhsa_uses_dynamic_stack 0
		.amdhsa_system_sgpr_private_segment_wavefront_offset 0
		.amdhsa_system_sgpr_workgroup_id_x 1
		.amdhsa_system_sgpr_workgroup_id_y 0
		.amdhsa_system_sgpr_workgroup_id_z 0
		.amdhsa_system_sgpr_workgroup_info 0
		.amdhsa_system_vgpr_workitem_id 0
		.amdhsa_next_free_vgpr 1
		.amdhsa_next_free_sgpr 0
		.amdhsa_accum_offset 4
		.amdhsa_reserve_vcc 0
		.amdhsa_reserve_flat_scratch 0
		.amdhsa_float_round_mode_32 0
		.amdhsa_float_round_mode_16_64 0
		.amdhsa_float_denorm_mode_32 3
		.amdhsa_float_denorm_mode_16_64 3
		.amdhsa_dx10_clamp 1
		.amdhsa_ieee_mode 1
		.amdhsa_fp16_overflow 0
		.amdhsa_tg_split 0
		.amdhsa_exception_fp_ieee_invalid_op 0
		.amdhsa_exception_fp_denorm_src 0
		.amdhsa_exception_fp_ieee_div_zero 0
		.amdhsa_exception_fp_ieee_overflow 0
		.amdhsa_exception_fp_ieee_underflow 0
		.amdhsa_exception_fp_ieee_inexact 0
		.amdhsa_exception_int_div_zero 0
	.end_amdhsa_kernel
	.section	.text._ZN7rocprim17ROCPRIM_400000_NS6detail17trampoline_kernelINS0_14default_configENS1_29reduce_by_key_config_selectorIffN6thrust23THRUST_200600_302600_NS4plusIfEEEEZZNS1_33reduce_by_key_impl_wrapped_configILNS1_25lookback_scan_determinismE0ES3_S9_NS6_6detail15normal_iteratorINS6_10device_ptrIfEEEESG_SG_SG_PmS8_NS6_8equal_toIfEEEE10hipError_tPvRmT2_T3_mT4_T5_T6_T7_T8_P12ihipStream_tbENKUlT_T0_E_clISt17integral_constantIbLb0EES10_IbLb1EEEEDaSW_SX_EUlSW_E_NS1_11comp_targetILNS1_3genE8ELNS1_11target_archE1030ELNS1_3gpuE2ELNS1_3repE0EEENS1_30default_config_static_selectorELNS0_4arch9wavefront6targetE1EEEvT1_,"axG",@progbits,_ZN7rocprim17ROCPRIM_400000_NS6detail17trampoline_kernelINS0_14default_configENS1_29reduce_by_key_config_selectorIffN6thrust23THRUST_200600_302600_NS4plusIfEEEEZZNS1_33reduce_by_key_impl_wrapped_configILNS1_25lookback_scan_determinismE0ES3_S9_NS6_6detail15normal_iteratorINS6_10device_ptrIfEEEESG_SG_SG_PmS8_NS6_8equal_toIfEEEE10hipError_tPvRmT2_T3_mT4_T5_T6_T7_T8_P12ihipStream_tbENKUlT_T0_E_clISt17integral_constantIbLb0EES10_IbLb1EEEEDaSW_SX_EUlSW_E_NS1_11comp_targetILNS1_3genE8ELNS1_11target_archE1030ELNS1_3gpuE2ELNS1_3repE0EEENS1_30default_config_static_selectorELNS0_4arch9wavefront6targetE1EEEvT1_,comdat
.Lfunc_end199:
	.size	_ZN7rocprim17ROCPRIM_400000_NS6detail17trampoline_kernelINS0_14default_configENS1_29reduce_by_key_config_selectorIffN6thrust23THRUST_200600_302600_NS4plusIfEEEEZZNS1_33reduce_by_key_impl_wrapped_configILNS1_25lookback_scan_determinismE0ES3_S9_NS6_6detail15normal_iteratorINS6_10device_ptrIfEEEESG_SG_SG_PmS8_NS6_8equal_toIfEEEE10hipError_tPvRmT2_T3_mT4_T5_T6_T7_T8_P12ihipStream_tbENKUlT_T0_E_clISt17integral_constantIbLb0EES10_IbLb1EEEEDaSW_SX_EUlSW_E_NS1_11comp_targetILNS1_3genE8ELNS1_11target_archE1030ELNS1_3gpuE2ELNS1_3repE0EEENS1_30default_config_static_selectorELNS0_4arch9wavefront6targetE1EEEvT1_, .Lfunc_end199-_ZN7rocprim17ROCPRIM_400000_NS6detail17trampoline_kernelINS0_14default_configENS1_29reduce_by_key_config_selectorIffN6thrust23THRUST_200600_302600_NS4plusIfEEEEZZNS1_33reduce_by_key_impl_wrapped_configILNS1_25lookback_scan_determinismE0ES3_S9_NS6_6detail15normal_iteratorINS6_10device_ptrIfEEEESG_SG_SG_PmS8_NS6_8equal_toIfEEEE10hipError_tPvRmT2_T3_mT4_T5_T6_T7_T8_P12ihipStream_tbENKUlT_T0_E_clISt17integral_constantIbLb0EES10_IbLb1EEEEDaSW_SX_EUlSW_E_NS1_11comp_targetILNS1_3genE8ELNS1_11target_archE1030ELNS1_3gpuE2ELNS1_3repE0EEENS1_30default_config_static_selectorELNS0_4arch9wavefront6targetE1EEEvT1_
                                        ; -- End function
	.section	.AMDGPU.csdata,"",@progbits
; Kernel info:
; codeLenInByte = 0
; NumSgprs: 4
; NumVgprs: 0
; NumAgprs: 0
; TotalNumVgprs: 0
; ScratchSize: 0
; MemoryBound: 0
; FloatMode: 240
; IeeeMode: 1
; LDSByteSize: 0 bytes/workgroup (compile time only)
; SGPRBlocks: 0
; VGPRBlocks: 0
; NumSGPRsForWavesPerEU: 4
; NumVGPRsForWavesPerEU: 1
; AccumOffset: 4
; Occupancy: 8
; WaveLimiterHint : 0
; COMPUTE_PGM_RSRC2:SCRATCH_EN: 0
; COMPUTE_PGM_RSRC2:USER_SGPR: 6
; COMPUTE_PGM_RSRC2:TRAP_HANDLER: 0
; COMPUTE_PGM_RSRC2:TGID_X_EN: 1
; COMPUTE_PGM_RSRC2:TGID_Y_EN: 0
; COMPUTE_PGM_RSRC2:TGID_Z_EN: 0
; COMPUTE_PGM_RSRC2:TIDIG_COMP_CNT: 0
; COMPUTE_PGM_RSRC3_GFX90A:ACCUM_OFFSET: 0
; COMPUTE_PGM_RSRC3_GFX90A:TG_SPLIT: 0
	.section	.text._ZN7rocprim17ROCPRIM_400000_NS6detail17trampoline_kernelINS0_14default_configENS1_29reduce_by_key_config_selectorIffN6thrust23THRUST_200600_302600_NS4plusIfEEEEZZNS1_33reduce_by_key_impl_wrapped_configILNS1_25lookback_scan_determinismE0ES3_S9_NS6_6detail15normal_iteratorINS6_10device_ptrIfEEEESG_SG_SG_PmS8_22is_equal_div_10_reduceIfEEE10hipError_tPvRmT2_T3_mT4_T5_T6_T7_T8_P12ihipStream_tbENKUlT_T0_E_clISt17integral_constantIbLb0EES11_EEDaSW_SX_EUlSW_E_NS1_11comp_targetILNS1_3genE0ELNS1_11target_archE4294967295ELNS1_3gpuE0ELNS1_3repE0EEENS1_30default_config_static_selectorELNS0_4arch9wavefront6targetE1EEEvT1_,"axG",@progbits,_ZN7rocprim17ROCPRIM_400000_NS6detail17trampoline_kernelINS0_14default_configENS1_29reduce_by_key_config_selectorIffN6thrust23THRUST_200600_302600_NS4plusIfEEEEZZNS1_33reduce_by_key_impl_wrapped_configILNS1_25lookback_scan_determinismE0ES3_S9_NS6_6detail15normal_iteratorINS6_10device_ptrIfEEEESG_SG_SG_PmS8_22is_equal_div_10_reduceIfEEE10hipError_tPvRmT2_T3_mT4_T5_T6_T7_T8_P12ihipStream_tbENKUlT_T0_E_clISt17integral_constantIbLb0EES11_EEDaSW_SX_EUlSW_E_NS1_11comp_targetILNS1_3genE0ELNS1_11target_archE4294967295ELNS1_3gpuE0ELNS1_3repE0EEENS1_30default_config_static_selectorELNS0_4arch9wavefront6targetE1EEEvT1_,comdat
	.protected	_ZN7rocprim17ROCPRIM_400000_NS6detail17trampoline_kernelINS0_14default_configENS1_29reduce_by_key_config_selectorIffN6thrust23THRUST_200600_302600_NS4plusIfEEEEZZNS1_33reduce_by_key_impl_wrapped_configILNS1_25lookback_scan_determinismE0ES3_S9_NS6_6detail15normal_iteratorINS6_10device_ptrIfEEEESG_SG_SG_PmS8_22is_equal_div_10_reduceIfEEE10hipError_tPvRmT2_T3_mT4_T5_T6_T7_T8_P12ihipStream_tbENKUlT_T0_E_clISt17integral_constantIbLb0EES11_EEDaSW_SX_EUlSW_E_NS1_11comp_targetILNS1_3genE0ELNS1_11target_archE4294967295ELNS1_3gpuE0ELNS1_3repE0EEENS1_30default_config_static_selectorELNS0_4arch9wavefront6targetE1EEEvT1_ ; -- Begin function _ZN7rocprim17ROCPRIM_400000_NS6detail17trampoline_kernelINS0_14default_configENS1_29reduce_by_key_config_selectorIffN6thrust23THRUST_200600_302600_NS4plusIfEEEEZZNS1_33reduce_by_key_impl_wrapped_configILNS1_25lookback_scan_determinismE0ES3_S9_NS6_6detail15normal_iteratorINS6_10device_ptrIfEEEESG_SG_SG_PmS8_22is_equal_div_10_reduceIfEEE10hipError_tPvRmT2_T3_mT4_T5_T6_T7_T8_P12ihipStream_tbENKUlT_T0_E_clISt17integral_constantIbLb0EES11_EEDaSW_SX_EUlSW_E_NS1_11comp_targetILNS1_3genE0ELNS1_11target_archE4294967295ELNS1_3gpuE0ELNS1_3repE0EEENS1_30default_config_static_selectorELNS0_4arch9wavefront6targetE1EEEvT1_
	.globl	_ZN7rocprim17ROCPRIM_400000_NS6detail17trampoline_kernelINS0_14default_configENS1_29reduce_by_key_config_selectorIffN6thrust23THRUST_200600_302600_NS4plusIfEEEEZZNS1_33reduce_by_key_impl_wrapped_configILNS1_25lookback_scan_determinismE0ES3_S9_NS6_6detail15normal_iteratorINS6_10device_ptrIfEEEESG_SG_SG_PmS8_22is_equal_div_10_reduceIfEEE10hipError_tPvRmT2_T3_mT4_T5_T6_T7_T8_P12ihipStream_tbENKUlT_T0_E_clISt17integral_constantIbLb0EES11_EEDaSW_SX_EUlSW_E_NS1_11comp_targetILNS1_3genE0ELNS1_11target_archE4294967295ELNS1_3gpuE0ELNS1_3repE0EEENS1_30default_config_static_selectorELNS0_4arch9wavefront6targetE1EEEvT1_
	.p2align	8
	.type	_ZN7rocprim17ROCPRIM_400000_NS6detail17trampoline_kernelINS0_14default_configENS1_29reduce_by_key_config_selectorIffN6thrust23THRUST_200600_302600_NS4plusIfEEEEZZNS1_33reduce_by_key_impl_wrapped_configILNS1_25lookback_scan_determinismE0ES3_S9_NS6_6detail15normal_iteratorINS6_10device_ptrIfEEEESG_SG_SG_PmS8_22is_equal_div_10_reduceIfEEE10hipError_tPvRmT2_T3_mT4_T5_T6_T7_T8_P12ihipStream_tbENKUlT_T0_E_clISt17integral_constantIbLb0EES11_EEDaSW_SX_EUlSW_E_NS1_11comp_targetILNS1_3genE0ELNS1_11target_archE4294967295ELNS1_3gpuE0ELNS1_3repE0EEENS1_30default_config_static_selectorELNS0_4arch9wavefront6targetE1EEEvT1_,@function
_ZN7rocprim17ROCPRIM_400000_NS6detail17trampoline_kernelINS0_14default_configENS1_29reduce_by_key_config_selectorIffN6thrust23THRUST_200600_302600_NS4plusIfEEEEZZNS1_33reduce_by_key_impl_wrapped_configILNS1_25lookback_scan_determinismE0ES3_S9_NS6_6detail15normal_iteratorINS6_10device_ptrIfEEEESG_SG_SG_PmS8_22is_equal_div_10_reduceIfEEE10hipError_tPvRmT2_T3_mT4_T5_T6_T7_T8_P12ihipStream_tbENKUlT_T0_E_clISt17integral_constantIbLb0EES11_EEDaSW_SX_EUlSW_E_NS1_11comp_targetILNS1_3genE0ELNS1_11target_archE4294967295ELNS1_3gpuE0ELNS1_3repE0EEENS1_30default_config_static_selectorELNS0_4arch9wavefront6targetE1EEEvT1_: ; @_ZN7rocprim17ROCPRIM_400000_NS6detail17trampoline_kernelINS0_14default_configENS1_29reduce_by_key_config_selectorIffN6thrust23THRUST_200600_302600_NS4plusIfEEEEZZNS1_33reduce_by_key_impl_wrapped_configILNS1_25lookback_scan_determinismE0ES3_S9_NS6_6detail15normal_iteratorINS6_10device_ptrIfEEEESG_SG_SG_PmS8_22is_equal_div_10_reduceIfEEE10hipError_tPvRmT2_T3_mT4_T5_T6_T7_T8_P12ihipStream_tbENKUlT_T0_E_clISt17integral_constantIbLb0EES11_EEDaSW_SX_EUlSW_E_NS1_11comp_targetILNS1_3genE0ELNS1_11target_archE4294967295ELNS1_3gpuE0ELNS1_3repE0EEENS1_30default_config_static_selectorELNS0_4arch9wavefront6targetE1EEEvT1_
; %bb.0:
	.section	.rodata,"a",@progbits
	.p2align	6, 0x0
	.amdhsa_kernel _ZN7rocprim17ROCPRIM_400000_NS6detail17trampoline_kernelINS0_14default_configENS1_29reduce_by_key_config_selectorIffN6thrust23THRUST_200600_302600_NS4plusIfEEEEZZNS1_33reduce_by_key_impl_wrapped_configILNS1_25lookback_scan_determinismE0ES3_S9_NS6_6detail15normal_iteratorINS6_10device_ptrIfEEEESG_SG_SG_PmS8_22is_equal_div_10_reduceIfEEE10hipError_tPvRmT2_T3_mT4_T5_T6_T7_T8_P12ihipStream_tbENKUlT_T0_E_clISt17integral_constantIbLb0EES11_EEDaSW_SX_EUlSW_E_NS1_11comp_targetILNS1_3genE0ELNS1_11target_archE4294967295ELNS1_3gpuE0ELNS1_3repE0EEENS1_30default_config_static_selectorELNS0_4arch9wavefront6targetE1EEEvT1_
		.amdhsa_group_segment_fixed_size 0
		.amdhsa_private_segment_fixed_size 0
		.amdhsa_kernarg_size 120
		.amdhsa_user_sgpr_count 6
		.amdhsa_user_sgpr_private_segment_buffer 1
		.amdhsa_user_sgpr_dispatch_ptr 0
		.amdhsa_user_sgpr_queue_ptr 0
		.amdhsa_user_sgpr_kernarg_segment_ptr 1
		.amdhsa_user_sgpr_dispatch_id 0
		.amdhsa_user_sgpr_flat_scratch_init 0
		.amdhsa_user_sgpr_kernarg_preload_length 0
		.amdhsa_user_sgpr_kernarg_preload_offset 0
		.amdhsa_user_sgpr_private_segment_size 0
		.amdhsa_uses_dynamic_stack 0
		.amdhsa_system_sgpr_private_segment_wavefront_offset 0
		.amdhsa_system_sgpr_workgroup_id_x 1
		.amdhsa_system_sgpr_workgroup_id_y 0
		.amdhsa_system_sgpr_workgroup_id_z 0
		.amdhsa_system_sgpr_workgroup_info 0
		.amdhsa_system_vgpr_workitem_id 0
		.amdhsa_next_free_vgpr 1
		.amdhsa_next_free_sgpr 0
		.amdhsa_accum_offset 4
		.amdhsa_reserve_vcc 0
		.amdhsa_reserve_flat_scratch 0
		.amdhsa_float_round_mode_32 0
		.amdhsa_float_round_mode_16_64 0
		.amdhsa_float_denorm_mode_32 3
		.amdhsa_float_denorm_mode_16_64 3
		.amdhsa_dx10_clamp 1
		.amdhsa_ieee_mode 1
		.amdhsa_fp16_overflow 0
		.amdhsa_tg_split 0
		.amdhsa_exception_fp_ieee_invalid_op 0
		.amdhsa_exception_fp_denorm_src 0
		.amdhsa_exception_fp_ieee_div_zero 0
		.amdhsa_exception_fp_ieee_overflow 0
		.amdhsa_exception_fp_ieee_underflow 0
		.amdhsa_exception_fp_ieee_inexact 0
		.amdhsa_exception_int_div_zero 0
	.end_amdhsa_kernel
	.section	.text._ZN7rocprim17ROCPRIM_400000_NS6detail17trampoline_kernelINS0_14default_configENS1_29reduce_by_key_config_selectorIffN6thrust23THRUST_200600_302600_NS4plusIfEEEEZZNS1_33reduce_by_key_impl_wrapped_configILNS1_25lookback_scan_determinismE0ES3_S9_NS6_6detail15normal_iteratorINS6_10device_ptrIfEEEESG_SG_SG_PmS8_22is_equal_div_10_reduceIfEEE10hipError_tPvRmT2_T3_mT4_T5_T6_T7_T8_P12ihipStream_tbENKUlT_T0_E_clISt17integral_constantIbLb0EES11_EEDaSW_SX_EUlSW_E_NS1_11comp_targetILNS1_3genE0ELNS1_11target_archE4294967295ELNS1_3gpuE0ELNS1_3repE0EEENS1_30default_config_static_selectorELNS0_4arch9wavefront6targetE1EEEvT1_,"axG",@progbits,_ZN7rocprim17ROCPRIM_400000_NS6detail17trampoline_kernelINS0_14default_configENS1_29reduce_by_key_config_selectorIffN6thrust23THRUST_200600_302600_NS4plusIfEEEEZZNS1_33reduce_by_key_impl_wrapped_configILNS1_25lookback_scan_determinismE0ES3_S9_NS6_6detail15normal_iteratorINS6_10device_ptrIfEEEESG_SG_SG_PmS8_22is_equal_div_10_reduceIfEEE10hipError_tPvRmT2_T3_mT4_T5_T6_T7_T8_P12ihipStream_tbENKUlT_T0_E_clISt17integral_constantIbLb0EES11_EEDaSW_SX_EUlSW_E_NS1_11comp_targetILNS1_3genE0ELNS1_11target_archE4294967295ELNS1_3gpuE0ELNS1_3repE0EEENS1_30default_config_static_selectorELNS0_4arch9wavefront6targetE1EEEvT1_,comdat
.Lfunc_end200:
	.size	_ZN7rocprim17ROCPRIM_400000_NS6detail17trampoline_kernelINS0_14default_configENS1_29reduce_by_key_config_selectorIffN6thrust23THRUST_200600_302600_NS4plusIfEEEEZZNS1_33reduce_by_key_impl_wrapped_configILNS1_25lookback_scan_determinismE0ES3_S9_NS6_6detail15normal_iteratorINS6_10device_ptrIfEEEESG_SG_SG_PmS8_22is_equal_div_10_reduceIfEEE10hipError_tPvRmT2_T3_mT4_T5_T6_T7_T8_P12ihipStream_tbENKUlT_T0_E_clISt17integral_constantIbLb0EES11_EEDaSW_SX_EUlSW_E_NS1_11comp_targetILNS1_3genE0ELNS1_11target_archE4294967295ELNS1_3gpuE0ELNS1_3repE0EEENS1_30default_config_static_selectorELNS0_4arch9wavefront6targetE1EEEvT1_, .Lfunc_end200-_ZN7rocprim17ROCPRIM_400000_NS6detail17trampoline_kernelINS0_14default_configENS1_29reduce_by_key_config_selectorIffN6thrust23THRUST_200600_302600_NS4plusIfEEEEZZNS1_33reduce_by_key_impl_wrapped_configILNS1_25lookback_scan_determinismE0ES3_S9_NS6_6detail15normal_iteratorINS6_10device_ptrIfEEEESG_SG_SG_PmS8_22is_equal_div_10_reduceIfEEE10hipError_tPvRmT2_T3_mT4_T5_T6_T7_T8_P12ihipStream_tbENKUlT_T0_E_clISt17integral_constantIbLb0EES11_EEDaSW_SX_EUlSW_E_NS1_11comp_targetILNS1_3genE0ELNS1_11target_archE4294967295ELNS1_3gpuE0ELNS1_3repE0EEENS1_30default_config_static_selectorELNS0_4arch9wavefront6targetE1EEEvT1_
                                        ; -- End function
	.section	.AMDGPU.csdata,"",@progbits
; Kernel info:
; codeLenInByte = 0
; NumSgprs: 4
; NumVgprs: 0
; NumAgprs: 0
; TotalNumVgprs: 0
; ScratchSize: 0
; MemoryBound: 0
; FloatMode: 240
; IeeeMode: 1
; LDSByteSize: 0 bytes/workgroup (compile time only)
; SGPRBlocks: 0
; VGPRBlocks: 0
; NumSGPRsForWavesPerEU: 4
; NumVGPRsForWavesPerEU: 1
; AccumOffset: 4
; Occupancy: 8
; WaveLimiterHint : 0
; COMPUTE_PGM_RSRC2:SCRATCH_EN: 0
; COMPUTE_PGM_RSRC2:USER_SGPR: 6
; COMPUTE_PGM_RSRC2:TRAP_HANDLER: 0
; COMPUTE_PGM_RSRC2:TGID_X_EN: 1
; COMPUTE_PGM_RSRC2:TGID_Y_EN: 0
; COMPUTE_PGM_RSRC2:TGID_Z_EN: 0
; COMPUTE_PGM_RSRC2:TIDIG_COMP_CNT: 0
; COMPUTE_PGM_RSRC3_GFX90A:ACCUM_OFFSET: 0
; COMPUTE_PGM_RSRC3_GFX90A:TG_SPLIT: 0
	.section	.text._ZN7rocprim17ROCPRIM_400000_NS6detail17trampoline_kernelINS0_14default_configENS1_29reduce_by_key_config_selectorIffN6thrust23THRUST_200600_302600_NS4plusIfEEEEZZNS1_33reduce_by_key_impl_wrapped_configILNS1_25lookback_scan_determinismE0ES3_S9_NS6_6detail15normal_iteratorINS6_10device_ptrIfEEEESG_SG_SG_PmS8_22is_equal_div_10_reduceIfEEE10hipError_tPvRmT2_T3_mT4_T5_T6_T7_T8_P12ihipStream_tbENKUlT_T0_E_clISt17integral_constantIbLb0EES11_EEDaSW_SX_EUlSW_E_NS1_11comp_targetILNS1_3genE5ELNS1_11target_archE942ELNS1_3gpuE9ELNS1_3repE0EEENS1_30default_config_static_selectorELNS0_4arch9wavefront6targetE1EEEvT1_,"axG",@progbits,_ZN7rocprim17ROCPRIM_400000_NS6detail17trampoline_kernelINS0_14default_configENS1_29reduce_by_key_config_selectorIffN6thrust23THRUST_200600_302600_NS4plusIfEEEEZZNS1_33reduce_by_key_impl_wrapped_configILNS1_25lookback_scan_determinismE0ES3_S9_NS6_6detail15normal_iteratorINS6_10device_ptrIfEEEESG_SG_SG_PmS8_22is_equal_div_10_reduceIfEEE10hipError_tPvRmT2_T3_mT4_T5_T6_T7_T8_P12ihipStream_tbENKUlT_T0_E_clISt17integral_constantIbLb0EES11_EEDaSW_SX_EUlSW_E_NS1_11comp_targetILNS1_3genE5ELNS1_11target_archE942ELNS1_3gpuE9ELNS1_3repE0EEENS1_30default_config_static_selectorELNS0_4arch9wavefront6targetE1EEEvT1_,comdat
	.protected	_ZN7rocprim17ROCPRIM_400000_NS6detail17trampoline_kernelINS0_14default_configENS1_29reduce_by_key_config_selectorIffN6thrust23THRUST_200600_302600_NS4plusIfEEEEZZNS1_33reduce_by_key_impl_wrapped_configILNS1_25lookback_scan_determinismE0ES3_S9_NS6_6detail15normal_iteratorINS6_10device_ptrIfEEEESG_SG_SG_PmS8_22is_equal_div_10_reduceIfEEE10hipError_tPvRmT2_T3_mT4_T5_T6_T7_T8_P12ihipStream_tbENKUlT_T0_E_clISt17integral_constantIbLb0EES11_EEDaSW_SX_EUlSW_E_NS1_11comp_targetILNS1_3genE5ELNS1_11target_archE942ELNS1_3gpuE9ELNS1_3repE0EEENS1_30default_config_static_selectorELNS0_4arch9wavefront6targetE1EEEvT1_ ; -- Begin function _ZN7rocprim17ROCPRIM_400000_NS6detail17trampoline_kernelINS0_14default_configENS1_29reduce_by_key_config_selectorIffN6thrust23THRUST_200600_302600_NS4plusIfEEEEZZNS1_33reduce_by_key_impl_wrapped_configILNS1_25lookback_scan_determinismE0ES3_S9_NS6_6detail15normal_iteratorINS6_10device_ptrIfEEEESG_SG_SG_PmS8_22is_equal_div_10_reduceIfEEE10hipError_tPvRmT2_T3_mT4_T5_T6_T7_T8_P12ihipStream_tbENKUlT_T0_E_clISt17integral_constantIbLb0EES11_EEDaSW_SX_EUlSW_E_NS1_11comp_targetILNS1_3genE5ELNS1_11target_archE942ELNS1_3gpuE9ELNS1_3repE0EEENS1_30default_config_static_selectorELNS0_4arch9wavefront6targetE1EEEvT1_
	.globl	_ZN7rocprim17ROCPRIM_400000_NS6detail17trampoline_kernelINS0_14default_configENS1_29reduce_by_key_config_selectorIffN6thrust23THRUST_200600_302600_NS4plusIfEEEEZZNS1_33reduce_by_key_impl_wrapped_configILNS1_25lookback_scan_determinismE0ES3_S9_NS6_6detail15normal_iteratorINS6_10device_ptrIfEEEESG_SG_SG_PmS8_22is_equal_div_10_reduceIfEEE10hipError_tPvRmT2_T3_mT4_T5_T6_T7_T8_P12ihipStream_tbENKUlT_T0_E_clISt17integral_constantIbLb0EES11_EEDaSW_SX_EUlSW_E_NS1_11comp_targetILNS1_3genE5ELNS1_11target_archE942ELNS1_3gpuE9ELNS1_3repE0EEENS1_30default_config_static_selectorELNS0_4arch9wavefront6targetE1EEEvT1_
	.p2align	8
	.type	_ZN7rocprim17ROCPRIM_400000_NS6detail17trampoline_kernelINS0_14default_configENS1_29reduce_by_key_config_selectorIffN6thrust23THRUST_200600_302600_NS4plusIfEEEEZZNS1_33reduce_by_key_impl_wrapped_configILNS1_25lookback_scan_determinismE0ES3_S9_NS6_6detail15normal_iteratorINS6_10device_ptrIfEEEESG_SG_SG_PmS8_22is_equal_div_10_reduceIfEEE10hipError_tPvRmT2_T3_mT4_T5_T6_T7_T8_P12ihipStream_tbENKUlT_T0_E_clISt17integral_constantIbLb0EES11_EEDaSW_SX_EUlSW_E_NS1_11comp_targetILNS1_3genE5ELNS1_11target_archE942ELNS1_3gpuE9ELNS1_3repE0EEENS1_30default_config_static_selectorELNS0_4arch9wavefront6targetE1EEEvT1_,@function
_ZN7rocprim17ROCPRIM_400000_NS6detail17trampoline_kernelINS0_14default_configENS1_29reduce_by_key_config_selectorIffN6thrust23THRUST_200600_302600_NS4plusIfEEEEZZNS1_33reduce_by_key_impl_wrapped_configILNS1_25lookback_scan_determinismE0ES3_S9_NS6_6detail15normal_iteratorINS6_10device_ptrIfEEEESG_SG_SG_PmS8_22is_equal_div_10_reduceIfEEE10hipError_tPvRmT2_T3_mT4_T5_T6_T7_T8_P12ihipStream_tbENKUlT_T0_E_clISt17integral_constantIbLb0EES11_EEDaSW_SX_EUlSW_E_NS1_11comp_targetILNS1_3genE5ELNS1_11target_archE942ELNS1_3gpuE9ELNS1_3repE0EEENS1_30default_config_static_selectorELNS0_4arch9wavefront6targetE1EEEvT1_: ; @_ZN7rocprim17ROCPRIM_400000_NS6detail17trampoline_kernelINS0_14default_configENS1_29reduce_by_key_config_selectorIffN6thrust23THRUST_200600_302600_NS4plusIfEEEEZZNS1_33reduce_by_key_impl_wrapped_configILNS1_25lookback_scan_determinismE0ES3_S9_NS6_6detail15normal_iteratorINS6_10device_ptrIfEEEESG_SG_SG_PmS8_22is_equal_div_10_reduceIfEEE10hipError_tPvRmT2_T3_mT4_T5_T6_T7_T8_P12ihipStream_tbENKUlT_T0_E_clISt17integral_constantIbLb0EES11_EEDaSW_SX_EUlSW_E_NS1_11comp_targetILNS1_3genE5ELNS1_11target_archE942ELNS1_3gpuE9ELNS1_3repE0EEENS1_30default_config_static_selectorELNS0_4arch9wavefront6targetE1EEEvT1_
; %bb.0:
	.section	.rodata,"a",@progbits
	.p2align	6, 0x0
	.amdhsa_kernel _ZN7rocprim17ROCPRIM_400000_NS6detail17trampoline_kernelINS0_14default_configENS1_29reduce_by_key_config_selectorIffN6thrust23THRUST_200600_302600_NS4plusIfEEEEZZNS1_33reduce_by_key_impl_wrapped_configILNS1_25lookback_scan_determinismE0ES3_S9_NS6_6detail15normal_iteratorINS6_10device_ptrIfEEEESG_SG_SG_PmS8_22is_equal_div_10_reduceIfEEE10hipError_tPvRmT2_T3_mT4_T5_T6_T7_T8_P12ihipStream_tbENKUlT_T0_E_clISt17integral_constantIbLb0EES11_EEDaSW_SX_EUlSW_E_NS1_11comp_targetILNS1_3genE5ELNS1_11target_archE942ELNS1_3gpuE9ELNS1_3repE0EEENS1_30default_config_static_selectorELNS0_4arch9wavefront6targetE1EEEvT1_
		.amdhsa_group_segment_fixed_size 0
		.amdhsa_private_segment_fixed_size 0
		.amdhsa_kernarg_size 120
		.amdhsa_user_sgpr_count 6
		.amdhsa_user_sgpr_private_segment_buffer 1
		.amdhsa_user_sgpr_dispatch_ptr 0
		.amdhsa_user_sgpr_queue_ptr 0
		.amdhsa_user_sgpr_kernarg_segment_ptr 1
		.amdhsa_user_sgpr_dispatch_id 0
		.amdhsa_user_sgpr_flat_scratch_init 0
		.amdhsa_user_sgpr_kernarg_preload_length 0
		.amdhsa_user_sgpr_kernarg_preload_offset 0
		.amdhsa_user_sgpr_private_segment_size 0
		.amdhsa_uses_dynamic_stack 0
		.amdhsa_system_sgpr_private_segment_wavefront_offset 0
		.amdhsa_system_sgpr_workgroup_id_x 1
		.amdhsa_system_sgpr_workgroup_id_y 0
		.amdhsa_system_sgpr_workgroup_id_z 0
		.amdhsa_system_sgpr_workgroup_info 0
		.amdhsa_system_vgpr_workitem_id 0
		.amdhsa_next_free_vgpr 1
		.amdhsa_next_free_sgpr 0
		.amdhsa_accum_offset 4
		.amdhsa_reserve_vcc 0
		.amdhsa_reserve_flat_scratch 0
		.amdhsa_float_round_mode_32 0
		.amdhsa_float_round_mode_16_64 0
		.amdhsa_float_denorm_mode_32 3
		.amdhsa_float_denorm_mode_16_64 3
		.amdhsa_dx10_clamp 1
		.amdhsa_ieee_mode 1
		.amdhsa_fp16_overflow 0
		.amdhsa_tg_split 0
		.amdhsa_exception_fp_ieee_invalid_op 0
		.amdhsa_exception_fp_denorm_src 0
		.amdhsa_exception_fp_ieee_div_zero 0
		.amdhsa_exception_fp_ieee_overflow 0
		.amdhsa_exception_fp_ieee_underflow 0
		.amdhsa_exception_fp_ieee_inexact 0
		.amdhsa_exception_int_div_zero 0
	.end_amdhsa_kernel
	.section	.text._ZN7rocprim17ROCPRIM_400000_NS6detail17trampoline_kernelINS0_14default_configENS1_29reduce_by_key_config_selectorIffN6thrust23THRUST_200600_302600_NS4plusIfEEEEZZNS1_33reduce_by_key_impl_wrapped_configILNS1_25lookback_scan_determinismE0ES3_S9_NS6_6detail15normal_iteratorINS6_10device_ptrIfEEEESG_SG_SG_PmS8_22is_equal_div_10_reduceIfEEE10hipError_tPvRmT2_T3_mT4_T5_T6_T7_T8_P12ihipStream_tbENKUlT_T0_E_clISt17integral_constantIbLb0EES11_EEDaSW_SX_EUlSW_E_NS1_11comp_targetILNS1_3genE5ELNS1_11target_archE942ELNS1_3gpuE9ELNS1_3repE0EEENS1_30default_config_static_selectorELNS0_4arch9wavefront6targetE1EEEvT1_,"axG",@progbits,_ZN7rocprim17ROCPRIM_400000_NS6detail17trampoline_kernelINS0_14default_configENS1_29reduce_by_key_config_selectorIffN6thrust23THRUST_200600_302600_NS4plusIfEEEEZZNS1_33reduce_by_key_impl_wrapped_configILNS1_25lookback_scan_determinismE0ES3_S9_NS6_6detail15normal_iteratorINS6_10device_ptrIfEEEESG_SG_SG_PmS8_22is_equal_div_10_reduceIfEEE10hipError_tPvRmT2_T3_mT4_T5_T6_T7_T8_P12ihipStream_tbENKUlT_T0_E_clISt17integral_constantIbLb0EES11_EEDaSW_SX_EUlSW_E_NS1_11comp_targetILNS1_3genE5ELNS1_11target_archE942ELNS1_3gpuE9ELNS1_3repE0EEENS1_30default_config_static_selectorELNS0_4arch9wavefront6targetE1EEEvT1_,comdat
.Lfunc_end201:
	.size	_ZN7rocprim17ROCPRIM_400000_NS6detail17trampoline_kernelINS0_14default_configENS1_29reduce_by_key_config_selectorIffN6thrust23THRUST_200600_302600_NS4plusIfEEEEZZNS1_33reduce_by_key_impl_wrapped_configILNS1_25lookback_scan_determinismE0ES3_S9_NS6_6detail15normal_iteratorINS6_10device_ptrIfEEEESG_SG_SG_PmS8_22is_equal_div_10_reduceIfEEE10hipError_tPvRmT2_T3_mT4_T5_T6_T7_T8_P12ihipStream_tbENKUlT_T0_E_clISt17integral_constantIbLb0EES11_EEDaSW_SX_EUlSW_E_NS1_11comp_targetILNS1_3genE5ELNS1_11target_archE942ELNS1_3gpuE9ELNS1_3repE0EEENS1_30default_config_static_selectorELNS0_4arch9wavefront6targetE1EEEvT1_, .Lfunc_end201-_ZN7rocprim17ROCPRIM_400000_NS6detail17trampoline_kernelINS0_14default_configENS1_29reduce_by_key_config_selectorIffN6thrust23THRUST_200600_302600_NS4plusIfEEEEZZNS1_33reduce_by_key_impl_wrapped_configILNS1_25lookback_scan_determinismE0ES3_S9_NS6_6detail15normal_iteratorINS6_10device_ptrIfEEEESG_SG_SG_PmS8_22is_equal_div_10_reduceIfEEE10hipError_tPvRmT2_T3_mT4_T5_T6_T7_T8_P12ihipStream_tbENKUlT_T0_E_clISt17integral_constantIbLb0EES11_EEDaSW_SX_EUlSW_E_NS1_11comp_targetILNS1_3genE5ELNS1_11target_archE942ELNS1_3gpuE9ELNS1_3repE0EEENS1_30default_config_static_selectorELNS0_4arch9wavefront6targetE1EEEvT1_
                                        ; -- End function
	.section	.AMDGPU.csdata,"",@progbits
; Kernel info:
; codeLenInByte = 0
; NumSgprs: 4
; NumVgprs: 0
; NumAgprs: 0
; TotalNumVgprs: 0
; ScratchSize: 0
; MemoryBound: 0
; FloatMode: 240
; IeeeMode: 1
; LDSByteSize: 0 bytes/workgroup (compile time only)
; SGPRBlocks: 0
; VGPRBlocks: 0
; NumSGPRsForWavesPerEU: 4
; NumVGPRsForWavesPerEU: 1
; AccumOffset: 4
; Occupancy: 8
; WaveLimiterHint : 0
; COMPUTE_PGM_RSRC2:SCRATCH_EN: 0
; COMPUTE_PGM_RSRC2:USER_SGPR: 6
; COMPUTE_PGM_RSRC2:TRAP_HANDLER: 0
; COMPUTE_PGM_RSRC2:TGID_X_EN: 1
; COMPUTE_PGM_RSRC2:TGID_Y_EN: 0
; COMPUTE_PGM_RSRC2:TGID_Z_EN: 0
; COMPUTE_PGM_RSRC2:TIDIG_COMP_CNT: 0
; COMPUTE_PGM_RSRC3_GFX90A:ACCUM_OFFSET: 0
; COMPUTE_PGM_RSRC3_GFX90A:TG_SPLIT: 0
	.section	.text._ZN7rocprim17ROCPRIM_400000_NS6detail17trampoline_kernelINS0_14default_configENS1_29reduce_by_key_config_selectorIffN6thrust23THRUST_200600_302600_NS4plusIfEEEEZZNS1_33reduce_by_key_impl_wrapped_configILNS1_25lookback_scan_determinismE0ES3_S9_NS6_6detail15normal_iteratorINS6_10device_ptrIfEEEESG_SG_SG_PmS8_22is_equal_div_10_reduceIfEEE10hipError_tPvRmT2_T3_mT4_T5_T6_T7_T8_P12ihipStream_tbENKUlT_T0_E_clISt17integral_constantIbLb0EES11_EEDaSW_SX_EUlSW_E_NS1_11comp_targetILNS1_3genE4ELNS1_11target_archE910ELNS1_3gpuE8ELNS1_3repE0EEENS1_30default_config_static_selectorELNS0_4arch9wavefront6targetE1EEEvT1_,"axG",@progbits,_ZN7rocprim17ROCPRIM_400000_NS6detail17trampoline_kernelINS0_14default_configENS1_29reduce_by_key_config_selectorIffN6thrust23THRUST_200600_302600_NS4plusIfEEEEZZNS1_33reduce_by_key_impl_wrapped_configILNS1_25lookback_scan_determinismE0ES3_S9_NS6_6detail15normal_iteratorINS6_10device_ptrIfEEEESG_SG_SG_PmS8_22is_equal_div_10_reduceIfEEE10hipError_tPvRmT2_T3_mT4_T5_T6_T7_T8_P12ihipStream_tbENKUlT_T0_E_clISt17integral_constantIbLb0EES11_EEDaSW_SX_EUlSW_E_NS1_11comp_targetILNS1_3genE4ELNS1_11target_archE910ELNS1_3gpuE8ELNS1_3repE0EEENS1_30default_config_static_selectorELNS0_4arch9wavefront6targetE1EEEvT1_,comdat
	.protected	_ZN7rocprim17ROCPRIM_400000_NS6detail17trampoline_kernelINS0_14default_configENS1_29reduce_by_key_config_selectorIffN6thrust23THRUST_200600_302600_NS4plusIfEEEEZZNS1_33reduce_by_key_impl_wrapped_configILNS1_25lookback_scan_determinismE0ES3_S9_NS6_6detail15normal_iteratorINS6_10device_ptrIfEEEESG_SG_SG_PmS8_22is_equal_div_10_reduceIfEEE10hipError_tPvRmT2_T3_mT4_T5_T6_T7_T8_P12ihipStream_tbENKUlT_T0_E_clISt17integral_constantIbLb0EES11_EEDaSW_SX_EUlSW_E_NS1_11comp_targetILNS1_3genE4ELNS1_11target_archE910ELNS1_3gpuE8ELNS1_3repE0EEENS1_30default_config_static_selectorELNS0_4arch9wavefront6targetE1EEEvT1_ ; -- Begin function _ZN7rocprim17ROCPRIM_400000_NS6detail17trampoline_kernelINS0_14default_configENS1_29reduce_by_key_config_selectorIffN6thrust23THRUST_200600_302600_NS4plusIfEEEEZZNS1_33reduce_by_key_impl_wrapped_configILNS1_25lookback_scan_determinismE0ES3_S9_NS6_6detail15normal_iteratorINS6_10device_ptrIfEEEESG_SG_SG_PmS8_22is_equal_div_10_reduceIfEEE10hipError_tPvRmT2_T3_mT4_T5_T6_T7_T8_P12ihipStream_tbENKUlT_T0_E_clISt17integral_constantIbLb0EES11_EEDaSW_SX_EUlSW_E_NS1_11comp_targetILNS1_3genE4ELNS1_11target_archE910ELNS1_3gpuE8ELNS1_3repE0EEENS1_30default_config_static_selectorELNS0_4arch9wavefront6targetE1EEEvT1_
	.globl	_ZN7rocprim17ROCPRIM_400000_NS6detail17trampoline_kernelINS0_14default_configENS1_29reduce_by_key_config_selectorIffN6thrust23THRUST_200600_302600_NS4plusIfEEEEZZNS1_33reduce_by_key_impl_wrapped_configILNS1_25lookback_scan_determinismE0ES3_S9_NS6_6detail15normal_iteratorINS6_10device_ptrIfEEEESG_SG_SG_PmS8_22is_equal_div_10_reduceIfEEE10hipError_tPvRmT2_T3_mT4_T5_T6_T7_T8_P12ihipStream_tbENKUlT_T0_E_clISt17integral_constantIbLb0EES11_EEDaSW_SX_EUlSW_E_NS1_11comp_targetILNS1_3genE4ELNS1_11target_archE910ELNS1_3gpuE8ELNS1_3repE0EEENS1_30default_config_static_selectorELNS0_4arch9wavefront6targetE1EEEvT1_
	.p2align	8
	.type	_ZN7rocprim17ROCPRIM_400000_NS6detail17trampoline_kernelINS0_14default_configENS1_29reduce_by_key_config_selectorIffN6thrust23THRUST_200600_302600_NS4plusIfEEEEZZNS1_33reduce_by_key_impl_wrapped_configILNS1_25lookback_scan_determinismE0ES3_S9_NS6_6detail15normal_iteratorINS6_10device_ptrIfEEEESG_SG_SG_PmS8_22is_equal_div_10_reduceIfEEE10hipError_tPvRmT2_T3_mT4_T5_T6_T7_T8_P12ihipStream_tbENKUlT_T0_E_clISt17integral_constantIbLb0EES11_EEDaSW_SX_EUlSW_E_NS1_11comp_targetILNS1_3genE4ELNS1_11target_archE910ELNS1_3gpuE8ELNS1_3repE0EEENS1_30default_config_static_selectorELNS0_4arch9wavefront6targetE1EEEvT1_,@function
_ZN7rocprim17ROCPRIM_400000_NS6detail17trampoline_kernelINS0_14default_configENS1_29reduce_by_key_config_selectorIffN6thrust23THRUST_200600_302600_NS4plusIfEEEEZZNS1_33reduce_by_key_impl_wrapped_configILNS1_25lookback_scan_determinismE0ES3_S9_NS6_6detail15normal_iteratorINS6_10device_ptrIfEEEESG_SG_SG_PmS8_22is_equal_div_10_reduceIfEEE10hipError_tPvRmT2_T3_mT4_T5_T6_T7_T8_P12ihipStream_tbENKUlT_T0_E_clISt17integral_constantIbLb0EES11_EEDaSW_SX_EUlSW_E_NS1_11comp_targetILNS1_3genE4ELNS1_11target_archE910ELNS1_3gpuE8ELNS1_3repE0EEENS1_30default_config_static_selectorELNS0_4arch9wavefront6targetE1EEEvT1_: ; @_ZN7rocprim17ROCPRIM_400000_NS6detail17trampoline_kernelINS0_14default_configENS1_29reduce_by_key_config_selectorIffN6thrust23THRUST_200600_302600_NS4plusIfEEEEZZNS1_33reduce_by_key_impl_wrapped_configILNS1_25lookback_scan_determinismE0ES3_S9_NS6_6detail15normal_iteratorINS6_10device_ptrIfEEEESG_SG_SG_PmS8_22is_equal_div_10_reduceIfEEE10hipError_tPvRmT2_T3_mT4_T5_T6_T7_T8_P12ihipStream_tbENKUlT_T0_E_clISt17integral_constantIbLb0EES11_EEDaSW_SX_EUlSW_E_NS1_11comp_targetILNS1_3genE4ELNS1_11target_archE910ELNS1_3gpuE8ELNS1_3repE0EEENS1_30default_config_static_selectorELNS0_4arch9wavefront6targetE1EEEvT1_
; %bb.0:
	s_load_dwordx8 s[36:43], s[4:5], 0x0
	s_load_dwordx4 s[52:55], s[4:5], 0x20
	s_load_dwordx8 s[44:51], s[4:5], 0x38
	s_load_dwordx2 s[60:61], s[4:5], 0x68
	s_load_dwordx4 s[56:59], s[4:5], 0x58
	s_waitcnt lgkmcnt(0)
	s_lshl_b64 s[0:1], s[38:39], 2
	s_add_u32 s2, s36, s0
	s_addc_u32 s3, s37, s1
	s_add_u32 s4, s40, s0
	s_addc_u32 s5, s41, s1
	s_mul_i32 s0, s48, s47
	s_mul_hi_u32 s1, s48, s46
	s_add_i32 s0, s1, s0
	s_mul_i32 s1, s49, s46
	s_add_i32 s8, s0, s1
	s_mul_i32 s0, s6, 0xf00
	s_mov_b32 s1, 0
	s_lshl_b64 s[0:1], s[0:1], 2
	s_add_u32 s7, s2, s0
	s_mul_i32 s9, s48, s46
	s_addc_u32 s48, s3, s1
	s_add_u32 s49, s4, s0
	s_addc_u32 s62, s5, s1
	s_add_u32 s38, s9, s6
	s_addc_u32 s39, s8, 0
	s_add_u32 s2, s50, -1
	s_addc_u32 s3, s51, -1
	s_cmp_eq_u64 s[38:39], s[2:3]
	s_cselect_b64 s[34:35], -1, 0
	s_cmp_lg_u64 s[38:39], s[2:3]
	s_mov_b64 s[0:1], -1
	s_cselect_b64 s[40:41], -1, 0
	s_mul_i32 s33, s2, 0xfffff100
	s_and_b64 vcc, exec, s[34:35]
	v_mul_u32_u24_e32 v2, 15, v0
	s_cbranch_vccnz .LBB202_2
; %bb.1:
	v_lshlrev_b32_e32 v26, 2, v0
	v_mov_b32_e32 v1, s48
	v_add_co_u32_e32 v4, vcc, s7, v26
	v_addc_co_u32_e32 v5, vcc, 0, v1, vcc
	v_add_co_u32_e32 v6, vcc, 0x1000, v4
	v_addc_co_u32_e32 v7, vcc, 0, v5, vcc
	flat_load_dword v1, v[4:5]
	flat_load_dword v12, v[4:5] offset:1024
	flat_load_dword v13, v[4:5] offset:2048
	;; [unrolled: 1-line block ×3, first 2 shown]
	flat_load_dword v15, v[6:7]
	flat_load_dword v16, v[6:7] offset:1024
	flat_load_dword v17, v[6:7] offset:2048
	;; [unrolled: 1-line block ×3, first 2 shown]
	v_add_co_u32_e32 v6, vcc, 0x2000, v4
	v_addc_co_u32_e32 v7, vcc, 0, v5, vcc
	v_add_co_u32_e32 v4, vcc, 0x3000, v4
	v_addc_co_u32_e32 v5, vcc, 0, v5, vcc
	flat_load_dword v19, v[6:7]
	flat_load_dword v20, v[6:7] offset:1024
	flat_load_dword v21, v[6:7] offset:2048
	;; [unrolled: 1-line block ×3, first 2 shown]
	flat_load_dword v23, v[4:5]
	flat_load_dword v24, v[4:5] offset:1024
	flat_load_dword v25, v[4:5] offset:2048
	v_mov_b32_e32 v5, s62
	v_add_co_u32_e32 v4, vcc, s49, v26
	s_movk_i32 s0, 0x1000
	v_addc_co_u32_e32 v5, vcc, 0, v5, vcc
	v_add_co_u32_e32 v6, vcc, s0, v4
	s_movk_i32 s1, 0x2000
	v_addc_co_u32_e32 v7, vcc, 0, v5, vcc
	;; [unrolled: 3-line block ×3, first 2 shown]
	v_mad_u32_u24 v3, v0, 56, v26
	v_add_co_u32_e32 v10, vcc, s2, v4
	v_addc_co_u32_e32 v11, vcc, 0, v5, vcc
	s_waitcnt vmcnt(0) lgkmcnt(0)
	ds_write2st64_b32 v26, v1, v12 offset1:4
	ds_write2st64_b32 v26, v13, v14 offset0:8 offset1:12
	ds_write2st64_b32 v26, v15, v16 offset0:16 offset1:20
	;; [unrolled: 1-line block ×6, first 2 shown]
	ds_write_b32 v26, v25 offset:14336
	s_waitcnt lgkmcnt(0)
	s_barrier
	ds_read2_b32 v[24:25], v3 offset1:1
	ds_read2_b32 v[22:23], v3 offset0:2 offset1:3
	ds_read2_b32 v[20:21], v3 offset0:4 offset1:5
	;; [unrolled: 1-line block ×6, first 2 shown]
	ds_read_b32 v1, v3 offset:56
	s_waitcnt lgkmcnt(0)
	s_barrier
	flat_load_dword v27, v[4:5]
	flat_load_dword v28, v[4:5] offset:1024
	flat_load_dword v29, v[4:5] offset:2048
	flat_load_dword v30, v[4:5] offset:3072
	flat_load_dword v31, v[6:7]
	flat_load_dword v32, v[6:7] offset:1024
	flat_load_dword v33, v[6:7] offset:2048
	flat_load_dword v34, v[6:7] offset:3072
	;; [unrolled: 4-line block ×3, first 2 shown]
	flat_load_dword v39, v[10:11]
	flat_load_dword v40, v[10:11] offset:1024
	flat_load_dword v41, v[10:11] offset:2048
	v_mul_u32_u24_e32 v4, 15, v0
	s_waitcnt vmcnt(0) lgkmcnt(0)
	ds_write2st64_b32 v26, v27, v28 offset1:4
	ds_write2st64_b32 v26, v29, v30 offset0:8 offset1:12
	ds_write2st64_b32 v26, v31, v32 offset0:16 offset1:20
	;; [unrolled: 1-line block ×6, first 2 shown]
	ds_write_b32 v26, v41 offset:14336
	s_waitcnt lgkmcnt(0)
	s_barrier
	s_add_i32 s33, s33, s56
	s_cbranch_execz .LBB202_3
	s_branch .LBB202_50
.LBB202_2:
                                        ; implicit-def: $vgpr12_vgpr13
                                        ; implicit-def: $vgpr14_vgpr15
                                        ; implicit-def: $vgpr16_vgpr17
                                        ; implicit-def: $vgpr18_vgpr19
                                        ; implicit-def: $vgpr20_vgpr21
                                        ; implicit-def: $vgpr22_vgpr23
                                        ; implicit-def: $vgpr24_vgpr25
                                        ; implicit-def: $vgpr4
                                        ; implicit-def: $vgpr3
                                        ; implicit-def: $vgpr1
	s_andn2_b64 vcc, exec, s[0:1]
	s_add_i32 s33, s33, s56
	s_cbranch_vccnz .LBB202_50
.LBB202_3:
	v_cmp_gt_u32_e32 vcc, s33, v0
                                        ; implicit-def: $vgpr1
	s_and_saveexec_b64 s[2:3], vcc
	s_cbranch_execz .LBB202_5
; %bb.4:
	v_lshlrev_b32_e32 v1, 2, v0
	v_mov_b32_e32 v3, s48
	v_add_co_u32_e64 v4, s[0:1], s7, v1
	v_addc_co_u32_e64 v5, s[0:1], 0, v3, s[0:1]
	flat_load_dword v1, v[4:5]
.LBB202_5:
	s_or_b64 exec, exec, s[2:3]
	v_or_b32_e32 v3, 0x100, v0
	v_cmp_gt_u32_e64 s[0:1], s33, v3
                                        ; implicit-def: $vgpr3
	s_and_saveexec_b64 s[4:5], s[0:1]
	s_cbranch_execz .LBB202_7
; %bb.6:
	v_lshlrev_b32_e32 v3, 2, v0
	v_mov_b32_e32 v5, s48
	v_add_co_u32_e64 v4, s[2:3], s7, v3
	v_addc_co_u32_e64 v5, s[2:3], 0, v5, s[2:3]
	flat_load_dword v3, v[4:5] offset:1024
.LBB202_7:
	s_or_b64 exec, exec, s[4:5]
	v_or_b32_e32 v4, 0x200, v0
	v_cmp_gt_u32_e64 s[2:3], s33, v4
                                        ; implicit-def: $vgpr12
	s_and_saveexec_b64 s[8:9], s[2:3]
	s_cbranch_execz .LBB202_9
; %bb.8:
	v_lshlrev_b32_e32 v4, 2, v0
	v_mov_b32_e32 v5, s48
	v_add_co_u32_e64 v4, s[4:5], s7, v4
	v_addc_co_u32_e64 v5, s[4:5], 0, v5, s[4:5]
	flat_load_dword v12, v[4:5] offset:2048
.LBB202_9:
	s_or_b64 exec, exec, s[8:9]
	v_or_b32_e32 v4, 0x300, v0
	v_cmp_gt_u32_e64 s[4:5], s33, v4
                                        ; implicit-def: $vgpr13
	s_and_saveexec_b64 s[10:11], s[4:5]
	s_cbranch_execz .LBB202_11
; %bb.10:
	v_lshlrev_b32_e32 v4, 2, v0
	v_mov_b32_e32 v5, s48
	v_add_co_u32_e64 v4, s[8:9], s7, v4
	v_addc_co_u32_e64 v5, s[8:9], 0, v5, s[8:9]
	flat_load_dword v13, v[4:5] offset:3072
.LBB202_11:
	s_or_b64 exec, exec, s[10:11]
	v_or_b32_e32 v4, 0x400, v0
	v_cmp_gt_u32_e64 s[28:29], s33, v4
	v_lshlrev_b32_e32 v4, 2, v4
                                        ; implicit-def: $vgpr14
	s_and_saveexec_b64 s[10:11], s[28:29]
	s_cbranch_execz .LBB202_13
; %bb.12:
	v_mov_b32_e32 v5, s48
	v_add_co_u32_e64 v6, s[8:9], s7, v4
	v_addc_co_u32_e64 v7, s[8:9], 0, v5, s[8:9]
	flat_load_dword v14, v[6:7]
.LBB202_13:
	s_or_b64 exec, exec, s[10:11]
	v_or_b32_e32 v5, 0x500, v0
	v_cmp_gt_u32_e64 s[8:9], s33, v5
	v_lshlrev_b32_e32 v5, 2, v5
                                        ; implicit-def: $vgpr15
	s_and_saveexec_b64 s[12:13], s[8:9]
	s_cbranch_execz .LBB202_15
; %bb.14:
	v_mov_b32_e32 v7, s48
	v_add_co_u32_e64 v6, s[10:11], s7, v5
	v_addc_co_u32_e64 v7, s[10:11], 0, v7, s[10:11]
	flat_load_dword v15, v[6:7]
.LBB202_15:
	s_or_b64 exec, exec, s[12:13]
	v_or_b32_e32 v6, 0x600, v0
	v_cmp_gt_u32_e64 s[10:11], s33, v6
	v_lshlrev_b32_e32 v6, 2, v6
                                        ; implicit-def: $vgpr16
	s_and_saveexec_b64 s[14:15], s[10:11]
	s_cbranch_execz .LBB202_17
; %bb.16:
	v_mov_b32_e32 v7, s48
	v_add_co_u32_e64 v8, s[12:13], s7, v6
	v_addc_co_u32_e64 v9, s[12:13], 0, v7, s[12:13]
	flat_load_dword v16, v[8:9]
.LBB202_17:
	s_or_b64 exec, exec, s[14:15]
	v_or_b32_e32 v7, 0x700, v0
	v_cmp_gt_u32_e64 s[12:13], s33, v7
	v_lshlrev_b32_e32 v7, 2, v7
                                        ; implicit-def: $vgpr17
	s_and_saveexec_b64 s[16:17], s[12:13]
	s_cbranch_execz .LBB202_19
; %bb.18:
	v_mov_b32_e32 v9, s48
	v_add_co_u32_e64 v8, s[14:15], s7, v7
	v_addc_co_u32_e64 v9, s[14:15], 0, v9, s[14:15]
	flat_load_dword v17, v[8:9]
.LBB202_19:
	s_or_b64 exec, exec, s[16:17]
	v_or_b32_e32 v8, 0x800, v0
	v_cmp_gt_u32_e64 s[14:15], s33, v8
	v_lshlrev_b32_e32 v8, 2, v8
                                        ; implicit-def: $vgpr18
	s_and_saveexec_b64 s[18:19], s[14:15]
	s_cbranch_execz .LBB202_21
; %bb.20:
	v_mov_b32_e32 v9, s48
	v_add_co_u32_e64 v10, s[16:17], s7, v8
	v_addc_co_u32_e64 v11, s[16:17], 0, v9, s[16:17]
	flat_load_dword v18, v[10:11]
.LBB202_21:
	s_or_b64 exec, exec, s[18:19]
	v_or_b32_e32 v9, 0x900, v0
	v_cmp_gt_u32_e64 s[16:17], s33, v9
	v_lshlrev_b32_e32 v9, 2, v9
                                        ; implicit-def: $vgpr19
	s_and_saveexec_b64 s[20:21], s[16:17]
	s_cbranch_execz .LBB202_23
; %bb.22:
	v_mov_b32_e32 v11, s48
	v_add_co_u32_e64 v10, s[18:19], s7, v9
	v_addc_co_u32_e64 v11, s[18:19], 0, v11, s[18:19]
	flat_load_dword v19, v[10:11]
.LBB202_23:
	s_or_b64 exec, exec, s[20:21]
	v_or_b32_e32 v10, 0xa00, v0
	v_cmp_gt_u32_e64 s[18:19], s33, v10
	v_lshlrev_b32_e32 v10, 2, v10
                                        ; implicit-def: $vgpr20
	s_and_saveexec_b64 s[22:23], s[18:19]
	s_cbranch_execz .LBB202_25
; %bb.24:
	v_mov_b32_e32 v11, s48
	v_add_co_u32_e64 v20, s[20:21], s7, v10
	v_addc_co_u32_e64 v21, s[20:21], 0, v11, s[20:21]
	flat_load_dword v20, v[20:21]
.LBB202_25:
	s_or_b64 exec, exec, s[22:23]
	v_or_b32_e32 v11, 0xb00, v0
	v_cmp_gt_u32_e64 s[20:21], s33, v11
	v_lshlrev_b32_e32 v11, 2, v11
                                        ; implicit-def: $vgpr21
	s_and_saveexec_b64 s[24:25], s[20:21]
	s_cbranch_execz .LBB202_27
; %bb.26:
	v_mov_b32_e32 v21, s48
	v_add_co_u32_e64 v22, s[22:23], s7, v11
	v_addc_co_u32_e64 v23, s[22:23], 0, v21, s[22:23]
	flat_load_dword v21, v[22:23]
.LBB202_27:
	s_or_b64 exec, exec, s[24:25]
	v_or_b32_e32 v22, 0xc00, v0
	v_cmp_gt_u32_e64 s[22:23], s33, v22
	v_lshlrev_b32_e32 v26, 2, v22
                                        ; implicit-def: $vgpr22
	s_and_saveexec_b64 s[26:27], s[22:23]
	s_cbranch_execz .LBB202_29
; %bb.28:
	v_mov_b32_e32 v23, s48
	v_add_co_u32_e64 v22, s[24:25], s7, v26
	v_addc_co_u32_e64 v23, s[24:25], 0, v23, s[24:25]
	flat_load_dword v22, v[22:23]
.LBB202_29:
	s_or_b64 exec, exec, s[26:27]
	v_or_b32_e32 v23, 0xd00, v0
	v_cmp_gt_u32_e64 s[24:25], s33, v23
	v_lshlrev_b32_e32 v27, 2, v23
                                        ; implicit-def: $vgpr23
	s_and_saveexec_b64 s[30:31], s[24:25]
	s_cbranch_execz .LBB202_31
; %bb.30:
	v_mov_b32_e32 v23, s48
	v_add_co_u32_e64 v24, s[26:27], s7, v27
	v_addc_co_u32_e64 v25, s[26:27], 0, v23, s[26:27]
	flat_load_dword v23, v[24:25]
.LBB202_31:
	s_or_b64 exec, exec, s[30:31]
	v_or_b32_e32 v24, 0xe00, v0
	v_cmp_gt_u32_e64 s[26:27], s33, v24
	v_lshlrev_b32_e32 v28, 2, v24
                                        ; implicit-def: $vgpr24
	s_and_saveexec_b64 s[36:37], s[26:27]
	s_cbranch_execz .LBB202_33
; %bb.32:
	v_mov_b32_e32 v25, s48
	v_add_co_u32_e64 v24, s[30:31], s7, v28
	v_addc_co_u32_e64 v25, s[30:31], 0, v25, s[30:31]
	flat_load_dword v24, v[24:25]
.LBB202_33:
	s_or_b64 exec, exec, s[36:37]
	v_lshlrev_b32_e32 v29, 2, v0
	s_waitcnt vmcnt(0) lgkmcnt(0)
	ds_write2st64_b32 v29, v1, v3 offset1:4
	ds_write2st64_b32 v29, v12, v13 offset0:8 offset1:12
	ds_write2st64_b32 v29, v14, v15 offset0:16 offset1:20
	;; [unrolled: 1-line block ×6, first 2 shown]
	ds_write_b32 v29, v24 offset:14336
	v_mad_u32_u24 v3, v0, 56, v29
	s_waitcnt lgkmcnt(0)
	s_barrier
	ds_read2_b32 v[24:25], v3 offset1:1
	ds_read2_b32 v[22:23], v3 offset0:2 offset1:3
	ds_read2_b32 v[20:21], v3 offset0:4 offset1:5
	;; [unrolled: 1-line block ×6, first 2 shown]
	ds_read_b32 v1, v3 offset:56
	s_waitcnt lgkmcnt(0)
	s_barrier
	s_waitcnt lgkmcnt(0)
                                        ; implicit-def: $vgpr30
	s_and_saveexec_b64 s[30:31], vcc
	s_cbranch_execnz .LBB202_57
; %bb.34:
	s_or_b64 exec, exec, s[30:31]
                                        ; implicit-def: $vgpr31
	s_and_saveexec_b64 s[30:31], s[0:1]
	s_cbranch_execnz .LBB202_58
.LBB202_35:
	s_or_b64 exec, exec, s[30:31]
                                        ; implicit-def: $vgpr32
	s_and_saveexec_b64 s[0:1], s[2:3]
	s_cbranch_execnz .LBB202_59
.LBB202_36:
	s_or_b64 exec, exec, s[0:1]
                                        ; implicit-def: $vgpr33
	s_and_saveexec_b64 s[0:1], s[4:5]
	s_cbranch_execnz .LBB202_60
.LBB202_37:
	s_or_b64 exec, exec, s[0:1]
                                        ; implicit-def: $vgpr34
	s_and_saveexec_b64 s[0:1], s[28:29]
	s_cbranch_execnz .LBB202_61
.LBB202_38:
	s_or_b64 exec, exec, s[0:1]
                                        ; implicit-def: $vgpr4
	s_and_saveexec_b64 s[0:1], s[8:9]
	s_cbranch_execnz .LBB202_62
.LBB202_39:
	s_or_b64 exec, exec, s[0:1]
                                        ; implicit-def: $vgpr5
	s_and_saveexec_b64 s[0:1], s[10:11]
	s_cbranch_execnz .LBB202_63
.LBB202_40:
	s_or_b64 exec, exec, s[0:1]
                                        ; implicit-def: $vgpr6
	s_and_saveexec_b64 s[0:1], s[12:13]
	s_cbranch_execnz .LBB202_64
.LBB202_41:
	s_or_b64 exec, exec, s[0:1]
                                        ; implicit-def: $vgpr7
	s_and_saveexec_b64 s[0:1], s[14:15]
	s_cbranch_execnz .LBB202_65
.LBB202_42:
	s_or_b64 exec, exec, s[0:1]
                                        ; implicit-def: $vgpr8
	s_and_saveexec_b64 s[0:1], s[16:17]
	s_cbranch_execnz .LBB202_66
.LBB202_43:
	s_or_b64 exec, exec, s[0:1]
                                        ; implicit-def: $vgpr9
	s_and_saveexec_b64 s[0:1], s[18:19]
	s_cbranch_execnz .LBB202_67
.LBB202_44:
	s_or_b64 exec, exec, s[0:1]
                                        ; implicit-def: $vgpr10
	s_and_saveexec_b64 s[0:1], s[20:21]
	s_cbranch_execnz .LBB202_68
.LBB202_45:
	s_or_b64 exec, exec, s[0:1]
                                        ; implicit-def: $vgpr11
	s_and_saveexec_b64 s[0:1], s[22:23]
	s_cbranch_execnz .LBB202_69
.LBB202_46:
	s_or_b64 exec, exec, s[0:1]
                                        ; implicit-def: $vgpr26
	s_and_saveexec_b64 s[0:1], s[24:25]
	s_cbranch_execnz .LBB202_70
.LBB202_47:
	s_or_b64 exec, exec, s[0:1]
                                        ; implicit-def: $vgpr27
	s_and_saveexec_b64 s[0:1], s[26:27]
	s_cbranch_execz .LBB202_49
.LBB202_48:
	v_mov_b32_e32 v27, s62
	v_add_co_u32_e32 v36, vcc, s49, v28
	v_addc_co_u32_e32 v37, vcc, 0, v27, vcc
	flat_load_dword v27, v[36:37]
.LBB202_49:
	s_or_b64 exec, exec, s[0:1]
	s_waitcnt vmcnt(0) lgkmcnt(0)
	ds_write2st64_b32 v29, v30, v31 offset1:4
	ds_write2st64_b32 v29, v32, v33 offset0:8 offset1:12
	ds_write2st64_b32 v29, v34, v4 offset0:16 offset1:20
	;; [unrolled: 1-line block ×6, first 2 shown]
	ds_write_b32 v29, v27 offset:14336
	v_mov_b32_e32 v4, v2
	s_waitcnt lgkmcnt(0)
	s_barrier
.LBB202_50:
	v_lshlrev_b32_e32 v4, 2, v4
	ds_read2_b32 v[50:51], v3 offset1:2
	ds_read2_b32 v[46:47], v3 offset0:4 offset1:6
	ds_read2_b32 v[44:45], v3 offset0:8 offset1:10
	;; [unrolled: 1-line block ×6, first 2 shown]
	ds_read_b32 v62, v4 offset:52
	s_cmp_eq_u64 s[38:39], 0
	s_cselect_b64 s[36:37], -1, 0
	s_cmp_lg_u64 s[38:39], 0
	s_mov_b64 s[0:1], 0
	s_cselect_b64 s[4:5], -1, 0
	s_and_b64 vcc, exec, s[40:41]
	s_waitcnt lgkmcnt(0)
	s_barrier
	s_cbranch_vccz .LBB202_56
; %bb.51:
	s_and_b64 vcc, exec, s[4:5]
	s_cbranch_vccz .LBB202_71
; %bb.52:
	v_mov_b32_e32 v3, s48
	v_add_co_u32_e64 v4, vcc, -4, s7
	v_addc_co_u32_e32 v5, vcc, -1, v3, vcc
	flat_load_dword v3, v[4:5]
	v_lshlrev_b32_e32 v4, 2, v0
	v_cmp_ne_u32_e32 vcc, 0, v0
	ds_write_b32 v4, v1
	s_waitcnt lgkmcnt(0)
	s_barrier
	s_and_saveexec_b64 s[0:1], vcc
	s_cbranch_execz .LBB202_54
; %bb.53:
	s_waitcnt vmcnt(0)
	v_add_u32_e32 v3, -4, v4
	ds_read_b32 v3, v3
.LBB202_54:
	s_or_b64 exec, exec, s[0:1]
	v_cvt_i32_f32_e32 v4, v13
	s_mov_b32 s0, 0x66666667
	v_cvt_i32_f32_e32 v5, v12
	v_cvt_i32_f32_e32 v10, v16
	v_mul_hi_i32 v4, v4, s0
	v_lshrrev_b32_e32 v6, 31, v4
	v_ashrrev_i32_e32 v4, 2, v4
	v_add_u32_e32 v4, v4, v6
	v_cvt_i32_f32_e32 v6, v1
	v_mul_hi_i32 v5, v5, s0
	v_lshrrev_b32_e32 v7, 31, v5
	v_ashrrev_i32_e32 v5, 2, v5
	v_mul_hi_i32 v6, v6, s0
	v_add_u32_e32 v5, v5, v7
	v_cvt_i32_f32_e32 v7, v15
	v_lshrrev_b32_e32 v8, 31, v6
	v_ashrrev_i32_e32 v6, 2, v6
	v_add_u32_e32 v6, v6, v8
	v_cvt_i32_f32_e32 v8, v17
	v_mul_hi_i32 v7, v7, s0
	v_lshrrev_b32_e32 v9, 31, v7
	v_ashrrev_i32_e32 v7, 2, v7
	v_mul_hi_i32 v8, v8, s0
	v_add_u32_e32 v7, v7, v9
	v_lshrrev_b32_e32 v9, 31, v8
	v_ashrrev_i32_e32 v8, 2, v8
	v_add_u32_e32 v8, v8, v9
	v_cvt_i32_f32_e32 v9, v14
	v_mul_hi_i32 v10, v10, s0
	v_lshrrev_b32_e32 v11, 31, v10
	v_ashrrev_i32_e32 v10, 2, v10
	v_mul_hi_i32 v9, v9, s0
	v_add_u32_e32 v10, v10, v11
	v_cvt_i32_f32_e32 v11, v19
	v_lshrrev_b32_e32 v26, 31, v9
	v_ashrrev_i32_e32 v9, 2, v9
	v_add_u32_e32 v9, v9, v26
	v_cvt_i32_f32_e32 v26, v21
	v_mul_hi_i32 v11, v11, s0
	v_lshrrev_b32_e32 v27, 31, v11
	v_ashrrev_i32_e32 v11, 2, v11
	v_mul_hi_i32 v26, v26, s0
	v_add_u32_e32 v11, v11, v27
	v_lshrrev_b32_e32 v27, 31, v26
	v_cvt_i32_f32_e32 v28, v20
	v_ashrrev_i32_e32 v26, 2, v26
	v_add_u32_e32 v26, v26, v27
	v_cvt_i32_f32_e32 v27, v18
	v_mul_hi_i32 v28, v28, s0
	v_lshrrev_b32_e32 v29, 31, v28
	v_ashrrev_i32_e32 v28, 2, v28
	v_mul_hi_i32 v27, v27, s0
	v_add_u32_e32 v28, v28, v29
	v_cvt_i32_f32_e32 v29, v23
	v_lshrrev_b32_e32 v30, 31, v27
	v_ashrrev_i32_e32 v27, 2, v27
	v_add_u32_e32 v27, v27, v30
	v_cvt_i32_f32_e32 v30, v25
	v_mul_hi_i32 v29, v29, s0
	v_lshrrev_b32_e32 v31, 31, v29
	v_ashrrev_i32_e32 v29, 2, v29
	v_mul_hi_i32 v30, v30, s0
	v_add_u32_e32 v29, v29, v31
	v_lshrrev_b32_e32 v31, 31, v30
	v_cvt_i32_f32_e32 v32, v24
	v_ashrrev_i32_e32 v30, 2, v30
	v_add_u32_e32 v30, v30, v31
	v_cvt_i32_f32_e32 v31, v22
	v_mul_hi_i32 v32, v32, s0
	v_lshrrev_b32_e32 v33, 31, v32
	v_ashrrev_i32_e32 v32, 2, v32
	v_mul_hi_i32 v31, v31, s0
	v_add_u32_e32 v38, v32, v33
	v_lshrrev_b32_e32 v32, 31, v31
	v_ashrrev_i32_e32 v31, 2, v31
	v_add_u32_e32 v31, v31, v32
	v_cmp_ne_u32_e32 vcc, v30, v38
	v_cndmask_b32_e64 v39, 0, 1, vcc
	v_cmp_ne_u32_e32 vcc, v30, v31
	v_cndmask_b32_e64 v36, 0, 1, vcc
	v_cmp_ne_u32_e32 vcc, v31, v29
	v_cndmask_b32_e64 v37, 0, 1, vcc
	v_cmp_ne_u32_e32 vcc, v28, v29
	v_cndmask_b32_e64 v34, 0, 1, vcc
	v_cmp_ne_u32_e32 vcc, v26, v28
	v_cndmask_b32_e64 v35, 0, 1, vcc
	v_cmp_ne_u32_e32 vcc, v26, v27
	v_cndmask_b32_e64 v32, 0, 1, vcc
	v_cmp_ne_u32_e32 vcc, v27, v11
	v_cndmask_b32_e64 v33, 0, 1, vcc
	v_cmp_ne_u32_e32 vcc, v10, v11
	v_cndmask_b32_e64 v28, 0, 1, vcc
	v_cmp_ne_u32_e32 vcc, v8, v10
	s_waitcnt vmcnt(0) lgkmcnt(0)
	v_cvt_i32_f32_e32 v3, v3
	v_cndmask_b32_e64 v29, 0, 1, vcc
	v_cmp_ne_u32_e32 vcc, v8, v9
	v_cndmask_b32_e64 v26, 0, 1, vcc
	v_cmp_ne_u32_e32 vcc, v9, v7
	;; [unrolled: 2-line block ×4, first 2 shown]
	v_mul_hi_i32 v3, v3, s0
	v_cndmask_b32_e64 v5, 0, 1, vcc
	v_cmp_ne_u32_e32 vcc, v4, v6
	v_lshrrev_b32_e32 v4, 31, v3
	v_ashrrev_i32_e32 v3, 2, v3
	v_add_u32_e32 v3, v3, v4
	v_cndmask_b32_e64 v60, 0, 1, vcc
	v_cmp_ne_u32_e64 s[8:9], v3, v38
	s_mov_b64 s[0:1], -1
.LBB202_55:
                                        ; implicit-def: $sgpr10
	s_branch .LBB202_75
.LBB202_56:
                                        ; implicit-def: $sgpr8_sgpr9
                                        ; implicit-def: $vgpr60
                                        ; implicit-def: $vgpr5
                                        ; implicit-def: $vgpr61
                                        ; implicit-def: $vgpr27
                                        ; implicit-def: $vgpr26
                                        ; implicit-def: $vgpr29
                                        ; implicit-def: $vgpr28
                                        ; implicit-def: $vgpr33
                                        ; implicit-def: $vgpr32
                                        ; implicit-def: $vgpr35
                                        ; implicit-def: $vgpr34
                                        ; implicit-def: $vgpr37
                                        ; implicit-def: $vgpr36
                                        ; implicit-def: $vgpr39
                                        ; implicit-def: $vgpr31
                                        ; implicit-def: $sgpr10
	s_cbranch_execnz .LBB202_76
	s_branch .LBB202_111
.LBB202_57:
	v_mov_b32_e32 v31, s62
	v_add_co_u32_e32 v30, vcc, s49, v29
	v_addc_co_u32_e32 v31, vcc, 0, v31, vcc
	flat_load_dword v30, v[30:31]
	s_or_b64 exec, exec, s[30:31]
                                        ; implicit-def: $vgpr31
	s_and_saveexec_b64 s[30:31], s[0:1]
	s_cbranch_execz .LBB202_35
.LBB202_58:
	v_mov_b32_e32 v31, s62
	v_add_co_u32_e32 v32, vcc, s49, v29
	v_addc_co_u32_e32 v33, vcc, 0, v31, vcc
	flat_load_dword v31, v[32:33] offset:1024
	s_or_b64 exec, exec, s[30:31]
                                        ; implicit-def: $vgpr32
	s_and_saveexec_b64 s[0:1], s[2:3]
	s_cbranch_execz .LBB202_36
.LBB202_59:
	v_mov_b32_e32 v33, s62
	v_add_co_u32_e32 v32, vcc, s49, v29
	v_addc_co_u32_e32 v33, vcc, 0, v33, vcc
	flat_load_dword v32, v[32:33] offset:2048
	s_or_b64 exec, exec, s[0:1]
                                        ; implicit-def: $vgpr33
	s_and_saveexec_b64 s[0:1], s[4:5]
	s_cbranch_execz .LBB202_37
.LBB202_60:
	v_mov_b32_e32 v33, s62
	v_add_co_u32_e32 v34, vcc, s49, v29
	v_addc_co_u32_e32 v35, vcc, 0, v33, vcc
	flat_load_dword v33, v[34:35] offset:3072
	s_or_b64 exec, exec, s[0:1]
                                        ; implicit-def: $vgpr34
	s_and_saveexec_b64 s[0:1], s[28:29]
	s_cbranch_execz .LBB202_38
.LBB202_61:
	v_mov_b32_e32 v35, s62
	v_add_co_u32_e32 v34, vcc, s49, v4
	v_addc_co_u32_e32 v35, vcc, 0, v35, vcc
	flat_load_dword v34, v[34:35]
	s_or_b64 exec, exec, s[0:1]
                                        ; implicit-def: $vgpr4
	s_and_saveexec_b64 s[0:1], s[8:9]
	s_cbranch_execz .LBB202_39
.LBB202_62:
	v_mov_b32_e32 v35, s62
	v_add_co_u32_e32 v4, vcc, s49, v5
	v_addc_co_u32_e32 v5, vcc, 0, v35, vcc
	flat_load_dword v4, v[4:5]
	s_or_b64 exec, exec, s[0:1]
                                        ; implicit-def: $vgpr5
	s_and_saveexec_b64 s[0:1], s[10:11]
	s_cbranch_execz .LBB202_40
.LBB202_63:
	v_mov_b32_e32 v5, s62
	v_add_co_u32_e32 v36, vcc, s49, v6
	v_addc_co_u32_e32 v37, vcc, 0, v5, vcc
	flat_load_dword v5, v[36:37]
	s_or_b64 exec, exec, s[0:1]
                                        ; implicit-def: $vgpr6
	s_and_saveexec_b64 s[0:1], s[12:13]
	s_cbranch_execz .LBB202_41
.LBB202_64:
	v_mov_b32_e32 v35, s62
	v_add_co_u32_e32 v6, vcc, s49, v7
	v_addc_co_u32_e32 v7, vcc, 0, v35, vcc
	flat_load_dword v6, v[6:7]
	s_or_b64 exec, exec, s[0:1]
                                        ; implicit-def: $vgpr7
	s_and_saveexec_b64 s[0:1], s[14:15]
	s_cbranch_execz .LBB202_42
.LBB202_65:
	v_mov_b32_e32 v7, s62
	v_add_co_u32_e32 v36, vcc, s49, v8
	v_addc_co_u32_e32 v37, vcc, 0, v7, vcc
	flat_load_dword v7, v[36:37]
	s_or_b64 exec, exec, s[0:1]
                                        ; implicit-def: $vgpr8
	s_and_saveexec_b64 s[0:1], s[16:17]
	s_cbranch_execz .LBB202_43
.LBB202_66:
	v_mov_b32_e32 v35, s62
	v_add_co_u32_e32 v8, vcc, s49, v9
	v_addc_co_u32_e32 v9, vcc, 0, v35, vcc
	flat_load_dword v8, v[8:9]
	s_or_b64 exec, exec, s[0:1]
                                        ; implicit-def: $vgpr9
	s_and_saveexec_b64 s[0:1], s[18:19]
	s_cbranch_execz .LBB202_44
.LBB202_67:
	v_mov_b32_e32 v9, s62
	v_add_co_u32_e32 v36, vcc, s49, v10
	v_addc_co_u32_e32 v37, vcc, 0, v9, vcc
	flat_load_dword v9, v[36:37]
	s_or_b64 exec, exec, s[0:1]
                                        ; implicit-def: $vgpr10
	s_and_saveexec_b64 s[0:1], s[20:21]
	s_cbranch_execz .LBB202_45
.LBB202_68:
	v_mov_b32_e32 v35, s62
	v_add_co_u32_e32 v10, vcc, s49, v11
	v_addc_co_u32_e32 v11, vcc, 0, v35, vcc
	flat_load_dword v10, v[10:11]
	s_or_b64 exec, exec, s[0:1]
                                        ; implicit-def: $vgpr11
	s_and_saveexec_b64 s[0:1], s[22:23]
	s_cbranch_execz .LBB202_46
.LBB202_69:
	v_mov_b32_e32 v11, s62
	v_add_co_u32_e32 v36, vcc, s49, v26
	v_addc_co_u32_e32 v37, vcc, 0, v11, vcc
	flat_load_dword v11, v[36:37]
	s_or_b64 exec, exec, s[0:1]
                                        ; implicit-def: $vgpr26
	s_and_saveexec_b64 s[0:1], s[24:25]
	s_cbranch_execz .LBB202_47
.LBB202_70:
	v_mov_b32_e32 v35, s62
	v_add_co_u32_e32 v26, vcc, s49, v27
	v_addc_co_u32_e32 v27, vcc, 0, v35, vcc
	flat_load_dword v26, v[26:27]
	s_or_b64 exec, exec, s[0:1]
                                        ; implicit-def: $vgpr27
	s_and_saveexec_b64 s[0:1], s[26:27]
	s_cbranch_execnz .LBB202_48
	s_branch .LBB202_49
.LBB202_71:
                                        ; implicit-def: $sgpr8_sgpr9
                                        ; implicit-def: $vgpr60
                                        ; implicit-def: $vgpr5
                                        ; implicit-def: $vgpr61
                                        ; implicit-def: $vgpr27
                                        ; implicit-def: $vgpr26
                                        ; implicit-def: $vgpr29
                                        ; implicit-def: $vgpr28
                                        ; implicit-def: $vgpr33
                                        ; implicit-def: $vgpr32
                                        ; implicit-def: $vgpr35
                                        ; implicit-def: $vgpr34
                                        ; implicit-def: $vgpr37
                                        ; implicit-def: $vgpr36
                                        ; implicit-def: $vgpr39
	s_cbranch_execz .LBB202_55
; %bb.72:
	v_cvt_i32_f32_e32 v4, v13
	v_cvt_i32_f32_e32 v6, v12
	s_mov_b32 s10, 0x66666667
	v_cvt_i32_f32_e32 v10, v16
	v_mul_hi_i32 v4, v4, s10
	v_lshrrev_b32_e32 v5, 31, v4
	v_ashrrev_i32_e32 v4, 2, v4
	v_add_u32_e32 v7, v4, v5
	v_cvt_i32_f32_e32 v4, v1
	v_mul_hi_i32 v5, v6, s10
	v_lshrrev_b32_e32 v6, 31, v5
	v_ashrrev_i32_e32 v5, 2, v5
	v_add_u32_e32 v5, v5, v6
	v_cvt_i32_f32_e32 v6, v15
	v_mul_hi_i32 v4, v4, s10
	v_lshrrev_b32_e32 v8, 31, v4
	v_ashrrev_i32_e32 v4, 2, v4
	v_add_u32_e32 v8, v4, v8
	v_mul_hi_i32 v4, v6, s10
	v_cvt_i32_f32_e32 v6, v17
	v_lshrrev_b32_e32 v9, 31, v4
	v_ashrrev_i32_e32 v4, 2, v4
	v_add_u32_e32 v9, v4, v9
	v_mul_hi_i32 v4, v6, s10
	v_lshrrev_b32_e32 v6, 31, v4
	v_ashrrev_i32_e32 v4, 2, v4
	v_add_u32_e32 v6, v4, v6
	v_cvt_i32_f32_e32 v4, v14
	v_mul_hi_i32 v10, v10, s10
	v_lshrrev_b32_e32 v11, 31, v10
	v_ashrrev_i32_e32 v10, 2, v10
	v_add_u32_e32 v10, v10, v11
	v_cvt_i32_f32_e32 v11, v19
	v_mul_hi_i32 v4, v4, s10
	v_lshrrev_b32_e32 v26, 31, v4
	v_ashrrev_i32_e32 v4, 2, v4
	v_add_u32_e32 v27, v4, v26
	v_mul_hi_i32 v4, v11, s10
	v_cvt_i32_f32_e32 v11, v21
	v_cvt_i32_f32_e32 v28, v20
	v_lshrrev_b32_e32 v26, 31, v4
	v_ashrrev_i32_e32 v4, 2, v4
	v_add_u32_e32 v26, v4, v26
	v_mul_hi_i32 v4, v11, s10
	v_lshrrev_b32_e32 v11, 31, v4
	v_ashrrev_i32_e32 v4, 2, v4
	v_add_u32_e32 v11, v4, v11
	v_cvt_i32_f32_e32 v4, v18
	v_mul_hi_i32 v28, v28, s10
	v_lshrrev_b32_e32 v29, 31, v28
	v_ashrrev_i32_e32 v28, 2, v28
	v_add_u32_e32 v28, v28, v29
	v_cvt_i32_f32_e32 v29, v23
	v_mul_hi_i32 v4, v4, s10
	v_lshrrev_b32_e32 v30, 31, v4
	v_ashrrev_i32_e32 v4, 2, v4
	v_add_u32_e32 v30, v4, v30
	v_mul_hi_i32 v4, v29, s10
	v_cvt_i32_f32_e32 v29, v25
	v_cvt_i32_f32_e32 v32, v24
	v_lshrrev_b32_e32 v31, 31, v4
	v_ashrrev_i32_e32 v4, 2, v4
	v_add_u32_e32 v31, v4, v31
	v_mul_hi_i32 v4, v29, s10
	v_cvt_i32_f32_e32 v33, v22
	v_lshrrev_b32_e32 v29, 31, v4
	v_ashrrev_i32_e32 v4, 2, v4
	v_add_u32_e32 v29, v4, v29
	v_mul_hi_i32 v4, v32, s10
	v_lshrrev_b32_e32 v32, 31, v4
	v_ashrrev_i32_e32 v4, 2, v4
	v_add_u32_e32 v4, v4, v32
	v_mul_hi_i32 v32, v33, s10
	v_lshrrev_b32_e32 v33, 31, v32
	v_ashrrev_i32_e32 v32, 2, v32
	v_add_u32_e32 v32, v32, v33
	v_cmp_ne_u32_e32 vcc, v29, v4
	v_cndmask_b32_e64 v39, 0, 1, vcc
	v_cmp_ne_u32_e32 vcc, v29, v32
	v_cndmask_b32_e64 v36, 0, 1, vcc
	v_cmp_ne_u32_e32 vcc, v32, v31
	v_cndmask_b32_e64 v37, 0, 1, vcc
	v_cmp_ne_u32_e32 vcc, v28, v31
	v_cndmask_b32_e64 v34, 0, 1, vcc
	v_cmp_ne_u32_e32 vcc, v11, v28
	v_cndmask_b32_e64 v35, 0, 1, vcc
	v_cmp_ne_u32_e32 vcc, v11, v30
	v_cndmask_b32_e64 v32, 0, 1, vcc
	v_cmp_ne_u32_e32 vcc, v30, v26
	v_cndmask_b32_e64 v33, 0, 1, vcc
	v_cmp_ne_u32_e32 vcc, v10, v26
	v_cndmask_b32_e64 v28, 0, 1, vcc
	v_cmp_ne_u32_e32 vcc, v6, v10
	v_cndmask_b32_e64 v29, 0, 1, vcc
	v_cmp_ne_u32_e32 vcc, v6, v27
	v_cndmask_b32_e64 v26, 0, 1, vcc
	v_cmp_ne_u32_e32 vcc, v27, v9
	v_cndmask_b32_e64 v27, 0, 1, vcc
	v_cmp_ne_u32_e32 vcc, v5, v9
	v_cndmask_b32_e64 v61, 0, 1, vcc
	v_cmp_ne_u32_e32 vcc, v7, v5
	v_cndmask_b32_e64 v5, 0, 1, vcc
	v_cmp_ne_u32_e32 vcc, v7, v8
	v_lshlrev_b32_e32 v3, 2, v0
	v_cndmask_b32_e64 v60, 0, 1, vcc
	v_cmp_ne_u32_e32 vcc, 0, v0
	ds_write_b32 v3, v1
	s_waitcnt lgkmcnt(0)
	s_barrier
	s_waitcnt lgkmcnt(0)
                                        ; implicit-def: $sgpr8_sgpr9
	s_and_saveexec_b64 s[2:3], vcc
	s_xor_b64 s[2:3], exec, s[2:3]
	s_cbranch_execz .LBB202_74
; %bb.73:
	v_add_u32_e32 v3, -4, v3
	ds_read_b32 v3, v3
	s_or_b64 s[0:1], s[0:1], exec
	s_waitcnt lgkmcnt(0)
	v_cvt_i32_f32_e32 v3, v3
	v_mul_hi_i32 v3, v3, s10
	v_lshrrev_b32_e32 v6, 31, v3
	v_ashrrev_i32_e32 v3, 2, v3
	v_add_u32_e32 v3, v3, v6
	v_cmp_ne_u32_e32 vcc, v3, v4
	s_and_b64 s[8:9], vcc, exec
.LBB202_74:
	s_or_b64 exec, exec, s[2:3]
	s_mov_b32 s10, 1
.LBB202_75:
	v_mov_b32_e32 v31, v5
	s_branch .LBB202_111
.LBB202_76:
	s_mul_hi_u32 s3, s38, 0xfffff100
	s_mul_i32 s2, s39, 0xfffff100
	s_sub_i32 s3, s3, s38
	s_add_i32 s3, s3, s2
	s_mul_i32 s2, s38, 0xfffff100
	s_add_u32 s2, s2, s56
	s_addc_u32 s3, s3, s57
	s_and_b64 vcc, exec, s[4:5]
	v_mad_u32_u24 v30, v0, 15, 14
	s_cbranch_vccz .LBB202_216
; %bb.77:
	v_mov_b32_e32 v3, s48
	v_add_co_u32_e64 v4, vcc, -4, s7
	v_addc_co_u32_e32 v5, vcc, -1, v3, vcc
	flat_load_dword v6, v[4:5]
	v_mov_b32_e32 v5, 0
	v_mov_b32_e32 v31, v5
	v_lshlrev_b32_e32 v3, 2, v0
	v_cmp_gt_u64_e32 vcc, s[2:3], v[30:31]
	v_mov_b32_e32 v60, 0
	ds_write_b32 v3, v1
	s_and_saveexec_b64 s[0:1], vcc
	s_cbranch_execz .LBB202_79
; %bb.78:
	v_cvt_i32_f32_e32 v4, v13
	v_cvt_i32_f32_e32 v7, v1
	s_mov_b32 s4, 0x66666667
	v_mul_hi_i32 v4, v4, s4
	v_lshrrev_b32_e32 v8, 31, v4
	v_ashrrev_i32_e32 v4, 2, v4
	v_mul_hi_i32 v7, v7, s4
	v_add_u32_e32 v4, v4, v8
	v_lshrrev_b32_e32 v8, 31, v7
	v_ashrrev_i32_e32 v7, 2, v7
	v_add_u32_e32 v7, v7, v8
	v_cmp_ne_u32_e32 vcc, v4, v7
	v_cndmask_b32_e64 v60, 0, 1, vcc
.LBB202_79:
	s_or_b64 exec, exec, s[0:1]
	v_add_u32_e32 v4, 13, v2
	v_cmp_gt_u64_e32 vcc, s[2:3], v[4:5]
	s_and_saveexec_b64 s[0:1], vcc
	s_cbranch_execz .LBB202_81
; %bb.80:
	v_cvt_i32_f32_e32 v4, v12
	v_cvt_i32_f32_e32 v5, v13
	s_mov_b32 s4, 0x66666667
	v_mul_hi_i32 v4, v4, s4
	v_lshrrev_b32_e32 v7, 31, v4
	v_ashrrev_i32_e32 v4, 2, v4
	v_mul_hi_i32 v5, v5, s4
	v_add_u32_e32 v4, v4, v7
	v_lshrrev_b32_e32 v7, 31, v5
	v_ashrrev_i32_e32 v5, 2, v5
	v_add_u32_e32 v5, v5, v7
	v_cmp_ne_u32_e32 vcc, v4, v5
	v_cndmask_b32_e64 v5, 0, 1, vcc
.LBB202_81:
	s_or_b64 exec, exec, s[0:1]
	v_add_u32_e32 v26, 12, v2
	v_mov_b32_e32 v27, 0
	v_cmp_gt_u64_e32 vcc, s[2:3], v[26:27]
	v_mov_b32_e32 v61, 0
	s_and_saveexec_b64 s[0:1], vcc
	s_cbranch_execz .LBB202_83
; %bb.82:
	v_cvt_i32_f32_e32 v4, v15
	v_cvt_i32_f32_e32 v7, v12
	s_mov_b32 s4, 0x66666667
	v_mul_hi_i32 v4, v4, s4
	v_lshrrev_b32_e32 v8, 31, v4
	v_ashrrev_i32_e32 v4, 2, v4
	v_mul_hi_i32 v7, v7, s4
	v_add_u32_e32 v4, v4, v8
	v_lshrrev_b32_e32 v8, 31, v7
	v_ashrrev_i32_e32 v7, 2, v7
	v_add_u32_e32 v7, v7, v8
	v_cmp_ne_u32_e32 vcc, v4, v7
	v_cndmask_b32_e64 v61, 0, 1, vcc
.LBB202_83:
	s_or_b64 exec, exec, s[0:1]
	v_add_u32_e32 v26, 11, v2
	v_cmp_gt_u64_e32 vcc, s[2:3], v[26:27]
	s_and_saveexec_b64 s[0:1], vcc
	s_cbranch_execz .LBB202_85
; %bb.84:
	v_cvt_i32_f32_e32 v4, v14
	v_cvt_i32_f32_e32 v7, v15
	s_mov_b32 s4, 0x66666667
	v_mul_hi_i32 v4, v4, s4
	v_lshrrev_b32_e32 v8, 31, v4
	v_ashrrev_i32_e32 v4, 2, v4
	v_mul_hi_i32 v7, v7, s4
	v_add_u32_e32 v4, v4, v8
	v_lshrrev_b32_e32 v8, 31, v7
	v_ashrrev_i32_e32 v7, 2, v7
	v_add_u32_e32 v7, v7, v8
	v_cmp_ne_u32_e32 vcc, v4, v7
	v_cndmask_b32_e64 v27, 0, 1, vcc
.LBB202_85:
	s_or_b64 exec, exec, s[0:1]
	v_add_u32_e32 v28, 10, v2
	v_mov_b32_e32 v29, 0
	v_cmp_gt_u64_e32 vcc, s[2:3], v[28:29]
	v_mov_b32_e32 v26, 0
	;; [unrolled: 42-line block ×6, first 2 shown]
	s_and_saveexec_b64 s[0:1], vcc
	s_cbranch_execz .LBB202_103
; %bb.102:
	v_cvt_i32_f32_e32 v4, v25
	v_cvt_i32_f32_e32 v7, v22
	s_mov_b32 s4, 0x66666667
	v_mul_hi_i32 v4, v4, s4
	v_lshrrev_b32_e32 v8, 31, v4
	v_ashrrev_i32_e32 v4, 2, v4
	v_mul_hi_i32 v7, v7, s4
	v_add_u32_e32 v4, v4, v8
	v_lshrrev_b32_e32 v8, 31, v7
	v_ashrrev_i32_e32 v7, 2, v7
	v_add_u32_e32 v7, v7, v8
	v_cmp_ne_u32_e32 vcc, v4, v7
	v_cndmask_b32_e64 v36, 0, 1, vcc
.LBB202_103:
	s_or_b64 exec, exec, s[0:1]
	v_add_u32_e32 v38, 1, v2
	v_cmp_gt_u64_e32 vcc, s[2:3], v[38:39]
	s_and_saveexec_b64 s[0:1], vcc
	s_cbranch_execz .LBB202_105
; %bb.104:
	v_cvt_i32_f32_e32 v4, v24
	v_cvt_i32_f32_e32 v7, v25
	s_mov_b32 s4, 0x66666667
	v_mul_hi_i32 v4, v4, s4
	v_lshrrev_b32_e32 v8, 31, v4
	v_ashrrev_i32_e32 v4, 2, v4
	v_mul_hi_i32 v7, v7, s4
	v_add_u32_e32 v4, v4, v8
	v_lshrrev_b32_e32 v8, 31, v7
	v_ashrrev_i32_e32 v7, 2, v7
	v_add_u32_e32 v7, v7, v8
	v_cmp_ne_u32_e32 vcc, v4, v7
	v_cndmask_b32_e64 v39, 0, 1, vcc
.LBB202_105:
	s_or_b64 exec, exec, s[0:1]
	v_cmp_ne_u32_e32 vcc, 0, v0
	s_waitcnt lgkmcnt(0)
	s_barrier
	s_and_saveexec_b64 s[0:1], vcc
	s_cbranch_execz .LBB202_107
; %bb.106:
	v_add_u32_e32 v3, -4, v3
	s_waitcnt vmcnt(0)
	ds_read_b32 v6, v3
.LBB202_107:
	s_or_b64 exec, exec, s[0:1]
	v_mov_b32_e32 v3, 0
	v_cmp_gt_u64_e32 vcc, s[2:3], v[2:3]
	s_mov_b64 s[4:5], 0
	s_mov_b64 s[8:9], 0
	s_and_saveexec_b64 s[0:1], vcc
	s_cbranch_execz .LBB202_109
; %bb.108:
	s_waitcnt vmcnt(0) lgkmcnt(0)
	v_cvt_i32_f32_e32 v3, v6
	v_cvt_i32_f32_e32 v4, v24
	s_mov_b32 s7, 0x66666667
	v_mul_hi_i32 v3, v3, s7
	v_lshrrev_b32_e32 v6, 31, v3
	v_ashrrev_i32_e32 v3, 2, v3
	v_mul_hi_i32 v4, v4, s7
	v_add_u32_e32 v3, v3, v6
	v_lshrrev_b32_e32 v6, 31, v4
	v_ashrrev_i32_e32 v4, 2, v4
	v_add_u32_e32 v4, v4, v6
	v_cmp_ne_u32_e32 vcc, v3, v4
	s_and_b64 s[8:9], vcc, exec
.LBB202_109:
	s_or_b64 exec, exec, s[0:1]
	s_mov_b64 s[0:1], -1
	s_and_b64 vcc, exec, s[4:5]
	s_cbranch_vccnz .LBB202_217
.LBB202_110:
                                        ; implicit-def: $vgpr31
                                        ; implicit-def: $sgpr10
.LBB202_111:
	v_mov_b32_e32 v38, s10
	s_and_saveexec_b64 s[2:3], s[0:1]
.LBB202_112:
	v_cndmask_b32_e64 v38, 0, 1, s[8:9]
	v_mov_b32_e32 v31, v5
.LBB202_113:
	s_or_b64 exec, exec, s[2:3]
	s_cmp_eq_u64 s[46:47], 0
	v_add3_u32 v2, v39, v38, v36
	s_cselect_b64 s[38:39], -1, 0
	s_cmp_lg_u32 s6, 0
	v_add_f32_e32 v76, v50, v52
	v_cmp_eq_u32_e64 s[24:25], 0, v39
	v_cmp_eq_u32_e64 s[22:23], 0, v36
	v_cmp_eq_u32_e64 s[18:19], 0, v37
	v_add3_u32 v75, v2, v37, v34
	v_cmp_eq_u32_e64 s[20:21], 0, v34
	v_cmp_eq_u32_e64 s[16:17], 0, v35
	;; [unrolled: 1-line block ×10, first 2 shown]
	v_cmp_eq_u32_e32 vcc, 0, v60
	v_mbcnt_lo_u32_b32 v74, -1, 0
	v_lshrrev_b32_e32 v72, 6, v0
	v_or_b32_e32 v73, 63, v0
	s_cbranch_scc0 .LBB202_140
; %bb.114:
	v_cndmask_b32_e64 v2, v52, v76, s[24:25]
	v_add_f32_e32 v2, v51, v2
	v_cndmask_b32_e64 v2, v51, v2, s[22:23]
	v_add_f32_e32 v2, v53, v2
	;; [unrolled: 2-line block ×11, first 2 shown]
	v_cndmask_b32_e64 v2, v40, v2, s[2:3]
	v_add3_u32 v3, v75, v35, v32
	v_add_f32_e32 v2, v62, v2
	v_add3_u32 v3, v3, v33, v28
	v_cndmask_b32_e64 v2, v62, v2, s[0:1]
	v_add3_u32 v3, v3, v29, v26
	v_add_f32_e32 v2, v41, v2
	v_add3_u32 v3, v3, v27, v61
	v_cndmask_b32_e32 v2, v41, v2, vcc
	v_add3_u32 v3, v3, v31, v60
	v_mbcnt_hi_u32_b32 v57, -1, v74
	s_waitcnt vmcnt(0) lgkmcnt(0)
	v_mov_b32_dpp v6, v2 row_shr:1 row_mask:0xf bank_mask:0xf
	v_and_b32_e32 v4, 15, v57
	v_add_f32_e32 v6, v2, v6
	v_cmp_eq_u32_e32 vcc, 0, v3
	v_mov_b32_dpp v5, v3 row_shr:1 row_mask:0xf bank_mask:0xf
	v_cndmask_b32_e32 v6, v2, v6, vcc
	v_cmp_eq_u32_e32 vcc, 0, v4
	v_cndmask_b32_e64 v5, v5, 0, vcc
	v_cndmask_b32_e32 v2, v6, v2, vcc
	v_add_u32_e32 v3, v5, v3
	v_cmp_eq_u32_e32 vcc, 0, v3
	v_mov_b32_dpp v6, v2 row_shr:2 row_mask:0xf bank_mask:0xf
	v_add_f32_e32 v6, v2, v6
	v_mov_b32_dpp v5, v3 row_shr:2 row_mask:0xf bank_mask:0xf
	v_cndmask_b32_e32 v6, v2, v6, vcc
	v_cmp_lt_u32_e32 vcc, 1, v4
	v_cndmask_b32_e32 v2, v2, v6, vcc
	v_cndmask_b32_e32 v5, 0, v5, vcc
	v_add_u32_e32 v3, v3, v5
	v_mov_b32_dpp v6, v2 row_shr:4 row_mask:0xf bank_mask:0xf
	v_add_f32_e32 v6, v2, v6
	v_cmp_eq_u32_e32 vcc, 0, v3
	v_mov_b32_dpp v5, v3 row_shr:4 row_mask:0xf bank_mask:0xf
	v_cndmask_b32_e32 v6, v2, v6, vcc
	v_cmp_lt_u32_e32 vcc, 3, v4
	v_cndmask_b32_e32 v2, v2, v6, vcc
	v_cndmask_b32_e32 v5, 0, v5, vcc
	v_add_u32_e32 v3, v5, v3
	v_mov_b32_dpp v6, v2 row_shr:8 row_mask:0xf bank_mask:0xf
	v_add_f32_e32 v6, v2, v6
	v_cmp_eq_u32_e32 vcc, 0, v3
	v_mov_b32_dpp v5, v3 row_shr:8 row_mask:0xf bank_mask:0xf
	v_cndmask_b32_e32 v6, v2, v6, vcc
	v_cmp_lt_u32_e32 vcc, 7, v4
	v_cndmask_b32_e32 v2, v2, v6, vcc
	v_cndmask_b32_e32 v4, 0, v5, vcc
	v_add_u32_e32 v3, v4, v3
	v_mov_b32_dpp v5, v2 row_bcast:15 row_mask:0xf bank_mask:0xf
	v_bfe_i32 v6, v57, 4, 1
	v_mov_b32_dpp v4, v3 row_bcast:15 row_mask:0xf bank_mask:0xf
	v_and_b32_e32 v7, 16, v57
	v_add_f32_e32 v5, v2, v5
	v_cmp_eq_u32_e32 vcc, 0, v3
	v_cndmask_b32_e32 v5, v2, v5, vcc
	v_and_b32_e32 v4, v6, v4
	v_cmp_eq_u32_e32 vcc, 0, v7
	v_add_u32_e32 v4, v4, v3
	v_cndmask_b32_e32 v3, v5, v2, vcc
	v_cmp_eq_u32_e32 vcc, 0, v4
	v_mov_b32_dpp v2, v4 row_bcast:31 row_mask:0xf bank_mask:0xf
	v_mov_b32_dpp v5, v3 row_bcast:31 row_mask:0xf bank_mask:0xf
	v_add_f32_e32 v5, v3, v5
	v_cndmask_b32_e32 v6, v3, v5, vcc
	v_cmp_lt_u32_e32 vcc, 31, v57
	v_cndmask_b32_e32 v2, 0, v2, vcc
	v_add_u32_e32 v2, v2, v4
	v_cmp_eq_u32_e64 s[26:27], v73, v0
	v_lshlrev_b32_e32 v5, 3, v72
	v_cndmask_b32_e32 v4, v3, v6, vcc
	s_and_saveexec_b64 s[30:31], s[26:27]
	s_cbranch_execz .LBB202_116
; %bb.115:
	v_cndmask_b32_e32 v3, v3, v6, vcc
	ds_write_b64 v5, v[2:3] offset:2064
.LBB202_116:
	s_or_b64 exec, exec, s[30:31]
	v_cmp_gt_u32_e32 vcc, 4, v0
	s_waitcnt lgkmcnt(0)
	s_barrier
	s_and_saveexec_b64 s[30:31], vcc
	s_cbranch_execz .LBB202_118
; %bb.117:
	v_lshlrev_b32_e32 v3, 3, v0
	ds_read_b64 v[6:7], v3 offset:2064
	v_and_b32_e32 v8, 3, v57
	v_cmp_lt_u32_e64 s[26:27], 1, v8
	s_waitcnt lgkmcnt(0)
	v_mov_b32_dpp v10, v7 row_shr:1 row_mask:0xf bank_mask:0xf
	v_add_f32_e32 v10, v7, v10
	v_cmp_eq_u32_e32 vcc, 0, v6
	v_mov_b32_dpp v9, v6 row_shr:1 row_mask:0xf bank_mask:0xf
	v_cndmask_b32_e32 v10, v7, v10, vcc
	v_cmp_eq_u32_e32 vcc, 0, v8
	v_cndmask_b32_e64 v9, v9, 0, vcc
	v_add_u32_e32 v6, v9, v6
	v_cndmask_b32_e32 v7, v10, v7, vcc
	v_cmp_eq_u32_e32 vcc, 0, v6
	v_mov_b32_dpp v9, v6 row_shr:2 row_mask:0xf bank_mask:0xf
	v_mov_b32_dpp v10, v7 row_shr:2 row_mask:0xf bank_mask:0xf
	v_add_f32_e32 v10, v7, v10
	v_cndmask_b32_e64 v8, 0, v9, s[26:27]
	s_and_b64 vcc, s[26:27], vcc
	v_add_u32_e32 v6, v8, v6
	v_cndmask_b32_e32 v7, v7, v10, vcc
	ds_write_b64 v3, v[6:7] offset:2064
.LBB202_118:
	s_or_b64 exec, exec, s[30:31]
	v_cmp_gt_u32_e32 vcc, 64, v0
	v_cmp_lt_u32_e64 s[26:27], 63, v0
	v_mov_b32_e32 v54, 0
	v_mov_b32_e32 v55, 0
	s_waitcnt lgkmcnt(0)
	s_barrier
	s_and_saveexec_b64 s[30:31], s[26:27]
	s_cbranch_execz .LBB202_120
; %bb.119:
	ds_read_b64 v[54:55], v5 offset:2056
	v_cmp_eq_u32_e64 s[26:27], 0, v2
	s_waitcnt lgkmcnt(0)
	v_add_u32_e32 v3, v54, v2
	v_add_f32_e32 v5, v4, v55
	v_cndmask_b32_e64 v4, v4, v5, s[26:27]
	v_mov_b32_e32 v2, v3
.LBB202_120:
	s_or_b64 exec, exec, s[30:31]
	v_add_u32_e32 v3, -1, v57
	v_and_b32_e32 v5, 64, v57
	v_cmp_lt_i32_e64 s[26:27], v3, v5
	v_cndmask_b32_e64 v3, v3, v57, s[26:27]
	v_lshlrev_b32_e32 v3, 2, v3
	ds_bpermute_b32 v30, v3, v2
	ds_bpermute_b32 v63, v3, v4
	v_cmp_eq_u32_e64 s[26:27], 0, v57
	s_and_saveexec_b64 s[40:41], vcc
	s_cbranch_execz .LBB202_139
; %bb.121:
	v_mov_b32_e32 v11, 0
	ds_read_b64 v[2:3], v11 offset:2088
	s_waitcnt lgkmcnt(0)
	v_readfirstlane_b32 s7, v3
	s_and_saveexec_b64 s[30:31], s[26:27]
	s_cbranch_execz .LBB202_123
; %bb.122:
	s_add_i32 s46, s6, 64
	s_mov_b32 s47, 0
	s_lshl_b64 s[48:49], s[46:47], 4
	s_add_u32 s48, s44, s48
	s_addc_u32 s49, s45, s49
	s_and_b32 s51, s7, 0xff000000
	s_mov_b32 s50, s47
	s_and_b32 s57, s7, 0xff0000
	s_mov_b32 s56, s47
	s_or_b64 s[50:51], s[56:57], s[50:51]
	s_and_b32 s57, s7, 0xff00
	s_or_b64 s[50:51], s[50:51], s[56:57]
	s_and_b32 s57, s7, 0xff
	s_or_b64 s[46:47], s[50:51], s[56:57]
	v_mov_b32_e32 v9, s47
	v_mov_b32_e32 v10, 1
	;; [unrolled: 1-line block ×3, first 2 shown]
	v_pk_mov_b32 v[4:5], s[48:49], s[48:49] op_sel:[0,1]
	;;#ASMSTART
	global_store_dwordx4 v[4:5], v[8:11] off	
s_waitcnt vmcnt(0)
	;;#ASMEND
.LBB202_123:
	s_or_b64 exec, exec, s[30:31]
	v_xad_u32 v56, v57, -1, s6
	v_add_u32_e32 v10, 64, v56
	v_lshlrev_b64 v[4:5], 4, v[10:11]
	v_mov_b32_e32 v6, s45
	v_add_co_u32_e32 v4, vcc, s44, v4
	s_mov_b32 s30, 0x70605
	v_addc_co_u32_e32 v5, vcc, v6, v5, vcc
	;;#ASMSTART
	global_load_dwordx4 v[6:9], v[4:5] off glc	
s_waitcnt vmcnt(0)
	;;#ASMEND
	v_perm_b32 v59, v7, v8, s30
	s_mov_b32 s30, 0x1000706
	v_perm_b32 v64, v7, v8, s30
	s_mov_b32 s30, 0x2010007
	v_perm_b32 v65, v7, v8, s30
	v_lshlrev_b32_e32 v59, 8, v59
	s_mov_b32 s30, 0xc0c0500
	v_alignbit_b32 v9, v7, v6, 8
	v_alignbit_b32 v58, v7, v6, 16
	v_alignbit_b32 v10, v7, v6, 24
	v_perm_b32 v7, v59, v7, s30
	v_lshlrev_b32_e32 v59, 16, v64
	v_and_b32_e32 v59, 0xff0000, v59
	v_lshlrev_b32_e32 v64, 24, v65
	v_or3_b32 v7, v7, v59, v64
	v_cmp_eq_u16_sdwa s[46:47], v8, v11 src0_sel:BYTE_0 src1_sel:DWORD
	s_and_saveexec_b64 s[30:31], s[46:47]
	s_cbranch_execz .LBB202_127
; %bb.124:
	s_mov_b64 s[46:47], 0
	v_mov_b32_e32 v10, 0
.LBB202_125:                            ; =>This Inner Loop Header: Depth=1
	;;#ASMSTART
	global_load_dwordx4 v[6:9], v[4:5] off glc	
s_waitcnt vmcnt(0)
	;;#ASMEND
	v_cmp_ne_u16_sdwa s[48:49], v8, v10 src0_sel:BYTE_0 src1_sel:DWORD
	s_or_b64 s[46:47], s[48:49], s[46:47]
	s_andn2_b64 exec, exec, s[46:47]
	s_cbranch_execnz .LBB202_125
; %bb.126:
	s_or_b64 exec, exec, s[46:47]
	s_mov_b32 s46, 0x70605
	v_perm_b32 v4, v7, v8, s46
	s_mov_b32 s46, 0x1000706
	v_perm_b32 v5, v7, v8, s46
	;; [unrolled: 2-line block ×3, first 2 shown]
	v_lshlrev_b32_e32 v4, 8, v4
	s_mov_b32 s46, 0xc0c0500
	v_lshlrev_b32_e32 v5, 16, v5
	v_alignbit_b32 v9, v7, v6, 8
	v_alignbit_b32 v58, v7, v6, 16
	;; [unrolled: 1-line block ×3, first 2 shown]
	v_perm_b32 v4, v4, v7, s46
	v_lshlrev_b32_e32 v7, 24, v11
	v_and_b32_e32 v5, 0xff0000, v5
	v_or3_b32 v7, v4, v5, v7
.LBB202_127:
	s_or_b64 exec, exec, s[30:31]
	v_and_b32_e32 v65, 63, v57
	v_cmp_ne_u32_e32 vcc, 63, v65
	v_lshlrev_b32_e32 v5, 8, v9
	v_addc_co_u32_e32 v9, vcc, 0, v57, vcc
	v_lshlrev_b32_e32 v4, 16, v58
	s_mov_b32 s48, 0x4020c0c
	v_mov_b32_e32 v64, 2
	v_lshlrev_b32_e32 v66, 2, v9
	v_perm_b32 v4, v10, v4, s48
	v_and_b32_e32 v5, 0xff00, v5
	v_and_b32_e32 v6, 0xff, v6
	v_cmp_eq_u16_sdwa s[30:31], v8, v64 src0_sel:BYTE_0 src1_sel:DWORD
	v_lshlrev_b64 v[10:11], v57, -1
	ds_bpermute_b32 v9, v66, v7
	v_or3_b32 v4, v4, v5, v6
	v_and_b32_e32 v5, s31, v11
	v_or_b32_e32 v5, 0x80000000, v5
	v_and_b32_e32 v6, s30, v10
	v_ffbl_b32_e32 v5, v5
	v_add_u32_e32 v5, 32, v5
	v_ffbl_b32_e32 v6, v6
	v_min_u32_e32 v5, v6, v5
	s_waitcnt lgkmcnt(0)
	v_add_f32_e32 v9, v7, v9
	v_cmp_eq_u32_e32 vcc, 0, v4
	v_cndmask_b32_e32 v9, v7, v9, vcc
	v_cmp_lt_u32_e32 vcc, v65, v5
	v_cmp_gt_u32_e64 s[30:31], 62, v65
	v_cndmask_b32_e32 v7, v7, v9, vcc
	v_cndmask_b32_e64 v9, 0, 1, s[30:31]
	ds_bpermute_b32 v6, v66, v4
	v_lshlrev_b32_e32 v9, 1, v9
	v_add_lshl_u32 v67, v9, v57, 2
	ds_bpermute_b32 v9, v67, v7
	v_add_u32_e32 v68, 2, v65
	s_waitcnt lgkmcnt(1)
	v_cndmask_b32_e32 v6, 0, v6, vcc
	v_add_u32_e32 v4, v6, v4
	v_cmp_eq_u32_e32 vcc, 0, v4
	s_waitcnt lgkmcnt(0)
	v_add_f32_e32 v9, v7, v9
	v_cndmask_b32_e32 v9, v7, v9, vcc
	v_cmp_gt_u32_e32 vcc, v68, v5
	v_cmp_gt_u32_e64 s[30:31], 60, v65
	v_cndmask_b32_e32 v7, v9, v7, vcc
	v_cndmask_b32_e64 v9, 0, 1, s[30:31]
	ds_bpermute_b32 v6, v67, v4
	v_lshlrev_b32_e32 v9, 2, v9
	v_add_lshl_u32 v69, v9, v57, 2
	ds_bpermute_b32 v9, v69, v7
	v_add_u32_e32 v70, 4, v65
	s_waitcnt lgkmcnt(1)
	v_cndmask_b32_e64 v6, v6, 0, vcc
	v_add_u32_e32 v4, v4, v6
	v_cmp_eq_u32_e32 vcc, 0, v4
	s_waitcnt lgkmcnt(0)
	v_add_f32_e32 v9, v7, v9
	v_cndmask_b32_e32 v9, v7, v9, vcc
	v_cmp_gt_u32_e32 vcc, v70, v5
	v_cmp_gt_u32_e64 s[30:31], 56, v65
	v_cndmask_b32_e32 v7, v9, v7, vcc
	v_cndmask_b32_e64 v9, 0, 1, s[30:31]
	ds_bpermute_b32 v6, v69, v4
	v_lshlrev_b32_e32 v9, 3, v9
	v_add_lshl_u32 v71, v9, v57, 2
	ds_bpermute_b32 v9, v71, v7
	v_add_u32_e32 v77, 8, v65
	s_waitcnt lgkmcnt(1)
	v_cndmask_b32_e64 v6, v6, 0, vcc
	;; [unrolled: 16-line block ×3, first 2 shown]
	v_add_u32_e32 v4, v4, v6
	ds_bpermute_b32 v6, v78, v4
	s_waitcnt lgkmcnt(1)
	v_add_f32_e32 v9, v7, v9
	v_cmp_eq_u32_e32 vcc, 0, v4
	v_cndmask_b32_e32 v9, v7, v9, vcc
	v_cmp_gt_u32_e32 vcc, v79, v5
	v_cmp_gt_u32_e64 s[30:31], 32, v65
	v_cndmask_b32_e32 v7, v9, v7, vcc
	v_cndmask_b32_e64 v9, 0, 1, s[30:31]
	v_lshlrev_b32_e32 v9, 5, v9
	v_add_lshl_u32 v80, v9, v57, 2
	ds_bpermute_b32 v9, v80, v7
	s_waitcnt lgkmcnt(1)
	v_cndmask_b32_e64 v6, v6, 0, vcc
	v_add_u32_e32 v4, v4, v6
	ds_bpermute_b32 v6, v80, v4
	v_add_u32_e32 v81, 32, v65
	s_waitcnt lgkmcnt(1)
	v_add_f32_e32 v9, v7, v9
	v_cmp_eq_u32_e32 vcc, 0, v4
	v_cndmask_b32_e32 v9, v7, v9, vcc
	v_cmp_gt_u32_e32 vcc, v81, v5
	s_waitcnt lgkmcnt(0)
	v_cndmask_b32_e64 v5, v6, 0, vcc
	v_cndmask_b32_e32 v7, v9, v7, vcc
	v_add_u32_e32 v6, v5, v4
	v_mov_b32_e32 v57, 0
	s_mov_b32 s49, 0x70605
	s_mov_b32 s50, 0x1000706
	;; [unrolled: 1-line block ×4, first 2 shown]
	s_branch .LBB202_129
.LBB202_128:                            ;   in Loop: Header=BB202_129 Depth=1
	s_or_b64 exec, exec, s[30:31]
	v_lshlrev_b32_e32 v58, 16, v82
	v_lshlrev_b32_e32 v9, 8, v9
	v_perm_b32 v58, v83, v58, s48
	v_and_b32_e32 v9, 0xff00, v9
	v_and_b32_e32 v6, 0xff, v6
	v_cmp_eq_u16_sdwa s[30:31], v8, v64 src0_sel:BYTE_0 src1_sel:DWORD
	ds_bpermute_b32 v59, v66, v7
	v_or3_b32 v6, v58, v9, v6
	v_and_b32_e32 v9, s31, v11
	v_or_b32_e32 v9, 0x80000000, v9
	v_and_b32_e32 v58, s30, v10
	v_ffbl_b32_e32 v9, v9
	v_add_u32_e32 v9, 32, v9
	v_ffbl_b32_e32 v58, v58
	v_min_u32_e32 v9, v58, v9
	s_waitcnt lgkmcnt(0)
	v_add_f32_e32 v59, v7, v59
	v_cmp_eq_u32_e32 vcc, 0, v6
	ds_bpermute_b32 v58, v66, v6
	v_cndmask_b32_e32 v59, v7, v59, vcc
	v_cmp_lt_u32_e32 vcc, v65, v9
	v_cndmask_b32_e32 v7, v7, v59, vcc
	ds_bpermute_b32 v59, v67, v7
	s_waitcnt lgkmcnt(1)
	v_cndmask_b32_e32 v58, 0, v58, vcc
	v_add_u32_e32 v6, v58, v6
	v_cmp_eq_u32_e32 vcc, 0, v6
	ds_bpermute_b32 v58, v67, v6
	s_waitcnt lgkmcnt(1)
	v_add_f32_e32 v59, v7, v59
	v_cndmask_b32_e32 v59, v7, v59, vcc
	v_cmp_gt_u32_e32 vcc, v68, v9
	v_cndmask_b32_e32 v7, v59, v7, vcc
	ds_bpermute_b32 v59, v69, v7
	s_waitcnt lgkmcnt(1)
	v_cndmask_b32_e64 v58, v58, 0, vcc
	v_add_u32_e32 v6, v6, v58
	v_cmp_eq_u32_e32 vcc, 0, v6
	ds_bpermute_b32 v58, v69, v6
	s_waitcnt lgkmcnt(1)
	v_add_f32_e32 v59, v7, v59
	v_cndmask_b32_e32 v59, v7, v59, vcc
	v_cmp_gt_u32_e32 vcc, v70, v9
	v_cndmask_b32_e32 v7, v59, v7, vcc
	ds_bpermute_b32 v59, v71, v7
	s_waitcnt lgkmcnt(1)
	v_cndmask_b32_e64 v58, v58, 0, vcc
	v_add_u32_e32 v6, v6, v58
	ds_bpermute_b32 v58, v71, v6
	v_cmp_eq_u32_e32 vcc, 0, v6
	s_waitcnt lgkmcnt(1)
	v_add_f32_e32 v59, v7, v59
	v_cndmask_b32_e32 v59, v7, v59, vcc
	v_cmp_gt_u32_e32 vcc, v77, v9
	v_cndmask_b32_e32 v7, v59, v7, vcc
	ds_bpermute_b32 v59, v78, v7
	s_waitcnt lgkmcnt(1)
	v_cndmask_b32_e64 v58, v58, 0, vcc
	v_add_u32_e32 v6, v6, v58
	ds_bpermute_b32 v58, v78, v6
	v_cmp_eq_u32_e32 vcc, 0, v6
	;; [unrolled: 11-line block ×3, first 2 shown]
	s_waitcnt lgkmcnt(1)
	v_add_f32_e32 v59, v7, v59
	v_cndmask_b32_e32 v59, v7, v59, vcc
	v_cmp_gt_u32_e32 vcc, v81, v9
	v_cndmask_b32_e32 v7, v59, v7, vcc
	s_waitcnt lgkmcnt(0)
	v_cndmask_b32_e64 v9, v58, 0, vcc
	v_add_f32_e32 v7, v5, v7
	v_cmp_eq_u32_e32 vcc, 0, v4
	v_subrev_u32_e32 v56, 64, v56
	v_add3_u32 v6, v6, v4, v9
	v_cndmask_b32_e32 v7, v5, v7, vcc
.LBB202_129:                            ; =>This Loop Header: Depth=1
                                        ;     Child Loop BB202_132 Depth 2
	v_cmp_ne_u16_sdwa s[30:31], v8, v64 src0_sel:BYTE_0 src1_sel:DWORD
	v_cndmask_b32_e64 v4, 0, 1, s[30:31]
	;;#ASMSTART
	;;#ASMEND
	v_cmp_ne_u32_e32 vcc, 0, v4
	v_mov_b32_e32 v5, v7
	s_cmp_lg_u64 vcc, exec
	v_mov_b32_e32 v4, v6
	s_cbranch_scc1 .LBB202_134
; %bb.130:                              ;   in Loop: Header=BB202_129 Depth=1
	v_lshlrev_b64 v[6:7], 4, v[56:57]
	v_mov_b32_e32 v8, s45
	v_add_co_u32_e32 v58, vcc, s44, v6
	v_addc_co_u32_e32 v59, vcc, v8, v7, vcc
	;;#ASMSTART
	global_load_dwordx4 v[6:9], v[58:59] off glc	
s_waitcnt vmcnt(0)
	;;#ASMEND
	v_perm_b32 v84, v7, v8, s49
	v_perm_b32 v85, v7, v8, s50
	v_lshlrev_b32_e32 v84, 8, v84
	v_alignbit_b32 v9, v7, v6, 8
	v_alignbit_b32 v82, v7, v6, 16
	;; [unrolled: 1-line block ×3, first 2 shown]
	v_perm_b32 v86, v7, v8, s51
	v_perm_b32 v7, v84, v7, s56
	v_lshlrev_b32_e32 v84, 16, v85
	v_and_b32_e32 v84, 0xff0000, v84
	v_lshlrev_b32_e32 v85, 24, v86
	v_or3_b32 v7, v7, v84, v85
	v_cmp_eq_u16_sdwa s[46:47], v8, v57 src0_sel:BYTE_0 src1_sel:DWORD
	s_and_saveexec_b64 s[30:31], s[46:47]
	s_cbranch_execz .LBB202_128
; %bb.131:                              ;   in Loop: Header=BB202_129 Depth=1
	s_mov_b64 s[46:47], 0
.LBB202_132:                            ;   Parent Loop BB202_129 Depth=1
                                        ; =>  This Inner Loop Header: Depth=2
	;;#ASMSTART
	global_load_dwordx4 v[6:9], v[58:59] off glc	
s_waitcnt vmcnt(0)
	;;#ASMEND
	v_cmp_ne_u16_sdwa s[62:63], v8, v57 src0_sel:BYTE_0 src1_sel:DWORD
	s_or_b64 s[46:47], s[62:63], s[46:47]
	s_andn2_b64 exec, exec, s[46:47]
	s_cbranch_execnz .LBB202_132
; %bb.133:                              ;   in Loop: Header=BB202_129 Depth=1
	s_or_b64 exec, exec, s[46:47]
	v_perm_b32 v58, v7, v8, s49
	v_perm_b32 v59, v7, v8, s50
	v_lshlrev_b32_e32 v58, 8, v58
	v_alignbit_b32 v9, v7, v6, 8
	v_alignbit_b32 v82, v7, v6, 16
	;; [unrolled: 1-line block ×3, first 2 shown]
	v_perm_b32 v84, v7, v8, s51
	v_perm_b32 v7, v58, v7, s56
	v_lshlrev_b32_e32 v58, 16, v59
	v_lshlrev_b32_e32 v59, 24, v84
	v_and_b32_e32 v58, 0xff0000, v58
	v_or3_b32 v7, v7, v58, v59
	s_branch .LBB202_128
.LBB202_134:                            ;   in Loop: Header=BB202_129 Depth=1
                                        ; implicit-def: $vgpr7
                                        ; implicit-def: $vgpr6
                                        ; implicit-def: $vgpr8
	s_cbranch_execz .LBB202_129
; %bb.135:
	s_and_saveexec_b64 s[30:31], s[26:27]
	s_cbranch_execz .LBB202_137
; %bb.136:
	s_mov_b32 s47, 0
	v_add_f32_e32 v7, s7, v5
	v_mov_b32_e32 v8, s7
	v_cmp_eq_u32_e32 vcc, 0, v2
	s_add_i32 s46, s6, 64
	v_cndmask_b32_e32 v7, v8, v7, vcc
	s_lshl_b64 s[6:7], s[46:47], 4
	s_add_u32 s6, s44, s6
	v_and_b32_e32 v8, 0xff000000, v7
	v_and_b32_e32 v10, 0xff0000, v7
	s_addc_u32 s7, s45, s7
	v_or_b32_e32 v8, v10, v8
	v_and_b32_e32 v10, 0xff00, v7
	v_and_b32_e32 v7, 0xff, v7
	v_add_u32_e32 v6, v4, v2
	v_mov_b32_e32 v9, 0
	v_or3_b32 v7, v8, v10, v7
	v_mov_b32_e32 v8, 2
	v_pk_mov_b32 v[10:11], s[6:7], s[6:7] op_sel:[0,1]
	;;#ASMSTART
	global_store_dwordx4 v[10:11], v[6:9] off	
s_waitcnt vmcnt(0)
	;;#ASMEND
	ds_write_b128 v9, v[2:5] offset:2048
.LBB202_137:
	s_or_b64 exec, exec, s[30:31]
	v_cmp_eq_u32_e32 vcc, 0, v0
	s_and_b64 exec, exec, vcc
	s_cbranch_execz .LBB202_139
; %bb.138:
	v_mov_b32_e32 v2, 0
	ds_write_b64 v2, v[4:5] offset:2088
.LBB202_139:
	s_or_b64 exec, exec, s[40:41]
	v_mov_b32_e32 v4, 0
	s_waitcnt lgkmcnt(0)
	s_barrier
	ds_read_b64 v[2:3], v4 offset:2088
	v_cndmask_b32_e64 v5, v63, v55, s[26:27]
	v_cndmask_b32_e64 v6, v30, v54, s[26:27]
	v_cmp_eq_u32_e32 vcc, 0, v6
	s_waitcnt lgkmcnt(0)
	v_add_f32_e32 v7, v5, v3
	v_cndmask_b32_e32 v5, v5, v7, vcc
	v_cmp_eq_u32_e32 vcc, 0, v0
	v_cndmask_b32_e32 v71, v5, v3, vcc
	v_cndmask_b32_e64 v3, v6, 0, vcc
	v_add_u32_e32 v7, v2, v3
	v_add_f32_e32 v2, v50, v71
	v_cmp_eq_u32_e32 vcc, 0, v38
	v_cndmask_b32_e32 v70, v50, v2, vcc
	v_add_f32_e32 v2, v52, v70
	v_cndmask_b32_e64 v69, v52, v2, s[24:25]
	v_add_f32_e32 v2, v51, v69
	v_cndmask_b32_e64 v68, v51, v2, s[22:23]
	;; [unrolled: 2-line block ×11, first 2 shown]
	s_barrier
	ds_read_b128 v[2:5], v4 offset:2048
	v_add_f32_e32 v6, v40, v55
	v_cndmask_b32_e64 v54, v40, v6, s[2:3]
	v_add_f32_e32 v6, v62, v54
	v_cndmask_b32_e64 v57, v62, v6, s[0:1]
	s_waitcnt lgkmcnt(0)
	v_add_f32_e32 v5, v5, v3
	v_cmp_eq_u32_e32 vcc, 0, v2
	v_cndmask_b32_e32 v30, v3, v5, vcc
	v_mov_b32_e32 v6, v4
	v_mov_b32_e32 v5, v7
	s_branch .LBB202_152
.LBB202_140:
                                        ; implicit-def: $vgpr2
                                        ; implicit-def: $vgpr30
                                        ; implicit-def: $vgpr6
                                        ; implicit-def: $vgpr57
                                        ; implicit-def: $vgpr54
                                        ; implicit-def: $vgpr55
                                        ; implicit-def: $vgpr56
                                        ; implicit-def: $vgpr58
                                        ; implicit-def: $vgpr59
                                        ; implicit-def: $vgpr63
                                        ; implicit-def: $vgpr64
                                        ; implicit-def: $vgpr65
                                        ; implicit-def: $vgpr66
                                        ; implicit-def: $vgpr67
                                        ; implicit-def: $vgpr68
                                        ; implicit-def: $vgpr69
                                        ; implicit-def: $vgpr70
                                        ; implicit-def: $vgpr71
	s_cbranch_execz .LBB202_152
; %bb.141:
	s_and_b64 s[0:1], s[38:39], exec
	s_cselect_b32 s1, 0, s61
	s_cselect_b32 s0, 0, s60
	s_cmp_eq_u64 s[0:1], 0
	s_waitcnt vmcnt(0) lgkmcnt(0)
	v_mov_b32_e32 v6, v50
	s_cbranch_scc1 .LBB202_143
; %bb.142:
	v_mov_b32_e32 v2, 0
	global_load_dword v6, v2, s[0:1]
.LBB202_143:
	v_cmp_eq_u32_e64 s[0:1], 0, v39
	v_cndmask_b32_e64 v2, v52, v76, s[0:1]
	v_add_f32_e32 v2, v51, v2
	v_cmp_eq_u32_e64 s[2:3], 0, v36
	v_cndmask_b32_e64 v2, v51, v2, s[2:3]
	v_add_f32_e32 v2, v53, v2
	;; [unrolled: 3-line block ×11, first 2 shown]
	v_cmp_eq_u32_e64 s[22:23], 0, v61
	v_cndmask_b32_e64 v2, v40, v2, s[22:23]
	v_add3_u32 v3, v75, v35, v32
	v_add_f32_e32 v2, v62, v2
	v_cmp_eq_u32_e32 vcc, 0, v31
	v_add3_u32 v3, v3, v33, v28
	v_cndmask_b32_e32 v2, v62, v2, vcc
	v_add3_u32 v3, v3, v29, v26
	v_add_f32_e32 v2, v41, v2
	v_cmp_eq_u32_e64 s[24:25], 0, v60
	v_add3_u32 v3, v3, v27, v61
	v_cndmask_b32_e64 v2, v41, v2, s[24:25]
	v_add3_u32 v3, v3, v31, v60
	v_mbcnt_hi_u32_b32 v7, -1, v74
	v_mov_b32_dpp v8, v2 row_shr:1 row_mask:0xf bank_mask:0xf
	v_and_b32_e32 v4, 15, v7
	v_add_f32_e32 v8, v2, v8
	v_cmp_eq_u32_e64 s[24:25], 0, v3
	v_mov_b32_dpp v5, v3 row_shr:1 row_mask:0xf bank_mask:0xf
	v_cndmask_b32_e64 v8, v2, v8, s[24:25]
	v_cmp_eq_u32_e64 s[24:25], 0, v4
	v_cndmask_b32_e64 v5, v5, 0, s[24:25]
	v_cndmask_b32_e64 v2, v8, v2, s[24:25]
	v_add_u32_e32 v3, v5, v3
	v_cmp_eq_u32_e64 s[24:25], 0, v3
	v_mov_b32_dpp v8, v2 row_shr:2 row_mask:0xf bank_mask:0xf
	v_add_f32_e32 v8, v2, v8
	v_mov_b32_dpp v5, v3 row_shr:2 row_mask:0xf bank_mask:0xf
	v_cndmask_b32_e64 v8, v2, v8, s[24:25]
	v_cmp_lt_u32_e64 s[24:25], 1, v4
	v_cndmask_b32_e64 v2, v2, v8, s[24:25]
	v_cndmask_b32_e64 v5, 0, v5, s[24:25]
	v_add_u32_e32 v3, v3, v5
	v_mov_b32_dpp v8, v2 row_shr:4 row_mask:0xf bank_mask:0xf
	v_add_f32_e32 v8, v2, v8
	v_cmp_eq_u32_e64 s[24:25], 0, v3
	v_mov_b32_dpp v5, v3 row_shr:4 row_mask:0xf bank_mask:0xf
	v_cndmask_b32_e64 v8, v2, v8, s[24:25]
	v_cmp_lt_u32_e64 s[24:25], 3, v4
	v_cndmask_b32_e64 v2, v2, v8, s[24:25]
	v_cndmask_b32_e64 v5, 0, v5, s[24:25]
	v_add_u32_e32 v3, v5, v3
	v_mov_b32_dpp v8, v2 row_shr:8 row_mask:0xf bank_mask:0xf
	v_add_f32_e32 v8, v2, v8
	v_cmp_eq_u32_e64 s[24:25], 0, v3
	v_mov_b32_dpp v5, v3 row_shr:8 row_mask:0xf bank_mask:0xf
	v_cndmask_b32_e64 v8, v2, v8, s[24:25]
	v_cmp_lt_u32_e64 s[24:25], 7, v4
	v_cndmask_b32_e64 v2, v2, v8, s[24:25]
	v_cndmask_b32_e64 v4, 0, v5, s[24:25]
	v_add_u32_e32 v3, v4, v3
	v_mov_b32_dpp v5, v2 row_bcast:15 row_mask:0xf bank_mask:0xf
	v_bfe_i32 v8, v7, 4, 1
	v_mov_b32_dpp v4, v3 row_bcast:15 row_mask:0xf bank_mask:0xf
	v_and_b32_e32 v9, 16, v7
	v_add_f32_e32 v5, v2, v5
	v_cmp_eq_u32_e64 s[24:25], 0, v3
	v_cndmask_b32_e64 v5, v2, v5, s[24:25]
	v_and_b32_e32 v4, v8, v4
	v_cmp_eq_u32_e64 s[24:25], 0, v9
	v_add_u32_e32 v3, v4, v3
	v_cndmask_b32_e64 v4, v5, v2, s[24:25]
	v_cmp_eq_u32_e64 s[24:25], 0, v3
	v_mov_b32_dpp v2, v3 row_bcast:31 row_mask:0xf bank_mask:0xf
	v_mov_b32_dpp v5, v4 row_bcast:31 row_mask:0xf bank_mask:0xf
	v_add_f32_e32 v5, v4, v5
	v_cndmask_b32_e64 v5, v4, v5, s[24:25]
	v_cmp_lt_u32_e64 s[24:25], 31, v7
	v_cndmask_b32_e64 v2, 0, v2, s[24:25]
	v_add_u32_e32 v2, v2, v3
	v_cmp_eq_u32_e64 s[26:27], v73, v0
	v_cndmask_b32_e64 v3, v4, v5, s[24:25]
	v_lshlrev_b32_e32 v5, 3, v72
	s_and_saveexec_b64 s[24:25], s[26:27]
	s_cbranch_execz .LBB202_145
; %bb.144:
	ds_write_b64 v5, v[2:3] offset:2064
.LBB202_145:
	s_or_b64 exec, exec, s[24:25]
	v_cmp_gt_u32_e64 s[24:25], 4, v0
	s_waitcnt lgkmcnt(0)
	s_barrier
	s_and_saveexec_b64 s[28:29], s[24:25]
	s_cbranch_execz .LBB202_147
; %bb.146:
	v_lshlrev_b32_e32 v4, 3, v0
	ds_read_b64 v[8:9], v4 offset:2064
	v_and_b32_e32 v10, 3, v7
	v_cmp_lt_u32_e64 s[26:27], 1, v10
	s_waitcnt lgkmcnt(0)
	v_mov_b32_dpp v30, v9 row_shr:1 row_mask:0xf bank_mask:0xf
	v_add_f32_e32 v30, v9, v30
	v_cmp_eq_u32_e64 s[24:25], 0, v8
	v_mov_b32_dpp v11, v8 row_shr:1 row_mask:0xf bank_mask:0xf
	v_cndmask_b32_e64 v30, v9, v30, s[24:25]
	v_cmp_eq_u32_e64 s[24:25], 0, v10
	v_cndmask_b32_e64 v11, v11, 0, s[24:25]
	v_add_u32_e32 v8, v11, v8
	v_cndmask_b32_e64 v9, v30, v9, s[24:25]
	v_cmp_eq_u32_e64 s[24:25], 0, v8
	v_mov_b32_dpp v11, v8 row_shr:2 row_mask:0xf bank_mask:0xf
	v_mov_b32_dpp v30, v9 row_shr:2 row_mask:0xf bank_mask:0xf
	v_add_f32_e32 v30, v9, v30
	v_cndmask_b32_e64 v10, 0, v11, s[26:27]
	s_and_b64 s[24:25], s[26:27], s[24:25]
	v_add_u32_e32 v8, v10, v8
	v_cndmask_b32_e64 v9, v9, v30, s[24:25]
	ds_write_b64 v4, v[8:9] offset:2064
.LBB202_147:
	s_or_b64 exec, exec, s[28:29]
	v_cmp_lt_u32_e64 s[24:25], 63, v0
	v_mov_b32_e32 v8, 0
	v_mov_b32_e32 v4, 0
	s_waitcnt vmcnt(0)
	v_mov_b32_e32 v9, v6
	s_waitcnt lgkmcnt(0)
	s_barrier
	s_and_saveexec_b64 s[26:27], s[24:25]
	s_cbranch_execz .LBB202_149
; %bb.148:
	ds_read_b64 v[4:5], v5 offset:2056
	s_waitcnt lgkmcnt(0)
	v_add_f32_e32 v9, v6, v5
	v_cmp_eq_u32_e64 s[24:25], 0, v4
	v_cndmask_b32_e64 v9, v5, v9, s[24:25]
.LBB202_149:
	s_or_b64 exec, exec, s[26:27]
	v_add_f32_e32 v10, v3, v9
	v_cmp_eq_u32_e64 s[24:25], 0, v2
	v_add_u32_e32 v5, v4, v2
	v_cndmask_b32_e64 v2, v3, v10, s[24:25]
	v_add_u32_e32 v3, -1, v7
	v_and_b32_e32 v10, 64, v7
	v_cmp_lt_i32_e64 s[24:25], v3, v10
	v_cndmask_b32_e64 v3, v3, v7, s[24:25]
	v_lshlrev_b32_e32 v3, 2, v3
	ds_bpermute_b32 v5, v3, v5
	ds_bpermute_b32 v2, v3, v2
	v_cmp_eq_u32_e64 s[24:25], 0, v7
	v_cmp_eq_u32_e64 s[26:27], 0, v38
	s_waitcnt lgkmcnt(1)
	v_cndmask_b32_e64 v5, v5, v4, s[24:25]
	s_waitcnt lgkmcnt(0)
	v_cndmask_b32_e64 v71, v2, v9, s[24:25]
	v_cmp_eq_u32_e64 s[24:25], 0, v0
	v_cndmask_b32_e64 v2, v71, v6, s[24:25]
	v_add_f32_e32 v2, v50, v2
	v_cndmask_b32_e64 v70, v50, v2, s[26:27]
	v_add_f32_e32 v2, v52, v70
	;; [unrolled: 2-line block ×11, first 2 shown]
	v_cndmask_b32_e64 v56, v45, v2, s[20:21]
	ds_read_b64 v[2:3], v8 offset:2088
	v_add_f32_e32 v4, v43, v56
	v_cndmask_b32_e64 v55, v43, v4, s[18:19]
	v_add_f32_e32 v4, v40, v55
	v_cndmask_b32_e64 v54, v40, v4, s[22:23]
	s_waitcnt lgkmcnt(0)
	v_add_f32_e32 v4, v6, v3
	v_cmp_eq_u32_e64 s[0:1], 0, v2
	v_add_f32_e32 v7, v62, v54
	v_cndmask_b32_e64 v30, v3, v4, s[0:1]
	s_and_saveexec_b64 s[0:1], s[24:25]
	s_cbranch_execz .LBB202_151
; %bb.150:
	s_add_u32 s2, s44, 0x400
	v_and_b32_e32 v3, 0xff000000, v30
	v_and_b32_e32 v4, 0xff0000, v30
	s_addc_u32 s3, s45, 0
	v_or_b32_e32 v3, v4, v3
	v_and_b32_e32 v4, 0xff00, v30
	v_and_b32_e32 v8, 0xff, v30
	v_mov_b32_e32 v5, 0
	v_or3_b32 v3, v3, v4, v8
	v_mov_b32_e32 v4, 2
	v_pk_mov_b32 v[8:9], s[2:3], s[2:3] op_sel:[0,1]
	;;#ASMSTART
	global_store_dwordx4 v[8:9], v[2:5] off	
s_waitcnt vmcnt(0)
	;;#ASMEND
	v_mov_b32_e32 v71, v6
.LBB202_151:
	s_or_b64 exec, exec, s[0:1]
	v_cndmask_b32_e32 v57, v62, v7, vcc
	v_mov_b32_e32 v6, 0
.LBB202_152:
	s_and_b64 s[0:1], s[38:39], exec
	s_cselect_b32 s1, 0, s59
	s_cselect_b32 s0, 0, s58
	s_cmp_eq_u64 s[0:1], 0
	v_pk_mov_b32 v[8:9], 0, 0
	s_waitcnt lgkmcnt(0)
	s_barrier
	s_cbranch_scc1 .LBB202_154
; %bb.153:
	v_mov_b32_e32 v3, 0
	global_load_dwordx2 v[8:9], v3, s[0:1]
.LBB202_154:
	s_waitcnt vmcnt(0)
	v_lshlrev_b64 v[10:11], 2, v[8:9]
	v_mov_b32_e32 v7, s43
	v_add_co_u32_e32 v62, vcc, s42, v10
	v_addc_co_u32_e32 v72, vcc, v7, v11, vcc
	v_mov_b32_e32 v7, 0
	v_lshlrev_b64 v[40:41], 2, v[6:7]
	v_add_co_u32_e32 v7, vcc, v62, v40
	v_addc_co_u32_e32 v62, vcc, v72, v41, vcc
	v_cmp_eq_u32_e32 vcc, 0, v38
	v_cndmask_b32_e64 v72, 1, 2, vcc
	v_cmp_eq_u32_e32 vcc, 0, v39
	v_cndmask_b32_e64 v73, 1, 2, vcc
	v_cmp_eq_u32_e32 vcc, 0, v36
	v_and_b32_e32 v72, v73, v72
	v_cndmask_b32_e64 v73, 1, 2, vcc
	v_cmp_eq_u32_e32 vcc, 0, v37
	v_add_u32_e32 v53, v5, v38
	v_and_b32_e32 v72, v72, v73
	v_cndmask_b32_e64 v73, 1, 2, vcc
	v_cmp_eq_u32_e32 vcc, 0, v34
	v_add_u32_e32 v52, v53, v39
	v_and_b32_e32 v72, v72, v73
	v_cndmask_b32_e64 v73, 1, 2, vcc
	v_cmp_eq_u32_e32 vcc, 0, v35
	v_add_u32_e32 v51, v52, v36
	v_and_b32_e32 v72, v72, v73
	v_cndmask_b32_e64 v73, 1, 2, vcc
	v_cmp_eq_u32_e32 vcc, 0, v32
	v_add_u32_e32 v50, v51, v37
	v_and_b32_e32 v72, v72, v73
	v_cndmask_b32_e64 v73, 1, 2, vcc
	v_cmp_eq_u32_e32 vcc, 0, v33
	v_add_u32_e32 v49, v50, v34
	v_and_b32_e32 v72, v72, v73
	v_cndmask_b32_e64 v73, 1, 2, vcc
	v_cmp_eq_u32_e32 vcc, 0, v28
	v_add_u32_e32 v48, v49, v35
	v_and_b32_e32 v72, v72, v73
	v_cndmask_b32_e64 v73, 1, 2, vcc
	v_cmp_eq_u32_e32 vcc, 0, v29
	v_add_u32_e32 v47, v48, v32
	v_and_b32_e32 v72, v72, v73
	v_cndmask_b32_e64 v73, 1, 2, vcc
	v_cmp_eq_u32_e32 vcc, 0, v26
	v_add_u32_e32 v46, v47, v33
	v_and_b32_e32 v72, v72, v73
	v_cndmask_b32_e64 v73, 1, 2, vcc
	v_cmp_eq_u32_e32 vcc, 0, v27
	v_add_u32_e32 v45, v46, v28
	v_and_b32_e32 v72, v72, v73
	v_cndmask_b32_e64 v73, 1, 2, vcc
	v_cmp_eq_u32_e32 vcc, 0, v61
	v_add_u32_e32 v44, v45, v29
	v_and_b32_e32 v72, v72, v73
	v_cndmask_b32_e64 v73, 1, 2, vcc
	v_cmp_eq_u32_e32 vcc, 0, v31
	v_add_u32_e32 v43, v44, v26
	v_and_b32_e32 v72, v72, v73
	v_cndmask_b32_e64 v73, 1, 2, vcc
	v_cmp_eq_u32_e32 vcc, 0, v60
	v_add_u32_e32 v42, v43, v27
	v_and_b32_e32 v72, v72, v73
	v_cndmask_b32_e64 v73, 1, 2, vcc
	s_movk_i32 s30, 0x100
	v_add_u32_e32 v4, v42, v61
	v_and_b32_e32 v72, v72, v73
	v_cmp_gt_u32_e32 vcc, s30, v2
	v_add_u32_e32 v3, v4, v31
	v_cmp_ne_u32_e64 s[28:29], 0, v38
	v_cmp_ne_u32_e64 s[26:27], 0, v39
	v_cmp_ne_u32_e64 s[24:25], 0, v36
	v_cmp_ne_u32_e64 s[22:23], 0, v37
	v_cmp_ne_u32_e64 s[20:21], 0, v34
	v_cmp_ne_u32_e64 s[18:19], 0, v35
	v_cmp_ne_u32_e64 s[16:17], 0, v32
	v_cmp_ne_u32_e64 s[14:15], 0, v33
	v_cmp_ne_u32_e64 s[12:13], 0, v28
	v_cmp_ne_u32_e64 s[10:11], 0, v29
	v_cmp_ne_u32_e64 s[8:9], 0, v26
	v_cmp_ne_u32_e64 s[6:7], 0, v27
	v_cmp_ne_u32_e64 s[4:5], 0, v61
	v_cmp_ne_u32_e64 s[2:3], 0, v31
	v_cmp_ne_u32_e64 s[0:1], 0, v60
	s_mov_b64 s[38:39], -1
	v_cmp_gt_i16_e64 s[30:31], 2, v72
	s_cbranch_vccz .LBB202_161
; %bb.155:
	s_and_saveexec_b64 s[38:39], s[30:31]
	s_cbranch_execz .LBB202_160
; %bb.156:
	v_cmp_ne_u16_e32 vcc, 1, v72
	s_mov_b64 s[40:41], 0
	s_and_saveexec_b64 s[30:31], vcc
	s_xor_b64 s[30:31], exec, s[30:31]
	s_cbranch_execnz .LBB202_250
; %bb.157:
	s_andn2_saveexec_b64 s[30:31], s[30:31]
	s_cbranch_execnz .LBB202_266
.LBB202_158:
	s_or_b64 exec, exec, s[30:31]
	s_and_b64 exec, exec, s[40:41]
	s_cbranch_execz .LBB202_160
.LBB202_159:
	v_sub_u32_e32 v74, v3, v6
	v_mov_b32_e32 v75, 0
	v_lshlrev_b64 v[74:75], 2, v[74:75]
	v_add_co_u32_e32 v74, vcc, v7, v74
	v_addc_co_u32_e32 v75, vcc, v62, v75, vcc
	global_store_dword v[74:75], v1, off
.LBB202_160:
	s_or_b64 exec, exec, s[38:39]
	s_mov_b64 s[38:39], 0
.LBB202_161:
	s_and_b64 vcc, exec, s[38:39]
	s_cbranch_vccz .LBB202_183
; %bb.162:
	v_cmp_gt_i16_e32 vcc, 2, v72
	s_and_saveexec_b64 s[30:31], vcc
	s_cbranch_execz .LBB202_167
; %bb.163:
	v_cmp_ne_u16_e32 vcc, 1, v72
	s_mov_b64 s[40:41], 0
	s_and_saveexec_b64 s[38:39], vcc
	s_xor_b64 s[38:39], exec, s[38:39]
	s_cbranch_execnz .LBB202_267
; %bb.164:
	s_andn2_saveexec_b64 s[0:1], s[38:39]
	s_cbranch_execnz .LBB202_283
.LBB202_165:
	s_or_b64 exec, exec, s[0:1]
	s_and_b64 exec, exec, s[40:41]
	s_cbranch_execz .LBB202_167
.LBB202_166:
	v_sub_u32_e32 v12, v3, v6
	v_lshlrev_b32_e32 v12, 2, v12
	ds_write_b32 v12, v1
.LBB202_167:
	s_or_b64 exec, exec, s[30:31]
	v_cmp_lt_u32_e32 vcc, v0, v2
	s_waitcnt lgkmcnt(0)
	s_barrier
	s_and_saveexec_b64 s[2:3], vcc
	s_cbranch_execz .LBB202_182
; %bb.168:
	v_xad_u32 v1, v0, -1, v2
	s_movk_i32 s0, 0x1700
	v_cmp_gt_u32_e64 s[4:5], s0, v1
	s_movk_i32 s0, 0x16ff
	v_cmp_lt_u32_e32 vcc, s0, v1
	v_mov_b32_e32 v12, v0
	s_and_saveexec_b64 s[6:7], vcc
	s_cbranch_execz .LBB202_179
; %bb.169:
	v_sub_u32_e32 v12, v0, v2
	v_or_b32_e32 v12, 0xff, v12
	v_cmp_ge_u32_e32 vcc, v12, v0
	s_mov_b64 s[0:1], -1
	v_mov_b32_e32 v12, v0
	s_and_saveexec_b64 s[8:9], vcc
	s_cbranch_execz .LBB202_178
; %bb.170:
	v_lshrrev_b32_e32 v16, 8, v1
	v_add_u32_e32 v12, -1, v16
	v_or_b32_e32 v1, 0x100, v0
	v_lshrrev_b32_e32 v13, 1, v12
	v_add_u32_e32 v17, 1, v13
	v_cmp_lt_u32_e32 vcc, 13, v12
	v_mov_b32_e32 v20, 0
	v_pk_mov_b32 v[12:13], v[0:1], v[0:1] op_sel:[0,1]
	s_and_saveexec_b64 s[10:11], vcc
	s_cbranch_execz .LBB202_174
; %bb.171:
	v_and_b32_e32 v18, -8, v17
	v_lshlrev_b32_e32 v19, 2, v0
	s_mov_b32 s14, 0
	s_mov_b64 s[12:13], 0
	v_mov_b32_e32 v15, 0
	v_pk_mov_b32 v[12:13], v[0:1], v[0:1] op_sel:[0,1]
.LBB202_172:                            ; =>This Inner Loop Header: Depth=1
	v_mov_b32_e32 v14, v12
	v_add_u32_e32 v18, -8, v18
	v_lshlrev_b64 v[96:97], 2, v[14:15]
	v_mov_b32_e32 v14, v13
	ds_read2st64_b32 v[22:23], v19 offset1:4
	s_add_i32 s14, s14, 16
	v_cmp_eq_u32_e32 vcc, 0, v18
	v_lshlrev_b64 v[100:101], 2, v[14:15]
	v_add_u32_e32 v14, 0x200, v12
	s_or_b64 s[12:13], vcc, s[12:13]
	v_add_co_u32_e32 v100, vcc, v7, v100
	v_add_u32_e32 v20, 0x200, v13
	v_mov_b32_e32 v21, v15
	ds_read2st64_b32 v[24:25], v19 offset0:8 offset1:12
	ds_read2st64_b32 v[74:75], v19 offset0:16 offset1:20
	v_add_co_u32_e64 v96, s[0:1], v7, v96
	v_addc_co_u32_e32 v101, vcc, v62, v101, vcc
	v_lshlrev_b64 v[102:103], 2, v[14:15]
	v_lshlrev_b64 v[98:99], 2, v[20:21]
	v_addc_co_u32_e64 v97, s[0:1], v62, v97, s[0:1]
	v_add_u32_e32 v14, 0x400, v12
	v_add_co_u32_e32 v102, vcc, v7, v102
	v_add_u32_e32 v72, 0x400, v13
	v_mov_b32_e32 v73, v15
	ds_read2st64_b32 v[78:79], v19 offset0:24 offset1:28
	v_add_co_u32_e64 v98, s[0:1], v7, v98
	v_addc_co_u32_e32 v103, vcc, v62, v103, vcc
	v_lshlrev_b64 v[104:105], 2, v[14:15]
	ds_read2st64_b32 v[82:83], v19 offset0:32 offset1:36
	ds_read2st64_b32 v[86:87], v19 offset0:40 offset1:44
	;; [unrolled: 1-line block ×4, first 2 shown]
	v_lshlrev_b64 v[72:73], 2, v[72:73]
	v_addc_co_u32_e64 v99, s[0:1], v62, v99, s[0:1]
	v_add_u32_e32 v14, 0x600, v12
	s_waitcnt lgkmcnt(7)
	global_store_dword v[96:97], v22, off
	global_store_dword v[100:101], v23, off
	s_waitcnt lgkmcnt(6)
	global_store_dword v[102:103], v24, off
	global_store_dword v[98:99], v25, off
	v_add_co_u32_e32 v22, vcc, v7, v104
	v_add_u32_e32 v76, 0x600, v13
	v_mov_b32_e32 v77, v15
	v_add_co_u32_e64 v72, s[0:1], v7, v72
	v_addc_co_u32_e32 v23, vcc, v62, v105, vcc
	v_lshlrev_b64 v[24:25], 2, v[14:15]
	v_lshlrev_b64 v[76:77], 2, v[76:77]
	v_addc_co_u32_e64 v73, s[0:1], v62, v73, s[0:1]
	v_add_u32_e32 v14, 0x800, v12
	s_waitcnt lgkmcnt(5)
	global_store_dword v[22:23], v74, off
	global_store_dword v[72:73], v75, off
	v_add_co_u32_e32 v22, vcc, v7, v24
	v_add_u32_e32 v80, 0x800, v13
	v_mov_b32_e32 v81, v15
	v_add_co_u32_e64 v76, s[0:1], v7, v76
	v_addc_co_u32_e32 v23, vcc, v62, v25, vcc
	v_lshlrev_b64 v[24:25], 2, v[14:15]
	v_lshlrev_b64 v[80:81], 2, v[80:81]
	v_addc_co_u32_e64 v77, s[0:1], v62, v77, s[0:1]
	v_add_u32_e32 v14, 0xa00, v12
	;; [unrolled: 12-line block ×4, first 2 shown]
	s_waitcnt lgkmcnt(2)
	global_store_dword v[22:23], v86, off
	global_store_dword v[84:85], v87, off
	v_add_co_u32_e32 v22, vcc, v7, v24
	v_add_u32_e32 v92, 0xe00, v13
	v_mov_b32_e32 v93, v15
	v_add_co_u32_e64 v88, s[0:1], v7, v88
	v_addc_co_u32_e32 v23, vcc, v62, v25, vcc
	v_lshlrev_b64 v[24:25], 2, v[14:15]
	v_lshlrev_b64 v[92:93], 2, v[92:93]
	v_addc_co_u32_e64 v89, s[0:1], v62, v89, s[0:1]
	s_waitcnt lgkmcnt(1)
	global_store_dword v[22:23], v90, off
	global_store_dword v[88:89], v91, off
	v_add_co_u32_e32 v22, vcc, v7, v24
	v_add_u32_e32 v19, 0x4000, v19
	v_add_u32_e32 v13, 0x1000, v13
	v_mov_b32_e32 v20, s14
	v_add_co_u32_e64 v92, s[0:1], v7, v92
	v_add_u32_e32 v12, 0x1000, v12
	v_addc_co_u32_e32 v23, vcc, v62, v25, vcc
	v_addc_co_u32_e64 v93, s[0:1], v62, v93, s[0:1]
	s_waitcnt lgkmcnt(0)
	global_store_dword v[22:23], v94, off
	global_store_dword v[92:93], v95, off
	s_andn2_b64 exec, exec, s[12:13]
	s_cbranch_execnz .LBB202_172
; %bb.173:
	s_or_b64 exec, exec, s[12:13]
.LBB202_174:
	s_or_b64 exec, exec, s[10:11]
	v_and_b32_e32 v1, 7, v17
	v_cmp_ne_u32_e32 vcc, 0, v1
	s_and_saveexec_b64 s[10:11], vcc
	s_cbranch_execz .LBB202_177
; %bb.175:
	v_lshlrev_b32_e32 v14, 2, v0
	v_lshl_or_b32 v17, v20, 10, v14
	s_mov_b64 s[12:13], 0
	v_mov_b32_e32 v15, 0
.LBB202_176:                            ; =>This Inner Loop Header: Depth=1
	ds_read2st64_b32 v[18:19], v17 offset1:4
	v_mov_b32_e32 v14, v12
	v_add_u32_e32 v1, -1, v1
	v_lshlrev_b64 v[20:21], 2, v[14:15]
	v_mov_b32_e32 v14, v13
	v_cmp_eq_u32_e32 vcc, 0, v1
	v_add_co_u32_e64 v20, s[0:1], v7, v20
	v_lshlrev_b64 v[22:23], 2, v[14:15]
	v_add_u32_e32 v12, 0x200, v12
	v_add_u32_e32 v17, 0x800, v17
	;; [unrolled: 1-line block ×3, first 2 shown]
	v_addc_co_u32_e64 v21, s[0:1], v62, v21, s[0:1]
	s_or_b64 s[12:13], vcc, s[12:13]
	v_add_co_u32_e32 v22, vcc, v7, v22
	v_addc_co_u32_e32 v23, vcc, v62, v23, vcc
	s_waitcnt lgkmcnt(0)
	global_store_dword v[20:21], v18, off
	global_store_dword v[22:23], v19, off
	s_andn2_b64 exec, exec, s[12:13]
	s_cbranch_execnz .LBB202_176
.LBB202_177:
	s_or_b64 exec, exec, s[10:11]
	v_add_u32_e32 v1, 1, v16
	v_and_b32_e32 v13, 0x1fffffe, v1
	v_cmp_ne_u32_e32 vcc, v1, v13
	v_lshl_or_b32 v12, v13, 8, v0
	s_orn2_b64 s[0:1], vcc, exec
.LBB202_178:
	s_or_b64 exec, exec, s[8:9]
	s_andn2_b64 s[4:5], s[4:5], exec
	s_and_b64 s[0:1], s[0:1], exec
	s_or_b64 s[4:5], s[4:5], s[0:1]
.LBB202_179:
	s_or_b64 exec, exec, s[6:7]
	s_and_b64 exec, exec, s[4:5]
	s_cbranch_execz .LBB202_182
; %bb.180:
	v_lshlrev_b32_e32 v1, 2, v12
	s_mov_b64 s[0:1], 0
	v_mov_b32_e32 v13, 0
.LBB202_181:                            ; =>This Inner Loop Header: Depth=1
	v_lshlrev_b64 v[14:15], 2, v[12:13]
	ds_read_b32 v16, v1
	v_add_co_u32_e32 v14, vcc, v7, v14
	v_add_u32_e32 v12, 0x100, v12
	v_addc_co_u32_e32 v15, vcc, v62, v15, vcc
	v_cmp_ge_u32_e32 vcc, v12, v2
	v_add_u32_e32 v1, 0x400, v1
	s_or_b64 s[0:1], vcc, s[0:1]
	s_waitcnt lgkmcnt(0)
	global_store_dword v[14:15], v16, off
	s_andn2_b64 exec, exec, s[0:1]
	s_cbranch_execnz .LBB202_181
.LBB202_182:
	s_or_b64 exec, exec, s[2:3]
.LBB202_183:
	s_cmpk_lg_i32 s33, 0xf00
	s_cselect_b64 s[0:1], -1, 0
	s_and_b64 s[0:1], s[34:35], s[0:1]
	v_cmp_eq_u32_e32 vcc, 0, v0
	v_cndmask_b32_e64 v16, 0, 1, s[0:1]
	s_and_b64 s[0:1], vcc, s[36:37]
	v_cndmask_b32_e64 v12, v38, 0, s[0:1]
	s_mul_hi_u32 s0, s33, 0x88888889
	s_lshr_b32 s0, s0, 3
	v_mad_i32_i24 v13, v0, -15, s33
	v_cmp_eq_u32_e32 vcc, s0, v0
	v_cmp_ne_u32_e64 s[0:1], 0, v13
	v_cndmask_b32_e64 v14, 1, v12, s[0:1]
	v_cmp_ne_u32_e64 s[0:1], 1, v13
	v_cndmask_b32_e64 v15, 1, v39, s[0:1]
	;; [unrolled: 2-line block ×15, first 2 shown]
	s_and_b64 vcc, s[34:35], vcc
	v_cndmask_b32_e32 v60, v60, v13, vcc
	v_cndmask_b32_e32 v31, v31, v72, vcc
	;; [unrolled: 1-line block ×15, first 2 shown]
	v_mov_b32_e32 v12, s53
	v_add_co_u32_e32 v10, vcc, s52, v10
	v_addc_co_u32_e32 v11, vcc, v12, v11, vcc
	v_cndmask_b32_e64 v1, 0, 1, s[36:37]
	v_add_co_u32_e32 v12, vcc, v10, v40
	v_addc_co_u32_e32 v13, vcc, v11, v41, vcc
	v_lshlrev_b32_e32 v10, 2, v1
	v_add_co_u32_e32 v10, vcc, v10, v12
	v_addc_co_u32_e32 v11, vcc, 0, v13, vcc
	v_add_co_u32_e32 v14, vcc, -4, v10
	v_addc_co_u32_e32 v15, vcc, -1, v11, vcc
	v_cmp_eq_u32_e32 vcc, 0, v28
	v_cndmask_b32_e64 v11, 1, 2, vcc
	v_cmp_eq_u32_e32 vcc, 0, v26
	v_cmp_ne_u32_e64 s[26:27], 0, v26
	v_cndmask_b32_e64 v26, 1, 2, vcc
	v_cmp_eq_u32_e32 vcc, 0, v17
	v_and_b32_e32 v11, v26, v11
	v_cmp_ne_u32_e64 s[24:25], 0, v17
	v_cndmask_b32_e64 v17, 1, 2, vcc
	v_cmp_eq_u32_e32 vcc, 0, v18
	v_and_b32_e32 v11, v11, v17
	v_cndmask_b32_e64 v17, 1, 2, vcc
	v_cmp_eq_u32_e32 vcc, 0, v19
	v_and_b32_e32 v11, v11, v17
	;; [unrolled: 3-line block ×10, first 2 shown]
	v_cndmask_b32_e64 v17, 1, 2, vcc
	v_cmp_eq_u32_e32 vcc, 0, v31
	v_sub_u32_e32 v7, v2, v1
	v_and_b32_e32 v11, v11, v17
	v_cndmask_b32_e64 v17, 1, 2, vcc
	v_cmp_eq_u32_e32 vcc, 0, v60
	v_add_u32_e32 v7, v7, v16
	v_and_b32_e32 v11, v11, v17
	v_cndmask_b32_e64 v17, 1, 2, vcc
	s_movk_i32 s30, 0x100
	v_and_b32_e32 v11, v11, v17
	v_cmp_gt_u32_e32 vcc, s30, v7
	v_add_u32_e32 v10, v6, v1
	v_cmp_ne_u32_e64 s[28:29], 0, v28
	v_cmp_ne_u32_e64 s[22:23], 0, v18
	;; [unrolled: 1-line block ×13, first 2 shown]
	s_mov_b64 s[36:37], -1
	v_cmp_gt_i16_e64 s[30:31], 2, v11
	s_barrier
	s_cbranch_vccz .LBB202_190
; %bb.184:
	s_and_saveexec_b64 s[36:37], s[30:31]
	s_cbranch_execz .LBB202_189
; %bb.185:
	v_cmp_ne_u16_e32 vcc, 1, v11
	s_mov_b64 s[38:39], 0
	s_and_saveexec_b64 s[30:31], vcc
	s_xor_b64 s[30:31], exec, s[30:31]
	s_cbranch_execnz .LBB202_284
; %bb.186:
	s_andn2_saveexec_b64 s[30:31], s[30:31]
	s_cbranch_execnz .LBB202_300
.LBB202_187:
	s_or_b64 exec, exec, s[30:31]
	s_and_b64 exec, exec, s[38:39]
	s_cbranch_execz .LBB202_189
.LBB202_188:
	v_sub_u32_e32 v18, v3, v10
	v_mov_b32_e32 v19, 0
	v_lshlrev_b64 v[18:19], 2, v[18:19]
	v_add_co_u32_e32 v18, vcc, v14, v18
	v_addc_co_u32_e32 v19, vcc, v15, v19, vcc
	global_store_dword v[18:19], v57, off
.LBB202_189:
	s_or_b64 exec, exec, s[36:37]
	s_mov_b64 s[36:37], 0
.LBB202_190:
	s_and_b64 vcc, exec, s[36:37]
	s_cbranch_vccz .LBB202_212
; %bb.191:
	v_cmp_gt_i16_e32 vcc, 2, v11
	s_and_saveexec_b64 s[30:31], vcc
	s_cbranch_execz .LBB202_196
; %bb.192:
	v_cmp_ne_u16_e32 vcc, 1, v11
	s_mov_b64 s[38:39], 0
	s_and_saveexec_b64 s[36:37], vcc
	s_xor_b64 s[36:37], exec, s[36:37]
	s_cbranch_execnz .LBB202_301
; %bb.193:
	s_andn2_saveexec_b64 s[0:1], s[36:37]
	s_cbranch_execnz .LBB202_317
.LBB202_194:
	s_or_b64 exec, exec, s[0:1]
	s_and_b64 exec, exec, s[38:39]
	s_cbranch_execz .LBB202_196
.LBB202_195:
	v_sub_u32_e32 v3, v3, v10
	v_lshlrev_b32_e32 v3, 2, v3
	ds_write_b32 v3, v57
.LBB202_196:
	s_or_b64 exec, exec, s[30:31]
	v_cmp_lt_u32_e32 vcc, v0, v7
	s_waitcnt lgkmcnt(0)
	s_barrier
	s_and_saveexec_b64 s[2:3], vcc
	s_cbranch_execz .LBB202_211
; %bb.197:
	v_add_u32_e32 v5, v2, v16
	v_xad_u32 v3, v0, -1, v5
	v_sub_u32_e32 v3, v3, v1
	s_movk_i32 s0, 0x1900
	v_cmp_gt_u32_e64 s[4:5], s0, v3
	s_movk_i32 s0, 0x18ff
	v_cmp_lt_u32_e32 vcc, s0, v3
	v_mov_b32_e32 v4, v0
	s_and_saveexec_b64 s[6:7], vcc
	s_cbranch_execz .LBB202_208
; %bb.198:
	v_sub_u32_e32 v4, v0, v5
	v_add_u32_e32 v1, v4, v1
	v_or_b32_e32 v1, 0xff, v1
	v_cmp_ge_u32_e32 vcc, v1, v0
	s_mov_b64 s[0:1], -1
	v_mov_b32_e32 v4, v0
	s_and_saveexec_b64 s[8:9], vcc
	s_cbranch_execz .LBB202_207
; %bb.199:
	v_lshrrev_b32_e32 v3, 8, v3
	v_add_u32_e32 v4, -1, v3
	v_or_b32_e32 v1, 0x100, v0
	v_lshrrev_b32_e32 v5, 1, v4
	v_add_u32_e32 v17, 1, v5
	v_cmp_lt_u32_e32 vcc, 13, v4
	v_mov_b32_e32 v20, 0
	v_lshlrev_b32_e32 v16, 2, v0
	v_pk_mov_b32 v[4:5], v[0:1], v[0:1] op_sel:[0,1]
	s_and_saveexec_b64 s[10:11], vcc
	s_cbranch_execz .LBB202_203
; %bb.200:
	v_and_b32_e32 v18, -8, v17
	s_mov_b32 s14, 0
	s_mov_b64 s[12:13], 0
	v_mov_b32_e32 v11, 0
	v_mov_b32_e32 v19, v16
	v_pk_mov_b32 v[4:5], v[0:1], v[0:1] op_sel:[0,1]
.LBB202_201:                            ; =>This Inner Loop Header: Depth=1
	v_mov_b32_e32 v10, v4
	v_add_u32_e32 v18, -8, v18
	v_lshlrev_b64 v[52:53], 2, v[10:11]
	v_mov_b32_e32 v10, v5
	ds_read2st64_b32 v[22:23], v19 offset1:4
	s_add_i32 s14, s14, 16
	v_cmp_eq_u32_e32 vcc, 0, v18
	v_lshlrev_b64 v[56:57], 2, v[10:11]
	v_add_u32_e32 v10, 0x200, v4
	s_or_b64 s[12:13], vcc, s[12:13]
	v_add_co_u32_e32 v56, vcc, v14, v56
	v_add_u32_e32 v20, 0x200, v5
	v_mov_b32_e32 v21, v11
	ds_read2st64_b32 v[24:25], v19 offset0:8 offset1:12
	ds_read2st64_b32 v[28:29], v19 offset0:16 offset1:20
	v_add_co_u32_e64 v52, s[0:1], v14, v52
	v_addc_co_u32_e32 v57, vcc, v15, v57, vcc
	v_lshlrev_b64 v[58:59], 2, v[10:11]
	v_lshlrev_b64 v[54:55], 2, v[20:21]
	v_addc_co_u32_e64 v53, s[0:1], v15, v53, s[0:1]
	v_add_u32_e32 v10, 0x400, v4
	v_add_co_u32_e32 v58, vcc, v14, v58
	v_add_u32_e32 v26, 0x400, v5
	v_mov_b32_e32 v27, v11
	ds_read2st64_b32 v[34:35], v19 offset0:24 offset1:28
	v_add_co_u32_e64 v54, s[0:1], v14, v54
	v_addc_co_u32_e32 v59, vcc, v15, v59, vcc
	v_lshlrev_b64 v[60:61], 2, v[10:11]
	ds_read2st64_b32 v[38:39], v19 offset0:32 offset1:36
	ds_read2st64_b32 v[42:43], v19 offset0:40 offset1:44
	;; [unrolled: 1-line block ×4, first 2 shown]
	v_lshlrev_b64 v[26:27], 2, v[26:27]
	v_addc_co_u32_e64 v55, s[0:1], v15, v55, s[0:1]
	v_add_u32_e32 v10, 0x600, v4
	s_waitcnt lgkmcnt(7)
	global_store_dword v[52:53], v22, off
	global_store_dword v[56:57], v23, off
	s_waitcnt lgkmcnt(6)
	global_store_dword v[58:59], v24, off
	global_store_dword v[54:55], v25, off
	v_add_co_u32_e32 v22, vcc, v14, v60
	v_add_u32_e32 v32, 0x600, v5
	v_mov_b32_e32 v33, v11
	v_add_co_u32_e64 v26, s[0:1], v14, v26
	v_addc_co_u32_e32 v23, vcc, v15, v61, vcc
	v_lshlrev_b64 v[24:25], 2, v[10:11]
	v_lshlrev_b64 v[32:33], 2, v[32:33]
	v_addc_co_u32_e64 v27, s[0:1], v15, v27, s[0:1]
	v_add_u32_e32 v10, 0x800, v4
	s_waitcnt lgkmcnt(5)
	global_store_dword v[22:23], v28, off
	global_store_dword v[26:27], v29, off
	v_add_co_u32_e32 v22, vcc, v14, v24
	v_add_u32_e32 v36, 0x800, v5
	v_mov_b32_e32 v37, v11
	v_add_co_u32_e64 v32, s[0:1], v14, v32
	v_addc_co_u32_e32 v23, vcc, v15, v25, vcc
	v_lshlrev_b64 v[24:25], 2, v[10:11]
	v_lshlrev_b64 v[36:37], 2, v[36:37]
	v_addc_co_u32_e64 v33, s[0:1], v15, v33, s[0:1]
	v_add_u32_e32 v10, 0xa00, v4
	s_waitcnt lgkmcnt(4)
	global_store_dword v[22:23], v34, off
	global_store_dword v[32:33], v35, off
	v_add_co_u32_e32 v22, vcc, v14, v24
	v_add_u32_e32 v40, 0xa00, v5
	v_mov_b32_e32 v41, v11
	v_add_co_u32_e64 v36, s[0:1], v14, v36
	v_addc_co_u32_e32 v23, vcc, v15, v25, vcc
	v_lshlrev_b64 v[24:25], 2, v[10:11]
	v_lshlrev_b64 v[40:41], 2, v[40:41]
	v_addc_co_u32_e64 v37, s[0:1], v15, v37, s[0:1]
	v_add_u32_e32 v10, 0xc00, v4
	s_waitcnt lgkmcnt(3)
	global_store_dword v[22:23], v38, off
	global_store_dword v[36:37], v39, off
	v_add_co_u32_e32 v22, vcc, v14, v24
	v_add_u32_e32 v44, 0xc00, v5
	v_mov_b32_e32 v45, v11
	v_add_co_u32_e64 v40, s[0:1], v14, v40
	v_addc_co_u32_e32 v23, vcc, v15, v25, vcc
	v_lshlrev_b64 v[24:25], 2, v[10:11]
	v_lshlrev_b64 v[44:45], 2, v[44:45]
	v_addc_co_u32_e64 v41, s[0:1], v15, v41, s[0:1]
	v_add_u32_e32 v10, 0xe00, v4
	s_waitcnt lgkmcnt(2)
	global_store_dword v[22:23], v42, off
	global_store_dword v[40:41], v43, off
	v_add_co_u32_e32 v22, vcc, v14, v24
	v_add_u32_e32 v48, 0xe00, v5
	v_mov_b32_e32 v49, v11
	v_add_co_u32_e64 v44, s[0:1], v14, v44
	v_addc_co_u32_e32 v23, vcc, v15, v25, vcc
	v_lshlrev_b64 v[24:25], 2, v[10:11]
	v_lshlrev_b64 v[48:49], 2, v[48:49]
	v_addc_co_u32_e64 v45, s[0:1], v15, v45, s[0:1]
	s_waitcnt lgkmcnt(1)
	global_store_dword v[22:23], v46, off
	global_store_dword v[44:45], v47, off
	v_add_co_u32_e32 v22, vcc, v14, v24
	v_add_u32_e32 v19, 0x4000, v19
	v_add_u32_e32 v5, 0x1000, v5
	v_mov_b32_e32 v20, s14
	v_add_co_u32_e64 v48, s[0:1], v14, v48
	v_add_u32_e32 v4, 0x1000, v4
	v_addc_co_u32_e32 v23, vcc, v15, v25, vcc
	v_addc_co_u32_e64 v49, s[0:1], v15, v49, s[0:1]
	s_waitcnt lgkmcnt(0)
	global_store_dword v[22:23], v50, off
	global_store_dword v[48:49], v51, off
	s_andn2_b64 exec, exec, s[12:13]
	s_cbranch_execnz .LBB202_201
; %bb.202:
	s_or_b64 exec, exec, s[12:13]
.LBB202_203:
	s_or_b64 exec, exec, s[10:11]
	v_and_b32_e32 v1, 7, v17
	v_cmp_ne_u32_e32 vcc, 0, v1
	s_and_saveexec_b64 s[10:11], vcc
	s_cbranch_execz .LBB202_206
; %bb.204:
	v_lshl_or_b32 v16, v20, 10, v16
	s_mov_b64 s[12:13], 0
	v_mov_b32_e32 v11, 0
.LBB202_205:                            ; =>This Inner Loop Header: Depth=1
	ds_read2st64_b32 v[18:19], v16 offset1:4
	v_mov_b32_e32 v10, v4
	v_add_u32_e32 v1, -1, v1
	v_lshlrev_b64 v[20:21], 2, v[10:11]
	v_mov_b32_e32 v10, v5
	v_cmp_eq_u32_e32 vcc, 0, v1
	v_add_co_u32_e64 v20, s[0:1], v14, v20
	v_lshlrev_b64 v[22:23], 2, v[10:11]
	v_add_u32_e32 v4, 0x200, v4
	v_add_u32_e32 v16, 0x800, v16
	;; [unrolled: 1-line block ×3, first 2 shown]
	v_addc_co_u32_e64 v21, s[0:1], v15, v21, s[0:1]
	s_or_b64 s[12:13], vcc, s[12:13]
	v_add_co_u32_e32 v22, vcc, v14, v22
	v_addc_co_u32_e32 v23, vcc, v15, v23, vcc
	s_waitcnt lgkmcnt(0)
	global_store_dword v[20:21], v18, off
	global_store_dword v[22:23], v19, off
	s_andn2_b64 exec, exec, s[12:13]
	s_cbranch_execnz .LBB202_205
.LBB202_206:
	s_or_b64 exec, exec, s[10:11]
	v_add_u32_e32 v1, 1, v3
	v_and_b32_e32 v3, 0x1fffffe, v1
	v_cmp_ne_u32_e32 vcc, v1, v3
	v_lshl_or_b32 v4, v3, 8, v0
	s_orn2_b64 s[0:1], vcc, exec
.LBB202_207:
	s_or_b64 exec, exec, s[8:9]
	s_andn2_b64 s[4:5], s[4:5], exec
	s_and_b64 s[0:1], s[0:1], exec
	s_or_b64 s[4:5], s[4:5], s[0:1]
.LBB202_208:
	s_or_b64 exec, exec, s[6:7]
	s_and_b64 exec, exec, s[4:5]
	s_cbranch_execz .LBB202_211
; %bb.209:
	v_lshlrev_b32_e32 v1, 2, v4
	s_mov_b64 s[0:1], 0
	v_mov_b32_e32 v5, 0
.LBB202_210:                            ; =>This Inner Loop Header: Depth=1
	v_lshlrev_b64 v[10:11], 2, v[4:5]
	ds_read_b32 v3, v1
	v_add_co_u32_e32 v10, vcc, v14, v10
	v_add_u32_e32 v4, 0x100, v4
	v_addc_co_u32_e32 v11, vcc, v15, v11, vcc
	v_cmp_ge_u32_e32 vcc, v4, v7
	v_add_u32_e32 v1, 0x400, v1
	s_or_b64 s[0:1], vcc, s[0:1]
	s_waitcnt lgkmcnt(0)
	global_store_dword v[10:11], v3, off
	s_andn2_b64 exec, exec, s[0:1]
	s_cbranch_execnz .LBB202_210
.LBB202_211:
	s_or_b64 exec, exec, s[2:3]
.LBB202_212:
	s_movk_i32 s0, 0xff
	v_cmp_eq_u32_e32 vcc, s0, v0
	s_and_b64 s[0:1], vcc, s[34:35]
	s_and_saveexec_b64 s[2:3], s[0:1]
	s_cbranch_execz .LBB202_215
; %bb.213:
	v_add_co_u32_e32 v0, vcc, v2, v6
	v_addc_co_u32_e64 v1, s[0:1], 0, 0, vcc
	v_add_co_u32_e32 v0, vcc, v0, v8
	v_mov_b32_e32 v3, 0
	v_addc_co_u32_e32 v1, vcc, v1, v9, vcc
	s_cmpk_lg_i32 s33, 0xf00
	global_store_dwordx2 v3, v[0:1], s[54:55]
	s_cbranch_scc1 .LBB202_215
; %bb.214:
	v_lshlrev_b64 v[0:1], 2, v[2:3]
	v_add_co_u32_e32 v0, vcc, v12, v0
	v_addc_co_u32_e32 v1, vcc, v13, v1, vcc
	global_store_dword v[0:1], v30, off offset:-4
.LBB202_215:
	s_endpgm
.LBB202_216:
                                        ; implicit-def: $sgpr8_sgpr9
                                        ; implicit-def: $vgpr60
                                        ; implicit-def: $vgpr5
                                        ; implicit-def: $vgpr61
                                        ; implicit-def: $vgpr27
                                        ; implicit-def: $vgpr26
                                        ; implicit-def: $vgpr29
                                        ; implicit-def: $vgpr28
                                        ; implicit-def: $vgpr33
                                        ; implicit-def: $vgpr32
                                        ; implicit-def: $vgpr35
                                        ; implicit-def: $vgpr34
                                        ; implicit-def: $vgpr37
                                        ; implicit-def: $vgpr36
                                        ; implicit-def: $vgpr39
	s_cbranch_execz .LBB202_110
.LBB202_217:
	v_mov_b32_e32 v31, 0
	v_lshlrev_b32_e32 v4, 2, v0
	v_cmp_gt_u64_e32 vcc, s[2:3], v[30:31]
	v_mov_b32_e32 v60, 0
	ds_write_b32 v4, v1
	s_and_saveexec_b64 s[4:5], vcc
	s_cbranch_execz .LBB202_219
; %bb.218:
	v_cvt_i32_f32_e32 v3, v13
	v_cvt_i32_f32_e32 v5, v1
	s_mov_b32 s7, 0x66666667
	v_mul_hi_i32 v3, v3, s7
	s_waitcnt vmcnt(0) lgkmcnt(0)
	v_lshrrev_b32_e32 v6, 31, v3
	v_ashrrev_i32_e32 v3, 2, v3
	v_mul_hi_i32 v5, v5, s7
	v_add_u32_e32 v3, v3, v6
	v_lshrrev_b32_e32 v6, 31, v5
	v_ashrrev_i32_e32 v5, 2, v5
	v_add_u32_e32 v5, v5, v6
	v_cmp_ne_u32_e32 vcc, v3, v5
	v_cndmask_b32_e64 v60, 0, 1, vcc
.LBB202_219:
	s_or_b64 exec, exec, s[4:5]
	v_add_u32_e32 v30, 13, v2
	v_cmp_gt_u64_e32 vcc, s[2:3], v[30:31]
	s_and_saveexec_b64 s[4:5], vcc
	s_cbranch_execz .LBB202_221
; %bb.220:
	v_cvt_i32_f32_e32 v3, v12
	v_cvt_i32_f32_e32 v5, v13
	s_mov_b32 s7, 0x66666667
	v_mul_hi_i32 v3, v3, s7
	s_waitcnt vmcnt(0) lgkmcnt(0)
	v_lshrrev_b32_e32 v6, 31, v3
	v_ashrrev_i32_e32 v3, 2, v3
	v_mul_hi_i32 v5, v5, s7
	v_add_u32_e32 v3, v3, v6
	v_lshrrev_b32_e32 v6, 31, v5
	v_ashrrev_i32_e32 v5, 2, v5
	v_add_u32_e32 v5, v5, v6
	v_cmp_ne_u32_e32 vcc, v3, v5
	v_cndmask_b32_e64 v31, 0, 1, vcc
.LBB202_221:
	s_or_b64 exec, exec, s[4:5]
	v_add_u32_e32 v26, 12, v2
	v_mov_b32_e32 v27, 0
	v_cmp_gt_u64_e32 vcc, s[2:3], v[26:27]
	v_mov_b32_e32 v61, 0
	s_and_saveexec_b64 s[4:5], vcc
	s_cbranch_execz .LBB202_223
; %bb.222:
	v_cvt_i32_f32_e32 v3, v15
	v_cvt_i32_f32_e32 v5, v12
	s_mov_b32 s7, 0x66666667
	v_mul_hi_i32 v3, v3, s7
	s_waitcnt vmcnt(0) lgkmcnt(0)
	v_lshrrev_b32_e32 v6, 31, v3
	v_ashrrev_i32_e32 v3, 2, v3
	v_mul_hi_i32 v5, v5, s7
	v_add_u32_e32 v3, v3, v6
	v_lshrrev_b32_e32 v6, 31, v5
	v_ashrrev_i32_e32 v5, 2, v5
	v_add_u32_e32 v5, v5, v6
	v_cmp_ne_u32_e32 vcc, v3, v5
	v_cndmask_b32_e64 v61, 0, 1, vcc
.LBB202_223:
	s_or_b64 exec, exec, s[4:5]
	v_add_u32_e32 v26, 11, v2
	v_cmp_gt_u64_e32 vcc, s[2:3], v[26:27]
	s_and_saveexec_b64 s[4:5], vcc
	s_cbranch_execz .LBB202_225
; %bb.224:
	v_cvt_i32_f32_e32 v3, v14
	v_cvt_i32_f32_e32 v5, v15
	s_mov_b32 s7, 0x66666667
	v_mul_hi_i32 v3, v3, s7
	s_waitcnt vmcnt(0) lgkmcnt(0)
	v_lshrrev_b32_e32 v6, 31, v3
	v_ashrrev_i32_e32 v3, 2, v3
	v_mul_hi_i32 v5, v5, s7
	v_add_u32_e32 v3, v3, v6
	v_lshrrev_b32_e32 v6, 31, v5
	v_ashrrev_i32_e32 v5, 2, v5
	v_add_u32_e32 v5, v5, v6
	v_cmp_ne_u32_e32 vcc, v3, v5
	v_cndmask_b32_e64 v27, 0, 1, vcc
.LBB202_225:
	s_or_b64 exec, exec, s[4:5]
	v_add_u32_e32 v28, 10, v2
	v_mov_b32_e32 v29, 0
	v_cmp_gt_u64_e32 vcc, s[2:3], v[28:29]
	v_mov_b32_e32 v26, 0
	s_and_saveexec_b64 s[4:5], vcc
	s_cbranch_execz .LBB202_227
; %bb.226:
	v_cvt_i32_f32_e32 v3, v17
	v_cvt_i32_f32_e32 v5, v14
	s_mov_b32 s7, 0x66666667
	v_mul_hi_i32 v3, v3, s7
	s_waitcnt vmcnt(0) lgkmcnt(0)
	v_lshrrev_b32_e32 v6, 31, v3
	v_ashrrev_i32_e32 v3, 2, v3
	v_mul_hi_i32 v5, v5, s7
	v_add_u32_e32 v3, v3, v6
	v_lshrrev_b32_e32 v6, 31, v5
	v_ashrrev_i32_e32 v5, 2, v5
	v_add_u32_e32 v5, v5, v6
	v_cmp_ne_u32_e32 vcc, v3, v5
	v_cndmask_b32_e64 v26, 0, 1, vcc
.LBB202_227:
	s_or_b64 exec, exec, s[4:5]
	v_add_u32_e32 v28, 9, v2
	v_cmp_gt_u64_e32 vcc, s[2:3], v[28:29]
	s_and_saveexec_b64 s[4:5], vcc
	s_cbranch_execz .LBB202_229
; %bb.228:
	v_cvt_i32_f32_e32 v3, v16
	v_cvt_i32_f32_e32 v5, v17
	s_mov_b32 s7, 0x66666667
	v_mul_hi_i32 v3, v3, s7
	s_waitcnt vmcnt(0) lgkmcnt(0)
	v_lshrrev_b32_e32 v6, 31, v3
	v_ashrrev_i32_e32 v3, 2, v3
	v_mul_hi_i32 v5, v5, s7
	v_add_u32_e32 v3, v3, v6
	v_lshrrev_b32_e32 v6, 31, v5
	v_ashrrev_i32_e32 v5, 2, v5
	v_add_u32_e32 v5, v5, v6
	v_cmp_ne_u32_e32 vcc, v3, v5
	v_cndmask_b32_e64 v29, 0, 1, vcc
.LBB202_229:
	s_or_b64 exec, exec, s[4:5]
	v_add_u32_e32 v32, 8, v2
	v_mov_b32_e32 v33, 0
	v_cmp_gt_u64_e32 vcc, s[2:3], v[32:33]
	v_mov_b32_e32 v28, 0
	s_and_saveexec_b64 s[4:5], vcc
	s_cbranch_execz .LBB202_231
; %bb.230:
	v_cvt_i32_f32_e32 v3, v19
	v_cvt_i32_f32_e32 v5, v16
	s_mov_b32 s7, 0x66666667
	v_mul_hi_i32 v3, v3, s7
	s_waitcnt vmcnt(0) lgkmcnt(0)
	v_lshrrev_b32_e32 v6, 31, v3
	v_ashrrev_i32_e32 v3, 2, v3
	v_mul_hi_i32 v5, v5, s7
	v_add_u32_e32 v3, v3, v6
	v_lshrrev_b32_e32 v6, 31, v5
	v_ashrrev_i32_e32 v5, 2, v5
	v_add_u32_e32 v5, v5, v6
	v_cmp_ne_u32_e32 vcc, v3, v5
	v_cndmask_b32_e64 v28, 0, 1, vcc
.LBB202_231:
	s_or_b64 exec, exec, s[4:5]
	v_add_u32_e32 v32, 7, v2
	v_cmp_gt_u64_e32 vcc, s[2:3], v[32:33]
	s_and_saveexec_b64 s[4:5], vcc
	s_cbranch_execz .LBB202_233
; %bb.232:
	v_cvt_i32_f32_e32 v3, v18
	v_cvt_i32_f32_e32 v5, v19
	s_mov_b32 s7, 0x66666667
	v_mul_hi_i32 v3, v3, s7
	s_waitcnt vmcnt(0) lgkmcnt(0)
	v_lshrrev_b32_e32 v6, 31, v3
	v_ashrrev_i32_e32 v3, 2, v3
	v_mul_hi_i32 v5, v5, s7
	v_add_u32_e32 v3, v3, v6
	v_lshrrev_b32_e32 v6, 31, v5
	v_ashrrev_i32_e32 v5, 2, v5
	v_add_u32_e32 v5, v5, v6
	v_cmp_ne_u32_e32 vcc, v3, v5
	v_cndmask_b32_e64 v33, 0, 1, vcc
.LBB202_233:
	s_or_b64 exec, exec, s[4:5]
	v_add_u32_e32 v34, 6, v2
	v_mov_b32_e32 v35, 0
	v_cmp_gt_u64_e32 vcc, s[2:3], v[34:35]
	v_mov_b32_e32 v32, 0
	s_and_saveexec_b64 s[4:5], vcc
	s_cbranch_execz .LBB202_235
; %bb.234:
	v_cvt_i32_f32_e32 v3, v21
	v_cvt_i32_f32_e32 v5, v18
	s_mov_b32 s7, 0x66666667
	v_mul_hi_i32 v3, v3, s7
	s_waitcnt vmcnt(0) lgkmcnt(0)
	v_lshrrev_b32_e32 v6, 31, v3
	v_ashrrev_i32_e32 v3, 2, v3
	v_mul_hi_i32 v5, v5, s7
	v_add_u32_e32 v3, v3, v6
	v_lshrrev_b32_e32 v6, 31, v5
	v_ashrrev_i32_e32 v5, 2, v5
	v_add_u32_e32 v5, v5, v6
	v_cmp_ne_u32_e32 vcc, v3, v5
	v_cndmask_b32_e64 v32, 0, 1, vcc
.LBB202_235:
	s_or_b64 exec, exec, s[4:5]
	v_add_u32_e32 v34, 5, v2
	v_cmp_gt_u64_e32 vcc, s[2:3], v[34:35]
	s_and_saveexec_b64 s[4:5], vcc
	s_cbranch_execz .LBB202_237
; %bb.236:
	v_cvt_i32_f32_e32 v3, v20
	v_cvt_i32_f32_e32 v5, v21
	s_mov_b32 s7, 0x66666667
	v_mul_hi_i32 v3, v3, s7
	s_waitcnt vmcnt(0) lgkmcnt(0)
	v_lshrrev_b32_e32 v6, 31, v3
	v_ashrrev_i32_e32 v3, 2, v3
	v_mul_hi_i32 v5, v5, s7
	v_add_u32_e32 v3, v3, v6
	v_lshrrev_b32_e32 v6, 31, v5
	v_ashrrev_i32_e32 v5, 2, v5
	v_add_u32_e32 v5, v5, v6
	v_cmp_ne_u32_e32 vcc, v3, v5
	v_cndmask_b32_e64 v35, 0, 1, vcc
.LBB202_237:
	s_or_b64 exec, exec, s[4:5]
	v_add_u32_e32 v36, 4, v2
	v_mov_b32_e32 v37, 0
	v_cmp_gt_u64_e32 vcc, s[2:3], v[36:37]
	v_mov_b32_e32 v34, 0
	s_and_saveexec_b64 s[4:5], vcc
	s_cbranch_execz .LBB202_239
; %bb.238:
	v_cvt_i32_f32_e32 v3, v23
	v_cvt_i32_f32_e32 v5, v20
	s_mov_b32 s7, 0x66666667
	v_mul_hi_i32 v3, v3, s7
	s_waitcnt vmcnt(0) lgkmcnt(0)
	v_lshrrev_b32_e32 v6, 31, v3
	v_ashrrev_i32_e32 v3, 2, v3
	v_mul_hi_i32 v5, v5, s7
	v_add_u32_e32 v3, v3, v6
	v_lshrrev_b32_e32 v6, 31, v5
	v_ashrrev_i32_e32 v5, 2, v5
	v_add_u32_e32 v5, v5, v6
	v_cmp_ne_u32_e32 vcc, v3, v5
	v_cndmask_b32_e64 v34, 0, 1, vcc
.LBB202_239:
	s_or_b64 exec, exec, s[4:5]
	v_add_u32_e32 v36, 3, v2
	v_cmp_gt_u64_e32 vcc, s[2:3], v[36:37]
	s_and_saveexec_b64 s[4:5], vcc
	s_cbranch_execz .LBB202_241
; %bb.240:
	v_cvt_i32_f32_e32 v3, v22
	v_cvt_i32_f32_e32 v5, v23
	s_mov_b32 s7, 0x66666667
	v_mul_hi_i32 v3, v3, s7
	s_waitcnt vmcnt(0) lgkmcnt(0)
	v_lshrrev_b32_e32 v6, 31, v3
	v_ashrrev_i32_e32 v3, 2, v3
	v_mul_hi_i32 v5, v5, s7
	v_add_u32_e32 v3, v3, v6
	v_lshrrev_b32_e32 v6, 31, v5
	v_ashrrev_i32_e32 v5, 2, v5
	v_add_u32_e32 v5, v5, v6
	v_cmp_ne_u32_e32 vcc, v3, v5
	v_cndmask_b32_e64 v37, 0, 1, vcc
.LBB202_241:
	s_or_b64 exec, exec, s[4:5]
	v_add_u32_e32 v38, 2, v2
	v_mov_b32_e32 v39, 0
	v_cmp_gt_u64_e32 vcc, s[2:3], v[38:39]
	v_mov_b32_e32 v36, 0
	s_and_saveexec_b64 s[4:5], vcc
	s_cbranch_execz .LBB202_243
; %bb.242:
	v_cvt_i32_f32_e32 v3, v25
	v_cvt_i32_f32_e32 v5, v22
	s_mov_b32 s7, 0x66666667
	v_mul_hi_i32 v3, v3, s7
	s_waitcnt vmcnt(0) lgkmcnt(0)
	v_lshrrev_b32_e32 v6, 31, v3
	v_ashrrev_i32_e32 v3, 2, v3
	v_mul_hi_i32 v5, v5, s7
	v_add_u32_e32 v3, v3, v6
	v_lshrrev_b32_e32 v6, 31, v5
	v_ashrrev_i32_e32 v5, 2, v5
	v_add_u32_e32 v5, v5, v6
	v_cmp_ne_u32_e32 vcc, v3, v5
	v_cndmask_b32_e64 v36, 0, 1, vcc
.LBB202_243:
	s_or_b64 exec, exec, s[4:5]
	v_add_u32_e32 v38, 1, v2
	v_cmp_gt_u64_e32 vcc, s[2:3], v[38:39]
	s_and_saveexec_b64 s[4:5], vcc
	s_cbranch_execz .LBB202_245
; %bb.244:
	v_cvt_i32_f32_e32 v3, v24
	v_cvt_i32_f32_e32 v5, v25
	s_mov_b32 s7, 0x66666667
	v_mul_hi_i32 v3, v3, s7
	s_waitcnt vmcnt(0) lgkmcnt(0)
	v_lshrrev_b32_e32 v6, 31, v3
	v_ashrrev_i32_e32 v3, 2, v3
	v_mul_hi_i32 v5, v5, s7
	v_add_u32_e32 v3, v3, v6
	v_lshrrev_b32_e32 v6, 31, v5
	v_ashrrev_i32_e32 v5, 2, v5
	v_add_u32_e32 v5, v5, v6
	v_cmp_ne_u32_e32 vcc, v3, v5
	v_cndmask_b32_e64 v39, 0, 1, vcc
.LBB202_245:
	s_or_b64 exec, exec, s[4:5]
	v_cmp_ne_u32_e32 vcc, 0, v0
	s_waitcnt lgkmcnt(0)
	s_barrier
	s_waitcnt lgkmcnt(0)
                                        ; implicit-def: $sgpr8_sgpr9
	s_and_saveexec_b64 s[4:5], vcc
	s_cbranch_execz .LBB202_249
; %bb.246:
	v_mov_b32_e32 v3, 0
	v_cmp_gt_u64_e32 vcc, s[2:3], v[2:3]
	s_mov_b64 s[8:9], 0
	s_and_saveexec_b64 s[2:3], vcc
	s_cbranch_execz .LBB202_248
; %bb.247:
	v_add_u32_e32 v2, -4, v4
	ds_read_b32 v2, v2
	v_cvt_i32_f32_e32 v3, v24
	s_mov_b32 s7, 0x66666667
	v_mul_hi_i32 v3, v3, s7
	s_waitcnt lgkmcnt(0)
	v_cvt_i32_f32_e32 v2, v2
	v_lshrrev_b32_e32 v4, 31, v3
	v_ashrrev_i32_e32 v3, 2, v3
	v_add_u32_e32 v3, v3, v4
	v_mul_hi_i32 v2, v2, s7
	v_lshrrev_b32_e32 v5, 31, v2
	v_ashrrev_i32_e32 v2, 2, v2
	v_add_u32_e32 v2, v2, v5
	v_cmp_ne_u32_e32 vcc, v2, v3
	s_and_b64 s[8:9], vcc, exec
.LBB202_248:
	s_or_b64 exec, exec, s[2:3]
	s_and_b64 s[8:9], s[8:9], exec
	s_or_b64 s[0:1], s[0:1], exec
.LBB202_249:
	s_or_b64 exec, exec, s[4:5]
	s_mov_b32 s10, 1
	v_mov_b32_e32 v5, v31
	v_mov_b32_e32 v38, s10
	s_and_saveexec_b64 s[2:3], s[0:1]
	s_cbranch_execnz .LBB202_112
	s_branch .LBB202_113
.LBB202_250:
	s_and_saveexec_b64 s[40:41], s[28:29]
	s_cbranch_execnz .LBB202_318
; %bb.251:
	s_or_b64 exec, exec, s[40:41]
	s_and_saveexec_b64 s[40:41], s[26:27]
	s_cbranch_execnz .LBB202_319
.LBB202_252:
	s_or_b64 exec, exec, s[40:41]
	s_and_saveexec_b64 s[40:41], s[24:25]
	s_cbranch_execnz .LBB202_320
.LBB202_253:
	s_or_b64 exec, exec, s[40:41]
	s_and_saveexec_b64 s[40:41], s[22:23]
	s_cbranch_execnz .LBB202_321
.LBB202_254:
	s_or_b64 exec, exec, s[40:41]
	s_and_saveexec_b64 s[40:41], s[20:21]
	s_cbranch_execnz .LBB202_322
.LBB202_255:
	s_or_b64 exec, exec, s[40:41]
	s_and_saveexec_b64 s[40:41], s[18:19]
	s_cbranch_execnz .LBB202_323
.LBB202_256:
	s_or_b64 exec, exec, s[40:41]
	s_and_saveexec_b64 s[40:41], s[16:17]
	s_cbranch_execnz .LBB202_324
.LBB202_257:
	s_or_b64 exec, exec, s[40:41]
	s_and_saveexec_b64 s[40:41], s[14:15]
	s_cbranch_execnz .LBB202_325
.LBB202_258:
	s_or_b64 exec, exec, s[40:41]
	s_and_saveexec_b64 s[40:41], s[12:13]
	s_cbranch_execnz .LBB202_326
.LBB202_259:
	s_or_b64 exec, exec, s[40:41]
	s_and_saveexec_b64 s[40:41], s[10:11]
	s_cbranch_execnz .LBB202_327
.LBB202_260:
	s_or_b64 exec, exec, s[40:41]
	s_and_saveexec_b64 s[40:41], s[8:9]
	s_cbranch_execnz .LBB202_328
.LBB202_261:
	s_or_b64 exec, exec, s[40:41]
	s_and_saveexec_b64 s[40:41], s[6:7]
	s_cbranch_execnz .LBB202_329
.LBB202_262:
	s_or_b64 exec, exec, s[40:41]
	s_and_saveexec_b64 s[40:41], s[4:5]
	s_cbranch_execnz .LBB202_330
.LBB202_263:
	s_or_b64 exec, exec, s[40:41]
	s_and_saveexec_b64 s[40:41], s[2:3]
	s_cbranch_execz .LBB202_265
.LBB202_264:
	v_sub_u32_e32 v74, v4, v6
	v_mov_b32_e32 v75, 0
	v_lshlrev_b64 v[74:75], 2, v[74:75]
	v_add_co_u32_e32 v74, vcc, v7, v74
	v_addc_co_u32_e32 v75, vcc, v62, v75, vcc
	global_store_dword v[74:75], v13, off
.LBB202_265:
	s_or_b64 exec, exec, s[40:41]
	s_and_b64 s[40:41], s[0:1], exec
	s_andn2_saveexec_b64 s[30:31], s[30:31]
	s_cbranch_execz .LBB202_158
.LBB202_266:
	v_sub_u32_e32 v74, v5, v6
	v_mov_b32_e32 v75, 0
	v_lshlrev_b64 v[76:77], 2, v[74:75]
	v_add_co_u32_e32 v76, vcc, v7, v76
	v_addc_co_u32_e32 v77, vcc, v62, v77, vcc
	v_sub_u32_e32 v74, v53, v6
	global_store_dword v[76:77], v24, off
	v_lshlrev_b64 v[76:77], 2, v[74:75]
	v_add_co_u32_e32 v76, vcc, v7, v76
	v_addc_co_u32_e32 v77, vcc, v62, v77, vcc
	v_sub_u32_e32 v74, v52, v6
	global_store_dword v[76:77], v25, off
	;; [unrolled: 5-line block ×12, first 2 shown]
	v_lshlrev_b64 v[76:77], 2, v[74:75]
	v_add_co_u32_e32 v76, vcc, v7, v76
	v_sub_u32_e32 v74, v4, v6
	v_addc_co_u32_e32 v77, vcc, v62, v77, vcc
	v_lshlrev_b64 v[74:75], 2, v[74:75]
	v_add_co_u32_e32 v74, vcc, v7, v74
	v_addc_co_u32_e32 v75, vcc, v62, v75, vcc
	s_or_b64 s[40:41], s[40:41], exec
	global_store_dword v[76:77], v12, off
	global_store_dword v[74:75], v13, off
	s_or_b64 exec, exec, s[30:31]
	s_and_b64 exec, exec, s[40:41]
	s_cbranch_execnz .LBB202_159
	s_branch .LBB202_160
.LBB202_267:
	s_and_saveexec_b64 s[40:41], s[28:29]
	s_cbranch_execnz .LBB202_331
; %bb.268:
	s_or_b64 exec, exec, s[40:41]
	s_and_saveexec_b64 s[28:29], s[26:27]
	s_cbranch_execnz .LBB202_332
.LBB202_269:
	s_or_b64 exec, exec, s[28:29]
	s_and_saveexec_b64 s[26:27], s[24:25]
	s_cbranch_execnz .LBB202_333
.LBB202_270:
	s_or_b64 exec, exec, s[26:27]
	s_and_saveexec_b64 s[24:25], s[22:23]
	s_cbranch_execnz .LBB202_334
.LBB202_271:
	s_or_b64 exec, exec, s[24:25]
	s_and_saveexec_b64 s[22:23], s[20:21]
	s_cbranch_execnz .LBB202_335
.LBB202_272:
	s_or_b64 exec, exec, s[22:23]
	s_and_saveexec_b64 s[20:21], s[18:19]
	s_cbranch_execnz .LBB202_336
.LBB202_273:
	s_or_b64 exec, exec, s[20:21]
	s_and_saveexec_b64 s[18:19], s[16:17]
	s_cbranch_execnz .LBB202_337
.LBB202_274:
	s_or_b64 exec, exec, s[18:19]
	s_and_saveexec_b64 s[16:17], s[14:15]
	s_cbranch_execnz .LBB202_338
.LBB202_275:
	s_or_b64 exec, exec, s[16:17]
	s_and_saveexec_b64 s[14:15], s[12:13]
	s_cbranch_execnz .LBB202_339
.LBB202_276:
	s_or_b64 exec, exec, s[14:15]
	s_and_saveexec_b64 s[12:13], s[10:11]
	s_cbranch_execnz .LBB202_340
.LBB202_277:
	s_or_b64 exec, exec, s[12:13]
	s_and_saveexec_b64 s[10:11], s[8:9]
	s_cbranch_execnz .LBB202_341
.LBB202_278:
	s_or_b64 exec, exec, s[10:11]
	s_and_saveexec_b64 s[8:9], s[6:7]
	s_cbranch_execnz .LBB202_342
.LBB202_279:
	s_or_b64 exec, exec, s[8:9]
	s_and_saveexec_b64 s[6:7], s[4:5]
	s_cbranch_execnz .LBB202_343
.LBB202_280:
	s_or_b64 exec, exec, s[6:7]
	s_and_saveexec_b64 s[4:5], s[2:3]
	s_cbranch_execz .LBB202_282
.LBB202_281:
	v_sub_u32_e32 v12, v4, v6
	v_lshlrev_b32_e32 v12, 2, v12
	ds_write_b32 v12, v13
.LBB202_282:
	s_or_b64 exec, exec, s[4:5]
	s_and_b64 s[40:41], s[0:1], exec
                                        ; implicit-def: $vgpr24_vgpr25
                                        ; implicit-def: $vgpr22_vgpr23
                                        ; implicit-def: $vgpr20_vgpr21
                                        ; implicit-def: $vgpr18_vgpr19
                                        ; implicit-def: $vgpr16_vgpr17
                                        ; implicit-def: $vgpr14_vgpr15
                                        ; implicit-def: $vgpr12_vgpr13
	s_andn2_saveexec_b64 s[0:1], s[38:39]
	s_cbranch_execz .LBB202_165
.LBB202_283:
	v_sub_u32_e32 v72, v5, v6
	v_lshlrev_b32_e32 v72, 2, v72
	ds_write_b32 v72, v24
	v_sub_u32_e32 v24, v53, v6
	v_lshlrev_b32_e32 v24, 2, v24
	ds_write_b32 v24, v25
	;; [unrolled: 3-line block ×13, first 2 shown]
	v_sub_u32_e32 v12, v4, v6
	v_lshlrev_b32_e32 v12, 2, v12
	s_or_b64 s[40:41], s[40:41], exec
	ds_write_b32 v12, v13
	s_or_b64 exec, exec, s[0:1]
	s_and_b64 exec, exec, s[40:41]
	s_cbranch_execnz .LBB202_166
	s_branch .LBB202_167
.LBB202_284:
	s_and_saveexec_b64 s[38:39], s[28:29]
	s_cbranch_execnz .LBB202_344
; %bb.285:
	s_or_b64 exec, exec, s[38:39]
	s_and_saveexec_b64 s[38:39], s[26:27]
	s_cbranch_execnz .LBB202_345
.LBB202_286:
	s_or_b64 exec, exec, s[38:39]
	s_and_saveexec_b64 s[38:39], s[24:25]
	s_cbranch_execnz .LBB202_346
.LBB202_287:
	s_or_b64 exec, exec, s[38:39]
	s_and_saveexec_b64 s[38:39], s[22:23]
	s_cbranch_execnz .LBB202_347
.LBB202_288:
	s_or_b64 exec, exec, s[38:39]
	s_and_saveexec_b64 s[38:39], s[20:21]
	s_cbranch_execnz .LBB202_348
.LBB202_289:
	s_or_b64 exec, exec, s[38:39]
	s_and_saveexec_b64 s[38:39], s[18:19]
	s_cbranch_execnz .LBB202_349
.LBB202_290:
	s_or_b64 exec, exec, s[38:39]
	s_and_saveexec_b64 s[38:39], s[16:17]
	s_cbranch_execnz .LBB202_350
.LBB202_291:
	s_or_b64 exec, exec, s[38:39]
	s_and_saveexec_b64 s[38:39], s[14:15]
	s_cbranch_execnz .LBB202_351
.LBB202_292:
	s_or_b64 exec, exec, s[38:39]
	s_and_saveexec_b64 s[38:39], s[12:13]
	s_cbranch_execnz .LBB202_352
.LBB202_293:
	s_or_b64 exec, exec, s[38:39]
	s_and_saveexec_b64 s[38:39], s[10:11]
	s_cbranch_execnz .LBB202_353
.LBB202_294:
	s_or_b64 exec, exec, s[38:39]
	s_and_saveexec_b64 s[38:39], s[8:9]
	s_cbranch_execnz .LBB202_354
.LBB202_295:
	s_or_b64 exec, exec, s[38:39]
	s_and_saveexec_b64 s[38:39], s[6:7]
	s_cbranch_execnz .LBB202_355
.LBB202_296:
	s_or_b64 exec, exec, s[38:39]
	s_and_saveexec_b64 s[38:39], s[4:5]
	s_cbranch_execnz .LBB202_356
.LBB202_297:
	s_or_b64 exec, exec, s[38:39]
	s_and_saveexec_b64 s[38:39], s[2:3]
	s_cbranch_execz .LBB202_299
.LBB202_298:
	v_sub_u32_e32 v18, v4, v10
	v_mov_b32_e32 v19, 0
	v_lshlrev_b64 v[18:19], 2, v[18:19]
	v_add_co_u32_e32 v18, vcc, v14, v18
	v_addc_co_u32_e32 v19, vcc, v15, v19, vcc
	global_store_dword v[18:19], v54, off
.LBB202_299:
	s_or_b64 exec, exec, s[38:39]
	s_and_b64 s[38:39], s[0:1], exec
	s_andn2_saveexec_b64 s[30:31], s[30:31]
	s_cbranch_execz .LBB202_187
.LBB202_300:
	v_sub_u32_e32 v18, v5, v10
	v_mov_b32_e32 v19, 0
	v_lshlrev_b64 v[20:21], 2, v[18:19]
	v_add_co_u32_e32 v20, vcc, v14, v20
	v_addc_co_u32_e32 v21, vcc, v15, v21, vcc
	v_sub_u32_e32 v18, v53, v10
	global_store_dword v[20:21], v71, off
	v_lshlrev_b64 v[20:21], 2, v[18:19]
	v_add_co_u32_e32 v20, vcc, v14, v20
	v_addc_co_u32_e32 v21, vcc, v15, v21, vcc
	v_sub_u32_e32 v18, v52, v10
	global_store_dword v[20:21], v70, off
	;; [unrolled: 5-line block ×12, first 2 shown]
	v_lshlrev_b64 v[20:21], 2, v[18:19]
	v_add_co_u32_e32 v20, vcc, v14, v20
	v_sub_u32_e32 v18, v4, v10
	v_addc_co_u32_e32 v21, vcc, v15, v21, vcc
	v_lshlrev_b64 v[18:19], 2, v[18:19]
	v_add_co_u32_e32 v18, vcc, v14, v18
	v_addc_co_u32_e32 v19, vcc, v15, v19, vcc
	s_or_b64 s[38:39], s[38:39], exec
	global_store_dword v[20:21], v55, off
	global_store_dword v[18:19], v54, off
	s_or_b64 exec, exec, s[30:31]
	s_and_b64 exec, exec, s[38:39]
	s_cbranch_execnz .LBB202_188
	s_branch .LBB202_189
.LBB202_301:
	s_and_saveexec_b64 s[38:39], s[28:29]
	s_cbranch_execnz .LBB202_357
; %bb.302:
	s_or_b64 exec, exec, s[38:39]
	s_and_saveexec_b64 s[28:29], s[26:27]
	s_cbranch_execnz .LBB202_358
.LBB202_303:
	s_or_b64 exec, exec, s[28:29]
	s_and_saveexec_b64 s[26:27], s[24:25]
	s_cbranch_execnz .LBB202_359
.LBB202_304:
	s_or_b64 exec, exec, s[26:27]
	s_and_saveexec_b64 s[24:25], s[22:23]
	s_cbranch_execnz .LBB202_360
.LBB202_305:
	s_or_b64 exec, exec, s[24:25]
	s_and_saveexec_b64 s[22:23], s[20:21]
	s_cbranch_execnz .LBB202_361
.LBB202_306:
	s_or_b64 exec, exec, s[22:23]
	s_and_saveexec_b64 s[20:21], s[18:19]
	s_cbranch_execnz .LBB202_362
.LBB202_307:
	s_or_b64 exec, exec, s[20:21]
	s_and_saveexec_b64 s[18:19], s[16:17]
	s_cbranch_execnz .LBB202_363
.LBB202_308:
	s_or_b64 exec, exec, s[18:19]
	s_and_saveexec_b64 s[16:17], s[14:15]
	s_cbranch_execnz .LBB202_364
.LBB202_309:
	s_or_b64 exec, exec, s[16:17]
	s_and_saveexec_b64 s[14:15], s[12:13]
	s_cbranch_execnz .LBB202_365
.LBB202_310:
	s_or_b64 exec, exec, s[14:15]
	s_and_saveexec_b64 s[12:13], s[10:11]
	s_cbranch_execnz .LBB202_366
.LBB202_311:
	s_or_b64 exec, exec, s[12:13]
	s_and_saveexec_b64 s[10:11], s[8:9]
	s_cbranch_execnz .LBB202_367
.LBB202_312:
	s_or_b64 exec, exec, s[10:11]
	s_and_saveexec_b64 s[8:9], s[6:7]
	s_cbranch_execnz .LBB202_368
.LBB202_313:
	s_or_b64 exec, exec, s[8:9]
	s_and_saveexec_b64 s[6:7], s[4:5]
	s_cbranch_execnz .LBB202_369
.LBB202_314:
	s_or_b64 exec, exec, s[6:7]
	s_and_saveexec_b64 s[4:5], s[2:3]
	s_cbranch_execz .LBB202_316
.LBB202_315:
	v_sub_u32_e32 v4, v4, v10
	v_lshlrev_b32_e32 v4, 2, v4
	ds_write_b32 v4, v54
.LBB202_316:
	s_or_b64 exec, exec, s[4:5]
	s_and_b64 s[38:39], s[0:1], exec
                                        ; implicit-def: $vgpr54
                                        ; implicit-def: $vgpr55
                                        ; implicit-def: $vgpr56
                                        ; implicit-def: $vgpr58
                                        ; implicit-def: $vgpr59
                                        ; implicit-def: $vgpr63
                                        ; implicit-def: $vgpr64
                                        ; implicit-def: $vgpr65
                                        ; implicit-def: $vgpr66
                                        ; implicit-def: $vgpr67
                                        ; implicit-def: $vgpr68
                                        ; implicit-def: $vgpr69
                                        ; implicit-def: $vgpr70
                                        ; implicit-def: $vgpr71
                                        ; implicit-def: $vgpr53
                                        ; implicit-def: $vgpr52
                                        ; implicit-def: $vgpr51
                                        ; implicit-def: $vgpr50
                                        ; implicit-def: $vgpr49
                                        ; implicit-def: $vgpr48
                                        ; implicit-def: $vgpr47
                                        ; implicit-def: $vgpr46
                                        ; implicit-def: $vgpr45
                                        ; implicit-def: $vgpr44
                                        ; implicit-def: $vgpr43
                                        ; implicit-def: $vgpr42
                                        ; implicit-def: $vgpr4
	s_andn2_saveexec_b64 s[0:1], s[36:37]
	s_cbranch_execz .LBB202_194
.LBB202_317:
	v_sub_u32_e32 v5, v5, v10
	v_lshlrev_b32_e32 v5, 2, v5
	ds_write_b32 v5, v71
	v_sub_u32_e32 v5, v53, v10
	v_lshlrev_b32_e32 v5, 2, v5
	ds_write_b32 v5, v70
	;; [unrolled: 3-line block ×12, first 2 shown]
	v_sub_u32_e32 v5, v42, v10
	v_sub_u32_e32 v4, v4, v10
	v_lshlrev_b32_e32 v5, 2, v5
	v_lshlrev_b32_e32 v4, 2, v4
	s_or_b64 s[38:39], s[38:39], exec
	ds_write_b32 v5, v55
	ds_write_b32 v4, v54
	s_or_b64 exec, exec, s[0:1]
	s_and_b64 exec, exec, s[38:39]
	s_cbranch_execnz .LBB202_195
	s_branch .LBB202_196
.LBB202_318:
	v_sub_u32_e32 v74, v5, v6
	v_mov_b32_e32 v75, 0
	v_lshlrev_b64 v[74:75], 2, v[74:75]
	v_add_co_u32_e32 v74, vcc, v7, v74
	v_addc_co_u32_e32 v75, vcc, v62, v75, vcc
	global_store_dword v[74:75], v24, off
	s_or_b64 exec, exec, s[40:41]
	s_and_saveexec_b64 s[40:41], s[26:27]
	s_cbranch_execz .LBB202_252
.LBB202_319:
	v_sub_u32_e32 v74, v53, v6
	v_mov_b32_e32 v75, 0
	v_lshlrev_b64 v[74:75], 2, v[74:75]
	v_add_co_u32_e32 v74, vcc, v7, v74
	v_addc_co_u32_e32 v75, vcc, v62, v75, vcc
	global_store_dword v[74:75], v25, off
	s_or_b64 exec, exec, s[40:41]
	s_and_saveexec_b64 s[40:41], s[24:25]
	s_cbranch_execz .LBB202_253
.LBB202_320:
	v_sub_u32_e32 v74, v52, v6
	v_mov_b32_e32 v75, 0
	v_lshlrev_b64 v[74:75], 2, v[74:75]
	v_add_co_u32_e32 v74, vcc, v7, v74
	v_addc_co_u32_e32 v75, vcc, v62, v75, vcc
	global_store_dword v[74:75], v22, off
	s_or_b64 exec, exec, s[40:41]
	s_and_saveexec_b64 s[40:41], s[22:23]
	s_cbranch_execz .LBB202_254
.LBB202_321:
	v_sub_u32_e32 v74, v51, v6
	v_mov_b32_e32 v75, 0
	v_lshlrev_b64 v[74:75], 2, v[74:75]
	v_add_co_u32_e32 v74, vcc, v7, v74
	v_addc_co_u32_e32 v75, vcc, v62, v75, vcc
	global_store_dword v[74:75], v23, off
	s_or_b64 exec, exec, s[40:41]
	s_and_saveexec_b64 s[40:41], s[20:21]
	s_cbranch_execz .LBB202_255
.LBB202_322:
	v_sub_u32_e32 v74, v50, v6
	v_mov_b32_e32 v75, 0
	v_lshlrev_b64 v[74:75], 2, v[74:75]
	v_add_co_u32_e32 v74, vcc, v7, v74
	v_addc_co_u32_e32 v75, vcc, v62, v75, vcc
	global_store_dword v[74:75], v20, off
	s_or_b64 exec, exec, s[40:41]
	s_and_saveexec_b64 s[40:41], s[18:19]
	s_cbranch_execz .LBB202_256
.LBB202_323:
	v_sub_u32_e32 v74, v49, v6
	v_mov_b32_e32 v75, 0
	v_lshlrev_b64 v[74:75], 2, v[74:75]
	v_add_co_u32_e32 v74, vcc, v7, v74
	v_addc_co_u32_e32 v75, vcc, v62, v75, vcc
	global_store_dword v[74:75], v21, off
	s_or_b64 exec, exec, s[40:41]
	s_and_saveexec_b64 s[40:41], s[16:17]
	s_cbranch_execz .LBB202_257
.LBB202_324:
	v_sub_u32_e32 v74, v48, v6
	v_mov_b32_e32 v75, 0
	v_lshlrev_b64 v[74:75], 2, v[74:75]
	v_add_co_u32_e32 v74, vcc, v7, v74
	v_addc_co_u32_e32 v75, vcc, v62, v75, vcc
	global_store_dword v[74:75], v18, off
	s_or_b64 exec, exec, s[40:41]
	s_and_saveexec_b64 s[40:41], s[14:15]
	s_cbranch_execz .LBB202_258
.LBB202_325:
	v_sub_u32_e32 v74, v47, v6
	v_mov_b32_e32 v75, 0
	v_lshlrev_b64 v[74:75], 2, v[74:75]
	v_add_co_u32_e32 v74, vcc, v7, v74
	v_addc_co_u32_e32 v75, vcc, v62, v75, vcc
	global_store_dword v[74:75], v19, off
	s_or_b64 exec, exec, s[40:41]
	s_and_saveexec_b64 s[40:41], s[12:13]
	s_cbranch_execz .LBB202_259
.LBB202_326:
	v_sub_u32_e32 v74, v46, v6
	v_mov_b32_e32 v75, 0
	v_lshlrev_b64 v[74:75], 2, v[74:75]
	v_add_co_u32_e32 v74, vcc, v7, v74
	v_addc_co_u32_e32 v75, vcc, v62, v75, vcc
	global_store_dword v[74:75], v16, off
	s_or_b64 exec, exec, s[40:41]
	s_and_saveexec_b64 s[40:41], s[10:11]
	s_cbranch_execz .LBB202_260
.LBB202_327:
	v_sub_u32_e32 v74, v45, v6
	v_mov_b32_e32 v75, 0
	v_lshlrev_b64 v[74:75], 2, v[74:75]
	v_add_co_u32_e32 v74, vcc, v7, v74
	v_addc_co_u32_e32 v75, vcc, v62, v75, vcc
	global_store_dword v[74:75], v17, off
	s_or_b64 exec, exec, s[40:41]
	s_and_saveexec_b64 s[40:41], s[8:9]
	s_cbranch_execz .LBB202_261
.LBB202_328:
	v_sub_u32_e32 v74, v44, v6
	v_mov_b32_e32 v75, 0
	v_lshlrev_b64 v[74:75], 2, v[74:75]
	v_add_co_u32_e32 v74, vcc, v7, v74
	v_addc_co_u32_e32 v75, vcc, v62, v75, vcc
	global_store_dword v[74:75], v14, off
	s_or_b64 exec, exec, s[40:41]
	s_and_saveexec_b64 s[40:41], s[6:7]
	s_cbranch_execz .LBB202_262
.LBB202_329:
	v_sub_u32_e32 v74, v43, v6
	v_mov_b32_e32 v75, 0
	v_lshlrev_b64 v[74:75], 2, v[74:75]
	v_add_co_u32_e32 v74, vcc, v7, v74
	v_addc_co_u32_e32 v75, vcc, v62, v75, vcc
	global_store_dword v[74:75], v15, off
	s_or_b64 exec, exec, s[40:41]
	s_and_saveexec_b64 s[40:41], s[4:5]
	s_cbranch_execz .LBB202_263
.LBB202_330:
	v_sub_u32_e32 v74, v42, v6
	v_mov_b32_e32 v75, 0
	v_lshlrev_b64 v[74:75], 2, v[74:75]
	v_add_co_u32_e32 v74, vcc, v7, v74
	v_addc_co_u32_e32 v75, vcc, v62, v75, vcc
	global_store_dword v[74:75], v12, off
	s_or_b64 exec, exec, s[40:41]
	s_and_saveexec_b64 s[40:41], s[2:3]
	s_cbranch_execnz .LBB202_264
	s_branch .LBB202_265
.LBB202_331:
	v_sub_u32_e32 v72, v5, v6
	v_lshlrev_b32_e32 v72, 2, v72
	ds_write_b32 v72, v24
	s_or_b64 exec, exec, s[40:41]
	s_and_saveexec_b64 s[28:29], s[26:27]
	s_cbranch_execz .LBB202_269
.LBB202_332:
	v_sub_u32_e32 v24, v53, v6
	v_lshlrev_b32_e32 v24, 2, v24
	ds_write_b32 v24, v25
	s_or_b64 exec, exec, s[28:29]
	s_and_saveexec_b64 s[26:27], s[24:25]
	s_cbranch_execz .LBB202_270
.LBB202_333:
	v_sub_u32_e32 v24, v52, v6
	v_lshlrev_b32_e32 v24, 2, v24
	ds_write_b32 v24, v22
	s_or_b64 exec, exec, s[26:27]
	s_and_saveexec_b64 s[24:25], s[22:23]
	s_cbranch_execz .LBB202_271
.LBB202_334:
	v_sub_u32_e32 v22, v51, v6
	v_lshlrev_b32_e32 v22, 2, v22
	ds_write_b32 v22, v23
	s_or_b64 exec, exec, s[24:25]
	s_and_saveexec_b64 s[22:23], s[20:21]
	s_cbranch_execz .LBB202_272
.LBB202_335:
	v_sub_u32_e32 v22, v50, v6
	v_lshlrev_b32_e32 v22, 2, v22
	ds_write_b32 v22, v20
	s_or_b64 exec, exec, s[22:23]
	s_and_saveexec_b64 s[20:21], s[18:19]
	s_cbranch_execz .LBB202_273
.LBB202_336:
	v_sub_u32_e32 v20, v49, v6
	v_lshlrev_b32_e32 v20, 2, v20
	ds_write_b32 v20, v21
	s_or_b64 exec, exec, s[20:21]
	s_and_saveexec_b64 s[18:19], s[16:17]
	s_cbranch_execz .LBB202_274
.LBB202_337:
	v_sub_u32_e32 v20, v48, v6
	v_lshlrev_b32_e32 v20, 2, v20
	ds_write_b32 v20, v18
	s_or_b64 exec, exec, s[18:19]
	s_and_saveexec_b64 s[16:17], s[14:15]
	s_cbranch_execz .LBB202_275
.LBB202_338:
	v_sub_u32_e32 v18, v47, v6
	v_lshlrev_b32_e32 v18, 2, v18
	ds_write_b32 v18, v19
	s_or_b64 exec, exec, s[16:17]
	s_and_saveexec_b64 s[14:15], s[12:13]
	s_cbranch_execz .LBB202_276
.LBB202_339:
	v_sub_u32_e32 v18, v46, v6
	v_lshlrev_b32_e32 v18, 2, v18
	ds_write_b32 v18, v16
	s_or_b64 exec, exec, s[14:15]
	s_and_saveexec_b64 s[12:13], s[10:11]
	s_cbranch_execz .LBB202_277
.LBB202_340:
	v_sub_u32_e32 v16, v45, v6
	v_lshlrev_b32_e32 v16, 2, v16
	ds_write_b32 v16, v17
	s_or_b64 exec, exec, s[12:13]
	s_and_saveexec_b64 s[10:11], s[8:9]
	s_cbranch_execz .LBB202_278
.LBB202_341:
	v_sub_u32_e32 v16, v44, v6
	v_lshlrev_b32_e32 v16, 2, v16
	ds_write_b32 v16, v14
	s_or_b64 exec, exec, s[10:11]
	s_and_saveexec_b64 s[8:9], s[6:7]
	s_cbranch_execz .LBB202_279
.LBB202_342:
	v_sub_u32_e32 v14, v43, v6
	v_lshlrev_b32_e32 v14, 2, v14
	ds_write_b32 v14, v15
	s_or_b64 exec, exec, s[8:9]
	s_and_saveexec_b64 s[6:7], s[4:5]
	s_cbranch_execz .LBB202_280
.LBB202_343:
	v_sub_u32_e32 v14, v42, v6
	v_lshlrev_b32_e32 v14, 2, v14
	ds_write_b32 v14, v12
	s_or_b64 exec, exec, s[6:7]
	s_and_saveexec_b64 s[4:5], s[2:3]
	s_cbranch_execnz .LBB202_281
	s_branch .LBB202_282
.LBB202_344:
	v_sub_u32_e32 v18, v5, v10
	v_mov_b32_e32 v19, 0
	v_lshlrev_b64 v[18:19], 2, v[18:19]
	v_add_co_u32_e32 v18, vcc, v14, v18
	v_addc_co_u32_e32 v19, vcc, v15, v19, vcc
	global_store_dword v[18:19], v71, off
	s_or_b64 exec, exec, s[38:39]
	s_and_saveexec_b64 s[38:39], s[26:27]
	s_cbranch_execz .LBB202_286
.LBB202_345:
	v_sub_u32_e32 v18, v53, v10
	v_mov_b32_e32 v19, 0
	v_lshlrev_b64 v[18:19], 2, v[18:19]
	v_add_co_u32_e32 v18, vcc, v14, v18
	v_addc_co_u32_e32 v19, vcc, v15, v19, vcc
	global_store_dword v[18:19], v70, off
	s_or_b64 exec, exec, s[38:39]
	s_and_saveexec_b64 s[38:39], s[24:25]
	s_cbranch_execz .LBB202_287
.LBB202_346:
	v_sub_u32_e32 v18, v52, v10
	v_mov_b32_e32 v19, 0
	v_lshlrev_b64 v[18:19], 2, v[18:19]
	v_add_co_u32_e32 v18, vcc, v14, v18
	v_addc_co_u32_e32 v19, vcc, v15, v19, vcc
	global_store_dword v[18:19], v69, off
	s_or_b64 exec, exec, s[38:39]
	s_and_saveexec_b64 s[38:39], s[22:23]
	s_cbranch_execz .LBB202_288
.LBB202_347:
	v_sub_u32_e32 v18, v51, v10
	v_mov_b32_e32 v19, 0
	v_lshlrev_b64 v[18:19], 2, v[18:19]
	v_add_co_u32_e32 v18, vcc, v14, v18
	v_addc_co_u32_e32 v19, vcc, v15, v19, vcc
	global_store_dword v[18:19], v68, off
	s_or_b64 exec, exec, s[38:39]
	s_and_saveexec_b64 s[38:39], s[20:21]
	s_cbranch_execz .LBB202_289
.LBB202_348:
	v_sub_u32_e32 v18, v50, v10
	v_mov_b32_e32 v19, 0
	v_lshlrev_b64 v[18:19], 2, v[18:19]
	v_add_co_u32_e32 v18, vcc, v14, v18
	v_addc_co_u32_e32 v19, vcc, v15, v19, vcc
	global_store_dword v[18:19], v67, off
	s_or_b64 exec, exec, s[38:39]
	s_and_saveexec_b64 s[38:39], s[18:19]
	s_cbranch_execz .LBB202_290
.LBB202_349:
	v_sub_u32_e32 v18, v49, v10
	v_mov_b32_e32 v19, 0
	v_lshlrev_b64 v[18:19], 2, v[18:19]
	v_add_co_u32_e32 v18, vcc, v14, v18
	v_addc_co_u32_e32 v19, vcc, v15, v19, vcc
	global_store_dword v[18:19], v66, off
	s_or_b64 exec, exec, s[38:39]
	s_and_saveexec_b64 s[38:39], s[16:17]
	s_cbranch_execz .LBB202_291
.LBB202_350:
	v_sub_u32_e32 v18, v48, v10
	v_mov_b32_e32 v19, 0
	v_lshlrev_b64 v[18:19], 2, v[18:19]
	v_add_co_u32_e32 v18, vcc, v14, v18
	v_addc_co_u32_e32 v19, vcc, v15, v19, vcc
	global_store_dword v[18:19], v65, off
	s_or_b64 exec, exec, s[38:39]
	s_and_saveexec_b64 s[38:39], s[14:15]
	s_cbranch_execz .LBB202_292
.LBB202_351:
	v_sub_u32_e32 v18, v47, v10
	v_mov_b32_e32 v19, 0
	v_lshlrev_b64 v[18:19], 2, v[18:19]
	v_add_co_u32_e32 v18, vcc, v14, v18
	v_addc_co_u32_e32 v19, vcc, v15, v19, vcc
	global_store_dword v[18:19], v64, off
	s_or_b64 exec, exec, s[38:39]
	s_and_saveexec_b64 s[38:39], s[12:13]
	s_cbranch_execz .LBB202_293
.LBB202_352:
	v_sub_u32_e32 v18, v46, v10
	v_mov_b32_e32 v19, 0
	v_lshlrev_b64 v[18:19], 2, v[18:19]
	v_add_co_u32_e32 v18, vcc, v14, v18
	v_addc_co_u32_e32 v19, vcc, v15, v19, vcc
	global_store_dword v[18:19], v63, off
	s_or_b64 exec, exec, s[38:39]
	s_and_saveexec_b64 s[38:39], s[10:11]
	s_cbranch_execz .LBB202_294
.LBB202_353:
	v_sub_u32_e32 v18, v45, v10
	v_mov_b32_e32 v19, 0
	v_lshlrev_b64 v[18:19], 2, v[18:19]
	v_add_co_u32_e32 v18, vcc, v14, v18
	v_addc_co_u32_e32 v19, vcc, v15, v19, vcc
	global_store_dword v[18:19], v59, off
	s_or_b64 exec, exec, s[38:39]
	s_and_saveexec_b64 s[38:39], s[8:9]
	s_cbranch_execz .LBB202_295
.LBB202_354:
	v_sub_u32_e32 v18, v44, v10
	v_mov_b32_e32 v19, 0
	v_lshlrev_b64 v[18:19], 2, v[18:19]
	v_add_co_u32_e32 v18, vcc, v14, v18
	v_addc_co_u32_e32 v19, vcc, v15, v19, vcc
	global_store_dword v[18:19], v58, off
	s_or_b64 exec, exec, s[38:39]
	s_and_saveexec_b64 s[38:39], s[6:7]
	s_cbranch_execz .LBB202_296
.LBB202_355:
	v_sub_u32_e32 v18, v43, v10
	v_mov_b32_e32 v19, 0
	v_lshlrev_b64 v[18:19], 2, v[18:19]
	v_add_co_u32_e32 v18, vcc, v14, v18
	v_addc_co_u32_e32 v19, vcc, v15, v19, vcc
	global_store_dword v[18:19], v56, off
	s_or_b64 exec, exec, s[38:39]
	s_and_saveexec_b64 s[38:39], s[4:5]
	s_cbranch_execz .LBB202_297
.LBB202_356:
	v_sub_u32_e32 v18, v42, v10
	v_mov_b32_e32 v19, 0
	v_lshlrev_b64 v[18:19], 2, v[18:19]
	v_add_co_u32_e32 v18, vcc, v14, v18
	v_addc_co_u32_e32 v19, vcc, v15, v19, vcc
	global_store_dword v[18:19], v55, off
	s_or_b64 exec, exec, s[38:39]
	s_and_saveexec_b64 s[38:39], s[2:3]
	s_cbranch_execnz .LBB202_298
	s_branch .LBB202_299
.LBB202_357:
	v_sub_u32_e32 v5, v5, v10
	v_lshlrev_b32_e32 v5, 2, v5
	ds_write_b32 v5, v71
	s_or_b64 exec, exec, s[38:39]
	s_and_saveexec_b64 s[28:29], s[26:27]
	s_cbranch_execz .LBB202_303
.LBB202_358:
	v_sub_u32_e32 v5, v53, v10
	v_lshlrev_b32_e32 v5, 2, v5
	ds_write_b32 v5, v70
	s_or_b64 exec, exec, s[28:29]
	s_and_saveexec_b64 s[26:27], s[24:25]
	s_cbranch_execz .LBB202_304
.LBB202_359:
	v_sub_u32_e32 v5, v52, v10
	v_lshlrev_b32_e32 v5, 2, v5
	ds_write_b32 v5, v69
	s_or_b64 exec, exec, s[26:27]
	s_and_saveexec_b64 s[24:25], s[22:23]
	s_cbranch_execz .LBB202_305
.LBB202_360:
	v_sub_u32_e32 v5, v51, v10
	v_lshlrev_b32_e32 v5, 2, v5
	ds_write_b32 v5, v68
	s_or_b64 exec, exec, s[24:25]
	s_and_saveexec_b64 s[22:23], s[20:21]
	s_cbranch_execz .LBB202_306
.LBB202_361:
	v_sub_u32_e32 v5, v50, v10
	v_lshlrev_b32_e32 v5, 2, v5
	ds_write_b32 v5, v67
	s_or_b64 exec, exec, s[22:23]
	s_and_saveexec_b64 s[20:21], s[18:19]
	s_cbranch_execz .LBB202_307
.LBB202_362:
	v_sub_u32_e32 v5, v49, v10
	v_lshlrev_b32_e32 v5, 2, v5
	ds_write_b32 v5, v66
	s_or_b64 exec, exec, s[20:21]
	s_and_saveexec_b64 s[18:19], s[16:17]
	s_cbranch_execz .LBB202_308
.LBB202_363:
	v_sub_u32_e32 v5, v48, v10
	v_lshlrev_b32_e32 v5, 2, v5
	ds_write_b32 v5, v65
	s_or_b64 exec, exec, s[18:19]
	s_and_saveexec_b64 s[16:17], s[14:15]
	s_cbranch_execz .LBB202_309
.LBB202_364:
	v_sub_u32_e32 v5, v47, v10
	v_lshlrev_b32_e32 v5, 2, v5
	ds_write_b32 v5, v64
	s_or_b64 exec, exec, s[16:17]
	s_and_saveexec_b64 s[14:15], s[12:13]
	s_cbranch_execz .LBB202_310
.LBB202_365:
	v_sub_u32_e32 v5, v46, v10
	v_lshlrev_b32_e32 v5, 2, v5
	ds_write_b32 v5, v63
	s_or_b64 exec, exec, s[14:15]
	s_and_saveexec_b64 s[12:13], s[10:11]
	s_cbranch_execz .LBB202_311
.LBB202_366:
	v_sub_u32_e32 v5, v45, v10
	v_lshlrev_b32_e32 v5, 2, v5
	ds_write_b32 v5, v59
	s_or_b64 exec, exec, s[12:13]
	s_and_saveexec_b64 s[10:11], s[8:9]
	s_cbranch_execz .LBB202_312
.LBB202_367:
	v_sub_u32_e32 v5, v44, v10
	v_lshlrev_b32_e32 v5, 2, v5
	ds_write_b32 v5, v58
	s_or_b64 exec, exec, s[10:11]
	s_and_saveexec_b64 s[8:9], s[6:7]
	s_cbranch_execz .LBB202_313
.LBB202_368:
	v_sub_u32_e32 v5, v43, v10
	v_lshlrev_b32_e32 v5, 2, v5
	ds_write_b32 v5, v56
	s_or_b64 exec, exec, s[8:9]
	s_and_saveexec_b64 s[6:7], s[4:5]
	s_cbranch_execz .LBB202_314
.LBB202_369:
	v_sub_u32_e32 v5, v42, v10
	v_lshlrev_b32_e32 v5, 2, v5
	ds_write_b32 v5, v55
	s_or_b64 exec, exec, s[6:7]
	s_and_saveexec_b64 s[4:5], s[2:3]
	s_cbranch_execnz .LBB202_315
	s_branch .LBB202_316
	.section	.rodata,"a",@progbits
	.p2align	6, 0x0
	.amdhsa_kernel _ZN7rocprim17ROCPRIM_400000_NS6detail17trampoline_kernelINS0_14default_configENS1_29reduce_by_key_config_selectorIffN6thrust23THRUST_200600_302600_NS4plusIfEEEEZZNS1_33reduce_by_key_impl_wrapped_configILNS1_25lookback_scan_determinismE0ES3_S9_NS6_6detail15normal_iteratorINS6_10device_ptrIfEEEESG_SG_SG_PmS8_22is_equal_div_10_reduceIfEEE10hipError_tPvRmT2_T3_mT4_T5_T6_T7_T8_P12ihipStream_tbENKUlT_T0_E_clISt17integral_constantIbLb0EES11_EEDaSW_SX_EUlSW_E_NS1_11comp_targetILNS1_3genE4ELNS1_11target_archE910ELNS1_3gpuE8ELNS1_3repE0EEENS1_30default_config_static_selectorELNS0_4arch9wavefront6targetE1EEEvT1_
		.amdhsa_group_segment_fixed_size 15360
		.amdhsa_private_segment_fixed_size 0
		.amdhsa_kernarg_size 120
		.amdhsa_user_sgpr_count 6
		.amdhsa_user_sgpr_private_segment_buffer 1
		.amdhsa_user_sgpr_dispatch_ptr 0
		.amdhsa_user_sgpr_queue_ptr 0
		.amdhsa_user_sgpr_kernarg_segment_ptr 1
		.amdhsa_user_sgpr_dispatch_id 0
		.amdhsa_user_sgpr_flat_scratch_init 0
		.amdhsa_user_sgpr_kernarg_preload_length 0
		.amdhsa_user_sgpr_kernarg_preload_offset 0
		.amdhsa_user_sgpr_private_segment_size 0
		.amdhsa_uses_dynamic_stack 0
		.amdhsa_system_sgpr_private_segment_wavefront_offset 0
		.amdhsa_system_sgpr_workgroup_id_x 1
		.amdhsa_system_sgpr_workgroup_id_y 0
		.amdhsa_system_sgpr_workgroup_id_z 0
		.amdhsa_system_sgpr_workgroup_info 0
		.amdhsa_system_vgpr_workitem_id 0
		.amdhsa_next_free_vgpr 106
		.amdhsa_next_free_sgpr 64
		.amdhsa_accum_offset 108
		.amdhsa_reserve_vcc 1
		.amdhsa_reserve_flat_scratch 0
		.amdhsa_float_round_mode_32 0
		.amdhsa_float_round_mode_16_64 0
		.amdhsa_float_denorm_mode_32 3
		.amdhsa_float_denorm_mode_16_64 3
		.amdhsa_dx10_clamp 1
		.amdhsa_ieee_mode 1
		.amdhsa_fp16_overflow 0
		.amdhsa_tg_split 0
		.amdhsa_exception_fp_ieee_invalid_op 0
		.amdhsa_exception_fp_denorm_src 0
		.amdhsa_exception_fp_ieee_div_zero 0
		.amdhsa_exception_fp_ieee_overflow 0
		.amdhsa_exception_fp_ieee_underflow 0
		.amdhsa_exception_fp_ieee_inexact 0
		.amdhsa_exception_int_div_zero 0
	.end_amdhsa_kernel
	.section	.text._ZN7rocprim17ROCPRIM_400000_NS6detail17trampoline_kernelINS0_14default_configENS1_29reduce_by_key_config_selectorIffN6thrust23THRUST_200600_302600_NS4plusIfEEEEZZNS1_33reduce_by_key_impl_wrapped_configILNS1_25lookback_scan_determinismE0ES3_S9_NS6_6detail15normal_iteratorINS6_10device_ptrIfEEEESG_SG_SG_PmS8_22is_equal_div_10_reduceIfEEE10hipError_tPvRmT2_T3_mT4_T5_T6_T7_T8_P12ihipStream_tbENKUlT_T0_E_clISt17integral_constantIbLb0EES11_EEDaSW_SX_EUlSW_E_NS1_11comp_targetILNS1_3genE4ELNS1_11target_archE910ELNS1_3gpuE8ELNS1_3repE0EEENS1_30default_config_static_selectorELNS0_4arch9wavefront6targetE1EEEvT1_,"axG",@progbits,_ZN7rocprim17ROCPRIM_400000_NS6detail17trampoline_kernelINS0_14default_configENS1_29reduce_by_key_config_selectorIffN6thrust23THRUST_200600_302600_NS4plusIfEEEEZZNS1_33reduce_by_key_impl_wrapped_configILNS1_25lookback_scan_determinismE0ES3_S9_NS6_6detail15normal_iteratorINS6_10device_ptrIfEEEESG_SG_SG_PmS8_22is_equal_div_10_reduceIfEEE10hipError_tPvRmT2_T3_mT4_T5_T6_T7_T8_P12ihipStream_tbENKUlT_T0_E_clISt17integral_constantIbLb0EES11_EEDaSW_SX_EUlSW_E_NS1_11comp_targetILNS1_3genE4ELNS1_11target_archE910ELNS1_3gpuE8ELNS1_3repE0EEENS1_30default_config_static_selectorELNS0_4arch9wavefront6targetE1EEEvT1_,comdat
.Lfunc_end202:
	.size	_ZN7rocprim17ROCPRIM_400000_NS6detail17trampoline_kernelINS0_14default_configENS1_29reduce_by_key_config_selectorIffN6thrust23THRUST_200600_302600_NS4plusIfEEEEZZNS1_33reduce_by_key_impl_wrapped_configILNS1_25lookback_scan_determinismE0ES3_S9_NS6_6detail15normal_iteratorINS6_10device_ptrIfEEEESG_SG_SG_PmS8_22is_equal_div_10_reduceIfEEE10hipError_tPvRmT2_T3_mT4_T5_T6_T7_T8_P12ihipStream_tbENKUlT_T0_E_clISt17integral_constantIbLb0EES11_EEDaSW_SX_EUlSW_E_NS1_11comp_targetILNS1_3genE4ELNS1_11target_archE910ELNS1_3gpuE8ELNS1_3repE0EEENS1_30default_config_static_selectorELNS0_4arch9wavefront6targetE1EEEvT1_, .Lfunc_end202-_ZN7rocprim17ROCPRIM_400000_NS6detail17trampoline_kernelINS0_14default_configENS1_29reduce_by_key_config_selectorIffN6thrust23THRUST_200600_302600_NS4plusIfEEEEZZNS1_33reduce_by_key_impl_wrapped_configILNS1_25lookback_scan_determinismE0ES3_S9_NS6_6detail15normal_iteratorINS6_10device_ptrIfEEEESG_SG_SG_PmS8_22is_equal_div_10_reduceIfEEE10hipError_tPvRmT2_T3_mT4_T5_T6_T7_T8_P12ihipStream_tbENKUlT_T0_E_clISt17integral_constantIbLb0EES11_EEDaSW_SX_EUlSW_E_NS1_11comp_targetILNS1_3genE4ELNS1_11target_archE910ELNS1_3gpuE8ELNS1_3repE0EEENS1_30default_config_static_selectorELNS0_4arch9wavefront6targetE1EEEvT1_
                                        ; -- End function
	.section	.AMDGPU.csdata,"",@progbits
; Kernel info:
; codeLenInByte = 20072
; NumSgprs: 68
; NumVgprs: 106
; NumAgprs: 0
; TotalNumVgprs: 106
; ScratchSize: 0
; MemoryBound: 0
; FloatMode: 240
; IeeeMode: 1
; LDSByteSize: 15360 bytes/workgroup (compile time only)
; SGPRBlocks: 8
; VGPRBlocks: 13
; NumSGPRsForWavesPerEU: 68
; NumVGPRsForWavesPerEU: 106
; AccumOffset: 108
; Occupancy: 4
; WaveLimiterHint : 1
; COMPUTE_PGM_RSRC2:SCRATCH_EN: 0
; COMPUTE_PGM_RSRC2:USER_SGPR: 6
; COMPUTE_PGM_RSRC2:TRAP_HANDLER: 0
; COMPUTE_PGM_RSRC2:TGID_X_EN: 1
; COMPUTE_PGM_RSRC2:TGID_Y_EN: 0
; COMPUTE_PGM_RSRC2:TGID_Z_EN: 0
; COMPUTE_PGM_RSRC2:TIDIG_COMP_CNT: 0
; COMPUTE_PGM_RSRC3_GFX90A:ACCUM_OFFSET: 26
; COMPUTE_PGM_RSRC3_GFX90A:TG_SPLIT: 0
	.section	.text._ZN7rocprim17ROCPRIM_400000_NS6detail17trampoline_kernelINS0_14default_configENS1_29reduce_by_key_config_selectorIffN6thrust23THRUST_200600_302600_NS4plusIfEEEEZZNS1_33reduce_by_key_impl_wrapped_configILNS1_25lookback_scan_determinismE0ES3_S9_NS6_6detail15normal_iteratorINS6_10device_ptrIfEEEESG_SG_SG_PmS8_22is_equal_div_10_reduceIfEEE10hipError_tPvRmT2_T3_mT4_T5_T6_T7_T8_P12ihipStream_tbENKUlT_T0_E_clISt17integral_constantIbLb0EES11_EEDaSW_SX_EUlSW_E_NS1_11comp_targetILNS1_3genE3ELNS1_11target_archE908ELNS1_3gpuE7ELNS1_3repE0EEENS1_30default_config_static_selectorELNS0_4arch9wavefront6targetE1EEEvT1_,"axG",@progbits,_ZN7rocprim17ROCPRIM_400000_NS6detail17trampoline_kernelINS0_14default_configENS1_29reduce_by_key_config_selectorIffN6thrust23THRUST_200600_302600_NS4plusIfEEEEZZNS1_33reduce_by_key_impl_wrapped_configILNS1_25lookback_scan_determinismE0ES3_S9_NS6_6detail15normal_iteratorINS6_10device_ptrIfEEEESG_SG_SG_PmS8_22is_equal_div_10_reduceIfEEE10hipError_tPvRmT2_T3_mT4_T5_T6_T7_T8_P12ihipStream_tbENKUlT_T0_E_clISt17integral_constantIbLb0EES11_EEDaSW_SX_EUlSW_E_NS1_11comp_targetILNS1_3genE3ELNS1_11target_archE908ELNS1_3gpuE7ELNS1_3repE0EEENS1_30default_config_static_selectorELNS0_4arch9wavefront6targetE1EEEvT1_,comdat
	.protected	_ZN7rocprim17ROCPRIM_400000_NS6detail17trampoline_kernelINS0_14default_configENS1_29reduce_by_key_config_selectorIffN6thrust23THRUST_200600_302600_NS4plusIfEEEEZZNS1_33reduce_by_key_impl_wrapped_configILNS1_25lookback_scan_determinismE0ES3_S9_NS6_6detail15normal_iteratorINS6_10device_ptrIfEEEESG_SG_SG_PmS8_22is_equal_div_10_reduceIfEEE10hipError_tPvRmT2_T3_mT4_T5_T6_T7_T8_P12ihipStream_tbENKUlT_T0_E_clISt17integral_constantIbLb0EES11_EEDaSW_SX_EUlSW_E_NS1_11comp_targetILNS1_3genE3ELNS1_11target_archE908ELNS1_3gpuE7ELNS1_3repE0EEENS1_30default_config_static_selectorELNS0_4arch9wavefront6targetE1EEEvT1_ ; -- Begin function _ZN7rocprim17ROCPRIM_400000_NS6detail17trampoline_kernelINS0_14default_configENS1_29reduce_by_key_config_selectorIffN6thrust23THRUST_200600_302600_NS4plusIfEEEEZZNS1_33reduce_by_key_impl_wrapped_configILNS1_25lookback_scan_determinismE0ES3_S9_NS6_6detail15normal_iteratorINS6_10device_ptrIfEEEESG_SG_SG_PmS8_22is_equal_div_10_reduceIfEEE10hipError_tPvRmT2_T3_mT4_T5_T6_T7_T8_P12ihipStream_tbENKUlT_T0_E_clISt17integral_constantIbLb0EES11_EEDaSW_SX_EUlSW_E_NS1_11comp_targetILNS1_3genE3ELNS1_11target_archE908ELNS1_3gpuE7ELNS1_3repE0EEENS1_30default_config_static_selectorELNS0_4arch9wavefront6targetE1EEEvT1_
	.globl	_ZN7rocprim17ROCPRIM_400000_NS6detail17trampoline_kernelINS0_14default_configENS1_29reduce_by_key_config_selectorIffN6thrust23THRUST_200600_302600_NS4plusIfEEEEZZNS1_33reduce_by_key_impl_wrapped_configILNS1_25lookback_scan_determinismE0ES3_S9_NS6_6detail15normal_iteratorINS6_10device_ptrIfEEEESG_SG_SG_PmS8_22is_equal_div_10_reduceIfEEE10hipError_tPvRmT2_T3_mT4_T5_T6_T7_T8_P12ihipStream_tbENKUlT_T0_E_clISt17integral_constantIbLb0EES11_EEDaSW_SX_EUlSW_E_NS1_11comp_targetILNS1_3genE3ELNS1_11target_archE908ELNS1_3gpuE7ELNS1_3repE0EEENS1_30default_config_static_selectorELNS0_4arch9wavefront6targetE1EEEvT1_
	.p2align	8
	.type	_ZN7rocprim17ROCPRIM_400000_NS6detail17trampoline_kernelINS0_14default_configENS1_29reduce_by_key_config_selectorIffN6thrust23THRUST_200600_302600_NS4plusIfEEEEZZNS1_33reduce_by_key_impl_wrapped_configILNS1_25lookback_scan_determinismE0ES3_S9_NS6_6detail15normal_iteratorINS6_10device_ptrIfEEEESG_SG_SG_PmS8_22is_equal_div_10_reduceIfEEE10hipError_tPvRmT2_T3_mT4_T5_T6_T7_T8_P12ihipStream_tbENKUlT_T0_E_clISt17integral_constantIbLb0EES11_EEDaSW_SX_EUlSW_E_NS1_11comp_targetILNS1_3genE3ELNS1_11target_archE908ELNS1_3gpuE7ELNS1_3repE0EEENS1_30default_config_static_selectorELNS0_4arch9wavefront6targetE1EEEvT1_,@function
_ZN7rocprim17ROCPRIM_400000_NS6detail17trampoline_kernelINS0_14default_configENS1_29reduce_by_key_config_selectorIffN6thrust23THRUST_200600_302600_NS4plusIfEEEEZZNS1_33reduce_by_key_impl_wrapped_configILNS1_25lookback_scan_determinismE0ES3_S9_NS6_6detail15normal_iteratorINS6_10device_ptrIfEEEESG_SG_SG_PmS8_22is_equal_div_10_reduceIfEEE10hipError_tPvRmT2_T3_mT4_T5_T6_T7_T8_P12ihipStream_tbENKUlT_T0_E_clISt17integral_constantIbLb0EES11_EEDaSW_SX_EUlSW_E_NS1_11comp_targetILNS1_3genE3ELNS1_11target_archE908ELNS1_3gpuE7ELNS1_3repE0EEENS1_30default_config_static_selectorELNS0_4arch9wavefront6targetE1EEEvT1_: ; @_ZN7rocprim17ROCPRIM_400000_NS6detail17trampoline_kernelINS0_14default_configENS1_29reduce_by_key_config_selectorIffN6thrust23THRUST_200600_302600_NS4plusIfEEEEZZNS1_33reduce_by_key_impl_wrapped_configILNS1_25lookback_scan_determinismE0ES3_S9_NS6_6detail15normal_iteratorINS6_10device_ptrIfEEEESG_SG_SG_PmS8_22is_equal_div_10_reduceIfEEE10hipError_tPvRmT2_T3_mT4_T5_T6_T7_T8_P12ihipStream_tbENKUlT_T0_E_clISt17integral_constantIbLb0EES11_EEDaSW_SX_EUlSW_E_NS1_11comp_targetILNS1_3genE3ELNS1_11target_archE908ELNS1_3gpuE7ELNS1_3repE0EEENS1_30default_config_static_selectorELNS0_4arch9wavefront6targetE1EEEvT1_
; %bb.0:
	.section	.rodata,"a",@progbits
	.p2align	6, 0x0
	.amdhsa_kernel _ZN7rocprim17ROCPRIM_400000_NS6detail17trampoline_kernelINS0_14default_configENS1_29reduce_by_key_config_selectorIffN6thrust23THRUST_200600_302600_NS4plusIfEEEEZZNS1_33reduce_by_key_impl_wrapped_configILNS1_25lookback_scan_determinismE0ES3_S9_NS6_6detail15normal_iteratorINS6_10device_ptrIfEEEESG_SG_SG_PmS8_22is_equal_div_10_reduceIfEEE10hipError_tPvRmT2_T3_mT4_T5_T6_T7_T8_P12ihipStream_tbENKUlT_T0_E_clISt17integral_constantIbLb0EES11_EEDaSW_SX_EUlSW_E_NS1_11comp_targetILNS1_3genE3ELNS1_11target_archE908ELNS1_3gpuE7ELNS1_3repE0EEENS1_30default_config_static_selectorELNS0_4arch9wavefront6targetE1EEEvT1_
		.amdhsa_group_segment_fixed_size 0
		.amdhsa_private_segment_fixed_size 0
		.amdhsa_kernarg_size 120
		.amdhsa_user_sgpr_count 6
		.amdhsa_user_sgpr_private_segment_buffer 1
		.amdhsa_user_sgpr_dispatch_ptr 0
		.amdhsa_user_sgpr_queue_ptr 0
		.amdhsa_user_sgpr_kernarg_segment_ptr 1
		.amdhsa_user_sgpr_dispatch_id 0
		.amdhsa_user_sgpr_flat_scratch_init 0
		.amdhsa_user_sgpr_kernarg_preload_length 0
		.amdhsa_user_sgpr_kernarg_preload_offset 0
		.amdhsa_user_sgpr_private_segment_size 0
		.amdhsa_uses_dynamic_stack 0
		.amdhsa_system_sgpr_private_segment_wavefront_offset 0
		.amdhsa_system_sgpr_workgroup_id_x 1
		.amdhsa_system_sgpr_workgroup_id_y 0
		.amdhsa_system_sgpr_workgroup_id_z 0
		.amdhsa_system_sgpr_workgroup_info 0
		.amdhsa_system_vgpr_workitem_id 0
		.amdhsa_next_free_vgpr 1
		.amdhsa_next_free_sgpr 0
		.amdhsa_accum_offset 4
		.amdhsa_reserve_vcc 0
		.amdhsa_reserve_flat_scratch 0
		.amdhsa_float_round_mode_32 0
		.amdhsa_float_round_mode_16_64 0
		.amdhsa_float_denorm_mode_32 3
		.amdhsa_float_denorm_mode_16_64 3
		.amdhsa_dx10_clamp 1
		.amdhsa_ieee_mode 1
		.amdhsa_fp16_overflow 0
		.amdhsa_tg_split 0
		.amdhsa_exception_fp_ieee_invalid_op 0
		.amdhsa_exception_fp_denorm_src 0
		.amdhsa_exception_fp_ieee_div_zero 0
		.amdhsa_exception_fp_ieee_overflow 0
		.amdhsa_exception_fp_ieee_underflow 0
		.amdhsa_exception_fp_ieee_inexact 0
		.amdhsa_exception_int_div_zero 0
	.end_amdhsa_kernel
	.section	.text._ZN7rocprim17ROCPRIM_400000_NS6detail17trampoline_kernelINS0_14default_configENS1_29reduce_by_key_config_selectorIffN6thrust23THRUST_200600_302600_NS4plusIfEEEEZZNS1_33reduce_by_key_impl_wrapped_configILNS1_25lookback_scan_determinismE0ES3_S9_NS6_6detail15normal_iteratorINS6_10device_ptrIfEEEESG_SG_SG_PmS8_22is_equal_div_10_reduceIfEEE10hipError_tPvRmT2_T3_mT4_T5_T6_T7_T8_P12ihipStream_tbENKUlT_T0_E_clISt17integral_constantIbLb0EES11_EEDaSW_SX_EUlSW_E_NS1_11comp_targetILNS1_3genE3ELNS1_11target_archE908ELNS1_3gpuE7ELNS1_3repE0EEENS1_30default_config_static_selectorELNS0_4arch9wavefront6targetE1EEEvT1_,"axG",@progbits,_ZN7rocprim17ROCPRIM_400000_NS6detail17trampoline_kernelINS0_14default_configENS1_29reduce_by_key_config_selectorIffN6thrust23THRUST_200600_302600_NS4plusIfEEEEZZNS1_33reduce_by_key_impl_wrapped_configILNS1_25lookback_scan_determinismE0ES3_S9_NS6_6detail15normal_iteratorINS6_10device_ptrIfEEEESG_SG_SG_PmS8_22is_equal_div_10_reduceIfEEE10hipError_tPvRmT2_T3_mT4_T5_T6_T7_T8_P12ihipStream_tbENKUlT_T0_E_clISt17integral_constantIbLb0EES11_EEDaSW_SX_EUlSW_E_NS1_11comp_targetILNS1_3genE3ELNS1_11target_archE908ELNS1_3gpuE7ELNS1_3repE0EEENS1_30default_config_static_selectorELNS0_4arch9wavefront6targetE1EEEvT1_,comdat
.Lfunc_end203:
	.size	_ZN7rocprim17ROCPRIM_400000_NS6detail17trampoline_kernelINS0_14default_configENS1_29reduce_by_key_config_selectorIffN6thrust23THRUST_200600_302600_NS4plusIfEEEEZZNS1_33reduce_by_key_impl_wrapped_configILNS1_25lookback_scan_determinismE0ES3_S9_NS6_6detail15normal_iteratorINS6_10device_ptrIfEEEESG_SG_SG_PmS8_22is_equal_div_10_reduceIfEEE10hipError_tPvRmT2_T3_mT4_T5_T6_T7_T8_P12ihipStream_tbENKUlT_T0_E_clISt17integral_constantIbLb0EES11_EEDaSW_SX_EUlSW_E_NS1_11comp_targetILNS1_3genE3ELNS1_11target_archE908ELNS1_3gpuE7ELNS1_3repE0EEENS1_30default_config_static_selectorELNS0_4arch9wavefront6targetE1EEEvT1_, .Lfunc_end203-_ZN7rocprim17ROCPRIM_400000_NS6detail17trampoline_kernelINS0_14default_configENS1_29reduce_by_key_config_selectorIffN6thrust23THRUST_200600_302600_NS4plusIfEEEEZZNS1_33reduce_by_key_impl_wrapped_configILNS1_25lookback_scan_determinismE0ES3_S9_NS6_6detail15normal_iteratorINS6_10device_ptrIfEEEESG_SG_SG_PmS8_22is_equal_div_10_reduceIfEEE10hipError_tPvRmT2_T3_mT4_T5_T6_T7_T8_P12ihipStream_tbENKUlT_T0_E_clISt17integral_constantIbLb0EES11_EEDaSW_SX_EUlSW_E_NS1_11comp_targetILNS1_3genE3ELNS1_11target_archE908ELNS1_3gpuE7ELNS1_3repE0EEENS1_30default_config_static_selectorELNS0_4arch9wavefront6targetE1EEEvT1_
                                        ; -- End function
	.section	.AMDGPU.csdata,"",@progbits
; Kernel info:
; codeLenInByte = 0
; NumSgprs: 4
; NumVgprs: 0
; NumAgprs: 0
; TotalNumVgprs: 0
; ScratchSize: 0
; MemoryBound: 0
; FloatMode: 240
; IeeeMode: 1
; LDSByteSize: 0 bytes/workgroup (compile time only)
; SGPRBlocks: 0
; VGPRBlocks: 0
; NumSGPRsForWavesPerEU: 4
; NumVGPRsForWavesPerEU: 1
; AccumOffset: 4
; Occupancy: 8
; WaveLimiterHint : 0
; COMPUTE_PGM_RSRC2:SCRATCH_EN: 0
; COMPUTE_PGM_RSRC2:USER_SGPR: 6
; COMPUTE_PGM_RSRC2:TRAP_HANDLER: 0
; COMPUTE_PGM_RSRC2:TGID_X_EN: 1
; COMPUTE_PGM_RSRC2:TGID_Y_EN: 0
; COMPUTE_PGM_RSRC2:TGID_Z_EN: 0
; COMPUTE_PGM_RSRC2:TIDIG_COMP_CNT: 0
; COMPUTE_PGM_RSRC3_GFX90A:ACCUM_OFFSET: 0
; COMPUTE_PGM_RSRC3_GFX90A:TG_SPLIT: 0
	.section	.text._ZN7rocprim17ROCPRIM_400000_NS6detail17trampoline_kernelINS0_14default_configENS1_29reduce_by_key_config_selectorIffN6thrust23THRUST_200600_302600_NS4plusIfEEEEZZNS1_33reduce_by_key_impl_wrapped_configILNS1_25lookback_scan_determinismE0ES3_S9_NS6_6detail15normal_iteratorINS6_10device_ptrIfEEEESG_SG_SG_PmS8_22is_equal_div_10_reduceIfEEE10hipError_tPvRmT2_T3_mT4_T5_T6_T7_T8_P12ihipStream_tbENKUlT_T0_E_clISt17integral_constantIbLb0EES11_EEDaSW_SX_EUlSW_E_NS1_11comp_targetILNS1_3genE2ELNS1_11target_archE906ELNS1_3gpuE6ELNS1_3repE0EEENS1_30default_config_static_selectorELNS0_4arch9wavefront6targetE1EEEvT1_,"axG",@progbits,_ZN7rocprim17ROCPRIM_400000_NS6detail17trampoline_kernelINS0_14default_configENS1_29reduce_by_key_config_selectorIffN6thrust23THRUST_200600_302600_NS4plusIfEEEEZZNS1_33reduce_by_key_impl_wrapped_configILNS1_25lookback_scan_determinismE0ES3_S9_NS6_6detail15normal_iteratorINS6_10device_ptrIfEEEESG_SG_SG_PmS8_22is_equal_div_10_reduceIfEEE10hipError_tPvRmT2_T3_mT4_T5_T6_T7_T8_P12ihipStream_tbENKUlT_T0_E_clISt17integral_constantIbLb0EES11_EEDaSW_SX_EUlSW_E_NS1_11comp_targetILNS1_3genE2ELNS1_11target_archE906ELNS1_3gpuE6ELNS1_3repE0EEENS1_30default_config_static_selectorELNS0_4arch9wavefront6targetE1EEEvT1_,comdat
	.protected	_ZN7rocprim17ROCPRIM_400000_NS6detail17trampoline_kernelINS0_14default_configENS1_29reduce_by_key_config_selectorIffN6thrust23THRUST_200600_302600_NS4plusIfEEEEZZNS1_33reduce_by_key_impl_wrapped_configILNS1_25lookback_scan_determinismE0ES3_S9_NS6_6detail15normal_iteratorINS6_10device_ptrIfEEEESG_SG_SG_PmS8_22is_equal_div_10_reduceIfEEE10hipError_tPvRmT2_T3_mT4_T5_T6_T7_T8_P12ihipStream_tbENKUlT_T0_E_clISt17integral_constantIbLb0EES11_EEDaSW_SX_EUlSW_E_NS1_11comp_targetILNS1_3genE2ELNS1_11target_archE906ELNS1_3gpuE6ELNS1_3repE0EEENS1_30default_config_static_selectorELNS0_4arch9wavefront6targetE1EEEvT1_ ; -- Begin function _ZN7rocprim17ROCPRIM_400000_NS6detail17trampoline_kernelINS0_14default_configENS1_29reduce_by_key_config_selectorIffN6thrust23THRUST_200600_302600_NS4plusIfEEEEZZNS1_33reduce_by_key_impl_wrapped_configILNS1_25lookback_scan_determinismE0ES3_S9_NS6_6detail15normal_iteratorINS6_10device_ptrIfEEEESG_SG_SG_PmS8_22is_equal_div_10_reduceIfEEE10hipError_tPvRmT2_T3_mT4_T5_T6_T7_T8_P12ihipStream_tbENKUlT_T0_E_clISt17integral_constantIbLb0EES11_EEDaSW_SX_EUlSW_E_NS1_11comp_targetILNS1_3genE2ELNS1_11target_archE906ELNS1_3gpuE6ELNS1_3repE0EEENS1_30default_config_static_selectorELNS0_4arch9wavefront6targetE1EEEvT1_
	.globl	_ZN7rocprim17ROCPRIM_400000_NS6detail17trampoline_kernelINS0_14default_configENS1_29reduce_by_key_config_selectorIffN6thrust23THRUST_200600_302600_NS4plusIfEEEEZZNS1_33reduce_by_key_impl_wrapped_configILNS1_25lookback_scan_determinismE0ES3_S9_NS6_6detail15normal_iteratorINS6_10device_ptrIfEEEESG_SG_SG_PmS8_22is_equal_div_10_reduceIfEEE10hipError_tPvRmT2_T3_mT4_T5_T6_T7_T8_P12ihipStream_tbENKUlT_T0_E_clISt17integral_constantIbLb0EES11_EEDaSW_SX_EUlSW_E_NS1_11comp_targetILNS1_3genE2ELNS1_11target_archE906ELNS1_3gpuE6ELNS1_3repE0EEENS1_30default_config_static_selectorELNS0_4arch9wavefront6targetE1EEEvT1_
	.p2align	8
	.type	_ZN7rocprim17ROCPRIM_400000_NS6detail17trampoline_kernelINS0_14default_configENS1_29reduce_by_key_config_selectorIffN6thrust23THRUST_200600_302600_NS4plusIfEEEEZZNS1_33reduce_by_key_impl_wrapped_configILNS1_25lookback_scan_determinismE0ES3_S9_NS6_6detail15normal_iteratorINS6_10device_ptrIfEEEESG_SG_SG_PmS8_22is_equal_div_10_reduceIfEEE10hipError_tPvRmT2_T3_mT4_T5_T6_T7_T8_P12ihipStream_tbENKUlT_T0_E_clISt17integral_constantIbLb0EES11_EEDaSW_SX_EUlSW_E_NS1_11comp_targetILNS1_3genE2ELNS1_11target_archE906ELNS1_3gpuE6ELNS1_3repE0EEENS1_30default_config_static_selectorELNS0_4arch9wavefront6targetE1EEEvT1_,@function
_ZN7rocprim17ROCPRIM_400000_NS6detail17trampoline_kernelINS0_14default_configENS1_29reduce_by_key_config_selectorIffN6thrust23THRUST_200600_302600_NS4plusIfEEEEZZNS1_33reduce_by_key_impl_wrapped_configILNS1_25lookback_scan_determinismE0ES3_S9_NS6_6detail15normal_iteratorINS6_10device_ptrIfEEEESG_SG_SG_PmS8_22is_equal_div_10_reduceIfEEE10hipError_tPvRmT2_T3_mT4_T5_T6_T7_T8_P12ihipStream_tbENKUlT_T0_E_clISt17integral_constantIbLb0EES11_EEDaSW_SX_EUlSW_E_NS1_11comp_targetILNS1_3genE2ELNS1_11target_archE906ELNS1_3gpuE6ELNS1_3repE0EEENS1_30default_config_static_selectorELNS0_4arch9wavefront6targetE1EEEvT1_: ; @_ZN7rocprim17ROCPRIM_400000_NS6detail17trampoline_kernelINS0_14default_configENS1_29reduce_by_key_config_selectorIffN6thrust23THRUST_200600_302600_NS4plusIfEEEEZZNS1_33reduce_by_key_impl_wrapped_configILNS1_25lookback_scan_determinismE0ES3_S9_NS6_6detail15normal_iteratorINS6_10device_ptrIfEEEESG_SG_SG_PmS8_22is_equal_div_10_reduceIfEEE10hipError_tPvRmT2_T3_mT4_T5_T6_T7_T8_P12ihipStream_tbENKUlT_T0_E_clISt17integral_constantIbLb0EES11_EEDaSW_SX_EUlSW_E_NS1_11comp_targetILNS1_3genE2ELNS1_11target_archE906ELNS1_3gpuE6ELNS1_3repE0EEENS1_30default_config_static_selectorELNS0_4arch9wavefront6targetE1EEEvT1_
; %bb.0:
	.section	.rodata,"a",@progbits
	.p2align	6, 0x0
	.amdhsa_kernel _ZN7rocprim17ROCPRIM_400000_NS6detail17trampoline_kernelINS0_14default_configENS1_29reduce_by_key_config_selectorIffN6thrust23THRUST_200600_302600_NS4plusIfEEEEZZNS1_33reduce_by_key_impl_wrapped_configILNS1_25lookback_scan_determinismE0ES3_S9_NS6_6detail15normal_iteratorINS6_10device_ptrIfEEEESG_SG_SG_PmS8_22is_equal_div_10_reduceIfEEE10hipError_tPvRmT2_T3_mT4_T5_T6_T7_T8_P12ihipStream_tbENKUlT_T0_E_clISt17integral_constantIbLb0EES11_EEDaSW_SX_EUlSW_E_NS1_11comp_targetILNS1_3genE2ELNS1_11target_archE906ELNS1_3gpuE6ELNS1_3repE0EEENS1_30default_config_static_selectorELNS0_4arch9wavefront6targetE1EEEvT1_
		.amdhsa_group_segment_fixed_size 0
		.amdhsa_private_segment_fixed_size 0
		.amdhsa_kernarg_size 120
		.amdhsa_user_sgpr_count 6
		.amdhsa_user_sgpr_private_segment_buffer 1
		.amdhsa_user_sgpr_dispatch_ptr 0
		.amdhsa_user_sgpr_queue_ptr 0
		.amdhsa_user_sgpr_kernarg_segment_ptr 1
		.amdhsa_user_sgpr_dispatch_id 0
		.amdhsa_user_sgpr_flat_scratch_init 0
		.amdhsa_user_sgpr_kernarg_preload_length 0
		.amdhsa_user_sgpr_kernarg_preload_offset 0
		.amdhsa_user_sgpr_private_segment_size 0
		.amdhsa_uses_dynamic_stack 0
		.amdhsa_system_sgpr_private_segment_wavefront_offset 0
		.amdhsa_system_sgpr_workgroup_id_x 1
		.amdhsa_system_sgpr_workgroup_id_y 0
		.amdhsa_system_sgpr_workgroup_id_z 0
		.amdhsa_system_sgpr_workgroup_info 0
		.amdhsa_system_vgpr_workitem_id 0
		.amdhsa_next_free_vgpr 1
		.amdhsa_next_free_sgpr 0
		.amdhsa_accum_offset 4
		.amdhsa_reserve_vcc 0
		.amdhsa_reserve_flat_scratch 0
		.amdhsa_float_round_mode_32 0
		.amdhsa_float_round_mode_16_64 0
		.amdhsa_float_denorm_mode_32 3
		.amdhsa_float_denorm_mode_16_64 3
		.amdhsa_dx10_clamp 1
		.amdhsa_ieee_mode 1
		.amdhsa_fp16_overflow 0
		.amdhsa_tg_split 0
		.amdhsa_exception_fp_ieee_invalid_op 0
		.amdhsa_exception_fp_denorm_src 0
		.amdhsa_exception_fp_ieee_div_zero 0
		.amdhsa_exception_fp_ieee_overflow 0
		.amdhsa_exception_fp_ieee_underflow 0
		.amdhsa_exception_fp_ieee_inexact 0
		.amdhsa_exception_int_div_zero 0
	.end_amdhsa_kernel
	.section	.text._ZN7rocprim17ROCPRIM_400000_NS6detail17trampoline_kernelINS0_14default_configENS1_29reduce_by_key_config_selectorIffN6thrust23THRUST_200600_302600_NS4plusIfEEEEZZNS1_33reduce_by_key_impl_wrapped_configILNS1_25lookback_scan_determinismE0ES3_S9_NS6_6detail15normal_iteratorINS6_10device_ptrIfEEEESG_SG_SG_PmS8_22is_equal_div_10_reduceIfEEE10hipError_tPvRmT2_T3_mT4_T5_T6_T7_T8_P12ihipStream_tbENKUlT_T0_E_clISt17integral_constantIbLb0EES11_EEDaSW_SX_EUlSW_E_NS1_11comp_targetILNS1_3genE2ELNS1_11target_archE906ELNS1_3gpuE6ELNS1_3repE0EEENS1_30default_config_static_selectorELNS0_4arch9wavefront6targetE1EEEvT1_,"axG",@progbits,_ZN7rocprim17ROCPRIM_400000_NS6detail17trampoline_kernelINS0_14default_configENS1_29reduce_by_key_config_selectorIffN6thrust23THRUST_200600_302600_NS4plusIfEEEEZZNS1_33reduce_by_key_impl_wrapped_configILNS1_25lookback_scan_determinismE0ES3_S9_NS6_6detail15normal_iteratorINS6_10device_ptrIfEEEESG_SG_SG_PmS8_22is_equal_div_10_reduceIfEEE10hipError_tPvRmT2_T3_mT4_T5_T6_T7_T8_P12ihipStream_tbENKUlT_T0_E_clISt17integral_constantIbLb0EES11_EEDaSW_SX_EUlSW_E_NS1_11comp_targetILNS1_3genE2ELNS1_11target_archE906ELNS1_3gpuE6ELNS1_3repE0EEENS1_30default_config_static_selectorELNS0_4arch9wavefront6targetE1EEEvT1_,comdat
.Lfunc_end204:
	.size	_ZN7rocprim17ROCPRIM_400000_NS6detail17trampoline_kernelINS0_14default_configENS1_29reduce_by_key_config_selectorIffN6thrust23THRUST_200600_302600_NS4plusIfEEEEZZNS1_33reduce_by_key_impl_wrapped_configILNS1_25lookback_scan_determinismE0ES3_S9_NS6_6detail15normal_iteratorINS6_10device_ptrIfEEEESG_SG_SG_PmS8_22is_equal_div_10_reduceIfEEE10hipError_tPvRmT2_T3_mT4_T5_T6_T7_T8_P12ihipStream_tbENKUlT_T0_E_clISt17integral_constantIbLb0EES11_EEDaSW_SX_EUlSW_E_NS1_11comp_targetILNS1_3genE2ELNS1_11target_archE906ELNS1_3gpuE6ELNS1_3repE0EEENS1_30default_config_static_selectorELNS0_4arch9wavefront6targetE1EEEvT1_, .Lfunc_end204-_ZN7rocprim17ROCPRIM_400000_NS6detail17trampoline_kernelINS0_14default_configENS1_29reduce_by_key_config_selectorIffN6thrust23THRUST_200600_302600_NS4plusIfEEEEZZNS1_33reduce_by_key_impl_wrapped_configILNS1_25lookback_scan_determinismE0ES3_S9_NS6_6detail15normal_iteratorINS6_10device_ptrIfEEEESG_SG_SG_PmS8_22is_equal_div_10_reduceIfEEE10hipError_tPvRmT2_T3_mT4_T5_T6_T7_T8_P12ihipStream_tbENKUlT_T0_E_clISt17integral_constantIbLb0EES11_EEDaSW_SX_EUlSW_E_NS1_11comp_targetILNS1_3genE2ELNS1_11target_archE906ELNS1_3gpuE6ELNS1_3repE0EEENS1_30default_config_static_selectorELNS0_4arch9wavefront6targetE1EEEvT1_
                                        ; -- End function
	.section	.AMDGPU.csdata,"",@progbits
; Kernel info:
; codeLenInByte = 0
; NumSgprs: 4
; NumVgprs: 0
; NumAgprs: 0
; TotalNumVgprs: 0
; ScratchSize: 0
; MemoryBound: 0
; FloatMode: 240
; IeeeMode: 1
; LDSByteSize: 0 bytes/workgroup (compile time only)
; SGPRBlocks: 0
; VGPRBlocks: 0
; NumSGPRsForWavesPerEU: 4
; NumVGPRsForWavesPerEU: 1
; AccumOffset: 4
; Occupancy: 8
; WaveLimiterHint : 0
; COMPUTE_PGM_RSRC2:SCRATCH_EN: 0
; COMPUTE_PGM_RSRC2:USER_SGPR: 6
; COMPUTE_PGM_RSRC2:TRAP_HANDLER: 0
; COMPUTE_PGM_RSRC2:TGID_X_EN: 1
; COMPUTE_PGM_RSRC2:TGID_Y_EN: 0
; COMPUTE_PGM_RSRC2:TGID_Z_EN: 0
; COMPUTE_PGM_RSRC2:TIDIG_COMP_CNT: 0
; COMPUTE_PGM_RSRC3_GFX90A:ACCUM_OFFSET: 0
; COMPUTE_PGM_RSRC3_GFX90A:TG_SPLIT: 0
	.section	.text._ZN7rocprim17ROCPRIM_400000_NS6detail17trampoline_kernelINS0_14default_configENS1_29reduce_by_key_config_selectorIffN6thrust23THRUST_200600_302600_NS4plusIfEEEEZZNS1_33reduce_by_key_impl_wrapped_configILNS1_25lookback_scan_determinismE0ES3_S9_NS6_6detail15normal_iteratorINS6_10device_ptrIfEEEESG_SG_SG_PmS8_22is_equal_div_10_reduceIfEEE10hipError_tPvRmT2_T3_mT4_T5_T6_T7_T8_P12ihipStream_tbENKUlT_T0_E_clISt17integral_constantIbLb0EES11_EEDaSW_SX_EUlSW_E_NS1_11comp_targetILNS1_3genE10ELNS1_11target_archE1201ELNS1_3gpuE5ELNS1_3repE0EEENS1_30default_config_static_selectorELNS0_4arch9wavefront6targetE1EEEvT1_,"axG",@progbits,_ZN7rocprim17ROCPRIM_400000_NS6detail17trampoline_kernelINS0_14default_configENS1_29reduce_by_key_config_selectorIffN6thrust23THRUST_200600_302600_NS4plusIfEEEEZZNS1_33reduce_by_key_impl_wrapped_configILNS1_25lookback_scan_determinismE0ES3_S9_NS6_6detail15normal_iteratorINS6_10device_ptrIfEEEESG_SG_SG_PmS8_22is_equal_div_10_reduceIfEEE10hipError_tPvRmT2_T3_mT4_T5_T6_T7_T8_P12ihipStream_tbENKUlT_T0_E_clISt17integral_constantIbLb0EES11_EEDaSW_SX_EUlSW_E_NS1_11comp_targetILNS1_3genE10ELNS1_11target_archE1201ELNS1_3gpuE5ELNS1_3repE0EEENS1_30default_config_static_selectorELNS0_4arch9wavefront6targetE1EEEvT1_,comdat
	.protected	_ZN7rocprim17ROCPRIM_400000_NS6detail17trampoline_kernelINS0_14default_configENS1_29reduce_by_key_config_selectorIffN6thrust23THRUST_200600_302600_NS4plusIfEEEEZZNS1_33reduce_by_key_impl_wrapped_configILNS1_25lookback_scan_determinismE0ES3_S9_NS6_6detail15normal_iteratorINS6_10device_ptrIfEEEESG_SG_SG_PmS8_22is_equal_div_10_reduceIfEEE10hipError_tPvRmT2_T3_mT4_T5_T6_T7_T8_P12ihipStream_tbENKUlT_T0_E_clISt17integral_constantIbLb0EES11_EEDaSW_SX_EUlSW_E_NS1_11comp_targetILNS1_3genE10ELNS1_11target_archE1201ELNS1_3gpuE5ELNS1_3repE0EEENS1_30default_config_static_selectorELNS0_4arch9wavefront6targetE1EEEvT1_ ; -- Begin function _ZN7rocprim17ROCPRIM_400000_NS6detail17trampoline_kernelINS0_14default_configENS1_29reduce_by_key_config_selectorIffN6thrust23THRUST_200600_302600_NS4plusIfEEEEZZNS1_33reduce_by_key_impl_wrapped_configILNS1_25lookback_scan_determinismE0ES3_S9_NS6_6detail15normal_iteratorINS6_10device_ptrIfEEEESG_SG_SG_PmS8_22is_equal_div_10_reduceIfEEE10hipError_tPvRmT2_T3_mT4_T5_T6_T7_T8_P12ihipStream_tbENKUlT_T0_E_clISt17integral_constantIbLb0EES11_EEDaSW_SX_EUlSW_E_NS1_11comp_targetILNS1_3genE10ELNS1_11target_archE1201ELNS1_3gpuE5ELNS1_3repE0EEENS1_30default_config_static_selectorELNS0_4arch9wavefront6targetE1EEEvT1_
	.globl	_ZN7rocprim17ROCPRIM_400000_NS6detail17trampoline_kernelINS0_14default_configENS1_29reduce_by_key_config_selectorIffN6thrust23THRUST_200600_302600_NS4plusIfEEEEZZNS1_33reduce_by_key_impl_wrapped_configILNS1_25lookback_scan_determinismE0ES3_S9_NS6_6detail15normal_iteratorINS6_10device_ptrIfEEEESG_SG_SG_PmS8_22is_equal_div_10_reduceIfEEE10hipError_tPvRmT2_T3_mT4_T5_T6_T7_T8_P12ihipStream_tbENKUlT_T0_E_clISt17integral_constantIbLb0EES11_EEDaSW_SX_EUlSW_E_NS1_11comp_targetILNS1_3genE10ELNS1_11target_archE1201ELNS1_3gpuE5ELNS1_3repE0EEENS1_30default_config_static_selectorELNS0_4arch9wavefront6targetE1EEEvT1_
	.p2align	8
	.type	_ZN7rocprim17ROCPRIM_400000_NS6detail17trampoline_kernelINS0_14default_configENS1_29reduce_by_key_config_selectorIffN6thrust23THRUST_200600_302600_NS4plusIfEEEEZZNS1_33reduce_by_key_impl_wrapped_configILNS1_25lookback_scan_determinismE0ES3_S9_NS6_6detail15normal_iteratorINS6_10device_ptrIfEEEESG_SG_SG_PmS8_22is_equal_div_10_reduceIfEEE10hipError_tPvRmT2_T3_mT4_T5_T6_T7_T8_P12ihipStream_tbENKUlT_T0_E_clISt17integral_constantIbLb0EES11_EEDaSW_SX_EUlSW_E_NS1_11comp_targetILNS1_3genE10ELNS1_11target_archE1201ELNS1_3gpuE5ELNS1_3repE0EEENS1_30default_config_static_selectorELNS0_4arch9wavefront6targetE1EEEvT1_,@function
_ZN7rocprim17ROCPRIM_400000_NS6detail17trampoline_kernelINS0_14default_configENS1_29reduce_by_key_config_selectorIffN6thrust23THRUST_200600_302600_NS4plusIfEEEEZZNS1_33reduce_by_key_impl_wrapped_configILNS1_25lookback_scan_determinismE0ES3_S9_NS6_6detail15normal_iteratorINS6_10device_ptrIfEEEESG_SG_SG_PmS8_22is_equal_div_10_reduceIfEEE10hipError_tPvRmT2_T3_mT4_T5_T6_T7_T8_P12ihipStream_tbENKUlT_T0_E_clISt17integral_constantIbLb0EES11_EEDaSW_SX_EUlSW_E_NS1_11comp_targetILNS1_3genE10ELNS1_11target_archE1201ELNS1_3gpuE5ELNS1_3repE0EEENS1_30default_config_static_selectorELNS0_4arch9wavefront6targetE1EEEvT1_: ; @_ZN7rocprim17ROCPRIM_400000_NS6detail17trampoline_kernelINS0_14default_configENS1_29reduce_by_key_config_selectorIffN6thrust23THRUST_200600_302600_NS4plusIfEEEEZZNS1_33reduce_by_key_impl_wrapped_configILNS1_25lookback_scan_determinismE0ES3_S9_NS6_6detail15normal_iteratorINS6_10device_ptrIfEEEESG_SG_SG_PmS8_22is_equal_div_10_reduceIfEEE10hipError_tPvRmT2_T3_mT4_T5_T6_T7_T8_P12ihipStream_tbENKUlT_T0_E_clISt17integral_constantIbLb0EES11_EEDaSW_SX_EUlSW_E_NS1_11comp_targetILNS1_3genE10ELNS1_11target_archE1201ELNS1_3gpuE5ELNS1_3repE0EEENS1_30default_config_static_selectorELNS0_4arch9wavefront6targetE1EEEvT1_
; %bb.0:
	.section	.rodata,"a",@progbits
	.p2align	6, 0x0
	.amdhsa_kernel _ZN7rocprim17ROCPRIM_400000_NS6detail17trampoline_kernelINS0_14default_configENS1_29reduce_by_key_config_selectorIffN6thrust23THRUST_200600_302600_NS4plusIfEEEEZZNS1_33reduce_by_key_impl_wrapped_configILNS1_25lookback_scan_determinismE0ES3_S9_NS6_6detail15normal_iteratorINS6_10device_ptrIfEEEESG_SG_SG_PmS8_22is_equal_div_10_reduceIfEEE10hipError_tPvRmT2_T3_mT4_T5_T6_T7_T8_P12ihipStream_tbENKUlT_T0_E_clISt17integral_constantIbLb0EES11_EEDaSW_SX_EUlSW_E_NS1_11comp_targetILNS1_3genE10ELNS1_11target_archE1201ELNS1_3gpuE5ELNS1_3repE0EEENS1_30default_config_static_selectorELNS0_4arch9wavefront6targetE1EEEvT1_
		.amdhsa_group_segment_fixed_size 0
		.amdhsa_private_segment_fixed_size 0
		.amdhsa_kernarg_size 120
		.amdhsa_user_sgpr_count 6
		.amdhsa_user_sgpr_private_segment_buffer 1
		.amdhsa_user_sgpr_dispatch_ptr 0
		.amdhsa_user_sgpr_queue_ptr 0
		.amdhsa_user_sgpr_kernarg_segment_ptr 1
		.amdhsa_user_sgpr_dispatch_id 0
		.amdhsa_user_sgpr_flat_scratch_init 0
		.amdhsa_user_sgpr_kernarg_preload_length 0
		.amdhsa_user_sgpr_kernarg_preload_offset 0
		.amdhsa_user_sgpr_private_segment_size 0
		.amdhsa_uses_dynamic_stack 0
		.amdhsa_system_sgpr_private_segment_wavefront_offset 0
		.amdhsa_system_sgpr_workgroup_id_x 1
		.amdhsa_system_sgpr_workgroup_id_y 0
		.amdhsa_system_sgpr_workgroup_id_z 0
		.amdhsa_system_sgpr_workgroup_info 0
		.amdhsa_system_vgpr_workitem_id 0
		.amdhsa_next_free_vgpr 1
		.amdhsa_next_free_sgpr 0
		.amdhsa_accum_offset 4
		.amdhsa_reserve_vcc 0
		.amdhsa_reserve_flat_scratch 0
		.amdhsa_float_round_mode_32 0
		.amdhsa_float_round_mode_16_64 0
		.amdhsa_float_denorm_mode_32 3
		.amdhsa_float_denorm_mode_16_64 3
		.amdhsa_dx10_clamp 1
		.amdhsa_ieee_mode 1
		.amdhsa_fp16_overflow 0
		.amdhsa_tg_split 0
		.amdhsa_exception_fp_ieee_invalid_op 0
		.amdhsa_exception_fp_denorm_src 0
		.amdhsa_exception_fp_ieee_div_zero 0
		.amdhsa_exception_fp_ieee_overflow 0
		.amdhsa_exception_fp_ieee_underflow 0
		.amdhsa_exception_fp_ieee_inexact 0
		.amdhsa_exception_int_div_zero 0
	.end_amdhsa_kernel
	.section	.text._ZN7rocprim17ROCPRIM_400000_NS6detail17trampoline_kernelINS0_14default_configENS1_29reduce_by_key_config_selectorIffN6thrust23THRUST_200600_302600_NS4plusIfEEEEZZNS1_33reduce_by_key_impl_wrapped_configILNS1_25lookback_scan_determinismE0ES3_S9_NS6_6detail15normal_iteratorINS6_10device_ptrIfEEEESG_SG_SG_PmS8_22is_equal_div_10_reduceIfEEE10hipError_tPvRmT2_T3_mT4_T5_T6_T7_T8_P12ihipStream_tbENKUlT_T0_E_clISt17integral_constantIbLb0EES11_EEDaSW_SX_EUlSW_E_NS1_11comp_targetILNS1_3genE10ELNS1_11target_archE1201ELNS1_3gpuE5ELNS1_3repE0EEENS1_30default_config_static_selectorELNS0_4arch9wavefront6targetE1EEEvT1_,"axG",@progbits,_ZN7rocprim17ROCPRIM_400000_NS6detail17trampoline_kernelINS0_14default_configENS1_29reduce_by_key_config_selectorIffN6thrust23THRUST_200600_302600_NS4plusIfEEEEZZNS1_33reduce_by_key_impl_wrapped_configILNS1_25lookback_scan_determinismE0ES3_S9_NS6_6detail15normal_iteratorINS6_10device_ptrIfEEEESG_SG_SG_PmS8_22is_equal_div_10_reduceIfEEE10hipError_tPvRmT2_T3_mT4_T5_T6_T7_T8_P12ihipStream_tbENKUlT_T0_E_clISt17integral_constantIbLb0EES11_EEDaSW_SX_EUlSW_E_NS1_11comp_targetILNS1_3genE10ELNS1_11target_archE1201ELNS1_3gpuE5ELNS1_3repE0EEENS1_30default_config_static_selectorELNS0_4arch9wavefront6targetE1EEEvT1_,comdat
.Lfunc_end205:
	.size	_ZN7rocprim17ROCPRIM_400000_NS6detail17trampoline_kernelINS0_14default_configENS1_29reduce_by_key_config_selectorIffN6thrust23THRUST_200600_302600_NS4plusIfEEEEZZNS1_33reduce_by_key_impl_wrapped_configILNS1_25lookback_scan_determinismE0ES3_S9_NS6_6detail15normal_iteratorINS6_10device_ptrIfEEEESG_SG_SG_PmS8_22is_equal_div_10_reduceIfEEE10hipError_tPvRmT2_T3_mT4_T5_T6_T7_T8_P12ihipStream_tbENKUlT_T0_E_clISt17integral_constantIbLb0EES11_EEDaSW_SX_EUlSW_E_NS1_11comp_targetILNS1_3genE10ELNS1_11target_archE1201ELNS1_3gpuE5ELNS1_3repE0EEENS1_30default_config_static_selectorELNS0_4arch9wavefront6targetE1EEEvT1_, .Lfunc_end205-_ZN7rocprim17ROCPRIM_400000_NS6detail17trampoline_kernelINS0_14default_configENS1_29reduce_by_key_config_selectorIffN6thrust23THRUST_200600_302600_NS4plusIfEEEEZZNS1_33reduce_by_key_impl_wrapped_configILNS1_25lookback_scan_determinismE0ES3_S9_NS6_6detail15normal_iteratorINS6_10device_ptrIfEEEESG_SG_SG_PmS8_22is_equal_div_10_reduceIfEEE10hipError_tPvRmT2_T3_mT4_T5_T6_T7_T8_P12ihipStream_tbENKUlT_T0_E_clISt17integral_constantIbLb0EES11_EEDaSW_SX_EUlSW_E_NS1_11comp_targetILNS1_3genE10ELNS1_11target_archE1201ELNS1_3gpuE5ELNS1_3repE0EEENS1_30default_config_static_selectorELNS0_4arch9wavefront6targetE1EEEvT1_
                                        ; -- End function
	.section	.AMDGPU.csdata,"",@progbits
; Kernel info:
; codeLenInByte = 0
; NumSgprs: 4
; NumVgprs: 0
; NumAgprs: 0
; TotalNumVgprs: 0
; ScratchSize: 0
; MemoryBound: 0
; FloatMode: 240
; IeeeMode: 1
; LDSByteSize: 0 bytes/workgroup (compile time only)
; SGPRBlocks: 0
; VGPRBlocks: 0
; NumSGPRsForWavesPerEU: 4
; NumVGPRsForWavesPerEU: 1
; AccumOffset: 4
; Occupancy: 8
; WaveLimiterHint : 0
; COMPUTE_PGM_RSRC2:SCRATCH_EN: 0
; COMPUTE_PGM_RSRC2:USER_SGPR: 6
; COMPUTE_PGM_RSRC2:TRAP_HANDLER: 0
; COMPUTE_PGM_RSRC2:TGID_X_EN: 1
; COMPUTE_PGM_RSRC2:TGID_Y_EN: 0
; COMPUTE_PGM_RSRC2:TGID_Z_EN: 0
; COMPUTE_PGM_RSRC2:TIDIG_COMP_CNT: 0
; COMPUTE_PGM_RSRC3_GFX90A:ACCUM_OFFSET: 0
; COMPUTE_PGM_RSRC3_GFX90A:TG_SPLIT: 0
	.section	.text._ZN7rocprim17ROCPRIM_400000_NS6detail17trampoline_kernelINS0_14default_configENS1_29reduce_by_key_config_selectorIffN6thrust23THRUST_200600_302600_NS4plusIfEEEEZZNS1_33reduce_by_key_impl_wrapped_configILNS1_25lookback_scan_determinismE0ES3_S9_NS6_6detail15normal_iteratorINS6_10device_ptrIfEEEESG_SG_SG_PmS8_22is_equal_div_10_reduceIfEEE10hipError_tPvRmT2_T3_mT4_T5_T6_T7_T8_P12ihipStream_tbENKUlT_T0_E_clISt17integral_constantIbLb0EES11_EEDaSW_SX_EUlSW_E_NS1_11comp_targetILNS1_3genE10ELNS1_11target_archE1200ELNS1_3gpuE4ELNS1_3repE0EEENS1_30default_config_static_selectorELNS0_4arch9wavefront6targetE1EEEvT1_,"axG",@progbits,_ZN7rocprim17ROCPRIM_400000_NS6detail17trampoline_kernelINS0_14default_configENS1_29reduce_by_key_config_selectorIffN6thrust23THRUST_200600_302600_NS4plusIfEEEEZZNS1_33reduce_by_key_impl_wrapped_configILNS1_25lookback_scan_determinismE0ES3_S9_NS6_6detail15normal_iteratorINS6_10device_ptrIfEEEESG_SG_SG_PmS8_22is_equal_div_10_reduceIfEEE10hipError_tPvRmT2_T3_mT4_T5_T6_T7_T8_P12ihipStream_tbENKUlT_T0_E_clISt17integral_constantIbLb0EES11_EEDaSW_SX_EUlSW_E_NS1_11comp_targetILNS1_3genE10ELNS1_11target_archE1200ELNS1_3gpuE4ELNS1_3repE0EEENS1_30default_config_static_selectorELNS0_4arch9wavefront6targetE1EEEvT1_,comdat
	.protected	_ZN7rocprim17ROCPRIM_400000_NS6detail17trampoline_kernelINS0_14default_configENS1_29reduce_by_key_config_selectorIffN6thrust23THRUST_200600_302600_NS4plusIfEEEEZZNS1_33reduce_by_key_impl_wrapped_configILNS1_25lookback_scan_determinismE0ES3_S9_NS6_6detail15normal_iteratorINS6_10device_ptrIfEEEESG_SG_SG_PmS8_22is_equal_div_10_reduceIfEEE10hipError_tPvRmT2_T3_mT4_T5_T6_T7_T8_P12ihipStream_tbENKUlT_T0_E_clISt17integral_constantIbLb0EES11_EEDaSW_SX_EUlSW_E_NS1_11comp_targetILNS1_3genE10ELNS1_11target_archE1200ELNS1_3gpuE4ELNS1_3repE0EEENS1_30default_config_static_selectorELNS0_4arch9wavefront6targetE1EEEvT1_ ; -- Begin function _ZN7rocprim17ROCPRIM_400000_NS6detail17trampoline_kernelINS0_14default_configENS1_29reduce_by_key_config_selectorIffN6thrust23THRUST_200600_302600_NS4plusIfEEEEZZNS1_33reduce_by_key_impl_wrapped_configILNS1_25lookback_scan_determinismE0ES3_S9_NS6_6detail15normal_iteratorINS6_10device_ptrIfEEEESG_SG_SG_PmS8_22is_equal_div_10_reduceIfEEE10hipError_tPvRmT2_T3_mT4_T5_T6_T7_T8_P12ihipStream_tbENKUlT_T0_E_clISt17integral_constantIbLb0EES11_EEDaSW_SX_EUlSW_E_NS1_11comp_targetILNS1_3genE10ELNS1_11target_archE1200ELNS1_3gpuE4ELNS1_3repE0EEENS1_30default_config_static_selectorELNS0_4arch9wavefront6targetE1EEEvT1_
	.globl	_ZN7rocprim17ROCPRIM_400000_NS6detail17trampoline_kernelINS0_14default_configENS1_29reduce_by_key_config_selectorIffN6thrust23THRUST_200600_302600_NS4plusIfEEEEZZNS1_33reduce_by_key_impl_wrapped_configILNS1_25lookback_scan_determinismE0ES3_S9_NS6_6detail15normal_iteratorINS6_10device_ptrIfEEEESG_SG_SG_PmS8_22is_equal_div_10_reduceIfEEE10hipError_tPvRmT2_T3_mT4_T5_T6_T7_T8_P12ihipStream_tbENKUlT_T0_E_clISt17integral_constantIbLb0EES11_EEDaSW_SX_EUlSW_E_NS1_11comp_targetILNS1_3genE10ELNS1_11target_archE1200ELNS1_3gpuE4ELNS1_3repE0EEENS1_30default_config_static_selectorELNS0_4arch9wavefront6targetE1EEEvT1_
	.p2align	8
	.type	_ZN7rocprim17ROCPRIM_400000_NS6detail17trampoline_kernelINS0_14default_configENS1_29reduce_by_key_config_selectorIffN6thrust23THRUST_200600_302600_NS4plusIfEEEEZZNS1_33reduce_by_key_impl_wrapped_configILNS1_25lookback_scan_determinismE0ES3_S9_NS6_6detail15normal_iteratorINS6_10device_ptrIfEEEESG_SG_SG_PmS8_22is_equal_div_10_reduceIfEEE10hipError_tPvRmT2_T3_mT4_T5_T6_T7_T8_P12ihipStream_tbENKUlT_T0_E_clISt17integral_constantIbLb0EES11_EEDaSW_SX_EUlSW_E_NS1_11comp_targetILNS1_3genE10ELNS1_11target_archE1200ELNS1_3gpuE4ELNS1_3repE0EEENS1_30default_config_static_selectorELNS0_4arch9wavefront6targetE1EEEvT1_,@function
_ZN7rocprim17ROCPRIM_400000_NS6detail17trampoline_kernelINS0_14default_configENS1_29reduce_by_key_config_selectorIffN6thrust23THRUST_200600_302600_NS4plusIfEEEEZZNS1_33reduce_by_key_impl_wrapped_configILNS1_25lookback_scan_determinismE0ES3_S9_NS6_6detail15normal_iteratorINS6_10device_ptrIfEEEESG_SG_SG_PmS8_22is_equal_div_10_reduceIfEEE10hipError_tPvRmT2_T3_mT4_T5_T6_T7_T8_P12ihipStream_tbENKUlT_T0_E_clISt17integral_constantIbLb0EES11_EEDaSW_SX_EUlSW_E_NS1_11comp_targetILNS1_3genE10ELNS1_11target_archE1200ELNS1_3gpuE4ELNS1_3repE0EEENS1_30default_config_static_selectorELNS0_4arch9wavefront6targetE1EEEvT1_: ; @_ZN7rocprim17ROCPRIM_400000_NS6detail17trampoline_kernelINS0_14default_configENS1_29reduce_by_key_config_selectorIffN6thrust23THRUST_200600_302600_NS4plusIfEEEEZZNS1_33reduce_by_key_impl_wrapped_configILNS1_25lookback_scan_determinismE0ES3_S9_NS6_6detail15normal_iteratorINS6_10device_ptrIfEEEESG_SG_SG_PmS8_22is_equal_div_10_reduceIfEEE10hipError_tPvRmT2_T3_mT4_T5_T6_T7_T8_P12ihipStream_tbENKUlT_T0_E_clISt17integral_constantIbLb0EES11_EEDaSW_SX_EUlSW_E_NS1_11comp_targetILNS1_3genE10ELNS1_11target_archE1200ELNS1_3gpuE4ELNS1_3repE0EEENS1_30default_config_static_selectorELNS0_4arch9wavefront6targetE1EEEvT1_
; %bb.0:
	.section	.rodata,"a",@progbits
	.p2align	6, 0x0
	.amdhsa_kernel _ZN7rocprim17ROCPRIM_400000_NS6detail17trampoline_kernelINS0_14default_configENS1_29reduce_by_key_config_selectorIffN6thrust23THRUST_200600_302600_NS4plusIfEEEEZZNS1_33reduce_by_key_impl_wrapped_configILNS1_25lookback_scan_determinismE0ES3_S9_NS6_6detail15normal_iteratorINS6_10device_ptrIfEEEESG_SG_SG_PmS8_22is_equal_div_10_reduceIfEEE10hipError_tPvRmT2_T3_mT4_T5_T6_T7_T8_P12ihipStream_tbENKUlT_T0_E_clISt17integral_constantIbLb0EES11_EEDaSW_SX_EUlSW_E_NS1_11comp_targetILNS1_3genE10ELNS1_11target_archE1200ELNS1_3gpuE4ELNS1_3repE0EEENS1_30default_config_static_selectorELNS0_4arch9wavefront6targetE1EEEvT1_
		.amdhsa_group_segment_fixed_size 0
		.amdhsa_private_segment_fixed_size 0
		.amdhsa_kernarg_size 120
		.amdhsa_user_sgpr_count 6
		.amdhsa_user_sgpr_private_segment_buffer 1
		.amdhsa_user_sgpr_dispatch_ptr 0
		.amdhsa_user_sgpr_queue_ptr 0
		.amdhsa_user_sgpr_kernarg_segment_ptr 1
		.amdhsa_user_sgpr_dispatch_id 0
		.amdhsa_user_sgpr_flat_scratch_init 0
		.amdhsa_user_sgpr_kernarg_preload_length 0
		.amdhsa_user_sgpr_kernarg_preload_offset 0
		.amdhsa_user_sgpr_private_segment_size 0
		.amdhsa_uses_dynamic_stack 0
		.amdhsa_system_sgpr_private_segment_wavefront_offset 0
		.amdhsa_system_sgpr_workgroup_id_x 1
		.amdhsa_system_sgpr_workgroup_id_y 0
		.amdhsa_system_sgpr_workgroup_id_z 0
		.amdhsa_system_sgpr_workgroup_info 0
		.amdhsa_system_vgpr_workitem_id 0
		.amdhsa_next_free_vgpr 1
		.amdhsa_next_free_sgpr 0
		.amdhsa_accum_offset 4
		.amdhsa_reserve_vcc 0
		.amdhsa_reserve_flat_scratch 0
		.amdhsa_float_round_mode_32 0
		.amdhsa_float_round_mode_16_64 0
		.amdhsa_float_denorm_mode_32 3
		.amdhsa_float_denorm_mode_16_64 3
		.amdhsa_dx10_clamp 1
		.amdhsa_ieee_mode 1
		.amdhsa_fp16_overflow 0
		.amdhsa_tg_split 0
		.amdhsa_exception_fp_ieee_invalid_op 0
		.amdhsa_exception_fp_denorm_src 0
		.amdhsa_exception_fp_ieee_div_zero 0
		.amdhsa_exception_fp_ieee_overflow 0
		.amdhsa_exception_fp_ieee_underflow 0
		.amdhsa_exception_fp_ieee_inexact 0
		.amdhsa_exception_int_div_zero 0
	.end_amdhsa_kernel
	.section	.text._ZN7rocprim17ROCPRIM_400000_NS6detail17trampoline_kernelINS0_14default_configENS1_29reduce_by_key_config_selectorIffN6thrust23THRUST_200600_302600_NS4plusIfEEEEZZNS1_33reduce_by_key_impl_wrapped_configILNS1_25lookback_scan_determinismE0ES3_S9_NS6_6detail15normal_iteratorINS6_10device_ptrIfEEEESG_SG_SG_PmS8_22is_equal_div_10_reduceIfEEE10hipError_tPvRmT2_T3_mT4_T5_T6_T7_T8_P12ihipStream_tbENKUlT_T0_E_clISt17integral_constantIbLb0EES11_EEDaSW_SX_EUlSW_E_NS1_11comp_targetILNS1_3genE10ELNS1_11target_archE1200ELNS1_3gpuE4ELNS1_3repE0EEENS1_30default_config_static_selectorELNS0_4arch9wavefront6targetE1EEEvT1_,"axG",@progbits,_ZN7rocprim17ROCPRIM_400000_NS6detail17trampoline_kernelINS0_14default_configENS1_29reduce_by_key_config_selectorIffN6thrust23THRUST_200600_302600_NS4plusIfEEEEZZNS1_33reduce_by_key_impl_wrapped_configILNS1_25lookback_scan_determinismE0ES3_S9_NS6_6detail15normal_iteratorINS6_10device_ptrIfEEEESG_SG_SG_PmS8_22is_equal_div_10_reduceIfEEE10hipError_tPvRmT2_T3_mT4_T5_T6_T7_T8_P12ihipStream_tbENKUlT_T0_E_clISt17integral_constantIbLb0EES11_EEDaSW_SX_EUlSW_E_NS1_11comp_targetILNS1_3genE10ELNS1_11target_archE1200ELNS1_3gpuE4ELNS1_3repE0EEENS1_30default_config_static_selectorELNS0_4arch9wavefront6targetE1EEEvT1_,comdat
.Lfunc_end206:
	.size	_ZN7rocprim17ROCPRIM_400000_NS6detail17trampoline_kernelINS0_14default_configENS1_29reduce_by_key_config_selectorIffN6thrust23THRUST_200600_302600_NS4plusIfEEEEZZNS1_33reduce_by_key_impl_wrapped_configILNS1_25lookback_scan_determinismE0ES3_S9_NS6_6detail15normal_iteratorINS6_10device_ptrIfEEEESG_SG_SG_PmS8_22is_equal_div_10_reduceIfEEE10hipError_tPvRmT2_T3_mT4_T5_T6_T7_T8_P12ihipStream_tbENKUlT_T0_E_clISt17integral_constantIbLb0EES11_EEDaSW_SX_EUlSW_E_NS1_11comp_targetILNS1_3genE10ELNS1_11target_archE1200ELNS1_3gpuE4ELNS1_3repE0EEENS1_30default_config_static_selectorELNS0_4arch9wavefront6targetE1EEEvT1_, .Lfunc_end206-_ZN7rocprim17ROCPRIM_400000_NS6detail17trampoline_kernelINS0_14default_configENS1_29reduce_by_key_config_selectorIffN6thrust23THRUST_200600_302600_NS4plusIfEEEEZZNS1_33reduce_by_key_impl_wrapped_configILNS1_25lookback_scan_determinismE0ES3_S9_NS6_6detail15normal_iteratorINS6_10device_ptrIfEEEESG_SG_SG_PmS8_22is_equal_div_10_reduceIfEEE10hipError_tPvRmT2_T3_mT4_T5_T6_T7_T8_P12ihipStream_tbENKUlT_T0_E_clISt17integral_constantIbLb0EES11_EEDaSW_SX_EUlSW_E_NS1_11comp_targetILNS1_3genE10ELNS1_11target_archE1200ELNS1_3gpuE4ELNS1_3repE0EEENS1_30default_config_static_selectorELNS0_4arch9wavefront6targetE1EEEvT1_
                                        ; -- End function
	.section	.AMDGPU.csdata,"",@progbits
; Kernel info:
; codeLenInByte = 0
; NumSgprs: 4
; NumVgprs: 0
; NumAgprs: 0
; TotalNumVgprs: 0
; ScratchSize: 0
; MemoryBound: 0
; FloatMode: 240
; IeeeMode: 1
; LDSByteSize: 0 bytes/workgroup (compile time only)
; SGPRBlocks: 0
; VGPRBlocks: 0
; NumSGPRsForWavesPerEU: 4
; NumVGPRsForWavesPerEU: 1
; AccumOffset: 4
; Occupancy: 8
; WaveLimiterHint : 0
; COMPUTE_PGM_RSRC2:SCRATCH_EN: 0
; COMPUTE_PGM_RSRC2:USER_SGPR: 6
; COMPUTE_PGM_RSRC2:TRAP_HANDLER: 0
; COMPUTE_PGM_RSRC2:TGID_X_EN: 1
; COMPUTE_PGM_RSRC2:TGID_Y_EN: 0
; COMPUTE_PGM_RSRC2:TGID_Z_EN: 0
; COMPUTE_PGM_RSRC2:TIDIG_COMP_CNT: 0
; COMPUTE_PGM_RSRC3_GFX90A:ACCUM_OFFSET: 0
; COMPUTE_PGM_RSRC3_GFX90A:TG_SPLIT: 0
	.section	.text._ZN7rocprim17ROCPRIM_400000_NS6detail17trampoline_kernelINS0_14default_configENS1_29reduce_by_key_config_selectorIffN6thrust23THRUST_200600_302600_NS4plusIfEEEEZZNS1_33reduce_by_key_impl_wrapped_configILNS1_25lookback_scan_determinismE0ES3_S9_NS6_6detail15normal_iteratorINS6_10device_ptrIfEEEESG_SG_SG_PmS8_22is_equal_div_10_reduceIfEEE10hipError_tPvRmT2_T3_mT4_T5_T6_T7_T8_P12ihipStream_tbENKUlT_T0_E_clISt17integral_constantIbLb0EES11_EEDaSW_SX_EUlSW_E_NS1_11comp_targetILNS1_3genE9ELNS1_11target_archE1100ELNS1_3gpuE3ELNS1_3repE0EEENS1_30default_config_static_selectorELNS0_4arch9wavefront6targetE1EEEvT1_,"axG",@progbits,_ZN7rocprim17ROCPRIM_400000_NS6detail17trampoline_kernelINS0_14default_configENS1_29reduce_by_key_config_selectorIffN6thrust23THRUST_200600_302600_NS4plusIfEEEEZZNS1_33reduce_by_key_impl_wrapped_configILNS1_25lookback_scan_determinismE0ES3_S9_NS6_6detail15normal_iteratorINS6_10device_ptrIfEEEESG_SG_SG_PmS8_22is_equal_div_10_reduceIfEEE10hipError_tPvRmT2_T3_mT4_T5_T6_T7_T8_P12ihipStream_tbENKUlT_T0_E_clISt17integral_constantIbLb0EES11_EEDaSW_SX_EUlSW_E_NS1_11comp_targetILNS1_3genE9ELNS1_11target_archE1100ELNS1_3gpuE3ELNS1_3repE0EEENS1_30default_config_static_selectorELNS0_4arch9wavefront6targetE1EEEvT1_,comdat
	.protected	_ZN7rocprim17ROCPRIM_400000_NS6detail17trampoline_kernelINS0_14default_configENS1_29reduce_by_key_config_selectorIffN6thrust23THRUST_200600_302600_NS4plusIfEEEEZZNS1_33reduce_by_key_impl_wrapped_configILNS1_25lookback_scan_determinismE0ES3_S9_NS6_6detail15normal_iteratorINS6_10device_ptrIfEEEESG_SG_SG_PmS8_22is_equal_div_10_reduceIfEEE10hipError_tPvRmT2_T3_mT4_T5_T6_T7_T8_P12ihipStream_tbENKUlT_T0_E_clISt17integral_constantIbLb0EES11_EEDaSW_SX_EUlSW_E_NS1_11comp_targetILNS1_3genE9ELNS1_11target_archE1100ELNS1_3gpuE3ELNS1_3repE0EEENS1_30default_config_static_selectorELNS0_4arch9wavefront6targetE1EEEvT1_ ; -- Begin function _ZN7rocprim17ROCPRIM_400000_NS6detail17trampoline_kernelINS0_14default_configENS1_29reduce_by_key_config_selectorIffN6thrust23THRUST_200600_302600_NS4plusIfEEEEZZNS1_33reduce_by_key_impl_wrapped_configILNS1_25lookback_scan_determinismE0ES3_S9_NS6_6detail15normal_iteratorINS6_10device_ptrIfEEEESG_SG_SG_PmS8_22is_equal_div_10_reduceIfEEE10hipError_tPvRmT2_T3_mT4_T5_T6_T7_T8_P12ihipStream_tbENKUlT_T0_E_clISt17integral_constantIbLb0EES11_EEDaSW_SX_EUlSW_E_NS1_11comp_targetILNS1_3genE9ELNS1_11target_archE1100ELNS1_3gpuE3ELNS1_3repE0EEENS1_30default_config_static_selectorELNS0_4arch9wavefront6targetE1EEEvT1_
	.globl	_ZN7rocprim17ROCPRIM_400000_NS6detail17trampoline_kernelINS0_14default_configENS1_29reduce_by_key_config_selectorIffN6thrust23THRUST_200600_302600_NS4plusIfEEEEZZNS1_33reduce_by_key_impl_wrapped_configILNS1_25lookback_scan_determinismE0ES3_S9_NS6_6detail15normal_iteratorINS6_10device_ptrIfEEEESG_SG_SG_PmS8_22is_equal_div_10_reduceIfEEE10hipError_tPvRmT2_T3_mT4_T5_T6_T7_T8_P12ihipStream_tbENKUlT_T0_E_clISt17integral_constantIbLb0EES11_EEDaSW_SX_EUlSW_E_NS1_11comp_targetILNS1_3genE9ELNS1_11target_archE1100ELNS1_3gpuE3ELNS1_3repE0EEENS1_30default_config_static_selectorELNS0_4arch9wavefront6targetE1EEEvT1_
	.p2align	8
	.type	_ZN7rocprim17ROCPRIM_400000_NS6detail17trampoline_kernelINS0_14default_configENS1_29reduce_by_key_config_selectorIffN6thrust23THRUST_200600_302600_NS4plusIfEEEEZZNS1_33reduce_by_key_impl_wrapped_configILNS1_25lookback_scan_determinismE0ES3_S9_NS6_6detail15normal_iteratorINS6_10device_ptrIfEEEESG_SG_SG_PmS8_22is_equal_div_10_reduceIfEEE10hipError_tPvRmT2_T3_mT4_T5_T6_T7_T8_P12ihipStream_tbENKUlT_T0_E_clISt17integral_constantIbLb0EES11_EEDaSW_SX_EUlSW_E_NS1_11comp_targetILNS1_3genE9ELNS1_11target_archE1100ELNS1_3gpuE3ELNS1_3repE0EEENS1_30default_config_static_selectorELNS0_4arch9wavefront6targetE1EEEvT1_,@function
_ZN7rocprim17ROCPRIM_400000_NS6detail17trampoline_kernelINS0_14default_configENS1_29reduce_by_key_config_selectorIffN6thrust23THRUST_200600_302600_NS4plusIfEEEEZZNS1_33reduce_by_key_impl_wrapped_configILNS1_25lookback_scan_determinismE0ES3_S9_NS6_6detail15normal_iteratorINS6_10device_ptrIfEEEESG_SG_SG_PmS8_22is_equal_div_10_reduceIfEEE10hipError_tPvRmT2_T3_mT4_T5_T6_T7_T8_P12ihipStream_tbENKUlT_T0_E_clISt17integral_constantIbLb0EES11_EEDaSW_SX_EUlSW_E_NS1_11comp_targetILNS1_3genE9ELNS1_11target_archE1100ELNS1_3gpuE3ELNS1_3repE0EEENS1_30default_config_static_selectorELNS0_4arch9wavefront6targetE1EEEvT1_: ; @_ZN7rocprim17ROCPRIM_400000_NS6detail17trampoline_kernelINS0_14default_configENS1_29reduce_by_key_config_selectorIffN6thrust23THRUST_200600_302600_NS4plusIfEEEEZZNS1_33reduce_by_key_impl_wrapped_configILNS1_25lookback_scan_determinismE0ES3_S9_NS6_6detail15normal_iteratorINS6_10device_ptrIfEEEESG_SG_SG_PmS8_22is_equal_div_10_reduceIfEEE10hipError_tPvRmT2_T3_mT4_T5_T6_T7_T8_P12ihipStream_tbENKUlT_T0_E_clISt17integral_constantIbLb0EES11_EEDaSW_SX_EUlSW_E_NS1_11comp_targetILNS1_3genE9ELNS1_11target_archE1100ELNS1_3gpuE3ELNS1_3repE0EEENS1_30default_config_static_selectorELNS0_4arch9wavefront6targetE1EEEvT1_
; %bb.0:
	.section	.rodata,"a",@progbits
	.p2align	6, 0x0
	.amdhsa_kernel _ZN7rocprim17ROCPRIM_400000_NS6detail17trampoline_kernelINS0_14default_configENS1_29reduce_by_key_config_selectorIffN6thrust23THRUST_200600_302600_NS4plusIfEEEEZZNS1_33reduce_by_key_impl_wrapped_configILNS1_25lookback_scan_determinismE0ES3_S9_NS6_6detail15normal_iteratorINS6_10device_ptrIfEEEESG_SG_SG_PmS8_22is_equal_div_10_reduceIfEEE10hipError_tPvRmT2_T3_mT4_T5_T6_T7_T8_P12ihipStream_tbENKUlT_T0_E_clISt17integral_constantIbLb0EES11_EEDaSW_SX_EUlSW_E_NS1_11comp_targetILNS1_3genE9ELNS1_11target_archE1100ELNS1_3gpuE3ELNS1_3repE0EEENS1_30default_config_static_selectorELNS0_4arch9wavefront6targetE1EEEvT1_
		.amdhsa_group_segment_fixed_size 0
		.amdhsa_private_segment_fixed_size 0
		.amdhsa_kernarg_size 120
		.amdhsa_user_sgpr_count 6
		.amdhsa_user_sgpr_private_segment_buffer 1
		.amdhsa_user_sgpr_dispatch_ptr 0
		.amdhsa_user_sgpr_queue_ptr 0
		.amdhsa_user_sgpr_kernarg_segment_ptr 1
		.amdhsa_user_sgpr_dispatch_id 0
		.amdhsa_user_sgpr_flat_scratch_init 0
		.amdhsa_user_sgpr_kernarg_preload_length 0
		.amdhsa_user_sgpr_kernarg_preload_offset 0
		.amdhsa_user_sgpr_private_segment_size 0
		.amdhsa_uses_dynamic_stack 0
		.amdhsa_system_sgpr_private_segment_wavefront_offset 0
		.amdhsa_system_sgpr_workgroup_id_x 1
		.amdhsa_system_sgpr_workgroup_id_y 0
		.amdhsa_system_sgpr_workgroup_id_z 0
		.amdhsa_system_sgpr_workgroup_info 0
		.amdhsa_system_vgpr_workitem_id 0
		.amdhsa_next_free_vgpr 1
		.amdhsa_next_free_sgpr 0
		.amdhsa_accum_offset 4
		.amdhsa_reserve_vcc 0
		.amdhsa_reserve_flat_scratch 0
		.amdhsa_float_round_mode_32 0
		.amdhsa_float_round_mode_16_64 0
		.amdhsa_float_denorm_mode_32 3
		.amdhsa_float_denorm_mode_16_64 3
		.amdhsa_dx10_clamp 1
		.amdhsa_ieee_mode 1
		.amdhsa_fp16_overflow 0
		.amdhsa_tg_split 0
		.amdhsa_exception_fp_ieee_invalid_op 0
		.amdhsa_exception_fp_denorm_src 0
		.amdhsa_exception_fp_ieee_div_zero 0
		.amdhsa_exception_fp_ieee_overflow 0
		.amdhsa_exception_fp_ieee_underflow 0
		.amdhsa_exception_fp_ieee_inexact 0
		.amdhsa_exception_int_div_zero 0
	.end_amdhsa_kernel
	.section	.text._ZN7rocprim17ROCPRIM_400000_NS6detail17trampoline_kernelINS0_14default_configENS1_29reduce_by_key_config_selectorIffN6thrust23THRUST_200600_302600_NS4plusIfEEEEZZNS1_33reduce_by_key_impl_wrapped_configILNS1_25lookback_scan_determinismE0ES3_S9_NS6_6detail15normal_iteratorINS6_10device_ptrIfEEEESG_SG_SG_PmS8_22is_equal_div_10_reduceIfEEE10hipError_tPvRmT2_T3_mT4_T5_T6_T7_T8_P12ihipStream_tbENKUlT_T0_E_clISt17integral_constantIbLb0EES11_EEDaSW_SX_EUlSW_E_NS1_11comp_targetILNS1_3genE9ELNS1_11target_archE1100ELNS1_3gpuE3ELNS1_3repE0EEENS1_30default_config_static_selectorELNS0_4arch9wavefront6targetE1EEEvT1_,"axG",@progbits,_ZN7rocprim17ROCPRIM_400000_NS6detail17trampoline_kernelINS0_14default_configENS1_29reduce_by_key_config_selectorIffN6thrust23THRUST_200600_302600_NS4plusIfEEEEZZNS1_33reduce_by_key_impl_wrapped_configILNS1_25lookback_scan_determinismE0ES3_S9_NS6_6detail15normal_iteratorINS6_10device_ptrIfEEEESG_SG_SG_PmS8_22is_equal_div_10_reduceIfEEE10hipError_tPvRmT2_T3_mT4_T5_T6_T7_T8_P12ihipStream_tbENKUlT_T0_E_clISt17integral_constantIbLb0EES11_EEDaSW_SX_EUlSW_E_NS1_11comp_targetILNS1_3genE9ELNS1_11target_archE1100ELNS1_3gpuE3ELNS1_3repE0EEENS1_30default_config_static_selectorELNS0_4arch9wavefront6targetE1EEEvT1_,comdat
.Lfunc_end207:
	.size	_ZN7rocprim17ROCPRIM_400000_NS6detail17trampoline_kernelINS0_14default_configENS1_29reduce_by_key_config_selectorIffN6thrust23THRUST_200600_302600_NS4plusIfEEEEZZNS1_33reduce_by_key_impl_wrapped_configILNS1_25lookback_scan_determinismE0ES3_S9_NS6_6detail15normal_iteratorINS6_10device_ptrIfEEEESG_SG_SG_PmS8_22is_equal_div_10_reduceIfEEE10hipError_tPvRmT2_T3_mT4_T5_T6_T7_T8_P12ihipStream_tbENKUlT_T0_E_clISt17integral_constantIbLb0EES11_EEDaSW_SX_EUlSW_E_NS1_11comp_targetILNS1_3genE9ELNS1_11target_archE1100ELNS1_3gpuE3ELNS1_3repE0EEENS1_30default_config_static_selectorELNS0_4arch9wavefront6targetE1EEEvT1_, .Lfunc_end207-_ZN7rocprim17ROCPRIM_400000_NS6detail17trampoline_kernelINS0_14default_configENS1_29reduce_by_key_config_selectorIffN6thrust23THRUST_200600_302600_NS4plusIfEEEEZZNS1_33reduce_by_key_impl_wrapped_configILNS1_25lookback_scan_determinismE0ES3_S9_NS6_6detail15normal_iteratorINS6_10device_ptrIfEEEESG_SG_SG_PmS8_22is_equal_div_10_reduceIfEEE10hipError_tPvRmT2_T3_mT4_T5_T6_T7_T8_P12ihipStream_tbENKUlT_T0_E_clISt17integral_constantIbLb0EES11_EEDaSW_SX_EUlSW_E_NS1_11comp_targetILNS1_3genE9ELNS1_11target_archE1100ELNS1_3gpuE3ELNS1_3repE0EEENS1_30default_config_static_selectorELNS0_4arch9wavefront6targetE1EEEvT1_
                                        ; -- End function
	.section	.AMDGPU.csdata,"",@progbits
; Kernel info:
; codeLenInByte = 0
; NumSgprs: 4
; NumVgprs: 0
; NumAgprs: 0
; TotalNumVgprs: 0
; ScratchSize: 0
; MemoryBound: 0
; FloatMode: 240
; IeeeMode: 1
; LDSByteSize: 0 bytes/workgroup (compile time only)
; SGPRBlocks: 0
; VGPRBlocks: 0
; NumSGPRsForWavesPerEU: 4
; NumVGPRsForWavesPerEU: 1
; AccumOffset: 4
; Occupancy: 8
; WaveLimiterHint : 0
; COMPUTE_PGM_RSRC2:SCRATCH_EN: 0
; COMPUTE_PGM_RSRC2:USER_SGPR: 6
; COMPUTE_PGM_RSRC2:TRAP_HANDLER: 0
; COMPUTE_PGM_RSRC2:TGID_X_EN: 1
; COMPUTE_PGM_RSRC2:TGID_Y_EN: 0
; COMPUTE_PGM_RSRC2:TGID_Z_EN: 0
; COMPUTE_PGM_RSRC2:TIDIG_COMP_CNT: 0
; COMPUTE_PGM_RSRC3_GFX90A:ACCUM_OFFSET: 0
; COMPUTE_PGM_RSRC3_GFX90A:TG_SPLIT: 0
	.section	.text._ZN7rocprim17ROCPRIM_400000_NS6detail17trampoline_kernelINS0_14default_configENS1_29reduce_by_key_config_selectorIffN6thrust23THRUST_200600_302600_NS4plusIfEEEEZZNS1_33reduce_by_key_impl_wrapped_configILNS1_25lookback_scan_determinismE0ES3_S9_NS6_6detail15normal_iteratorINS6_10device_ptrIfEEEESG_SG_SG_PmS8_22is_equal_div_10_reduceIfEEE10hipError_tPvRmT2_T3_mT4_T5_T6_T7_T8_P12ihipStream_tbENKUlT_T0_E_clISt17integral_constantIbLb0EES11_EEDaSW_SX_EUlSW_E_NS1_11comp_targetILNS1_3genE8ELNS1_11target_archE1030ELNS1_3gpuE2ELNS1_3repE0EEENS1_30default_config_static_selectorELNS0_4arch9wavefront6targetE1EEEvT1_,"axG",@progbits,_ZN7rocprim17ROCPRIM_400000_NS6detail17trampoline_kernelINS0_14default_configENS1_29reduce_by_key_config_selectorIffN6thrust23THRUST_200600_302600_NS4plusIfEEEEZZNS1_33reduce_by_key_impl_wrapped_configILNS1_25lookback_scan_determinismE0ES3_S9_NS6_6detail15normal_iteratorINS6_10device_ptrIfEEEESG_SG_SG_PmS8_22is_equal_div_10_reduceIfEEE10hipError_tPvRmT2_T3_mT4_T5_T6_T7_T8_P12ihipStream_tbENKUlT_T0_E_clISt17integral_constantIbLb0EES11_EEDaSW_SX_EUlSW_E_NS1_11comp_targetILNS1_3genE8ELNS1_11target_archE1030ELNS1_3gpuE2ELNS1_3repE0EEENS1_30default_config_static_selectorELNS0_4arch9wavefront6targetE1EEEvT1_,comdat
	.protected	_ZN7rocprim17ROCPRIM_400000_NS6detail17trampoline_kernelINS0_14default_configENS1_29reduce_by_key_config_selectorIffN6thrust23THRUST_200600_302600_NS4plusIfEEEEZZNS1_33reduce_by_key_impl_wrapped_configILNS1_25lookback_scan_determinismE0ES3_S9_NS6_6detail15normal_iteratorINS6_10device_ptrIfEEEESG_SG_SG_PmS8_22is_equal_div_10_reduceIfEEE10hipError_tPvRmT2_T3_mT4_T5_T6_T7_T8_P12ihipStream_tbENKUlT_T0_E_clISt17integral_constantIbLb0EES11_EEDaSW_SX_EUlSW_E_NS1_11comp_targetILNS1_3genE8ELNS1_11target_archE1030ELNS1_3gpuE2ELNS1_3repE0EEENS1_30default_config_static_selectorELNS0_4arch9wavefront6targetE1EEEvT1_ ; -- Begin function _ZN7rocprim17ROCPRIM_400000_NS6detail17trampoline_kernelINS0_14default_configENS1_29reduce_by_key_config_selectorIffN6thrust23THRUST_200600_302600_NS4plusIfEEEEZZNS1_33reduce_by_key_impl_wrapped_configILNS1_25lookback_scan_determinismE0ES3_S9_NS6_6detail15normal_iteratorINS6_10device_ptrIfEEEESG_SG_SG_PmS8_22is_equal_div_10_reduceIfEEE10hipError_tPvRmT2_T3_mT4_T5_T6_T7_T8_P12ihipStream_tbENKUlT_T0_E_clISt17integral_constantIbLb0EES11_EEDaSW_SX_EUlSW_E_NS1_11comp_targetILNS1_3genE8ELNS1_11target_archE1030ELNS1_3gpuE2ELNS1_3repE0EEENS1_30default_config_static_selectorELNS0_4arch9wavefront6targetE1EEEvT1_
	.globl	_ZN7rocprim17ROCPRIM_400000_NS6detail17trampoline_kernelINS0_14default_configENS1_29reduce_by_key_config_selectorIffN6thrust23THRUST_200600_302600_NS4plusIfEEEEZZNS1_33reduce_by_key_impl_wrapped_configILNS1_25lookback_scan_determinismE0ES3_S9_NS6_6detail15normal_iteratorINS6_10device_ptrIfEEEESG_SG_SG_PmS8_22is_equal_div_10_reduceIfEEE10hipError_tPvRmT2_T3_mT4_T5_T6_T7_T8_P12ihipStream_tbENKUlT_T0_E_clISt17integral_constantIbLb0EES11_EEDaSW_SX_EUlSW_E_NS1_11comp_targetILNS1_3genE8ELNS1_11target_archE1030ELNS1_3gpuE2ELNS1_3repE0EEENS1_30default_config_static_selectorELNS0_4arch9wavefront6targetE1EEEvT1_
	.p2align	8
	.type	_ZN7rocprim17ROCPRIM_400000_NS6detail17trampoline_kernelINS0_14default_configENS1_29reduce_by_key_config_selectorIffN6thrust23THRUST_200600_302600_NS4plusIfEEEEZZNS1_33reduce_by_key_impl_wrapped_configILNS1_25lookback_scan_determinismE0ES3_S9_NS6_6detail15normal_iteratorINS6_10device_ptrIfEEEESG_SG_SG_PmS8_22is_equal_div_10_reduceIfEEE10hipError_tPvRmT2_T3_mT4_T5_T6_T7_T8_P12ihipStream_tbENKUlT_T0_E_clISt17integral_constantIbLb0EES11_EEDaSW_SX_EUlSW_E_NS1_11comp_targetILNS1_3genE8ELNS1_11target_archE1030ELNS1_3gpuE2ELNS1_3repE0EEENS1_30default_config_static_selectorELNS0_4arch9wavefront6targetE1EEEvT1_,@function
_ZN7rocprim17ROCPRIM_400000_NS6detail17trampoline_kernelINS0_14default_configENS1_29reduce_by_key_config_selectorIffN6thrust23THRUST_200600_302600_NS4plusIfEEEEZZNS1_33reduce_by_key_impl_wrapped_configILNS1_25lookback_scan_determinismE0ES3_S9_NS6_6detail15normal_iteratorINS6_10device_ptrIfEEEESG_SG_SG_PmS8_22is_equal_div_10_reduceIfEEE10hipError_tPvRmT2_T3_mT4_T5_T6_T7_T8_P12ihipStream_tbENKUlT_T0_E_clISt17integral_constantIbLb0EES11_EEDaSW_SX_EUlSW_E_NS1_11comp_targetILNS1_3genE8ELNS1_11target_archE1030ELNS1_3gpuE2ELNS1_3repE0EEENS1_30default_config_static_selectorELNS0_4arch9wavefront6targetE1EEEvT1_: ; @_ZN7rocprim17ROCPRIM_400000_NS6detail17trampoline_kernelINS0_14default_configENS1_29reduce_by_key_config_selectorIffN6thrust23THRUST_200600_302600_NS4plusIfEEEEZZNS1_33reduce_by_key_impl_wrapped_configILNS1_25lookback_scan_determinismE0ES3_S9_NS6_6detail15normal_iteratorINS6_10device_ptrIfEEEESG_SG_SG_PmS8_22is_equal_div_10_reduceIfEEE10hipError_tPvRmT2_T3_mT4_T5_T6_T7_T8_P12ihipStream_tbENKUlT_T0_E_clISt17integral_constantIbLb0EES11_EEDaSW_SX_EUlSW_E_NS1_11comp_targetILNS1_3genE8ELNS1_11target_archE1030ELNS1_3gpuE2ELNS1_3repE0EEENS1_30default_config_static_selectorELNS0_4arch9wavefront6targetE1EEEvT1_
; %bb.0:
	.section	.rodata,"a",@progbits
	.p2align	6, 0x0
	.amdhsa_kernel _ZN7rocprim17ROCPRIM_400000_NS6detail17trampoline_kernelINS0_14default_configENS1_29reduce_by_key_config_selectorIffN6thrust23THRUST_200600_302600_NS4plusIfEEEEZZNS1_33reduce_by_key_impl_wrapped_configILNS1_25lookback_scan_determinismE0ES3_S9_NS6_6detail15normal_iteratorINS6_10device_ptrIfEEEESG_SG_SG_PmS8_22is_equal_div_10_reduceIfEEE10hipError_tPvRmT2_T3_mT4_T5_T6_T7_T8_P12ihipStream_tbENKUlT_T0_E_clISt17integral_constantIbLb0EES11_EEDaSW_SX_EUlSW_E_NS1_11comp_targetILNS1_3genE8ELNS1_11target_archE1030ELNS1_3gpuE2ELNS1_3repE0EEENS1_30default_config_static_selectorELNS0_4arch9wavefront6targetE1EEEvT1_
		.amdhsa_group_segment_fixed_size 0
		.amdhsa_private_segment_fixed_size 0
		.amdhsa_kernarg_size 120
		.amdhsa_user_sgpr_count 6
		.amdhsa_user_sgpr_private_segment_buffer 1
		.amdhsa_user_sgpr_dispatch_ptr 0
		.amdhsa_user_sgpr_queue_ptr 0
		.amdhsa_user_sgpr_kernarg_segment_ptr 1
		.amdhsa_user_sgpr_dispatch_id 0
		.amdhsa_user_sgpr_flat_scratch_init 0
		.amdhsa_user_sgpr_kernarg_preload_length 0
		.amdhsa_user_sgpr_kernarg_preload_offset 0
		.amdhsa_user_sgpr_private_segment_size 0
		.amdhsa_uses_dynamic_stack 0
		.amdhsa_system_sgpr_private_segment_wavefront_offset 0
		.amdhsa_system_sgpr_workgroup_id_x 1
		.amdhsa_system_sgpr_workgroup_id_y 0
		.amdhsa_system_sgpr_workgroup_id_z 0
		.amdhsa_system_sgpr_workgroup_info 0
		.amdhsa_system_vgpr_workitem_id 0
		.amdhsa_next_free_vgpr 1
		.amdhsa_next_free_sgpr 0
		.amdhsa_accum_offset 4
		.amdhsa_reserve_vcc 0
		.amdhsa_reserve_flat_scratch 0
		.amdhsa_float_round_mode_32 0
		.amdhsa_float_round_mode_16_64 0
		.amdhsa_float_denorm_mode_32 3
		.amdhsa_float_denorm_mode_16_64 3
		.amdhsa_dx10_clamp 1
		.amdhsa_ieee_mode 1
		.amdhsa_fp16_overflow 0
		.amdhsa_tg_split 0
		.amdhsa_exception_fp_ieee_invalid_op 0
		.amdhsa_exception_fp_denorm_src 0
		.amdhsa_exception_fp_ieee_div_zero 0
		.amdhsa_exception_fp_ieee_overflow 0
		.amdhsa_exception_fp_ieee_underflow 0
		.amdhsa_exception_fp_ieee_inexact 0
		.amdhsa_exception_int_div_zero 0
	.end_amdhsa_kernel
	.section	.text._ZN7rocprim17ROCPRIM_400000_NS6detail17trampoline_kernelINS0_14default_configENS1_29reduce_by_key_config_selectorIffN6thrust23THRUST_200600_302600_NS4plusIfEEEEZZNS1_33reduce_by_key_impl_wrapped_configILNS1_25lookback_scan_determinismE0ES3_S9_NS6_6detail15normal_iteratorINS6_10device_ptrIfEEEESG_SG_SG_PmS8_22is_equal_div_10_reduceIfEEE10hipError_tPvRmT2_T3_mT4_T5_T6_T7_T8_P12ihipStream_tbENKUlT_T0_E_clISt17integral_constantIbLb0EES11_EEDaSW_SX_EUlSW_E_NS1_11comp_targetILNS1_3genE8ELNS1_11target_archE1030ELNS1_3gpuE2ELNS1_3repE0EEENS1_30default_config_static_selectorELNS0_4arch9wavefront6targetE1EEEvT1_,"axG",@progbits,_ZN7rocprim17ROCPRIM_400000_NS6detail17trampoline_kernelINS0_14default_configENS1_29reduce_by_key_config_selectorIffN6thrust23THRUST_200600_302600_NS4plusIfEEEEZZNS1_33reduce_by_key_impl_wrapped_configILNS1_25lookback_scan_determinismE0ES3_S9_NS6_6detail15normal_iteratorINS6_10device_ptrIfEEEESG_SG_SG_PmS8_22is_equal_div_10_reduceIfEEE10hipError_tPvRmT2_T3_mT4_T5_T6_T7_T8_P12ihipStream_tbENKUlT_T0_E_clISt17integral_constantIbLb0EES11_EEDaSW_SX_EUlSW_E_NS1_11comp_targetILNS1_3genE8ELNS1_11target_archE1030ELNS1_3gpuE2ELNS1_3repE0EEENS1_30default_config_static_selectorELNS0_4arch9wavefront6targetE1EEEvT1_,comdat
.Lfunc_end208:
	.size	_ZN7rocprim17ROCPRIM_400000_NS6detail17trampoline_kernelINS0_14default_configENS1_29reduce_by_key_config_selectorIffN6thrust23THRUST_200600_302600_NS4plusIfEEEEZZNS1_33reduce_by_key_impl_wrapped_configILNS1_25lookback_scan_determinismE0ES3_S9_NS6_6detail15normal_iteratorINS6_10device_ptrIfEEEESG_SG_SG_PmS8_22is_equal_div_10_reduceIfEEE10hipError_tPvRmT2_T3_mT4_T5_T6_T7_T8_P12ihipStream_tbENKUlT_T0_E_clISt17integral_constantIbLb0EES11_EEDaSW_SX_EUlSW_E_NS1_11comp_targetILNS1_3genE8ELNS1_11target_archE1030ELNS1_3gpuE2ELNS1_3repE0EEENS1_30default_config_static_selectorELNS0_4arch9wavefront6targetE1EEEvT1_, .Lfunc_end208-_ZN7rocprim17ROCPRIM_400000_NS6detail17trampoline_kernelINS0_14default_configENS1_29reduce_by_key_config_selectorIffN6thrust23THRUST_200600_302600_NS4plusIfEEEEZZNS1_33reduce_by_key_impl_wrapped_configILNS1_25lookback_scan_determinismE0ES3_S9_NS6_6detail15normal_iteratorINS6_10device_ptrIfEEEESG_SG_SG_PmS8_22is_equal_div_10_reduceIfEEE10hipError_tPvRmT2_T3_mT4_T5_T6_T7_T8_P12ihipStream_tbENKUlT_T0_E_clISt17integral_constantIbLb0EES11_EEDaSW_SX_EUlSW_E_NS1_11comp_targetILNS1_3genE8ELNS1_11target_archE1030ELNS1_3gpuE2ELNS1_3repE0EEENS1_30default_config_static_selectorELNS0_4arch9wavefront6targetE1EEEvT1_
                                        ; -- End function
	.section	.AMDGPU.csdata,"",@progbits
; Kernel info:
; codeLenInByte = 0
; NumSgprs: 4
; NumVgprs: 0
; NumAgprs: 0
; TotalNumVgprs: 0
; ScratchSize: 0
; MemoryBound: 0
; FloatMode: 240
; IeeeMode: 1
; LDSByteSize: 0 bytes/workgroup (compile time only)
; SGPRBlocks: 0
; VGPRBlocks: 0
; NumSGPRsForWavesPerEU: 4
; NumVGPRsForWavesPerEU: 1
; AccumOffset: 4
; Occupancy: 8
; WaveLimiterHint : 0
; COMPUTE_PGM_RSRC2:SCRATCH_EN: 0
; COMPUTE_PGM_RSRC2:USER_SGPR: 6
; COMPUTE_PGM_RSRC2:TRAP_HANDLER: 0
; COMPUTE_PGM_RSRC2:TGID_X_EN: 1
; COMPUTE_PGM_RSRC2:TGID_Y_EN: 0
; COMPUTE_PGM_RSRC2:TGID_Z_EN: 0
; COMPUTE_PGM_RSRC2:TIDIG_COMP_CNT: 0
; COMPUTE_PGM_RSRC3_GFX90A:ACCUM_OFFSET: 0
; COMPUTE_PGM_RSRC3_GFX90A:TG_SPLIT: 0
	.section	.text._ZN7rocprim17ROCPRIM_400000_NS6detail17trampoline_kernelINS0_14default_configENS1_29reduce_by_key_config_selectorIffN6thrust23THRUST_200600_302600_NS4plusIfEEEEZZNS1_33reduce_by_key_impl_wrapped_configILNS1_25lookback_scan_determinismE0ES3_S9_NS6_6detail15normal_iteratorINS6_10device_ptrIfEEEESG_SG_SG_PmS8_22is_equal_div_10_reduceIfEEE10hipError_tPvRmT2_T3_mT4_T5_T6_T7_T8_P12ihipStream_tbENKUlT_T0_E_clISt17integral_constantIbLb1EES11_EEDaSW_SX_EUlSW_E_NS1_11comp_targetILNS1_3genE0ELNS1_11target_archE4294967295ELNS1_3gpuE0ELNS1_3repE0EEENS1_30default_config_static_selectorELNS0_4arch9wavefront6targetE1EEEvT1_,"axG",@progbits,_ZN7rocprim17ROCPRIM_400000_NS6detail17trampoline_kernelINS0_14default_configENS1_29reduce_by_key_config_selectorIffN6thrust23THRUST_200600_302600_NS4plusIfEEEEZZNS1_33reduce_by_key_impl_wrapped_configILNS1_25lookback_scan_determinismE0ES3_S9_NS6_6detail15normal_iteratorINS6_10device_ptrIfEEEESG_SG_SG_PmS8_22is_equal_div_10_reduceIfEEE10hipError_tPvRmT2_T3_mT4_T5_T6_T7_T8_P12ihipStream_tbENKUlT_T0_E_clISt17integral_constantIbLb1EES11_EEDaSW_SX_EUlSW_E_NS1_11comp_targetILNS1_3genE0ELNS1_11target_archE4294967295ELNS1_3gpuE0ELNS1_3repE0EEENS1_30default_config_static_selectorELNS0_4arch9wavefront6targetE1EEEvT1_,comdat
	.protected	_ZN7rocprim17ROCPRIM_400000_NS6detail17trampoline_kernelINS0_14default_configENS1_29reduce_by_key_config_selectorIffN6thrust23THRUST_200600_302600_NS4plusIfEEEEZZNS1_33reduce_by_key_impl_wrapped_configILNS1_25lookback_scan_determinismE0ES3_S9_NS6_6detail15normal_iteratorINS6_10device_ptrIfEEEESG_SG_SG_PmS8_22is_equal_div_10_reduceIfEEE10hipError_tPvRmT2_T3_mT4_T5_T6_T7_T8_P12ihipStream_tbENKUlT_T0_E_clISt17integral_constantIbLb1EES11_EEDaSW_SX_EUlSW_E_NS1_11comp_targetILNS1_3genE0ELNS1_11target_archE4294967295ELNS1_3gpuE0ELNS1_3repE0EEENS1_30default_config_static_selectorELNS0_4arch9wavefront6targetE1EEEvT1_ ; -- Begin function _ZN7rocprim17ROCPRIM_400000_NS6detail17trampoline_kernelINS0_14default_configENS1_29reduce_by_key_config_selectorIffN6thrust23THRUST_200600_302600_NS4plusIfEEEEZZNS1_33reduce_by_key_impl_wrapped_configILNS1_25lookback_scan_determinismE0ES3_S9_NS6_6detail15normal_iteratorINS6_10device_ptrIfEEEESG_SG_SG_PmS8_22is_equal_div_10_reduceIfEEE10hipError_tPvRmT2_T3_mT4_T5_T6_T7_T8_P12ihipStream_tbENKUlT_T0_E_clISt17integral_constantIbLb1EES11_EEDaSW_SX_EUlSW_E_NS1_11comp_targetILNS1_3genE0ELNS1_11target_archE4294967295ELNS1_3gpuE0ELNS1_3repE0EEENS1_30default_config_static_selectorELNS0_4arch9wavefront6targetE1EEEvT1_
	.globl	_ZN7rocprim17ROCPRIM_400000_NS6detail17trampoline_kernelINS0_14default_configENS1_29reduce_by_key_config_selectorIffN6thrust23THRUST_200600_302600_NS4plusIfEEEEZZNS1_33reduce_by_key_impl_wrapped_configILNS1_25lookback_scan_determinismE0ES3_S9_NS6_6detail15normal_iteratorINS6_10device_ptrIfEEEESG_SG_SG_PmS8_22is_equal_div_10_reduceIfEEE10hipError_tPvRmT2_T3_mT4_T5_T6_T7_T8_P12ihipStream_tbENKUlT_T0_E_clISt17integral_constantIbLb1EES11_EEDaSW_SX_EUlSW_E_NS1_11comp_targetILNS1_3genE0ELNS1_11target_archE4294967295ELNS1_3gpuE0ELNS1_3repE0EEENS1_30default_config_static_selectorELNS0_4arch9wavefront6targetE1EEEvT1_
	.p2align	8
	.type	_ZN7rocprim17ROCPRIM_400000_NS6detail17trampoline_kernelINS0_14default_configENS1_29reduce_by_key_config_selectorIffN6thrust23THRUST_200600_302600_NS4plusIfEEEEZZNS1_33reduce_by_key_impl_wrapped_configILNS1_25lookback_scan_determinismE0ES3_S9_NS6_6detail15normal_iteratorINS6_10device_ptrIfEEEESG_SG_SG_PmS8_22is_equal_div_10_reduceIfEEE10hipError_tPvRmT2_T3_mT4_T5_T6_T7_T8_P12ihipStream_tbENKUlT_T0_E_clISt17integral_constantIbLb1EES11_EEDaSW_SX_EUlSW_E_NS1_11comp_targetILNS1_3genE0ELNS1_11target_archE4294967295ELNS1_3gpuE0ELNS1_3repE0EEENS1_30default_config_static_selectorELNS0_4arch9wavefront6targetE1EEEvT1_,@function
_ZN7rocprim17ROCPRIM_400000_NS6detail17trampoline_kernelINS0_14default_configENS1_29reduce_by_key_config_selectorIffN6thrust23THRUST_200600_302600_NS4plusIfEEEEZZNS1_33reduce_by_key_impl_wrapped_configILNS1_25lookback_scan_determinismE0ES3_S9_NS6_6detail15normal_iteratorINS6_10device_ptrIfEEEESG_SG_SG_PmS8_22is_equal_div_10_reduceIfEEE10hipError_tPvRmT2_T3_mT4_T5_T6_T7_T8_P12ihipStream_tbENKUlT_T0_E_clISt17integral_constantIbLb1EES11_EEDaSW_SX_EUlSW_E_NS1_11comp_targetILNS1_3genE0ELNS1_11target_archE4294967295ELNS1_3gpuE0ELNS1_3repE0EEENS1_30default_config_static_selectorELNS0_4arch9wavefront6targetE1EEEvT1_: ; @_ZN7rocprim17ROCPRIM_400000_NS6detail17trampoline_kernelINS0_14default_configENS1_29reduce_by_key_config_selectorIffN6thrust23THRUST_200600_302600_NS4plusIfEEEEZZNS1_33reduce_by_key_impl_wrapped_configILNS1_25lookback_scan_determinismE0ES3_S9_NS6_6detail15normal_iteratorINS6_10device_ptrIfEEEESG_SG_SG_PmS8_22is_equal_div_10_reduceIfEEE10hipError_tPvRmT2_T3_mT4_T5_T6_T7_T8_P12ihipStream_tbENKUlT_T0_E_clISt17integral_constantIbLb1EES11_EEDaSW_SX_EUlSW_E_NS1_11comp_targetILNS1_3genE0ELNS1_11target_archE4294967295ELNS1_3gpuE0ELNS1_3repE0EEENS1_30default_config_static_selectorELNS0_4arch9wavefront6targetE1EEEvT1_
; %bb.0:
	.section	.rodata,"a",@progbits
	.p2align	6, 0x0
	.amdhsa_kernel _ZN7rocprim17ROCPRIM_400000_NS6detail17trampoline_kernelINS0_14default_configENS1_29reduce_by_key_config_selectorIffN6thrust23THRUST_200600_302600_NS4plusIfEEEEZZNS1_33reduce_by_key_impl_wrapped_configILNS1_25lookback_scan_determinismE0ES3_S9_NS6_6detail15normal_iteratorINS6_10device_ptrIfEEEESG_SG_SG_PmS8_22is_equal_div_10_reduceIfEEE10hipError_tPvRmT2_T3_mT4_T5_T6_T7_T8_P12ihipStream_tbENKUlT_T0_E_clISt17integral_constantIbLb1EES11_EEDaSW_SX_EUlSW_E_NS1_11comp_targetILNS1_3genE0ELNS1_11target_archE4294967295ELNS1_3gpuE0ELNS1_3repE0EEENS1_30default_config_static_selectorELNS0_4arch9wavefront6targetE1EEEvT1_
		.amdhsa_group_segment_fixed_size 0
		.amdhsa_private_segment_fixed_size 0
		.amdhsa_kernarg_size 120
		.amdhsa_user_sgpr_count 6
		.amdhsa_user_sgpr_private_segment_buffer 1
		.amdhsa_user_sgpr_dispatch_ptr 0
		.amdhsa_user_sgpr_queue_ptr 0
		.amdhsa_user_sgpr_kernarg_segment_ptr 1
		.amdhsa_user_sgpr_dispatch_id 0
		.amdhsa_user_sgpr_flat_scratch_init 0
		.amdhsa_user_sgpr_kernarg_preload_length 0
		.amdhsa_user_sgpr_kernarg_preload_offset 0
		.amdhsa_user_sgpr_private_segment_size 0
		.amdhsa_uses_dynamic_stack 0
		.amdhsa_system_sgpr_private_segment_wavefront_offset 0
		.amdhsa_system_sgpr_workgroup_id_x 1
		.amdhsa_system_sgpr_workgroup_id_y 0
		.amdhsa_system_sgpr_workgroup_id_z 0
		.amdhsa_system_sgpr_workgroup_info 0
		.amdhsa_system_vgpr_workitem_id 0
		.amdhsa_next_free_vgpr 1
		.amdhsa_next_free_sgpr 0
		.amdhsa_accum_offset 4
		.amdhsa_reserve_vcc 0
		.amdhsa_reserve_flat_scratch 0
		.amdhsa_float_round_mode_32 0
		.amdhsa_float_round_mode_16_64 0
		.amdhsa_float_denorm_mode_32 3
		.amdhsa_float_denorm_mode_16_64 3
		.amdhsa_dx10_clamp 1
		.amdhsa_ieee_mode 1
		.amdhsa_fp16_overflow 0
		.amdhsa_tg_split 0
		.amdhsa_exception_fp_ieee_invalid_op 0
		.amdhsa_exception_fp_denorm_src 0
		.amdhsa_exception_fp_ieee_div_zero 0
		.amdhsa_exception_fp_ieee_overflow 0
		.amdhsa_exception_fp_ieee_underflow 0
		.amdhsa_exception_fp_ieee_inexact 0
		.amdhsa_exception_int_div_zero 0
	.end_amdhsa_kernel
	.section	.text._ZN7rocprim17ROCPRIM_400000_NS6detail17trampoline_kernelINS0_14default_configENS1_29reduce_by_key_config_selectorIffN6thrust23THRUST_200600_302600_NS4plusIfEEEEZZNS1_33reduce_by_key_impl_wrapped_configILNS1_25lookback_scan_determinismE0ES3_S9_NS6_6detail15normal_iteratorINS6_10device_ptrIfEEEESG_SG_SG_PmS8_22is_equal_div_10_reduceIfEEE10hipError_tPvRmT2_T3_mT4_T5_T6_T7_T8_P12ihipStream_tbENKUlT_T0_E_clISt17integral_constantIbLb1EES11_EEDaSW_SX_EUlSW_E_NS1_11comp_targetILNS1_3genE0ELNS1_11target_archE4294967295ELNS1_3gpuE0ELNS1_3repE0EEENS1_30default_config_static_selectorELNS0_4arch9wavefront6targetE1EEEvT1_,"axG",@progbits,_ZN7rocprim17ROCPRIM_400000_NS6detail17trampoline_kernelINS0_14default_configENS1_29reduce_by_key_config_selectorIffN6thrust23THRUST_200600_302600_NS4plusIfEEEEZZNS1_33reduce_by_key_impl_wrapped_configILNS1_25lookback_scan_determinismE0ES3_S9_NS6_6detail15normal_iteratorINS6_10device_ptrIfEEEESG_SG_SG_PmS8_22is_equal_div_10_reduceIfEEE10hipError_tPvRmT2_T3_mT4_T5_T6_T7_T8_P12ihipStream_tbENKUlT_T0_E_clISt17integral_constantIbLb1EES11_EEDaSW_SX_EUlSW_E_NS1_11comp_targetILNS1_3genE0ELNS1_11target_archE4294967295ELNS1_3gpuE0ELNS1_3repE0EEENS1_30default_config_static_selectorELNS0_4arch9wavefront6targetE1EEEvT1_,comdat
.Lfunc_end209:
	.size	_ZN7rocprim17ROCPRIM_400000_NS6detail17trampoline_kernelINS0_14default_configENS1_29reduce_by_key_config_selectorIffN6thrust23THRUST_200600_302600_NS4plusIfEEEEZZNS1_33reduce_by_key_impl_wrapped_configILNS1_25lookback_scan_determinismE0ES3_S9_NS6_6detail15normal_iteratorINS6_10device_ptrIfEEEESG_SG_SG_PmS8_22is_equal_div_10_reduceIfEEE10hipError_tPvRmT2_T3_mT4_T5_T6_T7_T8_P12ihipStream_tbENKUlT_T0_E_clISt17integral_constantIbLb1EES11_EEDaSW_SX_EUlSW_E_NS1_11comp_targetILNS1_3genE0ELNS1_11target_archE4294967295ELNS1_3gpuE0ELNS1_3repE0EEENS1_30default_config_static_selectorELNS0_4arch9wavefront6targetE1EEEvT1_, .Lfunc_end209-_ZN7rocprim17ROCPRIM_400000_NS6detail17trampoline_kernelINS0_14default_configENS1_29reduce_by_key_config_selectorIffN6thrust23THRUST_200600_302600_NS4plusIfEEEEZZNS1_33reduce_by_key_impl_wrapped_configILNS1_25lookback_scan_determinismE0ES3_S9_NS6_6detail15normal_iteratorINS6_10device_ptrIfEEEESG_SG_SG_PmS8_22is_equal_div_10_reduceIfEEE10hipError_tPvRmT2_T3_mT4_T5_T6_T7_T8_P12ihipStream_tbENKUlT_T0_E_clISt17integral_constantIbLb1EES11_EEDaSW_SX_EUlSW_E_NS1_11comp_targetILNS1_3genE0ELNS1_11target_archE4294967295ELNS1_3gpuE0ELNS1_3repE0EEENS1_30default_config_static_selectorELNS0_4arch9wavefront6targetE1EEEvT1_
                                        ; -- End function
	.section	.AMDGPU.csdata,"",@progbits
; Kernel info:
; codeLenInByte = 0
; NumSgprs: 4
; NumVgprs: 0
; NumAgprs: 0
; TotalNumVgprs: 0
; ScratchSize: 0
; MemoryBound: 0
; FloatMode: 240
; IeeeMode: 1
; LDSByteSize: 0 bytes/workgroup (compile time only)
; SGPRBlocks: 0
; VGPRBlocks: 0
; NumSGPRsForWavesPerEU: 4
; NumVGPRsForWavesPerEU: 1
; AccumOffset: 4
; Occupancy: 8
; WaveLimiterHint : 0
; COMPUTE_PGM_RSRC2:SCRATCH_EN: 0
; COMPUTE_PGM_RSRC2:USER_SGPR: 6
; COMPUTE_PGM_RSRC2:TRAP_HANDLER: 0
; COMPUTE_PGM_RSRC2:TGID_X_EN: 1
; COMPUTE_PGM_RSRC2:TGID_Y_EN: 0
; COMPUTE_PGM_RSRC2:TGID_Z_EN: 0
; COMPUTE_PGM_RSRC2:TIDIG_COMP_CNT: 0
; COMPUTE_PGM_RSRC3_GFX90A:ACCUM_OFFSET: 0
; COMPUTE_PGM_RSRC3_GFX90A:TG_SPLIT: 0
	.section	.text._ZN7rocprim17ROCPRIM_400000_NS6detail17trampoline_kernelINS0_14default_configENS1_29reduce_by_key_config_selectorIffN6thrust23THRUST_200600_302600_NS4plusIfEEEEZZNS1_33reduce_by_key_impl_wrapped_configILNS1_25lookback_scan_determinismE0ES3_S9_NS6_6detail15normal_iteratorINS6_10device_ptrIfEEEESG_SG_SG_PmS8_22is_equal_div_10_reduceIfEEE10hipError_tPvRmT2_T3_mT4_T5_T6_T7_T8_P12ihipStream_tbENKUlT_T0_E_clISt17integral_constantIbLb1EES11_EEDaSW_SX_EUlSW_E_NS1_11comp_targetILNS1_3genE5ELNS1_11target_archE942ELNS1_3gpuE9ELNS1_3repE0EEENS1_30default_config_static_selectorELNS0_4arch9wavefront6targetE1EEEvT1_,"axG",@progbits,_ZN7rocprim17ROCPRIM_400000_NS6detail17trampoline_kernelINS0_14default_configENS1_29reduce_by_key_config_selectorIffN6thrust23THRUST_200600_302600_NS4plusIfEEEEZZNS1_33reduce_by_key_impl_wrapped_configILNS1_25lookback_scan_determinismE0ES3_S9_NS6_6detail15normal_iteratorINS6_10device_ptrIfEEEESG_SG_SG_PmS8_22is_equal_div_10_reduceIfEEE10hipError_tPvRmT2_T3_mT4_T5_T6_T7_T8_P12ihipStream_tbENKUlT_T0_E_clISt17integral_constantIbLb1EES11_EEDaSW_SX_EUlSW_E_NS1_11comp_targetILNS1_3genE5ELNS1_11target_archE942ELNS1_3gpuE9ELNS1_3repE0EEENS1_30default_config_static_selectorELNS0_4arch9wavefront6targetE1EEEvT1_,comdat
	.protected	_ZN7rocprim17ROCPRIM_400000_NS6detail17trampoline_kernelINS0_14default_configENS1_29reduce_by_key_config_selectorIffN6thrust23THRUST_200600_302600_NS4plusIfEEEEZZNS1_33reduce_by_key_impl_wrapped_configILNS1_25lookback_scan_determinismE0ES3_S9_NS6_6detail15normal_iteratorINS6_10device_ptrIfEEEESG_SG_SG_PmS8_22is_equal_div_10_reduceIfEEE10hipError_tPvRmT2_T3_mT4_T5_T6_T7_T8_P12ihipStream_tbENKUlT_T0_E_clISt17integral_constantIbLb1EES11_EEDaSW_SX_EUlSW_E_NS1_11comp_targetILNS1_3genE5ELNS1_11target_archE942ELNS1_3gpuE9ELNS1_3repE0EEENS1_30default_config_static_selectorELNS0_4arch9wavefront6targetE1EEEvT1_ ; -- Begin function _ZN7rocprim17ROCPRIM_400000_NS6detail17trampoline_kernelINS0_14default_configENS1_29reduce_by_key_config_selectorIffN6thrust23THRUST_200600_302600_NS4plusIfEEEEZZNS1_33reduce_by_key_impl_wrapped_configILNS1_25lookback_scan_determinismE0ES3_S9_NS6_6detail15normal_iteratorINS6_10device_ptrIfEEEESG_SG_SG_PmS8_22is_equal_div_10_reduceIfEEE10hipError_tPvRmT2_T3_mT4_T5_T6_T7_T8_P12ihipStream_tbENKUlT_T0_E_clISt17integral_constantIbLb1EES11_EEDaSW_SX_EUlSW_E_NS1_11comp_targetILNS1_3genE5ELNS1_11target_archE942ELNS1_3gpuE9ELNS1_3repE0EEENS1_30default_config_static_selectorELNS0_4arch9wavefront6targetE1EEEvT1_
	.globl	_ZN7rocprim17ROCPRIM_400000_NS6detail17trampoline_kernelINS0_14default_configENS1_29reduce_by_key_config_selectorIffN6thrust23THRUST_200600_302600_NS4plusIfEEEEZZNS1_33reduce_by_key_impl_wrapped_configILNS1_25lookback_scan_determinismE0ES3_S9_NS6_6detail15normal_iteratorINS6_10device_ptrIfEEEESG_SG_SG_PmS8_22is_equal_div_10_reduceIfEEE10hipError_tPvRmT2_T3_mT4_T5_T6_T7_T8_P12ihipStream_tbENKUlT_T0_E_clISt17integral_constantIbLb1EES11_EEDaSW_SX_EUlSW_E_NS1_11comp_targetILNS1_3genE5ELNS1_11target_archE942ELNS1_3gpuE9ELNS1_3repE0EEENS1_30default_config_static_selectorELNS0_4arch9wavefront6targetE1EEEvT1_
	.p2align	8
	.type	_ZN7rocprim17ROCPRIM_400000_NS6detail17trampoline_kernelINS0_14default_configENS1_29reduce_by_key_config_selectorIffN6thrust23THRUST_200600_302600_NS4plusIfEEEEZZNS1_33reduce_by_key_impl_wrapped_configILNS1_25lookback_scan_determinismE0ES3_S9_NS6_6detail15normal_iteratorINS6_10device_ptrIfEEEESG_SG_SG_PmS8_22is_equal_div_10_reduceIfEEE10hipError_tPvRmT2_T3_mT4_T5_T6_T7_T8_P12ihipStream_tbENKUlT_T0_E_clISt17integral_constantIbLb1EES11_EEDaSW_SX_EUlSW_E_NS1_11comp_targetILNS1_3genE5ELNS1_11target_archE942ELNS1_3gpuE9ELNS1_3repE0EEENS1_30default_config_static_selectorELNS0_4arch9wavefront6targetE1EEEvT1_,@function
_ZN7rocprim17ROCPRIM_400000_NS6detail17trampoline_kernelINS0_14default_configENS1_29reduce_by_key_config_selectorIffN6thrust23THRUST_200600_302600_NS4plusIfEEEEZZNS1_33reduce_by_key_impl_wrapped_configILNS1_25lookback_scan_determinismE0ES3_S9_NS6_6detail15normal_iteratorINS6_10device_ptrIfEEEESG_SG_SG_PmS8_22is_equal_div_10_reduceIfEEE10hipError_tPvRmT2_T3_mT4_T5_T6_T7_T8_P12ihipStream_tbENKUlT_T0_E_clISt17integral_constantIbLb1EES11_EEDaSW_SX_EUlSW_E_NS1_11comp_targetILNS1_3genE5ELNS1_11target_archE942ELNS1_3gpuE9ELNS1_3repE0EEENS1_30default_config_static_selectorELNS0_4arch9wavefront6targetE1EEEvT1_: ; @_ZN7rocprim17ROCPRIM_400000_NS6detail17trampoline_kernelINS0_14default_configENS1_29reduce_by_key_config_selectorIffN6thrust23THRUST_200600_302600_NS4plusIfEEEEZZNS1_33reduce_by_key_impl_wrapped_configILNS1_25lookback_scan_determinismE0ES3_S9_NS6_6detail15normal_iteratorINS6_10device_ptrIfEEEESG_SG_SG_PmS8_22is_equal_div_10_reduceIfEEE10hipError_tPvRmT2_T3_mT4_T5_T6_T7_T8_P12ihipStream_tbENKUlT_T0_E_clISt17integral_constantIbLb1EES11_EEDaSW_SX_EUlSW_E_NS1_11comp_targetILNS1_3genE5ELNS1_11target_archE942ELNS1_3gpuE9ELNS1_3repE0EEENS1_30default_config_static_selectorELNS0_4arch9wavefront6targetE1EEEvT1_
; %bb.0:
	.section	.rodata,"a",@progbits
	.p2align	6, 0x0
	.amdhsa_kernel _ZN7rocprim17ROCPRIM_400000_NS6detail17trampoline_kernelINS0_14default_configENS1_29reduce_by_key_config_selectorIffN6thrust23THRUST_200600_302600_NS4plusIfEEEEZZNS1_33reduce_by_key_impl_wrapped_configILNS1_25lookback_scan_determinismE0ES3_S9_NS6_6detail15normal_iteratorINS6_10device_ptrIfEEEESG_SG_SG_PmS8_22is_equal_div_10_reduceIfEEE10hipError_tPvRmT2_T3_mT4_T5_T6_T7_T8_P12ihipStream_tbENKUlT_T0_E_clISt17integral_constantIbLb1EES11_EEDaSW_SX_EUlSW_E_NS1_11comp_targetILNS1_3genE5ELNS1_11target_archE942ELNS1_3gpuE9ELNS1_3repE0EEENS1_30default_config_static_selectorELNS0_4arch9wavefront6targetE1EEEvT1_
		.amdhsa_group_segment_fixed_size 0
		.amdhsa_private_segment_fixed_size 0
		.amdhsa_kernarg_size 120
		.amdhsa_user_sgpr_count 6
		.amdhsa_user_sgpr_private_segment_buffer 1
		.amdhsa_user_sgpr_dispatch_ptr 0
		.amdhsa_user_sgpr_queue_ptr 0
		.amdhsa_user_sgpr_kernarg_segment_ptr 1
		.amdhsa_user_sgpr_dispatch_id 0
		.amdhsa_user_sgpr_flat_scratch_init 0
		.amdhsa_user_sgpr_kernarg_preload_length 0
		.amdhsa_user_sgpr_kernarg_preload_offset 0
		.amdhsa_user_sgpr_private_segment_size 0
		.amdhsa_uses_dynamic_stack 0
		.amdhsa_system_sgpr_private_segment_wavefront_offset 0
		.amdhsa_system_sgpr_workgroup_id_x 1
		.amdhsa_system_sgpr_workgroup_id_y 0
		.amdhsa_system_sgpr_workgroup_id_z 0
		.amdhsa_system_sgpr_workgroup_info 0
		.amdhsa_system_vgpr_workitem_id 0
		.amdhsa_next_free_vgpr 1
		.amdhsa_next_free_sgpr 0
		.amdhsa_accum_offset 4
		.amdhsa_reserve_vcc 0
		.amdhsa_reserve_flat_scratch 0
		.amdhsa_float_round_mode_32 0
		.amdhsa_float_round_mode_16_64 0
		.amdhsa_float_denorm_mode_32 3
		.amdhsa_float_denorm_mode_16_64 3
		.amdhsa_dx10_clamp 1
		.amdhsa_ieee_mode 1
		.amdhsa_fp16_overflow 0
		.amdhsa_tg_split 0
		.amdhsa_exception_fp_ieee_invalid_op 0
		.amdhsa_exception_fp_denorm_src 0
		.amdhsa_exception_fp_ieee_div_zero 0
		.amdhsa_exception_fp_ieee_overflow 0
		.amdhsa_exception_fp_ieee_underflow 0
		.amdhsa_exception_fp_ieee_inexact 0
		.amdhsa_exception_int_div_zero 0
	.end_amdhsa_kernel
	.section	.text._ZN7rocprim17ROCPRIM_400000_NS6detail17trampoline_kernelINS0_14default_configENS1_29reduce_by_key_config_selectorIffN6thrust23THRUST_200600_302600_NS4plusIfEEEEZZNS1_33reduce_by_key_impl_wrapped_configILNS1_25lookback_scan_determinismE0ES3_S9_NS6_6detail15normal_iteratorINS6_10device_ptrIfEEEESG_SG_SG_PmS8_22is_equal_div_10_reduceIfEEE10hipError_tPvRmT2_T3_mT4_T5_T6_T7_T8_P12ihipStream_tbENKUlT_T0_E_clISt17integral_constantIbLb1EES11_EEDaSW_SX_EUlSW_E_NS1_11comp_targetILNS1_3genE5ELNS1_11target_archE942ELNS1_3gpuE9ELNS1_3repE0EEENS1_30default_config_static_selectorELNS0_4arch9wavefront6targetE1EEEvT1_,"axG",@progbits,_ZN7rocprim17ROCPRIM_400000_NS6detail17trampoline_kernelINS0_14default_configENS1_29reduce_by_key_config_selectorIffN6thrust23THRUST_200600_302600_NS4plusIfEEEEZZNS1_33reduce_by_key_impl_wrapped_configILNS1_25lookback_scan_determinismE0ES3_S9_NS6_6detail15normal_iteratorINS6_10device_ptrIfEEEESG_SG_SG_PmS8_22is_equal_div_10_reduceIfEEE10hipError_tPvRmT2_T3_mT4_T5_T6_T7_T8_P12ihipStream_tbENKUlT_T0_E_clISt17integral_constantIbLb1EES11_EEDaSW_SX_EUlSW_E_NS1_11comp_targetILNS1_3genE5ELNS1_11target_archE942ELNS1_3gpuE9ELNS1_3repE0EEENS1_30default_config_static_selectorELNS0_4arch9wavefront6targetE1EEEvT1_,comdat
.Lfunc_end210:
	.size	_ZN7rocprim17ROCPRIM_400000_NS6detail17trampoline_kernelINS0_14default_configENS1_29reduce_by_key_config_selectorIffN6thrust23THRUST_200600_302600_NS4plusIfEEEEZZNS1_33reduce_by_key_impl_wrapped_configILNS1_25lookback_scan_determinismE0ES3_S9_NS6_6detail15normal_iteratorINS6_10device_ptrIfEEEESG_SG_SG_PmS8_22is_equal_div_10_reduceIfEEE10hipError_tPvRmT2_T3_mT4_T5_T6_T7_T8_P12ihipStream_tbENKUlT_T0_E_clISt17integral_constantIbLb1EES11_EEDaSW_SX_EUlSW_E_NS1_11comp_targetILNS1_3genE5ELNS1_11target_archE942ELNS1_3gpuE9ELNS1_3repE0EEENS1_30default_config_static_selectorELNS0_4arch9wavefront6targetE1EEEvT1_, .Lfunc_end210-_ZN7rocprim17ROCPRIM_400000_NS6detail17trampoline_kernelINS0_14default_configENS1_29reduce_by_key_config_selectorIffN6thrust23THRUST_200600_302600_NS4plusIfEEEEZZNS1_33reduce_by_key_impl_wrapped_configILNS1_25lookback_scan_determinismE0ES3_S9_NS6_6detail15normal_iteratorINS6_10device_ptrIfEEEESG_SG_SG_PmS8_22is_equal_div_10_reduceIfEEE10hipError_tPvRmT2_T3_mT4_T5_T6_T7_T8_P12ihipStream_tbENKUlT_T0_E_clISt17integral_constantIbLb1EES11_EEDaSW_SX_EUlSW_E_NS1_11comp_targetILNS1_3genE5ELNS1_11target_archE942ELNS1_3gpuE9ELNS1_3repE0EEENS1_30default_config_static_selectorELNS0_4arch9wavefront6targetE1EEEvT1_
                                        ; -- End function
	.section	.AMDGPU.csdata,"",@progbits
; Kernel info:
; codeLenInByte = 0
; NumSgprs: 4
; NumVgprs: 0
; NumAgprs: 0
; TotalNumVgprs: 0
; ScratchSize: 0
; MemoryBound: 0
; FloatMode: 240
; IeeeMode: 1
; LDSByteSize: 0 bytes/workgroup (compile time only)
; SGPRBlocks: 0
; VGPRBlocks: 0
; NumSGPRsForWavesPerEU: 4
; NumVGPRsForWavesPerEU: 1
; AccumOffset: 4
; Occupancy: 8
; WaveLimiterHint : 0
; COMPUTE_PGM_RSRC2:SCRATCH_EN: 0
; COMPUTE_PGM_RSRC2:USER_SGPR: 6
; COMPUTE_PGM_RSRC2:TRAP_HANDLER: 0
; COMPUTE_PGM_RSRC2:TGID_X_EN: 1
; COMPUTE_PGM_RSRC2:TGID_Y_EN: 0
; COMPUTE_PGM_RSRC2:TGID_Z_EN: 0
; COMPUTE_PGM_RSRC2:TIDIG_COMP_CNT: 0
; COMPUTE_PGM_RSRC3_GFX90A:ACCUM_OFFSET: 0
; COMPUTE_PGM_RSRC3_GFX90A:TG_SPLIT: 0
	.section	.text._ZN7rocprim17ROCPRIM_400000_NS6detail17trampoline_kernelINS0_14default_configENS1_29reduce_by_key_config_selectorIffN6thrust23THRUST_200600_302600_NS4plusIfEEEEZZNS1_33reduce_by_key_impl_wrapped_configILNS1_25lookback_scan_determinismE0ES3_S9_NS6_6detail15normal_iteratorINS6_10device_ptrIfEEEESG_SG_SG_PmS8_22is_equal_div_10_reduceIfEEE10hipError_tPvRmT2_T3_mT4_T5_T6_T7_T8_P12ihipStream_tbENKUlT_T0_E_clISt17integral_constantIbLb1EES11_EEDaSW_SX_EUlSW_E_NS1_11comp_targetILNS1_3genE4ELNS1_11target_archE910ELNS1_3gpuE8ELNS1_3repE0EEENS1_30default_config_static_selectorELNS0_4arch9wavefront6targetE1EEEvT1_,"axG",@progbits,_ZN7rocprim17ROCPRIM_400000_NS6detail17trampoline_kernelINS0_14default_configENS1_29reduce_by_key_config_selectorIffN6thrust23THRUST_200600_302600_NS4plusIfEEEEZZNS1_33reduce_by_key_impl_wrapped_configILNS1_25lookback_scan_determinismE0ES3_S9_NS6_6detail15normal_iteratorINS6_10device_ptrIfEEEESG_SG_SG_PmS8_22is_equal_div_10_reduceIfEEE10hipError_tPvRmT2_T3_mT4_T5_T6_T7_T8_P12ihipStream_tbENKUlT_T0_E_clISt17integral_constantIbLb1EES11_EEDaSW_SX_EUlSW_E_NS1_11comp_targetILNS1_3genE4ELNS1_11target_archE910ELNS1_3gpuE8ELNS1_3repE0EEENS1_30default_config_static_selectorELNS0_4arch9wavefront6targetE1EEEvT1_,comdat
	.protected	_ZN7rocprim17ROCPRIM_400000_NS6detail17trampoline_kernelINS0_14default_configENS1_29reduce_by_key_config_selectorIffN6thrust23THRUST_200600_302600_NS4plusIfEEEEZZNS1_33reduce_by_key_impl_wrapped_configILNS1_25lookback_scan_determinismE0ES3_S9_NS6_6detail15normal_iteratorINS6_10device_ptrIfEEEESG_SG_SG_PmS8_22is_equal_div_10_reduceIfEEE10hipError_tPvRmT2_T3_mT4_T5_T6_T7_T8_P12ihipStream_tbENKUlT_T0_E_clISt17integral_constantIbLb1EES11_EEDaSW_SX_EUlSW_E_NS1_11comp_targetILNS1_3genE4ELNS1_11target_archE910ELNS1_3gpuE8ELNS1_3repE0EEENS1_30default_config_static_selectorELNS0_4arch9wavefront6targetE1EEEvT1_ ; -- Begin function _ZN7rocprim17ROCPRIM_400000_NS6detail17trampoline_kernelINS0_14default_configENS1_29reduce_by_key_config_selectorIffN6thrust23THRUST_200600_302600_NS4plusIfEEEEZZNS1_33reduce_by_key_impl_wrapped_configILNS1_25lookback_scan_determinismE0ES3_S9_NS6_6detail15normal_iteratorINS6_10device_ptrIfEEEESG_SG_SG_PmS8_22is_equal_div_10_reduceIfEEE10hipError_tPvRmT2_T3_mT4_T5_T6_T7_T8_P12ihipStream_tbENKUlT_T0_E_clISt17integral_constantIbLb1EES11_EEDaSW_SX_EUlSW_E_NS1_11comp_targetILNS1_3genE4ELNS1_11target_archE910ELNS1_3gpuE8ELNS1_3repE0EEENS1_30default_config_static_selectorELNS0_4arch9wavefront6targetE1EEEvT1_
	.globl	_ZN7rocprim17ROCPRIM_400000_NS6detail17trampoline_kernelINS0_14default_configENS1_29reduce_by_key_config_selectorIffN6thrust23THRUST_200600_302600_NS4plusIfEEEEZZNS1_33reduce_by_key_impl_wrapped_configILNS1_25lookback_scan_determinismE0ES3_S9_NS6_6detail15normal_iteratorINS6_10device_ptrIfEEEESG_SG_SG_PmS8_22is_equal_div_10_reduceIfEEE10hipError_tPvRmT2_T3_mT4_T5_T6_T7_T8_P12ihipStream_tbENKUlT_T0_E_clISt17integral_constantIbLb1EES11_EEDaSW_SX_EUlSW_E_NS1_11comp_targetILNS1_3genE4ELNS1_11target_archE910ELNS1_3gpuE8ELNS1_3repE0EEENS1_30default_config_static_selectorELNS0_4arch9wavefront6targetE1EEEvT1_
	.p2align	8
	.type	_ZN7rocprim17ROCPRIM_400000_NS6detail17trampoline_kernelINS0_14default_configENS1_29reduce_by_key_config_selectorIffN6thrust23THRUST_200600_302600_NS4plusIfEEEEZZNS1_33reduce_by_key_impl_wrapped_configILNS1_25lookback_scan_determinismE0ES3_S9_NS6_6detail15normal_iteratorINS6_10device_ptrIfEEEESG_SG_SG_PmS8_22is_equal_div_10_reduceIfEEE10hipError_tPvRmT2_T3_mT4_T5_T6_T7_T8_P12ihipStream_tbENKUlT_T0_E_clISt17integral_constantIbLb1EES11_EEDaSW_SX_EUlSW_E_NS1_11comp_targetILNS1_3genE4ELNS1_11target_archE910ELNS1_3gpuE8ELNS1_3repE0EEENS1_30default_config_static_selectorELNS0_4arch9wavefront6targetE1EEEvT1_,@function
_ZN7rocprim17ROCPRIM_400000_NS6detail17trampoline_kernelINS0_14default_configENS1_29reduce_by_key_config_selectorIffN6thrust23THRUST_200600_302600_NS4plusIfEEEEZZNS1_33reduce_by_key_impl_wrapped_configILNS1_25lookback_scan_determinismE0ES3_S9_NS6_6detail15normal_iteratorINS6_10device_ptrIfEEEESG_SG_SG_PmS8_22is_equal_div_10_reduceIfEEE10hipError_tPvRmT2_T3_mT4_T5_T6_T7_T8_P12ihipStream_tbENKUlT_T0_E_clISt17integral_constantIbLb1EES11_EEDaSW_SX_EUlSW_E_NS1_11comp_targetILNS1_3genE4ELNS1_11target_archE910ELNS1_3gpuE8ELNS1_3repE0EEENS1_30default_config_static_selectorELNS0_4arch9wavefront6targetE1EEEvT1_: ; @_ZN7rocprim17ROCPRIM_400000_NS6detail17trampoline_kernelINS0_14default_configENS1_29reduce_by_key_config_selectorIffN6thrust23THRUST_200600_302600_NS4plusIfEEEEZZNS1_33reduce_by_key_impl_wrapped_configILNS1_25lookback_scan_determinismE0ES3_S9_NS6_6detail15normal_iteratorINS6_10device_ptrIfEEEESG_SG_SG_PmS8_22is_equal_div_10_reduceIfEEE10hipError_tPvRmT2_T3_mT4_T5_T6_T7_T8_P12ihipStream_tbENKUlT_T0_E_clISt17integral_constantIbLb1EES11_EEDaSW_SX_EUlSW_E_NS1_11comp_targetILNS1_3genE4ELNS1_11target_archE910ELNS1_3gpuE8ELNS1_3repE0EEENS1_30default_config_static_selectorELNS0_4arch9wavefront6targetE1EEEvT1_
; %bb.0:
	s_load_dwordx8 s[36:43], s[4:5], 0x0
	s_load_dwordx4 s[52:55], s[4:5], 0x20
	s_load_dwordx8 s[44:51], s[4:5], 0x38
	s_load_dwordx2 s[60:61], s[4:5], 0x68
	s_load_dwordx4 s[56:59], s[4:5], 0x58
	v_cmp_ne_u32_e64 s[2:3], 0, v0
	v_cmp_eq_u32_e64 s[0:1], 0, v0
	s_and_saveexec_b64 s[6:7], s[0:1]
	s_cbranch_execz .LBB211_4
; %bb.1:
	s_mov_b64 s[10:11], exec
	v_mbcnt_lo_u32_b32 v1, s10, 0
	v_mbcnt_hi_u32_b32 v1, s11, v1
	v_cmp_eq_u32_e32 vcc, 0, v1
                                        ; implicit-def: $vgpr2
	s_and_saveexec_b64 s[8:9], vcc
	s_cbranch_execz .LBB211_3
; %bb.2:
	s_load_dwordx2 s[4:5], s[4:5], 0x70
	s_bcnt1_i32_b64 s10, s[10:11]
	v_mov_b32_e32 v2, 0
	v_mov_b32_e32 v3, s10
	s_waitcnt lgkmcnt(0)
	global_atomic_add v2, v2, v3, s[4:5] glc
.LBB211_3:
	s_or_b64 exec, exec, s[8:9]
	s_waitcnt vmcnt(0)
	v_readfirstlane_b32 s4, v2
	v_add_u32_e32 v1, s4, v1
	v_mov_b32_e32 v2, 0
	ds_write_b32 v2, v1
.LBB211_4:
	s_or_b64 exec, exec, s[6:7]
	v_mov_b32_e32 v3, 0
	s_waitcnt lgkmcnt(0)
	s_lshl_b64 s[4:5], s[38:39], 2
	s_barrier
	ds_read_b32 v1, v3
	s_add_u32 s6, s36, s4
	s_addc_u32 s7, s37, s5
	s_add_u32 s4, s40, s4
	s_mul_i32 s8, s48, s47
	s_mul_hi_u32 s9, s48, s46
	s_addc_u32 s5, s41, s5
	s_add_i32 s8, s9, s8
	s_mul_i32 s9, s49, s46
	s_add_i32 s8, s8, s9
	s_mul_i32 s9, s48, s46
	s_waitcnt lgkmcnt(0)
	v_readfirstlane_b32 s62, v1
	s_movk_i32 s10, 0xf00
	v_mul_lo_u32 v2, v1, s10
	s_add_u32 s40, s9, s62
	v_lshlrev_b64 v[4:5], 2, v[2:3]
	s_addc_u32 s41, s8, 0
	v_mov_b32_e32 v1, s7
	v_add_co_u32_e32 v2, vcc, s6, v4
	s_add_u32 s6, s50, -1
	v_addc_co_u32_e32 v3, vcc, v1, v5, vcc
	s_addc_u32 s7, s51, -1
	v_mov_b32_e32 v1, s5
	v_add_co_u32_e32 v4, vcc, s4, v4
	s_cmp_eq_u64 s[40:41], s[6:7]
	v_addc_co_u32_e32 v5, vcc, v1, v5, vcc
	s_cselect_b64 s[36:37], -1, 0
	s_cmp_lg_u64 s[40:41], s[6:7]
	s_mov_b64 s[4:5], -1
	s_cselect_b64 s[48:49], -1, 0
	s_mul_i32 s33, s6, 0xfffff100
	s_and_b64 vcc, exec, s[36:37]
	s_barrier
	s_cbranch_vccnz .LBB211_6
; %bb.5:
	v_lshlrev_b32_e32 v30, 2, v0
	v_add_co_u32_e32 v6, vcc, v2, v30
	v_addc_co_u32_e32 v7, vcc, 0, v3, vcc
	v_add_co_u32_e32 v8, vcc, 0x1000, v6
	v_addc_co_u32_e32 v9, vcc, 0, v7, vcc
	flat_load_dword v1, v[6:7]
	flat_load_dword v12, v[6:7] offset:1024
	flat_load_dword v13, v[6:7] offset:2048
	;; [unrolled: 1-line block ×3, first 2 shown]
	flat_load_dword v15, v[8:9]
	flat_load_dword v16, v[8:9] offset:1024
	flat_load_dword v17, v[8:9] offset:2048
	;; [unrolled: 1-line block ×3, first 2 shown]
	v_add_co_u32_e32 v8, vcc, 0x2000, v6
	v_addc_co_u32_e32 v9, vcc, 0, v7, vcc
	v_add_co_u32_e32 v6, vcc, 0x3000, v6
	v_addc_co_u32_e32 v7, vcc, 0, v7, vcc
	flat_load_dword v19, v[8:9]
	flat_load_dword v20, v[8:9] offset:1024
	flat_load_dword v21, v[8:9] offset:2048
	;; [unrolled: 1-line block ×3, first 2 shown]
	flat_load_dword v23, v[6:7]
	flat_load_dword v24, v[6:7] offset:1024
	flat_load_dword v25, v[6:7] offset:2048
	v_add_co_u32_e32 v8, vcc, v4, v30
	s_movk_i32 s4, 0x1000
	v_addc_co_u32_e32 v9, vcc, 0, v5, vcc
	v_add_co_u32_e32 v10, vcc, s4, v8
	s_movk_i32 s5, 0x2000
	v_addc_co_u32_e32 v11, vcc, 0, v9, vcc
	;; [unrolled: 3-line block ×3, first 2 shown]
	v_mad_u32_u24 v6, v0, 56, v30
	v_add_co_u32_e32 v28, vcc, s6, v8
	v_addc_co_u32_e32 v29, vcc, 0, v9, vcc
	s_waitcnt vmcnt(0) lgkmcnt(0)
	ds_write2st64_b32 v30, v1, v12 offset1:4
	ds_write2st64_b32 v30, v13, v14 offset0:8 offset1:12
	ds_write2st64_b32 v30, v15, v16 offset0:16 offset1:20
	;; [unrolled: 1-line block ×6, first 2 shown]
	ds_write_b32 v30, v25 offset:14336
	s_waitcnt lgkmcnt(0)
	s_barrier
	ds_read2_b32 v[24:25], v6 offset1:1
	ds_read2_b32 v[22:23], v6 offset0:2 offset1:3
	ds_read2_b32 v[20:21], v6 offset0:4 offset1:5
	;; [unrolled: 1-line block ×6, first 2 shown]
	ds_read_b32 v1, v6 offset:56
	s_waitcnt lgkmcnt(0)
	s_barrier
	flat_load_dword v7, v[8:9]
	flat_load_dword v31, v[8:9] offset:1024
	flat_load_dword v32, v[8:9] offset:2048
	flat_load_dword v33, v[8:9] offset:3072
	flat_load_dword v34, v[10:11]
	flat_load_dword v35, v[10:11] offset:1024
	flat_load_dword v36, v[10:11] offset:2048
	flat_load_dword v37, v[10:11] offset:3072
	;; [unrolled: 4-line block ×3, first 2 shown]
	flat_load_dword v42, v[28:29]
	flat_load_dword v43, v[28:29] offset:1024
	flat_load_dword v44, v[28:29] offset:2048
	v_mul_u32_u24_e32 v26, 15, v0
	s_waitcnt vmcnt(0) lgkmcnt(0)
	ds_write2st64_b32 v30, v7, v31 offset1:4
	ds_write2st64_b32 v30, v32, v33 offset0:8 offset1:12
	ds_write2st64_b32 v30, v34, v35 offset0:16 offset1:20
	;; [unrolled: 1-line block ×6, first 2 shown]
	ds_write_b32 v30, v44 offset:14336
	s_waitcnt lgkmcnt(0)
	s_barrier
	s_add_i32 s33, s33, s56
	s_cbranch_execz .LBB211_7
	s_branch .LBB211_54
.LBB211_6:
                                        ; implicit-def: $vgpr12_vgpr13
                                        ; implicit-def: $vgpr14_vgpr15
                                        ; implicit-def: $vgpr16_vgpr17
                                        ; implicit-def: $vgpr18_vgpr19
                                        ; implicit-def: $vgpr20_vgpr21
                                        ; implicit-def: $vgpr22_vgpr23
                                        ; implicit-def: $vgpr24_vgpr25
                                        ; implicit-def: $vgpr26
                                        ; implicit-def: $vgpr6
                                        ; implicit-def: $vgpr1
	s_andn2_b64 vcc, exec, s[4:5]
	s_add_i32 s33, s33, s56
	s_cbranch_vccnz .LBB211_54
.LBB211_7:
	v_cmp_gt_u32_e32 vcc, s33, v0
                                        ; implicit-def: $vgpr1
	s_and_saveexec_b64 s[6:7], vcc
	s_cbranch_execz .LBB211_9
; %bb.8:
	v_lshlrev_b32_e32 v1, 2, v0
	v_add_co_u32_e64 v6, s[4:5], v2, v1
	v_addc_co_u32_e64 v7, s[4:5], 0, v3, s[4:5]
	flat_load_dword v1, v[6:7]
.LBB211_9:
	s_or_b64 exec, exec, s[6:7]
	v_or_b32_e32 v6, 0x100, v0
	v_cmp_gt_u32_e64 s[4:5], s33, v6
                                        ; implicit-def: $vgpr6
	s_and_saveexec_b64 s[8:9], s[4:5]
	s_cbranch_execz .LBB211_11
; %bb.10:
	v_lshlrev_b32_e32 v6, 2, v0
	v_add_co_u32_e64 v6, s[6:7], v2, v6
	v_addc_co_u32_e64 v7, s[6:7], 0, v3, s[6:7]
	flat_load_dword v6, v[6:7] offset:1024
.LBB211_11:
	s_or_b64 exec, exec, s[8:9]
	v_or_b32_e32 v7, 0x200, v0
	v_cmp_gt_u32_e64 s[6:7], s33, v7
                                        ; implicit-def: $vgpr12
	s_and_saveexec_b64 s[10:11], s[6:7]
	s_cbranch_execz .LBB211_13
; %bb.12:
	v_lshlrev_b32_e32 v7, 2, v0
	v_add_co_u32_e64 v8, s[8:9], v2, v7
	v_addc_co_u32_e64 v9, s[8:9], 0, v3, s[8:9]
	flat_load_dword v12, v[8:9] offset:2048
.LBB211_13:
	s_or_b64 exec, exec, s[10:11]
	v_or_b32_e32 v7, 0x300, v0
	v_cmp_gt_u32_e64 s[8:9], s33, v7
                                        ; implicit-def: $vgpr13
	s_and_saveexec_b64 s[12:13], s[8:9]
	s_cbranch_execz .LBB211_15
; %bb.14:
	v_lshlrev_b32_e32 v7, 2, v0
	v_add_co_u32_e64 v8, s[10:11], v2, v7
	v_addc_co_u32_e64 v9, s[10:11], 0, v3, s[10:11]
	flat_load_dword v13, v[8:9] offset:3072
.LBB211_15:
	s_or_b64 exec, exec, s[12:13]
	v_or_b32_e32 v7, 0x400, v0
	v_cmp_gt_u32_e64 s[10:11], s33, v7
                                        ; implicit-def: $vgpr14
	s_and_saveexec_b64 s[14:15], s[10:11]
	s_cbranch_execz .LBB211_17
; %bb.16:
	v_lshlrev_b32_e32 v8, 2, v7
	v_add_co_u32_e64 v8, s[12:13], v2, v8
	v_addc_co_u32_e64 v9, s[12:13], 0, v3, s[12:13]
	flat_load_dword v14, v[8:9]
.LBB211_17:
	s_or_b64 exec, exec, s[14:15]
	v_or_b32_e32 v8, 0x500, v0
	v_cmp_gt_u32_e64 s[12:13], s33, v8
                                        ; implicit-def: $vgpr15
	s_and_saveexec_b64 s[16:17], s[12:13]
	s_cbranch_execz .LBB211_19
; %bb.18:
	v_lshlrev_b32_e32 v9, 2, v8
	v_add_co_u32_e64 v10, s[14:15], v2, v9
	v_addc_co_u32_e64 v11, s[14:15], 0, v3, s[14:15]
	flat_load_dword v15, v[10:11]
.LBB211_19:
	s_or_b64 exec, exec, s[16:17]
	v_or_b32_e32 v9, 0x600, v0
	v_cmp_gt_u32_e64 s[14:15], s33, v9
                                        ; implicit-def: $vgpr16
	s_and_saveexec_b64 s[18:19], s[14:15]
	s_cbranch_execz .LBB211_21
; %bb.20:
	v_lshlrev_b32_e32 v10, 2, v9
	v_add_co_u32_e64 v10, s[16:17], v2, v10
	v_addc_co_u32_e64 v11, s[16:17], 0, v3, s[16:17]
	flat_load_dword v16, v[10:11]
.LBB211_21:
	s_or_b64 exec, exec, s[18:19]
	v_or_b32_e32 v10, 0x700, v0
	v_cmp_gt_u32_e64 s[16:17], s33, v10
                                        ; implicit-def: $vgpr17
	s_and_saveexec_b64 s[20:21], s[16:17]
	s_cbranch_execz .LBB211_23
; %bb.22:
	v_lshlrev_b32_e32 v11, 2, v10
	v_add_co_u32_e64 v18, s[18:19], v2, v11
	v_addc_co_u32_e64 v19, s[18:19], 0, v3, s[18:19]
	flat_load_dword v17, v[18:19]
.LBB211_23:
	s_or_b64 exec, exec, s[20:21]
	v_or_b32_e32 v11, 0x800, v0
	v_cmp_gt_u32_e64 s[18:19], s33, v11
                                        ; implicit-def: $vgpr18
	s_and_saveexec_b64 s[22:23], s[18:19]
	s_cbranch_execz .LBB211_25
; %bb.24:
	v_lshlrev_b32_e32 v18, 2, v11
	v_add_co_u32_e64 v18, s[20:21], v2, v18
	v_addc_co_u32_e64 v19, s[20:21], 0, v3, s[20:21]
	flat_load_dword v18, v[18:19]
.LBB211_25:
	s_or_b64 exec, exec, s[22:23]
	v_or_b32_e32 v26, 0x900, v0
	v_cmp_gt_u32_e64 s[20:21], s33, v26
                                        ; implicit-def: $vgpr19
	s_and_saveexec_b64 s[24:25], s[20:21]
	s_cbranch_execz .LBB211_27
; %bb.26:
	v_lshlrev_b32_e32 v19, 2, v26
	v_add_co_u32_e64 v20, s[22:23], v2, v19
	v_addc_co_u32_e64 v21, s[22:23], 0, v3, s[22:23]
	flat_load_dword v19, v[20:21]
.LBB211_27:
	s_or_b64 exec, exec, s[24:25]
	v_or_b32_e32 v27, 0xa00, v0
	v_cmp_gt_u32_e64 s[22:23], s33, v27
                                        ; implicit-def: $vgpr20
	s_and_saveexec_b64 s[26:27], s[22:23]
	s_cbranch_execz .LBB211_29
; %bb.28:
	v_lshlrev_b32_e32 v20, 2, v27
	v_add_co_u32_e64 v20, s[24:25], v2, v20
	v_addc_co_u32_e64 v21, s[24:25], 0, v3, s[24:25]
	flat_load_dword v20, v[20:21]
.LBB211_29:
	s_or_b64 exec, exec, s[26:27]
	v_or_b32_e32 v28, 0xb00, v0
	v_cmp_gt_u32_e64 s[24:25], s33, v28
                                        ; implicit-def: $vgpr21
	s_and_saveexec_b64 s[28:29], s[24:25]
	s_cbranch_execz .LBB211_31
; %bb.30:
	v_lshlrev_b32_e32 v21, 2, v28
	v_add_co_u32_e64 v22, s[26:27], v2, v21
	v_addc_co_u32_e64 v23, s[26:27], 0, v3, s[26:27]
	flat_load_dword v21, v[22:23]
.LBB211_31:
	s_or_b64 exec, exec, s[28:29]
	v_or_b32_e32 v29, 0xc00, v0
	v_cmp_gt_u32_e64 s[26:27], s33, v29
                                        ; implicit-def: $vgpr22
	s_and_saveexec_b64 s[30:31], s[26:27]
	s_cbranch_execz .LBB211_33
; %bb.32:
	v_lshlrev_b32_e32 v22, 2, v29
	v_add_co_u32_e64 v22, s[28:29], v2, v22
	v_addc_co_u32_e64 v23, s[28:29], 0, v3, s[28:29]
	flat_load_dword v22, v[22:23]
.LBB211_33:
	s_or_b64 exec, exec, s[30:31]
	v_or_b32_e32 v30, 0xd00, v0
	v_cmp_gt_u32_e64 s[28:29], s33, v30
                                        ; implicit-def: $vgpr23
	s_and_saveexec_b64 s[34:35], s[28:29]
	s_cbranch_execz .LBB211_35
; %bb.34:
	v_lshlrev_b32_e32 v23, 2, v30
	v_add_co_u32_e64 v24, s[30:31], v2, v23
	v_addc_co_u32_e64 v25, s[30:31], 0, v3, s[30:31]
	flat_load_dword v23, v[24:25]
.LBB211_35:
	s_or_b64 exec, exec, s[34:35]
	v_or_b32_e32 v31, 0xe00, v0
	v_cmp_gt_u32_e64 s[30:31], s33, v31
                                        ; implicit-def: $vgpr24
	s_and_saveexec_b64 s[38:39], s[30:31]
	s_cbranch_execz .LBB211_37
; %bb.36:
	v_lshlrev_b32_e32 v24, 2, v31
	v_add_co_u32_e64 v24, s[34:35], v2, v24
	v_addc_co_u32_e64 v25, s[34:35], 0, v3, s[34:35]
	flat_load_dword v24, v[24:25]
.LBB211_37:
	s_or_b64 exec, exec, s[38:39]
	v_lshlrev_b32_e32 v32, 2, v0
	s_waitcnt vmcnt(0) lgkmcnt(0)
	ds_write2st64_b32 v32, v1, v6 offset1:4
	ds_write2st64_b32 v32, v12, v13 offset0:8 offset1:12
	ds_write2st64_b32 v32, v14, v15 offset0:16 offset1:20
	;; [unrolled: 1-line block ×6, first 2 shown]
	ds_write_b32 v32, v24 offset:14336
	v_mad_u32_u24 v6, v0, 56, v32
	s_waitcnt lgkmcnt(0)
	s_barrier
	ds_read2_b32 v[24:25], v6 offset1:1
	ds_read2_b32 v[22:23], v6 offset0:2 offset1:3
	ds_read2_b32 v[20:21], v6 offset0:4 offset1:5
	;; [unrolled: 1-line block ×6, first 2 shown]
	ds_read_b32 v1, v6 offset:56
	s_waitcnt lgkmcnt(0)
	s_barrier
	s_waitcnt lgkmcnt(0)
                                        ; implicit-def: $vgpr33
	s_and_saveexec_b64 s[34:35], vcc
	s_cbranch_execnz .LBB211_61
; %bb.38:
	s_or_b64 exec, exec, s[34:35]
                                        ; implicit-def: $vgpr34
	s_and_saveexec_b64 s[34:35], s[4:5]
	s_cbranch_execnz .LBB211_62
.LBB211_39:
	s_or_b64 exec, exec, s[34:35]
                                        ; implicit-def: $vgpr35
	s_and_saveexec_b64 s[4:5], s[6:7]
	s_cbranch_execnz .LBB211_63
.LBB211_40:
	s_or_b64 exec, exec, s[4:5]
                                        ; implicit-def: $vgpr36
	s_and_saveexec_b64 s[4:5], s[8:9]
	s_cbranch_execnz .LBB211_64
.LBB211_41:
	s_or_b64 exec, exec, s[4:5]
                                        ; implicit-def: $vgpr37
	s_and_saveexec_b64 s[4:5], s[10:11]
	s_cbranch_execnz .LBB211_65
.LBB211_42:
	s_or_b64 exec, exec, s[4:5]
                                        ; implicit-def: $vgpr7
	s_and_saveexec_b64 s[4:5], s[12:13]
	s_cbranch_execnz .LBB211_66
.LBB211_43:
	s_or_b64 exec, exec, s[4:5]
                                        ; implicit-def: $vgpr8
	s_and_saveexec_b64 s[4:5], s[14:15]
	s_cbranch_execnz .LBB211_67
.LBB211_44:
	s_or_b64 exec, exec, s[4:5]
                                        ; implicit-def: $vgpr9
	s_and_saveexec_b64 s[4:5], s[16:17]
	s_cbranch_execnz .LBB211_68
.LBB211_45:
	s_or_b64 exec, exec, s[4:5]
                                        ; implicit-def: $vgpr10
	s_and_saveexec_b64 s[4:5], s[18:19]
	s_cbranch_execnz .LBB211_69
.LBB211_46:
	s_or_b64 exec, exec, s[4:5]
                                        ; implicit-def: $vgpr11
	s_and_saveexec_b64 s[4:5], s[20:21]
	s_cbranch_execnz .LBB211_70
.LBB211_47:
	s_or_b64 exec, exec, s[4:5]
                                        ; implicit-def: $vgpr38
	s_and_saveexec_b64 s[4:5], s[22:23]
	s_cbranch_execnz .LBB211_71
.LBB211_48:
	s_or_b64 exec, exec, s[4:5]
                                        ; implicit-def: $vgpr27
	s_and_saveexec_b64 s[4:5], s[24:25]
	s_cbranch_execnz .LBB211_72
.LBB211_49:
	s_or_b64 exec, exec, s[4:5]
                                        ; implicit-def: $vgpr28
	s_and_saveexec_b64 s[4:5], s[26:27]
	s_cbranch_execnz .LBB211_73
.LBB211_50:
	s_or_b64 exec, exec, s[4:5]
                                        ; implicit-def: $vgpr29
	s_and_saveexec_b64 s[4:5], s[28:29]
	s_cbranch_execnz .LBB211_74
.LBB211_51:
	s_or_b64 exec, exec, s[4:5]
                                        ; implicit-def: $vgpr30
	s_and_saveexec_b64 s[4:5], s[30:31]
	s_cbranch_execz .LBB211_53
.LBB211_52:
	v_lshlrev_b32_e32 v26, 2, v31
	v_add_co_u32_e32 v4, vcc, v4, v26
	v_addc_co_u32_e32 v5, vcc, 0, v5, vcc
	flat_load_dword v30, v[4:5]
.LBB211_53:
	s_or_b64 exec, exec, s[4:5]
	v_mul_u32_u24_e32 v26, 15, v0
	s_waitcnt vmcnt(0) lgkmcnt(0)
	ds_write2st64_b32 v32, v33, v34 offset1:4
	ds_write2st64_b32 v32, v35, v36 offset0:8 offset1:12
	ds_write2st64_b32 v32, v37, v7 offset0:16 offset1:20
	;; [unrolled: 1-line block ×6, first 2 shown]
	ds_write_b32 v32, v30 offset:14336
	s_waitcnt lgkmcnt(0)
	s_barrier
.LBB211_54:
	v_lshlrev_b32_e32 v4, 2, v26
	ds_read2_b32 v[50:51], v6 offset1:2
	ds_read2_b32 v[46:47], v6 offset0:4 offset1:6
	ds_read2_b32 v[44:45], v6 offset0:8 offset1:10
	;; [unrolled: 1-line block ×6, first 2 shown]
	ds_read_b32 v61, v4 offset:52
	s_cmp_eq_u64 s[40:41], 0
	s_cselect_b64 s[38:39], -1, 0
	s_cmp_lg_u64 s[40:41], 0
	s_mov_b64 s[4:5], 0
	s_cselect_b64 s[8:9], -1, 0
	s_and_b64 vcc, exec, s[48:49]
	s_waitcnt lgkmcnt(0)
	s_barrier
	s_cbranch_vccz .LBB211_60
; %bb.55:
	s_and_b64 vcc, exec, s[8:9]
	s_cbranch_vccz .LBB211_75
; %bb.56:
	v_add_co_u32_e32 v4, vcc, -4, v2
	v_addc_co_u32_e32 v5, vcc, -1, v3, vcc
	flat_load_dword v4, v[4:5]
	v_lshlrev_b32_e32 v5, 2, v0
	ds_write_b32 v5, v1
	s_waitcnt lgkmcnt(0)
	s_barrier
	s_and_saveexec_b64 s[4:5], s[2:3]
	s_cbranch_execz .LBB211_58
; %bb.57:
	s_waitcnt vmcnt(0)
	v_add_u32_e32 v4, -4, v5
	ds_read_b32 v4, v4
.LBB211_58:
	s_or_b64 exec, exec, s[4:5]
	v_cvt_i32_f32_e32 v5, v13
	s_mov_b32 s4, 0x66666667
	v_cvt_i32_f32_e32 v6, v12
	v_cvt_i32_f32_e32 v11, v16
	v_mul_hi_i32 v5, v5, s4
	v_lshrrev_b32_e32 v7, 31, v5
	v_ashrrev_i32_e32 v5, 2, v5
	v_add_u32_e32 v5, v5, v7
	v_cvt_i32_f32_e32 v7, v1
	v_mul_hi_i32 v6, v6, s4
	v_lshrrev_b32_e32 v8, 31, v6
	v_ashrrev_i32_e32 v6, 2, v6
	v_mul_hi_i32 v7, v7, s4
	v_add_u32_e32 v6, v6, v8
	v_cvt_i32_f32_e32 v8, v15
	v_lshrrev_b32_e32 v9, 31, v7
	v_ashrrev_i32_e32 v7, 2, v7
	v_add_u32_e32 v7, v7, v9
	v_cvt_i32_f32_e32 v9, v17
	v_mul_hi_i32 v8, v8, s4
	v_lshrrev_b32_e32 v10, 31, v8
	v_ashrrev_i32_e32 v8, 2, v8
	v_mul_hi_i32 v9, v9, s4
	v_add_u32_e32 v8, v8, v10
	v_lshrrev_b32_e32 v10, 31, v9
	v_ashrrev_i32_e32 v9, 2, v9
	v_add_u32_e32 v9, v9, v10
	v_cvt_i32_f32_e32 v10, v14
	v_mul_hi_i32 v11, v11, s4
	v_lshrrev_b32_e32 v26, 31, v11
	v_ashrrev_i32_e32 v11, 2, v11
	v_mul_hi_i32 v10, v10, s4
	v_add_u32_e32 v11, v11, v26
	v_cvt_i32_f32_e32 v26, v19
	v_lshrrev_b32_e32 v27, 31, v10
	v_ashrrev_i32_e32 v10, 2, v10
	v_add_u32_e32 v10, v10, v27
	v_cvt_i32_f32_e32 v27, v21
	v_mul_hi_i32 v26, v26, s4
	v_lshrrev_b32_e32 v28, 31, v26
	v_ashrrev_i32_e32 v26, 2, v26
	v_mul_hi_i32 v27, v27, s4
	v_add_u32_e32 v26, v26, v28
	v_lshrrev_b32_e32 v28, 31, v27
	v_cvt_i32_f32_e32 v29, v20
	v_ashrrev_i32_e32 v27, 2, v27
	v_add_u32_e32 v27, v27, v28
	v_cvt_i32_f32_e32 v28, v18
	v_mul_hi_i32 v29, v29, s4
	v_lshrrev_b32_e32 v30, 31, v29
	v_ashrrev_i32_e32 v29, 2, v29
	v_mul_hi_i32 v28, v28, s4
	v_add_u32_e32 v29, v29, v30
	v_cvt_i32_f32_e32 v30, v23
	v_lshrrev_b32_e32 v31, 31, v28
	v_ashrrev_i32_e32 v28, 2, v28
	v_add_u32_e32 v28, v28, v31
	v_cvt_i32_f32_e32 v31, v25
	v_mul_hi_i32 v30, v30, s4
	v_lshrrev_b32_e32 v32, 31, v30
	v_ashrrev_i32_e32 v30, 2, v30
	v_mul_hi_i32 v31, v31, s4
	v_add_u32_e32 v30, v30, v32
	v_lshrrev_b32_e32 v32, 31, v31
	v_cvt_i32_f32_e32 v33, v24
	v_ashrrev_i32_e32 v31, 2, v31
	v_add_u32_e32 v31, v31, v32
	v_cvt_i32_f32_e32 v32, v22
	v_mul_hi_i32 v33, v33, s4
	v_lshrrev_b32_e32 v34, 31, v33
	v_ashrrev_i32_e32 v33, 2, v33
	v_mul_hi_i32 v32, v32, s4
	v_add_u32_e32 v38, v33, v34
	v_lshrrev_b32_e32 v33, 31, v32
	v_ashrrev_i32_e32 v32, 2, v32
	v_add_u32_e32 v32, v32, v33
	v_cmp_ne_u32_e32 vcc, v31, v38
	v_cndmask_b32_e64 v39, 0, 1, vcc
	v_cmp_ne_u32_e32 vcc, v31, v32
	v_cndmask_b32_e64 v36, 0, 1, vcc
	;; [unrolled: 2-line block ×8, first 2 shown]
	v_cmp_ne_u32_e32 vcc, v9, v11
	s_waitcnt vmcnt(0) lgkmcnt(0)
	v_cvt_i32_f32_e32 v4, v4
	v_cndmask_b32_e64 v31, 0, 1, vcc
	v_cmp_ne_u32_e32 vcc, v9, v10
	v_cndmask_b32_e64 v28, 0, 1, vcc
	v_cmp_ne_u32_e32 vcc, v10, v8
	;; [unrolled: 2-line block ×4, first 2 shown]
	v_mul_hi_i32 v4, v4, s4
	v_cndmask_b32_e64 v27, 0, 1, vcc
	v_cmp_ne_u32_e32 vcc, v5, v7
	v_lshrrev_b32_e32 v5, 31, v4
	v_ashrrev_i32_e32 v4, 2, v4
	v_add_u32_e32 v4, v4, v5
	v_cndmask_b32_e64 v60, 0, 1, vcc
	v_cmp_ne_u32_e64 s[10:11], v4, v38
	s_mov_b64 s[4:5], -1
.LBB211_59:
                                        ; implicit-def: $sgpr12
	s_branch .LBB211_114
.LBB211_60:
                                        ; implicit-def: $sgpr10_sgpr11
                                        ; implicit-def: $vgpr60
                                        ; implicit-def: $vgpr27
                                        ; implicit-def: $vgpr26
                                        ; implicit-def: $vgpr29
                                        ; implicit-def: $vgpr28
                                        ; implicit-def: $vgpr31
                                        ; implicit-def: $vgpr30
                                        ; implicit-def: $vgpr33
                                        ; implicit-def: $vgpr32
                                        ; implicit-def: $vgpr35
                                        ; implicit-def: $vgpr34
                                        ; implicit-def: $vgpr37
                                        ; implicit-def: $vgpr36
                                        ; implicit-def: $vgpr39
                                        ; implicit-def: $sgpr12
	s_cbranch_execnz .LBB211_79
	s_branch .LBB211_114
.LBB211_61:
	v_add_co_u32_e32 v34, vcc, v4, v32
	v_addc_co_u32_e32 v35, vcc, 0, v5, vcc
	flat_load_dword v33, v[34:35]
	s_or_b64 exec, exec, s[34:35]
                                        ; implicit-def: $vgpr34
	s_and_saveexec_b64 s[34:35], s[4:5]
	s_cbranch_execz .LBB211_39
.LBB211_62:
	v_add_co_u32_e32 v34, vcc, v4, v32
	v_addc_co_u32_e32 v35, vcc, 0, v5, vcc
	flat_load_dword v34, v[34:35] offset:1024
	s_or_b64 exec, exec, s[34:35]
                                        ; implicit-def: $vgpr35
	s_and_saveexec_b64 s[4:5], s[6:7]
	s_cbranch_execz .LBB211_40
.LBB211_63:
	v_add_co_u32_e32 v36, vcc, v4, v32
	v_addc_co_u32_e32 v37, vcc, 0, v5, vcc
	flat_load_dword v35, v[36:37] offset:2048
	s_or_b64 exec, exec, s[4:5]
                                        ; implicit-def: $vgpr36
	s_and_saveexec_b64 s[4:5], s[8:9]
	s_cbranch_execz .LBB211_41
.LBB211_64:
	v_add_co_u32_e32 v36, vcc, v4, v32
	v_addc_co_u32_e32 v37, vcc, 0, v5, vcc
	flat_load_dword v36, v[36:37] offset:3072
	s_or_b64 exec, exec, s[4:5]
                                        ; implicit-def: $vgpr37
	s_and_saveexec_b64 s[4:5], s[10:11]
	s_cbranch_execz .LBB211_42
.LBB211_65:
	v_lshlrev_b32_e32 v7, 2, v7
	v_add_co_u32_e32 v38, vcc, v4, v7
	v_addc_co_u32_e32 v39, vcc, 0, v5, vcc
	flat_load_dword v37, v[38:39]
	s_or_b64 exec, exec, s[4:5]
                                        ; implicit-def: $vgpr7
	s_and_saveexec_b64 s[4:5], s[12:13]
	s_cbranch_execz .LBB211_43
.LBB211_66:
	v_lshlrev_b32_e32 v7, 2, v8
	v_add_co_u32_e32 v38, vcc, v4, v7
	v_addc_co_u32_e32 v39, vcc, 0, v5, vcc
	flat_load_dword v7, v[38:39]
	s_or_b64 exec, exec, s[4:5]
                                        ; implicit-def: $vgpr8
	s_and_saveexec_b64 s[4:5], s[14:15]
	s_cbranch_execz .LBB211_44
.LBB211_67:
	v_lshlrev_b32_e32 v8, 2, v9
	v_add_co_u32_e32 v8, vcc, v4, v8
	v_addc_co_u32_e32 v9, vcc, 0, v5, vcc
	flat_load_dword v8, v[8:9]
	s_or_b64 exec, exec, s[4:5]
                                        ; implicit-def: $vgpr9
	s_and_saveexec_b64 s[4:5], s[16:17]
	s_cbranch_execz .LBB211_45
.LBB211_68:
	v_lshlrev_b32_e32 v9, 2, v10
	v_add_co_u32_e32 v38, vcc, v4, v9
	v_addc_co_u32_e32 v39, vcc, 0, v5, vcc
	flat_load_dword v9, v[38:39]
	s_or_b64 exec, exec, s[4:5]
                                        ; implicit-def: $vgpr10
	s_and_saveexec_b64 s[4:5], s[18:19]
	s_cbranch_execz .LBB211_46
.LBB211_69:
	v_lshlrev_b32_e32 v10, 2, v11
	v_add_co_u32_e32 v10, vcc, v4, v10
	v_addc_co_u32_e32 v11, vcc, 0, v5, vcc
	flat_load_dword v10, v[10:11]
	s_or_b64 exec, exec, s[4:5]
                                        ; implicit-def: $vgpr11
	s_and_saveexec_b64 s[4:5], s[20:21]
	s_cbranch_execz .LBB211_47
.LBB211_70:
	v_lshlrev_b32_e32 v11, 2, v26
	v_add_co_u32_e32 v38, vcc, v4, v11
	v_addc_co_u32_e32 v39, vcc, 0, v5, vcc
	flat_load_dword v11, v[38:39]
	s_or_b64 exec, exec, s[4:5]
                                        ; implicit-def: $vgpr38
	s_and_saveexec_b64 s[4:5], s[22:23]
	s_cbranch_execz .LBB211_48
.LBB211_71:
	v_lshlrev_b32_e32 v26, 2, v27
	v_add_co_u32_e32 v26, vcc, v4, v26
	v_addc_co_u32_e32 v27, vcc, 0, v5, vcc
	flat_load_dword v38, v[26:27]
	s_or_b64 exec, exec, s[4:5]
                                        ; implicit-def: $vgpr27
	s_and_saveexec_b64 s[4:5], s[24:25]
	s_cbranch_execz .LBB211_49
.LBB211_72:
	v_lshlrev_b32_e32 v26, 2, v28
	v_add_co_u32_e32 v26, vcc, v4, v26
	v_addc_co_u32_e32 v27, vcc, 0, v5, vcc
	flat_load_dword v27, v[26:27]
	s_or_b64 exec, exec, s[4:5]
                                        ; implicit-def: $vgpr28
	s_and_saveexec_b64 s[4:5], s[26:27]
	s_cbranch_execz .LBB211_50
.LBB211_73:
	v_lshlrev_b32_e32 v26, 2, v29
	v_add_co_u32_e32 v28, vcc, v4, v26
	v_addc_co_u32_e32 v29, vcc, 0, v5, vcc
	flat_load_dword v28, v[28:29]
	s_or_b64 exec, exec, s[4:5]
                                        ; implicit-def: $vgpr29
	s_and_saveexec_b64 s[4:5], s[28:29]
	s_cbranch_execz .LBB211_51
.LBB211_74:
	v_lshlrev_b32_e32 v26, 2, v30
	v_add_co_u32_e32 v40, vcc, v4, v26
	v_addc_co_u32_e32 v41, vcc, 0, v5, vcc
	flat_load_dword v29, v[40:41]
	s_or_b64 exec, exec, s[4:5]
                                        ; implicit-def: $vgpr30
	s_and_saveexec_b64 s[4:5], s[30:31]
	s_cbranch_execnz .LBB211_52
	s_branch .LBB211_53
.LBB211_75:
                                        ; implicit-def: $sgpr10_sgpr11
                                        ; implicit-def: $vgpr60
                                        ; implicit-def: $vgpr27
                                        ; implicit-def: $vgpr26
                                        ; implicit-def: $vgpr29
                                        ; implicit-def: $vgpr28
                                        ; implicit-def: $vgpr31
                                        ; implicit-def: $vgpr30
                                        ; implicit-def: $vgpr33
                                        ; implicit-def: $vgpr32
                                        ; implicit-def: $vgpr35
                                        ; implicit-def: $vgpr34
                                        ; implicit-def: $vgpr37
                                        ; implicit-def: $vgpr36
                                        ; implicit-def: $vgpr39
	s_cbranch_execz .LBB211_59
; %bb.76:
	v_cvt_i32_f32_e32 v5, v13
	v_cvt_i32_f32_e32 v7, v12
	s_mov_b32 s12, 0x66666667
	v_cvt_i32_f32_e32 v11, v16
	v_mul_hi_i32 v5, v5, s12
	v_lshrrev_b32_e32 v6, 31, v5
	v_ashrrev_i32_e32 v5, 2, v5
	v_add_u32_e32 v6, v5, v6
	v_cvt_i32_f32_e32 v5, v1
	v_mul_hi_i32 v7, v7, s12
	v_lshrrev_b32_e32 v8, 31, v7
	v_ashrrev_i32_e32 v7, 2, v7
	v_add_u32_e32 v7, v7, v8
	;; [unrolled: 5-line block ×3, first 2 shown]
	v_mul_hi_i32 v5, v8, s12
	v_cvt_i32_f32_e32 v8, v17
	v_lshrrev_b32_e32 v10, 31, v5
	v_ashrrev_i32_e32 v5, 2, v5
	v_add_u32_e32 v10, v5, v10
	v_mul_hi_i32 v5, v8, s12
	v_lshrrev_b32_e32 v8, 31, v5
	v_ashrrev_i32_e32 v5, 2, v5
	v_add_u32_e32 v8, v5, v8
	v_cvt_i32_f32_e32 v5, v14
	v_mul_hi_i32 v11, v11, s12
	v_lshrrev_b32_e32 v26, 31, v11
	v_ashrrev_i32_e32 v11, 2, v11
	v_add_u32_e32 v11, v11, v26
	v_cvt_i32_f32_e32 v26, v19
	v_mul_hi_i32 v5, v5, s12
	v_lshrrev_b32_e32 v27, 31, v5
	v_ashrrev_i32_e32 v5, 2, v5
	v_add_u32_e32 v27, v5, v27
	v_mul_hi_i32 v5, v26, s12
	v_cvt_i32_f32_e32 v26, v21
	v_cvt_i32_f32_e32 v29, v20
	v_lshrrev_b32_e32 v28, 31, v5
	v_ashrrev_i32_e32 v5, 2, v5
	v_add_u32_e32 v28, v5, v28
	v_mul_hi_i32 v5, v26, s12
	v_lshrrev_b32_e32 v26, 31, v5
	v_ashrrev_i32_e32 v5, 2, v5
	v_add_u32_e32 v26, v5, v26
	v_cvt_i32_f32_e32 v5, v18
	v_mul_hi_i32 v29, v29, s12
	v_lshrrev_b32_e32 v30, 31, v29
	v_ashrrev_i32_e32 v29, 2, v29
	v_add_u32_e32 v29, v29, v30
	v_cvt_i32_f32_e32 v30, v23
	v_mul_hi_i32 v5, v5, s12
	v_lshrrev_b32_e32 v31, 31, v5
	v_ashrrev_i32_e32 v5, 2, v5
	v_add_u32_e32 v31, v5, v31
	v_mul_hi_i32 v5, v30, s12
	v_cvt_i32_f32_e32 v30, v25
	v_cvt_i32_f32_e32 v33, v24
	v_lshrrev_b32_e32 v32, 31, v5
	v_ashrrev_i32_e32 v5, 2, v5
	v_add_u32_e32 v32, v5, v32
	v_mul_hi_i32 v5, v30, s12
	v_cvt_i32_f32_e32 v34, v22
	v_lshrrev_b32_e32 v30, 31, v5
	v_ashrrev_i32_e32 v5, 2, v5
	v_add_u32_e32 v30, v5, v30
	v_mul_hi_i32 v5, v33, s12
	v_lshrrev_b32_e32 v33, 31, v5
	v_ashrrev_i32_e32 v5, 2, v5
	v_add_u32_e32 v5, v5, v33
	v_mul_hi_i32 v33, v34, s12
	v_lshrrev_b32_e32 v34, 31, v33
	v_ashrrev_i32_e32 v33, 2, v33
	v_add_u32_e32 v33, v33, v34
	v_cmp_ne_u32_e32 vcc, v30, v5
	v_cndmask_b32_e64 v39, 0, 1, vcc
	v_cmp_ne_u32_e32 vcc, v30, v33
	v_cndmask_b32_e64 v36, 0, 1, vcc
	;; [unrolled: 2-line block ×13, first 2 shown]
	v_cmp_ne_u32_e32 vcc, v6, v9
	v_lshlrev_b32_e32 v4, 2, v0
	v_cndmask_b32_e64 v60, 0, 1, vcc
	ds_write_b32 v4, v1
	s_waitcnt lgkmcnt(0)
	s_barrier
	s_waitcnt lgkmcnt(0)
                                        ; implicit-def: $sgpr10_sgpr11
	s_and_saveexec_b64 s[6:7], s[2:3]
	s_xor_b64 s[6:7], exec, s[6:7]
	s_cbranch_execz .LBB211_78
; %bb.77:
	v_add_u32_e32 v4, -4, v4
	ds_read_b32 v4, v4
	s_or_b64 s[4:5], s[4:5], exec
	s_waitcnt lgkmcnt(0)
	v_cvt_i32_f32_e32 v4, v4
	v_mul_hi_i32 v4, v4, s12
	v_lshrrev_b32_e32 v6, 31, v4
	v_ashrrev_i32_e32 v4, 2, v4
	v_add_u32_e32 v4, v4, v6
	v_cmp_ne_u32_e32 vcc, v4, v5
	s_and_b64 s[10:11], vcc, exec
.LBB211_78:
	s_or_b64 exec, exec, s[6:7]
	s_mov_b32 s12, 1
	s_branch .LBB211_114
.LBB211_79:
	s_mul_hi_u32 s7, s40, 0xfffff100
	s_mul_i32 s6, s41, 0xfffff100
	s_sub_i32 s7, s7, s40
	s_add_i32 s7, s7, s6
	s_mul_i32 s6, s40, 0xfffff100
	s_add_u32 s6, s6, s56
	s_addc_u32 s7, s7, s57
	s_and_b64 vcc, exec, s[8:9]
	s_cbranch_vccz .LBB211_223
; %bb.80:
	v_add_co_u32_e32 v2, vcc, -4, v2
	v_addc_co_u32_e32 v3, vcc, -1, v3, vcc
	flat_load_dword v4, v[2:3]
	v_mad_u32_u24 v26, v0, 15, 14
	v_mov_b32_e32 v27, 0
	v_lshlrev_b32_e32 v3, 2, v0
	v_mul_u32_u24_e32 v2, 15, v0
	v_cmp_gt_u64_e32 vcc, s[6:7], v[26:27]
	v_mov_b32_e32 v60, 0
	ds_write_b32 v3, v1
	s_and_saveexec_b64 s[4:5], vcc
	s_cbranch_execz .LBB211_82
; %bb.81:
	v_cvt_i32_f32_e32 v5, v13
	v_cvt_i32_f32_e32 v6, v1
	s_mov_b32 s8, 0x66666667
	v_mul_hi_i32 v5, v5, s8
	v_lshrrev_b32_e32 v7, 31, v5
	v_ashrrev_i32_e32 v5, 2, v5
	v_mul_hi_i32 v6, v6, s8
	v_add_u32_e32 v5, v5, v7
	v_lshrrev_b32_e32 v7, 31, v6
	v_ashrrev_i32_e32 v6, 2, v6
	v_add_u32_e32 v6, v6, v7
	v_cmp_ne_u32_e32 vcc, v5, v6
	v_cndmask_b32_e64 v60, 0, 1, vcc
.LBB211_82:
	s_or_b64 exec, exec, s[4:5]
	v_add_u32_e32 v26, 13, v2
	v_cmp_gt_u64_e32 vcc, s[6:7], v[26:27]
	s_and_saveexec_b64 s[4:5], vcc
	s_cbranch_execz .LBB211_84
; %bb.83:
	v_cvt_i32_f32_e32 v5, v12
	v_cvt_i32_f32_e32 v6, v13
	s_mov_b32 s8, 0x66666667
	v_mul_hi_i32 v5, v5, s8
	v_lshrrev_b32_e32 v7, 31, v5
	v_ashrrev_i32_e32 v5, 2, v5
	v_mul_hi_i32 v6, v6, s8
	v_add_u32_e32 v5, v5, v7
	v_lshrrev_b32_e32 v7, 31, v6
	v_ashrrev_i32_e32 v6, 2, v6
	v_add_u32_e32 v6, v6, v7
	v_cmp_ne_u32_e32 vcc, v5, v6
	v_cndmask_b32_e64 v27, 0, 1, vcc
.LBB211_84:
	s_or_b64 exec, exec, s[4:5]
	v_add_u32_e32 v28, 12, v2
	v_mov_b32_e32 v29, 0
	v_cmp_gt_u64_e32 vcc, s[6:7], v[28:29]
	v_mov_b32_e32 v26, 0
	s_and_saveexec_b64 s[4:5], vcc
	s_cbranch_execz .LBB211_86
; %bb.85:
	v_cvt_i32_f32_e32 v5, v15
	v_cvt_i32_f32_e32 v6, v12
	s_mov_b32 s8, 0x66666667
	v_mul_hi_i32 v5, v5, s8
	v_lshrrev_b32_e32 v7, 31, v5
	v_ashrrev_i32_e32 v5, 2, v5
	v_mul_hi_i32 v6, v6, s8
	v_add_u32_e32 v5, v5, v7
	v_lshrrev_b32_e32 v7, 31, v6
	v_ashrrev_i32_e32 v6, 2, v6
	v_add_u32_e32 v6, v6, v7
	v_cmp_ne_u32_e32 vcc, v5, v6
	v_cndmask_b32_e64 v26, 0, 1, vcc
.LBB211_86:
	s_or_b64 exec, exec, s[4:5]
	v_add_u32_e32 v28, 11, v2
	v_cmp_gt_u64_e32 vcc, s[6:7], v[28:29]
	s_and_saveexec_b64 s[4:5], vcc
	s_cbranch_execz .LBB211_88
; %bb.87:
	v_cvt_i32_f32_e32 v5, v14
	v_cvt_i32_f32_e32 v6, v15
	s_mov_b32 s8, 0x66666667
	v_mul_hi_i32 v5, v5, s8
	v_lshrrev_b32_e32 v7, 31, v5
	v_ashrrev_i32_e32 v5, 2, v5
	v_mul_hi_i32 v6, v6, s8
	v_add_u32_e32 v5, v5, v7
	v_lshrrev_b32_e32 v7, 31, v6
	v_ashrrev_i32_e32 v6, 2, v6
	v_add_u32_e32 v6, v6, v7
	v_cmp_ne_u32_e32 vcc, v5, v6
	v_cndmask_b32_e64 v29, 0, 1, vcc
.LBB211_88:
	s_or_b64 exec, exec, s[4:5]
	v_add_u32_e32 v30, 10, v2
	v_mov_b32_e32 v31, 0
	v_cmp_gt_u64_e32 vcc, s[6:7], v[30:31]
	v_mov_b32_e32 v28, 0
	;; [unrolled: 42-line block ×6, first 2 shown]
	s_and_saveexec_b64 s[4:5], vcc
	s_cbranch_execz .LBB211_106
; %bb.105:
	v_cvt_i32_f32_e32 v5, v25
	v_cvt_i32_f32_e32 v6, v22
	s_mov_b32 s8, 0x66666667
	v_mul_hi_i32 v5, v5, s8
	v_lshrrev_b32_e32 v7, 31, v5
	v_ashrrev_i32_e32 v5, 2, v5
	v_mul_hi_i32 v6, v6, s8
	v_add_u32_e32 v5, v5, v7
	v_lshrrev_b32_e32 v7, 31, v6
	v_ashrrev_i32_e32 v6, 2, v6
	v_add_u32_e32 v6, v6, v7
	v_cmp_ne_u32_e32 vcc, v5, v6
	v_cndmask_b32_e64 v36, 0, 1, vcc
.LBB211_106:
	s_or_b64 exec, exec, s[4:5]
	v_add_u32_e32 v38, 1, v2
	v_cmp_gt_u64_e32 vcc, s[6:7], v[38:39]
	s_and_saveexec_b64 s[4:5], vcc
	s_cbranch_execz .LBB211_108
; %bb.107:
	v_cvt_i32_f32_e32 v5, v24
	v_cvt_i32_f32_e32 v6, v25
	s_mov_b32 s8, 0x66666667
	v_mul_hi_i32 v5, v5, s8
	v_lshrrev_b32_e32 v7, 31, v5
	v_ashrrev_i32_e32 v5, 2, v5
	v_mul_hi_i32 v6, v6, s8
	v_add_u32_e32 v5, v5, v7
	v_lshrrev_b32_e32 v7, 31, v6
	v_ashrrev_i32_e32 v6, 2, v6
	v_add_u32_e32 v6, v6, v7
	v_cmp_ne_u32_e32 vcc, v5, v6
	v_cndmask_b32_e64 v39, 0, 1, vcc
.LBB211_108:
	s_or_b64 exec, exec, s[4:5]
	s_waitcnt lgkmcnt(0)
	s_barrier
	s_and_saveexec_b64 s[4:5], s[2:3]
	s_cbranch_execz .LBB211_110
; %bb.109:
	v_add_u32_e32 v3, -4, v3
	s_waitcnt vmcnt(0)
	ds_read_b32 v4, v3
.LBB211_110:
	s_or_b64 exec, exec, s[4:5]
	v_mov_b32_e32 v3, 0
	v_cmp_gt_u64_e32 vcc, s[6:7], v[2:3]
	s_mov_b64 s[8:9], 0
	s_mov_b64 s[10:11], 0
	s_and_saveexec_b64 s[4:5], vcc
	s_cbranch_execz .LBB211_112
; %bb.111:
	s_waitcnt vmcnt(0) lgkmcnt(0)
	v_cvt_i32_f32_e32 v2, v4
	v_cvt_i32_f32_e32 v3, v24
	s_mov_b32 s10, 0x66666667
	v_mul_hi_i32 v2, v2, s10
	v_lshrrev_b32_e32 v4, 31, v2
	v_ashrrev_i32_e32 v2, 2, v2
	v_mul_hi_i32 v3, v3, s10
	v_add_u32_e32 v2, v2, v4
	v_lshrrev_b32_e32 v4, 31, v3
	v_ashrrev_i32_e32 v3, 2, v3
	v_add_u32_e32 v3, v3, v4
	v_cmp_ne_u32_e32 vcc, v2, v3
	s_and_b64 s[10:11], vcc, exec
.LBB211_112:
	s_or_b64 exec, exec, s[4:5]
	s_mov_b64 s[4:5], -1
	s_and_b64 vcc, exec, s[8:9]
	s_cbranch_vccnz .LBB211_224
.LBB211_113:
                                        ; implicit-def: $sgpr12
.LBB211_114:
	v_mov_b32_e32 v62, s12
	s_and_saveexec_b64 s[2:3], s[4:5]
.LBB211_115:
	v_cndmask_b32_e64 v62, 0, 1, s[10:11]
.LBB211_116:
	s_or_b64 exec, exec, s[2:3]
	s_cmp_eq_u64 s[46:47], 0
	v_add3_u32 v2, v39, v62, v36
	s_cselect_b64 s[34:35], -1, 0
	s_cmp_lg_u32 s62, 0
	v_add_f32_e32 v76, v50, v52
	v_cmp_eq_u32_e64 s[26:27], 0, v39
	v_cmp_eq_u32_e64 s[24:25], 0, v36
	;; [unrolled: 1-line block ×3, first 2 shown]
	v_add3_u32 v75, v2, v37, v34
	v_cmp_eq_u32_e64 s[22:23], 0, v34
	v_cmp_eq_u32_e64 s[18:19], 0, v35
	;; [unrolled: 1-line block ×10, first 2 shown]
	v_cmp_eq_u32_e32 vcc, 0, v60
	v_mbcnt_lo_u32_b32 v74, -1, 0
	v_lshrrev_b32_e32 v72, 6, v0
	v_or_b32_e32 v73, 63, v0
	s_cbranch_scc0 .LBB211_147
; %bb.117:
	v_cndmask_b32_e64 v2, v52, v76, s[26:27]
	v_add_f32_e32 v2, v51, v2
	v_cndmask_b32_e64 v2, v51, v2, s[24:25]
	v_add_f32_e32 v2, v53, v2
	;; [unrolled: 2-line block ×11, first 2 shown]
	v_cndmask_b32_e64 v2, v40, v2, s[4:5]
	v_add3_u32 v3, v75, v35, v32
	v_add_f32_e32 v2, v61, v2
	v_add3_u32 v3, v3, v33, v30
	v_cndmask_b32_e64 v2, v61, v2, s[2:3]
	v_add3_u32 v3, v3, v31, v28
	v_add_f32_e32 v2, v41, v2
	v_add3_u32 v3, v3, v29, v26
	v_cndmask_b32_e32 v2, v41, v2, vcc
	v_add3_u32 v3, v3, v27, v60
	v_mbcnt_hi_u32_b32 v57, -1, v74
	v_mov_b32_dpp v6, v2 row_shr:1 row_mask:0xf bank_mask:0xf
	s_waitcnt vmcnt(0) lgkmcnt(0)
	v_and_b32_e32 v4, 15, v57
	v_add_f32_e32 v6, v2, v6
	v_cmp_eq_u32_e32 vcc, 0, v3
	v_mov_b32_dpp v5, v3 row_shr:1 row_mask:0xf bank_mask:0xf
	v_cndmask_b32_e32 v6, v2, v6, vcc
	v_cmp_eq_u32_e32 vcc, 0, v4
	v_cndmask_b32_e64 v5, v5, 0, vcc
	v_cndmask_b32_e32 v2, v6, v2, vcc
	v_add_u32_e32 v3, v5, v3
	v_cmp_eq_u32_e32 vcc, 0, v3
	v_mov_b32_dpp v6, v2 row_shr:2 row_mask:0xf bank_mask:0xf
	v_add_f32_e32 v6, v2, v6
	v_mov_b32_dpp v5, v3 row_shr:2 row_mask:0xf bank_mask:0xf
	v_cndmask_b32_e32 v6, v2, v6, vcc
	v_cmp_lt_u32_e32 vcc, 1, v4
	v_cndmask_b32_e32 v2, v2, v6, vcc
	v_cndmask_b32_e32 v5, 0, v5, vcc
	v_add_u32_e32 v3, v3, v5
	v_mov_b32_dpp v6, v2 row_shr:4 row_mask:0xf bank_mask:0xf
	v_add_f32_e32 v6, v2, v6
	v_cmp_eq_u32_e32 vcc, 0, v3
	v_mov_b32_dpp v5, v3 row_shr:4 row_mask:0xf bank_mask:0xf
	v_cndmask_b32_e32 v6, v2, v6, vcc
	v_cmp_lt_u32_e32 vcc, 3, v4
	v_cndmask_b32_e32 v2, v2, v6, vcc
	v_cndmask_b32_e32 v5, 0, v5, vcc
	v_add_u32_e32 v3, v5, v3
	v_mov_b32_dpp v6, v2 row_shr:8 row_mask:0xf bank_mask:0xf
	v_add_f32_e32 v6, v2, v6
	v_cmp_eq_u32_e32 vcc, 0, v3
	v_mov_b32_dpp v5, v3 row_shr:8 row_mask:0xf bank_mask:0xf
	v_cndmask_b32_e32 v6, v2, v6, vcc
	v_cmp_lt_u32_e32 vcc, 7, v4
	v_cndmask_b32_e32 v2, v2, v6, vcc
	v_cndmask_b32_e32 v4, 0, v5, vcc
	v_add_u32_e32 v3, v4, v3
	v_mov_b32_dpp v5, v2 row_bcast:15 row_mask:0xf bank_mask:0xf
	v_bfe_i32 v6, v57, 4, 1
	v_mov_b32_dpp v4, v3 row_bcast:15 row_mask:0xf bank_mask:0xf
	v_and_b32_e32 v7, 16, v57
	v_add_f32_e32 v5, v2, v5
	v_cmp_eq_u32_e32 vcc, 0, v3
	v_cndmask_b32_e32 v5, v2, v5, vcc
	v_and_b32_e32 v4, v6, v4
	v_cmp_eq_u32_e32 vcc, 0, v7
	v_add_u32_e32 v4, v4, v3
	v_cndmask_b32_e32 v3, v5, v2, vcc
	v_cmp_eq_u32_e32 vcc, 0, v4
	v_mov_b32_dpp v2, v4 row_bcast:31 row_mask:0xf bank_mask:0xf
	v_mov_b32_dpp v5, v3 row_bcast:31 row_mask:0xf bank_mask:0xf
	v_add_f32_e32 v5, v3, v5
	v_cndmask_b32_e32 v6, v3, v5, vcc
	v_cmp_lt_u32_e32 vcc, 31, v57
	v_cndmask_b32_e32 v2, 0, v2, vcc
	v_add_u32_e32 v2, v2, v4
	v_cmp_eq_u32_e64 s[28:29], v73, v0
	v_lshlrev_b32_e32 v5, 3, v72
	v_cndmask_b32_e32 v4, v3, v6, vcc
	s_and_saveexec_b64 s[30:31], s[28:29]
	s_cbranch_execz .LBB211_119
; %bb.118:
	v_cndmask_b32_e32 v3, v3, v6, vcc
	ds_write_b64 v5, v[2:3] offset:2064
.LBB211_119:
	s_or_b64 exec, exec, s[30:31]
	v_cmp_gt_u32_e32 vcc, 4, v0
	s_waitcnt lgkmcnt(0)
	s_barrier
	s_and_saveexec_b64 s[30:31], vcc
	s_cbranch_execz .LBB211_121
; %bb.120:
	v_lshlrev_b32_e32 v3, 3, v0
	ds_read_b64 v[6:7], v3 offset:2064
	v_and_b32_e32 v8, 3, v57
	v_cmp_lt_u32_e64 s[28:29], 1, v8
	s_waitcnt lgkmcnt(0)
	v_mov_b32_dpp v10, v7 row_shr:1 row_mask:0xf bank_mask:0xf
	v_add_f32_e32 v10, v7, v10
	v_cmp_eq_u32_e32 vcc, 0, v6
	v_mov_b32_dpp v9, v6 row_shr:1 row_mask:0xf bank_mask:0xf
	v_cndmask_b32_e32 v10, v7, v10, vcc
	v_cmp_eq_u32_e32 vcc, 0, v8
	v_cndmask_b32_e64 v9, v9, 0, vcc
	v_add_u32_e32 v6, v9, v6
	v_cndmask_b32_e32 v7, v10, v7, vcc
	v_cmp_eq_u32_e32 vcc, 0, v6
	v_mov_b32_dpp v9, v6 row_shr:2 row_mask:0xf bank_mask:0xf
	v_mov_b32_dpp v10, v7 row_shr:2 row_mask:0xf bank_mask:0xf
	v_add_f32_e32 v10, v7, v10
	v_cndmask_b32_e64 v8, 0, v9, s[28:29]
	s_and_b64 vcc, s[28:29], vcc
	v_add_u32_e32 v6, v8, v6
	v_cndmask_b32_e32 v7, v7, v10, vcc
	ds_write_b64 v3, v[6:7] offset:2064
.LBB211_121:
	s_or_b64 exec, exec, s[30:31]
	v_cmp_gt_u32_e32 vcc, 64, v0
	v_cmp_lt_u32_e64 s[28:29], 63, v0
	v_mov_b32_e32 v54, 0
	v_mov_b32_e32 v55, 0
	s_waitcnt lgkmcnt(0)
	s_barrier
	s_and_saveexec_b64 s[30:31], s[28:29]
	s_cbranch_execz .LBB211_123
; %bb.122:
	ds_read_b64 v[54:55], v5 offset:2056
	v_cmp_eq_u32_e64 s[28:29], 0, v2
	s_waitcnt lgkmcnt(0)
	v_add_u32_e32 v3, v54, v2
	v_add_f32_e32 v5, v4, v55
	v_cndmask_b32_e64 v4, v4, v5, s[28:29]
	v_mov_b32_e32 v2, v3
.LBB211_123:
	s_or_b64 exec, exec, s[30:31]
	v_add_u32_e32 v3, -1, v57
	v_and_b32_e32 v5, 64, v57
	v_cmp_lt_i32_e64 s[28:29], v3, v5
	v_cndmask_b32_e64 v3, v3, v57, s[28:29]
	v_lshlrev_b32_e32 v3, 2, v3
	ds_bpermute_b32 v38, v3, v2
	ds_bpermute_b32 v63, v3, v4
	v_cmp_eq_u32_e64 s[28:29], 0, v57
	s_and_saveexec_b64 s[40:41], vcc
	s_cbranch_execz .LBB211_146
; %bb.124:
	v_mov_b32_e32 v11, 0
	ds_read_b64 v[2:3], v11 offset:2088
	s_waitcnt lgkmcnt(0)
	v_readfirstlane_b32 s48, v3
	s_and_saveexec_b64 s[30:31], s[28:29]
	s_cbranch_execz .LBB211_126
; %bb.125:
	s_add_i32 s46, s62, 64
	s_mov_b32 s47, 0
	s_lshl_b64 s[50:51], s[46:47], 4
	s_add_u32 s50, s44, s50
	s_addc_u32 s51, s45, s51
	s_and_b32 s57, s48, 0xff000000
	s_mov_b32 s56, s47
	s_and_b32 s65, s48, 0xff0000
	s_mov_b32 s64, s47
	s_or_b64 s[56:57], s[64:65], s[56:57]
	s_and_b32 s65, s48, 0xff00
	s_or_b64 s[56:57], s[56:57], s[64:65]
	s_and_b32 s65, s48, 0xff
	s_or_b64 s[46:47], s[56:57], s[64:65]
	v_mov_b32_e32 v9, s47
	v_mov_b32_e32 v10, 1
	;; [unrolled: 1-line block ×3, first 2 shown]
	v_pk_mov_b32 v[4:5], s[50:51], s[50:51] op_sel:[0,1]
	;;#ASMSTART
	global_store_dwordx4 v[4:5], v[8:11] off	
s_waitcnt vmcnt(0)
	;;#ASMEND
.LBB211_126:
	s_or_b64 exec, exec, s[30:31]
	v_xad_u32 v56, v57, -1, s62
	v_add_u32_e32 v10, 64, v56
	v_lshlrev_b64 v[4:5], 4, v[10:11]
	v_mov_b32_e32 v6, s45
	v_add_co_u32_e32 v4, vcc, s44, v4
	s_mov_b32 s30, 0x70605
	v_addc_co_u32_e32 v5, vcc, v6, v5, vcc
	;;#ASMSTART
	global_load_dwordx4 v[6:9], v[4:5] off glc	
s_waitcnt vmcnt(0)
	;;#ASMEND
	v_perm_b32 v59, v7, v8, s30
	s_mov_b32 s30, 0x1000706
	v_perm_b32 v64, v7, v8, s30
	s_mov_b32 s30, 0x2010007
	v_perm_b32 v65, v7, v8, s30
	v_lshlrev_b32_e32 v59, 8, v59
	s_mov_b32 s30, 0xc0c0500
	v_alignbit_b32 v9, v7, v6, 8
	v_alignbit_b32 v58, v7, v6, 16
	;; [unrolled: 1-line block ×3, first 2 shown]
	v_perm_b32 v7, v59, v7, s30
	v_lshlrev_b32_e32 v59, 16, v64
	v_and_b32_e32 v59, 0xff0000, v59
	v_lshlrev_b32_e32 v64, 24, v65
	v_or3_b32 v7, v7, v59, v64
	v_cmp_eq_u16_sdwa s[46:47], v8, v11 src0_sel:BYTE_0 src1_sel:DWORD
	s_and_saveexec_b64 s[30:31], s[46:47]
	s_cbranch_execz .LBB211_132
; %bb.127:
	s_mov_b32 s49, 1
	s_mov_b64 s[46:47], 0
	v_mov_b32_e32 v10, 0
.LBB211_128:                            ; =>This Loop Header: Depth=1
                                        ;     Child Loop BB211_129 Depth 2
	s_max_u32 s50, s49, 1
.LBB211_129:                            ;   Parent Loop BB211_128 Depth=1
                                        ; =>  This Inner Loop Header: Depth=2
	s_add_i32 s50, s50, -1
	s_cmp_eq_u32 s50, 0
	s_sleep 1
	s_cbranch_scc0 .LBB211_129
; %bb.130:                              ;   in Loop: Header=BB211_128 Depth=1
	s_cmp_lt_u32 s49, 32
	s_cselect_b64 s[50:51], -1, 0
	s_cmp_lg_u64 s[50:51], 0
	s_addc_u32 s49, s49, 0
	;;#ASMSTART
	global_load_dwordx4 v[6:9], v[4:5] off glc	
s_waitcnt vmcnt(0)
	;;#ASMEND
	v_cmp_ne_u16_sdwa s[50:51], v8, v10 src0_sel:BYTE_0 src1_sel:DWORD
	s_or_b64 s[46:47], s[50:51], s[46:47]
	s_andn2_b64 exec, exec, s[46:47]
	s_cbranch_execnz .LBB211_128
; %bb.131:
	s_or_b64 exec, exec, s[46:47]
	s_mov_b32 s46, 0x70605
	v_perm_b32 v4, v7, v8, s46
	s_mov_b32 s46, 0x1000706
	v_perm_b32 v5, v7, v8, s46
	;; [unrolled: 2-line block ×3, first 2 shown]
	v_lshlrev_b32_e32 v4, 8, v4
	s_mov_b32 s46, 0xc0c0500
	v_lshlrev_b32_e32 v5, 16, v5
	v_alignbit_b32 v9, v7, v6, 8
	v_alignbit_b32 v58, v7, v6, 16
	v_alignbit_b32 v10, v7, v6, 24
	v_perm_b32 v4, v4, v7, s46
	v_lshlrev_b32_e32 v7, 24, v11
	v_and_b32_e32 v5, 0xff0000, v5
	v_or3_b32 v7, v4, v5, v7
.LBB211_132:
	s_or_b64 exec, exec, s[30:31]
	v_and_b32_e32 v65, 63, v57
	v_cmp_ne_u32_e32 vcc, 63, v65
	v_lshlrev_b32_e32 v5, 8, v9
	v_addc_co_u32_e32 v9, vcc, 0, v57, vcc
	v_lshlrev_b32_e32 v4, 16, v58
	s_mov_b32 s49, 0x4020c0c
	v_mov_b32_e32 v64, 2
	v_lshlrev_b32_e32 v66, 2, v9
	v_perm_b32 v4, v10, v4, s49
	v_and_b32_e32 v5, 0xff00, v5
	v_and_b32_e32 v6, 0xff, v6
	v_cmp_eq_u16_sdwa s[30:31], v8, v64 src0_sel:BYTE_0 src1_sel:DWORD
	v_lshlrev_b64 v[10:11], v57, -1
	ds_bpermute_b32 v9, v66, v7
	v_or3_b32 v4, v4, v5, v6
	v_and_b32_e32 v5, s31, v11
	v_or_b32_e32 v5, 0x80000000, v5
	v_and_b32_e32 v6, s30, v10
	v_ffbl_b32_e32 v5, v5
	v_add_u32_e32 v5, 32, v5
	v_ffbl_b32_e32 v6, v6
	v_min_u32_e32 v5, v6, v5
	s_waitcnt lgkmcnt(0)
	v_add_f32_e32 v9, v7, v9
	v_cmp_eq_u32_e32 vcc, 0, v4
	v_cndmask_b32_e32 v9, v7, v9, vcc
	v_cmp_lt_u32_e32 vcc, v65, v5
	v_cmp_gt_u32_e64 s[30:31], 62, v65
	v_cndmask_b32_e32 v7, v7, v9, vcc
	v_cndmask_b32_e64 v9, 0, 1, s[30:31]
	ds_bpermute_b32 v6, v66, v4
	v_lshlrev_b32_e32 v9, 1, v9
	v_add_lshl_u32 v67, v9, v57, 2
	ds_bpermute_b32 v9, v67, v7
	v_add_u32_e32 v68, 2, v65
	s_waitcnt lgkmcnt(1)
	v_cndmask_b32_e32 v6, 0, v6, vcc
	v_add_u32_e32 v4, v6, v4
	v_cmp_eq_u32_e32 vcc, 0, v4
	s_waitcnt lgkmcnt(0)
	v_add_f32_e32 v9, v7, v9
	v_cndmask_b32_e32 v9, v7, v9, vcc
	v_cmp_gt_u32_e32 vcc, v68, v5
	v_cmp_gt_u32_e64 s[30:31], 60, v65
	v_cndmask_b32_e32 v7, v9, v7, vcc
	v_cndmask_b32_e64 v9, 0, 1, s[30:31]
	ds_bpermute_b32 v6, v67, v4
	v_lshlrev_b32_e32 v9, 2, v9
	v_add_lshl_u32 v69, v9, v57, 2
	ds_bpermute_b32 v9, v69, v7
	v_add_u32_e32 v70, 4, v65
	s_waitcnt lgkmcnt(1)
	v_cndmask_b32_e64 v6, v6, 0, vcc
	v_add_u32_e32 v4, v4, v6
	v_cmp_eq_u32_e32 vcc, 0, v4
	s_waitcnt lgkmcnt(0)
	v_add_f32_e32 v9, v7, v9
	v_cndmask_b32_e32 v9, v7, v9, vcc
	v_cmp_gt_u32_e32 vcc, v70, v5
	v_cmp_gt_u32_e64 s[30:31], 56, v65
	v_cndmask_b32_e32 v7, v9, v7, vcc
	v_cndmask_b32_e64 v9, 0, 1, s[30:31]
	ds_bpermute_b32 v6, v69, v4
	v_lshlrev_b32_e32 v9, 3, v9
	v_add_lshl_u32 v71, v9, v57, 2
	ds_bpermute_b32 v9, v71, v7
	v_add_u32_e32 v77, 8, v65
	s_waitcnt lgkmcnt(1)
	v_cndmask_b32_e64 v6, v6, 0, vcc
	;; [unrolled: 16-line block ×3, first 2 shown]
	v_add_u32_e32 v4, v4, v6
	ds_bpermute_b32 v6, v78, v4
	s_waitcnt lgkmcnt(1)
	v_add_f32_e32 v9, v7, v9
	v_cmp_eq_u32_e32 vcc, 0, v4
	v_cndmask_b32_e32 v9, v7, v9, vcc
	v_cmp_gt_u32_e32 vcc, v79, v5
	v_cmp_gt_u32_e64 s[30:31], 32, v65
	v_cndmask_b32_e32 v7, v9, v7, vcc
	v_cndmask_b32_e64 v9, 0, 1, s[30:31]
	v_lshlrev_b32_e32 v9, 5, v9
	v_add_lshl_u32 v80, v9, v57, 2
	ds_bpermute_b32 v9, v80, v7
	s_waitcnt lgkmcnt(1)
	v_cndmask_b32_e64 v6, v6, 0, vcc
	v_add_u32_e32 v4, v4, v6
	ds_bpermute_b32 v6, v80, v4
	v_add_u32_e32 v81, 32, v65
	s_waitcnt lgkmcnt(1)
	v_add_f32_e32 v9, v7, v9
	v_cmp_eq_u32_e32 vcc, 0, v4
	v_cndmask_b32_e32 v9, v7, v9, vcc
	v_cmp_gt_u32_e32 vcc, v81, v5
	s_waitcnt lgkmcnt(0)
	v_cndmask_b32_e64 v5, v6, 0, vcc
	v_cndmask_b32_e32 v7, v9, v7, vcc
	v_add_u32_e32 v6, v5, v4
	v_mov_b32_e32 v57, 0
	s_mov_b32 s50, 0x70605
	s_mov_b32 s51, 0x1000706
	;; [unrolled: 1-line block ×4, first 2 shown]
	s_branch .LBB211_134
.LBB211_133:                            ;   in Loop: Header=BB211_134 Depth=1
	s_or_b64 exec, exec, s[30:31]
	v_lshlrev_b32_e32 v58, 16, v82
	v_lshlrev_b32_e32 v9, 8, v9
	v_perm_b32 v58, v83, v58, s49
	v_and_b32_e32 v9, 0xff00, v9
	v_and_b32_e32 v6, 0xff, v6
	v_cmp_eq_u16_sdwa s[30:31], v8, v64 src0_sel:BYTE_0 src1_sel:DWORD
	ds_bpermute_b32 v59, v66, v7
	v_or3_b32 v6, v58, v9, v6
	v_and_b32_e32 v9, s31, v11
	v_or_b32_e32 v9, 0x80000000, v9
	v_and_b32_e32 v58, s30, v10
	v_ffbl_b32_e32 v9, v9
	v_add_u32_e32 v9, 32, v9
	v_ffbl_b32_e32 v58, v58
	v_min_u32_e32 v9, v58, v9
	s_waitcnt lgkmcnt(0)
	v_add_f32_e32 v59, v7, v59
	v_cmp_eq_u32_e32 vcc, 0, v6
	ds_bpermute_b32 v58, v66, v6
	v_cndmask_b32_e32 v59, v7, v59, vcc
	v_cmp_lt_u32_e32 vcc, v65, v9
	v_cndmask_b32_e32 v7, v7, v59, vcc
	ds_bpermute_b32 v59, v67, v7
	s_waitcnt lgkmcnt(1)
	v_cndmask_b32_e32 v58, 0, v58, vcc
	v_add_u32_e32 v6, v58, v6
	v_cmp_eq_u32_e32 vcc, 0, v6
	ds_bpermute_b32 v58, v67, v6
	s_waitcnt lgkmcnt(1)
	v_add_f32_e32 v59, v7, v59
	v_cndmask_b32_e32 v59, v7, v59, vcc
	v_cmp_gt_u32_e32 vcc, v68, v9
	v_cndmask_b32_e32 v7, v59, v7, vcc
	ds_bpermute_b32 v59, v69, v7
	s_waitcnt lgkmcnt(1)
	v_cndmask_b32_e64 v58, v58, 0, vcc
	v_add_u32_e32 v6, v6, v58
	v_cmp_eq_u32_e32 vcc, 0, v6
	ds_bpermute_b32 v58, v69, v6
	s_waitcnt lgkmcnt(1)
	v_add_f32_e32 v59, v7, v59
	v_cndmask_b32_e32 v59, v7, v59, vcc
	v_cmp_gt_u32_e32 vcc, v70, v9
	v_cndmask_b32_e32 v7, v59, v7, vcc
	ds_bpermute_b32 v59, v71, v7
	s_waitcnt lgkmcnt(1)
	v_cndmask_b32_e64 v58, v58, 0, vcc
	v_add_u32_e32 v6, v6, v58
	ds_bpermute_b32 v58, v71, v6
	v_cmp_eq_u32_e32 vcc, 0, v6
	s_waitcnt lgkmcnt(1)
	v_add_f32_e32 v59, v7, v59
	v_cndmask_b32_e32 v59, v7, v59, vcc
	v_cmp_gt_u32_e32 vcc, v77, v9
	v_cndmask_b32_e32 v7, v59, v7, vcc
	ds_bpermute_b32 v59, v78, v7
	s_waitcnt lgkmcnt(1)
	v_cndmask_b32_e64 v58, v58, 0, vcc
	v_add_u32_e32 v6, v6, v58
	ds_bpermute_b32 v58, v78, v6
	v_cmp_eq_u32_e32 vcc, 0, v6
	;; [unrolled: 11-line block ×3, first 2 shown]
	s_waitcnt lgkmcnt(1)
	v_add_f32_e32 v59, v7, v59
	v_cndmask_b32_e32 v59, v7, v59, vcc
	v_cmp_gt_u32_e32 vcc, v81, v9
	v_cndmask_b32_e32 v7, v59, v7, vcc
	s_waitcnt lgkmcnt(0)
	v_cndmask_b32_e64 v9, v58, 0, vcc
	v_add_f32_e32 v7, v5, v7
	v_cmp_eq_u32_e32 vcc, 0, v4
	v_subrev_u32_e32 v56, 64, v56
	v_add3_u32 v6, v6, v4, v9
	v_cndmask_b32_e32 v7, v5, v7, vcc
.LBB211_134:                            ; =>This Loop Header: Depth=1
                                        ;     Child Loop BB211_137 Depth 2
                                        ;       Child Loop BB211_138 Depth 3
	v_cmp_ne_u16_sdwa s[30:31], v8, v64 src0_sel:BYTE_0 src1_sel:DWORD
	v_cndmask_b32_e64 v4, 0, 1, s[30:31]
	;;#ASMSTART
	;;#ASMEND
	v_cmp_ne_u32_e32 vcc, 0, v4
	v_mov_b32_e32 v5, v7
	s_cmp_lg_u64 vcc, exec
	v_mov_b32_e32 v4, v6
	s_cbranch_scc1 .LBB211_141
; %bb.135:                              ;   in Loop: Header=BB211_134 Depth=1
	v_lshlrev_b64 v[6:7], 4, v[56:57]
	v_mov_b32_e32 v8, s45
	v_add_co_u32_e32 v58, vcc, s44, v6
	v_addc_co_u32_e32 v59, vcc, v8, v7, vcc
	;;#ASMSTART
	global_load_dwordx4 v[6:9], v[58:59] off glc	
s_waitcnt vmcnt(0)
	;;#ASMEND
	v_perm_b32 v84, v7, v8, s50
	v_perm_b32 v85, v7, v8, s51
	v_lshlrev_b32_e32 v84, 8, v84
	v_alignbit_b32 v9, v7, v6, 8
	v_alignbit_b32 v82, v7, v6, 16
	;; [unrolled: 1-line block ×3, first 2 shown]
	v_perm_b32 v86, v7, v8, s56
	v_perm_b32 v7, v84, v7, s57
	v_lshlrev_b32_e32 v84, 16, v85
	v_and_b32_e32 v84, 0xff0000, v84
	v_lshlrev_b32_e32 v85, 24, v86
	v_or3_b32 v7, v7, v84, v85
	v_cmp_eq_u16_sdwa s[46:47], v8, v57 src0_sel:BYTE_0 src1_sel:DWORD
	s_and_saveexec_b64 s[30:31], s[46:47]
	s_cbranch_execz .LBB211_133
; %bb.136:                              ;   in Loop: Header=BB211_134 Depth=1
	s_mov_b32 s63, 1
	s_mov_b64 s[46:47], 0
.LBB211_137:                            ;   Parent Loop BB211_134 Depth=1
                                        ; =>  This Loop Header: Depth=2
                                        ;       Child Loop BB211_138 Depth 3
	s_max_u32 s64, s63, 1
.LBB211_138:                            ;   Parent Loop BB211_134 Depth=1
                                        ;     Parent Loop BB211_137 Depth=2
                                        ; =>    This Inner Loop Header: Depth=3
	s_add_i32 s64, s64, -1
	s_cmp_eq_u32 s64, 0
	s_sleep 1
	s_cbranch_scc0 .LBB211_138
; %bb.139:                              ;   in Loop: Header=BB211_137 Depth=2
	s_cmp_lt_u32 s63, 32
	s_cselect_b64 s[64:65], -1, 0
	s_cmp_lg_u64 s[64:65], 0
	s_addc_u32 s63, s63, 0
	;;#ASMSTART
	global_load_dwordx4 v[6:9], v[58:59] off glc	
s_waitcnt vmcnt(0)
	;;#ASMEND
	v_cmp_ne_u16_sdwa s[64:65], v8, v57 src0_sel:BYTE_0 src1_sel:DWORD
	s_or_b64 s[46:47], s[64:65], s[46:47]
	s_andn2_b64 exec, exec, s[46:47]
	s_cbranch_execnz .LBB211_137
; %bb.140:                              ;   in Loop: Header=BB211_134 Depth=1
	s_or_b64 exec, exec, s[46:47]
	v_perm_b32 v58, v7, v8, s50
	v_perm_b32 v59, v7, v8, s51
	v_lshlrev_b32_e32 v58, 8, v58
	v_alignbit_b32 v9, v7, v6, 8
	v_alignbit_b32 v82, v7, v6, 16
	v_alignbit_b32 v83, v7, v6, 24
	v_perm_b32 v84, v7, v8, s56
	v_perm_b32 v7, v58, v7, s57
	v_lshlrev_b32_e32 v58, 16, v59
	v_lshlrev_b32_e32 v59, 24, v84
	v_and_b32_e32 v58, 0xff0000, v58
	v_or3_b32 v7, v7, v58, v59
	s_branch .LBB211_133
.LBB211_141:                            ;   in Loop: Header=BB211_134 Depth=1
                                        ; implicit-def: $vgpr7
                                        ; implicit-def: $vgpr6
                                        ; implicit-def: $vgpr8
	s_cbranch_execz .LBB211_134
; %bb.142:
	s_and_saveexec_b64 s[30:31], s[28:29]
	s_cbranch_execz .LBB211_144
; %bb.143:
	s_mov_b32 s47, 0
	v_add_f32_e32 v7, s48, v5
	v_mov_b32_e32 v8, s48
	v_cmp_eq_u32_e32 vcc, 0, v2
	s_add_i32 s46, s62, 64
	v_cndmask_b32_e32 v7, v8, v7, vcc
	s_lshl_b64 s[46:47], s[46:47], 4
	s_add_u32 s46, s44, s46
	v_and_b32_e32 v8, 0xff000000, v7
	v_and_b32_e32 v10, 0xff0000, v7
	s_addc_u32 s47, s45, s47
	v_or_b32_e32 v8, v10, v8
	v_and_b32_e32 v10, 0xff00, v7
	v_and_b32_e32 v7, 0xff, v7
	v_add_u32_e32 v6, v4, v2
	v_mov_b32_e32 v9, 0
	v_or3_b32 v7, v8, v10, v7
	v_mov_b32_e32 v8, 2
	v_pk_mov_b32 v[10:11], s[46:47], s[46:47] op_sel:[0,1]
	;;#ASMSTART
	global_store_dwordx4 v[10:11], v[6:9] off	
s_waitcnt vmcnt(0)
	;;#ASMEND
	ds_write_b128 v9, v[2:5] offset:2048
.LBB211_144:
	s_or_b64 exec, exec, s[30:31]
	s_and_b64 exec, exec, s[0:1]
	s_cbranch_execz .LBB211_146
; %bb.145:
	v_mov_b32_e32 v2, 0
	ds_write_b64 v2, v[4:5] offset:2088
.LBB211_146:
	s_or_b64 exec, exec, s[40:41]
	v_mov_b32_e32 v4, 0
	s_waitcnt lgkmcnt(0)
	s_barrier
	ds_read_b64 v[2:3], v4 offset:2088
	v_cndmask_b32_e64 v5, v63, v55, s[28:29]
	v_cndmask_b32_e64 v6, v38, v54, s[28:29]
	v_cmp_eq_u32_e32 vcc, 0, v6
	s_waitcnt lgkmcnt(0)
	v_add_f32_e32 v7, v5, v3
	v_cndmask_b32_e32 v5, v5, v7, vcc
	v_cndmask_b32_e64 v71, v5, v3, s[0:1]
	v_cndmask_b32_e64 v3, v6, 0, s[0:1]
	v_add_u32_e32 v7, v2, v3
	v_add_f32_e32 v2, v50, v71
	v_cmp_eq_u32_e32 vcc, 0, v62
	v_cndmask_b32_e32 v70, v50, v2, vcc
	v_add_f32_e32 v2, v52, v70
	v_cndmask_b32_e64 v69, v52, v2, s[26:27]
	v_add_f32_e32 v2, v51, v69
	v_cndmask_b32_e64 v68, v51, v2, s[24:25]
	;; [unrolled: 2-line block ×11, first 2 shown]
	s_barrier
	ds_read_b128 v[2:5], v4 offset:2048
	v_add_f32_e32 v6, v40, v55
	v_cndmask_b32_e64 v54, v40, v6, s[4:5]
	v_add_f32_e32 v6, v61, v54
	v_cndmask_b32_e64 v57, v61, v6, s[2:3]
	s_waitcnt lgkmcnt(0)
	v_add_f32_e32 v5, v5, v3
	v_cmp_eq_u32_e32 vcc, 0, v2
	v_cndmask_b32_e32 v38, v3, v5, vcc
	v_mov_b32_e32 v6, v4
	v_mov_b32_e32 v5, v7
	s_branch .LBB211_159
.LBB211_147:
                                        ; implicit-def: $vgpr2
                                        ; implicit-def: $vgpr38
                                        ; implicit-def: $vgpr6
                                        ; implicit-def: $vgpr57
                                        ; implicit-def: $vgpr54
                                        ; implicit-def: $vgpr55
                                        ; implicit-def: $vgpr56
                                        ; implicit-def: $vgpr58
                                        ; implicit-def: $vgpr59
                                        ; implicit-def: $vgpr63
                                        ; implicit-def: $vgpr64
                                        ; implicit-def: $vgpr65
                                        ; implicit-def: $vgpr66
                                        ; implicit-def: $vgpr67
                                        ; implicit-def: $vgpr68
                                        ; implicit-def: $vgpr69
                                        ; implicit-def: $vgpr70
                                        ; implicit-def: $vgpr71
	s_cbranch_execz .LBB211_159
; %bb.148:
	s_and_b64 s[2:3], s[34:35], exec
	s_cselect_b32 s3, 0, s61
	s_cselect_b32 s2, 0, s60
	s_cmp_eq_u64 s[2:3], 0
	v_mov_b32_e32 v6, v50
	s_cbranch_scc1 .LBB211_150
; %bb.149:
	v_mov_b32_e32 v2, 0
	global_load_dword v6, v2, s[2:3]
.LBB211_150:
	v_cmp_eq_u32_e64 s[2:3], 0, v39
	v_cndmask_b32_e64 v2, v52, v76, s[2:3]
	v_add_f32_e32 v2, v51, v2
	v_cmp_eq_u32_e64 s[4:5], 0, v36
	v_cndmask_b32_e64 v2, v51, v2, s[4:5]
	v_add_f32_e32 v2, v53, v2
	;; [unrolled: 3-line block ×11, first 2 shown]
	v_cmp_eq_u32_e64 s[24:25], 0, v26
	v_cndmask_b32_e64 v2, v40, v2, s[24:25]
	v_add3_u32 v3, v75, v35, v32
	v_add_f32_e32 v2, v61, v2
	v_cmp_eq_u32_e32 vcc, 0, v27
	v_add3_u32 v3, v3, v33, v30
	v_cndmask_b32_e32 v2, v61, v2, vcc
	v_add3_u32 v3, v3, v31, v28
	v_add_f32_e32 v2, v41, v2
	v_cmp_eq_u32_e64 s[26:27], 0, v60
	v_add3_u32 v3, v3, v29, v26
	v_cndmask_b32_e64 v2, v41, v2, s[26:27]
	v_add3_u32 v3, v3, v27, v60
	v_mbcnt_hi_u32_b32 v7, -1, v74
	v_mov_b32_dpp v8, v2 row_shr:1 row_mask:0xf bank_mask:0xf
	s_waitcnt vmcnt(0) lgkmcnt(0)
	v_and_b32_e32 v4, 15, v7
	v_add_f32_e32 v8, v2, v8
	v_cmp_eq_u32_e64 s[26:27], 0, v3
	v_mov_b32_dpp v5, v3 row_shr:1 row_mask:0xf bank_mask:0xf
	v_cndmask_b32_e64 v8, v2, v8, s[26:27]
	v_cmp_eq_u32_e64 s[26:27], 0, v4
	v_cndmask_b32_e64 v5, v5, 0, s[26:27]
	v_cndmask_b32_e64 v2, v8, v2, s[26:27]
	v_add_u32_e32 v3, v5, v3
	v_cmp_eq_u32_e64 s[26:27], 0, v3
	v_mov_b32_dpp v8, v2 row_shr:2 row_mask:0xf bank_mask:0xf
	v_add_f32_e32 v8, v2, v8
	v_mov_b32_dpp v5, v3 row_shr:2 row_mask:0xf bank_mask:0xf
	v_cndmask_b32_e64 v8, v2, v8, s[26:27]
	v_cmp_lt_u32_e64 s[26:27], 1, v4
	v_cndmask_b32_e64 v2, v2, v8, s[26:27]
	v_cndmask_b32_e64 v5, 0, v5, s[26:27]
	v_add_u32_e32 v3, v3, v5
	v_mov_b32_dpp v8, v2 row_shr:4 row_mask:0xf bank_mask:0xf
	v_add_f32_e32 v8, v2, v8
	v_cmp_eq_u32_e64 s[26:27], 0, v3
	v_mov_b32_dpp v5, v3 row_shr:4 row_mask:0xf bank_mask:0xf
	v_cndmask_b32_e64 v8, v2, v8, s[26:27]
	v_cmp_lt_u32_e64 s[26:27], 3, v4
	v_cndmask_b32_e64 v2, v2, v8, s[26:27]
	v_cndmask_b32_e64 v5, 0, v5, s[26:27]
	v_add_u32_e32 v3, v5, v3
	v_mov_b32_dpp v8, v2 row_shr:8 row_mask:0xf bank_mask:0xf
	v_add_f32_e32 v8, v2, v8
	v_cmp_eq_u32_e64 s[26:27], 0, v3
	v_mov_b32_dpp v5, v3 row_shr:8 row_mask:0xf bank_mask:0xf
	v_cndmask_b32_e64 v8, v2, v8, s[26:27]
	v_cmp_lt_u32_e64 s[26:27], 7, v4
	v_cndmask_b32_e64 v2, v2, v8, s[26:27]
	v_cndmask_b32_e64 v4, 0, v5, s[26:27]
	v_add_u32_e32 v3, v4, v3
	v_mov_b32_dpp v5, v2 row_bcast:15 row_mask:0xf bank_mask:0xf
	v_bfe_i32 v8, v7, 4, 1
	v_mov_b32_dpp v4, v3 row_bcast:15 row_mask:0xf bank_mask:0xf
	v_and_b32_e32 v9, 16, v7
	v_add_f32_e32 v5, v2, v5
	v_cmp_eq_u32_e64 s[26:27], 0, v3
	v_cndmask_b32_e64 v5, v2, v5, s[26:27]
	v_and_b32_e32 v4, v8, v4
	v_cmp_eq_u32_e64 s[26:27], 0, v9
	v_add_u32_e32 v3, v4, v3
	v_cndmask_b32_e64 v4, v5, v2, s[26:27]
	v_cmp_eq_u32_e64 s[26:27], 0, v3
	v_mov_b32_dpp v2, v3 row_bcast:31 row_mask:0xf bank_mask:0xf
	v_mov_b32_dpp v5, v4 row_bcast:31 row_mask:0xf bank_mask:0xf
	v_add_f32_e32 v5, v4, v5
	v_cndmask_b32_e64 v5, v4, v5, s[26:27]
	v_cmp_lt_u32_e64 s[26:27], 31, v7
	v_cndmask_b32_e64 v2, 0, v2, s[26:27]
	v_add_u32_e32 v2, v2, v3
	v_cmp_eq_u32_e64 s[28:29], v73, v0
	v_cndmask_b32_e64 v3, v4, v5, s[26:27]
	s_and_saveexec_b64 s[26:27], s[28:29]
	s_cbranch_execz .LBB211_152
; %bb.151:
	v_lshlrev_b32_e32 v4, 3, v72
	ds_write_b64 v4, v[2:3] offset:2064
.LBB211_152:
	s_or_b64 exec, exec, s[26:27]
	v_cmp_gt_u32_e64 s[26:27], 4, v0
	s_waitcnt lgkmcnt(0)
	s_barrier
	s_and_saveexec_b64 s[30:31], s[26:27]
	s_cbranch_execz .LBB211_154
; %bb.153:
	v_lshlrev_b32_e32 v8, 3, v0
	ds_read_b64 v[4:5], v8 offset:2064
	v_and_b32_e32 v9, 3, v7
	v_cmp_lt_u32_e64 s[28:29], 1, v9
	s_waitcnt lgkmcnt(0)
	v_mov_b32_dpp v11, v5 row_shr:1 row_mask:0xf bank_mask:0xf
	v_add_f32_e32 v11, v5, v11
	v_cmp_eq_u32_e64 s[26:27], 0, v4
	v_mov_b32_dpp v10, v4 row_shr:1 row_mask:0xf bank_mask:0xf
	v_cndmask_b32_e64 v11, v5, v11, s[26:27]
	v_cmp_eq_u32_e64 s[26:27], 0, v9
	v_cndmask_b32_e64 v10, v10, 0, s[26:27]
	v_add_u32_e32 v4, v10, v4
	v_cndmask_b32_e64 v5, v11, v5, s[26:27]
	v_cmp_eq_u32_e64 s[26:27], 0, v4
	v_mov_b32_dpp v10, v4 row_shr:2 row_mask:0xf bank_mask:0xf
	v_mov_b32_dpp v11, v5 row_shr:2 row_mask:0xf bank_mask:0xf
	v_add_f32_e32 v11, v5, v11
	v_cndmask_b32_e64 v9, 0, v10, s[28:29]
	s_and_b64 s[26:27], s[28:29], s[26:27]
	v_add_u32_e32 v4, v9, v4
	v_cndmask_b32_e64 v5, v5, v11, s[26:27]
	ds_write_b64 v8, v[4:5] offset:2064
.LBB211_154:
	s_or_b64 exec, exec, s[30:31]
	v_cmp_lt_u32_e64 s[26:27], 63, v0
	v_mov_b32_e32 v8, 0
	v_mov_b32_e32 v4, 0
	;; [unrolled: 1-line block ×3, first 2 shown]
	s_waitcnt lgkmcnt(0)
	s_barrier
	s_and_saveexec_b64 s[28:29], s[26:27]
	s_cbranch_execz .LBB211_156
; %bb.155:
	v_lshlrev_b32_e32 v4, 3, v72
	ds_read_b64 v[4:5], v4 offset:2056
	s_waitcnt lgkmcnt(0)
	v_add_f32_e32 v9, v6, v5
	v_cmp_eq_u32_e64 s[26:27], 0, v4
	v_cndmask_b32_e64 v9, v5, v9, s[26:27]
.LBB211_156:
	s_or_b64 exec, exec, s[28:29]
	v_add_f32_e32 v10, v3, v9
	v_cmp_eq_u32_e64 s[26:27], 0, v2
	v_add_u32_e32 v5, v4, v2
	v_cndmask_b32_e64 v2, v3, v10, s[26:27]
	v_add_u32_e32 v3, -1, v7
	v_and_b32_e32 v10, 64, v7
	v_cmp_lt_i32_e64 s[26:27], v3, v10
	v_cndmask_b32_e64 v3, v3, v7, s[26:27]
	v_lshlrev_b32_e32 v3, 2, v3
	ds_bpermute_b32 v2, v3, v2
	ds_bpermute_b32 v5, v3, v5
	v_cmp_eq_u32_e64 s[26:27], 0, v7
	s_waitcnt lgkmcnt(1)
	v_cndmask_b32_e64 v71, v2, v9, s[26:27]
	v_cndmask_b32_e64 v2, v71, v6, s[0:1]
	s_waitcnt lgkmcnt(0)
	v_cndmask_b32_e64 v5, v5, v4, s[26:27]
	v_add_f32_e32 v2, v50, v2
	v_cmp_eq_u32_e64 s[26:27], 0, v62
	v_cndmask_b32_e64 v70, v50, v2, s[26:27]
	v_add_f32_e32 v2, v52, v70
	v_cndmask_b32_e64 v69, v52, v2, s[2:3]
	v_add_f32_e32 v2, v51, v69
	;; [unrolled: 2-line block ×10, first 2 shown]
	v_cndmask_b32_e64 v56, v45, v2, s[22:23]
	ds_read_b64 v[2:3], v8 offset:2088
	v_add_f32_e32 v4, v43, v56
	v_cndmask_b32_e64 v55, v43, v4, s[20:21]
	v_add_f32_e32 v4, v40, v55
	v_cndmask_b32_e64 v54, v40, v4, s[24:25]
	s_waitcnt lgkmcnt(0)
	v_add_f32_e32 v4, v6, v3
	v_cmp_eq_u32_e64 s[2:3], 0, v2
	v_add_f32_e32 v7, v61, v54
	v_cndmask_b32_e64 v38, v3, v4, s[2:3]
	s_and_saveexec_b64 s[2:3], s[0:1]
	s_cbranch_execz .LBB211_158
; %bb.157:
	s_add_u32 s4, s44, 0x400
	v_and_b32_e32 v3, 0xff000000, v38
	v_and_b32_e32 v4, 0xff0000, v38
	s_addc_u32 s5, s45, 0
	v_or_b32_e32 v3, v4, v3
	v_and_b32_e32 v4, 0xff00, v38
	v_and_b32_e32 v8, 0xff, v38
	v_mov_b32_e32 v5, 0
	v_or3_b32 v3, v3, v4, v8
	v_mov_b32_e32 v4, 2
	v_pk_mov_b32 v[8:9], s[4:5], s[4:5] op_sel:[0,1]
	;;#ASMSTART
	global_store_dwordx4 v[8:9], v[2:5] off	
s_waitcnt vmcnt(0)
	;;#ASMEND
	v_mov_b32_e32 v71, v6
.LBB211_158:
	s_or_b64 exec, exec, s[2:3]
	v_cndmask_b32_e32 v57, v61, v7, vcc
	v_mov_b32_e32 v6, 0
.LBB211_159:
	s_and_b64 s[2:3], s[34:35], exec
	s_cselect_b32 s3, 0, s59
	s_cselect_b32 s2, 0, s58
	s_cmp_eq_u64 s[2:3], 0
	v_pk_mov_b32 v[8:9], 0, 0
	s_waitcnt lgkmcnt(0)
	s_barrier
	s_cbranch_scc1 .LBB211_161
; %bb.160:
	v_mov_b32_e32 v3, 0
	global_load_dwordx2 v[8:9], v3, s[2:3]
.LBB211_161:
	s_waitcnt vmcnt(0)
	v_lshlrev_b64 v[10:11], 2, v[8:9]
	v_mov_b32_e32 v7, s43
	v_add_co_u32_e32 v61, vcc, s42, v10
	v_addc_co_u32_e32 v72, vcc, v7, v11, vcc
	v_mov_b32_e32 v7, 0
	v_lshlrev_b64 v[40:41], 2, v[6:7]
	v_add_co_u32_e32 v7, vcc, v61, v40
	v_addc_co_u32_e32 v61, vcc, v72, v41, vcc
	v_cmp_eq_u32_e32 vcc, 0, v62
	v_cndmask_b32_e64 v72, 1, 2, vcc
	v_cmp_eq_u32_e32 vcc, 0, v39
	v_cndmask_b32_e64 v73, 1, 2, vcc
	v_cmp_eq_u32_e32 vcc, 0, v36
	v_and_b32_e32 v72, v73, v72
	v_cndmask_b32_e64 v73, 1, 2, vcc
	v_cmp_eq_u32_e32 vcc, 0, v37
	v_add_u32_e32 v53, v5, v62
	v_and_b32_e32 v72, v72, v73
	v_cndmask_b32_e64 v73, 1, 2, vcc
	v_cmp_eq_u32_e32 vcc, 0, v34
	v_add_u32_e32 v52, v53, v39
	;; [unrolled: 4-line block ×12, first 2 shown]
	v_and_b32_e32 v72, v72, v73
	v_cndmask_b32_e64 v73, 1, 2, vcc
	s_movk_i32 s34, 0x100
	v_add_u32_e32 v4, v42, v26
	v_and_b32_e32 v72, v72, v73
	v_cmp_gt_u32_e32 vcc, s34, v2
	v_add_u32_e32 v3, v4, v27
	v_cmp_ne_u32_e64 s[30:31], 0, v62
	v_cmp_ne_u32_e64 s[28:29], 0, v39
	;; [unrolled: 1-line block ×15, first 2 shown]
	s_mov_b64 s[40:41], -1
	v_cmp_gt_i16_e64 s[34:35], 2, v72
	s_cbranch_vccz .LBB211_168
; %bb.162:
	s_and_saveexec_b64 s[40:41], s[34:35]
	s_cbranch_execz .LBB211_167
; %bb.163:
	v_cmp_ne_u16_e32 vcc, 1, v72
	s_mov_b64 s[42:43], 0
	s_and_saveexec_b64 s[34:35], vcc
	s_xor_b64 s[34:35], exec, s[34:35]
	s_cbranch_execnz .LBB211_257
; %bb.164:
	s_andn2_saveexec_b64 s[34:35], s[34:35]
	s_cbranch_execnz .LBB211_273
.LBB211_165:
	s_or_b64 exec, exec, s[34:35]
	s_and_b64 exec, exec, s[42:43]
	s_cbranch_execz .LBB211_167
.LBB211_166:
	v_sub_u32_e32 v74, v3, v6
	v_mov_b32_e32 v75, 0
	v_lshlrev_b64 v[74:75], 2, v[74:75]
	v_add_co_u32_e32 v74, vcc, v7, v74
	v_addc_co_u32_e32 v75, vcc, v61, v75, vcc
	global_store_dword v[74:75], v1, off
.LBB211_167:
	s_or_b64 exec, exec, s[40:41]
	s_mov_b64 s[40:41], 0
.LBB211_168:
	s_and_b64 vcc, exec, s[40:41]
	s_cbranch_vccz .LBB211_190
; %bb.169:
	v_cmp_gt_i16_e32 vcc, 2, v72
	s_and_saveexec_b64 s[34:35], vcc
	s_cbranch_execz .LBB211_174
; %bb.170:
	v_cmp_ne_u16_e32 vcc, 1, v72
	s_mov_b64 s[42:43], 0
	s_and_saveexec_b64 s[40:41], vcc
	s_xor_b64 s[40:41], exec, s[40:41]
	s_cbranch_execnz .LBB211_274
; %bb.171:
	s_andn2_saveexec_b64 s[2:3], s[40:41]
	s_cbranch_execnz .LBB211_290
.LBB211_172:
	s_or_b64 exec, exec, s[2:3]
	s_and_b64 exec, exec, s[42:43]
	s_cbranch_execz .LBB211_174
.LBB211_173:
	v_sub_u32_e32 v12, v3, v6
	v_lshlrev_b32_e32 v12, 2, v12
	ds_write_b32 v12, v1
.LBB211_174:
	s_or_b64 exec, exec, s[34:35]
	v_cmp_lt_u32_e32 vcc, v0, v2
	s_waitcnt lgkmcnt(0)
	s_barrier
	s_and_saveexec_b64 s[4:5], vcc
	s_cbranch_execz .LBB211_189
; %bb.175:
	v_xad_u32 v1, v0, -1, v2
	s_movk_i32 s2, 0x1700
	v_cmp_gt_u32_e64 s[6:7], s2, v1
	s_movk_i32 s2, 0x16ff
	v_cmp_lt_u32_e32 vcc, s2, v1
	v_mov_b32_e32 v12, v0
	s_and_saveexec_b64 s[8:9], vcc
	s_cbranch_execz .LBB211_186
; %bb.176:
	v_sub_u32_e32 v12, v0, v2
	v_or_b32_e32 v12, 0xff, v12
	v_cmp_ge_u32_e32 vcc, v12, v0
	s_mov_b64 s[2:3], -1
	v_mov_b32_e32 v12, v0
	s_and_saveexec_b64 s[10:11], vcc
	s_cbranch_execz .LBB211_185
; %bb.177:
	v_lshrrev_b32_e32 v16, 8, v1
	v_add_u32_e32 v12, -1, v16
	v_or_b32_e32 v1, 0x100, v0
	v_lshrrev_b32_e32 v13, 1, v12
	v_add_u32_e32 v17, 1, v13
	v_cmp_lt_u32_e32 vcc, 13, v12
	v_mov_b32_e32 v20, 0
	v_pk_mov_b32 v[12:13], v[0:1], v[0:1] op_sel:[0,1]
	s_and_saveexec_b64 s[12:13], vcc
	s_cbranch_execz .LBB211_181
; %bb.178:
	v_and_b32_e32 v18, -8, v17
	v_lshlrev_b32_e32 v19, 2, v0
	s_mov_b32 s16, 0
	s_mov_b64 s[14:15], 0
	v_mov_b32_e32 v15, 0
	v_pk_mov_b32 v[12:13], v[0:1], v[0:1] op_sel:[0,1]
.LBB211_179:                            ; =>This Inner Loop Header: Depth=1
	v_mov_b32_e32 v14, v12
	v_add_u32_e32 v18, -8, v18
	v_lshlrev_b64 v[96:97], 2, v[14:15]
	v_mov_b32_e32 v14, v13
	ds_read2st64_b32 v[22:23], v19 offset1:4
	s_add_i32 s16, s16, 16
	v_cmp_eq_u32_e32 vcc, 0, v18
	v_lshlrev_b64 v[100:101], 2, v[14:15]
	v_add_u32_e32 v14, 0x200, v12
	s_or_b64 s[14:15], vcc, s[14:15]
	v_add_co_u32_e32 v100, vcc, v7, v100
	v_add_u32_e32 v20, 0x200, v13
	v_mov_b32_e32 v21, v15
	ds_read2st64_b32 v[24:25], v19 offset0:8 offset1:12
	ds_read2st64_b32 v[74:75], v19 offset0:16 offset1:20
	v_add_co_u32_e64 v96, s[2:3], v7, v96
	v_addc_co_u32_e32 v101, vcc, v61, v101, vcc
	v_lshlrev_b64 v[102:103], 2, v[14:15]
	v_lshlrev_b64 v[98:99], 2, v[20:21]
	v_addc_co_u32_e64 v97, s[2:3], v61, v97, s[2:3]
	v_add_u32_e32 v14, 0x400, v12
	v_add_co_u32_e32 v102, vcc, v7, v102
	v_add_u32_e32 v72, 0x400, v13
	v_mov_b32_e32 v73, v15
	ds_read2st64_b32 v[78:79], v19 offset0:24 offset1:28
	v_add_co_u32_e64 v98, s[2:3], v7, v98
	v_addc_co_u32_e32 v103, vcc, v61, v103, vcc
	v_lshlrev_b64 v[104:105], 2, v[14:15]
	ds_read2st64_b32 v[82:83], v19 offset0:32 offset1:36
	ds_read2st64_b32 v[86:87], v19 offset0:40 offset1:44
	;; [unrolled: 1-line block ×4, first 2 shown]
	v_lshlrev_b64 v[72:73], 2, v[72:73]
	v_addc_co_u32_e64 v99, s[2:3], v61, v99, s[2:3]
	v_add_u32_e32 v14, 0x600, v12
	s_waitcnt lgkmcnt(7)
	global_store_dword v[96:97], v22, off
	global_store_dword v[100:101], v23, off
	s_waitcnt lgkmcnt(6)
	global_store_dword v[102:103], v24, off
	global_store_dword v[98:99], v25, off
	v_add_co_u32_e32 v22, vcc, v7, v104
	v_add_u32_e32 v76, 0x600, v13
	v_mov_b32_e32 v77, v15
	v_add_co_u32_e64 v72, s[2:3], v7, v72
	v_addc_co_u32_e32 v23, vcc, v61, v105, vcc
	v_lshlrev_b64 v[24:25], 2, v[14:15]
	v_lshlrev_b64 v[76:77], 2, v[76:77]
	v_addc_co_u32_e64 v73, s[2:3], v61, v73, s[2:3]
	v_add_u32_e32 v14, 0x800, v12
	s_waitcnt lgkmcnt(5)
	global_store_dword v[22:23], v74, off
	global_store_dword v[72:73], v75, off
	v_add_co_u32_e32 v22, vcc, v7, v24
	v_add_u32_e32 v80, 0x800, v13
	v_mov_b32_e32 v81, v15
	v_add_co_u32_e64 v76, s[2:3], v7, v76
	v_addc_co_u32_e32 v23, vcc, v61, v25, vcc
	v_lshlrev_b64 v[24:25], 2, v[14:15]
	v_lshlrev_b64 v[80:81], 2, v[80:81]
	v_addc_co_u32_e64 v77, s[2:3], v61, v77, s[2:3]
	v_add_u32_e32 v14, 0xa00, v12
	;; [unrolled: 12-line block ×4, first 2 shown]
	s_waitcnt lgkmcnt(2)
	global_store_dword v[22:23], v86, off
	global_store_dword v[84:85], v87, off
	v_add_co_u32_e32 v22, vcc, v7, v24
	v_add_u32_e32 v92, 0xe00, v13
	v_mov_b32_e32 v93, v15
	v_add_co_u32_e64 v88, s[2:3], v7, v88
	v_addc_co_u32_e32 v23, vcc, v61, v25, vcc
	v_lshlrev_b64 v[24:25], 2, v[14:15]
	v_lshlrev_b64 v[92:93], 2, v[92:93]
	v_addc_co_u32_e64 v89, s[2:3], v61, v89, s[2:3]
	s_waitcnt lgkmcnt(1)
	global_store_dword v[22:23], v90, off
	global_store_dword v[88:89], v91, off
	v_add_co_u32_e32 v22, vcc, v7, v24
	v_add_u32_e32 v19, 0x4000, v19
	v_add_u32_e32 v13, 0x1000, v13
	v_mov_b32_e32 v20, s16
	v_add_co_u32_e64 v92, s[2:3], v7, v92
	v_add_u32_e32 v12, 0x1000, v12
	v_addc_co_u32_e32 v23, vcc, v61, v25, vcc
	v_addc_co_u32_e64 v93, s[2:3], v61, v93, s[2:3]
	s_waitcnt lgkmcnt(0)
	global_store_dword v[22:23], v94, off
	global_store_dword v[92:93], v95, off
	s_andn2_b64 exec, exec, s[14:15]
	s_cbranch_execnz .LBB211_179
; %bb.180:
	s_or_b64 exec, exec, s[14:15]
.LBB211_181:
	s_or_b64 exec, exec, s[12:13]
	v_and_b32_e32 v1, 7, v17
	v_cmp_ne_u32_e32 vcc, 0, v1
	s_and_saveexec_b64 s[12:13], vcc
	s_cbranch_execz .LBB211_184
; %bb.182:
	v_lshlrev_b32_e32 v14, 2, v0
	v_lshl_or_b32 v17, v20, 10, v14
	s_mov_b64 s[14:15], 0
	v_mov_b32_e32 v15, 0
.LBB211_183:                            ; =>This Inner Loop Header: Depth=1
	ds_read2st64_b32 v[18:19], v17 offset1:4
	v_mov_b32_e32 v14, v12
	v_add_u32_e32 v1, -1, v1
	v_lshlrev_b64 v[20:21], 2, v[14:15]
	v_mov_b32_e32 v14, v13
	v_cmp_eq_u32_e32 vcc, 0, v1
	v_add_co_u32_e64 v20, s[2:3], v7, v20
	v_lshlrev_b64 v[22:23], 2, v[14:15]
	v_add_u32_e32 v12, 0x200, v12
	v_add_u32_e32 v17, 0x800, v17
	;; [unrolled: 1-line block ×3, first 2 shown]
	v_addc_co_u32_e64 v21, s[2:3], v61, v21, s[2:3]
	s_or_b64 s[14:15], vcc, s[14:15]
	v_add_co_u32_e32 v22, vcc, v7, v22
	v_addc_co_u32_e32 v23, vcc, v61, v23, vcc
	s_waitcnt lgkmcnt(0)
	global_store_dword v[20:21], v18, off
	global_store_dword v[22:23], v19, off
	s_andn2_b64 exec, exec, s[14:15]
	s_cbranch_execnz .LBB211_183
.LBB211_184:
	s_or_b64 exec, exec, s[12:13]
	v_add_u32_e32 v1, 1, v16
	v_and_b32_e32 v13, 0x1fffffe, v1
	v_cmp_ne_u32_e32 vcc, v1, v13
	v_lshl_or_b32 v12, v13, 8, v0
	s_orn2_b64 s[2:3], vcc, exec
.LBB211_185:
	s_or_b64 exec, exec, s[10:11]
	s_andn2_b64 s[6:7], s[6:7], exec
	s_and_b64 s[2:3], s[2:3], exec
	s_or_b64 s[6:7], s[6:7], s[2:3]
.LBB211_186:
	s_or_b64 exec, exec, s[8:9]
	s_and_b64 exec, exec, s[6:7]
	s_cbranch_execz .LBB211_189
; %bb.187:
	v_lshlrev_b32_e32 v1, 2, v12
	s_mov_b64 s[2:3], 0
	v_mov_b32_e32 v13, 0
.LBB211_188:                            ; =>This Inner Loop Header: Depth=1
	v_lshlrev_b64 v[14:15], 2, v[12:13]
	ds_read_b32 v16, v1
	v_add_co_u32_e32 v14, vcc, v7, v14
	v_add_u32_e32 v12, 0x100, v12
	v_addc_co_u32_e32 v15, vcc, v61, v15, vcc
	v_cmp_ge_u32_e32 vcc, v12, v2
	v_add_u32_e32 v1, 0x400, v1
	s_or_b64 s[2:3], vcc, s[2:3]
	s_waitcnt lgkmcnt(0)
	global_store_dword v[14:15], v16, off
	s_andn2_b64 exec, exec, s[2:3]
	s_cbranch_execnz .LBB211_188
.LBB211_189:
	s_or_b64 exec, exec, s[4:5]
.LBB211_190:
	s_cmpk_lg_i32 s33, 0xf00
	s_cselect_b64 s[2:3], -1, 0
	s_and_b64 s[0:1], s[0:1], s[38:39]
	v_cndmask_b32_e64 v12, v62, 0, s[0:1]
	s_mul_hi_u32 s0, s33, 0x88888889
	s_lshr_b32 s0, s0, 3
	v_mad_i32_i24 v13, v0, -15, s33
	v_cmp_eq_u32_e32 vcc, s0, v0
	v_cmp_ne_u32_e64 s[0:1], 0, v13
	v_cndmask_b32_e64 v14, 1, v12, s[0:1]
	v_cmp_ne_u32_e64 s[0:1], 1, v13
	v_cndmask_b32_e64 v15, 1, v39, s[0:1]
	v_cmp_ne_u32_e64 s[0:1], 2, v13
	v_cndmask_b32_e64 v17, 1, v36, s[0:1]
	v_cmp_ne_u32_e64 s[0:1], 3, v13
	v_cndmask_b32_e64 v18, 1, v37, s[0:1]
	v_cmp_ne_u32_e64 s[0:1], 4, v13
	v_cndmask_b32_e64 v19, 1, v34, s[0:1]
	v_cmp_ne_u32_e64 s[0:1], 5, v13
	v_cndmask_b32_e64 v20, 1, v35, s[0:1]
	v_cmp_ne_u32_e64 s[0:1], 6, v13
	v_cndmask_b32_e64 v21, 1, v32, s[0:1]
	v_cmp_ne_u32_e64 s[0:1], 7, v13
	v_cndmask_b32_e64 v22, 1, v33, s[0:1]
	v_cmp_ne_u32_e64 s[0:1], 8, v13
	v_cndmask_b32_e64 v23, 1, v30, s[0:1]
	v_cmp_ne_u32_e64 s[0:1], 9, v13
	v_cndmask_b32_e64 v24, 1, v31, s[0:1]
	v_cmp_ne_u32_e64 s[0:1], 10, v13
	v_cndmask_b32_e64 v25, 1, v28, s[0:1]
	v_cmp_ne_u32_e64 s[0:1], 11, v13
	v_cndmask_b32_e64 v61, 1, v29, s[0:1]
	v_cmp_ne_u32_e64 s[0:1], 12, v13
	v_cndmask_b32_e64 v62, 1, v26, s[0:1]
	v_cmp_ne_u32_e64 s[0:1], 13, v13
	v_cndmask_b32_e64 v72, 1, v27, s[0:1]
	v_cmp_ne_u32_e64 s[0:1], 14, v13
	v_cndmask_b32_e64 v13, 1, v60, s[0:1]
	s_and_b64 vcc, vcc, s[36:37]
	v_cndmask_b32_e32 v60, v60, v13, vcc
	v_cndmask_b32_e32 v27, v27, v72, vcc
	;; [unrolled: 1-line block ×15, first 2 shown]
	v_mov_b32_e32 v12, s53
	v_add_co_u32_e32 v10, vcc, s52, v10
	v_addc_co_u32_e32 v11, vcc, v12, v11, vcc
	v_cndmask_b32_e64 v1, 0, 1, s[38:39]
	v_add_co_u32_e32 v12, vcc, v10, v40
	v_addc_co_u32_e32 v13, vcc, v11, v41, vcc
	v_lshlrev_b32_e32 v10, 2, v1
	v_add_co_u32_e32 v10, vcc, v10, v12
	v_addc_co_u32_e32 v11, vcc, 0, v13, vcc
	v_add_co_u32_e32 v14, vcc, -4, v10
	v_addc_co_u32_e32 v15, vcc, -1, v11, vcc
	v_cmp_eq_u32_e32 vcc, 0, v30
	v_cndmask_b32_e64 v11, 1, 2, vcc
	v_cmp_eq_u32_e32 vcc, 0, v28
	v_cmp_ne_u32_e64 s[26:27], 0, v28
	v_cndmask_b32_e64 v28, 1, 2, vcc
	v_cmp_eq_u32_e32 vcc, 0, v17
	v_and_b32_e32 v11, v28, v11
	v_cmp_ne_u32_e64 s[24:25], 0, v17
	v_cndmask_b32_e64 v17, 1, 2, vcc
	v_cmp_eq_u32_e32 vcc, 0, v18
	v_and_b32_e32 v11, v11, v17
	v_cndmask_b32_e64 v17, 1, 2, vcc
	v_cmp_eq_u32_e32 vcc, 0, v19
	v_and_b32_e32 v11, v11, v17
	;; [unrolled: 3-line block ×9, first 2 shown]
	v_cndmask_b32_e64 v17, 1, 2, vcc
	v_cmp_eq_u32_e32 vcc, 0, v26
	s_and_b64 s[2:3], s[2:3], s[36:37]
	v_and_b32_e32 v11, v11, v17
	v_cndmask_b32_e64 v17, 1, 2, vcc
	v_cmp_eq_u32_e32 vcc, 0, v27
	v_sub_u32_e32 v7, v2, v1
	v_cndmask_b32_e64 v16, 0, 1, s[2:3]
	v_and_b32_e32 v11, v11, v17
	v_cndmask_b32_e64 v17, 1, 2, vcc
	v_cmp_eq_u32_e32 vcc, 0, v60
	v_add_u32_e32 v7, v7, v16
	v_and_b32_e32 v11, v11, v17
	v_cndmask_b32_e64 v17, 1, 2, vcc
	s_movk_i32 s30, 0x100
	v_and_b32_e32 v11, v11, v17
	v_cmp_gt_u32_e32 vcc, s30, v7
	v_add_u32_e32 v10, v6, v1
	v_cmp_ne_u32_e64 s[28:29], 0, v30
	v_cmp_ne_u32_e64 s[22:23], 0, v18
	;; [unrolled: 1-line block ×13, first 2 shown]
	s_mov_b64 s[34:35], -1
	v_cmp_gt_i16_e64 s[30:31], 2, v11
	s_barrier
	s_cbranch_vccz .LBB211_197
; %bb.191:
	s_and_saveexec_b64 s[34:35], s[30:31]
	s_cbranch_execz .LBB211_196
; %bb.192:
	v_cmp_ne_u16_e32 vcc, 1, v11
	s_mov_b64 s[38:39], 0
	s_and_saveexec_b64 s[30:31], vcc
	s_xor_b64 s[30:31], exec, s[30:31]
	s_cbranch_execnz .LBB211_291
; %bb.193:
	s_andn2_saveexec_b64 s[30:31], s[30:31]
	s_cbranch_execnz .LBB211_307
.LBB211_194:
	s_or_b64 exec, exec, s[30:31]
	s_and_b64 exec, exec, s[38:39]
	s_cbranch_execz .LBB211_196
.LBB211_195:
	v_sub_u32_e32 v18, v3, v10
	v_mov_b32_e32 v19, 0
	v_lshlrev_b64 v[18:19], 2, v[18:19]
	v_add_co_u32_e32 v18, vcc, v14, v18
	v_addc_co_u32_e32 v19, vcc, v15, v19, vcc
	global_store_dword v[18:19], v57, off
.LBB211_196:
	s_or_b64 exec, exec, s[34:35]
	s_mov_b64 s[34:35], 0
.LBB211_197:
	s_and_b64 vcc, exec, s[34:35]
	s_cbranch_vccz .LBB211_219
; %bb.198:
	v_cmp_gt_i16_e32 vcc, 2, v11
	s_and_saveexec_b64 s[30:31], vcc
	s_cbranch_execz .LBB211_203
; %bb.199:
	v_cmp_ne_u16_e32 vcc, 1, v11
	s_mov_b64 s[38:39], 0
	s_and_saveexec_b64 s[34:35], vcc
	s_xor_b64 s[34:35], exec, s[34:35]
	s_cbranch_execnz .LBB211_308
; %bb.200:
	s_andn2_saveexec_b64 s[0:1], s[34:35]
	s_cbranch_execnz .LBB211_324
.LBB211_201:
	s_or_b64 exec, exec, s[0:1]
	s_and_b64 exec, exec, s[38:39]
	s_cbranch_execz .LBB211_203
.LBB211_202:
	v_sub_u32_e32 v3, v3, v10
	v_lshlrev_b32_e32 v3, 2, v3
	ds_write_b32 v3, v57
.LBB211_203:
	s_or_b64 exec, exec, s[30:31]
	v_cmp_lt_u32_e32 vcc, v0, v7
	s_waitcnt lgkmcnt(0)
	s_barrier
	s_and_saveexec_b64 s[2:3], vcc
	s_cbranch_execz .LBB211_218
; %bb.204:
	v_add_u32_e32 v5, v2, v16
	v_xad_u32 v3, v0, -1, v5
	v_sub_u32_e32 v3, v3, v1
	s_movk_i32 s0, 0x1900
	v_cmp_gt_u32_e64 s[4:5], s0, v3
	s_movk_i32 s0, 0x18ff
	v_cmp_lt_u32_e32 vcc, s0, v3
	v_mov_b32_e32 v4, v0
	s_and_saveexec_b64 s[6:7], vcc
	s_cbranch_execz .LBB211_215
; %bb.205:
	v_sub_u32_e32 v4, v0, v5
	v_add_u32_e32 v1, v4, v1
	v_or_b32_e32 v1, 0xff, v1
	v_cmp_ge_u32_e32 vcc, v1, v0
	s_mov_b64 s[0:1], -1
	v_mov_b32_e32 v4, v0
	s_and_saveexec_b64 s[8:9], vcc
	s_cbranch_execz .LBB211_214
; %bb.206:
	v_lshrrev_b32_e32 v3, 8, v3
	v_add_u32_e32 v4, -1, v3
	v_or_b32_e32 v1, 0x100, v0
	v_lshrrev_b32_e32 v5, 1, v4
	v_add_u32_e32 v17, 1, v5
	v_cmp_lt_u32_e32 vcc, 13, v4
	v_mov_b32_e32 v20, 0
	v_lshlrev_b32_e32 v16, 2, v0
	v_pk_mov_b32 v[4:5], v[0:1], v[0:1] op_sel:[0,1]
	s_and_saveexec_b64 s[10:11], vcc
	s_cbranch_execz .LBB211_210
; %bb.207:
	v_and_b32_e32 v18, -8, v17
	s_mov_b32 s14, 0
	s_mov_b64 s[12:13], 0
	v_mov_b32_e32 v11, 0
	v_mov_b32_e32 v19, v16
	v_pk_mov_b32 v[4:5], v[0:1], v[0:1] op_sel:[0,1]
.LBB211_208:                            ; =>This Inner Loop Header: Depth=1
	v_mov_b32_e32 v10, v4
	v_add_u32_e32 v18, -8, v18
	v_lshlrev_b64 v[52:53], 2, v[10:11]
	v_mov_b32_e32 v10, v5
	ds_read2st64_b32 v[22:23], v19 offset1:4
	s_add_i32 s14, s14, 16
	v_cmp_eq_u32_e32 vcc, 0, v18
	v_lshlrev_b64 v[56:57], 2, v[10:11]
	v_add_u32_e32 v10, 0x200, v4
	s_or_b64 s[12:13], vcc, s[12:13]
	v_add_co_u32_e32 v56, vcc, v14, v56
	v_add_u32_e32 v20, 0x200, v5
	v_mov_b32_e32 v21, v11
	ds_read2st64_b32 v[24:25], v19 offset0:8 offset1:12
	ds_read2st64_b32 v[28:29], v19 offset0:16 offset1:20
	v_add_co_u32_e64 v52, s[0:1], v14, v52
	v_addc_co_u32_e32 v57, vcc, v15, v57, vcc
	v_lshlrev_b64 v[58:59], 2, v[10:11]
	v_lshlrev_b64 v[54:55], 2, v[20:21]
	v_addc_co_u32_e64 v53, s[0:1], v15, v53, s[0:1]
	v_add_u32_e32 v10, 0x400, v4
	v_add_co_u32_e32 v58, vcc, v14, v58
	v_add_u32_e32 v26, 0x400, v5
	v_mov_b32_e32 v27, v11
	ds_read2st64_b32 v[32:33], v19 offset0:24 offset1:28
	v_add_co_u32_e64 v54, s[0:1], v14, v54
	v_addc_co_u32_e32 v59, vcc, v15, v59, vcc
	v_lshlrev_b64 v[60:61], 2, v[10:11]
	ds_read2st64_b32 v[36:37], v19 offset0:32 offset1:36
	ds_read2st64_b32 v[42:43], v19 offset0:40 offset1:44
	;; [unrolled: 1-line block ×4, first 2 shown]
	v_lshlrev_b64 v[26:27], 2, v[26:27]
	v_addc_co_u32_e64 v55, s[0:1], v15, v55, s[0:1]
	v_add_u32_e32 v10, 0x600, v4
	s_waitcnt lgkmcnt(7)
	global_store_dword v[52:53], v22, off
	global_store_dword v[56:57], v23, off
	s_waitcnt lgkmcnt(6)
	global_store_dword v[58:59], v24, off
	global_store_dword v[54:55], v25, off
	v_add_co_u32_e32 v22, vcc, v14, v60
	v_add_u32_e32 v30, 0x600, v5
	v_mov_b32_e32 v31, v11
	v_add_co_u32_e64 v26, s[0:1], v14, v26
	v_addc_co_u32_e32 v23, vcc, v15, v61, vcc
	v_lshlrev_b64 v[24:25], 2, v[10:11]
	v_lshlrev_b64 v[30:31], 2, v[30:31]
	v_addc_co_u32_e64 v27, s[0:1], v15, v27, s[0:1]
	v_add_u32_e32 v10, 0x800, v4
	s_waitcnt lgkmcnt(5)
	global_store_dword v[22:23], v28, off
	global_store_dword v[26:27], v29, off
	v_add_co_u32_e32 v22, vcc, v14, v24
	v_add_u32_e32 v34, 0x800, v5
	v_mov_b32_e32 v35, v11
	v_add_co_u32_e64 v30, s[0:1], v14, v30
	v_addc_co_u32_e32 v23, vcc, v15, v25, vcc
	v_lshlrev_b64 v[24:25], 2, v[10:11]
	v_lshlrev_b64 v[34:35], 2, v[34:35]
	v_addc_co_u32_e64 v31, s[0:1], v15, v31, s[0:1]
	v_add_u32_e32 v10, 0xa00, v4
	;; [unrolled: 12-line block ×4, first 2 shown]
	s_waitcnt lgkmcnt(2)
	global_store_dword v[22:23], v42, off
	global_store_dword v[40:41], v43, off
	v_add_co_u32_e32 v22, vcc, v14, v24
	v_add_u32_e32 v48, 0xe00, v5
	v_mov_b32_e32 v49, v11
	v_add_co_u32_e64 v44, s[0:1], v14, v44
	v_addc_co_u32_e32 v23, vcc, v15, v25, vcc
	v_lshlrev_b64 v[24:25], 2, v[10:11]
	v_lshlrev_b64 v[48:49], 2, v[48:49]
	v_addc_co_u32_e64 v45, s[0:1], v15, v45, s[0:1]
	s_waitcnt lgkmcnt(1)
	global_store_dword v[22:23], v46, off
	global_store_dword v[44:45], v47, off
	v_add_co_u32_e32 v22, vcc, v14, v24
	v_add_u32_e32 v19, 0x4000, v19
	v_add_u32_e32 v5, 0x1000, v5
	v_mov_b32_e32 v20, s14
	v_add_co_u32_e64 v48, s[0:1], v14, v48
	v_add_u32_e32 v4, 0x1000, v4
	v_addc_co_u32_e32 v23, vcc, v15, v25, vcc
	v_addc_co_u32_e64 v49, s[0:1], v15, v49, s[0:1]
	s_waitcnt lgkmcnt(0)
	global_store_dword v[22:23], v50, off
	global_store_dword v[48:49], v51, off
	s_andn2_b64 exec, exec, s[12:13]
	s_cbranch_execnz .LBB211_208
; %bb.209:
	s_or_b64 exec, exec, s[12:13]
.LBB211_210:
	s_or_b64 exec, exec, s[10:11]
	v_and_b32_e32 v1, 7, v17
	v_cmp_ne_u32_e32 vcc, 0, v1
	s_and_saveexec_b64 s[10:11], vcc
	s_cbranch_execz .LBB211_213
; %bb.211:
	v_lshl_or_b32 v16, v20, 10, v16
	s_mov_b64 s[12:13], 0
	v_mov_b32_e32 v11, 0
.LBB211_212:                            ; =>This Inner Loop Header: Depth=1
	ds_read2st64_b32 v[18:19], v16 offset1:4
	v_mov_b32_e32 v10, v4
	v_add_u32_e32 v1, -1, v1
	v_lshlrev_b64 v[20:21], 2, v[10:11]
	v_mov_b32_e32 v10, v5
	v_cmp_eq_u32_e32 vcc, 0, v1
	v_add_co_u32_e64 v20, s[0:1], v14, v20
	v_lshlrev_b64 v[22:23], 2, v[10:11]
	v_add_u32_e32 v4, 0x200, v4
	v_add_u32_e32 v16, 0x800, v16
	;; [unrolled: 1-line block ×3, first 2 shown]
	v_addc_co_u32_e64 v21, s[0:1], v15, v21, s[0:1]
	s_or_b64 s[12:13], vcc, s[12:13]
	v_add_co_u32_e32 v22, vcc, v14, v22
	v_addc_co_u32_e32 v23, vcc, v15, v23, vcc
	s_waitcnt lgkmcnt(0)
	global_store_dword v[20:21], v18, off
	global_store_dword v[22:23], v19, off
	s_andn2_b64 exec, exec, s[12:13]
	s_cbranch_execnz .LBB211_212
.LBB211_213:
	s_or_b64 exec, exec, s[10:11]
	v_add_u32_e32 v1, 1, v3
	v_and_b32_e32 v3, 0x1fffffe, v1
	v_cmp_ne_u32_e32 vcc, v1, v3
	v_lshl_or_b32 v4, v3, 8, v0
	s_orn2_b64 s[0:1], vcc, exec
.LBB211_214:
	s_or_b64 exec, exec, s[8:9]
	s_andn2_b64 s[4:5], s[4:5], exec
	s_and_b64 s[0:1], s[0:1], exec
	s_or_b64 s[4:5], s[4:5], s[0:1]
.LBB211_215:
	s_or_b64 exec, exec, s[6:7]
	s_and_b64 exec, exec, s[4:5]
	s_cbranch_execz .LBB211_218
; %bb.216:
	v_lshlrev_b32_e32 v1, 2, v4
	s_mov_b64 s[0:1], 0
	v_mov_b32_e32 v5, 0
.LBB211_217:                            ; =>This Inner Loop Header: Depth=1
	v_lshlrev_b64 v[10:11], 2, v[4:5]
	ds_read_b32 v3, v1
	v_add_co_u32_e32 v10, vcc, v14, v10
	v_add_u32_e32 v4, 0x100, v4
	v_addc_co_u32_e32 v11, vcc, v15, v11, vcc
	v_cmp_ge_u32_e32 vcc, v4, v7
	v_add_u32_e32 v1, 0x400, v1
	s_or_b64 s[0:1], vcc, s[0:1]
	s_waitcnt lgkmcnt(0)
	global_store_dword v[10:11], v3, off
	s_andn2_b64 exec, exec, s[0:1]
	s_cbranch_execnz .LBB211_217
.LBB211_218:
	s_or_b64 exec, exec, s[2:3]
.LBB211_219:
	s_movk_i32 s0, 0xff
	v_cmp_eq_u32_e32 vcc, s0, v0
	s_and_b64 s[0:1], vcc, s[36:37]
	s_and_saveexec_b64 s[2:3], s[0:1]
	s_cbranch_execz .LBB211_222
; %bb.220:
	v_add_co_u32_e32 v0, vcc, v2, v6
	v_addc_co_u32_e64 v1, s[0:1], 0, 0, vcc
	v_add_co_u32_e32 v0, vcc, v0, v8
	v_mov_b32_e32 v3, 0
	v_addc_co_u32_e32 v1, vcc, v1, v9, vcc
	s_cmpk_lg_i32 s33, 0xf00
	global_store_dwordx2 v3, v[0:1], s[54:55]
	s_cbranch_scc1 .LBB211_222
; %bb.221:
	v_lshlrev_b64 v[0:1], 2, v[2:3]
	v_add_co_u32_e32 v0, vcc, v12, v0
	v_addc_co_u32_e32 v1, vcc, v13, v1, vcc
	global_store_dword v[0:1], v38, off offset:-4
.LBB211_222:
	s_endpgm
.LBB211_223:
                                        ; implicit-def: $sgpr10_sgpr11
                                        ; implicit-def: $vgpr60
                                        ; implicit-def: $vgpr27
                                        ; implicit-def: $vgpr26
                                        ; implicit-def: $vgpr29
                                        ; implicit-def: $vgpr28
                                        ; implicit-def: $vgpr31
                                        ; implicit-def: $vgpr30
                                        ; implicit-def: $vgpr33
                                        ; implicit-def: $vgpr32
                                        ; implicit-def: $vgpr35
                                        ; implicit-def: $vgpr34
                                        ; implicit-def: $vgpr37
                                        ; implicit-def: $vgpr36
                                        ; implicit-def: $vgpr39
	s_cbranch_execz .LBB211_113
.LBB211_224:
	v_mad_u32_u24 v26, v0, 15, 14
	v_mov_b32_e32 v27, 0
	s_waitcnt vmcnt(0) lgkmcnt(0)
	v_lshlrev_b32_e32 v4, 2, v0
	v_mul_u32_u24_e32 v2, 15, v0
	v_cmp_gt_u64_e32 vcc, s[6:7], v[26:27]
	v_mov_b32_e32 v60, 0
	ds_write_b32 v4, v1
	s_and_saveexec_b64 s[8:9], vcc
	s_cbranch_execz .LBB211_226
; %bb.225:
	v_cvt_i32_f32_e32 v3, v13
	v_cvt_i32_f32_e32 v5, v1
	s_mov_b32 s10, 0x66666667
	v_mul_hi_i32 v3, v3, s10
	v_lshrrev_b32_e32 v6, 31, v3
	v_ashrrev_i32_e32 v3, 2, v3
	v_mul_hi_i32 v5, v5, s10
	v_add_u32_e32 v3, v3, v6
	v_lshrrev_b32_e32 v6, 31, v5
	v_ashrrev_i32_e32 v5, 2, v5
	v_add_u32_e32 v5, v5, v6
	v_cmp_ne_u32_e32 vcc, v3, v5
	v_cndmask_b32_e64 v60, 0, 1, vcc
.LBB211_226:
	s_or_b64 exec, exec, s[8:9]
	v_add_u32_e32 v26, 13, v2
	v_cmp_gt_u64_e32 vcc, s[6:7], v[26:27]
	s_and_saveexec_b64 s[8:9], vcc
	s_cbranch_execz .LBB211_228
; %bb.227:
	v_cvt_i32_f32_e32 v3, v12
	v_cvt_i32_f32_e32 v5, v13
	s_mov_b32 s10, 0x66666667
	v_mul_hi_i32 v3, v3, s10
	v_lshrrev_b32_e32 v6, 31, v3
	v_ashrrev_i32_e32 v3, 2, v3
	v_mul_hi_i32 v5, v5, s10
	v_add_u32_e32 v3, v3, v6
	v_lshrrev_b32_e32 v6, 31, v5
	v_ashrrev_i32_e32 v5, 2, v5
	v_add_u32_e32 v5, v5, v6
	v_cmp_ne_u32_e32 vcc, v3, v5
	v_cndmask_b32_e64 v27, 0, 1, vcc
.LBB211_228:
	s_or_b64 exec, exec, s[8:9]
	v_add_u32_e32 v28, 12, v2
	v_mov_b32_e32 v29, 0
	v_cmp_gt_u64_e32 vcc, s[6:7], v[28:29]
	v_mov_b32_e32 v26, 0
	s_and_saveexec_b64 s[8:9], vcc
	s_cbranch_execz .LBB211_230
; %bb.229:
	v_cvt_i32_f32_e32 v3, v15
	v_cvt_i32_f32_e32 v5, v12
	s_mov_b32 s10, 0x66666667
	v_mul_hi_i32 v3, v3, s10
	v_lshrrev_b32_e32 v6, 31, v3
	v_ashrrev_i32_e32 v3, 2, v3
	v_mul_hi_i32 v5, v5, s10
	v_add_u32_e32 v3, v3, v6
	v_lshrrev_b32_e32 v6, 31, v5
	v_ashrrev_i32_e32 v5, 2, v5
	v_add_u32_e32 v5, v5, v6
	v_cmp_ne_u32_e32 vcc, v3, v5
	v_cndmask_b32_e64 v26, 0, 1, vcc
.LBB211_230:
	s_or_b64 exec, exec, s[8:9]
	v_add_u32_e32 v28, 11, v2
	v_cmp_gt_u64_e32 vcc, s[6:7], v[28:29]
	s_and_saveexec_b64 s[8:9], vcc
	s_cbranch_execz .LBB211_232
; %bb.231:
	v_cvt_i32_f32_e32 v3, v14
	v_cvt_i32_f32_e32 v5, v15
	s_mov_b32 s10, 0x66666667
	v_mul_hi_i32 v3, v3, s10
	v_lshrrev_b32_e32 v6, 31, v3
	v_ashrrev_i32_e32 v3, 2, v3
	v_mul_hi_i32 v5, v5, s10
	v_add_u32_e32 v3, v3, v6
	v_lshrrev_b32_e32 v6, 31, v5
	v_ashrrev_i32_e32 v5, 2, v5
	v_add_u32_e32 v5, v5, v6
	v_cmp_ne_u32_e32 vcc, v3, v5
	v_cndmask_b32_e64 v29, 0, 1, vcc
.LBB211_232:
	s_or_b64 exec, exec, s[8:9]
	v_add_u32_e32 v30, 10, v2
	v_mov_b32_e32 v31, 0
	v_cmp_gt_u64_e32 vcc, s[6:7], v[30:31]
	v_mov_b32_e32 v28, 0
	;; [unrolled: 42-line block ×6, first 2 shown]
	s_and_saveexec_b64 s[8:9], vcc
	s_cbranch_execz .LBB211_250
; %bb.249:
	v_cvt_i32_f32_e32 v3, v25
	v_cvt_i32_f32_e32 v5, v22
	s_mov_b32 s10, 0x66666667
	v_mul_hi_i32 v3, v3, s10
	v_lshrrev_b32_e32 v6, 31, v3
	v_ashrrev_i32_e32 v3, 2, v3
	v_mul_hi_i32 v5, v5, s10
	v_add_u32_e32 v3, v3, v6
	v_lshrrev_b32_e32 v6, 31, v5
	v_ashrrev_i32_e32 v5, 2, v5
	v_add_u32_e32 v5, v5, v6
	v_cmp_ne_u32_e32 vcc, v3, v5
	v_cndmask_b32_e64 v36, 0, 1, vcc
.LBB211_250:
	s_or_b64 exec, exec, s[8:9]
	v_add_u32_e32 v38, 1, v2
	v_cmp_gt_u64_e32 vcc, s[6:7], v[38:39]
	s_and_saveexec_b64 s[8:9], vcc
	s_cbranch_execz .LBB211_252
; %bb.251:
	v_cvt_i32_f32_e32 v3, v24
	v_cvt_i32_f32_e32 v5, v25
	s_mov_b32 s10, 0x66666667
	v_mul_hi_i32 v3, v3, s10
	v_lshrrev_b32_e32 v6, 31, v3
	v_ashrrev_i32_e32 v3, 2, v3
	v_mul_hi_i32 v5, v5, s10
	v_add_u32_e32 v3, v3, v6
	v_lshrrev_b32_e32 v6, 31, v5
	v_ashrrev_i32_e32 v5, 2, v5
	v_add_u32_e32 v5, v5, v6
	v_cmp_ne_u32_e32 vcc, v3, v5
	v_cndmask_b32_e64 v39, 0, 1, vcc
.LBB211_252:
	s_or_b64 exec, exec, s[8:9]
	s_waitcnt lgkmcnt(0)
	s_barrier
	s_waitcnt lgkmcnt(0)
                                        ; implicit-def: $sgpr10_sgpr11
	s_and_saveexec_b64 s[8:9], s[2:3]
	s_cbranch_execz .LBB211_256
; %bb.253:
	v_mov_b32_e32 v3, 0
	v_cmp_gt_u64_e32 vcc, s[6:7], v[2:3]
	s_mov_b64 s[6:7], 0
	s_and_saveexec_b64 s[2:3], vcc
	s_cbranch_execz .LBB211_255
; %bb.254:
	v_add_u32_e32 v2, -4, v4
	ds_read_b32 v2, v2
	v_cvt_i32_f32_e32 v3, v24
	s_mov_b32 s6, 0x66666667
	v_mul_hi_i32 v3, v3, s6
	s_waitcnt lgkmcnt(0)
	v_cvt_i32_f32_e32 v2, v2
	v_lshrrev_b32_e32 v4, 31, v3
	v_ashrrev_i32_e32 v3, 2, v3
	v_add_u32_e32 v3, v3, v4
	v_mul_hi_i32 v2, v2, s6
	v_lshrrev_b32_e32 v5, 31, v2
	v_ashrrev_i32_e32 v2, 2, v2
	v_add_u32_e32 v2, v2, v5
	v_cmp_ne_u32_e32 vcc, v2, v3
	s_and_b64 s[6:7], vcc, exec
.LBB211_255:
	s_or_b64 exec, exec, s[2:3]
	s_and_b64 s[10:11], s[6:7], exec
	s_or_b64 s[4:5], s[4:5], exec
.LBB211_256:
	s_or_b64 exec, exec, s[8:9]
	s_mov_b32 s12, 1
	v_mov_b32_e32 v62, s12
	s_and_saveexec_b64 s[2:3], s[4:5]
	s_cbranch_execnz .LBB211_115
	s_branch .LBB211_116
.LBB211_257:
	s_and_saveexec_b64 s[42:43], s[30:31]
	s_cbranch_execnz .LBB211_325
; %bb.258:
	s_or_b64 exec, exec, s[42:43]
	s_and_saveexec_b64 s[42:43], s[28:29]
	s_cbranch_execnz .LBB211_326
.LBB211_259:
	s_or_b64 exec, exec, s[42:43]
	s_and_saveexec_b64 s[42:43], s[26:27]
	s_cbranch_execnz .LBB211_327
.LBB211_260:
	s_or_b64 exec, exec, s[42:43]
	s_and_saveexec_b64 s[42:43], s[24:25]
	s_cbranch_execnz .LBB211_328
.LBB211_261:
	s_or_b64 exec, exec, s[42:43]
	s_and_saveexec_b64 s[42:43], s[22:23]
	s_cbranch_execnz .LBB211_329
.LBB211_262:
	s_or_b64 exec, exec, s[42:43]
	s_and_saveexec_b64 s[42:43], s[20:21]
	s_cbranch_execnz .LBB211_330
.LBB211_263:
	s_or_b64 exec, exec, s[42:43]
	s_and_saveexec_b64 s[42:43], s[18:19]
	s_cbranch_execnz .LBB211_331
.LBB211_264:
	s_or_b64 exec, exec, s[42:43]
	s_and_saveexec_b64 s[42:43], s[16:17]
	s_cbranch_execnz .LBB211_332
.LBB211_265:
	s_or_b64 exec, exec, s[42:43]
	s_and_saveexec_b64 s[42:43], s[14:15]
	s_cbranch_execnz .LBB211_333
.LBB211_266:
	s_or_b64 exec, exec, s[42:43]
	s_and_saveexec_b64 s[42:43], s[12:13]
	s_cbranch_execnz .LBB211_334
.LBB211_267:
	s_or_b64 exec, exec, s[42:43]
	s_and_saveexec_b64 s[42:43], s[10:11]
	s_cbranch_execnz .LBB211_335
.LBB211_268:
	s_or_b64 exec, exec, s[42:43]
	s_and_saveexec_b64 s[42:43], s[8:9]
	s_cbranch_execnz .LBB211_336
.LBB211_269:
	s_or_b64 exec, exec, s[42:43]
	s_and_saveexec_b64 s[42:43], s[6:7]
	s_cbranch_execnz .LBB211_337
.LBB211_270:
	s_or_b64 exec, exec, s[42:43]
	s_and_saveexec_b64 s[42:43], s[4:5]
	s_cbranch_execz .LBB211_272
.LBB211_271:
	v_sub_u32_e32 v74, v4, v6
	v_mov_b32_e32 v75, 0
	v_lshlrev_b64 v[74:75], 2, v[74:75]
	v_add_co_u32_e32 v74, vcc, v7, v74
	v_addc_co_u32_e32 v75, vcc, v61, v75, vcc
	global_store_dword v[74:75], v13, off
.LBB211_272:
	s_or_b64 exec, exec, s[42:43]
	s_and_b64 s[42:43], s[2:3], exec
	s_andn2_saveexec_b64 s[34:35], s[34:35]
	s_cbranch_execz .LBB211_165
.LBB211_273:
	v_sub_u32_e32 v74, v5, v6
	v_mov_b32_e32 v75, 0
	v_lshlrev_b64 v[76:77], 2, v[74:75]
	v_add_co_u32_e32 v76, vcc, v7, v76
	v_addc_co_u32_e32 v77, vcc, v61, v77, vcc
	v_sub_u32_e32 v74, v53, v6
	global_store_dword v[76:77], v24, off
	v_lshlrev_b64 v[76:77], 2, v[74:75]
	v_add_co_u32_e32 v76, vcc, v7, v76
	v_addc_co_u32_e32 v77, vcc, v61, v77, vcc
	v_sub_u32_e32 v74, v52, v6
	global_store_dword v[76:77], v25, off
	;; [unrolled: 5-line block ×12, first 2 shown]
	v_lshlrev_b64 v[76:77], 2, v[74:75]
	v_add_co_u32_e32 v76, vcc, v7, v76
	v_sub_u32_e32 v74, v4, v6
	v_addc_co_u32_e32 v77, vcc, v61, v77, vcc
	v_lshlrev_b64 v[74:75], 2, v[74:75]
	v_add_co_u32_e32 v74, vcc, v7, v74
	v_addc_co_u32_e32 v75, vcc, v61, v75, vcc
	s_or_b64 s[42:43], s[42:43], exec
	global_store_dword v[76:77], v12, off
	global_store_dword v[74:75], v13, off
	s_or_b64 exec, exec, s[34:35]
	s_and_b64 exec, exec, s[42:43]
	s_cbranch_execnz .LBB211_166
	s_branch .LBB211_167
.LBB211_274:
	s_and_saveexec_b64 s[42:43], s[30:31]
	s_cbranch_execnz .LBB211_338
; %bb.275:
	s_or_b64 exec, exec, s[42:43]
	s_and_saveexec_b64 s[30:31], s[28:29]
	s_cbranch_execnz .LBB211_339
.LBB211_276:
	s_or_b64 exec, exec, s[30:31]
	s_and_saveexec_b64 s[28:29], s[26:27]
	s_cbranch_execnz .LBB211_340
.LBB211_277:
	s_or_b64 exec, exec, s[28:29]
	s_and_saveexec_b64 s[26:27], s[24:25]
	s_cbranch_execnz .LBB211_341
.LBB211_278:
	s_or_b64 exec, exec, s[26:27]
	s_and_saveexec_b64 s[24:25], s[22:23]
	s_cbranch_execnz .LBB211_342
.LBB211_279:
	s_or_b64 exec, exec, s[24:25]
	s_and_saveexec_b64 s[22:23], s[20:21]
	s_cbranch_execnz .LBB211_343
.LBB211_280:
	s_or_b64 exec, exec, s[22:23]
	s_and_saveexec_b64 s[20:21], s[18:19]
	s_cbranch_execnz .LBB211_344
.LBB211_281:
	s_or_b64 exec, exec, s[20:21]
	s_and_saveexec_b64 s[18:19], s[16:17]
	s_cbranch_execnz .LBB211_345
.LBB211_282:
	s_or_b64 exec, exec, s[18:19]
	s_and_saveexec_b64 s[16:17], s[14:15]
	s_cbranch_execnz .LBB211_346
.LBB211_283:
	s_or_b64 exec, exec, s[16:17]
	s_and_saveexec_b64 s[14:15], s[12:13]
	s_cbranch_execnz .LBB211_347
.LBB211_284:
	s_or_b64 exec, exec, s[14:15]
	s_and_saveexec_b64 s[12:13], s[10:11]
	s_cbranch_execnz .LBB211_348
.LBB211_285:
	s_or_b64 exec, exec, s[12:13]
	s_and_saveexec_b64 s[10:11], s[8:9]
	s_cbranch_execnz .LBB211_349
.LBB211_286:
	s_or_b64 exec, exec, s[10:11]
	s_and_saveexec_b64 s[8:9], s[6:7]
	s_cbranch_execnz .LBB211_350
.LBB211_287:
	s_or_b64 exec, exec, s[8:9]
	s_and_saveexec_b64 s[6:7], s[4:5]
	s_cbranch_execz .LBB211_289
.LBB211_288:
	v_sub_u32_e32 v12, v4, v6
	v_lshlrev_b32_e32 v12, 2, v12
	ds_write_b32 v12, v13
.LBB211_289:
	s_or_b64 exec, exec, s[6:7]
	s_and_b64 s[42:43], s[2:3], exec
                                        ; implicit-def: $vgpr24_vgpr25
                                        ; implicit-def: $vgpr22_vgpr23
                                        ; implicit-def: $vgpr20_vgpr21
                                        ; implicit-def: $vgpr18_vgpr19
                                        ; implicit-def: $vgpr16_vgpr17
                                        ; implicit-def: $vgpr14_vgpr15
                                        ; implicit-def: $vgpr12_vgpr13
	s_andn2_saveexec_b64 s[2:3], s[40:41]
	s_cbranch_execz .LBB211_172
.LBB211_290:
	v_sub_u32_e32 v72, v5, v6
	v_lshlrev_b32_e32 v72, 2, v72
	ds_write_b32 v72, v24
	v_sub_u32_e32 v24, v53, v6
	v_lshlrev_b32_e32 v24, 2, v24
	ds_write_b32 v24, v25
	;; [unrolled: 3-line block ×13, first 2 shown]
	v_sub_u32_e32 v12, v4, v6
	v_lshlrev_b32_e32 v12, 2, v12
	s_or_b64 s[42:43], s[42:43], exec
	ds_write_b32 v12, v13
	s_or_b64 exec, exec, s[2:3]
	s_and_b64 exec, exec, s[42:43]
	s_cbranch_execnz .LBB211_173
	s_branch .LBB211_174
.LBB211_291:
	s_and_saveexec_b64 s[38:39], s[28:29]
	s_cbranch_execnz .LBB211_351
; %bb.292:
	s_or_b64 exec, exec, s[38:39]
	s_and_saveexec_b64 s[38:39], s[26:27]
	s_cbranch_execnz .LBB211_352
.LBB211_293:
	s_or_b64 exec, exec, s[38:39]
	s_and_saveexec_b64 s[38:39], s[24:25]
	s_cbranch_execnz .LBB211_353
.LBB211_294:
	s_or_b64 exec, exec, s[38:39]
	s_and_saveexec_b64 s[38:39], s[22:23]
	s_cbranch_execnz .LBB211_354
.LBB211_295:
	s_or_b64 exec, exec, s[38:39]
	s_and_saveexec_b64 s[38:39], s[20:21]
	s_cbranch_execnz .LBB211_355
.LBB211_296:
	s_or_b64 exec, exec, s[38:39]
	s_and_saveexec_b64 s[38:39], s[18:19]
	s_cbranch_execnz .LBB211_356
.LBB211_297:
	s_or_b64 exec, exec, s[38:39]
	s_and_saveexec_b64 s[38:39], s[16:17]
	s_cbranch_execnz .LBB211_357
.LBB211_298:
	s_or_b64 exec, exec, s[38:39]
	s_and_saveexec_b64 s[38:39], s[14:15]
	s_cbranch_execnz .LBB211_358
.LBB211_299:
	s_or_b64 exec, exec, s[38:39]
	s_and_saveexec_b64 s[38:39], s[12:13]
	s_cbranch_execnz .LBB211_359
.LBB211_300:
	s_or_b64 exec, exec, s[38:39]
	s_and_saveexec_b64 s[38:39], s[10:11]
	s_cbranch_execnz .LBB211_360
.LBB211_301:
	s_or_b64 exec, exec, s[38:39]
	s_and_saveexec_b64 s[38:39], s[8:9]
	s_cbranch_execnz .LBB211_361
.LBB211_302:
	s_or_b64 exec, exec, s[38:39]
	s_and_saveexec_b64 s[38:39], s[6:7]
	s_cbranch_execnz .LBB211_362
.LBB211_303:
	s_or_b64 exec, exec, s[38:39]
	s_and_saveexec_b64 s[38:39], s[4:5]
	s_cbranch_execnz .LBB211_363
.LBB211_304:
	s_or_b64 exec, exec, s[38:39]
	s_and_saveexec_b64 s[38:39], s[2:3]
	s_cbranch_execz .LBB211_306
.LBB211_305:
	v_sub_u32_e32 v18, v4, v10
	v_mov_b32_e32 v19, 0
	v_lshlrev_b64 v[18:19], 2, v[18:19]
	v_add_co_u32_e32 v18, vcc, v14, v18
	v_addc_co_u32_e32 v19, vcc, v15, v19, vcc
	global_store_dword v[18:19], v54, off
.LBB211_306:
	s_or_b64 exec, exec, s[38:39]
	s_and_b64 s[38:39], s[0:1], exec
	s_andn2_saveexec_b64 s[30:31], s[30:31]
	s_cbranch_execz .LBB211_194
.LBB211_307:
	v_sub_u32_e32 v18, v5, v10
	v_mov_b32_e32 v19, 0
	v_lshlrev_b64 v[20:21], 2, v[18:19]
	v_add_co_u32_e32 v20, vcc, v14, v20
	v_addc_co_u32_e32 v21, vcc, v15, v21, vcc
	v_sub_u32_e32 v18, v53, v10
	global_store_dword v[20:21], v71, off
	v_lshlrev_b64 v[20:21], 2, v[18:19]
	v_add_co_u32_e32 v20, vcc, v14, v20
	v_addc_co_u32_e32 v21, vcc, v15, v21, vcc
	v_sub_u32_e32 v18, v52, v10
	global_store_dword v[20:21], v70, off
	;; [unrolled: 5-line block ×12, first 2 shown]
	v_lshlrev_b64 v[20:21], 2, v[18:19]
	v_add_co_u32_e32 v20, vcc, v14, v20
	v_sub_u32_e32 v18, v4, v10
	v_addc_co_u32_e32 v21, vcc, v15, v21, vcc
	v_lshlrev_b64 v[18:19], 2, v[18:19]
	v_add_co_u32_e32 v18, vcc, v14, v18
	v_addc_co_u32_e32 v19, vcc, v15, v19, vcc
	s_or_b64 s[38:39], s[38:39], exec
	global_store_dword v[20:21], v55, off
	global_store_dword v[18:19], v54, off
	s_or_b64 exec, exec, s[30:31]
	s_and_b64 exec, exec, s[38:39]
	s_cbranch_execnz .LBB211_195
	s_branch .LBB211_196
.LBB211_308:
	s_and_saveexec_b64 s[38:39], s[28:29]
	s_cbranch_execnz .LBB211_364
; %bb.309:
	s_or_b64 exec, exec, s[38:39]
	s_and_saveexec_b64 s[28:29], s[26:27]
	s_cbranch_execnz .LBB211_365
.LBB211_310:
	s_or_b64 exec, exec, s[28:29]
	s_and_saveexec_b64 s[26:27], s[24:25]
	s_cbranch_execnz .LBB211_366
.LBB211_311:
	s_or_b64 exec, exec, s[26:27]
	s_and_saveexec_b64 s[24:25], s[22:23]
	s_cbranch_execnz .LBB211_367
.LBB211_312:
	s_or_b64 exec, exec, s[24:25]
	s_and_saveexec_b64 s[22:23], s[20:21]
	s_cbranch_execnz .LBB211_368
.LBB211_313:
	s_or_b64 exec, exec, s[22:23]
	s_and_saveexec_b64 s[20:21], s[18:19]
	s_cbranch_execnz .LBB211_369
.LBB211_314:
	s_or_b64 exec, exec, s[20:21]
	s_and_saveexec_b64 s[18:19], s[16:17]
	s_cbranch_execnz .LBB211_370
.LBB211_315:
	s_or_b64 exec, exec, s[18:19]
	s_and_saveexec_b64 s[16:17], s[14:15]
	s_cbranch_execnz .LBB211_371
.LBB211_316:
	s_or_b64 exec, exec, s[16:17]
	s_and_saveexec_b64 s[14:15], s[12:13]
	s_cbranch_execnz .LBB211_372
.LBB211_317:
	s_or_b64 exec, exec, s[14:15]
	s_and_saveexec_b64 s[12:13], s[10:11]
	s_cbranch_execnz .LBB211_373
.LBB211_318:
	s_or_b64 exec, exec, s[12:13]
	s_and_saveexec_b64 s[10:11], s[8:9]
	s_cbranch_execnz .LBB211_374
.LBB211_319:
	s_or_b64 exec, exec, s[10:11]
	s_and_saveexec_b64 s[8:9], s[6:7]
	s_cbranch_execnz .LBB211_375
.LBB211_320:
	s_or_b64 exec, exec, s[8:9]
	s_and_saveexec_b64 s[6:7], s[4:5]
	s_cbranch_execnz .LBB211_376
.LBB211_321:
	s_or_b64 exec, exec, s[6:7]
	s_and_saveexec_b64 s[4:5], s[2:3]
	s_cbranch_execz .LBB211_323
.LBB211_322:
	v_sub_u32_e32 v4, v4, v10
	v_lshlrev_b32_e32 v4, 2, v4
	ds_write_b32 v4, v54
.LBB211_323:
	s_or_b64 exec, exec, s[4:5]
	s_and_b64 s[38:39], s[0:1], exec
                                        ; implicit-def: $vgpr54
                                        ; implicit-def: $vgpr55
                                        ; implicit-def: $vgpr56
                                        ; implicit-def: $vgpr58
                                        ; implicit-def: $vgpr59
                                        ; implicit-def: $vgpr63
                                        ; implicit-def: $vgpr64
                                        ; implicit-def: $vgpr65
                                        ; implicit-def: $vgpr66
                                        ; implicit-def: $vgpr67
                                        ; implicit-def: $vgpr68
                                        ; implicit-def: $vgpr69
                                        ; implicit-def: $vgpr70
                                        ; implicit-def: $vgpr71
                                        ; implicit-def: $vgpr53
                                        ; implicit-def: $vgpr52
                                        ; implicit-def: $vgpr51
                                        ; implicit-def: $vgpr50
                                        ; implicit-def: $vgpr49
                                        ; implicit-def: $vgpr48
                                        ; implicit-def: $vgpr47
                                        ; implicit-def: $vgpr46
                                        ; implicit-def: $vgpr45
                                        ; implicit-def: $vgpr44
                                        ; implicit-def: $vgpr43
                                        ; implicit-def: $vgpr42
                                        ; implicit-def: $vgpr4
	s_andn2_saveexec_b64 s[0:1], s[34:35]
	s_cbranch_execz .LBB211_201
.LBB211_324:
	v_sub_u32_e32 v5, v5, v10
	v_lshlrev_b32_e32 v5, 2, v5
	ds_write_b32 v5, v71
	v_sub_u32_e32 v5, v53, v10
	v_lshlrev_b32_e32 v5, 2, v5
	ds_write_b32 v5, v70
	;; [unrolled: 3-line block ×12, first 2 shown]
	v_sub_u32_e32 v5, v42, v10
	v_sub_u32_e32 v4, v4, v10
	v_lshlrev_b32_e32 v5, 2, v5
	v_lshlrev_b32_e32 v4, 2, v4
	s_or_b64 s[38:39], s[38:39], exec
	ds_write_b32 v5, v55
	ds_write_b32 v4, v54
	s_or_b64 exec, exec, s[0:1]
	s_and_b64 exec, exec, s[38:39]
	s_cbranch_execnz .LBB211_202
	s_branch .LBB211_203
.LBB211_325:
	v_sub_u32_e32 v74, v5, v6
	v_mov_b32_e32 v75, 0
	v_lshlrev_b64 v[74:75], 2, v[74:75]
	v_add_co_u32_e32 v74, vcc, v7, v74
	v_addc_co_u32_e32 v75, vcc, v61, v75, vcc
	global_store_dword v[74:75], v24, off
	s_or_b64 exec, exec, s[42:43]
	s_and_saveexec_b64 s[42:43], s[28:29]
	s_cbranch_execz .LBB211_259
.LBB211_326:
	v_sub_u32_e32 v74, v53, v6
	v_mov_b32_e32 v75, 0
	v_lshlrev_b64 v[74:75], 2, v[74:75]
	v_add_co_u32_e32 v74, vcc, v7, v74
	v_addc_co_u32_e32 v75, vcc, v61, v75, vcc
	global_store_dword v[74:75], v25, off
	s_or_b64 exec, exec, s[42:43]
	s_and_saveexec_b64 s[42:43], s[26:27]
	s_cbranch_execz .LBB211_260
.LBB211_327:
	v_sub_u32_e32 v74, v52, v6
	v_mov_b32_e32 v75, 0
	v_lshlrev_b64 v[74:75], 2, v[74:75]
	v_add_co_u32_e32 v74, vcc, v7, v74
	v_addc_co_u32_e32 v75, vcc, v61, v75, vcc
	global_store_dword v[74:75], v22, off
	s_or_b64 exec, exec, s[42:43]
	s_and_saveexec_b64 s[42:43], s[24:25]
	s_cbranch_execz .LBB211_261
.LBB211_328:
	v_sub_u32_e32 v74, v51, v6
	v_mov_b32_e32 v75, 0
	v_lshlrev_b64 v[74:75], 2, v[74:75]
	v_add_co_u32_e32 v74, vcc, v7, v74
	v_addc_co_u32_e32 v75, vcc, v61, v75, vcc
	global_store_dword v[74:75], v23, off
	s_or_b64 exec, exec, s[42:43]
	s_and_saveexec_b64 s[42:43], s[22:23]
	s_cbranch_execz .LBB211_262
.LBB211_329:
	v_sub_u32_e32 v74, v50, v6
	v_mov_b32_e32 v75, 0
	v_lshlrev_b64 v[74:75], 2, v[74:75]
	v_add_co_u32_e32 v74, vcc, v7, v74
	v_addc_co_u32_e32 v75, vcc, v61, v75, vcc
	global_store_dword v[74:75], v20, off
	s_or_b64 exec, exec, s[42:43]
	s_and_saveexec_b64 s[42:43], s[20:21]
	s_cbranch_execz .LBB211_263
.LBB211_330:
	v_sub_u32_e32 v74, v49, v6
	v_mov_b32_e32 v75, 0
	v_lshlrev_b64 v[74:75], 2, v[74:75]
	v_add_co_u32_e32 v74, vcc, v7, v74
	v_addc_co_u32_e32 v75, vcc, v61, v75, vcc
	global_store_dword v[74:75], v21, off
	s_or_b64 exec, exec, s[42:43]
	s_and_saveexec_b64 s[42:43], s[18:19]
	s_cbranch_execz .LBB211_264
.LBB211_331:
	v_sub_u32_e32 v74, v48, v6
	v_mov_b32_e32 v75, 0
	v_lshlrev_b64 v[74:75], 2, v[74:75]
	v_add_co_u32_e32 v74, vcc, v7, v74
	v_addc_co_u32_e32 v75, vcc, v61, v75, vcc
	global_store_dword v[74:75], v18, off
	s_or_b64 exec, exec, s[42:43]
	s_and_saveexec_b64 s[42:43], s[16:17]
	s_cbranch_execz .LBB211_265
.LBB211_332:
	v_sub_u32_e32 v74, v47, v6
	v_mov_b32_e32 v75, 0
	v_lshlrev_b64 v[74:75], 2, v[74:75]
	v_add_co_u32_e32 v74, vcc, v7, v74
	v_addc_co_u32_e32 v75, vcc, v61, v75, vcc
	global_store_dword v[74:75], v19, off
	s_or_b64 exec, exec, s[42:43]
	s_and_saveexec_b64 s[42:43], s[14:15]
	s_cbranch_execz .LBB211_266
.LBB211_333:
	v_sub_u32_e32 v74, v46, v6
	v_mov_b32_e32 v75, 0
	v_lshlrev_b64 v[74:75], 2, v[74:75]
	v_add_co_u32_e32 v74, vcc, v7, v74
	v_addc_co_u32_e32 v75, vcc, v61, v75, vcc
	global_store_dword v[74:75], v16, off
	s_or_b64 exec, exec, s[42:43]
	s_and_saveexec_b64 s[42:43], s[12:13]
	s_cbranch_execz .LBB211_267
.LBB211_334:
	v_sub_u32_e32 v74, v45, v6
	v_mov_b32_e32 v75, 0
	v_lshlrev_b64 v[74:75], 2, v[74:75]
	v_add_co_u32_e32 v74, vcc, v7, v74
	v_addc_co_u32_e32 v75, vcc, v61, v75, vcc
	global_store_dword v[74:75], v17, off
	s_or_b64 exec, exec, s[42:43]
	s_and_saveexec_b64 s[42:43], s[10:11]
	s_cbranch_execz .LBB211_268
.LBB211_335:
	v_sub_u32_e32 v74, v44, v6
	v_mov_b32_e32 v75, 0
	v_lshlrev_b64 v[74:75], 2, v[74:75]
	v_add_co_u32_e32 v74, vcc, v7, v74
	v_addc_co_u32_e32 v75, vcc, v61, v75, vcc
	global_store_dword v[74:75], v14, off
	s_or_b64 exec, exec, s[42:43]
	s_and_saveexec_b64 s[42:43], s[8:9]
	s_cbranch_execz .LBB211_269
.LBB211_336:
	v_sub_u32_e32 v74, v43, v6
	v_mov_b32_e32 v75, 0
	v_lshlrev_b64 v[74:75], 2, v[74:75]
	v_add_co_u32_e32 v74, vcc, v7, v74
	v_addc_co_u32_e32 v75, vcc, v61, v75, vcc
	global_store_dword v[74:75], v15, off
	s_or_b64 exec, exec, s[42:43]
	s_and_saveexec_b64 s[42:43], s[6:7]
	s_cbranch_execz .LBB211_270
.LBB211_337:
	v_sub_u32_e32 v74, v42, v6
	v_mov_b32_e32 v75, 0
	v_lshlrev_b64 v[74:75], 2, v[74:75]
	v_add_co_u32_e32 v74, vcc, v7, v74
	v_addc_co_u32_e32 v75, vcc, v61, v75, vcc
	global_store_dword v[74:75], v12, off
	s_or_b64 exec, exec, s[42:43]
	s_and_saveexec_b64 s[42:43], s[4:5]
	s_cbranch_execnz .LBB211_271
	s_branch .LBB211_272
.LBB211_338:
	v_sub_u32_e32 v72, v5, v6
	v_lshlrev_b32_e32 v72, 2, v72
	ds_write_b32 v72, v24
	s_or_b64 exec, exec, s[42:43]
	s_and_saveexec_b64 s[30:31], s[28:29]
	s_cbranch_execz .LBB211_276
.LBB211_339:
	v_sub_u32_e32 v24, v53, v6
	v_lshlrev_b32_e32 v24, 2, v24
	ds_write_b32 v24, v25
	s_or_b64 exec, exec, s[30:31]
	s_and_saveexec_b64 s[28:29], s[26:27]
	s_cbranch_execz .LBB211_277
.LBB211_340:
	v_sub_u32_e32 v24, v52, v6
	v_lshlrev_b32_e32 v24, 2, v24
	ds_write_b32 v24, v22
	s_or_b64 exec, exec, s[28:29]
	s_and_saveexec_b64 s[26:27], s[24:25]
	s_cbranch_execz .LBB211_278
.LBB211_341:
	v_sub_u32_e32 v22, v51, v6
	v_lshlrev_b32_e32 v22, 2, v22
	ds_write_b32 v22, v23
	s_or_b64 exec, exec, s[26:27]
	s_and_saveexec_b64 s[24:25], s[22:23]
	s_cbranch_execz .LBB211_279
.LBB211_342:
	v_sub_u32_e32 v22, v50, v6
	v_lshlrev_b32_e32 v22, 2, v22
	ds_write_b32 v22, v20
	s_or_b64 exec, exec, s[24:25]
	s_and_saveexec_b64 s[22:23], s[20:21]
	s_cbranch_execz .LBB211_280
.LBB211_343:
	v_sub_u32_e32 v20, v49, v6
	v_lshlrev_b32_e32 v20, 2, v20
	ds_write_b32 v20, v21
	s_or_b64 exec, exec, s[22:23]
	s_and_saveexec_b64 s[20:21], s[18:19]
	s_cbranch_execz .LBB211_281
.LBB211_344:
	v_sub_u32_e32 v20, v48, v6
	v_lshlrev_b32_e32 v20, 2, v20
	ds_write_b32 v20, v18
	s_or_b64 exec, exec, s[20:21]
	s_and_saveexec_b64 s[18:19], s[16:17]
	s_cbranch_execz .LBB211_282
.LBB211_345:
	v_sub_u32_e32 v18, v47, v6
	v_lshlrev_b32_e32 v18, 2, v18
	ds_write_b32 v18, v19
	s_or_b64 exec, exec, s[18:19]
	s_and_saveexec_b64 s[16:17], s[14:15]
	s_cbranch_execz .LBB211_283
.LBB211_346:
	v_sub_u32_e32 v18, v46, v6
	v_lshlrev_b32_e32 v18, 2, v18
	ds_write_b32 v18, v16
	s_or_b64 exec, exec, s[16:17]
	s_and_saveexec_b64 s[14:15], s[12:13]
	s_cbranch_execz .LBB211_284
.LBB211_347:
	v_sub_u32_e32 v16, v45, v6
	v_lshlrev_b32_e32 v16, 2, v16
	ds_write_b32 v16, v17
	s_or_b64 exec, exec, s[14:15]
	s_and_saveexec_b64 s[12:13], s[10:11]
	s_cbranch_execz .LBB211_285
.LBB211_348:
	v_sub_u32_e32 v16, v44, v6
	v_lshlrev_b32_e32 v16, 2, v16
	ds_write_b32 v16, v14
	s_or_b64 exec, exec, s[12:13]
	s_and_saveexec_b64 s[10:11], s[8:9]
	s_cbranch_execz .LBB211_286
.LBB211_349:
	v_sub_u32_e32 v14, v43, v6
	v_lshlrev_b32_e32 v14, 2, v14
	ds_write_b32 v14, v15
	s_or_b64 exec, exec, s[10:11]
	s_and_saveexec_b64 s[8:9], s[6:7]
	s_cbranch_execz .LBB211_287
.LBB211_350:
	v_sub_u32_e32 v14, v42, v6
	v_lshlrev_b32_e32 v14, 2, v14
	ds_write_b32 v14, v12
	s_or_b64 exec, exec, s[8:9]
	s_and_saveexec_b64 s[6:7], s[4:5]
	s_cbranch_execnz .LBB211_288
	s_branch .LBB211_289
.LBB211_351:
	v_sub_u32_e32 v18, v5, v10
	v_mov_b32_e32 v19, 0
	v_lshlrev_b64 v[18:19], 2, v[18:19]
	v_add_co_u32_e32 v18, vcc, v14, v18
	v_addc_co_u32_e32 v19, vcc, v15, v19, vcc
	global_store_dword v[18:19], v71, off
	s_or_b64 exec, exec, s[38:39]
	s_and_saveexec_b64 s[38:39], s[26:27]
	s_cbranch_execz .LBB211_293
.LBB211_352:
	v_sub_u32_e32 v18, v53, v10
	v_mov_b32_e32 v19, 0
	v_lshlrev_b64 v[18:19], 2, v[18:19]
	v_add_co_u32_e32 v18, vcc, v14, v18
	v_addc_co_u32_e32 v19, vcc, v15, v19, vcc
	global_store_dword v[18:19], v70, off
	s_or_b64 exec, exec, s[38:39]
	s_and_saveexec_b64 s[38:39], s[24:25]
	s_cbranch_execz .LBB211_294
.LBB211_353:
	v_sub_u32_e32 v18, v52, v10
	v_mov_b32_e32 v19, 0
	v_lshlrev_b64 v[18:19], 2, v[18:19]
	v_add_co_u32_e32 v18, vcc, v14, v18
	v_addc_co_u32_e32 v19, vcc, v15, v19, vcc
	global_store_dword v[18:19], v69, off
	s_or_b64 exec, exec, s[38:39]
	s_and_saveexec_b64 s[38:39], s[22:23]
	s_cbranch_execz .LBB211_295
.LBB211_354:
	v_sub_u32_e32 v18, v51, v10
	v_mov_b32_e32 v19, 0
	v_lshlrev_b64 v[18:19], 2, v[18:19]
	v_add_co_u32_e32 v18, vcc, v14, v18
	v_addc_co_u32_e32 v19, vcc, v15, v19, vcc
	global_store_dword v[18:19], v68, off
	s_or_b64 exec, exec, s[38:39]
	s_and_saveexec_b64 s[38:39], s[20:21]
	s_cbranch_execz .LBB211_296
.LBB211_355:
	v_sub_u32_e32 v18, v50, v10
	v_mov_b32_e32 v19, 0
	v_lshlrev_b64 v[18:19], 2, v[18:19]
	v_add_co_u32_e32 v18, vcc, v14, v18
	v_addc_co_u32_e32 v19, vcc, v15, v19, vcc
	global_store_dword v[18:19], v67, off
	s_or_b64 exec, exec, s[38:39]
	s_and_saveexec_b64 s[38:39], s[18:19]
	s_cbranch_execz .LBB211_297
.LBB211_356:
	v_sub_u32_e32 v18, v49, v10
	v_mov_b32_e32 v19, 0
	v_lshlrev_b64 v[18:19], 2, v[18:19]
	v_add_co_u32_e32 v18, vcc, v14, v18
	v_addc_co_u32_e32 v19, vcc, v15, v19, vcc
	global_store_dword v[18:19], v66, off
	s_or_b64 exec, exec, s[38:39]
	s_and_saveexec_b64 s[38:39], s[16:17]
	s_cbranch_execz .LBB211_298
.LBB211_357:
	v_sub_u32_e32 v18, v48, v10
	v_mov_b32_e32 v19, 0
	v_lshlrev_b64 v[18:19], 2, v[18:19]
	v_add_co_u32_e32 v18, vcc, v14, v18
	v_addc_co_u32_e32 v19, vcc, v15, v19, vcc
	global_store_dword v[18:19], v65, off
	s_or_b64 exec, exec, s[38:39]
	s_and_saveexec_b64 s[38:39], s[14:15]
	s_cbranch_execz .LBB211_299
.LBB211_358:
	v_sub_u32_e32 v18, v47, v10
	v_mov_b32_e32 v19, 0
	v_lshlrev_b64 v[18:19], 2, v[18:19]
	v_add_co_u32_e32 v18, vcc, v14, v18
	v_addc_co_u32_e32 v19, vcc, v15, v19, vcc
	global_store_dword v[18:19], v64, off
	s_or_b64 exec, exec, s[38:39]
	s_and_saveexec_b64 s[38:39], s[12:13]
	s_cbranch_execz .LBB211_300
.LBB211_359:
	v_sub_u32_e32 v18, v46, v10
	v_mov_b32_e32 v19, 0
	v_lshlrev_b64 v[18:19], 2, v[18:19]
	v_add_co_u32_e32 v18, vcc, v14, v18
	v_addc_co_u32_e32 v19, vcc, v15, v19, vcc
	global_store_dword v[18:19], v63, off
	s_or_b64 exec, exec, s[38:39]
	s_and_saveexec_b64 s[38:39], s[10:11]
	s_cbranch_execz .LBB211_301
.LBB211_360:
	v_sub_u32_e32 v18, v45, v10
	v_mov_b32_e32 v19, 0
	v_lshlrev_b64 v[18:19], 2, v[18:19]
	v_add_co_u32_e32 v18, vcc, v14, v18
	v_addc_co_u32_e32 v19, vcc, v15, v19, vcc
	global_store_dword v[18:19], v59, off
	s_or_b64 exec, exec, s[38:39]
	s_and_saveexec_b64 s[38:39], s[8:9]
	s_cbranch_execz .LBB211_302
.LBB211_361:
	v_sub_u32_e32 v18, v44, v10
	v_mov_b32_e32 v19, 0
	v_lshlrev_b64 v[18:19], 2, v[18:19]
	v_add_co_u32_e32 v18, vcc, v14, v18
	v_addc_co_u32_e32 v19, vcc, v15, v19, vcc
	global_store_dword v[18:19], v58, off
	s_or_b64 exec, exec, s[38:39]
	s_and_saveexec_b64 s[38:39], s[6:7]
	s_cbranch_execz .LBB211_303
.LBB211_362:
	v_sub_u32_e32 v18, v43, v10
	v_mov_b32_e32 v19, 0
	v_lshlrev_b64 v[18:19], 2, v[18:19]
	v_add_co_u32_e32 v18, vcc, v14, v18
	v_addc_co_u32_e32 v19, vcc, v15, v19, vcc
	global_store_dword v[18:19], v56, off
	s_or_b64 exec, exec, s[38:39]
	s_and_saveexec_b64 s[38:39], s[4:5]
	s_cbranch_execz .LBB211_304
.LBB211_363:
	v_sub_u32_e32 v18, v42, v10
	v_mov_b32_e32 v19, 0
	v_lshlrev_b64 v[18:19], 2, v[18:19]
	v_add_co_u32_e32 v18, vcc, v14, v18
	v_addc_co_u32_e32 v19, vcc, v15, v19, vcc
	global_store_dword v[18:19], v55, off
	s_or_b64 exec, exec, s[38:39]
	s_and_saveexec_b64 s[38:39], s[2:3]
	s_cbranch_execnz .LBB211_305
	s_branch .LBB211_306
.LBB211_364:
	v_sub_u32_e32 v5, v5, v10
	v_lshlrev_b32_e32 v5, 2, v5
	ds_write_b32 v5, v71
	s_or_b64 exec, exec, s[38:39]
	s_and_saveexec_b64 s[28:29], s[26:27]
	s_cbranch_execz .LBB211_310
.LBB211_365:
	v_sub_u32_e32 v5, v53, v10
	v_lshlrev_b32_e32 v5, 2, v5
	ds_write_b32 v5, v70
	s_or_b64 exec, exec, s[28:29]
	s_and_saveexec_b64 s[26:27], s[24:25]
	s_cbranch_execz .LBB211_311
.LBB211_366:
	v_sub_u32_e32 v5, v52, v10
	v_lshlrev_b32_e32 v5, 2, v5
	ds_write_b32 v5, v69
	s_or_b64 exec, exec, s[26:27]
	s_and_saveexec_b64 s[24:25], s[22:23]
	s_cbranch_execz .LBB211_312
.LBB211_367:
	v_sub_u32_e32 v5, v51, v10
	v_lshlrev_b32_e32 v5, 2, v5
	ds_write_b32 v5, v68
	s_or_b64 exec, exec, s[24:25]
	s_and_saveexec_b64 s[22:23], s[20:21]
	s_cbranch_execz .LBB211_313
.LBB211_368:
	v_sub_u32_e32 v5, v50, v10
	v_lshlrev_b32_e32 v5, 2, v5
	ds_write_b32 v5, v67
	s_or_b64 exec, exec, s[22:23]
	s_and_saveexec_b64 s[20:21], s[18:19]
	s_cbranch_execz .LBB211_314
.LBB211_369:
	v_sub_u32_e32 v5, v49, v10
	v_lshlrev_b32_e32 v5, 2, v5
	ds_write_b32 v5, v66
	s_or_b64 exec, exec, s[20:21]
	s_and_saveexec_b64 s[18:19], s[16:17]
	s_cbranch_execz .LBB211_315
.LBB211_370:
	v_sub_u32_e32 v5, v48, v10
	v_lshlrev_b32_e32 v5, 2, v5
	ds_write_b32 v5, v65
	s_or_b64 exec, exec, s[18:19]
	s_and_saveexec_b64 s[16:17], s[14:15]
	s_cbranch_execz .LBB211_316
.LBB211_371:
	v_sub_u32_e32 v5, v47, v10
	v_lshlrev_b32_e32 v5, 2, v5
	ds_write_b32 v5, v64
	s_or_b64 exec, exec, s[16:17]
	s_and_saveexec_b64 s[14:15], s[12:13]
	s_cbranch_execz .LBB211_317
.LBB211_372:
	v_sub_u32_e32 v5, v46, v10
	v_lshlrev_b32_e32 v5, 2, v5
	ds_write_b32 v5, v63
	s_or_b64 exec, exec, s[14:15]
	s_and_saveexec_b64 s[12:13], s[10:11]
	s_cbranch_execz .LBB211_318
.LBB211_373:
	v_sub_u32_e32 v5, v45, v10
	v_lshlrev_b32_e32 v5, 2, v5
	ds_write_b32 v5, v59
	s_or_b64 exec, exec, s[12:13]
	s_and_saveexec_b64 s[10:11], s[8:9]
	s_cbranch_execz .LBB211_319
.LBB211_374:
	v_sub_u32_e32 v5, v44, v10
	v_lshlrev_b32_e32 v5, 2, v5
	ds_write_b32 v5, v58
	s_or_b64 exec, exec, s[10:11]
	s_and_saveexec_b64 s[8:9], s[6:7]
	s_cbranch_execz .LBB211_320
.LBB211_375:
	v_sub_u32_e32 v5, v43, v10
	v_lshlrev_b32_e32 v5, 2, v5
	ds_write_b32 v5, v56
	s_or_b64 exec, exec, s[8:9]
	s_and_saveexec_b64 s[6:7], s[4:5]
	s_cbranch_execz .LBB211_321
.LBB211_376:
	v_sub_u32_e32 v5, v42, v10
	v_lshlrev_b32_e32 v5, 2, v5
	ds_write_b32 v5, v55
	s_or_b64 exec, exec, s[6:7]
	s_and_saveexec_b64 s[4:5], s[2:3]
	s_cbranch_execnz .LBB211_322
	s_branch .LBB211_323
	.section	.rodata,"a",@progbits
	.p2align	6, 0x0
	.amdhsa_kernel _ZN7rocprim17ROCPRIM_400000_NS6detail17trampoline_kernelINS0_14default_configENS1_29reduce_by_key_config_selectorIffN6thrust23THRUST_200600_302600_NS4plusIfEEEEZZNS1_33reduce_by_key_impl_wrapped_configILNS1_25lookback_scan_determinismE0ES3_S9_NS6_6detail15normal_iteratorINS6_10device_ptrIfEEEESG_SG_SG_PmS8_22is_equal_div_10_reduceIfEEE10hipError_tPvRmT2_T3_mT4_T5_T6_T7_T8_P12ihipStream_tbENKUlT_T0_E_clISt17integral_constantIbLb1EES11_EEDaSW_SX_EUlSW_E_NS1_11comp_targetILNS1_3genE4ELNS1_11target_archE910ELNS1_3gpuE8ELNS1_3repE0EEENS1_30default_config_static_selectorELNS0_4arch9wavefront6targetE1EEEvT1_
		.amdhsa_group_segment_fixed_size 15360
		.amdhsa_private_segment_fixed_size 0
		.amdhsa_kernarg_size 120
		.amdhsa_user_sgpr_count 6
		.amdhsa_user_sgpr_private_segment_buffer 1
		.amdhsa_user_sgpr_dispatch_ptr 0
		.amdhsa_user_sgpr_queue_ptr 0
		.amdhsa_user_sgpr_kernarg_segment_ptr 1
		.amdhsa_user_sgpr_dispatch_id 0
		.amdhsa_user_sgpr_flat_scratch_init 0
		.amdhsa_user_sgpr_kernarg_preload_length 0
		.amdhsa_user_sgpr_kernarg_preload_offset 0
		.amdhsa_user_sgpr_private_segment_size 0
		.amdhsa_uses_dynamic_stack 0
		.amdhsa_system_sgpr_private_segment_wavefront_offset 0
		.amdhsa_system_sgpr_workgroup_id_x 1
		.amdhsa_system_sgpr_workgroup_id_y 0
		.amdhsa_system_sgpr_workgroup_id_z 0
		.amdhsa_system_sgpr_workgroup_info 0
		.amdhsa_system_vgpr_workitem_id 0
		.amdhsa_next_free_vgpr 106
		.amdhsa_next_free_sgpr 66
		.amdhsa_accum_offset 108
		.amdhsa_reserve_vcc 1
		.amdhsa_reserve_flat_scratch 0
		.amdhsa_float_round_mode_32 0
		.amdhsa_float_round_mode_16_64 0
		.amdhsa_float_denorm_mode_32 3
		.amdhsa_float_denorm_mode_16_64 3
		.amdhsa_dx10_clamp 1
		.amdhsa_ieee_mode 1
		.amdhsa_fp16_overflow 0
		.amdhsa_tg_split 0
		.amdhsa_exception_fp_ieee_invalid_op 0
		.amdhsa_exception_fp_denorm_src 0
		.amdhsa_exception_fp_ieee_div_zero 0
		.amdhsa_exception_fp_ieee_overflow 0
		.amdhsa_exception_fp_ieee_underflow 0
		.amdhsa_exception_fp_ieee_inexact 0
		.amdhsa_exception_int_div_zero 0
	.end_amdhsa_kernel
	.section	.text._ZN7rocprim17ROCPRIM_400000_NS6detail17trampoline_kernelINS0_14default_configENS1_29reduce_by_key_config_selectorIffN6thrust23THRUST_200600_302600_NS4plusIfEEEEZZNS1_33reduce_by_key_impl_wrapped_configILNS1_25lookback_scan_determinismE0ES3_S9_NS6_6detail15normal_iteratorINS6_10device_ptrIfEEEESG_SG_SG_PmS8_22is_equal_div_10_reduceIfEEE10hipError_tPvRmT2_T3_mT4_T5_T6_T7_T8_P12ihipStream_tbENKUlT_T0_E_clISt17integral_constantIbLb1EES11_EEDaSW_SX_EUlSW_E_NS1_11comp_targetILNS1_3genE4ELNS1_11target_archE910ELNS1_3gpuE8ELNS1_3repE0EEENS1_30default_config_static_selectorELNS0_4arch9wavefront6targetE1EEEvT1_,"axG",@progbits,_ZN7rocprim17ROCPRIM_400000_NS6detail17trampoline_kernelINS0_14default_configENS1_29reduce_by_key_config_selectorIffN6thrust23THRUST_200600_302600_NS4plusIfEEEEZZNS1_33reduce_by_key_impl_wrapped_configILNS1_25lookback_scan_determinismE0ES3_S9_NS6_6detail15normal_iteratorINS6_10device_ptrIfEEEESG_SG_SG_PmS8_22is_equal_div_10_reduceIfEEE10hipError_tPvRmT2_T3_mT4_T5_T6_T7_T8_P12ihipStream_tbENKUlT_T0_E_clISt17integral_constantIbLb1EES11_EEDaSW_SX_EUlSW_E_NS1_11comp_targetILNS1_3genE4ELNS1_11target_archE910ELNS1_3gpuE8ELNS1_3repE0EEENS1_30default_config_static_selectorELNS0_4arch9wavefront6targetE1EEEvT1_,comdat
.Lfunc_end211:
	.size	_ZN7rocprim17ROCPRIM_400000_NS6detail17trampoline_kernelINS0_14default_configENS1_29reduce_by_key_config_selectorIffN6thrust23THRUST_200600_302600_NS4plusIfEEEEZZNS1_33reduce_by_key_impl_wrapped_configILNS1_25lookback_scan_determinismE0ES3_S9_NS6_6detail15normal_iteratorINS6_10device_ptrIfEEEESG_SG_SG_PmS8_22is_equal_div_10_reduceIfEEE10hipError_tPvRmT2_T3_mT4_T5_T6_T7_T8_P12ihipStream_tbENKUlT_T0_E_clISt17integral_constantIbLb1EES11_EEDaSW_SX_EUlSW_E_NS1_11comp_targetILNS1_3genE4ELNS1_11target_archE910ELNS1_3gpuE8ELNS1_3repE0EEENS1_30default_config_static_selectorELNS0_4arch9wavefront6targetE1EEEvT1_, .Lfunc_end211-_ZN7rocprim17ROCPRIM_400000_NS6detail17trampoline_kernelINS0_14default_configENS1_29reduce_by_key_config_selectorIffN6thrust23THRUST_200600_302600_NS4plusIfEEEEZZNS1_33reduce_by_key_impl_wrapped_configILNS1_25lookback_scan_determinismE0ES3_S9_NS6_6detail15normal_iteratorINS6_10device_ptrIfEEEESG_SG_SG_PmS8_22is_equal_div_10_reduceIfEEE10hipError_tPvRmT2_T3_mT4_T5_T6_T7_T8_P12ihipStream_tbENKUlT_T0_E_clISt17integral_constantIbLb1EES11_EEDaSW_SX_EUlSW_E_NS1_11comp_targetILNS1_3genE4ELNS1_11target_archE910ELNS1_3gpuE8ELNS1_3repE0EEENS1_30default_config_static_selectorELNS0_4arch9wavefront6targetE1EEEvT1_
                                        ; -- End function
	.section	.AMDGPU.csdata,"",@progbits
; Kernel info:
; codeLenInByte = 20124
; NumSgprs: 70
; NumVgprs: 106
; NumAgprs: 0
; TotalNumVgprs: 106
; ScratchSize: 0
; MemoryBound: 0
; FloatMode: 240
; IeeeMode: 1
; LDSByteSize: 15360 bytes/workgroup (compile time only)
; SGPRBlocks: 8
; VGPRBlocks: 13
; NumSGPRsForWavesPerEU: 70
; NumVGPRsForWavesPerEU: 106
; AccumOffset: 108
; Occupancy: 4
; WaveLimiterHint : 1
; COMPUTE_PGM_RSRC2:SCRATCH_EN: 0
; COMPUTE_PGM_RSRC2:USER_SGPR: 6
; COMPUTE_PGM_RSRC2:TRAP_HANDLER: 0
; COMPUTE_PGM_RSRC2:TGID_X_EN: 1
; COMPUTE_PGM_RSRC2:TGID_Y_EN: 0
; COMPUTE_PGM_RSRC2:TGID_Z_EN: 0
; COMPUTE_PGM_RSRC2:TIDIG_COMP_CNT: 0
; COMPUTE_PGM_RSRC3_GFX90A:ACCUM_OFFSET: 26
; COMPUTE_PGM_RSRC3_GFX90A:TG_SPLIT: 0
	.section	.text._ZN7rocprim17ROCPRIM_400000_NS6detail17trampoline_kernelINS0_14default_configENS1_29reduce_by_key_config_selectorIffN6thrust23THRUST_200600_302600_NS4plusIfEEEEZZNS1_33reduce_by_key_impl_wrapped_configILNS1_25lookback_scan_determinismE0ES3_S9_NS6_6detail15normal_iteratorINS6_10device_ptrIfEEEESG_SG_SG_PmS8_22is_equal_div_10_reduceIfEEE10hipError_tPvRmT2_T3_mT4_T5_T6_T7_T8_P12ihipStream_tbENKUlT_T0_E_clISt17integral_constantIbLb1EES11_EEDaSW_SX_EUlSW_E_NS1_11comp_targetILNS1_3genE3ELNS1_11target_archE908ELNS1_3gpuE7ELNS1_3repE0EEENS1_30default_config_static_selectorELNS0_4arch9wavefront6targetE1EEEvT1_,"axG",@progbits,_ZN7rocprim17ROCPRIM_400000_NS6detail17trampoline_kernelINS0_14default_configENS1_29reduce_by_key_config_selectorIffN6thrust23THRUST_200600_302600_NS4plusIfEEEEZZNS1_33reduce_by_key_impl_wrapped_configILNS1_25lookback_scan_determinismE0ES3_S9_NS6_6detail15normal_iteratorINS6_10device_ptrIfEEEESG_SG_SG_PmS8_22is_equal_div_10_reduceIfEEE10hipError_tPvRmT2_T3_mT4_T5_T6_T7_T8_P12ihipStream_tbENKUlT_T0_E_clISt17integral_constantIbLb1EES11_EEDaSW_SX_EUlSW_E_NS1_11comp_targetILNS1_3genE3ELNS1_11target_archE908ELNS1_3gpuE7ELNS1_3repE0EEENS1_30default_config_static_selectorELNS0_4arch9wavefront6targetE1EEEvT1_,comdat
	.protected	_ZN7rocprim17ROCPRIM_400000_NS6detail17trampoline_kernelINS0_14default_configENS1_29reduce_by_key_config_selectorIffN6thrust23THRUST_200600_302600_NS4plusIfEEEEZZNS1_33reduce_by_key_impl_wrapped_configILNS1_25lookback_scan_determinismE0ES3_S9_NS6_6detail15normal_iteratorINS6_10device_ptrIfEEEESG_SG_SG_PmS8_22is_equal_div_10_reduceIfEEE10hipError_tPvRmT2_T3_mT4_T5_T6_T7_T8_P12ihipStream_tbENKUlT_T0_E_clISt17integral_constantIbLb1EES11_EEDaSW_SX_EUlSW_E_NS1_11comp_targetILNS1_3genE3ELNS1_11target_archE908ELNS1_3gpuE7ELNS1_3repE0EEENS1_30default_config_static_selectorELNS0_4arch9wavefront6targetE1EEEvT1_ ; -- Begin function _ZN7rocprim17ROCPRIM_400000_NS6detail17trampoline_kernelINS0_14default_configENS1_29reduce_by_key_config_selectorIffN6thrust23THRUST_200600_302600_NS4plusIfEEEEZZNS1_33reduce_by_key_impl_wrapped_configILNS1_25lookback_scan_determinismE0ES3_S9_NS6_6detail15normal_iteratorINS6_10device_ptrIfEEEESG_SG_SG_PmS8_22is_equal_div_10_reduceIfEEE10hipError_tPvRmT2_T3_mT4_T5_T6_T7_T8_P12ihipStream_tbENKUlT_T0_E_clISt17integral_constantIbLb1EES11_EEDaSW_SX_EUlSW_E_NS1_11comp_targetILNS1_3genE3ELNS1_11target_archE908ELNS1_3gpuE7ELNS1_3repE0EEENS1_30default_config_static_selectorELNS0_4arch9wavefront6targetE1EEEvT1_
	.globl	_ZN7rocprim17ROCPRIM_400000_NS6detail17trampoline_kernelINS0_14default_configENS1_29reduce_by_key_config_selectorIffN6thrust23THRUST_200600_302600_NS4plusIfEEEEZZNS1_33reduce_by_key_impl_wrapped_configILNS1_25lookback_scan_determinismE0ES3_S9_NS6_6detail15normal_iteratorINS6_10device_ptrIfEEEESG_SG_SG_PmS8_22is_equal_div_10_reduceIfEEE10hipError_tPvRmT2_T3_mT4_T5_T6_T7_T8_P12ihipStream_tbENKUlT_T0_E_clISt17integral_constantIbLb1EES11_EEDaSW_SX_EUlSW_E_NS1_11comp_targetILNS1_3genE3ELNS1_11target_archE908ELNS1_3gpuE7ELNS1_3repE0EEENS1_30default_config_static_selectorELNS0_4arch9wavefront6targetE1EEEvT1_
	.p2align	8
	.type	_ZN7rocprim17ROCPRIM_400000_NS6detail17trampoline_kernelINS0_14default_configENS1_29reduce_by_key_config_selectorIffN6thrust23THRUST_200600_302600_NS4plusIfEEEEZZNS1_33reduce_by_key_impl_wrapped_configILNS1_25lookback_scan_determinismE0ES3_S9_NS6_6detail15normal_iteratorINS6_10device_ptrIfEEEESG_SG_SG_PmS8_22is_equal_div_10_reduceIfEEE10hipError_tPvRmT2_T3_mT4_T5_T6_T7_T8_P12ihipStream_tbENKUlT_T0_E_clISt17integral_constantIbLb1EES11_EEDaSW_SX_EUlSW_E_NS1_11comp_targetILNS1_3genE3ELNS1_11target_archE908ELNS1_3gpuE7ELNS1_3repE0EEENS1_30default_config_static_selectorELNS0_4arch9wavefront6targetE1EEEvT1_,@function
_ZN7rocprim17ROCPRIM_400000_NS6detail17trampoline_kernelINS0_14default_configENS1_29reduce_by_key_config_selectorIffN6thrust23THRUST_200600_302600_NS4plusIfEEEEZZNS1_33reduce_by_key_impl_wrapped_configILNS1_25lookback_scan_determinismE0ES3_S9_NS6_6detail15normal_iteratorINS6_10device_ptrIfEEEESG_SG_SG_PmS8_22is_equal_div_10_reduceIfEEE10hipError_tPvRmT2_T3_mT4_T5_T6_T7_T8_P12ihipStream_tbENKUlT_T0_E_clISt17integral_constantIbLb1EES11_EEDaSW_SX_EUlSW_E_NS1_11comp_targetILNS1_3genE3ELNS1_11target_archE908ELNS1_3gpuE7ELNS1_3repE0EEENS1_30default_config_static_selectorELNS0_4arch9wavefront6targetE1EEEvT1_: ; @_ZN7rocprim17ROCPRIM_400000_NS6detail17trampoline_kernelINS0_14default_configENS1_29reduce_by_key_config_selectorIffN6thrust23THRUST_200600_302600_NS4plusIfEEEEZZNS1_33reduce_by_key_impl_wrapped_configILNS1_25lookback_scan_determinismE0ES3_S9_NS6_6detail15normal_iteratorINS6_10device_ptrIfEEEESG_SG_SG_PmS8_22is_equal_div_10_reduceIfEEE10hipError_tPvRmT2_T3_mT4_T5_T6_T7_T8_P12ihipStream_tbENKUlT_T0_E_clISt17integral_constantIbLb1EES11_EEDaSW_SX_EUlSW_E_NS1_11comp_targetILNS1_3genE3ELNS1_11target_archE908ELNS1_3gpuE7ELNS1_3repE0EEENS1_30default_config_static_selectorELNS0_4arch9wavefront6targetE1EEEvT1_
; %bb.0:
	.section	.rodata,"a",@progbits
	.p2align	6, 0x0
	.amdhsa_kernel _ZN7rocprim17ROCPRIM_400000_NS6detail17trampoline_kernelINS0_14default_configENS1_29reduce_by_key_config_selectorIffN6thrust23THRUST_200600_302600_NS4plusIfEEEEZZNS1_33reduce_by_key_impl_wrapped_configILNS1_25lookback_scan_determinismE0ES3_S9_NS6_6detail15normal_iteratorINS6_10device_ptrIfEEEESG_SG_SG_PmS8_22is_equal_div_10_reduceIfEEE10hipError_tPvRmT2_T3_mT4_T5_T6_T7_T8_P12ihipStream_tbENKUlT_T0_E_clISt17integral_constantIbLb1EES11_EEDaSW_SX_EUlSW_E_NS1_11comp_targetILNS1_3genE3ELNS1_11target_archE908ELNS1_3gpuE7ELNS1_3repE0EEENS1_30default_config_static_selectorELNS0_4arch9wavefront6targetE1EEEvT1_
		.amdhsa_group_segment_fixed_size 0
		.amdhsa_private_segment_fixed_size 0
		.amdhsa_kernarg_size 120
		.amdhsa_user_sgpr_count 6
		.amdhsa_user_sgpr_private_segment_buffer 1
		.amdhsa_user_sgpr_dispatch_ptr 0
		.amdhsa_user_sgpr_queue_ptr 0
		.amdhsa_user_sgpr_kernarg_segment_ptr 1
		.amdhsa_user_sgpr_dispatch_id 0
		.amdhsa_user_sgpr_flat_scratch_init 0
		.amdhsa_user_sgpr_kernarg_preload_length 0
		.amdhsa_user_sgpr_kernarg_preload_offset 0
		.amdhsa_user_sgpr_private_segment_size 0
		.amdhsa_uses_dynamic_stack 0
		.amdhsa_system_sgpr_private_segment_wavefront_offset 0
		.amdhsa_system_sgpr_workgroup_id_x 1
		.amdhsa_system_sgpr_workgroup_id_y 0
		.amdhsa_system_sgpr_workgroup_id_z 0
		.amdhsa_system_sgpr_workgroup_info 0
		.amdhsa_system_vgpr_workitem_id 0
		.amdhsa_next_free_vgpr 1
		.amdhsa_next_free_sgpr 0
		.amdhsa_accum_offset 4
		.amdhsa_reserve_vcc 0
		.amdhsa_reserve_flat_scratch 0
		.amdhsa_float_round_mode_32 0
		.amdhsa_float_round_mode_16_64 0
		.amdhsa_float_denorm_mode_32 3
		.amdhsa_float_denorm_mode_16_64 3
		.amdhsa_dx10_clamp 1
		.amdhsa_ieee_mode 1
		.amdhsa_fp16_overflow 0
		.amdhsa_tg_split 0
		.amdhsa_exception_fp_ieee_invalid_op 0
		.amdhsa_exception_fp_denorm_src 0
		.amdhsa_exception_fp_ieee_div_zero 0
		.amdhsa_exception_fp_ieee_overflow 0
		.amdhsa_exception_fp_ieee_underflow 0
		.amdhsa_exception_fp_ieee_inexact 0
		.amdhsa_exception_int_div_zero 0
	.end_amdhsa_kernel
	.section	.text._ZN7rocprim17ROCPRIM_400000_NS6detail17trampoline_kernelINS0_14default_configENS1_29reduce_by_key_config_selectorIffN6thrust23THRUST_200600_302600_NS4plusIfEEEEZZNS1_33reduce_by_key_impl_wrapped_configILNS1_25lookback_scan_determinismE0ES3_S9_NS6_6detail15normal_iteratorINS6_10device_ptrIfEEEESG_SG_SG_PmS8_22is_equal_div_10_reduceIfEEE10hipError_tPvRmT2_T3_mT4_T5_T6_T7_T8_P12ihipStream_tbENKUlT_T0_E_clISt17integral_constantIbLb1EES11_EEDaSW_SX_EUlSW_E_NS1_11comp_targetILNS1_3genE3ELNS1_11target_archE908ELNS1_3gpuE7ELNS1_3repE0EEENS1_30default_config_static_selectorELNS0_4arch9wavefront6targetE1EEEvT1_,"axG",@progbits,_ZN7rocprim17ROCPRIM_400000_NS6detail17trampoline_kernelINS0_14default_configENS1_29reduce_by_key_config_selectorIffN6thrust23THRUST_200600_302600_NS4plusIfEEEEZZNS1_33reduce_by_key_impl_wrapped_configILNS1_25lookback_scan_determinismE0ES3_S9_NS6_6detail15normal_iteratorINS6_10device_ptrIfEEEESG_SG_SG_PmS8_22is_equal_div_10_reduceIfEEE10hipError_tPvRmT2_T3_mT4_T5_T6_T7_T8_P12ihipStream_tbENKUlT_T0_E_clISt17integral_constantIbLb1EES11_EEDaSW_SX_EUlSW_E_NS1_11comp_targetILNS1_3genE3ELNS1_11target_archE908ELNS1_3gpuE7ELNS1_3repE0EEENS1_30default_config_static_selectorELNS0_4arch9wavefront6targetE1EEEvT1_,comdat
.Lfunc_end212:
	.size	_ZN7rocprim17ROCPRIM_400000_NS6detail17trampoline_kernelINS0_14default_configENS1_29reduce_by_key_config_selectorIffN6thrust23THRUST_200600_302600_NS4plusIfEEEEZZNS1_33reduce_by_key_impl_wrapped_configILNS1_25lookback_scan_determinismE0ES3_S9_NS6_6detail15normal_iteratorINS6_10device_ptrIfEEEESG_SG_SG_PmS8_22is_equal_div_10_reduceIfEEE10hipError_tPvRmT2_T3_mT4_T5_T6_T7_T8_P12ihipStream_tbENKUlT_T0_E_clISt17integral_constantIbLb1EES11_EEDaSW_SX_EUlSW_E_NS1_11comp_targetILNS1_3genE3ELNS1_11target_archE908ELNS1_3gpuE7ELNS1_3repE0EEENS1_30default_config_static_selectorELNS0_4arch9wavefront6targetE1EEEvT1_, .Lfunc_end212-_ZN7rocprim17ROCPRIM_400000_NS6detail17trampoline_kernelINS0_14default_configENS1_29reduce_by_key_config_selectorIffN6thrust23THRUST_200600_302600_NS4plusIfEEEEZZNS1_33reduce_by_key_impl_wrapped_configILNS1_25lookback_scan_determinismE0ES3_S9_NS6_6detail15normal_iteratorINS6_10device_ptrIfEEEESG_SG_SG_PmS8_22is_equal_div_10_reduceIfEEE10hipError_tPvRmT2_T3_mT4_T5_T6_T7_T8_P12ihipStream_tbENKUlT_T0_E_clISt17integral_constantIbLb1EES11_EEDaSW_SX_EUlSW_E_NS1_11comp_targetILNS1_3genE3ELNS1_11target_archE908ELNS1_3gpuE7ELNS1_3repE0EEENS1_30default_config_static_selectorELNS0_4arch9wavefront6targetE1EEEvT1_
                                        ; -- End function
	.section	.AMDGPU.csdata,"",@progbits
; Kernel info:
; codeLenInByte = 0
; NumSgprs: 4
; NumVgprs: 0
; NumAgprs: 0
; TotalNumVgprs: 0
; ScratchSize: 0
; MemoryBound: 0
; FloatMode: 240
; IeeeMode: 1
; LDSByteSize: 0 bytes/workgroup (compile time only)
; SGPRBlocks: 0
; VGPRBlocks: 0
; NumSGPRsForWavesPerEU: 4
; NumVGPRsForWavesPerEU: 1
; AccumOffset: 4
; Occupancy: 8
; WaveLimiterHint : 0
; COMPUTE_PGM_RSRC2:SCRATCH_EN: 0
; COMPUTE_PGM_RSRC2:USER_SGPR: 6
; COMPUTE_PGM_RSRC2:TRAP_HANDLER: 0
; COMPUTE_PGM_RSRC2:TGID_X_EN: 1
; COMPUTE_PGM_RSRC2:TGID_Y_EN: 0
; COMPUTE_PGM_RSRC2:TGID_Z_EN: 0
; COMPUTE_PGM_RSRC2:TIDIG_COMP_CNT: 0
; COMPUTE_PGM_RSRC3_GFX90A:ACCUM_OFFSET: 0
; COMPUTE_PGM_RSRC3_GFX90A:TG_SPLIT: 0
	.section	.text._ZN7rocprim17ROCPRIM_400000_NS6detail17trampoline_kernelINS0_14default_configENS1_29reduce_by_key_config_selectorIffN6thrust23THRUST_200600_302600_NS4plusIfEEEEZZNS1_33reduce_by_key_impl_wrapped_configILNS1_25lookback_scan_determinismE0ES3_S9_NS6_6detail15normal_iteratorINS6_10device_ptrIfEEEESG_SG_SG_PmS8_22is_equal_div_10_reduceIfEEE10hipError_tPvRmT2_T3_mT4_T5_T6_T7_T8_P12ihipStream_tbENKUlT_T0_E_clISt17integral_constantIbLb1EES11_EEDaSW_SX_EUlSW_E_NS1_11comp_targetILNS1_3genE2ELNS1_11target_archE906ELNS1_3gpuE6ELNS1_3repE0EEENS1_30default_config_static_selectorELNS0_4arch9wavefront6targetE1EEEvT1_,"axG",@progbits,_ZN7rocprim17ROCPRIM_400000_NS6detail17trampoline_kernelINS0_14default_configENS1_29reduce_by_key_config_selectorIffN6thrust23THRUST_200600_302600_NS4plusIfEEEEZZNS1_33reduce_by_key_impl_wrapped_configILNS1_25lookback_scan_determinismE0ES3_S9_NS6_6detail15normal_iteratorINS6_10device_ptrIfEEEESG_SG_SG_PmS8_22is_equal_div_10_reduceIfEEE10hipError_tPvRmT2_T3_mT4_T5_T6_T7_T8_P12ihipStream_tbENKUlT_T0_E_clISt17integral_constantIbLb1EES11_EEDaSW_SX_EUlSW_E_NS1_11comp_targetILNS1_3genE2ELNS1_11target_archE906ELNS1_3gpuE6ELNS1_3repE0EEENS1_30default_config_static_selectorELNS0_4arch9wavefront6targetE1EEEvT1_,comdat
	.protected	_ZN7rocprim17ROCPRIM_400000_NS6detail17trampoline_kernelINS0_14default_configENS1_29reduce_by_key_config_selectorIffN6thrust23THRUST_200600_302600_NS4plusIfEEEEZZNS1_33reduce_by_key_impl_wrapped_configILNS1_25lookback_scan_determinismE0ES3_S9_NS6_6detail15normal_iteratorINS6_10device_ptrIfEEEESG_SG_SG_PmS8_22is_equal_div_10_reduceIfEEE10hipError_tPvRmT2_T3_mT4_T5_T6_T7_T8_P12ihipStream_tbENKUlT_T0_E_clISt17integral_constantIbLb1EES11_EEDaSW_SX_EUlSW_E_NS1_11comp_targetILNS1_3genE2ELNS1_11target_archE906ELNS1_3gpuE6ELNS1_3repE0EEENS1_30default_config_static_selectorELNS0_4arch9wavefront6targetE1EEEvT1_ ; -- Begin function _ZN7rocprim17ROCPRIM_400000_NS6detail17trampoline_kernelINS0_14default_configENS1_29reduce_by_key_config_selectorIffN6thrust23THRUST_200600_302600_NS4plusIfEEEEZZNS1_33reduce_by_key_impl_wrapped_configILNS1_25lookback_scan_determinismE0ES3_S9_NS6_6detail15normal_iteratorINS6_10device_ptrIfEEEESG_SG_SG_PmS8_22is_equal_div_10_reduceIfEEE10hipError_tPvRmT2_T3_mT4_T5_T6_T7_T8_P12ihipStream_tbENKUlT_T0_E_clISt17integral_constantIbLb1EES11_EEDaSW_SX_EUlSW_E_NS1_11comp_targetILNS1_3genE2ELNS1_11target_archE906ELNS1_3gpuE6ELNS1_3repE0EEENS1_30default_config_static_selectorELNS0_4arch9wavefront6targetE1EEEvT1_
	.globl	_ZN7rocprim17ROCPRIM_400000_NS6detail17trampoline_kernelINS0_14default_configENS1_29reduce_by_key_config_selectorIffN6thrust23THRUST_200600_302600_NS4plusIfEEEEZZNS1_33reduce_by_key_impl_wrapped_configILNS1_25lookback_scan_determinismE0ES3_S9_NS6_6detail15normal_iteratorINS6_10device_ptrIfEEEESG_SG_SG_PmS8_22is_equal_div_10_reduceIfEEE10hipError_tPvRmT2_T3_mT4_T5_T6_T7_T8_P12ihipStream_tbENKUlT_T0_E_clISt17integral_constantIbLb1EES11_EEDaSW_SX_EUlSW_E_NS1_11comp_targetILNS1_3genE2ELNS1_11target_archE906ELNS1_3gpuE6ELNS1_3repE0EEENS1_30default_config_static_selectorELNS0_4arch9wavefront6targetE1EEEvT1_
	.p2align	8
	.type	_ZN7rocprim17ROCPRIM_400000_NS6detail17trampoline_kernelINS0_14default_configENS1_29reduce_by_key_config_selectorIffN6thrust23THRUST_200600_302600_NS4plusIfEEEEZZNS1_33reduce_by_key_impl_wrapped_configILNS1_25lookback_scan_determinismE0ES3_S9_NS6_6detail15normal_iteratorINS6_10device_ptrIfEEEESG_SG_SG_PmS8_22is_equal_div_10_reduceIfEEE10hipError_tPvRmT2_T3_mT4_T5_T6_T7_T8_P12ihipStream_tbENKUlT_T0_E_clISt17integral_constantIbLb1EES11_EEDaSW_SX_EUlSW_E_NS1_11comp_targetILNS1_3genE2ELNS1_11target_archE906ELNS1_3gpuE6ELNS1_3repE0EEENS1_30default_config_static_selectorELNS0_4arch9wavefront6targetE1EEEvT1_,@function
_ZN7rocprim17ROCPRIM_400000_NS6detail17trampoline_kernelINS0_14default_configENS1_29reduce_by_key_config_selectorIffN6thrust23THRUST_200600_302600_NS4plusIfEEEEZZNS1_33reduce_by_key_impl_wrapped_configILNS1_25lookback_scan_determinismE0ES3_S9_NS6_6detail15normal_iteratorINS6_10device_ptrIfEEEESG_SG_SG_PmS8_22is_equal_div_10_reduceIfEEE10hipError_tPvRmT2_T3_mT4_T5_T6_T7_T8_P12ihipStream_tbENKUlT_T0_E_clISt17integral_constantIbLb1EES11_EEDaSW_SX_EUlSW_E_NS1_11comp_targetILNS1_3genE2ELNS1_11target_archE906ELNS1_3gpuE6ELNS1_3repE0EEENS1_30default_config_static_selectorELNS0_4arch9wavefront6targetE1EEEvT1_: ; @_ZN7rocprim17ROCPRIM_400000_NS6detail17trampoline_kernelINS0_14default_configENS1_29reduce_by_key_config_selectorIffN6thrust23THRUST_200600_302600_NS4plusIfEEEEZZNS1_33reduce_by_key_impl_wrapped_configILNS1_25lookback_scan_determinismE0ES3_S9_NS6_6detail15normal_iteratorINS6_10device_ptrIfEEEESG_SG_SG_PmS8_22is_equal_div_10_reduceIfEEE10hipError_tPvRmT2_T3_mT4_T5_T6_T7_T8_P12ihipStream_tbENKUlT_T0_E_clISt17integral_constantIbLb1EES11_EEDaSW_SX_EUlSW_E_NS1_11comp_targetILNS1_3genE2ELNS1_11target_archE906ELNS1_3gpuE6ELNS1_3repE0EEENS1_30default_config_static_selectorELNS0_4arch9wavefront6targetE1EEEvT1_
; %bb.0:
	.section	.rodata,"a",@progbits
	.p2align	6, 0x0
	.amdhsa_kernel _ZN7rocprim17ROCPRIM_400000_NS6detail17trampoline_kernelINS0_14default_configENS1_29reduce_by_key_config_selectorIffN6thrust23THRUST_200600_302600_NS4plusIfEEEEZZNS1_33reduce_by_key_impl_wrapped_configILNS1_25lookback_scan_determinismE0ES3_S9_NS6_6detail15normal_iteratorINS6_10device_ptrIfEEEESG_SG_SG_PmS8_22is_equal_div_10_reduceIfEEE10hipError_tPvRmT2_T3_mT4_T5_T6_T7_T8_P12ihipStream_tbENKUlT_T0_E_clISt17integral_constantIbLb1EES11_EEDaSW_SX_EUlSW_E_NS1_11comp_targetILNS1_3genE2ELNS1_11target_archE906ELNS1_3gpuE6ELNS1_3repE0EEENS1_30default_config_static_selectorELNS0_4arch9wavefront6targetE1EEEvT1_
		.amdhsa_group_segment_fixed_size 0
		.amdhsa_private_segment_fixed_size 0
		.amdhsa_kernarg_size 120
		.amdhsa_user_sgpr_count 6
		.amdhsa_user_sgpr_private_segment_buffer 1
		.amdhsa_user_sgpr_dispatch_ptr 0
		.amdhsa_user_sgpr_queue_ptr 0
		.amdhsa_user_sgpr_kernarg_segment_ptr 1
		.amdhsa_user_sgpr_dispatch_id 0
		.amdhsa_user_sgpr_flat_scratch_init 0
		.amdhsa_user_sgpr_kernarg_preload_length 0
		.amdhsa_user_sgpr_kernarg_preload_offset 0
		.amdhsa_user_sgpr_private_segment_size 0
		.amdhsa_uses_dynamic_stack 0
		.amdhsa_system_sgpr_private_segment_wavefront_offset 0
		.amdhsa_system_sgpr_workgroup_id_x 1
		.amdhsa_system_sgpr_workgroup_id_y 0
		.amdhsa_system_sgpr_workgroup_id_z 0
		.amdhsa_system_sgpr_workgroup_info 0
		.amdhsa_system_vgpr_workitem_id 0
		.amdhsa_next_free_vgpr 1
		.amdhsa_next_free_sgpr 0
		.amdhsa_accum_offset 4
		.amdhsa_reserve_vcc 0
		.amdhsa_reserve_flat_scratch 0
		.amdhsa_float_round_mode_32 0
		.amdhsa_float_round_mode_16_64 0
		.amdhsa_float_denorm_mode_32 3
		.amdhsa_float_denorm_mode_16_64 3
		.amdhsa_dx10_clamp 1
		.amdhsa_ieee_mode 1
		.amdhsa_fp16_overflow 0
		.amdhsa_tg_split 0
		.amdhsa_exception_fp_ieee_invalid_op 0
		.amdhsa_exception_fp_denorm_src 0
		.amdhsa_exception_fp_ieee_div_zero 0
		.amdhsa_exception_fp_ieee_overflow 0
		.amdhsa_exception_fp_ieee_underflow 0
		.amdhsa_exception_fp_ieee_inexact 0
		.amdhsa_exception_int_div_zero 0
	.end_amdhsa_kernel
	.section	.text._ZN7rocprim17ROCPRIM_400000_NS6detail17trampoline_kernelINS0_14default_configENS1_29reduce_by_key_config_selectorIffN6thrust23THRUST_200600_302600_NS4plusIfEEEEZZNS1_33reduce_by_key_impl_wrapped_configILNS1_25lookback_scan_determinismE0ES3_S9_NS6_6detail15normal_iteratorINS6_10device_ptrIfEEEESG_SG_SG_PmS8_22is_equal_div_10_reduceIfEEE10hipError_tPvRmT2_T3_mT4_T5_T6_T7_T8_P12ihipStream_tbENKUlT_T0_E_clISt17integral_constantIbLb1EES11_EEDaSW_SX_EUlSW_E_NS1_11comp_targetILNS1_3genE2ELNS1_11target_archE906ELNS1_3gpuE6ELNS1_3repE0EEENS1_30default_config_static_selectorELNS0_4arch9wavefront6targetE1EEEvT1_,"axG",@progbits,_ZN7rocprim17ROCPRIM_400000_NS6detail17trampoline_kernelINS0_14default_configENS1_29reduce_by_key_config_selectorIffN6thrust23THRUST_200600_302600_NS4plusIfEEEEZZNS1_33reduce_by_key_impl_wrapped_configILNS1_25lookback_scan_determinismE0ES3_S9_NS6_6detail15normal_iteratorINS6_10device_ptrIfEEEESG_SG_SG_PmS8_22is_equal_div_10_reduceIfEEE10hipError_tPvRmT2_T3_mT4_T5_T6_T7_T8_P12ihipStream_tbENKUlT_T0_E_clISt17integral_constantIbLb1EES11_EEDaSW_SX_EUlSW_E_NS1_11comp_targetILNS1_3genE2ELNS1_11target_archE906ELNS1_3gpuE6ELNS1_3repE0EEENS1_30default_config_static_selectorELNS0_4arch9wavefront6targetE1EEEvT1_,comdat
.Lfunc_end213:
	.size	_ZN7rocprim17ROCPRIM_400000_NS6detail17trampoline_kernelINS0_14default_configENS1_29reduce_by_key_config_selectorIffN6thrust23THRUST_200600_302600_NS4plusIfEEEEZZNS1_33reduce_by_key_impl_wrapped_configILNS1_25lookback_scan_determinismE0ES3_S9_NS6_6detail15normal_iteratorINS6_10device_ptrIfEEEESG_SG_SG_PmS8_22is_equal_div_10_reduceIfEEE10hipError_tPvRmT2_T3_mT4_T5_T6_T7_T8_P12ihipStream_tbENKUlT_T0_E_clISt17integral_constantIbLb1EES11_EEDaSW_SX_EUlSW_E_NS1_11comp_targetILNS1_3genE2ELNS1_11target_archE906ELNS1_3gpuE6ELNS1_3repE0EEENS1_30default_config_static_selectorELNS0_4arch9wavefront6targetE1EEEvT1_, .Lfunc_end213-_ZN7rocprim17ROCPRIM_400000_NS6detail17trampoline_kernelINS0_14default_configENS1_29reduce_by_key_config_selectorIffN6thrust23THRUST_200600_302600_NS4plusIfEEEEZZNS1_33reduce_by_key_impl_wrapped_configILNS1_25lookback_scan_determinismE0ES3_S9_NS6_6detail15normal_iteratorINS6_10device_ptrIfEEEESG_SG_SG_PmS8_22is_equal_div_10_reduceIfEEE10hipError_tPvRmT2_T3_mT4_T5_T6_T7_T8_P12ihipStream_tbENKUlT_T0_E_clISt17integral_constantIbLb1EES11_EEDaSW_SX_EUlSW_E_NS1_11comp_targetILNS1_3genE2ELNS1_11target_archE906ELNS1_3gpuE6ELNS1_3repE0EEENS1_30default_config_static_selectorELNS0_4arch9wavefront6targetE1EEEvT1_
                                        ; -- End function
	.section	.AMDGPU.csdata,"",@progbits
; Kernel info:
; codeLenInByte = 0
; NumSgprs: 4
; NumVgprs: 0
; NumAgprs: 0
; TotalNumVgprs: 0
; ScratchSize: 0
; MemoryBound: 0
; FloatMode: 240
; IeeeMode: 1
; LDSByteSize: 0 bytes/workgroup (compile time only)
; SGPRBlocks: 0
; VGPRBlocks: 0
; NumSGPRsForWavesPerEU: 4
; NumVGPRsForWavesPerEU: 1
; AccumOffset: 4
; Occupancy: 8
; WaveLimiterHint : 0
; COMPUTE_PGM_RSRC2:SCRATCH_EN: 0
; COMPUTE_PGM_RSRC2:USER_SGPR: 6
; COMPUTE_PGM_RSRC2:TRAP_HANDLER: 0
; COMPUTE_PGM_RSRC2:TGID_X_EN: 1
; COMPUTE_PGM_RSRC2:TGID_Y_EN: 0
; COMPUTE_PGM_RSRC2:TGID_Z_EN: 0
; COMPUTE_PGM_RSRC2:TIDIG_COMP_CNT: 0
; COMPUTE_PGM_RSRC3_GFX90A:ACCUM_OFFSET: 0
; COMPUTE_PGM_RSRC3_GFX90A:TG_SPLIT: 0
	.section	.text._ZN7rocprim17ROCPRIM_400000_NS6detail17trampoline_kernelINS0_14default_configENS1_29reduce_by_key_config_selectorIffN6thrust23THRUST_200600_302600_NS4plusIfEEEEZZNS1_33reduce_by_key_impl_wrapped_configILNS1_25lookback_scan_determinismE0ES3_S9_NS6_6detail15normal_iteratorINS6_10device_ptrIfEEEESG_SG_SG_PmS8_22is_equal_div_10_reduceIfEEE10hipError_tPvRmT2_T3_mT4_T5_T6_T7_T8_P12ihipStream_tbENKUlT_T0_E_clISt17integral_constantIbLb1EES11_EEDaSW_SX_EUlSW_E_NS1_11comp_targetILNS1_3genE10ELNS1_11target_archE1201ELNS1_3gpuE5ELNS1_3repE0EEENS1_30default_config_static_selectorELNS0_4arch9wavefront6targetE1EEEvT1_,"axG",@progbits,_ZN7rocprim17ROCPRIM_400000_NS6detail17trampoline_kernelINS0_14default_configENS1_29reduce_by_key_config_selectorIffN6thrust23THRUST_200600_302600_NS4plusIfEEEEZZNS1_33reduce_by_key_impl_wrapped_configILNS1_25lookback_scan_determinismE0ES3_S9_NS6_6detail15normal_iteratorINS6_10device_ptrIfEEEESG_SG_SG_PmS8_22is_equal_div_10_reduceIfEEE10hipError_tPvRmT2_T3_mT4_T5_T6_T7_T8_P12ihipStream_tbENKUlT_T0_E_clISt17integral_constantIbLb1EES11_EEDaSW_SX_EUlSW_E_NS1_11comp_targetILNS1_3genE10ELNS1_11target_archE1201ELNS1_3gpuE5ELNS1_3repE0EEENS1_30default_config_static_selectorELNS0_4arch9wavefront6targetE1EEEvT1_,comdat
	.protected	_ZN7rocprim17ROCPRIM_400000_NS6detail17trampoline_kernelINS0_14default_configENS1_29reduce_by_key_config_selectorIffN6thrust23THRUST_200600_302600_NS4plusIfEEEEZZNS1_33reduce_by_key_impl_wrapped_configILNS1_25lookback_scan_determinismE0ES3_S9_NS6_6detail15normal_iteratorINS6_10device_ptrIfEEEESG_SG_SG_PmS8_22is_equal_div_10_reduceIfEEE10hipError_tPvRmT2_T3_mT4_T5_T6_T7_T8_P12ihipStream_tbENKUlT_T0_E_clISt17integral_constantIbLb1EES11_EEDaSW_SX_EUlSW_E_NS1_11comp_targetILNS1_3genE10ELNS1_11target_archE1201ELNS1_3gpuE5ELNS1_3repE0EEENS1_30default_config_static_selectorELNS0_4arch9wavefront6targetE1EEEvT1_ ; -- Begin function _ZN7rocprim17ROCPRIM_400000_NS6detail17trampoline_kernelINS0_14default_configENS1_29reduce_by_key_config_selectorIffN6thrust23THRUST_200600_302600_NS4plusIfEEEEZZNS1_33reduce_by_key_impl_wrapped_configILNS1_25lookback_scan_determinismE0ES3_S9_NS6_6detail15normal_iteratorINS6_10device_ptrIfEEEESG_SG_SG_PmS8_22is_equal_div_10_reduceIfEEE10hipError_tPvRmT2_T3_mT4_T5_T6_T7_T8_P12ihipStream_tbENKUlT_T0_E_clISt17integral_constantIbLb1EES11_EEDaSW_SX_EUlSW_E_NS1_11comp_targetILNS1_3genE10ELNS1_11target_archE1201ELNS1_3gpuE5ELNS1_3repE0EEENS1_30default_config_static_selectorELNS0_4arch9wavefront6targetE1EEEvT1_
	.globl	_ZN7rocprim17ROCPRIM_400000_NS6detail17trampoline_kernelINS0_14default_configENS1_29reduce_by_key_config_selectorIffN6thrust23THRUST_200600_302600_NS4plusIfEEEEZZNS1_33reduce_by_key_impl_wrapped_configILNS1_25lookback_scan_determinismE0ES3_S9_NS6_6detail15normal_iteratorINS6_10device_ptrIfEEEESG_SG_SG_PmS8_22is_equal_div_10_reduceIfEEE10hipError_tPvRmT2_T3_mT4_T5_T6_T7_T8_P12ihipStream_tbENKUlT_T0_E_clISt17integral_constantIbLb1EES11_EEDaSW_SX_EUlSW_E_NS1_11comp_targetILNS1_3genE10ELNS1_11target_archE1201ELNS1_3gpuE5ELNS1_3repE0EEENS1_30default_config_static_selectorELNS0_4arch9wavefront6targetE1EEEvT1_
	.p2align	8
	.type	_ZN7rocprim17ROCPRIM_400000_NS6detail17trampoline_kernelINS0_14default_configENS1_29reduce_by_key_config_selectorIffN6thrust23THRUST_200600_302600_NS4plusIfEEEEZZNS1_33reduce_by_key_impl_wrapped_configILNS1_25lookback_scan_determinismE0ES3_S9_NS6_6detail15normal_iteratorINS6_10device_ptrIfEEEESG_SG_SG_PmS8_22is_equal_div_10_reduceIfEEE10hipError_tPvRmT2_T3_mT4_T5_T6_T7_T8_P12ihipStream_tbENKUlT_T0_E_clISt17integral_constantIbLb1EES11_EEDaSW_SX_EUlSW_E_NS1_11comp_targetILNS1_3genE10ELNS1_11target_archE1201ELNS1_3gpuE5ELNS1_3repE0EEENS1_30default_config_static_selectorELNS0_4arch9wavefront6targetE1EEEvT1_,@function
_ZN7rocprim17ROCPRIM_400000_NS6detail17trampoline_kernelINS0_14default_configENS1_29reduce_by_key_config_selectorIffN6thrust23THRUST_200600_302600_NS4plusIfEEEEZZNS1_33reduce_by_key_impl_wrapped_configILNS1_25lookback_scan_determinismE0ES3_S9_NS6_6detail15normal_iteratorINS6_10device_ptrIfEEEESG_SG_SG_PmS8_22is_equal_div_10_reduceIfEEE10hipError_tPvRmT2_T3_mT4_T5_T6_T7_T8_P12ihipStream_tbENKUlT_T0_E_clISt17integral_constantIbLb1EES11_EEDaSW_SX_EUlSW_E_NS1_11comp_targetILNS1_3genE10ELNS1_11target_archE1201ELNS1_3gpuE5ELNS1_3repE0EEENS1_30default_config_static_selectorELNS0_4arch9wavefront6targetE1EEEvT1_: ; @_ZN7rocprim17ROCPRIM_400000_NS6detail17trampoline_kernelINS0_14default_configENS1_29reduce_by_key_config_selectorIffN6thrust23THRUST_200600_302600_NS4plusIfEEEEZZNS1_33reduce_by_key_impl_wrapped_configILNS1_25lookback_scan_determinismE0ES3_S9_NS6_6detail15normal_iteratorINS6_10device_ptrIfEEEESG_SG_SG_PmS8_22is_equal_div_10_reduceIfEEE10hipError_tPvRmT2_T3_mT4_T5_T6_T7_T8_P12ihipStream_tbENKUlT_T0_E_clISt17integral_constantIbLb1EES11_EEDaSW_SX_EUlSW_E_NS1_11comp_targetILNS1_3genE10ELNS1_11target_archE1201ELNS1_3gpuE5ELNS1_3repE0EEENS1_30default_config_static_selectorELNS0_4arch9wavefront6targetE1EEEvT1_
; %bb.0:
	.section	.rodata,"a",@progbits
	.p2align	6, 0x0
	.amdhsa_kernel _ZN7rocprim17ROCPRIM_400000_NS6detail17trampoline_kernelINS0_14default_configENS1_29reduce_by_key_config_selectorIffN6thrust23THRUST_200600_302600_NS4plusIfEEEEZZNS1_33reduce_by_key_impl_wrapped_configILNS1_25lookback_scan_determinismE0ES3_S9_NS6_6detail15normal_iteratorINS6_10device_ptrIfEEEESG_SG_SG_PmS8_22is_equal_div_10_reduceIfEEE10hipError_tPvRmT2_T3_mT4_T5_T6_T7_T8_P12ihipStream_tbENKUlT_T0_E_clISt17integral_constantIbLb1EES11_EEDaSW_SX_EUlSW_E_NS1_11comp_targetILNS1_3genE10ELNS1_11target_archE1201ELNS1_3gpuE5ELNS1_3repE0EEENS1_30default_config_static_selectorELNS0_4arch9wavefront6targetE1EEEvT1_
		.amdhsa_group_segment_fixed_size 0
		.amdhsa_private_segment_fixed_size 0
		.amdhsa_kernarg_size 120
		.amdhsa_user_sgpr_count 6
		.amdhsa_user_sgpr_private_segment_buffer 1
		.amdhsa_user_sgpr_dispatch_ptr 0
		.amdhsa_user_sgpr_queue_ptr 0
		.amdhsa_user_sgpr_kernarg_segment_ptr 1
		.amdhsa_user_sgpr_dispatch_id 0
		.amdhsa_user_sgpr_flat_scratch_init 0
		.amdhsa_user_sgpr_kernarg_preload_length 0
		.amdhsa_user_sgpr_kernarg_preload_offset 0
		.amdhsa_user_sgpr_private_segment_size 0
		.amdhsa_uses_dynamic_stack 0
		.amdhsa_system_sgpr_private_segment_wavefront_offset 0
		.amdhsa_system_sgpr_workgroup_id_x 1
		.amdhsa_system_sgpr_workgroup_id_y 0
		.amdhsa_system_sgpr_workgroup_id_z 0
		.amdhsa_system_sgpr_workgroup_info 0
		.amdhsa_system_vgpr_workitem_id 0
		.amdhsa_next_free_vgpr 1
		.amdhsa_next_free_sgpr 0
		.amdhsa_accum_offset 4
		.amdhsa_reserve_vcc 0
		.amdhsa_reserve_flat_scratch 0
		.amdhsa_float_round_mode_32 0
		.amdhsa_float_round_mode_16_64 0
		.amdhsa_float_denorm_mode_32 3
		.amdhsa_float_denorm_mode_16_64 3
		.amdhsa_dx10_clamp 1
		.amdhsa_ieee_mode 1
		.amdhsa_fp16_overflow 0
		.amdhsa_tg_split 0
		.amdhsa_exception_fp_ieee_invalid_op 0
		.amdhsa_exception_fp_denorm_src 0
		.amdhsa_exception_fp_ieee_div_zero 0
		.amdhsa_exception_fp_ieee_overflow 0
		.amdhsa_exception_fp_ieee_underflow 0
		.amdhsa_exception_fp_ieee_inexact 0
		.amdhsa_exception_int_div_zero 0
	.end_amdhsa_kernel
	.section	.text._ZN7rocprim17ROCPRIM_400000_NS6detail17trampoline_kernelINS0_14default_configENS1_29reduce_by_key_config_selectorIffN6thrust23THRUST_200600_302600_NS4plusIfEEEEZZNS1_33reduce_by_key_impl_wrapped_configILNS1_25lookback_scan_determinismE0ES3_S9_NS6_6detail15normal_iteratorINS6_10device_ptrIfEEEESG_SG_SG_PmS8_22is_equal_div_10_reduceIfEEE10hipError_tPvRmT2_T3_mT4_T5_T6_T7_T8_P12ihipStream_tbENKUlT_T0_E_clISt17integral_constantIbLb1EES11_EEDaSW_SX_EUlSW_E_NS1_11comp_targetILNS1_3genE10ELNS1_11target_archE1201ELNS1_3gpuE5ELNS1_3repE0EEENS1_30default_config_static_selectorELNS0_4arch9wavefront6targetE1EEEvT1_,"axG",@progbits,_ZN7rocprim17ROCPRIM_400000_NS6detail17trampoline_kernelINS0_14default_configENS1_29reduce_by_key_config_selectorIffN6thrust23THRUST_200600_302600_NS4plusIfEEEEZZNS1_33reduce_by_key_impl_wrapped_configILNS1_25lookback_scan_determinismE0ES3_S9_NS6_6detail15normal_iteratorINS6_10device_ptrIfEEEESG_SG_SG_PmS8_22is_equal_div_10_reduceIfEEE10hipError_tPvRmT2_T3_mT4_T5_T6_T7_T8_P12ihipStream_tbENKUlT_T0_E_clISt17integral_constantIbLb1EES11_EEDaSW_SX_EUlSW_E_NS1_11comp_targetILNS1_3genE10ELNS1_11target_archE1201ELNS1_3gpuE5ELNS1_3repE0EEENS1_30default_config_static_selectorELNS0_4arch9wavefront6targetE1EEEvT1_,comdat
.Lfunc_end214:
	.size	_ZN7rocprim17ROCPRIM_400000_NS6detail17trampoline_kernelINS0_14default_configENS1_29reduce_by_key_config_selectorIffN6thrust23THRUST_200600_302600_NS4plusIfEEEEZZNS1_33reduce_by_key_impl_wrapped_configILNS1_25lookback_scan_determinismE0ES3_S9_NS6_6detail15normal_iteratorINS6_10device_ptrIfEEEESG_SG_SG_PmS8_22is_equal_div_10_reduceIfEEE10hipError_tPvRmT2_T3_mT4_T5_T6_T7_T8_P12ihipStream_tbENKUlT_T0_E_clISt17integral_constantIbLb1EES11_EEDaSW_SX_EUlSW_E_NS1_11comp_targetILNS1_3genE10ELNS1_11target_archE1201ELNS1_3gpuE5ELNS1_3repE0EEENS1_30default_config_static_selectorELNS0_4arch9wavefront6targetE1EEEvT1_, .Lfunc_end214-_ZN7rocprim17ROCPRIM_400000_NS6detail17trampoline_kernelINS0_14default_configENS1_29reduce_by_key_config_selectorIffN6thrust23THRUST_200600_302600_NS4plusIfEEEEZZNS1_33reduce_by_key_impl_wrapped_configILNS1_25lookback_scan_determinismE0ES3_S9_NS6_6detail15normal_iteratorINS6_10device_ptrIfEEEESG_SG_SG_PmS8_22is_equal_div_10_reduceIfEEE10hipError_tPvRmT2_T3_mT4_T5_T6_T7_T8_P12ihipStream_tbENKUlT_T0_E_clISt17integral_constantIbLb1EES11_EEDaSW_SX_EUlSW_E_NS1_11comp_targetILNS1_3genE10ELNS1_11target_archE1201ELNS1_3gpuE5ELNS1_3repE0EEENS1_30default_config_static_selectorELNS0_4arch9wavefront6targetE1EEEvT1_
                                        ; -- End function
	.section	.AMDGPU.csdata,"",@progbits
; Kernel info:
; codeLenInByte = 0
; NumSgprs: 4
; NumVgprs: 0
; NumAgprs: 0
; TotalNumVgprs: 0
; ScratchSize: 0
; MemoryBound: 0
; FloatMode: 240
; IeeeMode: 1
; LDSByteSize: 0 bytes/workgroup (compile time only)
; SGPRBlocks: 0
; VGPRBlocks: 0
; NumSGPRsForWavesPerEU: 4
; NumVGPRsForWavesPerEU: 1
; AccumOffset: 4
; Occupancy: 8
; WaveLimiterHint : 0
; COMPUTE_PGM_RSRC2:SCRATCH_EN: 0
; COMPUTE_PGM_RSRC2:USER_SGPR: 6
; COMPUTE_PGM_RSRC2:TRAP_HANDLER: 0
; COMPUTE_PGM_RSRC2:TGID_X_EN: 1
; COMPUTE_PGM_RSRC2:TGID_Y_EN: 0
; COMPUTE_PGM_RSRC2:TGID_Z_EN: 0
; COMPUTE_PGM_RSRC2:TIDIG_COMP_CNT: 0
; COMPUTE_PGM_RSRC3_GFX90A:ACCUM_OFFSET: 0
; COMPUTE_PGM_RSRC3_GFX90A:TG_SPLIT: 0
	.section	.text._ZN7rocprim17ROCPRIM_400000_NS6detail17trampoline_kernelINS0_14default_configENS1_29reduce_by_key_config_selectorIffN6thrust23THRUST_200600_302600_NS4plusIfEEEEZZNS1_33reduce_by_key_impl_wrapped_configILNS1_25lookback_scan_determinismE0ES3_S9_NS6_6detail15normal_iteratorINS6_10device_ptrIfEEEESG_SG_SG_PmS8_22is_equal_div_10_reduceIfEEE10hipError_tPvRmT2_T3_mT4_T5_T6_T7_T8_P12ihipStream_tbENKUlT_T0_E_clISt17integral_constantIbLb1EES11_EEDaSW_SX_EUlSW_E_NS1_11comp_targetILNS1_3genE10ELNS1_11target_archE1200ELNS1_3gpuE4ELNS1_3repE0EEENS1_30default_config_static_selectorELNS0_4arch9wavefront6targetE1EEEvT1_,"axG",@progbits,_ZN7rocprim17ROCPRIM_400000_NS6detail17trampoline_kernelINS0_14default_configENS1_29reduce_by_key_config_selectorIffN6thrust23THRUST_200600_302600_NS4plusIfEEEEZZNS1_33reduce_by_key_impl_wrapped_configILNS1_25lookback_scan_determinismE0ES3_S9_NS6_6detail15normal_iteratorINS6_10device_ptrIfEEEESG_SG_SG_PmS8_22is_equal_div_10_reduceIfEEE10hipError_tPvRmT2_T3_mT4_T5_T6_T7_T8_P12ihipStream_tbENKUlT_T0_E_clISt17integral_constantIbLb1EES11_EEDaSW_SX_EUlSW_E_NS1_11comp_targetILNS1_3genE10ELNS1_11target_archE1200ELNS1_3gpuE4ELNS1_3repE0EEENS1_30default_config_static_selectorELNS0_4arch9wavefront6targetE1EEEvT1_,comdat
	.protected	_ZN7rocprim17ROCPRIM_400000_NS6detail17trampoline_kernelINS0_14default_configENS1_29reduce_by_key_config_selectorIffN6thrust23THRUST_200600_302600_NS4plusIfEEEEZZNS1_33reduce_by_key_impl_wrapped_configILNS1_25lookback_scan_determinismE0ES3_S9_NS6_6detail15normal_iteratorINS6_10device_ptrIfEEEESG_SG_SG_PmS8_22is_equal_div_10_reduceIfEEE10hipError_tPvRmT2_T3_mT4_T5_T6_T7_T8_P12ihipStream_tbENKUlT_T0_E_clISt17integral_constantIbLb1EES11_EEDaSW_SX_EUlSW_E_NS1_11comp_targetILNS1_3genE10ELNS1_11target_archE1200ELNS1_3gpuE4ELNS1_3repE0EEENS1_30default_config_static_selectorELNS0_4arch9wavefront6targetE1EEEvT1_ ; -- Begin function _ZN7rocprim17ROCPRIM_400000_NS6detail17trampoline_kernelINS0_14default_configENS1_29reduce_by_key_config_selectorIffN6thrust23THRUST_200600_302600_NS4plusIfEEEEZZNS1_33reduce_by_key_impl_wrapped_configILNS1_25lookback_scan_determinismE0ES3_S9_NS6_6detail15normal_iteratorINS6_10device_ptrIfEEEESG_SG_SG_PmS8_22is_equal_div_10_reduceIfEEE10hipError_tPvRmT2_T3_mT4_T5_T6_T7_T8_P12ihipStream_tbENKUlT_T0_E_clISt17integral_constantIbLb1EES11_EEDaSW_SX_EUlSW_E_NS1_11comp_targetILNS1_3genE10ELNS1_11target_archE1200ELNS1_3gpuE4ELNS1_3repE0EEENS1_30default_config_static_selectorELNS0_4arch9wavefront6targetE1EEEvT1_
	.globl	_ZN7rocprim17ROCPRIM_400000_NS6detail17trampoline_kernelINS0_14default_configENS1_29reduce_by_key_config_selectorIffN6thrust23THRUST_200600_302600_NS4plusIfEEEEZZNS1_33reduce_by_key_impl_wrapped_configILNS1_25lookback_scan_determinismE0ES3_S9_NS6_6detail15normal_iteratorINS6_10device_ptrIfEEEESG_SG_SG_PmS8_22is_equal_div_10_reduceIfEEE10hipError_tPvRmT2_T3_mT4_T5_T6_T7_T8_P12ihipStream_tbENKUlT_T0_E_clISt17integral_constantIbLb1EES11_EEDaSW_SX_EUlSW_E_NS1_11comp_targetILNS1_3genE10ELNS1_11target_archE1200ELNS1_3gpuE4ELNS1_3repE0EEENS1_30default_config_static_selectorELNS0_4arch9wavefront6targetE1EEEvT1_
	.p2align	8
	.type	_ZN7rocprim17ROCPRIM_400000_NS6detail17trampoline_kernelINS0_14default_configENS1_29reduce_by_key_config_selectorIffN6thrust23THRUST_200600_302600_NS4plusIfEEEEZZNS1_33reduce_by_key_impl_wrapped_configILNS1_25lookback_scan_determinismE0ES3_S9_NS6_6detail15normal_iteratorINS6_10device_ptrIfEEEESG_SG_SG_PmS8_22is_equal_div_10_reduceIfEEE10hipError_tPvRmT2_T3_mT4_T5_T6_T7_T8_P12ihipStream_tbENKUlT_T0_E_clISt17integral_constantIbLb1EES11_EEDaSW_SX_EUlSW_E_NS1_11comp_targetILNS1_3genE10ELNS1_11target_archE1200ELNS1_3gpuE4ELNS1_3repE0EEENS1_30default_config_static_selectorELNS0_4arch9wavefront6targetE1EEEvT1_,@function
_ZN7rocprim17ROCPRIM_400000_NS6detail17trampoline_kernelINS0_14default_configENS1_29reduce_by_key_config_selectorIffN6thrust23THRUST_200600_302600_NS4plusIfEEEEZZNS1_33reduce_by_key_impl_wrapped_configILNS1_25lookback_scan_determinismE0ES3_S9_NS6_6detail15normal_iteratorINS6_10device_ptrIfEEEESG_SG_SG_PmS8_22is_equal_div_10_reduceIfEEE10hipError_tPvRmT2_T3_mT4_T5_T6_T7_T8_P12ihipStream_tbENKUlT_T0_E_clISt17integral_constantIbLb1EES11_EEDaSW_SX_EUlSW_E_NS1_11comp_targetILNS1_3genE10ELNS1_11target_archE1200ELNS1_3gpuE4ELNS1_3repE0EEENS1_30default_config_static_selectorELNS0_4arch9wavefront6targetE1EEEvT1_: ; @_ZN7rocprim17ROCPRIM_400000_NS6detail17trampoline_kernelINS0_14default_configENS1_29reduce_by_key_config_selectorIffN6thrust23THRUST_200600_302600_NS4plusIfEEEEZZNS1_33reduce_by_key_impl_wrapped_configILNS1_25lookback_scan_determinismE0ES3_S9_NS6_6detail15normal_iteratorINS6_10device_ptrIfEEEESG_SG_SG_PmS8_22is_equal_div_10_reduceIfEEE10hipError_tPvRmT2_T3_mT4_T5_T6_T7_T8_P12ihipStream_tbENKUlT_T0_E_clISt17integral_constantIbLb1EES11_EEDaSW_SX_EUlSW_E_NS1_11comp_targetILNS1_3genE10ELNS1_11target_archE1200ELNS1_3gpuE4ELNS1_3repE0EEENS1_30default_config_static_selectorELNS0_4arch9wavefront6targetE1EEEvT1_
; %bb.0:
	.section	.rodata,"a",@progbits
	.p2align	6, 0x0
	.amdhsa_kernel _ZN7rocprim17ROCPRIM_400000_NS6detail17trampoline_kernelINS0_14default_configENS1_29reduce_by_key_config_selectorIffN6thrust23THRUST_200600_302600_NS4plusIfEEEEZZNS1_33reduce_by_key_impl_wrapped_configILNS1_25lookback_scan_determinismE0ES3_S9_NS6_6detail15normal_iteratorINS6_10device_ptrIfEEEESG_SG_SG_PmS8_22is_equal_div_10_reduceIfEEE10hipError_tPvRmT2_T3_mT4_T5_T6_T7_T8_P12ihipStream_tbENKUlT_T0_E_clISt17integral_constantIbLb1EES11_EEDaSW_SX_EUlSW_E_NS1_11comp_targetILNS1_3genE10ELNS1_11target_archE1200ELNS1_3gpuE4ELNS1_3repE0EEENS1_30default_config_static_selectorELNS0_4arch9wavefront6targetE1EEEvT1_
		.amdhsa_group_segment_fixed_size 0
		.amdhsa_private_segment_fixed_size 0
		.amdhsa_kernarg_size 120
		.amdhsa_user_sgpr_count 6
		.amdhsa_user_sgpr_private_segment_buffer 1
		.amdhsa_user_sgpr_dispatch_ptr 0
		.amdhsa_user_sgpr_queue_ptr 0
		.amdhsa_user_sgpr_kernarg_segment_ptr 1
		.amdhsa_user_sgpr_dispatch_id 0
		.amdhsa_user_sgpr_flat_scratch_init 0
		.amdhsa_user_sgpr_kernarg_preload_length 0
		.amdhsa_user_sgpr_kernarg_preload_offset 0
		.amdhsa_user_sgpr_private_segment_size 0
		.amdhsa_uses_dynamic_stack 0
		.amdhsa_system_sgpr_private_segment_wavefront_offset 0
		.amdhsa_system_sgpr_workgroup_id_x 1
		.amdhsa_system_sgpr_workgroup_id_y 0
		.amdhsa_system_sgpr_workgroup_id_z 0
		.amdhsa_system_sgpr_workgroup_info 0
		.amdhsa_system_vgpr_workitem_id 0
		.amdhsa_next_free_vgpr 1
		.amdhsa_next_free_sgpr 0
		.amdhsa_accum_offset 4
		.amdhsa_reserve_vcc 0
		.amdhsa_reserve_flat_scratch 0
		.amdhsa_float_round_mode_32 0
		.amdhsa_float_round_mode_16_64 0
		.amdhsa_float_denorm_mode_32 3
		.amdhsa_float_denorm_mode_16_64 3
		.amdhsa_dx10_clamp 1
		.amdhsa_ieee_mode 1
		.amdhsa_fp16_overflow 0
		.amdhsa_tg_split 0
		.amdhsa_exception_fp_ieee_invalid_op 0
		.amdhsa_exception_fp_denorm_src 0
		.amdhsa_exception_fp_ieee_div_zero 0
		.amdhsa_exception_fp_ieee_overflow 0
		.amdhsa_exception_fp_ieee_underflow 0
		.amdhsa_exception_fp_ieee_inexact 0
		.amdhsa_exception_int_div_zero 0
	.end_amdhsa_kernel
	.section	.text._ZN7rocprim17ROCPRIM_400000_NS6detail17trampoline_kernelINS0_14default_configENS1_29reduce_by_key_config_selectorIffN6thrust23THRUST_200600_302600_NS4plusIfEEEEZZNS1_33reduce_by_key_impl_wrapped_configILNS1_25lookback_scan_determinismE0ES3_S9_NS6_6detail15normal_iteratorINS6_10device_ptrIfEEEESG_SG_SG_PmS8_22is_equal_div_10_reduceIfEEE10hipError_tPvRmT2_T3_mT4_T5_T6_T7_T8_P12ihipStream_tbENKUlT_T0_E_clISt17integral_constantIbLb1EES11_EEDaSW_SX_EUlSW_E_NS1_11comp_targetILNS1_3genE10ELNS1_11target_archE1200ELNS1_3gpuE4ELNS1_3repE0EEENS1_30default_config_static_selectorELNS0_4arch9wavefront6targetE1EEEvT1_,"axG",@progbits,_ZN7rocprim17ROCPRIM_400000_NS6detail17trampoline_kernelINS0_14default_configENS1_29reduce_by_key_config_selectorIffN6thrust23THRUST_200600_302600_NS4plusIfEEEEZZNS1_33reduce_by_key_impl_wrapped_configILNS1_25lookback_scan_determinismE0ES3_S9_NS6_6detail15normal_iteratorINS6_10device_ptrIfEEEESG_SG_SG_PmS8_22is_equal_div_10_reduceIfEEE10hipError_tPvRmT2_T3_mT4_T5_T6_T7_T8_P12ihipStream_tbENKUlT_T0_E_clISt17integral_constantIbLb1EES11_EEDaSW_SX_EUlSW_E_NS1_11comp_targetILNS1_3genE10ELNS1_11target_archE1200ELNS1_3gpuE4ELNS1_3repE0EEENS1_30default_config_static_selectorELNS0_4arch9wavefront6targetE1EEEvT1_,comdat
.Lfunc_end215:
	.size	_ZN7rocprim17ROCPRIM_400000_NS6detail17trampoline_kernelINS0_14default_configENS1_29reduce_by_key_config_selectorIffN6thrust23THRUST_200600_302600_NS4plusIfEEEEZZNS1_33reduce_by_key_impl_wrapped_configILNS1_25lookback_scan_determinismE0ES3_S9_NS6_6detail15normal_iteratorINS6_10device_ptrIfEEEESG_SG_SG_PmS8_22is_equal_div_10_reduceIfEEE10hipError_tPvRmT2_T3_mT4_T5_T6_T7_T8_P12ihipStream_tbENKUlT_T0_E_clISt17integral_constantIbLb1EES11_EEDaSW_SX_EUlSW_E_NS1_11comp_targetILNS1_3genE10ELNS1_11target_archE1200ELNS1_3gpuE4ELNS1_3repE0EEENS1_30default_config_static_selectorELNS0_4arch9wavefront6targetE1EEEvT1_, .Lfunc_end215-_ZN7rocprim17ROCPRIM_400000_NS6detail17trampoline_kernelINS0_14default_configENS1_29reduce_by_key_config_selectorIffN6thrust23THRUST_200600_302600_NS4plusIfEEEEZZNS1_33reduce_by_key_impl_wrapped_configILNS1_25lookback_scan_determinismE0ES3_S9_NS6_6detail15normal_iteratorINS6_10device_ptrIfEEEESG_SG_SG_PmS8_22is_equal_div_10_reduceIfEEE10hipError_tPvRmT2_T3_mT4_T5_T6_T7_T8_P12ihipStream_tbENKUlT_T0_E_clISt17integral_constantIbLb1EES11_EEDaSW_SX_EUlSW_E_NS1_11comp_targetILNS1_3genE10ELNS1_11target_archE1200ELNS1_3gpuE4ELNS1_3repE0EEENS1_30default_config_static_selectorELNS0_4arch9wavefront6targetE1EEEvT1_
                                        ; -- End function
	.section	.AMDGPU.csdata,"",@progbits
; Kernel info:
; codeLenInByte = 0
; NumSgprs: 4
; NumVgprs: 0
; NumAgprs: 0
; TotalNumVgprs: 0
; ScratchSize: 0
; MemoryBound: 0
; FloatMode: 240
; IeeeMode: 1
; LDSByteSize: 0 bytes/workgroup (compile time only)
; SGPRBlocks: 0
; VGPRBlocks: 0
; NumSGPRsForWavesPerEU: 4
; NumVGPRsForWavesPerEU: 1
; AccumOffset: 4
; Occupancy: 8
; WaveLimiterHint : 0
; COMPUTE_PGM_RSRC2:SCRATCH_EN: 0
; COMPUTE_PGM_RSRC2:USER_SGPR: 6
; COMPUTE_PGM_RSRC2:TRAP_HANDLER: 0
; COMPUTE_PGM_RSRC2:TGID_X_EN: 1
; COMPUTE_PGM_RSRC2:TGID_Y_EN: 0
; COMPUTE_PGM_RSRC2:TGID_Z_EN: 0
; COMPUTE_PGM_RSRC2:TIDIG_COMP_CNT: 0
; COMPUTE_PGM_RSRC3_GFX90A:ACCUM_OFFSET: 0
; COMPUTE_PGM_RSRC3_GFX90A:TG_SPLIT: 0
	.section	.text._ZN7rocprim17ROCPRIM_400000_NS6detail17trampoline_kernelINS0_14default_configENS1_29reduce_by_key_config_selectorIffN6thrust23THRUST_200600_302600_NS4plusIfEEEEZZNS1_33reduce_by_key_impl_wrapped_configILNS1_25lookback_scan_determinismE0ES3_S9_NS6_6detail15normal_iteratorINS6_10device_ptrIfEEEESG_SG_SG_PmS8_22is_equal_div_10_reduceIfEEE10hipError_tPvRmT2_T3_mT4_T5_T6_T7_T8_P12ihipStream_tbENKUlT_T0_E_clISt17integral_constantIbLb1EES11_EEDaSW_SX_EUlSW_E_NS1_11comp_targetILNS1_3genE9ELNS1_11target_archE1100ELNS1_3gpuE3ELNS1_3repE0EEENS1_30default_config_static_selectorELNS0_4arch9wavefront6targetE1EEEvT1_,"axG",@progbits,_ZN7rocprim17ROCPRIM_400000_NS6detail17trampoline_kernelINS0_14default_configENS1_29reduce_by_key_config_selectorIffN6thrust23THRUST_200600_302600_NS4plusIfEEEEZZNS1_33reduce_by_key_impl_wrapped_configILNS1_25lookback_scan_determinismE0ES3_S9_NS6_6detail15normal_iteratorINS6_10device_ptrIfEEEESG_SG_SG_PmS8_22is_equal_div_10_reduceIfEEE10hipError_tPvRmT2_T3_mT4_T5_T6_T7_T8_P12ihipStream_tbENKUlT_T0_E_clISt17integral_constantIbLb1EES11_EEDaSW_SX_EUlSW_E_NS1_11comp_targetILNS1_3genE9ELNS1_11target_archE1100ELNS1_3gpuE3ELNS1_3repE0EEENS1_30default_config_static_selectorELNS0_4arch9wavefront6targetE1EEEvT1_,comdat
	.protected	_ZN7rocprim17ROCPRIM_400000_NS6detail17trampoline_kernelINS0_14default_configENS1_29reduce_by_key_config_selectorIffN6thrust23THRUST_200600_302600_NS4plusIfEEEEZZNS1_33reduce_by_key_impl_wrapped_configILNS1_25lookback_scan_determinismE0ES3_S9_NS6_6detail15normal_iteratorINS6_10device_ptrIfEEEESG_SG_SG_PmS8_22is_equal_div_10_reduceIfEEE10hipError_tPvRmT2_T3_mT4_T5_T6_T7_T8_P12ihipStream_tbENKUlT_T0_E_clISt17integral_constantIbLb1EES11_EEDaSW_SX_EUlSW_E_NS1_11comp_targetILNS1_3genE9ELNS1_11target_archE1100ELNS1_3gpuE3ELNS1_3repE0EEENS1_30default_config_static_selectorELNS0_4arch9wavefront6targetE1EEEvT1_ ; -- Begin function _ZN7rocprim17ROCPRIM_400000_NS6detail17trampoline_kernelINS0_14default_configENS1_29reduce_by_key_config_selectorIffN6thrust23THRUST_200600_302600_NS4plusIfEEEEZZNS1_33reduce_by_key_impl_wrapped_configILNS1_25lookback_scan_determinismE0ES3_S9_NS6_6detail15normal_iteratorINS6_10device_ptrIfEEEESG_SG_SG_PmS8_22is_equal_div_10_reduceIfEEE10hipError_tPvRmT2_T3_mT4_T5_T6_T7_T8_P12ihipStream_tbENKUlT_T0_E_clISt17integral_constantIbLb1EES11_EEDaSW_SX_EUlSW_E_NS1_11comp_targetILNS1_3genE9ELNS1_11target_archE1100ELNS1_3gpuE3ELNS1_3repE0EEENS1_30default_config_static_selectorELNS0_4arch9wavefront6targetE1EEEvT1_
	.globl	_ZN7rocprim17ROCPRIM_400000_NS6detail17trampoline_kernelINS0_14default_configENS1_29reduce_by_key_config_selectorIffN6thrust23THRUST_200600_302600_NS4plusIfEEEEZZNS1_33reduce_by_key_impl_wrapped_configILNS1_25lookback_scan_determinismE0ES3_S9_NS6_6detail15normal_iteratorINS6_10device_ptrIfEEEESG_SG_SG_PmS8_22is_equal_div_10_reduceIfEEE10hipError_tPvRmT2_T3_mT4_T5_T6_T7_T8_P12ihipStream_tbENKUlT_T0_E_clISt17integral_constantIbLb1EES11_EEDaSW_SX_EUlSW_E_NS1_11comp_targetILNS1_3genE9ELNS1_11target_archE1100ELNS1_3gpuE3ELNS1_3repE0EEENS1_30default_config_static_selectorELNS0_4arch9wavefront6targetE1EEEvT1_
	.p2align	8
	.type	_ZN7rocprim17ROCPRIM_400000_NS6detail17trampoline_kernelINS0_14default_configENS1_29reduce_by_key_config_selectorIffN6thrust23THRUST_200600_302600_NS4plusIfEEEEZZNS1_33reduce_by_key_impl_wrapped_configILNS1_25lookback_scan_determinismE0ES3_S9_NS6_6detail15normal_iteratorINS6_10device_ptrIfEEEESG_SG_SG_PmS8_22is_equal_div_10_reduceIfEEE10hipError_tPvRmT2_T3_mT4_T5_T6_T7_T8_P12ihipStream_tbENKUlT_T0_E_clISt17integral_constantIbLb1EES11_EEDaSW_SX_EUlSW_E_NS1_11comp_targetILNS1_3genE9ELNS1_11target_archE1100ELNS1_3gpuE3ELNS1_3repE0EEENS1_30default_config_static_selectorELNS0_4arch9wavefront6targetE1EEEvT1_,@function
_ZN7rocprim17ROCPRIM_400000_NS6detail17trampoline_kernelINS0_14default_configENS1_29reduce_by_key_config_selectorIffN6thrust23THRUST_200600_302600_NS4plusIfEEEEZZNS1_33reduce_by_key_impl_wrapped_configILNS1_25lookback_scan_determinismE0ES3_S9_NS6_6detail15normal_iteratorINS6_10device_ptrIfEEEESG_SG_SG_PmS8_22is_equal_div_10_reduceIfEEE10hipError_tPvRmT2_T3_mT4_T5_T6_T7_T8_P12ihipStream_tbENKUlT_T0_E_clISt17integral_constantIbLb1EES11_EEDaSW_SX_EUlSW_E_NS1_11comp_targetILNS1_3genE9ELNS1_11target_archE1100ELNS1_3gpuE3ELNS1_3repE0EEENS1_30default_config_static_selectorELNS0_4arch9wavefront6targetE1EEEvT1_: ; @_ZN7rocprim17ROCPRIM_400000_NS6detail17trampoline_kernelINS0_14default_configENS1_29reduce_by_key_config_selectorIffN6thrust23THRUST_200600_302600_NS4plusIfEEEEZZNS1_33reduce_by_key_impl_wrapped_configILNS1_25lookback_scan_determinismE0ES3_S9_NS6_6detail15normal_iteratorINS6_10device_ptrIfEEEESG_SG_SG_PmS8_22is_equal_div_10_reduceIfEEE10hipError_tPvRmT2_T3_mT4_T5_T6_T7_T8_P12ihipStream_tbENKUlT_T0_E_clISt17integral_constantIbLb1EES11_EEDaSW_SX_EUlSW_E_NS1_11comp_targetILNS1_3genE9ELNS1_11target_archE1100ELNS1_3gpuE3ELNS1_3repE0EEENS1_30default_config_static_selectorELNS0_4arch9wavefront6targetE1EEEvT1_
; %bb.0:
	.section	.rodata,"a",@progbits
	.p2align	6, 0x0
	.amdhsa_kernel _ZN7rocprim17ROCPRIM_400000_NS6detail17trampoline_kernelINS0_14default_configENS1_29reduce_by_key_config_selectorIffN6thrust23THRUST_200600_302600_NS4plusIfEEEEZZNS1_33reduce_by_key_impl_wrapped_configILNS1_25lookback_scan_determinismE0ES3_S9_NS6_6detail15normal_iteratorINS6_10device_ptrIfEEEESG_SG_SG_PmS8_22is_equal_div_10_reduceIfEEE10hipError_tPvRmT2_T3_mT4_T5_T6_T7_T8_P12ihipStream_tbENKUlT_T0_E_clISt17integral_constantIbLb1EES11_EEDaSW_SX_EUlSW_E_NS1_11comp_targetILNS1_3genE9ELNS1_11target_archE1100ELNS1_3gpuE3ELNS1_3repE0EEENS1_30default_config_static_selectorELNS0_4arch9wavefront6targetE1EEEvT1_
		.amdhsa_group_segment_fixed_size 0
		.amdhsa_private_segment_fixed_size 0
		.amdhsa_kernarg_size 120
		.amdhsa_user_sgpr_count 6
		.amdhsa_user_sgpr_private_segment_buffer 1
		.amdhsa_user_sgpr_dispatch_ptr 0
		.amdhsa_user_sgpr_queue_ptr 0
		.amdhsa_user_sgpr_kernarg_segment_ptr 1
		.amdhsa_user_sgpr_dispatch_id 0
		.amdhsa_user_sgpr_flat_scratch_init 0
		.amdhsa_user_sgpr_kernarg_preload_length 0
		.amdhsa_user_sgpr_kernarg_preload_offset 0
		.amdhsa_user_sgpr_private_segment_size 0
		.amdhsa_uses_dynamic_stack 0
		.amdhsa_system_sgpr_private_segment_wavefront_offset 0
		.amdhsa_system_sgpr_workgroup_id_x 1
		.amdhsa_system_sgpr_workgroup_id_y 0
		.amdhsa_system_sgpr_workgroup_id_z 0
		.amdhsa_system_sgpr_workgroup_info 0
		.amdhsa_system_vgpr_workitem_id 0
		.amdhsa_next_free_vgpr 1
		.amdhsa_next_free_sgpr 0
		.amdhsa_accum_offset 4
		.amdhsa_reserve_vcc 0
		.amdhsa_reserve_flat_scratch 0
		.amdhsa_float_round_mode_32 0
		.amdhsa_float_round_mode_16_64 0
		.amdhsa_float_denorm_mode_32 3
		.amdhsa_float_denorm_mode_16_64 3
		.amdhsa_dx10_clamp 1
		.amdhsa_ieee_mode 1
		.amdhsa_fp16_overflow 0
		.amdhsa_tg_split 0
		.amdhsa_exception_fp_ieee_invalid_op 0
		.amdhsa_exception_fp_denorm_src 0
		.amdhsa_exception_fp_ieee_div_zero 0
		.amdhsa_exception_fp_ieee_overflow 0
		.amdhsa_exception_fp_ieee_underflow 0
		.amdhsa_exception_fp_ieee_inexact 0
		.amdhsa_exception_int_div_zero 0
	.end_amdhsa_kernel
	.section	.text._ZN7rocprim17ROCPRIM_400000_NS6detail17trampoline_kernelINS0_14default_configENS1_29reduce_by_key_config_selectorIffN6thrust23THRUST_200600_302600_NS4plusIfEEEEZZNS1_33reduce_by_key_impl_wrapped_configILNS1_25lookback_scan_determinismE0ES3_S9_NS6_6detail15normal_iteratorINS6_10device_ptrIfEEEESG_SG_SG_PmS8_22is_equal_div_10_reduceIfEEE10hipError_tPvRmT2_T3_mT4_T5_T6_T7_T8_P12ihipStream_tbENKUlT_T0_E_clISt17integral_constantIbLb1EES11_EEDaSW_SX_EUlSW_E_NS1_11comp_targetILNS1_3genE9ELNS1_11target_archE1100ELNS1_3gpuE3ELNS1_3repE0EEENS1_30default_config_static_selectorELNS0_4arch9wavefront6targetE1EEEvT1_,"axG",@progbits,_ZN7rocprim17ROCPRIM_400000_NS6detail17trampoline_kernelINS0_14default_configENS1_29reduce_by_key_config_selectorIffN6thrust23THRUST_200600_302600_NS4plusIfEEEEZZNS1_33reduce_by_key_impl_wrapped_configILNS1_25lookback_scan_determinismE0ES3_S9_NS6_6detail15normal_iteratorINS6_10device_ptrIfEEEESG_SG_SG_PmS8_22is_equal_div_10_reduceIfEEE10hipError_tPvRmT2_T3_mT4_T5_T6_T7_T8_P12ihipStream_tbENKUlT_T0_E_clISt17integral_constantIbLb1EES11_EEDaSW_SX_EUlSW_E_NS1_11comp_targetILNS1_3genE9ELNS1_11target_archE1100ELNS1_3gpuE3ELNS1_3repE0EEENS1_30default_config_static_selectorELNS0_4arch9wavefront6targetE1EEEvT1_,comdat
.Lfunc_end216:
	.size	_ZN7rocprim17ROCPRIM_400000_NS6detail17trampoline_kernelINS0_14default_configENS1_29reduce_by_key_config_selectorIffN6thrust23THRUST_200600_302600_NS4plusIfEEEEZZNS1_33reduce_by_key_impl_wrapped_configILNS1_25lookback_scan_determinismE0ES3_S9_NS6_6detail15normal_iteratorINS6_10device_ptrIfEEEESG_SG_SG_PmS8_22is_equal_div_10_reduceIfEEE10hipError_tPvRmT2_T3_mT4_T5_T6_T7_T8_P12ihipStream_tbENKUlT_T0_E_clISt17integral_constantIbLb1EES11_EEDaSW_SX_EUlSW_E_NS1_11comp_targetILNS1_3genE9ELNS1_11target_archE1100ELNS1_3gpuE3ELNS1_3repE0EEENS1_30default_config_static_selectorELNS0_4arch9wavefront6targetE1EEEvT1_, .Lfunc_end216-_ZN7rocprim17ROCPRIM_400000_NS6detail17trampoline_kernelINS0_14default_configENS1_29reduce_by_key_config_selectorIffN6thrust23THRUST_200600_302600_NS4plusIfEEEEZZNS1_33reduce_by_key_impl_wrapped_configILNS1_25lookback_scan_determinismE0ES3_S9_NS6_6detail15normal_iteratorINS6_10device_ptrIfEEEESG_SG_SG_PmS8_22is_equal_div_10_reduceIfEEE10hipError_tPvRmT2_T3_mT4_T5_T6_T7_T8_P12ihipStream_tbENKUlT_T0_E_clISt17integral_constantIbLb1EES11_EEDaSW_SX_EUlSW_E_NS1_11comp_targetILNS1_3genE9ELNS1_11target_archE1100ELNS1_3gpuE3ELNS1_3repE0EEENS1_30default_config_static_selectorELNS0_4arch9wavefront6targetE1EEEvT1_
                                        ; -- End function
	.section	.AMDGPU.csdata,"",@progbits
; Kernel info:
; codeLenInByte = 0
; NumSgprs: 4
; NumVgprs: 0
; NumAgprs: 0
; TotalNumVgprs: 0
; ScratchSize: 0
; MemoryBound: 0
; FloatMode: 240
; IeeeMode: 1
; LDSByteSize: 0 bytes/workgroup (compile time only)
; SGPRBlocks: 0
; VGPRBlocks: 0
; NumSGPRsForWavesPerEU: 4
; NumVGPRsForWavesPerEU: 1
; AccumOffset: 4
; Occupancy: 8
; WaveLimiterHint : 0
; COMPUTE_PGM_RSRC2:SCRATCH_EN: 0
; COMPUTE_PGM_RSRC2:USER_SGPR: 6
; COMPUTE_PGM_RSRC2:TRAP_HANDLER: 0
; COMPUTE_PGM_RSRC2:TGID_X_EN: 1
; COMPUTE_PGM_RSRC2:TGID_Y_EN: 0
; COMPUTE_PGM_RSRC2:TGID_Z_EN: 0
; COMPUTE_PGM_RSRC2:TIDIG_COMP_CNT: 0
; COMPUTE_PGM_RSRC3_GFX90A:ACCUM_OFFSET: 0
; COMPUTE_PGM_RSRC3_GFX90A:TG_SPLIT: 0
	.section	.text._ZN7rocprim17ROCPRIM_400000_NS6detail17trampoline_kernelINS0_14default_configENS1_29reduce_by_key_config_selectorIffN6thrust23THRUST_200600_302600_NS4plusIfEEEEZZNS1_33reduce_by_key_impl_wrapped_configILNS1_25lookback_scan_determinismE0ES3_S9_NS6_6detail15normal_iteratorINS6_10device_ptrIfEEEESG_SG_SG_PmS8_22is_equal_div_10_reduceIfEEE10hipError_tPvRmT2_T3_mT4_T5_T6_T7_T8_P12ihipStream_tbENKUlT_T0_E_clISt17integral_constantIbLb1EES11_EEDaSW_SX_EUlSW_E_NS1_11comp_targetILNS1_3genE8ELNS1_11target_archE1030ELNS1_3gpuE2ELNS1_3repE0EEENS1_30default_config_static_selectorELNS0_4arch9wavefront6targetE1EEEvT1_,"axG",@progbits,_ZN7rocprim17ROCPRIM_400000_NS6detail17trampoline_kernelINS0_14default_configENS1_29reduce_by_key_config_selectorIffN6thrust23THRUST_200600_302600_NS4plusIfEEEEZZNS1_33reduce_by_key_impl_wrapped_configILNS1_25lookback_scan_determinismE0ES3_S9_NS6_6detail15normal_iteratorINS6_10device_ptrIfEEEESG_SG_SG_PmS8_22is_equal_div_10_reduceIfEEE10hipError_tPvRmT2_T3_mT4_T5_T6_T7_T8_P12ihipStream_tbENKUlT_T0_E_clISt17integral_constantIbLb1EES11_EEDaSW_SX_EUlSW_E_NS1_11comp_targetILNS1_3genE8ELNS1_11target_archE1030ELNS1_3gpuE2ELNS1_3repE0EEENS1_30default_config_static_selectorELNS0_4arch9wavefront6targetE1EEEvT1_,comdat
	.protected	_ZN7rocprim17ROCPRIM_400000_NS6detail17trampoline_kernelINS0_14default_configENS1_29reduce_by_key_config_selectorIffN6thrust23THRUST_200600_302600_NS4plusIfEEEEZZNS1_33reduce_by_key_impl_wrapped_configILNS1_25lookback_scan_determinismE0ES3_S9_NS6_6detail15normal_iteratorINS6_10device_ptrIfEEEESG_SG_SG_PmS8_22is_equal_div_10_reduceIfEEE10hipError_tPvRmT2_T3_mT4_T5_T6_T7_T8_P12ihipStream_tbENKUlT_T0_E_clISt17integral_constantIbLb1EES11_EEDaSW_SX_EUlSW_E_NS1_11comp_targetILNS1_3genE8ELNS1_11target_archE1030ELNS1_3gpuE2ELNS1_3repE0EEENS1_30default_config_static_selectorELNS0_4arch9wavefront6targetE1EEEvT1_ ; -- Begin function _ZN7rocprim17ROCPRIM_400000_NS6detail17trampoline_kernelINS0_14default_configENS1_29reduce_by_key_config_selectorIffN6thrust23THRUST_200600_302600_NS4plusIfEEEEZZNS1_33reduce_by_key_impl_wrapped_configILNS1_25lookback_scan_determinismE0ES3_S9_NS6_6detail15normal_iteratorINS6_10device_ptrIfEEEESG_SG_SG_PmS8_22is_equal_div_10_reduceIfEEE10hipError_tPvRmT2_T3_mT4_T5_T6_T7_T8_P12ihipStream_tbENKUlT_T0_E_clISt17integral_constantIbLb1EES11_EEDaSW_SX_EUlSW_E_NS1_11comp_targetILNS1_3genE8ELNS1_11target_archE1030ELNS1_3gpuE2ELNS1_3repE0EEENS1_30default_config_static_selectorELNS0_4arch9wavefront6targetE1EEEvT1_
	.globl	_ZN7rocprim17ROCPRIM_400000_NS6detail17trampoline_kernelINS0_14default_configENS1_29reduce_by_key_config_selectorIffN6thrust23THRUST_200600_302600_NS4plusIfEEEEZZNS1_33reduce_by_key_impl_wrapped_configILNS1_25lookback_scan_determinismE0ES3_S9_NS6_6detail15normal_iteratorINS6_10device_ptrIfEEEESG_SG_SG_PmS8_22is_equal_div_10_reduceIfEEE10hipError_tPvRmT2_T3_mT4_T5_T6_T7_T8_P12ihipStream_tbENKUlT_T0_E_clISt17integral_constantIbLb1EES11_EEDaSW_SX_EUlSW_E_NS1_11comp_targetILNS1_3genE8ELNS1_11target_archE1030ELNS1_3gpuE2ELNS1_3repE0EEENS1_30default_config_static_selectorELNS0_4arch9wavefront6targetE1EEEvT1_
	.p2align	8
	.type	_ZN7rocprim17ROCPRIM_400000_NS6detail17trampoline_kernelINS0_14default_configENS1_29reduce_by_key_config_selectorIffN6thrust23THRUST_200600_302600_NS4plusIfEEEEZZNS1_33reduce_by_key_impl_wrapped_configILNS1_25lookback_scan_determinismE0ES3_S9_NS6_6detail15normal_iteratorINS6_10device_ptrIfEEEESG_SG_SG_PmS8_22is_equal_div_10_reduceIfEEE10hipError_tPvRmT2_T3_mT4_T5_T6_T7_T8_P12ihipStream_tbENKUlT_T0_E_clISt17integral_constantIbLb1EES11_EEDaSW_SX_EUlSW_E_NS1_11comp_targetILNS1_3genE8ELNS1_11target_archE1030ELNS1_3gpuE2ELNS1_3repE0EEENS1_30default_config_static_selectorELNS0_4arch9wavefront6targetE1EEEvT1_,@function
_ZN7rocprim17ROCPRIM_400000_NS6detail17trampoline_kernelINS0_14default_configENS1_29reduce_by_key_config_selectorIffN6thrust23THRUST_200600_302600_NS4plusIfEEEEZZNS1_33reduce_by_key_impl_wrapped_configILNS1_25lookback_scan_determinismE0ES3_S9_NS6_6detail15normal_iteratorINS6_10device_ptrIfEEEESG_SG_SG_PmS8_22is_equal_div_10_reduceIfEEE10hipError_tPvRmT2_T3_mT4_T5_T6_T7_T8_P12ihipStream_tbENKUlT_T0_E_clISt17integral_constantIbLb1EES11_EEDaSW_SX_EUlSW_E_NS1_11comp_targetILNS1_3genE8ELNS1_11target_archE1030ELNS1_3gpuE2ELNS1_3repE0EEENS1_30default_config_static_selectorELNS0_4arch9wavefront6targetE1EEEvT1_: ; @_ZN7rocprim17ROCPRIM_400000_NS6detail17trampoline_kernelINS0_14default_configENS1_29reduce_by_key_config_selectorIffN6thrust23THRUST_200600_302600_NS4plusIfEEEEZZNS1_33reduce_by_key_impl_wrapped_configILNS1_25lookback_scan_determinismE0ES3_S9_NS6_6detail15normal_iteratorINS6_10device_ptrIfEEEESG_SG_SG_PmS8_22is_equal_div_10_reduceIfEEE10hipError_tPvRmT2_T3_mT4_T5_T6_T7_T8_P12ihipStream_tbENKUlT_T0_E_clISt17integral_constantIbLb1EES11_EEDaSW_SX_EUlSW_E_NS1_11comp_targetILNS1_3genE8ELNS1_11target_archE1030ELNS1_3gpuE2ELNS1_3repE0EEENS1_30default_config_static_selectorELNS0_4arch9wavefront6targetE1EEEvT1_
; %bb.0:
	.section	.rodata,"a",@progbits
	.p2align	6, 0x0
	.amdhsa_kernel _ZN7rocprim17ROCPRIM_400000_NS6detail17trampoline_kernelINS0_14default_configENS1_29reduce_by_key_config_selectorIffN6thrust23THRUST_200600_302600_NS4plusIfEEEEZZNS1_33reduce_by_key_impl_wrapped_configILNS1_25lookback_scan_determinismE0ES3_S9_NS6_6detail15normal_iteratorINS6_10device_ptrIfEEEESG_SG_SG_PmS8_22is_equal_div_10_reduceIfEEE10hipError_tPvRmT2_T3_mT4_T5_T6_T7_T8_P12ihipStream_tbENKUlT_T0_E_clISt17integral_constantIbLb1EES11_EEDaSW_SX_EUlSW_E_NS1_11comp_targetILNS1_3genE8ELNS1_11target_archE1030ELNS1_3gpuE2ELNS1_3repE0EEENS1_30default_config_static_selectorELNS0_4arch9wavefront6targetE1EEEvT1_
		.amdhsa_group_segment_fixed_size 0
		.amdhsa_private_segment_fixed_size 0
		.amdhsa_kernarg_size 120
		.amdhsa_user_sgpr_count 6
		.amdhsa_user_sgpr_private_segment_buffer 1
		.amdhsa_user_sgpr_dispatch_ptr 0
		.amdhsa_user_sgpr_queue_ptr 0
		.amdhsa_user_sgpr_kernarg_segment_ptr 1
		.amdhsa_user_sgpr_dispatch_id 0
		.amdhsa_user_sgpr_flat_scratch_init 0
		.amdhsa_user_sgpr_kernarg_preload_length 0
		.amdhsa_user_sgpr_kernarg_preload_offset 0
		.amdhsa_user_sgpr_private_segment_size 0
		.amdhsa_uses_dynamic_stack 0
		.amdhsa_system_sgpr_private_segment_wavefront_offset 0
		.amdhsa_system_sgpr_workgroup_id_x 1
		.amdhsa_system_sgpr_workgroup_id_y 0
		.amdhsa_system_sgpr_workgroup_id_z 0
		.amdhsa_system_sgpr_workgroup_info 0
		.amdhsa_system_vgpr_workitem_id 0
		.amdhsa_next_free_vgpr 1
		.amdhsa_next_free_sgpr 0
		.amdhsa_accum_offset 4
		.amdhsa_reserve_vcc 0
		.amdhsa_reserve_flat_scratch 0
		.amdhsa_float_round_mode_32 0
		.amdhsa_float_round_mode_16_64 0
		.amdhsa_float_denorm_mode_32 3
		.amdhsa_float_denorm_mode_16_64 3
		.amdhsa_dx10_clamp 1
		.amdhsa_ieee_mode 1
		.amdhsa_fp16_overflow 0
		.amdhsa_tg_split 0
		.amdhsa_exception_fp_ieee_invalid_op 0
		.amdhsa_exception_fp_denorm_src 0
		.amdhsa_exception_fp_ieee_div_zero 0
		.amdhsa_exception_fp_ieee_overflow 0
		.amdhsa_exception_fp_ieee_underflow 0
		.amdhsa_exception_fp_ieee_inexact 0
		.amdhsa_exception_int_div_zero 0
	.end_amdhsa_kernel
	.section	.text._ZN7rocprim17ROCPRIM_400000_NS6detail17trampoline_kernelINS0_14default_configENS1_29reduce_by_key_config_selectorIffN6thrust23THRUST_200600_302600_NS4plusIfEEEEZZNS1_33reduce_by_key_impl_wrapped_configILNS1_25lookback_scan_determinismE0ES3_S9_NS6_6detail15normal_iteratorINS6_10device_ptrIfEEEESG_SG_SG_PmS8_22is_equal_div_10_reduceIfEEE10hipError_tPvRmT2_T3_mT4_T5_T6_T7_T8_P12ihipStream_tbENKUlT_T0_E_clISt17integral_constantIbLb1EES11_EEDaSW_SX_EUlSW_E_NS1_11comp_targetILNS1_3genE8ELNS1_11target_archE1030ELNS1_3gpuE2ELNS1_3repE0EEENS1_30default_config_static_selectorELNS0_4arch9wavefront6targetE1EEEvT1_,"axG",@progbits,_ZN7rocprim17ROCPRIM_400000_NS6detail17trampoline_kernelINS0_14default_configENS1_29reduce_by_key_config_selectorIffN6thrust23THRUST_200600_302600_NS4plusIfEEEEZZNS1_33reduce_by_key_impl_wrapped_configILNS1_25lookback_scan_determinismE0ES3_S9_NS6_6detail15normal_iteratorINS6_10device_ptrIfEEEESG_SG_SG_PmS8_22is_equal_div_10_reduceIfEEE10hipError_tPvRmT2_T3_mT4_T5_T6_T7_T8_P12ihipStream_tbENKUlT_T0_E_clISt17integral_constantIbLb1EES11_EEDaSW_SX_EUlSW_E_NS1_11comp_targetILNS1_3genE8ELNS1_11target_archE1030ELNS1_3gpuE2ELNS1_3repE0EEENS1_30default_config_static_selectorELNS0_4arch9wavefront6targetE1EEEvT1_,comdat
.Lfunc_end217:
	.size	_ZN7rocprim17ROCPRIM_400000_NS6detail17trampoline_kernelINS0_14default_configENS1_29reduce_by_key_config_selectorIffN6thrust23THRUST_200600_302600_NS4plusIfEEEEZZNS1_33reduce_by_key_impl_wrapped_configILNS1_25lookback_scan_determinismE0ES3_S9_NS6_6detail15normal_iteratorINS6_10device_ptrIfEEEESG_SG_SG_PmS8_22is_equal_div_10_reduceIfEEE10hipError_tPvRmT2_T3_mT4_T5_T6_T7_T8_P12ihipStream_tbENKUlT_T0_E_clISt17integral_constantIbLb1EES11_EEDaSW_SX_EUlSW_E_NS1_11comp_targetILNS1_3genE8ELNS1_11target_archE1030ELNS1_3gpuE2ELNS1_3repE0EEENS1_30default_config_static_selectorELNS0_4arch9wavefront6targetE1EEEvT1_, .Lfunc_end217-_ZN7rocprim17ROCPRIM_400000_NS6detail17trampoline_kernelINS0_14default_configENS1_29reduce_by_key_config_selectorIffN6thrust23THRUST_200600_302600_NS4plusIfEEEEZZNS1_33reduce_by_key_impl_wrapped_configILNS1_25lookback_scan_determinismE0ES3_S9_NS6_6detail15normal_iteratorINS6_10device_ptrIfEEEESG_SG_SG_PmS8_22is_equal_div_10_reduceIfEEE10hipError_tPvRmT2_T3_mT4_T5_T6_T7_T8_P12ihipStream_tbENKUlT_T0_E_clISt17integral_constantIbLb1EES11_EEDaSW_SX_EUlSW_E_NS1_11comp_targetILNS1_3genE8ELNS1_11target_archE1030ELNS1_3gpuE2ELNS1_3repE0EEENS1_30default_config_static_selectorELNS0_4arch9wavefront6targetE1EEEvT1_
                                        ; -- End function
	.section	.AMDGPU.csdata,"",@progbits
; Kernel info:
; codeLenInByte = 0
; NumSgprs: 4
; NumVgprs: 0
; NumAgprs: 0
; TotalNumVgprs: 0
; ScratchSize: 0
; MemoryBound: 0
; FloatMode: 240
; IeeeMode: 1
; LDSByteSize: 0 bytes/workgroup (compile time only)
; SGPRBlocks: 0
; VGPRBlocks: 0
; NumSGPRsForWavesPerEU: 4
; NumVGPRsForWavesPerEU: 1
; AccumOffset: 4
; Occupancy: 8
; WaveLimiterHint : 0
; COMPUTE_PGM_RSRC2:SCRATCH_EN: 0
; COMPUTE_PGM_RSRC2:USER_SGPR: 6
; COMPUTE_PGM_RSRC2:TRAP_HANDLER: 0
; COMPUTE_PGM_RSRC2:TGID_X_EN: 1
; COMPUTE_PGM_RSRC2:TGID_Y_EN: 0
; COMPUTE_PGM_RSRC2:TGID_Z_EN: 0
; COMPUTE_PGM_RSRC2:TIDIG_COMP_CNT: 0
; COMPUTE_PGM_RSRC3_GFX90A:ACCUM_OFFSET: 0
; COMPUTE_PGM_RSRC3_GFX90A:TG_SPLIT: 0
	.section	.text._ZN7rocprim17ROCPRIM_400000_NS6detail17trampoline_kernelINS0_14default_configENS1_29reduce_by_key_config_selectorIffN6thrust23THRUST_200600_302600_NS4plusIfEEEEZZNS1_33reduce_by_key_impl_wrapped_configILNS1_25lookback_scan_determinismE0ES3_S9_NS6_6detail15normal_iteratorINS6_10device_ptrIfEEEESG_SG_SG_PmS8_22is_equal_div_10_reduceIfEEE10hipError_tPvRmT2_T3_mT4_T5_T6_T7_T8_P12ihipStream_tbENKUlT_T0_E_clISt17integral_constantIbLb1EES10_IbLb0EEEEDaSW_SX_EUlSW_E_NS1_11comp_targetILNS1_3genE0ELNS1_11target_archE4294967295ELNS1_3gpuE0ELNS1_3repE0EEENS1_30default_config_static_selectorELNS0_4arch9wavefront6targetE1EEEvT1_,"axG",@progbits,_ZN7rocprim17ROCPRIM_400000_NS6detail17trampoline_kernelINS0_14default_configENS1_29reduce_by_key_config_selectorIffN6thrust23THRUST_200600_302600_NS4plusIfEEEEZZNS1_33reduce_by_key_impl_wrapped_configILNS1_25lookback_scan_determinismE0ES3_S9_NS6_6detail15normal_iteratorINS6_10device_ptrIfEEEESG_SG_SG_PmS8_22is_equal_div_10_reduceIfEEE10hipError_tPvRmT2_T3_mT4_T5_T6_T7_T8_P12ihipStream_tbENKUlT_T0_E_clISt17integral_constantIbLb1EES10_IbLb0EEEEDaSW_SX_EUlSW_E_NS1_11comp_targetILNS1_3genE0ELNS1_11target_archE4294967295ELNS1_3gpuE0ELNS1_3repE0EEENS1_30default_config_static_selectorELNS0_4arch9wavefront6targetE1EEEvT1_,comdat
	.protected	_ZN7rocprim17ROCPRIM_400000_NS6detail17trampoline_kernelINS0_14default_configENS1_29reduce_by_key_config_selectorIffN6thrust23THRUST_200600_302600_NS4plusIfEEEEZZNS1_33reduce_by_key_impl_wrapped_configILNS1_25lookback_scan_determinismE0ES3_S9_NS6_6detail15normal_iteratorINS6_10device_ptrIfEEEESG_SG_SG_PmS8_22is_equal_div_10_reduceIfEEE10hipError_tPvRmT2_T3_mT4_T5_T6_T7_T8_P12ihipStream_tbENKUlT_T0_E_clISt17integral_constantIbLb1EES10_IbLb0EEEEDaSW_SX_EUlSW_E_NS1_11comp_targetILNS1_3genE0ELNS1_11target_archE4294967295ELNS1_3gpuE0ELNS1_3repE0EEENS1_30default_config_static_selectorELNS0_4arch9wavefront6targetE1EEEvT1_ ; -- Begin function _ZN7rocprim17ROCPRIM_400000_NS6detail17trampoline_kernelINS0_14default_configENS1_29reduce_by_key_config_selectorIffN6thrust23THRUST_200600_302600_NS4plusIfEEEEZZNS1_33reduce_by_key_impl_wrapped_configILNS1_25lookback_scan_determinismE0ES3_S9_NS6_6detail15normal_iteratorINS6_10device_ptrIfEEEESG_SG_SG_PmS8_22is_equal_div_10_reduceIfEEE10hipError_tPvRmT2_T3_mT4_T5_T6_T7_T8_P12ihipStream_tbENKUlT_T0_E_clISt17integral_constantIbLb1EES10_IbLb0EEEEDaSW_SX_EUlSW_E_NS1_11comp_targetILNS1_3genE0ELNS1_11target_archE4294967295ELNS1_3gpuE0ELNS1_3repE0EEENS1_30default_config_static_selectorELNS0_4arch9wavefront6targetE1EEEvT1_
	.globl	_ZN7rocprim17ROCPRIM_400000_NS6detail17trampoline_kernelINS0_14default_configENS1_29reduce_by_key_config_selectorIffN6thrust23THRUST_200600_302600_NS4plusIfEEEEZZNS1_33reduce_by_key_impl_wrapped_configILNS1_25lookback_scan_determinismE0ES3_S9_NS6_6detail15normal_iteratorINS6_10device_ptrIfEEEESG_SG_SG_PmS8_22is_equal_div_10_reduceIfEEE10hipError_tPvRmT2_T3_mT4_T5_T6_T7_T8_P12ihipStream_tbENKUlT_T0_E_clISt17integral_constantIbLb1EES10_IbLb0EEEEDaSW_SX_EUlSW_E_NS1_11comp_targetILNS1_3genE0ELNS1_11target_archE4294967295ELNS1_3gpuE0ELNS1_3repE0EEENS1_30default_config_static_selectorELNS0_4arch9wavefront6targetE1EEEvT1_
	.p2align	8
	.type	_ZN7rocprim17ROCPRIM_400000_NS6detail17trampoline_kernelINS0_14default_configENS1_29reduce_by_key_config_selectorIffN6thrust23THRUST_200600_302600_NS4plusIfEEEEZZNS1_33reduce_by_key_impl_wrapped_configILNS1_25lookback_scan_determinismE0ES3_S9_NS6_6detail15normal_iteratorINS6_10device_ptrIfEEEESG_SG_SG_PmS8_22is_equal_div_10_reduceIfEEE10hipError_tPvRmT2_T3_mT4_T5_T6_T7_T8_P12ihipStream_tbENKUlT_T0_E_clISt17integral_constantIbLb1EES10_IbLb0EEEEDaSW_SX_EUlSW_E_NS1_11comp_targetILNS1_3genE0ELNS1_11target_archE4294967295ELNS1_3gpuE0ELNS1_3repE0EEENS1_30default_config_static_selectorELNS0_4arch9wavefront6targetE1EEEvT1_,@function
_ZN7rocprim17ROCPRIM_400000_NS6detail17trampoline_kernelINS0_14default_configENS1_29reduce_by_key_config_selectorIffN6thrust23THRUST_200600_302600_NS4plusIfEEEEZZNS1_33reduce_by_key_impl_wrapped_configILNS1_25lookback_scan_determinismE0ES3_S9_NS6_6detail15normal_iteratorINS6_10device_ptrIfEEEESG_SG_SG_PmS8_22is_equal_div_10_reduceIfEEE10hipError_tPvRmT2_T3_mT4_T5_T6_T7_T8_P12ihipStream_tbENKUlT_T0_E_clISt17integral_constantIbLb1EES10_IbLb0EEEEDaSW_SX_EUlSW_E_NS1_11comp_targetILNS1_3genE0ELNS1_11target_archE4294967295ELNS1_3gpuE0ELNS1_3repE0EEENS1_30default_config_static_selectorELNS0_4arch9wavefront6targetE1EEEvT1_: ; @_ZN7rocprim17ROCPRIM_400000_NS6detail17trampoline_kernelINS0_14default_configENS1_29reduce_by_key_config_selectorIffN6thrust23THRUST_200600_302600_NS4plusIfEEEEZZNS1_33reduce_by_key_impl_wrapped_configILNS1_25lookback_scan_determinismE0ES3_S9_NS6_6detail15normal_iteratorINS6_10device_ptrIfEEEESG_SG_SG_PmS8_22is_equal_div_10_reduceIfEEE10hipError_tPvRmT2_T3_mT4_T5_T6_T7_T8_P12ihipStream_tbENKUlT_T0_E_clISt17integral_constantIbLb1EES10_IbLb0EEEEDaSW_SX_EUlSW_E_NS1_11comp_targetILNS1_3genE0ELNS1_11target_archE4294967295ELNS1_3gpuE0ELNS1_3repE0EEENS1_30default_config_static_selectorELNS0_4arch9wavefront6targetE1EEEvT1_
; %bb.0:
	.section	.rodata,"a",@progbits
	.p2align	6, 0x0
	.amdhsa_kernel _ZN7rocprim17ROCPRIM_400000_NS6detail17trampoline_kernelINS0_14default_configENS1_29reduce_by_key_config_selectorIffN6thrust23THRUST_200600_302600_NS4plusIfEEEEZZNS1_33reduce_by_key_impl_wrapped_configILNS1_25lookback_scan_determinismE0ES3_S9_NS6_6detail15normal_iteratorINS6_10device_ptrIfEEEESG_SG_SG_PmS8_22is_equal_div_10_reduceIfEEE10hipError_tPvRmT2_T3_mT4_T5_T6_T7_T8_P12ihipStream_tbENKUlT_T0_E_clISt17integral_constantIbLb1EES10_IbLb0EEEEDaSW_SX_EUlSW_E_NS1_11comp_targetILNS1_3genE0ELNS1_11target_archE4294967295ELNS1_3gpuE0ELNS1_3repE0EEENS1_30default_config_static_selectorELNS0_4arch9wavefront6targetE1EEEvT1_
		.amdhsa_group_segment_fixed_size 0
		.amdhsa_private_segment_fixed_size 0
		.amdhsa_kernarg_size 120
		.amdhsa_user_sgpr_count 6
		.amdhsa_user_sgpr_private_segment_buffer 1
		.amdhsa_user_sgpr_dispatch_ptr 0
		.amdhsa_user_sgpr_queue_ptr 0
		.amdhsa_user_sgpr_kernarg_segment_ptr 1
		.amdhsa_user_sgpr_dispatch_id 0
		.amdhsa_user_sgpr_flat_scratch_init 0
		.amdhsa_user_sgpr_kernarg_preload_length 0
		.amdhsa_user_sgpr_kernarg_preload_offset 0
		.amdhsa_user_sgpr_private_segment_size 0
		.amdhsa_uses_dynamic_stack 0
		.amdhsa_system_sgpr_private_segment_wavefront_offset 0
		.amdhsa_system_sgpr_workgroup_id_x 1
		.amdhsa_system_sgpr_workgroup_id_y 0
		.amdhsa_system_sgpr_workgroup_id_z 0
		.amdhsa_system_sgpr_workgroup_info 0
		.amdhsa_system_vgpr_workitem_id 0
		.amdhsa_next_free_vgpr 1
		.amdhsa_next_free_sgpr 0
		.amdhsa_accum_offset 4
		.amdhsa_reserve_vcc 0
		.amdhsa_reserve_flat_scratch 0
		.amdhsa_float_round_mode_32 0
		.amdhsa_float_round_mode_16_64 0
		.amdhsa_float_denorm_mode_32 3
		.amdhsa_float_denorm_mode_16_64 3
		.amdhsa_dx10_clamp 1
		.amdhsa_ieee_mode 1
		.amdhsa_fp16_overflow 0
		.amdhsa_tg_split 0
		.amdhsa_exception_fp_ieee_invalid_op 0
		.amdhsa_exception_fp_denorm_src 0
		.amdhsa_exception_fp_ieee_div_zero 0
		.amdhsa_exception_fp_ieee_overflow 0
		.amdhsa_exception_fp_ieee_underflow 0
		.amdhsa_exception_fp_ieee_inexact 0
		.amdhsa_exception_int_div_zero 0
	.end_amdhsa_kernel
	.section	.text._ZN7rocprim17ROCPRIM_400000_NS6detail17trampoline_kernelINS0_14default_configENS1_29reduce_by_key_config_selectorIffN6thrust23THRUST_200600_302600_NS4plusIfEEEEZZNS1_33reduce_by_key_impl_wrapped_configILNS1_25lookback_scan_determinismE0ES3_S9_NS6_6detail15normal_iteratorINS6_10device_ptrIfEEEESG_SG_SG_PmS8_22is_equal_div_10_reduceIfEEE10hipError_tPvRmT2_T3_mT4_T5_T6_T7_T8_P12ihipStream_tbENKUlT_T0_E_clISt17integral_constantIbLb1EES10_IbLb0EEEEDaSW_SX_EUlSW_E_NS1_11comp_targetILNS1_3genE0ELNS1_11target_archE4294967295ELNS1_3gpuE0ELNS1_3repE0EEENS1_30default_config_static_selectorELNS0_4arch9wavefront6targetE1EEEvT1_,"axG",@progbits,_ZN7rocprim17ROCPRIM_400000_NS6detail17trampoline_kernelINS0_14default_configENS1_29reduce_by_key_config_selectorIffN6thrust23THRUST_200600_302600_NS4plusIfEEEEZZNS1_33reduce_by_key_impl_wrapped_configILNS1_25lookback_scan_determinismE0ES3_S9_NS6_6detail15normal_iteratorINS6_10device_ptrIfEEEESG_SG_SG_PmS8_22is_equal_div_10_reduceIfEEE10hipError_tPvRmT2_T3_mT4_T5_T6_T7_T8_P12ihipStream_tbENKUlT_T0_E_clISt17integral_constantIbLb1EES10_IbLb0EEEEDaSW_SX_EUlSW_E_NS1_11comp_targetILNS1_3genE0ELNS1_11target_archE4294967295ELNS1_3gpuE0ELNS1_3repE0EEENS1_30default_config_static_selectorELNS0_4arch9wavefront6targetE1EEEvT1_,comdat
.Lfunc_end218:
	.size	_ZN7rocprim17ROCPRIM_400000_NS6detail17trampoline_kernelINS0_14default_configENS1_29reduce_by_key_config_selectorIffN6thrust23THRUST_200600_302600_NS4plusIfEEEEZZNS1_33reduce_by_key_impl_wrapped_configILNS1_25lookback_scan_determinismE0ES3_S9_NS6_6detail15normal_iteratorINS6_10device_ptrIfEEEESG_SG_SG_PmS8_22is_equal_div_10_reduceIfEEE10hipError_tPvRmT2_T3_mT4_T5_T6_T7_T8_P12ihipStream_tbENKUlT_T0_E_clISt17integral_constantIbLb1EES10_IbLb0EEEEDaSW_SX_EUlSW_E_NS1_11comp_targetILNS1_3genE0ELNS1_11target_archE4294967295ELNS1_3gpuE0ELNS1_3repE0EEENS1_30default_config_static_selectorELNS0_4arch9wavefront6targetE1EEEvT1_, .Lfunc_end218-_ZN7rocprim17ROCPRIM_400000_NS6detail17trampoline_kernelINS0_14default_configENS1_29reduce_by_key_config_selectorIffN6thrust23THRUST_200600_302600_NS4plusIfEEEEZZNS1_33reduce_by_key_impl_wrapped_configILNS1_25lookback_scan_determinismE0ES3_S9_NS6_6detail15normal_iteratorINS6_10device_ptrIfEEEESG_SG_SG_PmS8_22is_equal_div_10_reduceIfEEE10hipError_tPvRmT2_T3_mT4_T5_T6_T7_T8_P12ihipStream_tbENKUlT_T0_E_clISt17integral_constantIbLb1EES10_IbLb0EEEEDaSW_SX_EUlSW_E_NS1_11comp_targetILNS1_3genE0ELNS1_11target_archE4294967295ELNS1_3gpuE0ELNS1_3repE0EEENS1_30default_config_static_selectorELNS0_4arch9wavefront6targetE1EEEvT1_
                                        ; -- End function
	.section	.AMDGPU.csdata,"",@progbits
; Kernel info:
; codeLenInByte = 0
; NumSgprs: 4
; NumVgprs: 0
; NumAgprs: 0
; TotalNumVgprs: 0
; ScratchSize: 0
; MemoryBound: 0
; FloatMode: 240
; IeeeMode: 1
; LDSByteSize: 0 bytes/workgroup (compile time only)
; SGPRBlocks: 0
; VGPRBlocks: 0
; NumSGPRsForWavesPerEU: 4
; NumVGPRsForWavesPerEU: 1
; AccumOffset: 4
; Occupancy: 8
; WaveLimiterHint : 0
; COMPUTE_PGM_RSRC2:SCRATCH_EN: 0
; COMPUTE_PGM_RSRC2:USER_SGPR: 6
; COMPUTE_PGM_RSRC2:TRAP_HANDLER: 0
; COMPUTE_PGM_RSRC2:TGID_X_EN: 1
; COMPUTE_PGM_RSRC2:TGID_Y_EN: 0
; COMPUTE_PGM_RSRC2:TGID_Z_EN: 0
; COMPUTE_PGM_RSRC2:TIDIG_COMP_CNT: 0
; COMPUTE_PGM_RSRC3_GFX90A:ACCUM_OFFSET: 0
; COMPUTE_PGM_RSRC3_GFX90A:TG_SPLIT: 0
	.section	.text._ZN7rocprim17ROCPRIM_400000_NS6detail17trampoline_kernelINS0_14default_configENS1_29reduce_by_key_config_selectorIffN6thrust23THRUST_200600_302600_NS4plusIfEEEEZZNS1_33reduce_by_key_impl_wrapped_configILNS1_25lookback_scan_determinismE0ES3_S9_NS6_6detail15normal_iteratorINS6_10device_ptrIfEEEESG_SG_SG_PmS8_22is_equal_div_10_reduceIfEEE10hipError_tPvRmT2_T3_mT4_T5_T6_T7_T8_P12ihipStream_tbENKUlT_T0_E_clISt17integral_constantIbLb1EES10_IbLb0EEEEDaSW_SX_EUlSW_E_NS1_11comp_targetILNS1_3genE5ELNS1_11target_archE942ELNS1_3gpuE9ELNS1_3repE0EEENS1_30default_config_static_selectorELNS0_4arch9wavefront6targetE1EEEvT1_,"axG",@progbits,_ZN7rocprim17ROCPRIM_400000_NS6detail17trampoline_kernelINS0_14default_configENS1_29reduce_by_key_config_selectorIffN6thrust23THRUST_200600_302600_NS4plusIfEEEEZZNS1_33reduce_by_key_impl_wrapped_configILNS1_25lookback_scan_determinismE0ES3_S9_NS6_6detail15normal_iteratorINS6_10device_ptrIfEEEESG_SG_SG_PmS8_22is_equal_div_10_reduceIfEEE10hipError_tPvRmT2_T3_mT4_T5_T6_T7_T8_P12ihipStream_tbENKUlT_T0_E_clISt17integral_constantIbLb1EES10_IbLb0EEEEDaSW_SX_EUlSW_E_NS1_11comp_targetILNS1_3genE5ELNS1_11target_archE942ELNS1_3gpuE9ELNS1_3repE0EEENS1_30default_config_static_selectorELNS0_4arch9wavefront6targetE1EEEvT1_,comdat
	.protected	_ZN7rocprim17ROCPRIM_400000_NS6detail17trampoline_kernelINS0_14default_configENS1_29reduce_by_key_config_selectorIffN6thrust23THRUST_200600_302600_NS4plusIfEEEEZZNS1_33reduce_by_key_impl_wrapped_configILNS1_25lookback_scan_determinismE0ES3_S9_NS6_6detail15normal_iteratorINS6_10device_ptrIfEEEESG_SG_SG_PmS8_22is_equal_div_10_reduceIfEEE10hipError_tPvRmT2_T3_mT4_T5_T6_T7_T8_P12ihipStream_tbENKUlT_T0_E_clISt17integral_constantIbLb1EES10_IbLb0EEEEDaSW_SX_EUlSW_E_NS1_11comp_targetILNS1_3genE5ELNS1_11target_archE942ELNS1_3gpuE9ELNS1_3repE0EEENS1_30default_config_static_selectorELNS0_4arch9wavefront6targetE1EEEvT1_ ; -- Begin function _ZN7rocprim17ROCPRIM_400000_NS6detail17trampoline_kernelINS0_14default_configENS1_29reduce_by_key_config_selectorIffN6thrust23THRUST_200600_302600_NS4plusIfEEEEZZNS1_33reduce_by_key_impl_wrapped_configILNS1_25lookback_scan_determinismE0ES3_S9_NS6_6detail15normal_iteratorINS6_10device_ptrIfEEEESG_SG_SG_PmS8_22is_equal_div_10_reduceIfEEE10hipError_tPvRmT2_T3_mT4_T5_T6_T7_T8_P12ihipStream_tbENKUlT_T0_E_clISt17integral_constantIbLb1EES10_IbLb0EEEEDaSW_SX_EUlSW_E_NS1_11comp_targetILNS1_3genE5ELNS1_11target_archE942ELNS1_3gpuE9ELNS1_3repE0EEENS1_30default_config_static_selectorELNS0_4arch9wavefront6targetE1EEEvT1_
	.globl	_ZN7rocprim17ROCPRIM_400000_NS6detail17trampoline_kernelINS0_14default_configENS1_29reduce_by_key_config_selectorIffN6thrust23THRUST_200600_302600_NS4plusIfEEEEZZNS1_33reduce_by_key_impl_wrapped_configILNS1_25lookback_scan_determinismE0ES3_S9_NS6_6detail15normal_iteratorINS6_10device_ptrIfEEEESG_SG_SG_PmS8_22is_equal_div_10_reduceIfEEE10hipError_tPvRmT2_T3_mT4_T5_T6_T7_T8_P12ihipStream_tbENKUlT_T0_E_clISt17integral_constantIbLb1EES10_IbLb0EEEEDaSW_SX_EUlSW_E_NS1_11comp_targetILNS1_3genE5ELNS1_11target_archE942ELNS1_3gpuE9ELNS1_3repE0EEENS1_30default_config_static_selectorELNS0_4arch9wavefront6targetE1EEEvT1_
	.p2align	8
	.type	_ZN7rocprim17ROCPRIM_400000_NS6detail17trampoline_kernelINS0_14default_configENS1_29reduce_by_key_config_selectorIffN6thrust23THRUST_200600_302600_NS4plusIfEEEEZZNS1_33reduce_by_key_impl_wrapped_configILNS1_25lookback_scan_determinismE0ES3_S9_NS6_6detail15normal_iteratorINS6_10device_ptrIfEEEESG_SG_SG_PmS8_22is_equal_div_10_reduceIfEEE10hipError_tPvRmT2_T3_mT4_T5_T6_T7_T8_P12ihipStream_tbENKUlT_T0_E_clISt17integral_constantIbLb1EES10_IbLb0EEEEDaSW_SX_EUlSW_E_NS1_11comp_targetILNS1_3genE5ELNS1_11target_archE942ELNS1_3gpuE9ELNS1_3repE0EEENS1_30default_config_static_selectorELNS0_4arch9wavefront6targetE1EEEvT1_,@function
_ZN7rocprim17ROCPRIM_400000_NS6detail17trampoline_kernelINS0_14default_configENS1_29reduce_by_key_config_selectorIffN6thrust23THRUST_200600_302600_NS4plusIfEEEEZZNS1_33reduce_by_key_impl_wrapped_configILNS1_25lookback_scan_determinismE0ES3_S9_NS6_6detail15normal_iteratorINS6_10device_ptrIfEEEESG_SG_SG_PmS8_22is_equal_div_10_reduceIfEEE10hipError_tPvRmT2_T3_mT4_T5_T6_T7_T8_P12ihipStream_tbENKUlT_T0_E_clISt17integral_constantIbLb1EES10_IbLb0EEEEDaSW_SX_EUlSW_E_NS1_11comp_targetILNS1_3genE5ELNS1_11target_archE942ELNS1_3gpuE9ELNS1_3repE0EEENS1_30default_config_static_selectorELNS0_4arch9wavefront6targetE1EEEvT1_: ; @_ZN7rocprim17ROCPRIM_400000_NS6detail17trampoline_kernelINS0_14default_configENS1_29reduce_by_key_config_selectorIffN6thrust23THRUST_200600_302600_NS4plusIfEEEEZZNS1_33reduce_by_key_impl_wrapped_configILNS1_25lookback_scan_determinismE0ES3_S9_NS6_6detail15normal_iteratorINS6_10device_ptrIfEEEESG_SG_SG_PmS8_22is_equal_div_10_reduceIfEEE10hipError_tPvRmT2_T3_mT4_T5_T6_T7_T8_P12ihipStream_tbENKUlT_T0_E_clISt17integral_constantIbLb1EES10_IbLb0EEEEDaSW_SX_EUlSW_E_NS1_11comp_targetILNS1_3genE5ELNS1_11target_archE942ELNS1_3gpuE9ELNS1_3repE0EEENS1_30default_config_static_selectorELNS0_4arch9wavefront6targetE1EEEvT1_
; %bb.0:
	.section	.rodata,"a",@progbits
	.p2align	6, 0x0
	.amdhsa_kernel _ZN7rocprim17ROCPRIM_400000_NS6detail17trampoline_kernelINS0_14default_configENS1_29reduce_by_key_config_selectorIffN6thrust23THRUST_200600_302600_NS4plusIfEEEEZZNS1_33reduce_by_key_impl_wrapped_configILNS1_25lookback_scan_determinismE0ES3_S9_NS6_6detail15normal_iteratorINS6_10device_ptrIfEEEESG_SG_SG_PmS8_22is_equal_div_10_reduceIfEEE10hipError_tPvRmT2_T3_mT4_T5_T6_T7_T8_P12ihipStream_tbENKUlT_T0_E_clISt17integral_constantIbLb1EES10_IbLb0EEEEDaSW_SX_EUlSW_E_NS1_11comp_targetILNS1_3genE5ELNS1_11target_archE942ELNS1_3gpuE9ELNS1_3repE0EEENS1_30default_config_static_selectorELNS0_4arch9wavefront6targetE1EEEvT1_
		.amdhsa_group_segment_fixed_size 0
		.amdhsa_private_segment_fixed_size 0
		.amdhsa_kernarg_size 120
		.amdhsa_user_sgpr_count 6
		.amdhsa_user_sgpr_private_segment_buffer 1
		.amdhsa_user_sgpr_dispatch_ptr 0
		.amdhsa_user_sgpr_queue_ptr 0
		.amdhsa_user_sgpr_kernarg_segment_ptr 1
		.amdhsa_user_sgpr_dispatch_id 0
		.amdhsa_user_sgpr_flat_scratch_init 0
		.amdhsa_user_sgpr_kernarg_preload_length 0
		.amdhsa_user_sgpr_kernarg_preload_offset 0
		.amdhsa_user_sgpr_private_segment_size 0
		.amdhsa_uses_dynamic_stack 0
		.amdhsa_system_sgpr_private_segment_wavefront_offset 0
		.amdhsa_system_sgpr_workgroup_id_x 1
		.amdhsa_system_sgpr_workgroup_id_y 0
		.amdhsa_system_sgpr_workgroup_id_z 0
		.amdhsa_system_sgpr_workgroup_info 0
		.amdhsa_system_vgpr_workitem_id 0
		.amdhsa_next_free_vgpr 1
		.amdhsa_next_free_sgpr 0
		.amdhsa_accum_offset 4
		.amdhsa_reserve_vcc 0
		.amdhsa_reserve_flat_scratch 0
		.amdhsa_float_round_mode_32 0
		.amdhsa_float_round_mode_16_64 0
		.amdhsa_float_denorm_mode_32 3
		.amdhsa_float_denorm_mode_16_64 3
		.amdhsa_dx10_clamp 1
		.amdhsa_ieee_mode 1
		.amdhsa_fp16_overflow 0
		.amdhsa_tg_split 0
		.amdhsa_exception_fp_ieee_invalid_op 0
		.amdhsa_exception_fp_denorm_src 0
		.amdhsa_exception_fp_ieee_div_zero 0
		.amdhsa_exception_fp_ieee_overflow 0
		.amdhsa_exception_fp_ieee_underflow 0
		.amdhsa_exception_fp_ieee_inexact 0
		.amdhsa_exception_int_div_zero 0
	.end_amdhsa_kernel
	.section	.text._ZN7rocprim17ROCPRIM_400000_NS6detail17trampoline_kernelINS0_14default_configENS1_29reduce_by_key_config_selectorIffN6thrust23THRUST_200600_302600_NS4plusIfEEEEZZNS1_33reduce_by_key_impl_wrapped_configILNS1_25lookback_scan_determinismE0ES3_S9_NS6_6detail15normal_iteratorINS6_10device_ptrIfEEEESG_SG_SG_PmS8_22is_equal_div_10_reduceIfEEE10hipError_tPvRmT2_T3_mT4_T5_T6_T7_T8_P12ihipStream_tbENKUlT_T0_E_clISt17integral_constantIbLb1EES10_IbLb0EEEEDaSW_SX_EUlSW_E_NS1_11comp_targetILNS1_3genE5ELNS1_11target_archE942ELNS1_3gpuE9ELNS1_3repE0EEENS1_30default_config_static_selectorELNS0_4arch9wavefront6targetE1EEEvT1_,"axG",@progbits,_ZN7rocprim17ROCPRIM_400000_NS6detail17trampoline_kernelINS0_14default_configENS1_29reduce_by_key_config_selectorIffN6thrust23THRUST_200600_302600_NS4plusIfEEEEZZNS1_33reduce_by_key_impl_wrapped_configILNS1_25lookback_scan_determinismE0ES3_S9_NS6_6detail15normal_iteratorINS6_10device_ptrIfEEEESG_SG_SG_PmS8_22is_equal_div_10_reduceIfEEE10hipError_tPvRmT2_T3_mT4_T5_T6_T7_T8_P12ihipStream_tbENKUlT_T0_E_clISt17integral_constantIbLb1EES10_IbLb0EEEEDaSW_SX_EUlSW_E_NS1_11comp_targetILNS1_3genE5ELNS1_11target_archE942ELNS1_3gpuE9ELNS1_3repE0EEENS1_30default_config_static_selectorELNS0_4arch9wavefront6targetE1EEEvT1_,comdat
.Lfunc_end219:
	.size	_ZN7rocprim17ROCPRIM_400000_NS6detail17trampoline_kernelINS0_14default_configENS1_29reduce_by_key_config_selectorIffN6thrust23THRUST_200600_302600_NS4plusIfEEEEZZNS1_33reduce_by_key_impl_wrapped_configILNS1_25lookback_scan_determinismE0ES3_S9_NS6_6detail15normal_iteratorINS6_10device_ptrIfEEEESG_SG_SG_PmS8_22is_equal_div_10_reduceIfEEE10hipError_tPvRmT2_T3_mT4_T5_T6_T7_T8_P12ihipStream_tbENKUlT_T0_E_clISt17integral_constantIbLb1EES10_IbLb0EEEEDaSW_SX_EUlSW_E_NS1_11comp_targetILNS1_3genE5ELNS1_11target_archE942ELNS1_3gpuE9ELNS1_3repE0EEENS1_30default_config_static_selectorELNS0_4arch9wavefront6targetE1EEEvT1_, .Lfunc_end219-_ZN7rocprim17ROCPRIM_400000_NS6detail17trampoline_kernelINS0_14default_configENS1_29reduce_by_key_config_selectorIffN6thrust23THRUST_200600_302600_NS4plusIfEEEEZZNS1_33reduce_by_key_impl_wrapped_configILNS1_25lookback_scan_determinismE0ES3_S9_NS6_6detail15normal_iteratorINS6_10device_ptrIfEEEESG_SG_SG_PmS8_22is_equal_div_10_reduceIfEEE10hipError_tPvRmT2_T3_mT4_T5_T6_T7_T8_P12ihipStream_tbENKUlT_T0_E_clISt17integral_constantIbLb1EES10_IbLb0EEEEDaSW_SX_EUlSW_E_NS1_11comp_targetILNS1_3genE5ELNS1_11target_archE942ELNS1_3gpuE9ELNS1_3repE0EEENS1_30default_config_static_selectorELNS0_4arch9wavefront6targetE1EEEvT1_
                                        ; -- End function
	.section	.AMDGPU.csdata,"",@progbits
; Kernel info:
; codeLenInByte = 0
; NumSgprs: 4
; NumVgprs: 0
; NumAgprs: 0
; TotalNumVgprs: 0
; ScratchSize: 0
; MemoryBound: 0
; FloatMode: 240
; IeeeMode: 1
; LDSByteSize: 0 bytes/workgroup (compile time only)
; SGPRBlocks: 0
; VGPRBlocks: 0
; NumSGPRsForWavesPerEU: 4
; NumVGPRsForWavesPerEU: 1
; AccumOffset: 4
; Occupancy: 8
; WaveLimiterHint : 0
; COMPUTE_PGM_RSRC2:SCRATCH_EN: 0
; COMPUTE_PGM_RSRC2:USER_SGPR: 6
; COMPUTE_PGM_RSRC2:TRAP_HANDLER: 0
; COMPUTE_PGM_RSRC2:TGID_X_EN: 1
; COMPUTE_PGM_RSRC2:TGID_Y_EN: 0
; COMPUTE_PGM_RSRC2:TGID_Z_EN: 0
; COMPUTE_PGM_RSRC2:TIDIG_COMP_CNT: 0
; COMPUTE_PGM_RSRC3_GFX90A:ACCUM_OFFSET: 0
; COMPUTE_PGM_RSRC3_GFX90A:TG_SPLIT: 0
	.section	.text._ZN7rocprim17ROCPRIM_400000_NS6detail17trampoline_kernelINS0_14default_configENS1_29reduce_by_key_config_selectorIffN6thrust23THRUST_200600_302600_NS4plusIfEEEEZZNS1_33reduce_by_key_impl_wrapped_configILNS1_25lookback_scan_determinismE0ES3_S9_NS6_6detail15normal_iteratorINS6_10device_ptrIfEEEESG_SG_SG_PmS8_22is_equal_div_10_reduceIfEEE10hipError_tPvRmT2_T3_mT4_T5_T6_T7_T8_P12ihipStream_tbENKUlT_T0_E_clISt17integral_constantIbLb1EES10_IbLb0EEEEDaSW_SX_EUlSW_E_NS1_11comp_targetILNS1_3genE4ELNS1_11target_archE910ELNS1_3gpuE8ELNS1_3repE0EEENS1_30default_config_static_selectorELNS0_4arch9wavefront6targetE1EEEvT1_,"axG",@progbits,_ZN7rocprim17ROCPRIM_400000_NS6detail17trampoline_kernelINS0_14default_configENS1_29reduce_by_key_config_selectorIffN6thrust23THRUST_200600_302600_NS4plusIfEEEEZZNS1_33reduce_by_key_impl_wrapped_configILNS1_25lookback_scan_determinismE0ES3_S9_NS6_6detail15normal_iteratorINS6_10device_ptrIfEEEESG_SG_SG_PmS8_22is_equal_div_10_reduceIfEEE10hipError_tPvRmT2_T3_mT4_T5_T6_T7_T8_P12ihipStream_tbENKUlT_T0_E_clISt17integral_constantIbLb1EES10_IbLb0EEEEDaSW_SX_EUlSW_E_NS1_11comp_targetILNS1_3genE4ELNS1_11target_archE910ELNS1_3gpuE8ELNS1_3repE0EEENS1_30default_config_static_selectorELNS0_4arch9wavefront6targetE1EEEvT1_,comdat
	.protected	_ZN7rocprim17ROCPRIM_400000_NS6detail17trampoline_kernelINS0_14default_configENS1_29reduce_by_key_config_selectorIffN6thrust23THRUST_200600_302600_NS4plusIfEEEEZZNS1_33reduce_by_key_impl_wrapped_configILNS1_25lookback_scan_determinismE0ES3_S9_NS6_6detail15normal_iteratorINS6_10device_ptrIfEEEESG_SG_SG_PmS8_22is_equal_div_10_reduceIfEEE10hipError_tPvRmT2_T3_mT4_T5_T6_T7_T8_P12ihipStream_tbENKUlT_T0_E_clISt17integral_constantIbLb1EES10_IbLb0EEEEDaSW_SX_EUlSW_E_NS1_11comp_targetILNS1_3genE4ELNS1_11target_archE910ELNS1_3gpuE8ELNS1_3repE0EEENS1_30default_config_static_selectorELNS0_4arch9wavefront6targetE1EEEvT1_ ; -- Begin function _ZN7rocprim17ROCPRIM_400000_NS6detail17trampoline_kernelINS0_14default_configENS1_29reduce_by_key_config_selectorIffN6thrust23THRUST_200600_302600_NS4plusIfEEEEZZNS1_33reduce_by_key_impl_wrapped_configILNS1_25lookback_scan_determinismE0ES3_S9_NS6_6detail15normal_iteratorINS6_10device_ptrIfEEEESG_SG_SG_PmS8_22is_equal_div_10_reduceIfEEE10hipError_tPvRmT2_T3_mT4_T5_T6_T7_T8_P12ihipStream_tbENKUlT_T0_E_clISt17integral_constantIbLb1EES10_IbLb0EEEEDaSW_SX_EUlSW_E_NS1_11comp_targetILNS1_3genE4ELNS1_11target_archE910ELNS1_3gpuE8ELNS1_3repE0EEENS1_30default_config_static_selectorELNS0_4arch9wavefront6targetE1EEEvT1_
	.globl	_ZN7rocprim17ROCPRIM_400000_NS6detail17trampoline_kernelINS0_14default_configENS1_29reduce_by_key_config_selectorIffN6thrust23THRUST_200600_302600_NS4plusIfEEEEZZNS1_33reduce_by_key_impl_wrapped_configILNS1_25lookback_scan_determinismE0ES3_S9_NS6_6detail15normal_iteratorINS6_10device_ptrIfEEEESG_SG_SG_PmS8_22is_equal_div_10_reduceIfEEE10hipError_tPvRmT2_T3_mT4_T5_T6_T7_T8_P12ihipStream_tbENKUlT_T0_E_clISt17integral_constantIbLb1EES10_IbLb0EEEEDaSW_SX_EUlSW_E_NS1_11comp_targetILNS1_3genE4ELNS1_11target_archE910ELNS1_3gpuE8ELNS1_3repE0EEENS1_30default_config_static_selectorELNS0_4arch9wavefront6targetE1EEEvT1_
	.p2align	8
	.type	_ZN7rocprim17ROCPRIM_400000_NS6detail17trampoline_kernelINS0_14default_configENS1_29reduce_by_key_config_selectorIffN6thrust23THRUST_200600_302600_NS4plusIfEEEEZZNS1_33reduce_by_key_impl_wrapped_configILNS1_25lookback_scan_determinismE0ES3_S9_NS6_6detail15normal_iteratorINS6_10device_ptrIfEEEESG_SG_SG_PmS8_22is_equal_div_10_reduceIfEEE10hipError_tPvRmT2_T3_mT4_T5_T6_T7_T8_P12ihipStream_tbENKUlT_T0_E_clISt17integral_constantIbLb1EES10_IbLb0EEEEDaSW_SX_EUlSW_E_NS1_11comp_targetILNS1_3genE4ELNS1_11target_archE910ELNS1_3gpuE8ELNS1_3repE0EEENS1_30default_config_static_selectorELNS0_4arch9wavefront6targetE1EEEvT1_,@function
_ZN7rocprim17ROCPRIM_400000_NS6detail17trampoline_kernelINS0_14default_configENS1_29reduce_by_key_config_selectorIffN6thrust23THRUST_200600_302600_NS4plusIfEEEEZZNS1_33reduce_by_key_impl_wrapped_configILNS1_25lookback_scan_determinismE0ES3_S9_NS6_6detail15normal_iteratorINS6_10device_ptrIfEEEESG_SG_SG_PmS8_22is_equal_div_10_reduceIfEEE10hipError_tPvRmT2_T3_mT4_T5_T6_T7_T8_P12ihipStream_tbENKUlT_T0_E_clISt17integral_constantIbLb1EES10_IbLb0EEEEDaSW_SX_EUlSW_E_NS1_11comp_targetILNS1_3genE4ELNS1_11target_archE910ELNS1_3gpuE8ELNS1_3repE0EEENS1_30default_config_static_selectorELNS0_4arch9wavefront6targetE1EEEvT1_: ; @_ZN7rocprim17ROCPRIM_400000_NS6detail17trampoline_kernelINS0_14default_configENS1_29reduce_by_key_config_selectorIffN6thrust23THRUST_200600_302600_NS4plusIfEEEEZZNS1_33reduce_by_key_impl_wrapped_configILNS1_25lookback_scan_determinismE0ES3_S9_NS6_6detail15normal_iteratorINS6_10device_ptrIfEEEESG_SG_SG_PmS8_22is_equal_div_10_reduceIfEEE10hipError_tPvRmT2_T3_mT4_T5_T6_T7_T8_P12ihipStream_tbENKUlT_T0_E_clISt17integral_constantIbLb1EES10_IbLb0EEEEDaSW_SX_EUlSW_E_NS1_11comp_targetILNS1_3genE4ELNS1_11target_archE910ELNS1_3gpuE8ELNS1_3repE0EEENS1_30default_config_static_selectorELNS0_4arch9wavefront6targetE1EEEvT1_
; %bb.0:
	s_load_dwordx8 s[36:43], s[4:5], 0x0
	s_load_dwordx4 s[52:55], s[4:5], 0x20
	s_load_dwordx8 s[44:51], s[4:5], 0x38
	s_load_dwordx2 s[60:61], s[4:5], 0x68
	s_load_dwordx4 s[56:59], s[4:5], 0x58
	s_waitcnt lgkmcnt(0)
	s_lshl_b64 s[0:1], s[38:39], 2
	s_add_u32 s2, s36, s0
	s_addc_u32 s3, s37, s1
	s_add_u32 s4, s40, s0
	s_addc_u32 s5, s41, s1
	s_mul_i32 s0, s48, s47
	s_mul_hi_u32 s1, s48, s46
	s_add_i32 s0, s1, s0
	s_mul_i32 s1, s49, s46
	s_add_i32 s8, s0, s1
	s_mul_i32 s0, s6, 0xf00
	s_mov_b32 s1, 0
	s_lshl_b64 s[0:1], s[0:1], 2
	s_add_u32 s7, s2, s0
	s_mul_i32 s9, s48, s46
	s_addc_u32 s48, s3, s1
	s_add_u32 s49, s4, s0
	s_addc_u32 s62, s5, s1
	s_add_u32 s38, s9, s6
	s_addc_u32 s39, s8, 0
	s_add_u32 s2, s50, -1
	s_addc_u32 s3, s51, -1
	s_cmp_eq_u64 s[38:39], s[2:3]
	s_cselect_b64 s[34:35], -1, 0
	s_cmp_lg_u64 s[38:39], s[2:3]
	s_mov_b64 s[0:1], -1
	s_cselect_b64 s[40:41], -1, 0
	s_mul_i32 s33, s2, 0xfffff100
	s_and_b64 vcc, exec, s[34:35]
	s_cbranch_vccnz .LBB220_2
; %bb.1:
	v_lshlrev_b32_e32 v26, 2, v0
	v_mov_b32_e32 v1, s48
	v_add_co_u32_e32 v2, vcc, s7, v26
	v_addc_co_u32_e32 v3, vcc, 0, v1, vcc
	v_add_co_u32_e32 v4, vcc, 0x1000, v2
	v_addc_co_u32_e32 v5, vcc, 0, v3, vcc
	flat_load_dword v1, v[2:3]
	flat_load_dword v12, v[2:3] offset:1024
	flat_load_dword v13, v[2:3] offset:2048
	flat_load_dword v14, v[2:3] offset:3072
	flat_load_dword v15, v[4:5]
	flat_load_dword v16, v[4:5] offset:1024
	flat_load_dword v17, v[4:5] offset:2048
	;; [unrolled: 1-line block ×3, first 2 shown]
	v_add_co_u32_e32 v4, vcc, 0x2000, v2
	v_addc_co_u32_e32 v5, vcc, 0, v3, vcc
	v_add_co_u32_e32 v2, vcc, 0x3000, v2
	v_addc_co_u32_e32 v3, vcc, 0, v3, vcc
	flat_load_dword v19, v[4:5]
	flat_load_dword v20, v[4:5] offset:1024
	flat_load_dword v21, v[4:5] offset:2048
	;; [unrolled: 1-line block ×3, first 2 shown]
	flat_load_dword v23, v[2:3]
	flat_load_dword v24, v[2:3] offset:1024
	flat_load_dword v25, v[2:3] offset:2048
	v_mov_b32_e32 v3, s62
	v_add_co_u32_e32 v4, vcc, s49, v26
	s_movk_i32 s0, 0x1000
	v_addc_co_u32_e32 v5, vcc, 0, v3, vcc
	v_add_co_u32_e32 v6, vcc, s0, v4
	s_movk_i32 s1, 0x2000
	v_addc_co_u32_e32 v7, vcc, 0, v5, vcc
	;; [unrolled: 3-line block ×3, first 2 shown]
	v_mad_u32_u24 v2, v0, 56, v26
	v_add_co_u32_e32 v10, vcc, s2, v4
	v_addc_co_u32_e32 v11, vcc, 0, v5, vcc
	s_waitcnt vmcnt(0) lgkmcnt(0)
	ds_write2st64_b32 v26, v1, v12 offset1:4
	ds_write2st64_b32 v26, v13, v14 offset0:8 offset1:12
	ds_write2st64_b32 v26, v15, v16 offset0:16 offset1:20
	;; [unrolled: 1-line block ×6, first 2 shown]
	ds_write_b32 v26, v25 offset:14336
	s_waitcnt lgkmcnt(0)
	s_barrier
	ds_read2_b32 v[24:25], v2 offset1:1
	ds_read2_b32 v[22:23], v2 offset0:2 offset1:3
	ds_read2_b32 v[20:21], v2 offset0:4 offset1:5
	;; [unrolled: 1-line block ×6, first 2 shown]
	ds_read_b32 v1, v2 offset:56
	s_waitcnt lgkmcnt(0)
	s_barrier
	flat_load_dword v3, v[4:5]
	flat_load_dword v27, v[4:5] offset:1024
	flat_load_dword v28, v[4:5] offset:2048
	flat_load_dword v29, v[4:5] offset:3072
	flat_load_dword v30, v[6:7]
	flat_load_dword v31, v[6:7] offset:1024
	flat_load_dword v32, v[6:7] offset:2048
	flat_load_dword v33, v[6:7] offset:3072
	;; [unrolled: 4-line block ×3, first 2 shown]
	flat_load_dword v38, v[10:11]
	flat_load_dword v39, v[10:11] offset:1024
	flat_load_dword v40, v[10:11] offset:2048
	v_mul_u32_u24_e32 v8, 15, v0
	s_waitcnt vmcnt(0) lgkmcnt(0)
	ds_write2st64_b32 v26, v3, v27 offset1:4
	ds_write2st64_b32 v26, v28, v29 offset0:8 offset1:12
	ds_write2st64_b32 v26, v30, v31 offset0:16 offset1:20
	;; [unrolled: 1-line block ×6, first 2 shown]
	ds_write_b32 v26, v40 offset:14336
	s_waitcnt lgkmcnt(0)
	s_barrier
	s_add_i32 s33, s33, s56
	s_cbranch_execz .LBB220_3
	s_branch .LBB220_50
.LBB220_2:
                                        ; implicit-def: $vgpr12_vgpr13
                                        ; implicit-def: $vgpr14_vgpr15
                                        ; implicit-def: $vgpr16_vgpr17
                                        ; implicit-def: $vgpr18_vgpr19
                                        ; implicit-def: $vgpr20_vgpr21
                                        ; implicit-def: $vgpr22_vgpr23
                                        ; implicit-def: $vgpr24_vgpr25
                                        ; implicit-def: $vgpr8
                                        ; implicit-def: $vgpr2
                                        ; implicit-def: $vgpr1
	s_andn2_b64 vcc, exec, s[0:1]
	s_add_i32 s33, s33, s56
	s_cbranch_vccnz .LBB220_50
.LBB220_3:
	v_cmp_gt_u32_e32 vcc, s33, v0
                                        ; implicit-def: $vgpr1
	s_and_saveexec_b64 s[2:3], vcc
	s_cbranch_execz .LBB220_5
; %bb.4:
	v_lshlrev_b32_e32 v1, 2, v0
	v_mov_b32_e32 v3, s48
	v_add_co_u32_e64 v2, s[0:1], s7, v1
	v_addc_co_u32_e64 v3, s[0:1], 0, v3, s[0:1]
	flat_load_dword v1, v[2:3]
.LBB220_5:
	s_or_b64 exec, exec, s[2:3]
	v_or_b32_e32 v2, 0x100, v0
	v_cmp_gt_u32_e64 s[0:1], s33, v2
                                        ; implicit-def: $vgpr2
	s_and_saveexec_b64 s[4:5], s[0:1]
	s_cbranch_execz .LBB220_7
; %bb.6:
	v_lshlrev_b32_e32 v2, 2, v0
	v_mov_b32_e32 v3, s48
	v_add_co_u32_e64 v2, s[2:3], s7, v2
	v_addc_co_u32_e64 v3, s[2:3], 0, v3, s[2:3]
	flat_load_dword v2, v[2:3] offset:1024
.LBB220_7:
	s_or_b64 exec, exec, s[4:5]
	v_or_b32_e32 v3, 0x200, v0
	v_cmp_gt_u32_e64 s[2:3], s33, v3
                                        ; implicit-def: $vgpr12
	s_and_saveexec_b64 s[8:9], s[2:3]
	s_cbranch_execz .LBB220_9
; %bb.8:
	v_lshlrev_b32_e32 v3, 2, v0
	v_mov_b32_e32 v5, s48
	v_add_co_u32_e64 v4, s[4:5], s7, v3
	v_addc_co_u32_e64 v5, s[4:5], 0, v5, s[4:5]
	flat_load_dword v12, v[4:5] offset:2048
.LBB220_9:
	s_or_b64 exec, exec, s[8:9]
	v_or_b32_e32 v3, 0x300, v0
	v_cmp_gt_u32_e64 s[4:5], s33, v3
                                        ; implicit-def: $vgpr13
	s_and_saveexec_b64 s[10:11], s[4:5]
	s_cbranch_execz .LBB220_11
; %bb.10:
	v_lshlrev_b32_e32 v3, 2, v0
	v_mov_b32_e32 v5, s48
	v_add_co_u32_e64 v4, s[8:9], s7, v3
	v_addc_co_u32_e64 v5, s[8:9], 0, v5, s[8:9]
	flat_load_dword v13, v[4:5] offset:3072
.LBB220_11:
	s_or_b64 exec, exec, s[10:11]
	v_or_b32_e32 v3, 0x400, v0
	v_cmp_gt_u32_e64 s[28:29], s33, v3
                                        ; implicit-def: $vgpr14
	s_and_saveexec_b64 s[10:11], s[28:29]
	s_cbranch_execz .LBB220_13
; %bb.12:
	v_lshlrev_b32_e32 v4, 2, v3
	v_mov_b32_e32 v5, s48
	v_add_co_u32_e64 v4, s[8:9], s7, v4
	v_addc_co_u32_e64 v5, s[8:9], 0, v5, s[8:9]
	flat_load_dword v14, v[4:5]
.LBB220_13:
	s_or_b64 exec, exec, s[10:11]
	v_or_b32_e32 v4, 0x500, v0
	v_cmp_gt_u32_e64 s[8:9], s33, v4
                                        ; implicit-def: $vgpr15
	s_and_saveexec_b64 s[12:13], s[8:9]
	s_cbranch_execz .LBB220_15
; %bb.14:
	v_lshlrev_b32_e32 v5, 2, v4
	v_mov_b32_e32 v7, s48
	v_add_co_u32_e64 v6, s[10:11], s7, v5
	v_addc_co_u32_e64 v7, s[10:11], 0, v7, s[10:11]
	flat_load_dword v15, v[6:7]
.LBB220_15:
	s_or_b64 exec, exec, s[12:13]
	v_or_b32_e32 v5, 0x600, v0
	v_cmp_gt_u32_e64 s[10:11], s33, v5
                                        ; implicit-def: $vgpr16
	s_and_saveexec_b64 s[14:15], s[10:11]
	s_cbranch_execz .LBB220_17
; %bb.16:
	v_lshlrev_b32_e32 v6, 2, v5
	v_mov_b32_e32 v7, s48
	v_add_co_u32_e64 v6, s[12:13], s7, v6
	v_addc_co_u32_e64 v7, s[12:13], 0, v7, s[12:13]
	flat_load_dword v16, v[6:7]
.LBB220_17:
	s_or_b64 exec, exec, s[14:15]
	v_or_b32_e32 v6, 0x700, v0
	v_cmp_gt_u32_e64 s[12:13], s33, v6
                                        ; implicit-def: $vgpr17
	s_and_saveexec_b64 s[16:17], s[12:13]
	s_cbranch_execz .LBB220_19
; %bb.18:
	v_lshlrev_b32_e32 v7, 2, v6
	v_mov_b32_e32 v9, s48
	v_add_co_u32_e64 v8, s[14:15], s7, v7
	v_addc_co_u32_e64 v9, s[14:15], 0, v9, s[14:15]
	flat_load_dword v17, v[8:9]
.LBB220_19:
	s_or_b64 exec, exec, s[16:17]
	v_or_b32_e32 v7, 0x800, v0
	v_cmp_gt_u32_e64 s[14:15], s33, v7
                                        ; implicit-def: $vgpr18
	s_and_saveexec_b64 s[18:19], s[14:15]
	s_cbranch_execz .LBB220_21
; %bb.20:
	v_lshlrev_b32_e32 v8, 2, v7
	v_mov_b32_e32 v9, s48
	v_add_co_u32_e64 v8, s[16:17], s7, v8
	v_addc_co_u32_e64 v9, s[16:17], 0, v9, s[16:17]
	flat_load_dword v18, v[8:9]
.LBB220_21:
	s_or_b64 exec, exec, s[18:19]
	v_or_b32_e32 v8, 0x900, v0
	v_cmp_gt_u32_e64 s[16:17], s33, v8
                                        ; implicit-def: $vgpr19
	s_and_saveexec_b64 s[20:21], s[16:17]
	s_cbranch_execz .LBB220_23
; %bb.22:
	v_lshlrev_b32_e32 v9, 2, v8
	v_mov_b32_e32 v11, s48
	v_add_co_u32_e64 v10, s[18:19], s7, v9
	v_addc_co_u32_e64 v11, s[18:19], 0, v11, s[18:19]
	flat_load_dword v19, v[10:11]
.LBB220_23:
	s_or_b64 exec, exec, s[20:21]
	v_or_b32_e32 v9, 0xa00, v0
	v_cmp_gt_u32_e64 s[18:19], s33, v9
                                        ; implicit-def: $vgpr20
	s_and_saveexec_b64 s[22:23], s[18:19]
	s_cbranch_execz .LBB220_25
; %bb.24:
	v_lshlrev_b32_e32 v10, 2, v9
	v_mov_b32_e32 v11, s48
	v_add_co_u32_e64 v10, s[20:21], s7, v10
	v_addc_co_u32_e64 v11, s[20:21], 0, v11, s[20:21]
	flat_load_dword v20, v[10:11]
.LBB220_25:
	s_or_b64 exec, exec, s[22:23]
	v_or_b32_e32 v10, 0xb00, v0
	v_cmp_gt_u32_e64 s[20:21], s33, v10
                                        ; implicit-def: $vgpr21
	s_and_saveexec_b64 s[24:25], s[20:21]
	s_cbranch_execz .LBB220_27
; %bb.26:
	v_lshlrev_b32_e32 v11, 2, v10
	v_mov_b32_e32 v21, s48
	v_add_co_u32_e64 v22, s[22:23], s7, v11
	v_addc_co_u32_e64 v23, s[22:23], 0, v21, s[22:23]
	flat_load_dword v21, v[22:23]
.LBB220_27:
	s_or_b64 exec, exec, s[24:25]
	v_or_b32_e32 v11, 0xc00, v0
	v_cmp_gt_u32_e64 s[22:23], s33, v11
                                        ; implicit-def: $vgpr22
	s_and_saveexec_b64 s[26:27], s[22:23]
	s_cbranch_execz .LBB220_29
; %bb.28:
	v_lshlrev_b32_e32 v22, 2, v11
	v_mov_b32_e32 v23, s48
	v_add_co_u32_e64 v22, s[24:25], s7, v22
	v_addc_co_u32_e64 v23, s[24:25], 0, v23, s[24:25]
	flat_load_dword v22, v[22:23]
.LBB220_29:
	s_or_b64 exec, exec, s[26:27]
	v_or_b32_e32 v26, 0xd00, v0
	v_cmp_gt_u32_e64 s[24:25], s33, v26
                                        ; implicit-def: $vgpr23
	s_and_saveexec_b64 s[30:31], s[24:25]
	s_cbranch_execz .LBB220_31
; %bb.30:
	v_lshlrev_b32_e32 v23, 2, v26
	v_mov_b32_e32 v25, s48
	v_add_co_u32_e64 v24, s[26:27], s7, v23
	v_addc_co_u32_e64 v25, s[26:27], 0, v25, s[26:27]
	flat_load_dword v23, v[24:25]
.LBB220_31:
	s_or_b64 exec, exec, s[30:31]
	v_or_b32_e32 v27, 0xe00, v0
	v_cmp_gt_u32_e64 s[26:27], s33, v27
                                        ; implicit-def: $vgpr24
	s_and_saveexec_b64 s[36:37], s[26:27]
	s_cbranch_execz .LBB220_33
; %bb.32:
	v_lshlrev_b32_e32 v24, 2, v27
	v_mov_b32_e32 v25, s48
	v_add_co_u32_e64 v24, s[30:31], s7, v24
	v_addc_co_u32_e64 v25, s[30:31], 0, v25, s[30:31]
	flat_load_dword v24, v[24:25]
.LBB220_33:
	s_or_b64 exec, exec, s[36:37]
	v_lshlrev_b32_e32 v28, 2, v0
	s_waitcnt vmcnt(0) lgkmcnt(0)
	ds_write2st64_b32 v28, v1, v2 offset1:4
	ds_write2st64_b32 v28, v12, v13 offset0:8 offset1:12
	ds_write2st64_b32 v28, v14, v15 offset0:16 offset1:20
	;; [unrolled: 1-line block ×6, first 2 shown]
	ds_write_b32 v28, v24 offset:14336
	v_mad_u32_u24 v2, v0, 56, v28
	s_waitcnt lgkmcnt(0)
	s_barrier
	ds_read2_b32 v[24:25], v2 offset1:1
	ds_read2_b32 v[22:23], v2 offset0:2 offset1:3
	ds_read2_b32 v[20:21], v2 offset0:4 offset1:5
	ds_read2_b32 v[18:19], v2 offset0:6 offset1:7
	ds_read2_b32 v[16:17], v2 offset0:8 offset1:9
	ds_read2_b32 v[14:15], v2 offset0:10 offset1:11
	ds_read2_b32 v[12:13], v2 offset0:12 offset1:13
	ds_read_b32 v1, v2 offset:56
	s_waitcnt lgkmcnt(0)
	s_barrier
	s_waitcnt lgkmcnt(0)
                                        ; implicit-def: $vgpr29
	s_and_saveexec_b64 s[30:31], vcc
	s_cbranch_execnz .LBB220_57
; %bb.34:
	s_or_b64 exec, exec, s[30:31]
                                        ; implicit-def: $vgpr30
	s_and_saveexec_b64 s[30:31], s[0:1]
	s_cbranch_execnz .LBB220_58
.LBB220_35:
	s_or_b64 exec, exec, s[30:31]
                                        ; implicit-def: $vgpr31
	s_and_saveexec_b64 s[0:1], s[2:3]
	s_cbranch_execnz .LBB220_59
.LBB220_36:
	s_or_b64 exec, exec, s[0:1]
                                        ; implicit-def: $vgpr32
	s_and_saveexec_b64 s[0:1], s[4:5]
	s_cbranch_execnz .LBB220_60
.LBB220_37:
	s_or_b64 exec, exec, s[0:1]
                                        ; implicit-def: $vgpr33
	s_and_saveexec_b64 s[0:1], s[28:29]
	s_cbranch_execnz .LBB220_61
.LBB220_38:
	s_or_b64 exec, exec, s[0:1]
                                        ; implicit-def: $vgpr3
	s_and_saveexec_b64 s[0:1], s[8:9]
	s_cbranch_execnz .LBB220_62
.LBB220_39:
	s_or_b64 exec, exec, s[0:1]
                                        ; implicit-def: $vgpr4
	s_and_saveexec_b64 s[0:1], s[10:11]
	s_cbranch_execnz .LBB220_63
.LBB220_40:
	s_or_b64 exec, exec, s[0:1]
                                        ; implicit-def: $vgpr5
	s_and_saveexec_b64 s[0:1], s[12:13]
	s_cbranch_execnz .LBB220_64
.LBB220_41:
	s_or_b64 exec, exec, s[0:1]
                                        ; implicit-def: $vgpr6
	s_and_saveexec_b64 s[0:1], s[14:15]
	s_cbranch_execnz .LBB220_65
.LBB220_42:
	s_or_b64 exec, exec, s[0:1]
                                        ; implicit-def: $vgpr7
	s_and_saveexec_b64 s[0:1], s[16:17]
	s_cbranch_execnz .LBB220_66
.LBB220_43:
	s_or_b64 exec, exec, s[0:1]
                                        ; implicit-def: $vgpr34
	s_and_saveexec_b64 s[0:1], s[18:19]
	s_cbranch_execnz .LBB220_67
.LBB220_44:
	s_or_b64 exec, exec, s[0:1]
                                        ; implicit-def: $vgpr9
	s_and_saveexec_b64 s[0:1], s[20:21]
	s_cbranch_execnz .LBB220_68
.LBB220_45:
	s_or_b64 exec, exec, s[0:1]
                                        ; implicit-def: $vgpr10
	s_and_saveexec_b64 s[0:1], s[22:23]
	s_cbranch_execnz .LBB220_69
.LBB220_46:
	s_or_b64 exec, exec, s[0:1]
                                        ; implicit-def: $vgpr11
	s_and_saveexec_b64 s[0:1], s[24:25]
	s_cbranch_execnz .LBB220_70
.LBB220_47:
	s_or_b64 exec, exec, s[0:1]
                                        ; implicit-def: $vgpr26
	s_and_saveexec_b64 s[0:1], s[26:27]
	s_cbranch_execz .LBB220_49
.LBB220_48:
	v_lshlrev_b32_e32 v8, 2, v27
	v_mov_b32_e32 v27, s62
	v_add_co_u32_e32 v26, vcc, s49, v8
	v_addc_co_u32_e32 v27, vcc, 0, v27, vcc
	flat_load_dword v26, v[26:27]
.LBB220_49:
	s_or_b64 exec, exec, s[0:1]
	v_mul_u32_u24_e32 v8, 15, v0
	s_waitcnt vmcnt(0) lgkmcnt(0)
	ds_write2st64_b32 v28, v29, v30 offset1:4
	ds_write2st64_b32 v28, v31, v32 offset0:8 offset1:12
	ds_write2st64_b32 v28, v33, v3 offset0:16 offset1:20
	;; [unrolled: 1-line block ×6, first 2 shown]
	ds_write_b32 v28, v26 offset:14336
	s_waitcnt lgkmcnt(0)
	s_barrier
.LBB220_50:
	v_lshlrev_b32_e32 v3, 2, v8
	ds_read2_b32 v[50:51], v2 offset1:2
	ds_read2_b32 v[46:47], v2 offset0:4 offset1:6
	ds_read2_b32 v[44:45], v2 offset0:8 offset1:10
	ds_read2_b32 v[40:41], v2 offset0:12 offset1:14
	ds_read2_b32 v[52:53], v3 offset0:1 offset1:3
	ds_read2_b32 v[48:49], v3 offset0:5 offset1:7
	ds_read2_b32 v[42:43], v3 offset0:9 offset1:11
	ds_read_b32 v61, v3 offset:52
	s_cmp_eq_u64 s[38:39], 0
	s_cselect_b64 s[36:37], -1, 0
	s_cmp_lg_u64 s[38:39], 0
	s_mov_b64 s[0:1], 0
	s_cselect_b64 s[4:5], -1, 0
	s_and_b64 vcc, exec, s[40:41]
	s_waitcnt lgkmcnt(0)
	s_barrier
	s_cbranch_vccz .LBB220_56
; %bb.51:
	s_and_b64 vcc, exec, s[4:5]
	s_cbranch_vccz .LBB220_71
; %bb.52:
	v_mov_b32_e32 v3, s48
	v_add_co_u32_e64 v2, vcc, -4, s7
	v_addc_co_u32_e32 v3, vcc, -1, v3, vcc
	flat_load_dword v2, v[2:3]
	v_lshlrev_b32_e32 v3, 2, v0
	v_cmp_ne_u32_e32 vcc, 0, v0
	ds_write_b32 v3, v1
	s_waitcnt lgkmcnt(0)
	s_barrier
	s_and_saveexec_b64 s[0:1], vcc
	s_cbranch_execz .LBB220_54
; %bb.53:
	s_waitcnt vmcnt(0)
	v_add_u32_e32 v2, -4, v3
	ds_read_b32 v2, v2
.LBB220_54:
	s_or_b64 exec, exec, s[0:1]
	v_cvt_i32_f32_e32 v3, v13
	s_mov_b32 s0, 0x66666667
	v_cvt_i32_f32_e32 v4, v12
	v_cvt_i32_f32_e32 v9, v16
	v_mul_hi_i32 v3, v3, s0
	v_lshrrev_b32_e32 v5, 31, v3
	v_ashrrev_i32_e32 v3, 2, v3
	v_add_u32_e32 v3, v3, v5
	v_cvt_i32_f32_e32 v5, v1
	v_mul_hi_i32 v4, v4, s0
	v_lshrrev_b32_e32 v6, 31, v4
	v_ashrrev_i32_e32 v4, 2, v4
	v_mul_hi_i32 v5, v5, s0
	v_add_u32_e32 v4, v4, v6
	v_cvt_i32_f32_e32 v6, v15
	v_lshrrev_b32_e32 v7, 31, v5
	v_ashrrev_i32_e32 v5, 2, v5
	v_add_u32_e32 v5, v5, v7
	v_cvt_i32_f32_e32 v7, v17
	v_mul_hi_i32 v6, v6, s0
	v_lshrrev_b32_e32 v8, 31, v6
	v_ashrrev_i32_e32 v6, 2, v6
	v_mul_hi_i32 v7, v7, s0
	v_add_u32_e32 v6, v6, v8
	v_lshrrev_b32_e32 v8, 31, v7
	v_ashrrev_i32_e32 v7, 2, v7
	v_add_u32_e32 v7, v7, v8
	v_cvt_i32_f32_e32 v8, v14
	v_mul_hi_i32 v9, v9, s0
	v_lshrrev_b32_e32 v10, 31, v9
	v_ashrrev_i32_e32 v9, 2, v9
	v_mul_hi_i32 v8, v8, s0
	v_add_u32_e32 v9, v9, v10
	v_cvt_i32_f32_e32 v10, v19
	v_lshrrev_b32_e32 v11, 31, v8
	v_ashrrev_i32_e32 v8, 2, v8
	v_add_u32_e32 v8, v8, v11
	v_cvt_i32_f32_e32 v11, v21
	v_mul_hi_i32 v10, v10, s0
	v_lshrrev_b32_e32 v26, 31, v10
	v_ashrrev_i32_e32 v10, 2, v10
	v_mul_hi_i32 v11, v11, s0
	v_add_u32_e32 v10, v10, v26
	v_lshrrev_b32_e32 v26, 31, v11
	v_cvt_i32_f32_e32 v27, v20
	v_ashrrev_i32_e32 v11, 2, v11
	v_add_u32_e32 v11, v11, v26
	v_cvt_i32_f32_e32 v26, v18
	v_mul_hi_i32 v27, v27, s0
	v_lshrrev_b32_e32 v28, 31, v27
	v_ashrrev_i32_e32 v27, 2, v27
	v_mul_hi_i32 v26, v26, s0
	v_add_u32_e32 v27, v27, v28
	v_cvt_i32_f32_e32 v28, v23
	v_lshrrev_b32_e32 v29, 31, v26
	v_ashrrev_i32_e32 v26, 2, v26
	v_add_u32_e32 v26, v26, v29
	v_cvt_i32_f32_e32 v29, v25
	v_mul_hi_i32 v28, v28, s0
	v_lshrrev_b32_e32 v30, 31, v28
	v_ashrrev_i32_e32 v28, 2, v28
	v_mul_hi_i32 v29, v29, s0
	v_add_u32_e32 v28, v28, v30
	v_lshrrev_b32_e32 v30, 31, v29
	v_cvt_i32_f32_e32 v31, v24
	v_ashrrev_i32_e32 v29, 2, v29
	v_add_u32_e32 v29, v29, v30
	v_cvt_i32_f32_e32 v30, v22
	v_mul_hi_i32 v31, v31, s0
	v_lshrrev_b32_e32 v32, 31, v31
	v_ashrrev_i32_e32 v31, 2, v31
	v_mul_hi_i32 v30, v30, s0
	v_add_u32_e32 v38, v31, v32
	v_lshrrev_b32_e32 v31, 31, v30
	v_ashrrev_i32_e32 v30, 2, v30
	v_add_u32_e32 v30, v30, v31
	v_cmp_ne_u32_e32 vcc, v29, v38
	v_cndmask_b32_e64 v39, 0, 1, vcc
	v_cmp_ne_u32_e32 vcc, v29, v30
	v_cndmask_b32_e64 v36, 0, 1, vcc
	;; [unrolled: 2-line block ×8, first 2 shown]
	v_cmp_ne_u32_e32 vcc, v7, v9
	s_waitcnt vmcnt(0) lgkmcnt(0)
	v_cvt_i32_f32_e32 v2, v2
	v_cndmask_b32_e64 v31, 0, 1, vcc
	v_cmp_ne_u32_e32 vcc, v7, v8
	v_cndmask_b32_e64 v28, 0, 1, vcc
	v_cmp_ne_u32_e32 vcc, v8, v6
	;; [unrolled: 2-line block ×4, first 2 shown]
	v_mul_hi_i32 v2, v2, s0
	v_cndmask_b32_e64 v27, 0, 1, vcc
	v_cmp_ne_u32_e32 vcc, v3, v5
	v_lshrrev_b32_e32 v3, 31, v2
	v_ashrrev_i32_e32 v2, 2, v2
	v_add_u32_e32 v2, v2, v3
	v_cndmask_b32_e64 v60, 0, 1, vcc
	v_cmp_ne_u32_e64 s[8:9], v2, v38
	s_mov_b64 s[0:1], -1
.LBB220_55:
                                        ; implicit-def: $sgpr10
	s_branch .LBB220_110
.LBB220_56:
                                        ; implicit-def: $sgpr8_sgpr9
                                        ; implicit-def: $vgpr60
                                        ; implicit-def: $vgpr27
                                        ; implicit-def: $vgpr26
                                        ; implicit-def: $vgpr29
                                        ; implicit-def: $vgpr28
                                        ; implicit-def: $vgpr31
                                        ; implicit-def: $vgpr30
                                        ; implicit-def: $vgpr33
                                        ; implicit-def: $vgpr32
                                        ; implicit-def: $vgpr35
                                        ; implicit-def: $vgpr34
                                        ; implicit-def: $vgpr37
                                        ; implicit-def: $vgpr36
                                        ; implicit-def: $vgpr39
                                        ; implicit-def: $sgpr10
	s_cbranch_execnz .LBB220_75
	s_branch .LBB220_110
.LBB220_57:
	v_mov_b32_e32 v29, s62
	v_add_co_u32_e32 v30, vcc, s49, v28
	v_addc_co_u32_e32 v31, vcc, 0, v29, vcc
	flat_load_dword v29, v[30:31]
	s_or_b64 exec, exec, s[30:31]
                                        ; implicit-def: $vgpr30
	s_and_saveexec_b64 s[30:31], s[0:1]
	s_cbranch_execz .LBB220_35
.LBB220_58:
	v_mov_b32_e32 v31, s62
	v_add_co_u32_e32 v30, vcc, s49, v28
	v_addc_co_u32_e32 v31, vcc, 0, v31, vcc
	flat_load_dword v30, v[30:31] offset:1024
	s_or_b64 exec, exec, s[30:31]
                                        ; implicit-def: $vgpr31
	s_and_saveexec_b64 s[0:1], s[2:3]
	s_cbranch_execz .LBB220_36
.LBB220_59:
	v_mov_b32_e32 v31, s62
	v_add_co_u32_e32 v32, vcc, s49, v28
	v_addc_co_u32_e32 v33, vcc, 0, v31, vcc
	flat_load_dword v31, v[32:33] offset:2048
	s_or_b64 exec, exec, s[0:1]
                                        ; implicit-def: $vgpr32
	s_and_saveexec_b64 s[0:1], s[4:5]
	s_cbranch_execz .LBB220_37
.LBB220_60:
	v_mov_b32_e32 v33, s62
	v_add_co_u32_e32 v32, vcc, s49, v28
	v_addc_co_u32_e32 v33, vcc, 0, v33, vcc
	flat_load_dword v32, v[32:33] offset:3072
	s_or_b64 exec, exec, s[0:1]
                                        ; implicit-def: $vgpr33
	s_and_saveexec_b64 s[0:1], s[28:29]
	s_cbranch_execz .LBB220_38
.LBB220_61:
	v_lshlrev_b32_e32 v3, 2, v3
	v_mov_b32_e32 v33, s62
	v_add_co_u32_e32 v34, vcc, s49, v3
	v_addc_co_u32_e32 v35, vcc, 0, v33, vcc
	flat_load_dword v33, v[34:35]
	s_or_b64 exec, exec, s[0:1]
                                        ; implicit-def: $vgpr3
	s_and_saveexec_b64 s[0:1], s[8:9]
	s_cbranch_execz .LBB220_39
.LBB220_62:
	v_lshlrev_b32_e32 v3, 2, v4
	v_mov_b32_e32 v4, s62
	v_add_co_u32_e32 v34, vcc, s49, v3
	v_addc_co_u32_e32 v35, vcc, 0, v4, vcc
	flat_load_dword v3, v[34:35]
	s_or_b64 exec, exec, s[0:1]
                                        ; implicit-def: $vgpr4
	s_and_saveexec_b64 s[0:1], s[10:11]
	s_cbranch_execz .LBB220_40
.LBB220_63:
	v_lshlrev_b32_e32 v4, 2, v5
	v_mov_b32_e32 v5, s62
	v_add_co_u32_e32 v4, vcc, s49, v4
	v_addc_co_u32_e32 v5, vcc, 0, v5, vcc
	flat_load_dword v4, v[4:5]
	s_or_b64 exec, exec, s[0:1]
                                        ; implicit-def: $vgpr5
	s_and_saveexec_b64 s[0:1], s[12:13]
	s_cbranch_execz .LBB220_41
.LBB220_64:
	v_lshlrev_b32_e32 v5, 2, v6
	v_mov_b32_e32 v6, s62
	v_add_co_u32_e32 v34, vcc, s49, v5
	v_addc_co_u32_e32 v35, vcc, 0, v6, vcc
	flat_load_dword v5, v[34:35]
	s_or_b64 exec, exec, s[0:1]
                                        ; implicit-def: $vgpr6
	s_and_saveexec_b64 s[0:1], s[14:15]
	s_cbranch_execz .LBB220_42
.LBB220_65:
	v_lshlrev_b32_e32 v6, 2, v7
	v_mov_b32_e32 v7, s62
	v_add_co_u32_e32 v6, vcc, s49, v6
	v_addc_co_u32_e32 v7, vcc, 0, v7, vcc
	flat_load_dword v6, v[6:7]
	s_or_b64 exec, exec, s[0:1]
                                        ; implicit-def: $vgpr7
	s_and_saveexec_b64 s[0:1], s[16:17]
	s_cbranch_execz .LBB220_43
.LBB220_66:
	v_lshlrev_b32_e32 v7, 2, v8
	v_mov_b32_e32 v8, s62
	v_add_co_u32_e32 v34, vcc, s49, v7
	v_addc_co_u32_e32 v35, vcc, 0, v8, vcc
	flat_load_dword v7, v[34:35]
	s_or_b64 exec, exec, s[0:1]
                                        ; implicit-def: $vgpr34
	s_and_saveexec_b64 s[0:1], s[18:19]
	s_cbranch_execz .LBB220_44
.LBB220_67:
	v_lshlrev_b32_e32 v8, 2, v9
	v_mov_b32_e32 v9, s62
	v_add_co_u32_e32 v8, vcc, s49, v8
	v_addc_co_u32_e32 v9, vcc, 0, v9, vcc
	flat_load_dword v34, v[8:9]
	s_or_b64 exec, exec, s[0:1]
                                        ; implicit-def: $vgpr9
	s_and_saveexec_b64 s[0:1], s[20:21]
	s_cbranch_execz .LBB220_45
.LBB220_68:
	v_lshlrev_b32_e32 v8, 2, v10
	v_mov_b32_e32 v9, s62
	v_add_co_u32_e32 v8, vcc, s49, v8
	v_addc_co_u32_e32 v9, vcc, 0, v9, vcc
	flat_load_dword v9, v[8:9]
	s_or_b64 exec, exec, s[0:1]
                                        ; implicit-def: $vgpr10
	s_and_saveexec_b64 s[0:1], s[22:23]
	s_cbranch_execz .LBB220_46
.LBB220_69:
	v_lshlrev_b32_e32 v8, 2, v11
	v_mov_b32_e32 v11, s62
	v_add_co_u32_e32 v10, vcc, s49, v8
	v_addc_co_u32_e32 v11, vcc, 0, v11, vcc
	flat_load_dword v10, v[10:11]
	s_or_b64 exec, exec, s[0:1]
                                        ; implicit-def: $vgpr11
	s_and_saveexec_b64 s[0:1], s[24:25]
	s_cbranch_execz .LBB220_47
.LBB220_70:
	v_lshlrev_b32_e32 v8, 2, v26
	v_mov_b32_e32 v11, s62
	v_add_co_u32_e32 v36, vcc, s49, v8
	v_addc_co_u32_e32 v37, vcc, 0, v11, vcc
	flat_load_dword v11, v[36:37]
	s_or_b64 exec, exec, s[0:1]
                                        ; implicit-def: $vgpr26
	s_and_saveexec_b64 s[0:1], s[26:27]
	s_cbranch_execnz .LBB220_48
	s_branch .LBB220_49
.LBB220_71:
                                        ; implicit-def: $sgpr8_sgpr9
                                        ; implicit-def: $vgpr60
                                        ; implicit-def: $vgpr27
                                        ; implicit-def: $vgpr26
                                        ; implicit-def: $vgpr29
                                        ; implicit-def: $vgpr28
                                        ; implicit-def: $vgpr31
                                        ; implicit-def: $vgpr30
                                        ; implicit-def: $vgpr33
                                        ; implicit-def: $vgpr32
                                        ; implicit-def: $vgpr35
                                        ; implicit-def: $vgpr34
                                        ; implicit-def: $vgpr37
                                        ; implicit-def: $vgpr36
                                        ; implicit-def: $vgpr39
	s_cbranch_execz .LBB220_55
; %bb.72:
	v_cvt_i32_f32_e32 v3, v13
	v_cvt_i32_f32_e32 v5, v12
	s_mov_b32 s10, 0x66666667
	v_cvt_i32_f32_e32 v9, v16
	v_mul_hi_i32 v3, v3, s10
	v_lshrrev_b32_e32 v4, 31, v3
	v_ashrrev_i32_e32 v3, 2, v3
	v_add_u32_e32 v4, v3, v4
	v_cvt_i32_f32_e32 v3, v1
	v_mul_hi_i32 v5, v5, s10
	v_lshrrev_b32_e32 v6, 31, v5
	v_ashrrev_i32_e32 v5, 2, v5
	v_add_u32_e32 v5, v5, v6
	;; [unrolled: 5-line block ×3, first 2 shown]
	v_mul_hi_i32 v3, v6, s10
	v_cvt_i32_f32_e32 v6, v17
	v_lshrrev_b32_e32 v8, 31, v3
	v_ashrrev_i32_e32 v3, 2, v3
	v_add_u32_e32 v8, v3, v8
	v_mul_hi_i32 v3, v6, s10
	v_lshrrev_b32_e32 v6, 31, v3
	v_ashrrev_i32_e32 v3, 2, v3
	v_add_u32_e32 v6, v3, v6
	v_cvt_i32_f32_e32 v3, v14
	v_mul_hi_i32 v9, v9, s10
	v_lshrrev_b32_e32 v10, 31, v9
	v_ashrrev_i32_e32 v9, 2, v9
	v_add_u32_e32 v9, v9, v10
	v_cvt_i32_f32_e32 v10, v19
	v_mul_hi_i32 v3, v3, s10
	v_lshrrev_b32_e32 v11, 31, v3
	v_ashrrev_i32_e32 v3, 2, v3
	v_add_u32_e32 v11, v3, v11
	v_mul_hi_i32 v3, v10, s10
	v_cvt_i32_f32_e32 v10, v21
	v_cvt_i32_f32_e32 v27, v20
	v_lshrrev_b32_e32 v26, 31, v3
	v_ashrrev_i32_e32 v3, 2, v3
	v_add_u32_e32 v26, v3, v26
	v_mul_hi_i32 v3, v10, s10
	v_lshrrev_b32_e32 v10, 31, v3
	v_ashrrev_i32_e32 v3, 2, v3
	v_add_u32_e32 v10, v3, v10
	v_cvt_i32_f32_e32 v3, v18
	v_mul_hi_i32 v27, v27, s10
	v_lshrrev_b32_e32 v28, 31, v27
	v_ashrrev_i32_e32 v27, 2, v27
	v_add_u32_e32 v27, v27, v28
	v_cvt_i32_f32_e32 v28, v23
	v_mul_hi_i32 v3, v3, s10
	v_lshrrev_b32_e32 v29, 31, v3
	v_ashrrev_i32_e32 v3, 2, v3
	v_add_u32_e32 v29, v3, v29
	v_mul_hi_i32 v3, v28, s10
	v_cvt_i32_f32_e32 v28, v25
	v_cvt_i32_f32_e32 v31, v24
	v_lshrrev_b32_e32 v30, 31, v3
	v_ashrrev_i32_e32 v3, 2, v3
	v_add_u32_e32 v30, v3, v30
	v_mul_hi_i32 v3, v28, s10
	v_cvt_i32_f32_e32 v32, v22
	v_lshrrev_b32_e32 v28, 31, v3
	v_ashrrev_i32_e32 v3, 2, v3
	v_add_u32_e32 v28, v3, v28
	v_mul_hi_i32 v3, v31, s10
	v_lshrrev_b32_e32 v31, 31, v3
	v_ashrrev_i32_e32 v3, 2, v3
	v_add_u32_e32 v3, v3, v31
	v_mul_hi_i32 v31, v32, s10
	v_lshrrev_b32_e32 v32, 31, v31
	v_ashrrev_i32_e32 v31, 2, v31
	v_add_u32_e32 v31, v31, v32
	v_cmp_ne_u32_e32 vcc, v28, v3
	v_cndmask_b32_e64 v39, 0, 1, vcc
	v_cmp_ne_u32_e32 vcc, v28, v31
	v_cndmask_b32_e64 v36, 0, 1, vcc
	;; [unrolled: 2-line block ×13, first 2 shown]
	v_cmp_ne_u32_e32 vcc, v4, v7
	v_lshlrev_b32_e32 v2, 2, v0
	v_cndmask_b32_e64 v60, 0, 1, vcc
	v_cmp_ne_u32_e32 vcc, 0, v0
	ds_write_b32 v2, v1
	s_waitcnt lgkmcnt(0)
	s_barrier
	s_waitcnt lgkmcnt(0)
                                        ; implicit-def: $sgpr8_sgpr9
	s_and_saveexec_b64 s[2:3], vcc
	s_xor_b64 s[2:3], exec, s[2:3]
	s_cbranch_execz .LBB220_74
; %bb.73:
	v_add_u32_e32 v2, -4, v2
	ds_read_b32 v2, v2
	s_or_b64 s[0:1], s[0:1], exec
	s_waitcnt lgkmcnt(0)
	v_cvt_i32_f32_e32 v2, v2
	v_mul_hi_i32 v2, v2, s10
	v_lshrrev_b32_e32 v4, 31, v2
	v_ashrrev_i32_e32 v2, 2, v2
	v_add_u32_e32 v2, v2, v4
	v_cmp_ne_u32_e32 vcc, v2, v3
	s_and_b64 s[8:9], vcc, exec
.LBB220_74:
	s_or_b64 exec, exec, s[2:3]
	s_mov_b32 s10, 1
	s_branch .LBB220_110
.LBB220_75:
	s_mul_hi_u32 s3, s38, 0xfffff100
	s_mul_i32 s2, s39, 0xfffff100
	s_sub_i32 s3, s3, s38
	s_add_i32 s3, s3, s2
	s_mul_i32 s2, s38, 0xfffff100
	s_add_u32 s2, s2, s56
	s_addc_u32 s3, s3, s57
	s_and_b64 vcc, exec, s[4:5]
	s_cbranch_vccz .LBB220_219
; %bb.76:
	v_mov_b32_e32 v3, s48
	v_add_co_u32_e64 v2, vcc, -4, s7
	v_addc_co_u32_e32 v3, vcc, -1, v3, vcc
	flat_load_dword v4, v[2:3]
	v_mad_u32_u24 v26, v0, 15, 14
	v_mov_b32_e32 v27, 0
	v_lshlrev_b32_e32 v3, 2, v0
	v_mul_u32_u24_e32 v2, 15, v0
	v_cmp_gt_u64_e32 vcc, s[2:3], v[26:27]
	v_mov_b32_e32 v60, 0
	ds_write_b32 v3, v1
	s_and_saveexec_b64 s[0:1], vcc
	s_cbranch_execz .LBB220_78
; %bb.77:
	v_cvt_i32_f32_e32 v5, v13
	v_cvt_i32_f32_e32 v6, v1
	s_mov_b32 s4, 0x66666667
	v_mul_hi_i32 v5, v5, s4
	v_lshrrev_b32_e32 v7, 31, v5
	v_ashrrev_i32_e32 v5, 2, v5
	v_mul_hi_i32 v6, v6, s4
	v_add_u32_e32 v5, v5, v7
	v_lshrrev_b32_e32 v7, 31, v6
	v_ashrrev_i32_e32 v6, 2, v6
	v_add_u32_e32 v6, v6, v7
	v_cmp_ne_u32_e32 vcc, v5, v6
	v_cndmask_b32_e64 v60, 0, 1, vcc
.LBB220_78:
	s_or_b64 exec, exec, s[0:1]
	v_add_u32_e32 v26, 13, v2
	v_cmp_gt_u64_e32 vcc, s[2:3], v[26:27]
	s_and_saveexec_b64 s[0:1], vcc
	s_cbranch_execz .LBB220_80
; %bb.79:
	v_cvt_i32_f32_e32 v5, v12
	v_cvt_i32_f32_e32 v6, v13
	s_mov_b32 s4, 0x66666667
	v_mul_hi_i32 v5, v5, s4
	v_lshrrev_b32_e32 v7, 31, v5
	v_ashrrev_i32_e32 v5, 2, v5
	v_mul_hi_i32 v6, v6, s4
	v_add_u32_e32 v5, v5, v7
	v_lshrrev_b32_e32 v7, 31, v6
	v_ashrrev_i32_e32 v6, 2, v6
	v_add_u32_e32 v6, v6, v7
	v_cmp_ne_u32_e32 vcc, v5, v6
	v_cndmask_b32_e64 v27, 0, 1, vcc
.LBB220_80:
	s_or_b64 exec, exec, s[0:1]
	v_add_u32_e32 v28, 12, v2
	v_mov_b32_e32 v29, 0
	v_cmp_gt_u64_e32 vcc, s[2:3], v[28:29]
	v_mov_b32_e32 v26, 0
	s_and_saveexec_b64 s[0:1], vcc
	s_cbranch_execz .LBB220_82
; %bb.81:
	v_cvt_i32_f32_e32 v5, v15
	v_cvt_i32_f32_e32 v6, v12
	s_mov_b32 s4, 0x66666667
	v_mul_hi_i32 v5, v5, s4
	v_lshrrev_b32_e32 v7, 31, v5
	v_ashrrev_i32_e32 v5, 2, v5
	v_mul_hi_i32 v6, v6, s4
	v_add_u32_e32 v5, v5, v7
	v_lshrrev_b32_e32 v7, 31, v6
	v_ashrrev_i32_e32 v6, 2, v6
	v_add_u32_e32 v6, v6, v7
	v_cmp_ne_u32_e32 vcc, v5, v6
	v_cndmask_b32_e64 v26, 0, 1, vcc
.LBB220_82:
	s_or_b64 exec, exec, s[0:1]
	v_add_u32_e32 v28, 11, v2
	v_cmp_gt_u64_e32 vcc, s[2:3], v[28:29]
	s_and_saveexec_b64 s[0:1], vcc
	s_cbranch_execz .LBB220_84
; %bb.83:
	v_cvt_i32_f32_e32 v5, v14
	v_cvt_i32_f32_e32 v6, v15
	s_mov_b32 s4, 0x66666667
	v_mul_hi_i32 v5, v5, s4
	v_lshrrev_b32_e32 v7, 31, v5
	v_ashrrev_i32_e32 v5, 2, v5
	v_mul_hi_i32 v6, v6, s4
	v_add_u32_e32 v5, v5, v7
	v_lshrrev_b32_e32 v7, 31, v6
	v_ashrrev_i32_e32 v6, 2, v6
	v_add_u32_e32 v6, v6, v7
	v_cmp_ne_u32_e32 vcc, v5, v6
	v_cndmask_b32_e64 v29, 0, 1, vcc
.LBB220_84:
	s_or_b64 exec, exec, s[0:1]
	v_add_u32_e32 v30, 10, v2
	v_mov_b32_e32 v31, 0
	v_cmp_gt_u64_e32 vcc, s[2:3], v[30:31]
	v_mov_b32_e32 v28, 0
	;; [unrolled: 42-line block ×6, first 2 shown]
	s_and_saveexec_b64 s[0:1], vcc
	s_cbranch_execz .LBB220_102
; %bb.101:
	v_cvt_i32_f32_e32 v5, v25
	v_cvt_i32_f32_e32 v6, v22
	s_mov_b32 s4, 0x66666667
	v_mul_hi_i32 v5, v5, s4
	v_lshrrev_b32_e32 v7, 31, v5
	v_ashrrev_i32_e32 v5, 2, v5
	v_mul_hi_i32 v6, v6, s4
	v_add_u32_e32 v5, v5, v7
	v_lshrrev_b32_e32 v7, 31, v6
	v_ashrrev_i32_e32 v6, 2, v6
	v_add_u32_e32 v6, v6, v7
	v_cmp_ne_u32_e32 vcc, v5, v6
	v_cndmask_b32_e64 v36, 0, 1, vcc
.LBB220_102:
	s_or_b64 exec, exec, s[0:1]
	v_add_u32_e32 v38, 1, v2
	v_cmp_gt_u64_e32 vcc, s[2:3], v[38:39]
	s_and_saveexec_b64 s[0:1], vcc
	s_cbranch_execz .LBB220_104
; %bb.103:
	v_cvt_i32_f32_e32 v5, v24
	v_cvt_i32_f32_e32 v6, v25
	s_mov_b32 s4, 0x66666667
	v_mul_hi_i32 v5, v5, s4
	v_lshrrev_b32_e32 v7, 31, v5
	v_ashrrev_i32_e32 v5, 2, v5
	v_mul_hi_i32 v6, v6, s4
	v_add_u32_e32 v5, v5, v7
	v_lshrrev_b32_e32 v7, 31, v6
	v_ashrrev_i32_e32 v6, 2, v6
	v_add_u32_e32 v6, v6, v7
	v_cmp_ne_u32_e32 vcc, v5, v6
	v_cndmask_b32_e64 v39, 0, 1, vcc
.LBB220_104:
	s_or_b64 exec, exec, s[0:1]
	v_cmp_ne_u32_e32 vcc, 0, v0
	s_waitcnt lgkmcnt(0)
	s_barrier
	s_and_saveexec_b64 s[0:1], vcc
	s_cbranch_execz .LBB220_106
; %bb.105:
	v_add_u32_e32 v3, -4, v3
	s_waitcnt vmcnt(0)
	ds_read_b32 v4, v3
.LBB220_106:
	s_or_b64 exec, exec, s[0:1]
	v_mov_b32_e32 v3, 0
	v_cmp_gt_u64_e32 vcc, s[2:3], v[2:3]
	s_mov_b64 s[4:5], 0
	s_mov_b64 s[8:9], 0
	s_and_saveexec_b64 s[0:1], vcc
	s_cbranch_execz .LBB220_108
; %bb.107:
	s_waitcnt vmcnt(0) lgkmcnt(0)
	v_cvt_i32_f32_e32 v2, v4
	v_cvt_i32_f32_e32 v3, v24
	s_mov_b32 s7, 0x66666667
	v_mul_hi_i32 v2, v2, s7
	v_lshrrev_b32_e32 v4, 31, v2
	v_ashrrev_i32_e32 v2, 2, v2
	v_mul_hi_i32 v3, v3, s7
	v_add_u32_e32 v2, v2, v4
	v_lshrrev_b32_e32 v4, 31, v3
	v_ashrrev_i32_e32 v3, 2, v3
	v_add_u32_e32 v3, v3, v4
	v_cmp_ne_u32_e32 vcc, v2, v3
	s_and_b64 s[8:9], vcc, exec
.LBB220_108:
	s_or_b64 exec, exec, s[0:1]
	s_mov_b64 s[0:1], -1
	s_and_b64 vcc, exec, s[4:5]
	s_cbranch_vccnz .LBB220_220
.LBB220_109:
                                        ; implicit-def: $sgpr10
.LBB220_110:
	v_mov_b32_e32 v62, s10
	s_and_saveexec_b64 s[2:3], s[0:1]
.LBB220_111:
	v_cndmask_b32_e64 v62, 0, 1, s[8:9]
.LBB220_112:
	s_or_b64 exec, exec, s[2:3]
	s_cmp_eq_u64 s[46:47], 0
	v_add3_u32 v2, v39, v62, v36
	s_cselect_b64 s[38:39], -1, 0
	s_cmp_lg_u32 s6, 0
	v_add_f32_e32 v76, v50, v52
	v_cmp_eq_u32_e64 s[24:25], 0, v39
	v_cmp_eq_u32_e64 s[22:23], 0, v36
	;; [unrolled: 1-line block ×3, first 2 shown]
	v_add3_u32 v75, v2, v37, v34
	v_cmp_eq_u32_e64 s[20:21], 0, v34
	v_cmp_eq_u32_e64 s[16:17], 0, v35
	;; [unrolled: 1-line block ×10, first 2 shown]
	v_cmp_eq_u32_e32 vcc, 0, v60
	v_mbcnt_lo_u32_b32 v74, -1, 0
	v_lshrrev_b32_e32 v72, 6, v0
	v_or_b32_e32 v73, 63, v0
	s_cbranch_scc0 .LBB220_143
; %bb.113:
	v_cndmask_b32_e64 v2, v52, v76, s[24:25]
	v_add_f32_e32 v2, v51, v2
	v_cndmask_b32_e64 v2, v51, v2, s[22:23]
	v_add_f32_e32 v2, v53, v2
	;; [unrolled: 2-line block ×11, first 2 shown]
	v_cndmask_b32_e64 v2, v40, v2, s[2:3]
	v_add3_u32 v3, v75, v35, v32
	v_add_f32_e32 v2, v61, v2
	v_add3_u32 v3, v3, v33, v30
	v_cndmask_b32_e64 v2, v61, v2, s[0:1]
	v_add3_u32 v3, v3, v31, v28
	v_add_f32_e32 v2, v41, v2
	v_add3_u32 v3, v3, v29, v26
	v_cndmask_b32_e32 v2, v41, v2, vcc
	v_add3_u32 v3, v3, v27, v60
	v_mbcnt_hi_u32_b32 v57, -1, v74
	v_mov_b32_dpp v6, v2 row_shr:1 row_mask:0xf bank_mask:0xf
	s_waitcnt vmcnt(0) lgkmcnt(0)
	v_and_b32_e32 v4, 15, v57
	v_add_f32_e32 v6, v2, v6
	v_cmp_eq_u32_e32 vcc, 0, v3
	v_mov_b32_dpp v5, v3 row_shr:1 row_mask:0xf bank_mask:0xf
	v_cndmask_b32_e32 v6, v2, v6, vcc
	v_cmp_eq_u32_e32 vcc, 0, v4
	v_cndmask_b32_e64 v5, v5, 0, vcc
	v_cndmask_b32_e32 v2, v6, v2, vcc
	v_add_u32_e32 v3, v5, v3
	v_cmp_eq_u32_e32 vcc, 0, v3
	v_mov_b32_dpp v6, v2 row_shr:2 row_mask:0xf bank_mask:0xf
	v_add_f32_e32 v6, v2, v6
	v_mov_b32_dpp v5, v3 row_shr:2 row_mask:0xf bank_mask:0xf
	v_cndmask_b32_e32 v6, v2, v6, vcc
	v_cmp_lt_u32_e32 vcc, 1, v4
	v_cndmask_b32_e32 v2, v2, v6, vcc
	v_cndmask_b32_e32 v5, 0, v5, vcc
	v_add_u32_e32 v3, v3, v5
	v_mov_b32_dpp v6, v2 row_shr:4 row_mask:0xf bank_mask:0xf
	v_add_f32_e32 v6, v2, v6
	v_cmp_eq_u32_e32 vcc, 0, v3
	v_mov_b32_dpp v5, v3 row_shr:4 row_mask:0xf bank_mask:0xf
	v_cndmask_b32_e32 v6, v2, v6, vcc
	v_cmp_lt_u32_e32 vcc, 3, v4
	v_cndmask_b32_e32 v2, v2, v6, vcc
	v_cndmask_b32_e32 v5, 0, v5, vcc
	v_add_u32_e32 v3, v5, v3
	v_mov_b32_dpp v6, v2 row_shr:8 row_mask:0xf bank_mask:0xf
	v_add_f32_e32 v6, v2, v6
	v_cmp_eq_u32_e32 vcc, 0, v3
	v_mov_b32_dpp v5, v3 row_shr:8 row_mask:0xf bank_mask:0xf
	v_cndmask_b32_e32 v6, v2, v6, vcc
	v_cmp_lt_u32_e32 vcc, 7, v4
	v_cndmask_b32_e32 v2, v2, v6, vcc
	v_cndmask_b32_e32 v4, 0, v5, vcc
	v_add_u32_e32 v3, v4, v3
	v_mov_b32_dpp v5, v2 row_bcast:15 row_mask:0xf bank_mask:0xf
	v_bfe_i32 v6, v57, 4, 1
	v_mov_b32_dpp v4, v3 row_bcast:15 row_mask:0xf bank_mask:0xf
	v_and_b32_e32 v7, 16, v57
	v_add_f32_e32 v5, v2, v5
	v_cmp_eq_u32_e32 vcc, 0, v3
	v_cndmask_b32_e32 v5, v2, v5, vcc
	v_and_b32_e32 v4, v6, v4
	v_cmp_eq_u32_e32 vcc, 0, v7
	v_add_u32_e32 v4, v4, v3
	v_cndmask_b32_e32 v3, v5, v2, vcc
	v_cmp_eq_u32_e32 vcc, 0, v4
	v_mov_b32_dpp v2, v4 row_bcast:31 row_mask:0xf bank_mask:0xf
	v_mov_b32_dpp v5, v3 row_bcast:31 row_mask:0xf bank_mask:0xf
	v_add_f32_e32 v5, v3, v5
	v_cndmask_b32_e32 v6, v3, v5, vcc
	v_cmp_lt_u32_e32 vcc, 31, v57
	v_cndmask_b32_e32 v2, 0, v2, vcc
	v_add_u32_e32 v2, v2, v4
	v_cmp_eq_u32_e64 s[26:27], v73, v0
	v_lshlrev_b32_e32 v5, 3, v72
	v_cndmask_b32_e32 v4, v3, v6, vcc
	s_and_saveexec_b64 s[30:31], s[26:27]
	s_cbranch_execz .LBB220_115
; %bb.114:
	v_cndmask_b32_e32 v3, v3, v6, vcc
	ds_write_b64 v5, v[2:3] offset:2064
.LBB220_115:
	s_or_b64 exec, exec, s[30:31]
	v_cmp_gt_u32_e32 vcc, 4, v0
	s_waitcnt lgkmcnt(0)
	s_barrier
	s_and_saveexec_b64 s[30:31], vcc
	s_cbranch_execz .LBB220_117
; %bb.116:
	v_lshlrev_b32_e32 v3, 3, v0
	ds_read_b64 v[6:7], v3 offset:2064
	v_and_b32_e32 v8, 3, v57
	v_cmp_lt_u32_e64 s[26:27], 1, v8
	s_waitcnt lgkmcnt(0)
	v_mov_b32_dpp v10, v7 row_shr:1 row_mask:0xf bank_mask:0xf
	v_add_f32_e32 v10, v7, v10
	v_cmp_eq_u32_e32 vcc, 0, v6
	v_mov_b32_dpp v9, v6 row_shr:1 row_mask:0xf bank_mask:0xf
	v_cndmask_b32_e32 v10, v7, v10, vcc
	v_cmp_eq_u32_e32 vcc, 0, v8
	v_cndmask_b32_e64 v9, v9, 0, vcc
	v_add_u32_e32 v6, v9, v6
	v_cndmask_b32_e32 v7, v10, v7, vcc
	v_cmp_eq_u32_e32 vcc, 0, v6
	v_mov_b32_dpp v9, v6 row_shr:2 row_mask:0xf bank_mask:0xf
	v_mov_b32_dpp v10, v7 row_shr:2 row_mask:0xf bank_mask:0xf
	v_add_f32_e32 v10, v7, v10
	v_cndmask_b32_e64 v8, 0, v9, s[26:27]
	s_and_b64 vcc, s[26:27], vcc
	v_add_u32_e32 v6, v8, v6
	v_cndmask_b32_e32 v7, v7, v10, vcc
	ds_write_b64 v3, v[6:7] offset:2064
.LBB220_117:
	s_or_b64 exec, exec, s[30:31]
	v_cmp_gt_u32_e32 vcc, 64, v0
	v_cmp_lt_u32_e64 s[26:27], 63, v0
	v_mov_b32_e32 v54, 0
	v_mov_b32_e32 v55, 0
	s_waitcnt lgkmcnt(0)
	s_barrier
	s_and_saveexec_b64 s[30:31], s[26:27]
	s_cbranch_execz .LBB220_119
; %bb.118:
	ds_read_b64 v[54:55], v5 offset:2056
	v_cmp_eq_u32_e64 s[26:27], 0, v2
	s_waitcnt lgkmcnt(0)
	v_add_u32_e32 v3, v54, v2
	v_add_f32_e32 v5, v4, v55
	v_cndmask_b32_e64 v4, v4, v5, s[26:27]
	v_mov_b32_e32 v2, v3
.LBB220_119:
	s_or_b64 exec, exec, s[30:31]
	v_add_u32_e32 v3, -1, v57
	v_and_b32_e32 v5, 64, v57
	v_cmp_lt_i32_e64 s[26:27], v3, v5
	v_cndmask_b32_e64 v3, v3, v57, s[26:27]
	v_lshlrev_b32_e32 v3, 2, v3
	ds_bpermute_b32 v38, v3, v2
	ds_bpermute_b32 v63, v3, v4
	v_cmp_eq_u32_e64 s[26:27], 0, v57
	s_and_saveexec_b64 s[40:41], vcc
	s_cbranch_execz .LBB220_142
; %bb.120:
	v_mov_b32_e32 v11, 0
	ds_read_b64 v[2:3], v11 offset:2088
	s_waitcnt lgkmcnt(0)
	v_readfirstlane_b32 s7, v3
	s_and_saveexec_b64 s[30:31], s[26:27]
	s_cbranch_execz .LBB220_122
; %bb.121:
	s_add_i32 s46, s6, 64
	s_mov_b32 s47, 0
	s_lshl_b64 s[48:49], s[46:47], 4
	s_add_u32 s48, s44, s48
	s_addc_u32 s49, s45, s49
	s_and_b32 s51, s7, 0xff000000
	s_mov_b32 s50, s47
	s_and_b32 s57, s7, 0xff0000
	s_mov_b32 s56, s47
	s_or_b64 s[50:51], s[56:57], s[50:51]
	s_and_b32 s57, s7, 0xff00
	s_or_b64 s[50:51], s[50:51], s[56:57]
	s_and_b32 s57, s7, 0xff
	s_or_b64 s[46:47], s[50:51], s[56:57]
	v_mov_b32_e32 v9, s47
	v_mov_b32_e32 v10, 1
	;; [unrolled: 1-line block ×3, first 2 shown]
	v_pk_mov_b32 v[4:5], s[48:49], s[48:49] op_sel:[0,1]
	;;#ASMSTART
	global_store_dwordx4 v[4:5], v[8:11] off	
s_waitcnt vmcnt(0)
	;;#ASMEND
.LBB220_122:
	s_or_b64 exec, exec, s[30:31]
	v_xad_u32 v56, v57, -1, s6
	v_add_u32_e32 v10, 64, v56
	v_lshlrev_b64 v[4:5], 4, v[10:11]
	v_mov_b32_e32 v6, s45
	v_add_co_u32_e32 v4, vcc, s44, v4
	s_mov_b32 s30, 0x70605
	v_addc_co_u32_e32 v5, vcc, v6, v5, vcc
	;;#ASMSTART
	global_load_dwordx4 v[6:9], v[4:5] off glc	
s_waitcnt vmcnt(0)
	;;#ASMEND
	v_perm_b32 v59, v7, v8, s30
	s_mov_b32 s30, 0x1000706
	v_perm_b32 v64, v7, v8, s30
	s_mov_b32 s30, 0x2010007
	v_perm_b32 v65, v7, v8, s30
	v_lshlrev_b32_e32 v59, 8, v59
	s_mov_b32 s30, 0xc0c0500
	v_alignbit_b32 v9, v7, v6, 8
	v_alignbit_b32 v58, v7, v6, 16
	;; [unrolled: 1-line block ×3, first 2 shown]
	v_perm_b32 v7, v59, v7, s30
	v_lshlrev_b32_e32 v59, 16, v64
	v_and_b32_e32 v59, 0xff0000, v59
	v_lshlrev_b32_e32 v64, 24, v65
	v_or3_b32 v7, v7, v59, v64
	v_cmp_eq_u16_sdwa s[46:47], v8, v11 src0_sel:BYTE_0 src1_sel:DWORD
	s_and_saveexec_b64 s[30:31], s[46:47]
	s_cbranch_execz .LBB220_128
; %bb.123:
	s_mov_b32 s48, 1
	s_mov_b64 s[46:47], 0
	v_mov_b32_e32 v10, 0
.LBB220_124:                            ; =>This Loop Header: Depth=1
                                        ;     Child Loop BB220_125 Depth 2
	s_max_u32 s49, s48, 1
.LBB220_125:                            ;   Parent Loop BB220_124 Depth=1
                                        ; =>  This Inner Loop Header: Depth=2
	s_add_i32 s49, s49, -1
	s_cmp_eq_u32 s49, 0
	s_sleep 1
	s_cbranch_scc0 .LBB220_125
; %bb.126:                              ;   in Loop: Header=BB220_124 Depth=1
	s_cmp_lt_u32 s48, 32
	s_cselect_b64 s[50:51], -1, 0
	s_cmp_lg_u64 s[50:51], 0
	s_addc_u32 s48, s48, 0
	;;#ASMSTART
	global_load_dwordx4 v[6:9], v[4:5] off glc	
s_waitcnt vmcnt(0)
	;;#ASMEND
	v_cmp_ne_u16_sdwa s[50:51], v8, v10 src0_sel:BYTE_0 src1_sel:DWORD
	s_or_b64 s[46:47], s[50:51], s[46:47]
	s_andn2_b64 exec, exec, s[46:47]
	s_cbranch_execnz .LBB220_124
; %bb.127:
	s_or_b64 exec, exec, s[46:47]
	s_mov_b32 s46, 0x70605
	v_perm_b32 v4, v7, v8, s46
	s_mov_b32 s46, 0x1000706
	v_perm_b32 v5, v7, v8, s46
	;; [unrolled: 2-line block ×3, first 2 shown]
	v_lshlrev_b32_e32 v4, 8, v4
	s_mov_b32 s46, 0xc0c0500
	v_lshlrev_b32_e32 v5, 16, v5
	v_alignbit_b32 v9, v7, v6, 8
	v_alignbit_b32 v58, v7, v6, 16
	;; [unrolled: 1-line block ×3, first 2 shown]
	v_perm_b32 v4, v4, v7, s46
	v_lshlrev_b32_e32 v7, 24, v11
	v_and_b32_e32 v5, 0xff0000, v5
	v_or3_b32 v7, v4, v5, v7
.LBB220_128:
	s_or_b64 exec, exec, s[30:31]
	v_and_b32_e32 v65, 63, v57
	v_cmp_ne_u32_e32 vcc, 63, v65
	v_lshlrev_b32_e32 v5, 8, v9
	v_addc_co_u32_e32 v9, vcc, 0, v57, vcc
	v_lshlrev_b32_e32 v4, 16, v58
	s_mov_b32 s48, 0x4020c0c
	v_mov_b32_e32 v64, 2
	v_lshlrev_b32_e32 v66, 2, v9
	v_perm_b32 v4, v10, v4, s48
	v_and_b32_e32 v5, 0xff00, v5
	v_and_b32_e32 v6, 0xff, v6
	v_cmp_eq_u16_sdwa s[30:31], v8, v64 src0_sel:BYTE_0 src1_sel:DWORD
	v_lshlrev_b64 v[10:11], v57, -1
	ds_bpermute_b32 v9, v66, v7
	v_or3_b32 v4, v4, v5, v6
	v_and_b32_e32 v5, s31, v11
	v_or_b32_e32 v5, 0x80000000, v5
	v_and_b32_e32 v6, s30, v10
	v_ffbl_b32_e32 v5, v5
	v_add_u32_e32 v5, 32, v5
	v_ffbl_b32_e32 v6, v6
	v_min_u32_e32 v5, v6, v5
	s_waitcnt lgkmcnt(0)
	v_add_f32_e32 v9, v7, v9
	v_cmp_eq_u32_e32 vcc, 0, v4
	v_cndmask_b32_e32 v9, v7, v9, vcc
	v_cmp_lt_u32_e32 vcc, v65, v5
	v_cmp_gt_u32_e64 s[30:31], 62, v65
	v_cndmask_b32_e32 v7, v7, v9, vcc
	v_cndmask_b32_e64 v9, 0, 1, s[30:31]
	ds_bpermute_b32 v6, v66, v4
	v_lshlrev_b32_e32 v9, 1, v9
	v_add_lshl_u32 v67, v9, v57, 2
	ds_bpermute_b32 v9, v67, v7
	v_add_u32_e32 v68, 2, v65
	s_waitcnt lgkmcnt(1)
	v_cndmask_b32_e32 v6, 0, v6, vcc
	v_add_u32_e32 v4, v6, v4
	v_cmp_eq_u32_e32 vcc, 0, v4
	s_waitcnt lgkmcnt(0)
	v_add_f32_e32 v9, v7, v9
	v_cndmask_b32_e32 v9, v7, v9, vcc
	v_cmp_gt_u32_e32 vcc, v68, v5
	v_cmp_gt_u32_e64 s[30:31], 60, v65
	v_cndmask_b32_e32 v7, v9, v7, vcc
	v_cndmask_b32_e64 v9, 0, 1, s[30:31]
	ds_bpermute_b32 v6, v67, v4
	v_lshlrev_b32_e32 v9, 2, v9
	v_add_lshl_u32 v69, v9, v57, 2
	ds_bpermute_b32 v9, v69, v7
	v_add_u32_e32 v70, 4, v65
	s_waitcnt lgkmcnt(1)
	v_cndmask_b32_e64 v6, v6, 0, vcc
	v_add_u32_e32 v4, v4, v6
	v_cmp_eq_u32_e32 vcc, 0, v4
	s_waitcnt lgkmcnt(0)
	v_add_f32_e32 v9, v7, v9
	v_cndmask_b32_e32 v9, v7, v9, vcc
	v_cmp_gt_u32_e32 vcc, v70, v5
	v_cmp_gt_u32_e64 s[30:31], 56, v65
	v_cndmask_b32_e32 v7, v9, v7, vcc
	v_cndmask_b32_e64 v9, 0, 1, s[30:31]
	ds_bpermute_b32 v6, v69, v4
	v_lshlrev_b32_e32 v9, 3, v9
	v_add_lshl_u32 v71, v9, v57, 2
	ds_bpermute_b32 v9, v71, v7
	v_add_u32_e32 v77, 8, v65
	s_waitcnt lgkmcnt(1)
	v_cndmask_b32_e64 v6, v6, 0, vcc
	;; [unrolled: 16-line block ×3, first 2 shown]
	v_add_u32_e32 v4, v4, v6
	ds_bpermute_b32 v6, v78, v4
	s_waitcnt lgkmcnt(1)
	v_add_f32_e32 v9, v7, v9
	v_cmp_eq_u32_e32 vcc, 0, v4
	v_cndmask_b32_e32 v9, v7, v9, vcc
	v_cmp_gt_u32_e32 vcc, v79, v5
	v_cmp_gt_u32_e64 s[30:31], 32, v65
	v_cndmask_b32_e32 v7, v9, v7, vcc
	v_cndmask_b32_e64 v9, 0, 1, s[30:31]
	v_lshlrev_b32_e32 v9, 5, v9
	v_add_lshl_u32 v80, v9, v57, 2
	ds_bpermute_b32 v9, v80, v7
	s_waitcnt lgkmcnt(1)
	v_cndmask_b32_e64 v6, v6, 0, vcc
	v_add_u32_e32 v4, v4, v6
	ds_bpermute_b32 v6, v80, v4
	v_add_u32_e32 v81, 32, v65
	s_waitcnt lgkmcnt(1)
	v_add_f32_e32 v9, v7, v9
	v_cmp_eq_u32_e32 vcc, 0, v4
	v_cndmask_b32_e32 v9, v7, v9, vcc
	v_cmp_gt_u32_e32 vcc, v81, v5
	s_waitcnt lgkmcnt(0)
	v_cndmask_b32_e64 v5, v6, 0, vcc
	v_cndmask_b32_e32 v7, v9, v7, vcc
	v_add_u32_e32 v6, v5, v4
	v_mov_b32_e32 v57, 0
	s_mov_b32 s49, 0x70605
	s_mov_b32 s50, 0x1000706
	;; [unrolled: 1-line block ×4, first 2 shown]
	s_branch .LBB220_130
.LBB220_129:                            ;   in Loop: Header=BB220_130 Depth=1
	s_or_b64 exec, exec, s[30:31]
	v_lshlrev_b32_e32 v58, 16, v82
	v_lshlrev_b32_e32 v9, 8, v9
	v_perm_b32 v58, v83, v58, s48
	v_and_b32_e32 v9, 0xff00, v9
	v_and_b32_e32 v6, 0xff, v6
	v_cmp_eq_u16_sdwa s[30:31], v8, v64 src0_sel:BYTE_0 src1_sel:DWORD
	ds_bpermute_b32 v59, v66, v7
	v_or3_b32 v6, v58, v9, v6
	v_and_b32_e32 v9, s31, v11
	v_or_b32_e32 v9, 0x80000000, v9
	v_and_b32_e32 v58, s30, v10
	v_ffbl_b32_e32 v9, v9
	v_add_u32_e32 v9, 32, v9
	v_ffbl_b32_e32 v58, v58
	v_min_u32_e32 v9, v58, v9
	s_waitcnt lgkmcnt(0)
	v_add_f32_e32 v59, v7, v59
	v_cmp_eq_u32_e32 vcc, 0, v6
	ds_bpermute_b32 v58, v66, v6
	v_cndmask_b32_e32 v59, v7, v59, vcc
	v_cmp_lt_u32_e32 vcc, v65, v9
	v_cndmask_b32_e32 v7, v7, v59, vcc
	ds_bpermute_b32 v59, v67, v7
	s_waitcnt lgkmcnt(1)
	v_cndmask_b32_e32 v58, 0, v58, vcc
	v_add_u32_e32 v6, v58, v6
	v_cmp_eq_u32_e32 vcc, 0, v6
	ds_bpermute_b32 v58, v67, v6
	s_waitcnt lgkmcnt(1)
	v_add_f32_e32 v59, v7, v59
	v_cndmask_b32_e32 v59, v7, v59, vcc
	v_cmp_gt_u32_e32 vcc, v68, v9
	v_cndmask_b32_e32 v7, v59, v7, vcc
	ds_bpermute_b32 v59, v69, v7
	s_waitcnt lgkmcnt(1)
	v_cndmask_b32_e64 v58, v58, 0, vcc
	v_add_u32_e32 v6, v6, v58
	v_cmp_eq_u32_e32 vcc, 0, v6
	ds_bpermute_b32 v58, v69, v6
	s_waitcnt lgkmcnt(1)
	v_add_f32_e32 v59, v7, v59
	v_cndmask_b32_e32 v59, v7, v59, vcc
	v_cmp_gt_u32_e32 vcc, v70, v9
	v_cndmask_b32_e32 v7, v59, v7, vcc
	ds_bpermute_b32 v59, v71, v7
	s_waitcnt lgkmcnt(1)
	v_cndmask_b32_e64 v58, v58, 0, vcc
	v_add_u32_e32 v6, v6, v58
	ds_bpermute_b32 v58, v71, v6
	v_cmp_eq_u32_e32 vcc, 0, v6
	s_waitcnt lgkmcnt(1)
	v_add_f32_e32 v59, v7, v59
	v_cndmask_b32_e32 v59, v7, v59, vcc
	v_cmp_gt_u32_e32 vcc, v77, v9
	v_cndmask_b32_e32 v7, v59, v7, vcc
	ds_bpermute_b32 v59, v78, v7
	s_waitcnt lgkmcnt(1)
	v_cndmask_b32_e64 v58, v58, 0, vcc
	v_add_u32_e32 v6, v6, v58
	ds_bpermute_b32 v58, v78, v6
	v_cmp_eq_u32_e32 vcc, 0, v6
	s_waitcnt lgkmcnt(1)
	v_add_f32_e32 v59, v7, v59
	v_cndmask_b32_e32 v59, v7, v59, vcc
	v_cmp_gt_u32_e32 vcc, v79, v9
	v_cndmask_b32_e32 v7, v59, v7, vcc
	ds_bpermute_b32 v59, v80, v7
	s_waitcnt lgkmcnt(1)
	v_cndmask_b32_e64 v58, v58, 0, vcc
	v_add_u32_e32 v6, v6, v58
	ds_bpermute_b32 v58, v80, v6
	v_cmp_eq_u32_e32 vcc, 0, v6
	s_waitcnt lgkmcnt(1)
	v_add_f32_e32 v59, v7, v59
	v_cndmask_b32_e32 v59, v7, v59, vcc
	v_cmp_gt_u32_e32 vcc, v81, v9
	v_cndmask_b32_e32 v7, v59, v7, vcc
	s_waitcnt lgkmcnt(0)
	v_cndmask_b32_e64 v9, v58, 0, vcc
	v_add_f32_e32 v7, v5, v7
	v_cmp_eq_u32_e32 vcc, 0, v4
	v_subrev_u32_e32 v56, 64, v56
	v_add3_u32 v6, v6, v4, v9
	v_cndmask_b32_e32 v7, v5, v7, vcc
.LBB220_130:                            ; =>This Loop Header: Depth=1
                                        ;     Child Loop BB220_133 Depth 2
                                        ;       Child Loop BB220_134 Depth 3
	v_cmp_ne_u16_sdwa s[30:31], v8, v64 src0_sel:BYTE_0 src1_sel:DWORD
	v_cndmask_b32_e64 v4, 0, 1, s[30:31]
	;;#ASMSTART
	;;#ASMEND
	v_cmp_ne_u32_e32 vcc, 0, v4
	v_mov_b32_e32 v5, v7
	s_cmp_lg_u64 vcc, exec
	v_mov_b32_e32 v4, v6
	s_cbranch_scc1 .LBB220_137
; %bb.131:                              ;   in Loop: Header=BB220_130 Depth=1
	v_lshlrev_b64 v[6:7], 4, v[56:57]
	v_mov_b32_e32 v8, s45
	v_add_co_u32_e32 v58, vcc, s44, v6
	v_addc_co_u32_e32 v59, vcc, v8, v7, vcc
	;;#ASMSTART
	global_load_dwordx4 v[6:9], v[58:59] off glc	
s_waitcnt vmcnt(0)
	;;#ASMEND
	v_perm_b32 v84, v7, v8, s49
	v_perm_b32 v85, v7, v8, s50
	v_lshlrev_b32_e32 v84, 8, v84
	v_alignbit_b32 v9, v7, v6, 8
	v_alignbit_b32 v82, v7, v6, 16
	;; [unrolled: 1-line block ×3, first 2 shown]
	v_perm_b32 v86, v7, v8, s51
	v_perm_b32 v7, v84, v7, s56
	v_lshlrev_b32_e32 v84, 16, v85
	v_and_b32_e32 v84, 0xff0000, v84
	v_lshlrev_b32_e32 v85, 24, v86
	v_or3_b32 v7, v7, v84, v85
	v_cmp_eq_u16_sdwa s[46:47], v8, v57 src0_sel:BYTE_0 src1_sel:DWORD
	s_and_saveexec_b64 s[30:31], s[46:47]
	s_cbranch_execz .LBB220_129
; %bb.132:                              ;   in Loop: Header=BB220_130 Depth=1
	s_mov_b32 s57, 1
	s_mov_b64 s[46:47], 0
.LBB220_133:                            ;   Parent Loop BB220_130 Depth=1
                                        ; =>  This Loop Header: Depth=2
                                        ;       Child Loop BB220_134 Depth 3
	s_max_u32 s62, s57, 1
.LBB220_134:                            ;   Parent Loop BB220_130 Depth=1
                                        ;     Parent Loop BB220_133 Depth=2
                                        ; =>    This Inner Loop Header: Depth=3
	s_add_i32 s62, s62, -1
	s_cmp_eq_u32 s62, 0
	s_sleep 1
	s_cbranch_scc0 .LBB220_134
; %bb.135:                              ;   in Loop: Header=BB220_133 Depth=2
	s_cmp_lt_u32 s57, 32
	s_cselect_b64 s[62:63], -1, 0
	s_cmp_lg_u64 s[62:63], 0
	s_addc_u32 s57, s57, 0
	;;#ASMSTART
	global_load_dwordx4 v[6:9], v[58:59] off glc	
s_waitcnt vmcnt(0)
	;;#ASMEND
	v_cmp_ne_u16_sdwa s[62:63], v8, v57 src0_sel:BYTE_0 src1_sel:DWORD
	s_or_b64 s[46:47], s[62:63], s[46:47]
	s_andn2_b64 exec, exec, s[46:47]
	s_cbranch_execnz .LBB220_133
; %bb.136:                              ;   in Loop: Header=BB220_130 Depth=1
	s_or_b64 exec, exec, s[46:47]
	v_perm_b32 v58, v7, v8, s49
	v_perm_b32 v59, v7, v8, s50
	v_lshlrev_b32_e32 v58, 8, v58
	v_alignbit_b32 v9, v7, v6, 8
	v_alignbit_b32 v82, v7, v6, 16
	;; [unrolled: 1-line block ×3, first 2 shown]
	v_perm_b32 v84, v7, v8, s51
	v_perm_b32 v7, v58, v7, s56
	v_lshlrev_b32_e32 v58, 16, v59
	v_lshlrev_b32_e32 v59, 24, v84
	v_and_b32_e32 v58, 0xff0000, v58
	v_or3_b32 v7, v7, v58, v59
	s_branch .LBB220_129
.LBB220_137:                            ;   in Loop: Header=BB220_130 Depth=1
                                        ; implicit-def: $vgpr7
                                        ; implicit-def: $vgpr6
                                        ; implicit-def: $vgpr8
	s_cbranch_execz .LBB220_130
; %bb.138:
	s_and_saveexec_b64 s[30:31], s[26:27]
	s_cbranch_execz .LBB220_140
; %bb.139:
	s_mov_b32 s47, 0
	v_add_f32_e32 v7, s7, v5
	v_mov_b32_e32 v8, s7
	v_cmp_eq_u32_e32 vcc, 0, v2
	s_add_i32 s46, s6, 64
	v_cndmask_b32_e32 v7, v8, v7, vcc
	s_lshl_b64 s[6:7], s[46:47], 4
	s_add_u32 s6, s44, s6
	v_and_b32_e32 v8, 0xff000000, v7
	v_and_b32_e32 v10, 0xff0000, v7
	s_addc_u32 s7, s45, s7
	v_or_b32_e32 v8, v10, v8
	v_and_b32_e32 v10, 0xff00, v7
	v_and_b32_e32 v7, 0xff, v7
	v_add_u32_e32 v6, v4, v2
	v_mov_b32_e32 v9, 0
	v_or3_b32 v7, v8, v10, v7
	v_mov_b32_e32 v8, 2
	v_pk_mov_b32 v[10:11], s[6:7], s[6:7] op_sel:[0,1]
	;;#ASMSTART
	global_store_dwordx4 v[10:11], v[6:9] off	
s_waitcnt vmcnt(0)
	;;#ASMEND
	ds_write_b128 v9, v[2:5] offset:2048
.LBB220_140:
	s_or_b64 exec, exec, s[30:31]
	v_cmp_eq_u32_e32 vcc, 0, v0
	s_and_b64 exec, exec, vcc
	s_cbranch_execz .LBB220_142
; %bb.141:
	v_mov_b32_e32 v2, 0
	ds_write_b64 v2, v[4:5] offset:2088
.LBB220_142:
	s_or_b64 exec, exec, s[40:41]
	v_mov_b32_e32 v4, 0
	s_waitcnt lgkmcnt(0)
	s_barrier
	ds_read_b64 v[2:3], v4 offset:2088
	v_cndmask_b32_e64 v5, v63, v55, s[26:27]
	v_cndmask_b32_e64 v6, v38, v54, s[26:27]
	v_cmp_eq_u32_e32 vcc, 0, v6
	s_waitcnt lgkmcnt(0)
	v_add_f32_e32 v7, v5, v3
	v_cndmask_b32_e32 v5, v5, v7, vcc
	v_cmp_eq_u32_e32 vcc, 0, v0
	v_cndmask_b32_e32 v71, v5, v3, vcc
	v_cndmask_b32_e64 v3, v6, 0, vcc
	v_add_u32_e32 v7, v2, v3
	v_add_f32_e32 v2, v50, v71
	v_cmp_eq_u32_e32 vcc, 0, v62
	v_cndmask_b32_e32 v70, v50, v2, vcc
	v_add_f32_e32 v2, v52, v70
	v_cndmask_b32_e64 v69, v52, v2, s[24:25]
	v_add_f32_e32 v2, v51, v69
	v_cndmask_b32_e64 v68, v51, v2, s[22:23]
	;; [unrolled: 2-line block ×11, first 2 shown]
	s_barrier
	ds_read_b128 v[2:5], v4 offset:2048
	v_add_f32_e32 v6, v40, v55
	v_cndmask_b32_e64 v54, v40, v6, s[2:3]
	v_add_f32_e32 v6, v61, v54
	v_cndmask_b32_e64 v57, v61, v6, s[0:1]
	s_waitcnt lgkmcnt(0)
	v_add_f32_e32 v5, v5, v3
	v_cmp_eq_u32_e32 vcc, 0, v2
	v_cndmask_b32_e32 v38, v3, v5, vcc
	v_mov_b32_e32 v6, v4
	v_mov_b32_e32 v5, v7
	s_branch .LBB220_155
.LBB220_143:
                                        ; implicit-def: $vgpr2
                                        ; implicit-def: $vgpr38
                                        ; implicit-def: $vgpr6
                                        ; implicit-def: $vgpr57
                                        ; implicit-def: $vgpr54
                                        ; implicit-def: $vgpr55
                                        ; implicit-def: $vgpr56
                                        ; implicit-def: $vgpr58
                                        ; implicit-def: $vgpr59
                                        ; implicit-def: $vgpr63
                                        ; implicit-def: $vgpr64
                                        ; implicit-def: $vgpr65
                                        ; implicit-def: $vgpr66
                                        ; implicit-def: $vgpr67
                                        ; implicit-def: $vgpr68
                                        ; implicit-def: $vgpr69
                                        ; implicit-def: $vgpr70
                                        ; implicit-def: $vgpr71
	s_cbranch_execz .LBB220_155
; %bb.144:
	s_and_b64 s[0:1], s[38:39], exec
	s_cselect_b32 s1, 0, s61
	s_cselect_b32 s0, 0, s60
	s_cmp_eq_u64 s[0:1], 0
	v_mov_b32_e32 v6, v50
	s_cbranch_scc1 .LBB220_146
; %bb.145:
	v_mov_b32_e32 v2, 0
	global_load_dword v6, v2, s[0:1]
.LBB220_146:
	v_cmp_eq_u32_e64 s[0:1], 0, v39
	v_cndmask_b32_e64 v2, v52, v76, s[0:1]
	v_add_f32_e32 v2, v51, v2
	v_cmp_eq_u32_e64 s[2:3], 0, v36
	v_cndmask_b32_e64 v2, v51, v2, s[2:3]
	v_add_f32_e32 v2, v53, v2
	;; [unrolled: 3-line block ×11, first 2 shown]
	v_cmp_eq_u32_e64 s[22:23], 0, v26
	v_cndmask_b32_e64 v2, v40, v2, s[22:23]
	v_add3_u32 v3, v75, v35, v32
	v_add_f32_e32 v2, v61, v2
	v_cmp_eq_u32_e32 vcc, 0, v27
	v_add3_u32 v3, v3, v33, v30
	v_cndmask_b32_e32 v2, v61, v2, vcc
	v_add3_u32 v3, v3, v31, v28
	v_add_f32_e32 v2, v41, v2
	v_cmp_eq_u32_e64 s[24:25], 0, v60
	v_add3_u32 v3, v3, v29, v26
	v_cndmask_b32_e64 v2, v41, v2, s[24:25]
	v_add3_u32 v3, v3, v27, v60
	v_mbcnt_hi_u32_b32 v7, -1, v74
	v_mov_b32_dpp v8, v2 row_shr:1 row_mask:0xf bank_mask:0xf
	s_waitcnt vmcnt(0) lgkmcnt(0)
	v_and_b32_e32 v4, 15, v7
	v_add_f32_e32 v8, v2, v8
	v_cmp_eq_u32_e64 s[24:25], 0, v3
	v_mov_b32_dpp v5, v3 row_shr:1 row_mask:0xf bank_mask:0xf
	v_cndmask_b32_e64 v8, v2, v8, s[24:25]
	v_cmp_eq_u32_e64 s[24:25], 0, v4
	v_cndmask_b32_e64 v5, v5, 0, s[24:25]
	v_cndmask_b32_e64 v2, v8, v2, s[24:25]
	v_add_u32_e32 v3, v5, v3
	v_cmp_eq_u32_e64 s[24:25], 0, v3
	v_mov_b32_dpp v8, v2 row_shr:2 row_mask:0xf bank_mask:0xf
	v_add_f32_e32 v8, v2, v8
	v_mov_b32_dpp v5, v3 row_shr:2 row_mask:0xf bank_mask:0xf
	v_cndmask_b32_e64 v8, v2, v8, s[24:25]
	v_cmp_lt_u32_e64 s[24:25], 1, v4
	v_cndmask_b32_e64 v2, v2, v8, s[24:25]
	v_cndmask_b32_e64 v5, 0, v5, s[24:25]
	v_add_u32_e32 v3, v3, v5
	v_mov_b32_dpp v8, v2 row_shr:4 row_mask:0xf bank_mask:0xf
	v_add_f32_e32 v8, v2, v8
	v_cmp_eq_u32_e64 s[24:25], 0, v3
	v_mov_b32_dpp v5, v3 row_shr:4 row_mask:0xf bank_mask:0xf
	v_cndmask_b32_e64 v8, v2, v8, s[24:25]
	v_cmp_lt_u32_e64 s[24:25], 3, v4
	v_cndmask_b32_e64 v2, v2, v8, s[24:25]
	v_cndmask_b32_e64 v5, 0, v5, s[24:25]
	v_add_u32_e32 v3, v5, v3
	v_mov_b32_dpp v8, v2 row_shr:8 row_mask:0xf bank_mask:0xf
	v_add_f32_e32 v8, v2, v8
	v_cmp_eq_u32_e64 s[24:25], 0, v3
	v_mov_b32_dpp v5, v3 row_shr:8 row_mask:0xf bank_mask:0xf
	v_cndmask_b32_e64 v8, v2, v8, s[24:25]
	v_cmp_lt_u32_e64 s[24:25], 7, v4
	v_cndmask_b32_e64 v2, v2, v8, s[24:25]
	v_cndmask_b32_e64 v4, 0, v5, s[24:25]
	v_add_u32_e32 v3, v4, v3
	v_mov_b32_dpp v5, v2 row_bcast:15 row_mask:0xf bank_mask:0xf
	v_bfe_i32 v8, v7, 4, 1
	v_mov_b32_dpp v4, v3 row_bcast:15 row_mask:0xf bank_mask:0xf
	v_and_b32_e32 v9, 16, v7
	v_add_f32_e32 v5, v2, v5
	v_cmp_eq_u32_e64 s[24:25], 0, v3
	v_cndmask_b32_e64 v5, v2, v5, s[24:25]
	v_and_b32_e32 v4, v8, v4
	v_cmp_eq_u32_e64 s[24:25], 0, v9
	v_add_u32_e32 v3, v4, v3
	v_cndmask_b32_e64 v4, v5, v2, s[24:25]
	v_cmp_eq_u32_e64 s[24:25], 0, v3
	v_mov_b32_dpp v2, v3 row_bcast:31 row_mask:0xf bank_mask:0xf
	v_mov_b32_dpp v5, v4 row_bcast:31 row_mask:0xf bank_mask:0xf
	v_add_f32_e32 v5, v4, v5
	v_cndmask_b32_e64 v5, v4, v5, s[24:25]
	v_cmp_lt_u32_e64 s[24:25], 31, v7
	v_cndmask_b32_e64 v2, 0, v2, s[24:25]
	v_add_u32_e32 v2, v2, v3
	v_cmp_eq_u32_e64 s[26:27], v73, v0
	v_cndmask_b32_e64 v3, v4, v5, s[24:25]
	s_and_saveexec_b64 s[24:25], s[26:27]
	s_cbranch_execz .LBB220_148
; %bb.147:
	v_lshlrev_b32_e32 v4, 3, v72
	ds_write_b64 v4, v[2:3] offset:2064
.LBB220_148:
	s_or_b64 exec, exec, s[24:25]
	v_cmp_gt_u32_e64 s[24:25], 4, v0
	s_waitcnt lgkmcnt(0)
	s_barrier
	s_and_saveexec_b64 s[28:29], s[24:25]
	s_cbranch_execz .LBB220_150
; %bb.149:
	v_lshlrev_b32_e32 v8, 3, v0
	ds_read_b64 v[4:5], v8 offset:2064
	v_and_b32_e32 v9, 3, v7
	v_cmp_lt_u32_e64 s[26:27], 1, v9
	s_waitcnt lgkmcnt(0)
	v_mov_b32_dpp v11, v5 row_shr:1 row_mask:0xf bank_mask:0xf
	v_add_f32_e32 v11, v5, v11
	v_cmp_eq_u32_e64 s[24:25], 0, v4
	v_mov_b32_dpp v10, v4 row_shr:1 row_mask:0xf bank_mask:0xf
	v_cndmask_b32_e64 v11, v5, v11, s[24:25]
	v_cmp_eq_u32_e64 s[24:25], 0, v9
	v_cndmask_b32_e64 v10, v10, 0, s[24:25]
	v_add_u32_e32 v4, v10, v4
	v_cndmask_b32_e64 v5, v11, v5, s[24:25]
	v_cmp_eq_u32_e64 s[24:25], 0, v4
	v_mov_b32_dpp v10, v4 row_shr:2 row_mask:0xf bank_mask:0xf
	v_mov_b32_dpp v11, v5 row_shr:2 row_mask:0xf bank_mask:0xf
	v_add_f32_e32 v11, v5, v11
	v_cndmask_b32_e64 v9, 0, v10, s[26:27]
	s_and_b64 s[24:25], s[26:27], s[24:25]
	v_add_u32_e32 v4, v9, v4
	v_cndmask_b32_e64 v5, v5, v11, s[24:25]
	ds_write_b64 v8, v[4:5] offset:2064
.LBB220_150:
	s_or_b64 exec, exec, s[28:29]
	v_cmp_lt_u32_e64 s[24:25], 63, v0
	v_mov_b32_e32 v8, 0
	v_mov_b32_e32 v4, 0
	v_mov_b32_e32 v9, v6
	s_waitcnt lgkmcnt(0)
	s_barrier
	s_and_saveexec_b64 s[26:27], s[24:25]
	s_cbranch_execz .LBB220_152
; %bb.151:
	v_lshlrev_b32_e32 v4, 3, v72
	ds_read_b64 v[4:5], v4 offset:2056
	s_waitcnt lgkmcnt(0)
	v_add_f32_e32 v9, v6, v5
	v_cmp_eq_u32_e64 s[24:25], 0, v4
	v_cndmask_b32_e64 v9, v5, v9, s[24:25]
.LBB220_152:
	s_or_b64 exec, exec, s[26:27]
	v_add_f32_e32 v10, v3, v9
	v_cmp_eq_u32_e64 s[24:25], 0, v2
	v_add_u32_e32 v5, v4, v2
	v_cndmask_b32_e64 v2, v3, v10, s[24:25]
	v_add_u32_e32 v3, -1, v7
	v_and_b32_e32 v10, 64, v7
	v_cmp_lt_i32_e64 s[24:25], v3, v10
	v_cndmask_b32_e64 v3, v3, v7, s[24:25]
	v_lshlrev_b32_e32 v3, 2, v3
	ds_bpermute_b32 v5, v3, v5
	ds_bpermute_b32 v2, v3, v2
	v_cmp_eq_u32_e64 s[24:25], 0, v7
	v_cmp_eq_u32_e64 s[26:27], 0, v62
	s_waitcnt lgkmcnt(1)
	v_cndmask_b32_e64 v5, v5, v4, s[24:25]
	s_waitcnt lgkmcnt(0)
	v_cndmask_b32_e64 v71, v2, v9, s[24:25]
	v_cmp_eq_u32_e64 s[24:25], 0, v0
	v_cndmask_b32_e64 v2, v71, v6, s[24:25]
	v_add_f32_e32 v2, v50, v2
	v_cndmask_b32_e64 v70, v50, v2, s[26:27]
	v_add_f32_e32 v2, v52, v70
	v_cndmask_b32_e64 v69, v52, v2, s[0:1]
	v_add_f32_e32 v2, v51, v69
	v_cndmask_b32_e64 v68, v51, v2, s[2:3]
	v_add_f32_e32 v2, v53, v68
	v_cndmask_b32_e64 v67, v53, v2, s[4:5]
	v_add_f32_e32 v2, v46, v67
	v_cndmask_b32_e64 v66, v46, v2, s[6:7]
	v_add_f32_e32 v2, v48, v66
	v_cndmask_b32_e64 v65, v48, v2, s[8:9]
	v_add_f32_e32 v2, v47, v65
	v_cndmask_b32_e64 v64, v47, v2, s[10:11]
	v_add_f32_e32 v2, v49, v64
	v_cndmask_b32_e64 v63, v49, v2, s[12:13]
	v_add_f32_e32 v2, v44, v63
	v_cndmask_b32_e64 v59, v44, v2, s[14:15]
	v_add_f32_e32 v2, v42, v59
	v_cndmask_b32_e64 v58, v42, v2, s[16:17]
	v_add_f32_e32 v2, v45, v58
	v_cndmask_b32_e64 v56, v45, v2, s[20:21]
	ds_read_b64 v[2:3], v8 offset:2088
	v_add_f32_e32 v4, v43, v56
	v_cndmask_b32_e64 v55, v43, v4, s[18:19]
	v_add_f32_e32 v4, v40, v55
	v_cndmask_b32_e64 v54, v40, v4, s[22:23]
	s_waitcnt lgkmcnt(0)
	v_add_f32_e32 v4, v6, v3
	v_cmp_eq_u32_e64 s[0:1], 0, v2
	v_add_f32_e32 v7, v61, v54
	v_cndmask_b32_e64 v38, v3, v4, s[0:1]
	s_and_saveexec_b64 s[0:1], s[24:25]
	s_cbranch_execz .LBB220_154
; %bb.153:
	s_add_u32 s2, s44, 0x400
	v_and_b32_e32 v3, 0xff000000, v38
	v_and_b32_e32 v4, 0xff0000, v38
	s_addc_u32 s3, s45, 0
	v_or_b32_e32 v3, v4, v3
	v_and_b32_e32 v4, 0xff00, v38
	v_and_b32_e32 v8, 0xff, v38
	v_mov_b32_e32 v5, 0
	v_or3_b32 v3, v3, v4, v8
	v_mov_b32_e32 v4, 2
	v_pk_mov_b32 v[8:9], s[2:3], s[2:3] op_sel:[0,1]
	;;#ASMSTART
	global_store_dwordx4 v[8:9], v[2:5] off	
s_waitcnt vmcnt(0)
	;;#ASMEND
	v_mov_b32_e32 v71, v6
.LBB220_154:
	s_or_b64 exec, exec, s[0:1]
	v_cndmask_b32_e32 v57, v61, v7, vcc
	v_mov_b32_e32 v6, 0
.LBB220_155:
	s_and_b64 s[0:1], s[38:39], exec
	s_cselect_b32 s1, 0, s59
	s_cselect_b32 s0, 0, s58
	s_cmp_eq_u64 s[0:1], 0
	v_pk_mov_b32 v[8:9], 0, 0
	s_waitcnt lgkmcnt(0)
	s_barrier
	s_cbranch_scc1 .LBB220_157
; %bb.156:
	v_mov_b32_e32 v3, 0
	global_load_dwordx2 v[8:9], v3, s[0:1]
.LBB220_157:
	s_waitcnt vmcnt(0)
	v_lshlrev_b64 v[10:11], 2, v[8:9]
	v_mov_b32_e32 v7, s43
	v_add_co_u32_e32 v61, vcc, s42, v10
	v_addc_co_u32_e32 v72, vcc, v7, v11, vcc
	v_mov_b32_e32 v7, 0
	v_lshlrev_b64 v[40:41], 2, v[6:7]
	v_add_co_u32_e32 v7, vcc, v61, v40
	v_addc_co_u32_e32 v61, vcc, v72, v41, vcc
	v_cmp_eq_u32_e32 vcc, 0, v62
	v_cndmask_b32_e64 v72, 1, 2, vcc
	v_cmp_eq_u32_e32 vcc, 0, v39
	v_cndmask_b32_e64 v73, 1, 2, vcc
	v_cmp_eq_u32_e32 vcc, 0, v36
	v_and_b32_e32 v72, v73, v72
	v_cndmask_b32_e64 v73, 1, 2, vcc
	v_cmp_eq_u32_e32 vcc, 0, v37
	v_add_u32_e32 v53, v5, v62
	v_and_b32_e32 v72, v72, v73
	v_cndmask_b32_e64 v73, 1, 2, vcc
	v_cmp_eq_u32_e32 vcc, 0, v34
	v_add_u32_e32 v52, v53, v39
	;; [unrolled: 4-line block ×12, first 2 shown]
	v_and_b32_e32 v72, v72, v73
	v_cndmask_b32_e64 v73, 1, 2, vcc
	s_movk_i32 s30, 0x100
	v_add_u32_e32 v4, v42, v26
	v_and_b32_e32 v72, v72, v73
	v_cmp_gt_u32_e32 vcc, s30, v2
	v_add_u32_e32 v3, v4, v27
	v_cmp_ne_u32_e64 s[28:29], 0, v62
	v_cmp_ne_u32_e64 s[26:27], 0, v39
	;; [unrolled: 1-line block ×15, first 2 shown]
	s_mov_b64 s[38:39], -1
	v_cmp_gt_i16_e64 s[30:31], 2, v72
	s_cbranch_vccz .LBB220_164
; %bb.158:
	s_and_saveexec_b64 s[38:39], s[30:31]
	s_cbranch_execz .LBB220_163
; %bb.159:
	v_cmp_ne_u16_e32 vcc, 1, v72
	s_mov_b64 s[40:41], 0
	s_and_saveexec_b64 s[30:31], vcc
	s_xor_b64 s[30:31], exec, s[30:31]
	s_cbranch_execnz .LBB220_253
; %bb.160:
	s_andn2_saveexec_b64 s[30:31], s[30:31]
	s_cbranch_execnz .LBB220_269
.LBB220_161:
	s_or_b64 exec, exec, s[30:31]
	s_and_b64 exec, exec, s[40:41]
	s_cbranch_execz .LBB220_163
.LBB220_162:
	v_sub_u32_e32 v74, v3, v6
	v_mov_b32_e32 v75, 0
	v_lshlrev_b64 v[74:75], 2, v[74:75]
	v_add_co_u32_e32 v74, vcc, v7, v74
	v_addc_co_u32_e32 v75, vcc, v61, v75, vcc
	global_store_dword v[74:75], v1, off
.LBB220_163:
	s_or_b64 exec, exec, s[38:39]
	s_mov_b64 s[38:39], 0
.LBB220_164:
	s_and_b64 vcc, exec, s[38:39]
	s_cbranch_vccz .LBB220_186
; %bb.165:
	v_cmp_gt_i16_e32 vcc, 2, v72
	s_and_saveexec_b64 s[30:31], vcc
	s_cbranch_execz .LBB220_170
; %bb.166:
	v_cmp_ne_u16_e32 vcc, 1, v72
	s_mov_b64 s[40:41], 0
	s_and_saveexec_b64 s[38:39], vcc
	s_xor_b64 s[38:39], exec, s[38:39]
	s_cbranch_execnz .LBB220_270
; %bb.167:
	s_andn2_saveexec_b64 s[0:1], s[38:39]
	s_cbranch_execnz .LBB220_286
.LBB220_168:
	s_or_b64 exec, exec, s[0:1]
	s_and_b64 exec, exec, s[40:41]
	s_cbranch_execz .LBB220_170
.LBB220_169:
	v_sub_u32_e32 v12, v3, v6
	v_lshlrev_b32_e32 v12, 2, v12
	ds_write_b32 v12, v1
.LBB220_170:
	s_or_b64 exec, exec, s[30:31]
	v_cmp_lt_u32_e32 vcc, v0, v2
	s_waitcnt lgkmcnt(0)
	s_barrier
	s_and_saveexec_b64 s[2:3], vcc
	s_cbranch_execz .LBB220_185
; %bb.171:
	v_xad_u32 v1, v0, -1, v2
	s_movk_i32 s0, 0x1700
	v_cmp_gt_u32_e64 s[4:5], s0, v1
	s_movk_i32 s0, 0x16ff
	v_cmp_lt_u32_e32 vcc, s0, v1
	v_mov_b32_e32 v12, v0
	s_and_saveexec_b64 s[6:7], vcc
	s_cbranch_execz .LBB220_182
; %bb.172:
	v_sub_u32_e32 v12, v0, v2
	v_or_b32_e32 v12, 0xff, v12
	v_cmp_ge_u32_e32 vcc, v12, v0
	s_mov_b64 s[0:1], -1
	v_mov_b32_e32 v12, v0
	s_and_saveexec_b64 s[8:9], vcc
	s_cbranch_execz .LBB220_181
; %bb.173:
	v_lshrrev_b32_e32 v16, 8, v1
	v_add_u32_e32 v12, -1, v16
	v_or_b32_e32 v1, 0x100, v0
	v_lshrrev_b32_e32 v13, 1, v12
	v_add_u32_e32 v17, 1, v13
	v_cmp_lt_u32_e32 vcc, 13, v12
	v_mov_b32_e32 v20, 0
	v_pk_mov_b32 v[12:13], v[0:1], v[0:1] op_sel:[0,1]
	s_and_saveexec_b64 s[10:11], vcc
	s_cbranch_execz .LBB220_177
; %bb.174:
	v_and_b32_e32 v18, -8, v17
	v_lshlrev_b32_e32 v19, 2, v0
	s_mov_b32 s14, 0
	s_mov_b64 s[12:13], 0
	v_mov_b32_e32 v15, 0
	v_pk_mov_b32 v[12:13], v[0:1], v[0:1] op_sel:[0,1]
.LBB220_175:                            ; =>This Inner Loop Header: Depth=1
	v_mov_b32_e32 v14, v12
	v_add_u32_e32 v18, -8, v18
	v_lshlrev_b64 v[96:97], 2, v[14:15]
	v_mov_b32_e32 v14, v13
	ds_read2st64_b32 v[22:23], v19 offset1:4
	s_add_i32 s14, s14, 16
	v_cmp_eq_u32_e32 vcc, 0, v18
	v_lshlrev_b64 v[100:101], 2, v[14:15]
	v_add_u32_e32 v14, 0x200, v12
	s_or_b64 s[12:13], vcc, s[12:13]
	v_add_co_u32_e32 v100, vcc, v7, v100
	v_add_u32_e32 v20, 0x200, v13
	v_mov_b32_e32 v21, v15
	ds_read2st64_b32 v[24:25], v19 offset0:8 offset1:12
	ds_read2st64_b32 v[74:75], v19 offset0:16 offset1:20
	v_add_co_u32_e64 v96, s[0:1], v7, v96
	v_addc_co_u32_e32 v101, vcc, v61, v101, vcc
	v_lshlrev_b64 v[102:103], 2, v[14:15]
	v_lshlrev_b64 v[98:99], 2, v[20:21]
	v_addc_co_u32_e64 v97, s[0:1], v61, v97, s[0:1]
	v_add_u32_e32 v14, 0x400, v12
	v_add_co_u32_e32 v102, vcc, v7, v102
	v_add_u32_e32 v72, 0x400, v13
	v_mov_b32_e32 v73, v15
	ds_read2st64_b32 v[78:79], v19 offset0:24 offset1:28
	v_add_co_u32_e64 v98, s[0:1], v7, v98
	v_addc_co_u32_e32 v103, vcc, v61, v103, vcc
	v_lshlrev_b64 v[104:105], 2, v[14:15]
	ds_read2st64_b32 v[82:83], v19 offset0:32 offset1:36
	ds_read2st64_b32 v[86:87], v19 offset0:40 offset1:44
	;; [unrolled: 1-line block ×4, first 2 shown]
	v_lshlrev_b64 v[72:73], 2, v[72:73]
	v_addc_co_u32_e64 v99, s[0:1], v61, v99, s[0:1]
	v_add_u32_e32 v14, 0x600, v12
	s_waitcnt lgkmcnt(7)
	global_store_dword v[96:97], v22, off
	global_store_dword v[100:101], v23, off
	s_waitcnt lgkmcnt(6)
	global_store_dword v[102:103], v24, off
	global_store_dword v[98:99], v25, off
	v_add_co_u32_e32 v22, vcc, v7, v104
	v_add_u32_e32 v76, 0x600, v13
	v_mov_b32_e32 v77, v15
	v_add_co_u32_e64 v72, s[0:1], v7, v72
	v_addc_co_u32_e32 v23, vcc, v61, v105, vcc
	v_lshlrev_b64 v[24:25], 2, v[14:15]
	v_lshlrev_b64 v[76:77], 2, v[76:77]
	v_addc_co_u32_e64 v73, s[0:1], v61, v73, s[0:1]
	v_add_u32_e32 v14, 0x800, v12
	s_waitcnt lgkmcnt(5)
	global_store_dword v[22:23], v74, off
	global_store_dword v[72:73], v75, off
	v_add_co_u32_e32 v22, vcc, v7, v24
	v_add_u32_e32 v80, 0x800, v13
	v_mov_b32_e32 v81, v15
	v_add_co_u32_e64 v76, s[0:1], v7, v76
	v_addc_co_u32_e32 v23, vcc, v61, v25, vcc
	v_lshlrev_b64 v[24:25], 2, v[14:15]
	v_lshlrev_b64 v[80:81], 2, v[80:81]
	v_addc_co_u32_e64 v77, s[0:1], v61, v77, s[0:1]
	v_add_u32_e32 v14, 0xa00, v12
	;; [unrolled: 12-line block ×4, first 2 shown]
	s_waitcnt lgkmcnt(2)
	global_store_dword v[22:23], v86, off
	global_store_dword v[84:85], v87, off
	v_add_co_u32_e32 v22, vcc, v7, v24
	v_add_u32_e32 v92, 0xe00, v13
	v_mov_b32_e32 v93, v15
	v_add_co_u32_e64 v88, s[0:1], v7, v88
	v_addc_co_u32_e32 v23, vcc, v61, v25, vcc
	v_lshlrev_b64 v[24:25], 2, v[14:15]
	v_lshlrev_b64 v[92:93], 2, v[92:93]
	v_addc_co_u32_e64 v89, s[0:1], v61, v89, s[0:1]
	s_waitcnt lgkmcnt(1)
	global_store_dword v[22:23], v90, off
	global_store_dword v[88:89], v91, off
	v_add_co_u32_e32 v22, vcc, v7, v24
	v_add_u32_e32 v19, 0x4000, v19
	v_add_u32_e32 v13, 0x1000, v13
	v_mov_b32_e32 v20, s14
	v_add_co_u32_e64 v92, s[0:1], v7, v92
	v_add_u32_e32 v12, 0x1000, v12
	v_addc_co_u32_e32 v23, vcc, v61, v25, vcc
	v_addc_co_u32_e64 v93, s[0:1], v61, v93, s[0:1]
	s_waitcnt lgkmcnt(0)
	global_store_dword v[22:23], v94, off
	global_store_dword v[92:93], v95, off
	s_andn2_b64 exec, exec, s[12:13]
	s_cbranch_execnz .LBB220_175
; %bb.176:
	s_or_b64 exec, exec, s[12:13]
.LBB220_177:
	s_or_b64 exec, exec, s[10:11]
	v_and_b32_e32 v1, 7, v17
	v_cmp_ne_u32_e32 vcc, 0, v1
	s_and_saveexec_b64 s[10:11], vcc
	s_cbranch_execz .LBB220_180
; %bb.178:
	v_lshlrev_b32_e32 v14, 2, v0
	v_lshl_or_b32 v17, v20, 10, v14
	s_mov_b64 s[12:13], 0
	v_mov_b32_e32 v15, 0
.LBB220_179:                            ; =>This Inner Loop Header: Depth=1
	ds_read2st64_b32 v[18:19], v17 offset1:4
	v_mov_b32_e32 v14, v12
	v_add_u32_e32 v1, -1, v1
	v_lshlrev_b64 v[20:21], 2, v[14:15]
	v_mov_b32_e32 v14, v13
	v_cmp_eq_u32_e32 vcc, 0, v1
	v_add_co_u32_e64 v20, s[0:1], v7, v20
	v_lshlrev_b64 v[22:23], 2, v[14:15]
	v_add_u32_e32 v12, 0x200, v12
	v_add_u32_e32 v17, 0x800, v17
	;; [unrolled: 1-line block ×3, first 2 shown]
	v_addc_co_u32_e64 v21, s[0:1], v61, v21, s[0:1]
	s_or_b64 s[12:13], vcc, s[12:13]
	v_add_co_u32_e32 v22, vcc, v7, v22
	v_addc_co_u32_e32 v23, vcc, v61, v23, vcc
	s_waitcnt lgkmcnt(0)
	global_store_dword v[20:21], v18, off
	global_store_dword v[22:23], v19, off
	s_andn2_b64 exec, exec, s[12:13]
	s_cbranch_execnz .LBB220_179
.LBB220_180:
	s_or_b64 exec, exec, s[10:11]
	v_add_u32_e32 v1, 1, v16
	v_and_b32_e32 v13, 0x1fffffe, v1
	v_cmp_ne_u32_e32 vcc, v1, v13
	v_lshl_or_b32 v12, v13, 8, v0
	s_orn2_b64 s[0:1], vcc, exec
.LBB220_181:
	s_or_b64 exec, exec, s[8:9]
	s_andn2_b64 s[4:5], s[4:5], exec
	s_and_b64 s[0:1], s[0:1], exec
	s_or_b64 s[4:5], s[4:5], s[0:1]
.LBB220_182:
	s_or_b64 exec, exec, s[6:7]
	s_and_b64 exec, exec, s[4:5]
	s_cbranch_execz .LBB220_185
; %bb.183:
	v_lshlrev_b32_e32 v1, 2, v12
	s_mov_b64 s[0:1], 0
	v_mov_b32_e32 v13, 0
.LBB220_184:                            ; =>This Inner Loop Header: Depth=1
	v_lshlrev_b64 v[14:15], 2, v[12:13]
	ds_read_b32 v16, v1
	v_add_co_u32_e32 v14, vcc, v7, v14
	v_add_u32_e32 v12, 0x100, v12
	v_addc_co_u32_e32 v15, vcc, v61, v15, vcc
	v_cmp_ge_u32_e32 vcc, v12, v2
	v_add_u32_e32 v1, 0x400, v1
	s_or_b64 s[0:1], vcc, s[0:1]
	s_waitcnt lgkmcnt(0)
	global_store_dword v[14:15], v16, off
	s_andn2_b64 exec, exec, s[0:1]
	s_cbranch_execnz .LBB220_184
.LBB220_185:
	s_or_b64 exec, exec, s[2:3]
.LBB220_186:
	s_cmpk_lg_i32 s33, 0xf00
	s_cselect_b64 s[0:1], -1, 0
	s_and_b64 s[0:1], s[34:35], s[0:1]
	v_cmp_eq_u32_e32 vcc, 0, v0
	v_cndmask_b32_e64 v16, 0, 1, s[0:1]
	s_and_b64 s[0:1], vcc, s[36:37]
	v_cndmask_b32_e64 v12, v62, 0, s[0:1]
	s_mul_hi_u32 s0, s33, 0x88888889
	s_lshr_b32 s0, s0, 3
	v_mad_i32_i24 v13, v0, -15, s33
	v_cmp_eq_u32_e32 vcc, s0, v0
	v_cmp_ne_u32_e64 s[0:1], 0, v13
	v_cndmask_b32_e64 v14, 1, v12, s[0:1]
	v_cmp_ne_u32_e64 s[0:1], 1, v13
	v_cndmask_b32_e64 v15, 1, v39, s[0:1]
	;; [unrolled: 2-line block ×15, first 2 shown]
	s_and_b64 vcc, s[34:35], vcc
	v_cndmask_b32_e32 v60, v60, v13, vcc
	v_cndmask_b32_e32 v27, v27, v72, vcc
	;; [unrolled: 1-line block ×15, first 2 shown]
	v_mov_b32_e32 v12, s53
	v_add_co_u32_e32 v10, vcc, s52, v10
	v_addc_co_u32_e32 v11, vcc, v12, v11, vcc
	v_cndmask_b32_e64 v1, 0, 1, s[36:37]
	v_add_co_u32_e32 v12, vcc, v10, v40
	v_addc_co_u32_e32 v13, vcc, v11, v41, vcc
	v_lshlrev_b32_e32 v10, 2, v1
	v_add_co_u32_e32 v10, vcc, v10, v12
	v_addc_co_u32_e32 v11, vcc, 0, v13, vcc
	v_add_co_u32_e32 v14, vcc, -4, v10
	v_addc_co_u32_e32 v15, vcc, -1, v11, vcc
	v_cmp_eq_u32_e32 vcc, 0, v30
	v_cndmask_b32_e64 v11, 1, 2, vcc
	v_cmp_eq_u32_e32 vcc, 0, v28
	v_cmp_ne_u32_e64 s[26:27], 0, v28
	v_cndmask_b32_e64 v28, 1, 2, vcc
	v_cmp_eq_u32_e32 vcc, 0, v17
	v_and_b32_e32 v11, v28, v11
	v_cmp_ne_u32_e64 s[24:25], 0, v17
	v_cndmask_b32_e64 v17, 1, 2, vcc
	v_cmp_eq_u32_e32 vcc, 0, v18
	v_and_b32_e32 v11, v11, v17
	v_cndmask_b32_e64 v17, 1, 2, vcc
	v_cmp_eq_u32_e32 vcc, 0, v19
	v_and_b32_e32 v11, v11, v17
	;; [unrolled: 3-line block ×10, first 2 shown]
	v_cndmask_b32_e64 v17, 1, 2, vcc
	v_cmp_eq_u32_e32 vcc, 0, v27
	v_sub_u32_e32 v7, v2, v1
	v_and_b32_e32 v11, v11, v17
	v_cndmask_b32_e64 v17, 1, 2, vcc
	v_cmp_eq_u32_e32 vcc, 0, v60
	v_add_u32_e32 v7, v7, v16
	v_and_b32_e32 v11, v11, v17
	v_cndmask_b32_e64 v17, 1, 2, vcc
	s_movk_i32 s30, 0x100
	v_and_b32_e32 v11, v11, v17
	v_cmp_gt_u32_e32 vcc, s30, v7
	v_add_u32_e32 v10, v6, v1
	v_cmp_ne_u32_e64 s[28:29], 0, v30
	v_cmp_ne_u32_e64 s[22:23], 0, v18
	;; [unrolled: 1-line block ×13, first 2 shown]
	s_mov_b64 s[36:37], -1
	v_cmp_gt_i16_e64 s[30:31], 2, v11
	s_barrier
	s_cbranch_vccz .LBB220_193
; %bb.187:
	s_and_saveexec_b64 s[36:37], s[30:31]
	s_cbranch_execz .LBB220_192
; %bb.188:
	v_cmp_ne_u16_e32 vcc, 1, v11
	s_mov_b64 s[38:39], 0
	s_and_saveexec_b64 s[30:31], vcc
	s_xor_b64 s[30:31], exec, s[30:31]
	s_cbranch_execnz .LBB220_287
; %bb.189:
	s_andn2_saveexec_b64 s[30:31], s[30:31]
	s_cbranch_execnz .LBB220_303
.LBB220_190:
	s_or_b64 exec, exec, s[30:31]
	s_and_b64 exec, exec, s[38:39]
	s_cbranch_execz .LBB220_192
.LBB220_191:
	v_sub_u32_e32 v18, v3, v10
	v_mov_b32_e32 v19, 0
	v_lshlrev_b64 v[18:19], 2, v[18:19]
	v_add_co_u32_e32 v18, vcc, v14, v18
	v_addc_co_u32_e32 v19, vcc, v15, v19, vcc
	global_store_dword v[18:19], v57, off
.LBB220_192:
	s_or_b64 exec, exec, s[36:37]
	s_mov_b64 s[36:37], 0
.LBB220_193:
	s_and_b64 vcc, exec, s[36:37]
	s_cbranch_vccz .LBB220_215
; %bb.194:
	v_cmp_gt_i16_e32 vcc, 2, v11
	s_and_saveexec_b64 s[30:31], vcc
	s_cbranch_execz .LBB220_199
; %bb.195:
	v_cmp_ne_u16_e32 vcc, 1, v11
	s_mov_b64 s[38:39], 0
	s_and_saveexec_b64 s[36:37], vcc
	s_xor_b64 s[36:37], exec, s[36:37]
	s_cbranch_execnz .LBB220_304
; %bb.196:
	s_andn2_saveexec_b64 s[0:1], s[36:37]
	s_cbranch_execnz .LBB220_320
.LBB220_197:
	s_or_b64 exec, exec, s[0:1]
	s_and_b64 exec, exec, s[38:39]
	s_cbranch_execz .LBB220_199
.LBB220_198:
	v_sub_u32_e32 v3, v3, v10
	v_lshlrev_b32_e32 v3, 2, v3
	ds_write_b32 v3, v57
.LBB220_199:
	s_or_b64 exec, exec, s[30:31]
	v_cmp_lt_u32_e32 vcc, v0, v7
	s_waitcnt lgkmcnt(0)
	s_barrier
	s_and_saveexec_b64 s[2:3], vcc
	s_cbranch_execz .LBB220_214
; %bb.200:
	v_add_u32_e32 v5, v2, v16
	v_xad_u32 v3, v0, -1, v5
	v_sub_u32_e32 v3, v3, v1
	s_movk_i32 s0, 0x1900
	v_cmp_gt_u32_e64 s[4:5], s0, v3
	s_movk_i32 s0, 0x18ff
	v_cmp_lt_u32_e32 vcc, s0, v3
	v_mov_b32_e32 v4, v0
	s_and_saveexec_b64 s[6:7], vcc
	s_cbranch_execz .LBB220_211
; %bb.201:
	v_sub_u32_e32 v4, v0, v5
	v_add_u32_e32 v1, v4, v1
	v_or_b32_e32 v1, 0xff, v1
	v_cmp_ge_u32_e32 vcc, v1, v0
	s_mov_b64 s[0:1], -1
	v_mov_b32_e32 v4, v0
	s_and_saveexec_b64 s[8:9], vcc
	s_cbranch_execz .LBB220_210
; %bb.202:
	v_lshrrev_b32_e32 v3, 8, v3
	v_add_u32_e32 v4, -1, v3
	v_or_b32_e32 v1, 0x100, v0
	v_lshrrev_b32_e32 v5, 1, v4
	v_add_u32_e32 v17, 1, v5
	v_cmp_lt_u32_e32 vcc, 13, v4
	v_mov_b32_e32 v20, 0
	v_lshlrev_b32_e32 v16, 2, v0
	v_pk_mov_b32 v[4:5], v[0:1], v[0:1] op_sel:[0,1]
	s_and_saveexec_b64 s[10:11], vcc
	s_cbranch_execz .LBB220_206
; %bb.203:
	v_and_b32_e32 v18, -8, v17
	s_mov_b32 s14, 0
	s_mov_b64 s[12:13], 0
	v_mov_b32_e32 v11, 0
	v_mov_b32_e32 v19, v16
	v_pk_mov_b32 v[4:5], v[0:1], v[0:1] op_sel:[0,1]
.LBB220_204:                            ; =>This Inner Loop Header: Depth=1
	v_mov_b32_e32 v10, v4
	v_add_u32_e32 v18, -8, v18
	v_lshlrev_b64 v[52:53], 2, v[10:11]
	v_mov_b32_e32 v10, v5
	ds_read2st64_b32 v[22:23], v19 offset1:4
	s_add_i32 s14, s14, 16
	v_cmp_eq_u32_e32 vcc, 0, v18
	v_lshlrev_b64 v[56:57], 2, v[10:11]
	v_add_u32_e32 v10, 0x200, v4
	s_or_b64 s[12:13], vcc, s[12:13]
	v_add_co_u32_e32 v56, vcc, v14, v56
	v_add_u32_e32 v20, 0x200, v5
	v_mov_b32_e32 v21, v11
	ds_read2st64_b32 v[24:25], v19 offset0:8 offset1:12
	ds_read2st64_b32 v[28:29], v19 offset0:16 offset1:20
	v_add_co_u32_e64 v52, s[0:1], v14, v52
	v_addc_co_u32_e32 v57, vcc, v15, v57, vcc
	v_lshlrev_b64 v[58:59], 2, v[10:11]
	v_lshlrev_b64 v[54:55], 2, v[20:21]
	v_addc_co_u32_e64 v53, s[0:1], v15, v53, s[0:1]
	v_add_u32_e32 v10, 0x400, v4
	v_add_co_u32_e32 v58, vcc, v14, v58
	v_add_u32_e32 v26, 0x400, v5
	v_mov_b32_e32 v27, v11
	ds_read2st64_b32 v[32:33], v19 offset0:24 offset1:28
	v_add_co_u32_e64 v54, s[0:1], v14, v54
	v_addc_co_u32_e32 v59, vcc, v15, v59, vcc
	v_lshlrev_b64 v[60:61], 2, v[10:11]
	ds_read2st64_b32 v[36:37], v19 offset0:32 offset1:36
	ds_read2st64_b32 v[42:43], v19 offset0:40 offset1:44
	;; [unrolled: 1-line block ×4, first 2 shown]
	v_lshlrev_b64 v[26:27], 2, v[26:27]
	v_addc_co_u32_e64 v55, s[0:1], v15, v55, s[0:1]
	v_add_u32_e32 v10, 0x600, v4
	s_waitcnt lgkmcnt(7)
	global_store_dword v[52:53], v22, off
	global_store_dword v[56:57], v23, off
	s_waitcnt lgkmcnt(6)
	global_store_dword v[58:59], v24, off
	global_store_dword v[54:55], v25, off
	v_add_co_u32_e32 v22, vcc, v14, v60
	v_add_u32_e32 v30, 0x600, v5
	v_mov_b32_e32 v31, v11
	v_add_co_u32_e64 v26, s[0:1], v14, v26
	v_addc_co_u32_e32 v23, vcc, v15, v61, vcc
	v_lshlrev_b64 v[24:25], 2, v[10:11]
	v_lshlrev_b64 v[30:31], 2, v[30:31]
	v_addc_co_u32_e64 v27, s[0:1], v15, v27, s[0:1]
	v_add_u32_e32 v10, 0x800, v4
	s_waitcnt lgkmcnt(5)
	global_store_dword v[22:23], v28, off
	global_store_dword v[26:27], v29, off
	v_add_co_u32_e32 v22, vcc, v14, v24
	v_add_u32_e32 v34, 0x800, v5
	v_mov_b32_e32 v35, v11
	v_add_co_u32_e64 v30, s[0:1], v14, v30
	v_addc_co_u32_e32 v23, vcc, v15, v25, vcc
	v_lshlrev_b64 v[24:25], 2, v[10:11]
	v_lshlrev_b64 v[34:35], 2, v[34:35]
	v_addc_co_u32_e64 v31, s[0:1], v15, v31, s[0:1]
	v_add_u32_e32 v10, 0xa00, v4
	;; [unrolled: 12-line block ×4, first 2 shown]
	s_waitcnt lgkmcnt(2)
	global_store_dword v[22:23], v42, off
	global_store_dword v[40:41], v43, off
	v_add_co_u32_e32 v22, vcc, v14, v24
	v_add_u32_e32 v48, 0xe00, v5
	v_mov_b32_e32 v49, v11
	v_add_co_u32_e64 v44, s[0:1], v14, v44
	v_addc_co_u32_e32 v23, vcc, v15, v25, vcc
	v_lshlrev_b64 v[24:25], 2, v[10:11]
	v_lshlrev_b64 v[48:49], 2, v[48:49]
	v_addc_co_u32_e64 v45, s[0:1], v15, v45, s[0:1]
	s_waitcnt lgkmcnt(1)
	global_store_dword v[22:23], v46, off
	global_store_dword v[44:45], v47, off
	v_add_co_u32_e32 v22, vcc, v14, v24
	v_add_u32_e32 v19, 0x4000, v19
	v_add_u32_e32 v5, 0x1000, v5
	v_mov_b32_e32 v20, s14
	v_add_co_u32_e64 v48, s[0:1], v14, v48
	v_add_u32_e32 v4, 0x1000, v4
	v_addc_co_u32_e32 v23, vcc, v15, v25, vcc
	v_addc_co_u32_e64 v49, s[0:1], v15, v49, s[0:1]
	s_waitcnt lgkmcnt(0)
	global_store_dword v[22:23], v50, off
	global_store_dword v[48:49], v51, off
	s_andn2_b64 exec, exec, s[12:13]
	s_cbranch_execnz .LBB220_204
; %bb.205:
	s_or_b64 exec, exec, s[12:13]
.LBB220_206:
	s_or_b64 exec, exec, s[10:11]
	v_and_b32_e32 v1, 7, v17
	v_cmp_ne_u32_e32 vcc, 0, v1
	s_and_saveexec_b64 s[10:11], vcc
	s_cbranch_execz .LBB220_209
; %bb.207:
	v_lshl_or_b32 v16, v20, 10, v16
	s_mov_b64 s[12:13], 0
	v_mov_b32_e32 v11, 0
.LBB220_208:                            ; =>This Inner Loop Header: Depth=1
	ds_read2st64_b32 v[18:19], v16 offset1:4
	v_mov_b32_e32 v10, v4
	v_add_u32_e32 v1, -1, v1
	v_lshlrev_b64 v[20:21], 2, v[10:11]
	v_mov_b32_e32 v10, v5
	v_cmp_eq_u32_e32 vcc, 0, v1
	v_add_co_u32_e64 v20, s[0:1], v14, v20
	v_lshlrev_b64 v[22:23], 2, v[10:11]
	v_add_u32_e32 v4, 0x200, v4
	v_add_u32_e32 v16, 0x800, v16
	;; [unrolled: 1-line block ×3, first 2 shown]
	v_addc_co_u32_e64 v21, s[0:1], v15, v21, s[0:1]
	s_or_b64 s[12:13], vcc, s[12:13]
	v_add_co_u32_e32 v22, vcc, v14, v22
	v_addc_co_u32_e32 v23, vcc, v15, v23, vcc
	s_waitcnt lgkmcnt(0)
	global_store_dword v[20:21], v18, off
	global_store_dword v[22:23], v19, off
	s_andn2_b64 exec, exec, s[12:13]
	s_cbranch_execnz .LBB220_208
.LBB220_209:
	s_or_b64 exec, exec, s[10:11]
	v_add_u32_e32 v1, 1, v3
	v_and_b32_e32 v3, 0x1fffffe, v1
	v_cmp_ne_u32_e32 vcc, v1, v3
	v_lshl_or_b32 v4, v3, 8, v0
	s_orn2_b64 s[0:1], vcc, exec
.LBB220_210:
	s_or_b64 exec, exec, s[8:9]
	s_andn2_b64 s[4:5], s[4:5], exec
	s_and_b64 s[0:1], s[0:1], exec
	s_or_b64 s[4:5], s[4:5], s[0:1]
.LBB220_211:
	s_or_b64 exec, exec, s[6:7]
	s_and_b64 exec, exec, s[4:5]
	s_cbranch_execz .LBB220_214
; %bb.212:
	v_lshlrev_b32_e32 v1, 2, v4
	s_mov_b64 s[0:1], 0
	v_mov_b32_e32 v5, 0
.LBB220_213:                            ; =>This Inner Loop Header: Depth=1
	v_lshlrev_b64 v[10:11], 2, v[4:5]
	ds_read_b32 v3, v1
	v_add_co_u32_e32 v10, vcc, v14, v10
	v_add_u32_e32 v4, 0x100, v4
	v_addc_co_u32_e32 v11, vcc, v15, v11, vcc
	v_cmp_ge_u32_e32 vcc, v4, v7
	v_add_u32_e32 v1, 0x400, v1
	s_or_b64 s[0:1], vcc, s[0:1]
	s_waitcnt lgkmcnt(0)
	global_store_dword v[10:11], v3, off
	s_andn2_b64 exec, exec, s[0:1]
	s_cbranch_execnz .LBB220_213
.LBB220_214:
	s_or_b64 exec, exec, s[2:3]
.LBB220_215:
	s_movk_i32 s0, 0xff
	v_cmp_eq_u32_e32 vcc, s0, v0
	s_and_b64 s[0:1], vcc, s[34:35]
	s_and_saveexec_b64 s[2:3], s[0:1]
	s_cbranch_execz .LBB220_218
; %bb.216:
	v_add_co_u32_e32 v0, vcc, v2, v6
	v_addc_co_u32_e64 v1, s[0:1], 0, 0, vcc
	v_add_co_u32_e32 v0, vcc, v0, v8
	v_mov_b32_e32 v3, 0
	v_addc_co_u32_e32 v1, vcc, v1, v9, vcc
	s_cmpk_lg_i32 s33, 0xf00
	global_store_dwordx2 v3, v[0:1], s[54:55]
	s_cbranch_scc1 .LBB220_218
; %bb.217:
	v_lshlrev_b64 v[0:1], 2, v[2:3]
	v_add_co_u32_e32 v0, vcc, v12, v0
	v_addc_co_u32_e32 v1, vcc, v13, v1, vcc
	global_store_dword v[0:1], v38, off offset:-4
.LBB220_218:
	s_endpgm
.LBB220_219:
                                        ; implicit-def: $sgpr8_sgpr9
                                        ; implicit-def: $vgpr60
                                        ; implicit-def: $vgpr27
                                        ; implicit-def: $vgpr26
                                        ; implicit-def: $vgpr29
                                        ; implicit-def: $vgpr28
                                        ; implicit-def: $vgpr31
                                        ; implicit-def: $vgpr30
                                        ; implicit-def: $vgpr33
                                        ; implicit-def: $vgpr32
                                        ; implicit-def: $vgpr35
                                        ; implicit-def: $vgpr34
                                        ; implicit-def: $vgpr37
                                        ; implicit-def: $vgpr36
                                        ; implicit-def: $vgpr39
	s_cbranch_execz .LBB220_109
.LBB220_220:
	v_mad_u32_u24 v26, v0, 15, 14
	v_mov_b32_e32 v27, 0
	s_waitcnt vmcnt(0) lgkmcnt(0)
	v_lshlrev_b32_e32 v4, 2, v0
	v_mul_u32_u24_e32 v2, 15, v0
	v_cmp_gt_u64_e32 vcc, s[2:3], v[26:27]
	v_mov_b32_e32 v60, 0
	ds_write_b32 v4, v1
	s_and_saveexec_b64 s[4:5], vcc
	s_cbranch_execz .LBB220_222
; %bb.221:
	v_cvt_i32_f32_e32 v3, v13
	v_cvt_i32_f32_e32 v5, v1
	s_mov_b32 s7, 0x66666667
	v_mul_hi_i32 v3, v3, s7
	v_lshrrev_b32_e32 v6, 31, v3
	v_ashrrev_i32_e32 v3, 2, v3
	v_mul_hi_i32 v5, v5, s7
	v_add_u32_e32 v3, v3, v6
	v_lshrrev_b32_e32 v6, 31, v5
	v_ashrrev_i32_e32 v5, 2, v5
	v_add_u32_e32 v5, v5, v6
	v_cmp_ne_u32_e32 vcc, v3, v5
	v_cndmask_b32_e64 v60, 0, 1, vcc
.LBB220_222:
	s_or_b64 exec, exec, s[4:5]
	v_add_u32_e32 v26, 13, v2
	v_cmp_gt_u64_e32 vcc, s[2:3], v[26:27]
	s_and_saveexec_b64 s[4:5], vcc
	s_cbranch_execz .LBB220_224
; %bb.223:
	v_cvt_i32_f32_e32 v3, v12
	v_cvt_i32_f32_e32 v5, v13
	s_mov_b32 s7, 0x66666667
	v_mul_hi_i32 v3, v3, s7
	v_lshrrev_b32_e32 v6, 31, v3
	v_ashrrev_i32_e32 v3, 2, v3
	v_mul_hi_i32 v5, v5, s7
	v_add_u32_e32 v3, v3, v6
	v_lshrrev_b32_e32 v6, 31, v5
	v_ashrrev_i32_e32 v5, 2, v5
	v_add_u32_e32 v5, v5, v6
	v_cmp_ne_u32_e32 vcc, v3, v5
	v_cndmask_b32_e64 v27, 0, 1, vcc
.LBB220_224:
	s_or_b64 exec, exec, s[4:5]
	v_add_u32_e32 v28, 12, v2
	v_mov_b32_e32 v29, 0
	v_cmp_gt_u64_e32 vcc, s[2:3], v[28:29]
	v_mov_b32_e32 v26, 0
	s_and_saveexec_b64 s[4:5], vcc
	s_cbranch_execz .LBB220_226
; %bb.225:
	v_cvt_i32_f32_e32 v3, v15
	v_cvt_i32_f32_e32 v5, v12
	s_mov_b32 s7, 0x66666667
	v_mul_hi_i32 v3, v3, s7
	v_lshrrev_b32_e32 v6, 31, v3
	v_ashrrev_i32_e32 v3, 2, v3
	v_mul_hi_i32 v5, v5, s7
	v_add_u32_e32 v3, v3, v6
	v_lshrrev_b32_e32 v6, 31, v5
	v_ashrrev_i32_e32 v5, 2, v5
	v_add_u32_e32 v5, v5, v6
	v_cmp_ne_u32_e32 vcc, v3, v5
	v_cndmask_b32_e64 v26, 0, 1, vcc
.LBB220_226:
	s_or_b64 exec, exec, s[4:5]
	v_add_u32_e32 v28, 11, v2
	v_cmp_gt_u64_e32 vcc, s[2:3], v[28:29]
	s_and_saveexec_b64 s[4:5], vcc
	s_cbranch_execz .LBB220_228
; %bb.227:
	v_cvt_i32_f32_e32 v3, v14
	v_cvt_i32_f32_e32 v5, v15
	s_mov_b32 s7, 0x66666667
	v_mul_hi_i32 v3, v3, s7
	v_lshrrev_b32_e32 v6, 31, v3
	v_ashrrev_i32_e32 v3, 2, v3
	v_mul_hi_i32 v5, v5, s7
	v_add_u32_e32 v3, v3, v6
	v_lshrrev_b32_e32 v6, 31, v5
	v_ashrrev_i32_e32 v5, 2, v5
	v_add_u32_e32 v5, v5, v6
	v_cmp_ne_u32_e32 vcc, v3, v5
	v_cndmask_b32_e64 v29, 0, 1, vcc
.LBB220_228:
	s_or_b64 exec, exec, s[4:5]
	v_add_u32_e32 v30, 10, v2
	v_mov_b32_e32 v31, 0
	v_cmp_gt_u64_e32 vcc, s[2:3], v[30:31]
	v_mov_b32_e32 v28, 0
	;; [unrolled: 42-line block ×6, first 2 shown]
	s_and_saveexec_b64 s[4:5], vcc
	s_cbranch_execz .LBB220_246
; %bb.245:
	v_cvt_i32_f32_e32 v3, v25
	v_cvt_i32_f32_e32 v5, v22
	s_mov_b32 s7, 0x66666667
	v_mul_hi_i32 v3, v3, s7
	v_lshrrev_b32_e32 v6, 31, v3
	v_ashrrev_i32_e32 v3, 2, v3
	v_mul_hi_i32 v5, v5, s7
	v_add_u32_e32 v3, v3, v6
	v_lshrrev_b32_e32 v6, 31, v5
	v_ashrrev_i32_e32 v5, 2, v5
	v_add_u32_e32 v5, v5, v6
	v_cmp_ne_u32_e32 vcc, v3, v5
	v_cndmask_b32_e64 v36, 0, 1, vcc
.LBB220_246:
	s_or_b64 exec, exec, s[4:5]
	v_add_u32_e32 v38, 1, v2
	v_cmp_gt_u64_e32 vcc, s[2:3], v[38:39]
	s_and_saveexec_b64 s[4:5], vcc
	s_cbranch_execz .LBB220_248
; %bb.247:
	v_cvt_i32_f32_e32 v3, v24
	v_cvt_i32_f32_e32 v5, v25
	s_mov_b32 s7, 0x66666667
	v_mul_hi_i32 v3, v3, s7
	v_lshrrev_b32_e32 v6, 31, v3
	v_ashrrev_i32_e32 v3, 2, v3
	v_mul_hi_i32 v5, v5, s7
	v_add_u32_e32 v3, v3, v6
	v_lshrrev_b32_e32 v6, 31, v5
	v_ashrrev_i32_e32 v5, 2, v5
	v_add_u32_e32 v5, v5, v6
	v_cmp_ne_u32_e32 vcc, v3, v5
	v_cndmask_b32_e64 v39, 0, 1, vcc
.LBB220_248:
	s_or_b64 exec, exec, s[4:5]
	v_cmp_ne_u32_e32 vcc, 0, v0
	s_waitcnt lgkmcnt(0)
	s_barrier
	s_waitcnt lgkmcnt(0)
                                        ; implicit-def: $sgpr8_sgpr9
	s_and_saveexec_b64 s[4:5], vcc
	s_cbranch_execz .LBB220_252
; %bb.249:
	v_mov_b32_e32 v3, 0
	v_cmp_gt_u64_e32 vcc, s[2:3], v[2:3]
	s_mov_b64 s[8:9], 0
	s_and_saveexec_b64 s[2:3], vcc
	s_cbranch_execz .LBB220_251
; %bb.250:
	v_add_u32_e32 v2, -4, v4
	ds_read_b32 v2, v2
	v_cvt_i32_f32_e32 v3, v24
	s_mov_b32 s7, 0x66666667
	v_mul_hi_i32 v3, v3, s7
	s_waitcnt lgkmcnt(0)
	v_cvt_i32_f32_e32 v2, v2
	v_lshrrev_b32_e32 v4, 31, v3
	v_ashrrev_i32_e32 v3, 2, v3
	v_add_u32_e32 v3, v3, v4
	v_mul_hi_i32 v2, v2, s7
	v_lshrrev_b32_e32 v5, 31, v2
	v_ashrrev_i32_e32 v2, 2, v2
	v_add_u32_e32 v2, v2, v5
	v_cmp_ne_u32_e32 vcc, v2, v3
	s_and_b64 s[8:9], vcc, exec
.LBB220_251:
	s_or_b64 exec, exec, s[2:3]
	s_and_b64 s[8:9], s[8:9], exec
	s_or_b64 s[0:1], s[0:1], exec
.LBB220_252:
	s_or_b64 exec, exec, s[4:5]
	s_mov_b32 s10, 1
	v_mov_b32_e32 v62, s10
	s_and_saveexec_b64 s[2:3], s[0:1]
	s_cbranch_execnz .LBB220_111
	s_branch .LBB220_112
.LBB220_253:
	s_and_saveexec_b64 s[40:41], s[28:29]
	s_cbranch_execnz .LBB220_321
; %bb.254:
	s_or_b64 exec, exec, s[40:41]
	s_and_saveexec_b64 s[40:41], s[26:27]
	s_cbranch_execnz .LBB220_322
.LBB220_255:
	s_or_b64 exec, exec, s[40:41]
	s_and_saveexec_b64 s[40:41], s[24:25]
	s_cbranch_execnz .LBB220_323
.LBB220_256:
	s_or_b64 exec, exec, s[40:41]
	s_and_saveexec_b64 s[40:41], s[22:23]
	s_cbranch_execnz .LBB220_324
.LBB220_257:
	s_or_b64 exec, exec, s[40:41]
	s_and_saveexec_b64 s[40:41], s[20:21]
	s_cbranch_execnz .LBB220_325
.LBB220_258:
	s_or_b64 exec, exec, s[40:41]
	s_and_saveexec_b64 s[40:41], s[18:19]
	s_cbranch_execnz .LBB220_326
.LBB220_259:
	s_or_b64 exec, exec, s[40:41]
	s_and_saveexec_b64 s[40:41], s[16:17]
	s_cbranch_execnz .LBB220_327
.LBB220_260:
	s_or_b64 exec, exec, s[40:41]
	s_and_saveexec_b64 s[40:41], s[14:15]
	s_cbranch_execnz .LBB220_328
.LBB220_261:
	s_or_b64 exec, exec, s[40:41]
	s_and_saveexec_b64 s[40:41], s[12:13]
	s_cbranch_execnz .LBB220_329
.LBB220_262:
	s_or_b64 exec, exec, s[40:41]
	s_and_saveexec_b64 s[40:41], s[10:11]
	s_cbranch_execnz .LBB220_330
.LBB220_263:
	s_or_b64 exec, exec, s[40:41]
	s_and_saveexec_b64 s[40:41], s[8:9]
	s_cbranch_execnz .LBB220_331
.LBB220_264:
	s_or_b64 exec, exec, s[40:41]
	s_and_saveexec_b64 s[40:41], s[6:7]
	s_cbranch_execnz .LBB220_332
.LBB220_265:
	s_or_b64 exec, exec, s[40:41]
	s_and_saveexec_b64 s[40:41], s[4:5]
	s_cbranch_execnz .LBB220_333
.LBB220_266:
	s_or_b64 exec, exec, s[40:41]
	s_and_saveexec_b64 s[40:41], s[2:3]
	s_cbranch_execz .LBB220_268
.LBB220_267:
	v_sub_u32_e32 v74, v4, v6
	v_mov_b32_e32 v75, 0
	v_lshlrev_b64 v[74:75], 2, v[74:75]
	v_add_co_u32_e32 v74, vcc, v7, v74
	v_addc_co_u32_e32 v75, vcc, v61, v75, vcc
	global_store_dword v[74:75], v13, off
.LBB220_268:
	s_or_b64 exec, exec, s[40:41]
	s_and_b64 s[40:41], s[0:1], exec
	s_andn2_saveexec_b64 s[30:31], s[30:31]
	s_cbranch_execz .LBB220_161
.LBB220_269:
	v_sub_u32_e32 v74, v5, v6
	v_mov_b32_e32 v75, 0
	v_lshlrev_b64 v[76:77], 2, v[74:75]
	v_add_co_u32_e32 v76, vcc, v7, v76
	v_addc_co_u32_e32 v77, vcc, v61, v77, vcc
	v_sub_u32_e32 v74, v53, v6
	global_store_dword v[76:77], v24, off
	v_lshlrev_b64 v[76:77], 2, v[74:75]
	v_add_co_u32_e32 v76, vcc, v7, v76
	v_addc_co_u32_e32 v77, vcc, v61, v77, vcc
	v_sub_u32_e32 v74, v52, v6
	global_store_dword v[76:77], v25, off
	;; [unrolled: 5-line block ×12, first 2 shown]
	v_lshlrev_b64 v[76:77], 2, v[74:75]
	v_add_co_u32_e32 v76, vcc, v7, v76
	v_sub_u32_e32 v74, v4, v6
	v_addc_co_u32_e32 v77, vcc, v61, v77, vcc
	v_lshlrev_b64 v[74:75], 2, v[74:75]
	v_add_co_u32_e32 v74, vcc, v7, v74
	v_addc_co_u32_e32 v75, vcc, v61, v75, vcc
	s_or_b64 s[40:41], s[40:41], exec
	global_store_dword v[76:77], v12, off
	global_store_dword v[74:75], v13, off
	s_or_b64 exec, exec, s[30:31]
	s_and_b64 exec, exec, s[40:41]
	s_cbranch_execnz .LBB220_162
	s_branch .LBB220_163
.LBB220_270:
	s_and_saveexec_b64 s[40:41], s[28:29]
	s_cbranch_execnz .LBB220_334
; %bb.271:
	s_or_b64 exec, exec, s[40:41]
	s_and_saveexec_b64 s[28:29], s[26:27]
	s_cbranch_execnz .LBB220_335
.LBB220_272:
	s_or_b64 exec, exec, s[28:29]
	s_and_saveexec_b64 s[26:27], s[24:25]
	s_cbranch_execnz .LBB220_336
.LBB220_273:
	s_or_b64 exec, exec, s[26:27]
	s_and_saveexec_b64 s[24:25], s[22:23]
	s_cbranch_execnz .LBB220_337
.LBB220_274:
	s_or_b64 exec, exec, s[24:25]
	s_and_saveexec_b64 s[22:23], s[20:21]
	s_cbranch_execnz .LBB220_338
.LBB220_275:
	s_or_b64 exec, exec, s[22:23]
	s_and_saveexec_b64 s[20:21], s[18:19]
	s_cbranch_execnz .LBB220_339
.LBB220_276:
	s_or_b64 exec, exec, s[20:21]
	s_and_saveexec_b64 s[18:19], s[16:17]
	s_cbranch_execnz .LBB220_340
.LBB220_277:
	s_or_b64 exec, exec, s[18:19]
	s_and_saveexec_b64 s[16:17], s[14:15]
	s_cbranch_execnz .LBB220_341
.LBB220_278:
	s_or_b64 exec, exec, s[16:17]
	s_and_saveexec_b64 s[14:15], s[12:13]
	s_cbranch_execnz .LBB220_342
.LBB220_279:
	s_or_b64 exec, exec, s[14:15]
	s_and_saveexec_b64 s[12:13], s[10:11]
	s_cbranch_execnz .LBB220_343
.LBB220_280:
	s_or_b64 exec, exec, s[12:13]
	s_and_saveexec_b64 s[10:11], s[8:9]
	s_cbranch_execnz .LBB220_344
.LBB220_281:
	s_or_b64 exec, exec, s[10:11]
	s_and_saveexec_b64 s[8:9], s[6:7]
	s_cbranch_execnz .LBB220_345
.LBB220_282:
	s_or_b64 exec, exec, s[8:9]
	s_and_saveexec_b64 s[6:7], s[4:5]
	s_cbranch_execnz .LBB220_346
.LBB220_283:
	s_or_b64 exec, exec, s[6:7]
	s_and_saveexec_b64 s[4:5], s[2:3]
	s_cbranch_execz .LBB220_285
.LBB220_284:
	v_sub_u32_e32 v12, v4, v6
	v_lshlrev_b32_e32 v12, 2, v12
	ds_write_b32 v12, v13
.LBB220_285:
	s_or_b64 exec, exec, s[4:5]
	s_and_b64 s[40:41], s[0:1], exec
                                        ; implicit-def: $vgpr24_vgpr25
                                        ; implicit-def: $vgpr22_vgpr23
                                        ; implicit-def: $vgpr20_vgpr21
                                        ; implicit-def: $vgpr18_vgpr19
                                        ; implicit-def: $vgpr16_vgpr17
                                        ; implicit-def: $vgpr14_vgpr15
                                        ; implicit-def: $vgpr12_vgpr13
	s_andn2_saveexec_b64 s[0:1], s[38:39]
	s_cbranch_execz .LBB220_168
.LBB220_286:
	v_sub_u32_e32 v72, v5, v6
	v_lshlrev_b32_e32 v72, 2, v72
	ds_write_b32 v72, v24
	v_sub_u32_e32 v24, v53, v6
	v_lshlrev_b32_e32 v24, 2, v24
	ds_write_b32 v24, v25
	;; [unrolled: 3-line block ×13, first 2 shown]
	v_sub_u32_e32 v12, v4, v6
	v_lshlrev_b32_e32 v12, 2, v12
	s_or_b64 s[40:41], s[40:41], exec
	ds_write_b32 v12, v13
	s_or_b64 exec, exec, s[0:1]
	s_and_b64 exec, exec, s[40:41]
	s_cbranch_execnz .LBB220_169
	s_branch .LBB220_170
.LBB220_287:
	s_and_saveexec_b64 s[38:39], s[28:29]
	s_cbranch_execnz .LBB220_347
; %bb.288:
	s_or_b64 exec, exec, s[38:39]
	s_and_saveexec_b64 s[38:39], s[26:27]
	s_cbranch_execnz .LBB220_348
.LBB220_289:
	s_or_b64 exec, exec, s[38:39]
	s_and_saveexec_b64 s[38:39], s[24:25]
	s_cbranch_execnz .LBB220_349
.LBB220_290:
	s_or_b64 exec, exec, s[38:39]
	s_and_saveexec_b64 s[38:39], s[22:23]
	s_cbranch_execnz .LBB220_350
.LBB220_291:
	s_or_b64 exec, exec, s[38:39]
	s_and_saveexec_b64 s[38:39], s[20:21]
	s_cbranch_execnz .LBB220_351
.LBB220_292:
	s_or_b64 exec, exec, s[38:39]
	s_and_saveexec_b64 s[38:39], s[18:19]
	s_cbranch_execnz .LBB220_352
.LBB220_293:
	s_or_b64 exec, exec, s[38:39]
	s_and_saveexec_b64 s[38:39], s[16:17]
	s_cbranch_execnz .LBB220_353
.LBB220_294:
	s_or_b64 exec, exec, s[38:39]
	s_and_saveexec_b64 s[38:39], s[14:15]
	s_cbranch_execnz .LBB220_354
.LBB220_295:
	s_or_b64 exec, exec, s[38:39]
	s_and_saveexec_b64 s[38:39], s[12:13]
	s_cbranch_execnz .LBB220_355
.LBB220_296:
	s_or_b64 exec, exec, s[38:39]
	s_and_saveexec_b64 s[38:39], s[10:11]
	s_cbranch_execnz .LBB220_356
.LBB220_297:
	s_or_b64 exec, exec, s[38:39]
	s_and_saveexec_b64 s[38:39], s[8:9]
	s_cbranch_execnz .LBB220_357
.LBB220_298:
	s_or_b64 exec, exec, s[38:39]
	s_and_saveexec_b64 s[38:39], s[6:7]
	s_cbranch_execnz .LBB220_358
.LBB220_299:
	s_or_b64 exec, exec, s[38:39]
	s_and_saveexec_b64 s[38:39], s[4:5]
	s_cbranch_execnz .LBB220_359
.LBB220_300:
	s_or_b64 exec, exec, s[38:39]
	s_and_saveexec_b64 s[38:39], s[2:3]
	s_cbranch_execz .LBB220_302
.LBB220_301:
	v_sub_u32_e32 v18, v4, v10
	v_mov_b32_e32 v19, 0
	v_lshlrev_b64 v[18:19], 2, v[18:19]
	v_add_co_u32_e32 v18, vcc, v14, v18
	v_addc_co_u32_e32 v19, vcc, v15, v19, vcc
	global_store_dword v[18:19], v54, off
.LBB220_302:
	s_or_b64 exec, exec, s[38:39]
	s_and_b64 s[38:39], s[0:1], exec
	s_andn2_saveexec_b64 s[30:31], s[30:31]
	s_cbranch_execz .LBB220_190
.LBB220_303:
	v_sub_u32_e32 v18, v5, v10
	v_mov_b32_e32 v19, 0
	v_lshlrev_b64 v[20:21], 2, v[18:19]
	v_add_co_u32_e32 v20, vcc, v14, v20
	v_addc_co_u32_e32 v21, vcc, v15, v21, vcc
	v_sub_u32_e32 v18, v53, v10
	global_store_dword v[20:21], v71, off
	v_lshlrev_b64 v[20:21], 2, v[18:19]
	v_add_co_u32_e32 v20, vcc, v14, v20
	v_addc_co_u32_e32 v21, vcc, v15, v21, vcc
	v_sub_u32_e32 v18, v52, v10
	global_store_dword v[20:21], v70, off
	;; [unrolled: 5-line block ×12, first 2 shown]
	v_lshlrev_b64 v[20:21], 2, v[18:19]
	v_add_co_u32_e32 v20, vcc, v14, v20
	v_sub_u32_e32 v18, v4, v10
	v_addc_co_u32_e32 v21, vcc, v15, v21, vcc
	v_lshlrev_b64 v[18:19], 2, v[18:19]
	v_add_co_u32_e32 v18, vcc, v14, v18
	v_addc_co_u32_e32 v19, vcc, v15, v19, vcc
	s_or_b64 s[38:39], s[38:39], exec
	global_store_dword v[20:21], v55, off
	global_store_dword v[18:19], v54, off
	s_or_b64 exec, exec, s[30:31]
	s_and_b64 exec, exec, s[38:39]
	s_cbranch_execnz .LBB220_191
	s_branch .LBB220_192
.LBB220_304:
	s_and_saveexec_b64 s[38:39], s[28:29]
	s_cbranch_execnz .LBB220_360
; %bb.305:
	s_or_b64 exec, exec, s[38:39]
	s_and_saveexec_b64 s[28:29], s[26:27]
	s_cbranch_execnz .LBB220_361
.LBB220_306:
	s_or_b64 exec, exec, s[28:29]
	s_and_saveexec_b64 s[26:27], s[24:25]
	s_cbranch_execnz .LBB220_362
.LBB220_307:
	s_or_b64 exec, exec, s[26:27]
	s_and_saveexec_b64 s[24:25], s[22:23]
	s_cbranch_execnz .LBB220_363
.LBB220_308:
	s_or_b64 exec, exec, s[24:25]
	s_and_saveexec_b64 s[22:23], s[20:21]
	s_cbranch_execnz .LBB220_364
.LBB220_309:
	s_or_b64 exec, exec, s[22:23]
	s_and_saveexec_b64 s[20:21], s[18:19]
	s_cbranch_execnz .LBB220_365
.LBB220_310:
	s_or_b64 exec, exec, s[20:21]
	s_and_saveexec_b64 s[18:19], s[16:17]
	s_cbranch_execnz .LBB220_366
.LBB220_311:
	s_or_b64 exec, exec, s[18:19]
	s_and_saveexec_b64 s[16:17], s[14:15]
	s_cbranch_execnz .LBB220_367
.LBB220_312:
	s_or_b64 exec, exec, s[16:17]
	s_and_saveexec_b64 s[14:15], s[12:13]
	s_cbranch_execnz .LBB220_368
.LBB220_313:
	s_or_b64 exec, exec, s[14:15]
	s_and_saveexec_b64 s[12:13], s[10:11]
	s_cbranch_execnz .LBB220_369
.LBB220_314:
	s_or_b64 exec, exec, s[12:13]
	s_and_saveexec_b64 s[10:11], s[8:9]
	s_cbranch_execnz .LBB220_370
.LBB220_315:
	s_or_b64 exec, exec, s[10:11]
	s_and_saveexec_b64 s[8:9], s[6:7]
	s_cbranch_execnz .LBB220_371
.LBB220_316:
	s_or_b64 exec, exec, s[8:9]
	s_and_saveexec_b64 s[6:7], s[4:5]
	s_cbranch_execnz .LBB220_372
.LBB220_317:
	s_or_b64 exec, exec, s[6:7]
	s_and_saveexec_b64 s[4:5], s[2:3]
	s_cbranch_execz .LBB220_319
.LBB220_318:
	v_sub_u32_e32 v4, v4, v10
	v_lshlrev_b32_e32 v4, 2, v4
	ds_write_b32 v4, v54
.LBB220_319:
	s_or_b64 exec, exec, s[4:5]
	s_and_b64 s[38:39], s[0:1], exec
                                        ; implicit-def: $vgpr54
                                        ; implicit-def: $vgpr55
                                        ; implicit-def: $vgpr56
                                        ; implicit-def: $vgpr58
                                        ; implicit-def: $vgpr59
                                        ; implicit-def: $vgpr63
                                        ; implicit-def: $vgpr64
                                        ; implicit-def: $vgpr65
                                        ; implicit-def: $vgpr66
                                        ; implicit-def: $vgpr67
                                        ; implicit-def: $vgpr68
                                        ; implicit-def: $vgpr69
                                        ; implicit-def: $vgpr70
                                        ; implicit-def: $vgpr71
                                        ; implicit-def: $vgpr53
                                        ; implicit-def: $vgpr52
                                        ; implicit-def: $vgpr51
                                        ; implicit-def: $vgpr50
                                        ; implicit-def: $vgpr49
                                        ; implicit-def: $vgpr48
                                        ; implicit-def: $vgpr47
                                        ; implicit-def: $vgpr46
                                        ; implicit-def: $vgpr45
                                        ; implicit-def: $vgpr44
                                        ; implicit-def: $vgpr43
                                        ; implicit-def: $vgpr42
                                        ; implicit-def: $vgpr4
	s_andn2_saveexec_b64 s[0:1], s[36:37]
	s_cbranch_execz .LBB220_197
.LBB220_320:
	v_sub_u32_e32 v5, v5, v10
	v_lshlrev_b32_e32 v5, 2, v5
	ds_write_b32 v5, v71
	v_sub_u32_e32 v5, v53, v10
	v_lshlrev_b32_e32 v5, 2, v5
	ds_write_b32 v5, v70
	;; [unrolled: 3-line block ×12, first 2 shown]
	v_sub_u32_e32 v5, v42, v10
	v_sub_u32_e32 v4, v4, v10
	v_lshlrev_b32_e32 v5, 2, v5
	v_lshlrev_b32_e32 v4, 2, v4
	s_or_b64 s[38:39], s[38:39], exec
	ds_write_b32 v5, v55
	ds_write_b32 v4, v54
	s_or_b64 exec, exec, s[0:1]
	s_and_b64 exec, exec, s[38:39]
	s_cbranch_execnz .LBB220_198
	s_branch .LBB220_199
.LBB220_321:
	v_sub_u32_e32 v74, v5, v6
	v_mov_b32_e32 v75, 0
	v_lshlrev_b64 v[74:75], 2, v[74:75]
	v_add_co_u32_e32 v74, vcc, v7, v74
	v_addc_co_u32_e32 v75, vcc, v61, v75, vcc
	global_store_dword v[74:75], v24, off
	s_or_b64 exec, exec, s[40:41]
	s_and_saveexec_b64 s[40:41], s[26:27]
	s_cbranch_execz .LBB220_255
.LBB220_322:
	v_sub_u32_e32 v74, v53, v6
	v_mov_b32_e32 v75, 0
	v_lshlrev_b64 v[74:75], 2, v[74:75]
	v_add_co_u32_e32 v74, vcc, v7, v74
	v_addc_co_u32_e32 v75, vcc, v61, v75, vcc
	global_store_dword v[74:75], v25, off
	s_or_b64 exec, exec, s[40:41]
	s_and_saveexec_b64 s[40:41], s[24:25]
	s_cbranch_execz .LBB220_256
.LBB220_323:
	v_sub_u32_e32 v74, v52, v6
	v_mov_b32_e32 v75, 0
	v_lshlrev_b64 v[74:75], 2, v[74:75]
	v_add_co_u32_e32 v74, vcc, v7, v74
	v_addc_co_u32_e32 v75, vcc, v61, v75, vcc
	global_store_dword v[74:75], v22, off
	s_or_b64 exec, exec, s[40:41]
	s_and_saveexec_b64 s[40:41], s[22:23]
	s_cbranch_execz .LBB220_257
.LBB220_324:
	v_sub_u32_e32 v74, v51, v6
	v_mov_b32_e32 v75, 0
	v_lshlrev_b64 v[74:75], 2, v[74:75]
	v_add_co_u32_e32 v74, vcc, v7, v74
	v_addc_co_u32_e32 v75, vcc, v61, v75, vcc
	global_store_dword v[74:75], v23, off
	s_or_b64 exec, exec, s[40:41]
	s_and_saveexec_b64 s[40:41], s[20:21]
	s_cbranch_execz .LBB220_258
.LBB220_325:
	v_sub_u32_e32 v74, v50, v6
	v_mov_b32_e32 v75, 0
	v_lshlrev_b64 v[74:75], 2, v[74:75]
	v_add_co_u32_e32 v74, vcc, v7, v74
	v_addc_co_u32_e32 v75, vcc, v61, v75, vcc
	global_store_dword v[74:75], v20, off
	s_or_b64 exec, exec, s[40:41]
	s_and_saveexec_b64 s[40:41], s[18:19]
	s_cbranch_execz .LBB220_259
.LBB220_326:
	v_sub_u32_e32 v74, v49, v6
	v_mov_b32_e32 v75, 0
	v_lshlrev_b64 v[74:75], 2, v[74:75]
	v_add_co_u32_e32 v74, vcc, v7, v74
	v_addc_co_u32_e32 v75, vcc, v61, v75, vcc
	global_store_dword v[74:75], v21, off
	s_or_b64 exec, exec, s[40:41]
	s_and_saveexec_b64 s[40:41], s[16:17]
	s_cbranch_execz .LBB220_260
.LBB220_327:
	v_sub_u32_e32 v74, v48, v6
	v_mov_b32_e32 v75, 0
	v_lshlrev_b64 v[74:75], 2, v[74:75]
	v_add_co_u32_e32 v74, vcc, v7, v74
	v_addc_co_u32_e32 v75, vcc, v61, v75, vcc
	global_store_dword v[74:75], v18, off
	s_or_b64 exec, exec, s[40:41]
	s_and_saveexec_b64 s[40:41], s[14:15]
	s_cbranch_execz .LBB220_261
.LBB220_328:
	v_sub_u32_e32 v74, v47, v6
	v_mov_b32_e32 v75, 0
	v_lshlrev_b64 v[74:75], 2, v[74:75]
	v_add_co_u32_e32 v74, vcc, v7, v74
	v_addc_co_u32_e32 v75, vcc, v61, v75, vcc
	global_store_dword v[74:75], v19, off
	s_or_b64 exec, exec, s[40:41]
	s_and_saveexec_b64 s[40:41], s[12:13]
	s_cbranch_execz .LBB220_262
.LBB220_329:
	v_sub_u32_e32 v74, v46, v6
	v_mov_b32_e32 v75, 0
	v_lshlrev_b64 v[74:75], 2, v[74:75]
	v_add_co_u32_e32 v74, vcc, v7, v74
	v_addc_co_u32_e32 v75, vcc, v61, v75, vcc
	global_store_dword v[74:75], v16, off
	s_or_b64 exec, exec, s[40:41]
	s_and_saveexec_b64 s[40:41], s[10:11]
	s_cbranch_execz .LBB220_263
.LBB220_330:
	v_sub_u32_e32 v74, v45, v6
	v_mov_b32_e32 v75, 0
	v_lshlrev_b64 v[74:75], 2, v[74:75]
	v_add_co_u32_e32 v74, vcc, v7, v74
	v_addc_co_u32_e32 v75, vcc, v61, v75, vcc
	global_store_dword v[74:75], v17, off
	s_or_b64 exec, exec, s[40:41]
	s_and_saveexec_b64 s[40:41], s[8:9]
	s_cbranch_execz .LBB220_264
.LBB220_331:
	v_sub_u32_e32 v74, v44, v6
	v_mov_b32_e32 v75, 0
	v_lshlrev_b64 v[74:75], 2, v[74:75]
	v_add_co_u32_e32 v74, vcc, v7, v74
	v_addc_co_u32_e32 v75, vcc, v61, v75, vcc
	global_store_dword v[74:75], v14, off
	s_or_b64 exec, exec, s[40:41]
	s_and_saveexec_b64 s[40:41], s[6:7]
	s_cbranch_execz .LBB220_265
.LBB220_332:
	v_sub_u32_e32 v74, v43, v6
	v_mov_b32_e32 v75, 0
	v_lshlrev_b64 v[74:75], 2, v[74:75]
	v_add_co_u32_e32 v74, vcc, v7, v74
	v_addc_co_u32_e32 v75, vcc, v61, v75, vcc
	global_store_dword v[74:75], v15, off
	s_or_b64 exec, exec, s[40:41]
	s_and_saveexec_b64 s[40:41], s[4:5]
	s_cbranch_execz .LBB220_266
.LBB220_333:
	v_sub_u32_e32 v74, v42, v6
	v_mov_b32_e32 v75, 0
	v_lshlrev_b64 v[74:75], 2, v[74:75]
	v_add_co_u32_e32 v74, vcc, v7, v74
	v_addc_co_u32_e32 v75, vcc, v61, v75, vcc
	global_store_dword v[74:75], v12, off
	s_or_b64 exec, exec, s[40:41]
	s_and_saveexec_b64 s[40:41], s[2:3]
	s_cbranch_execnz .LBB220_267
	s_branch .LBB220_268
.LBB220_334:
	v_sub_u32_e32 v72, v5, v6
	v_lshlrev_b32_e32 v72, 2, v72
	ds_write_b32 v72, v24
	s_or_b64 exec, exec, s[40:41]
	s_and_saveexec_b64 s[28:29], s[26:27]
	s_cbranch_execz .LBB220_272
.LBB220_335:
	v_sub_u32_e32 v24, v53, v6
	v_lshlrev_b32_e32 v24, 2, v24
	ds_write_b32 v24, v25
	s_or_b64 exec, exec, s[28:29]
	s_and_saveexec_b64 s[26:27], s[24:25]
	s_cbranch_execz .LBB220_273
.LBB220_336:
	v_sub_u32_e32 v24, v52, v6
	v_lshlrev_b32_e32 v24, 2, v24
	ds_write_b32 v24, v22
	s_or_b64 exec, exec, s[26:27]
	s_and_saveexec_b64 s[24:25], s[22:23]
	s_cbranch_execz .LBB220_274
.LBB220_337:
	v_sub_u32_e32 v22, v51, v6
	v_lshlrev_b32_e32 v22, 2, v22
	ds_write_b32 v22, v23
	s_or_b64 exec, exec, s[24:25]
	s_and_saveexec_b64 s[22:23], s[20:21]
	s_cbranch_execz .LBB220_275
.LBB220_338:
	v_sub_u32_e32 v22, v50, v6
	v_lshlrev_b32_e32 v22, 2, v22
	ds_write_b32 v22, v20
	s_or_b64 exec, exec, s[22:23]
	s_and_saveexec_b64 s[20:21], s[18:19]
	s_cbranch_execz .LBB220_276
.LBB220_339:
	v_sub_u32_e32 v20, v49, v6
	v_lshlrev_b32_e32 v20, 2, v20
	ds_write_b32 v20, v21
	s_or_b64 exec, exec, s[20:21]
	s_and_saveexec_b64 s[18:19], s[16:17]
	s_cbranch_execz .LBB220_277
.LBB220_340:
	v_sub_u32_e32 v20, v48, v6
	v_lshlrev_b32_e32 v20, 2, v20
	ds_write_b32 v20, v18
	s_or_b64 exec, exec, s[18:19]
	s_and_saveexec_b64 s[16:17], s[14:15]
	s_cbranch_execz .LBB220_278
.LBB220_341:
	v_sub_u32_e32 v18, v47, v6
	v_lshlrev_b32_e32 v18, 2, v18
	ds_write_b32 v18, v19
	s_or_b64 exec, exec, s[16:17]
	s_and_saveexec_b64 s[14:15], s[12:13]
	s_cbranch_execz .LBB220_279
.LBB220_342:
	v_sub_u32_e32 v18, v46, v6
	v_lshlrev_b32_e32 v18, 2, v18
	ds_write_b32 v18, v16
	s_or_b64 exec, exec, s[14:15]
	s_and_saveexec_b64 s[12:13], s[10:11]
	s_cbranch_execz .LBB220_280
.LBB220_343:
	v_sub_u32_e32 v16, v45, v6
	v_lshlrev_b32_e32 v16, 2, v16
	ds_write_b32 v16, v17
	s_or_b64 exec, exec, s[12:13]
	s_and_saveexec_b64 s[10:11], s[8:9]
	s_cbranch_execz .LBB220_281
.LBB220_344:
	v_sub_u32_e32 v16, v44, v6
	v_lshlrev_b32_e32 v16, 2, v16
	ds_write_b32 v16, v14
	s_or_b64 exec, exec, s[10:11]
	s_and_saveexec_b64 s[8:9], s[6:7]
	s_cbranch_execz .LBB220_282
.LBB220_345:
	v_sub_u32_e32 v14, v43, v6
	v_lshlrev_b32_e32 v14, 2, v14
	ds_write_b32 v14, v15
	s_or_b64 exec, exec, s[8:9]
	s_and_saveexec_b64 s[6:7], s[4:5]
	s_cbranch_execz .LBB220_283
.LBB220_346:
	v_sub_u32_e32 v14, v42, v6
	v_lshlrev_b32_e32 v14, 2, v14
	ds_write_b32 v14, v12
	s_or_b64 exec, exec, s[6:7]
	s_and_saveexec_b64 s[4:5], s[2:3]
	s_cbranch_execnz .LBB220_284
	s_branch .LBB220_285
.LBB220_347:
	v_sub_u32_e32 v18, v5, v10
	v_mov_b32_e32 v19, 0
	v_lshlrev_b64 v[18:19], 2, v[18:19]
	v_add_co_u32_e32 v18, vcc, v14, v18
	v_addc_co_u32_e32 v19, vcc, v15, v19, vcc
	global_store_dword v[18:19], v71, off
	s_or_b64 exec, exec, s[38:39]
	s_and_saveexec_b64 s[38:39], s[26:27]
	s_cbranch_execz .LBB220_289
.LBB220_348:
	v_sub_u32_e32 v18, v53, v10
	v_mov_b32_e32 v19, 0
	v_lshlrev_b64 v[18:19], 2, v[18:19]
	v_add_co_u32_e32 v18, vcc, v14, v18
	v_addc_co_u32_e32 v19, vcc, v15, v19, vcc
	global_store_dword v[18:19], v70, off
	s_or_b64 exec, exec, s[38:39]
	s_and_saveexec_b64 s[38:39], s[24:25]
	s_cbranch_execz .LBB220_290
.LBB220_349:
	v_sub_u32_e32 v18, v52, v10
	v_mov_b32_e32 v19, 0
	v_lshlrev_b64 v[18:19], 2, v[18:19]
	v_add_co_u32_e32 v18, vcc, v14, v18
	v_addc_co_u32_e32 v19, vcc, v15, v19, vcc
	global_store_dword v[18:19], v69, off
	s_or_b64 exec, exec, s[38:39]
	s_and_saveexec_b64 s[38:39], s[22:23]
	s_cbranch_execz .LBB220_291
.LBB220_350:
	v_sub_u32_e32 v18, v51, v10
	v_mov_b32_e32 v19, 0
	v_lshlrev_b64 v[18:19], 2, v[18:19]
	v_add_co_u32_e32 v18, vcc, v14, v18
	v_addc_co_u32_e32 v19, vcc, v15, v19, vcc
	global_store_dword v[18:19], v68, off
	s_or_b64 exec, exec, s[38:39]
	s_and_saveexec_b64 s[38:39], s[20:21]
	s_cbranch_execz .LBB220_292
.LBB220_351:
	v_sub_u32_e32 v18, v50, v10
	v_mov_b32_e32 v19, 0
	v_lshlrev_b64 v[18:19], 2, v[18:19]
	v_add_co_u32_e32 v18, vcc, v14, v18
	v_addc_co_u32_e32 v19, vcc, v15, v19, vcc
	global_store_dword v[18:19], v67, off
	s_or_b64 exec, exec, s[38:39]
	s_and_saveexec_b64 s[38:39], s[18:19]
	s_cbranch_execz .LBB220_293
.LBB220_352:
	v_sub_u32_e32 v18, v49, v10
	v_mov_b32_e32 v19, 0
	v_lshlrev_b64 v[18:19], 2, v[18:19]
	v_add_co_u32_e32 v18, vcc, v14, v18
	v_addc_co_u32_e32 v19, vcc, v15, v19, vcc
	global_store_dword v[18:19], v66, off
	s_or_b64 exec, exec, s[38:39]
	s_and_saveexec_b64 s[38:39], s[16:17]
	s_cbranch_execz .LBB220_294
.LBB220_353:
	v_sub_u32_e32 v18, v48, v10
	v_mov_b32_e32 v19, 0
	v_lshlrev_b64 v[18:19], 2, v[18:19]
	v_add_co_u32_e32 v18, vcc, v14, v18
	v_addc_co_u32_e32 v19, vcc, v15, v19, vcc
	global_store_dword v[18:19], v65, off
	s_or_b64 exec, exec, s[38:39]
	s_and_saveexec_b64 s[38:39], s[14:15]
	s_cbranch_execz .LBB220_295
.LBB220_354:
	v_sub_u32_e32 v18, v47, v10
	v_mov_b32_e32 v19, 0
	v_lshlrev_b64 v[18:19], 2, v[18:19]
	v_add_co_u32_e32 v18, vcc, v14, v18
	v_addc_co_u32_e32 v19, vcc, v15, v19, vcc
	global_store_dword v[18:19], v64, off
	s_or_b64 exec, exec, s[38:39]
	s_and_saveexec_b64 s[38:39], s[12:13]
	s_cbranch_execz .LBB220_296
.LBB220_355:
	v_sub_u32_e32 v18, v46, v10
	v_mov_b32_e32 v19, 0
	v_lshlrev_b64 v[18:19], 2, v[18:19]
	v_add_co_u32_e32 v18, vcc, v14, v18
	v_addc_co_u32_e32 v19, vcc, v15, v19, vcc
	global_store_dword v[18:19], v63, off
	s_or_b64 exec, exec, s[38:39]
	s_and_saveexec_b64 s[38:39], s[10:11]
	s_cbranch_execz .LBB220_297
.LBB220_356:
	v_sub_u32_e32 v18, v45, v10
	v_mov_b32_e32 v19, 0
	v_lshlrev_b64 v[18:19], 2, v[18:19]
	v_add_co_u32_e32 v18, vcc, v14, v18
	v_addc_co_u32_e32 v19, vcc, v15, v19, vcc
	global_store_dword v[18:19], v59, off
	s_or_b64 exec, exec, s[38:39]
	s_and_saveexec_b64 s[38:39], s[8:9]
	s_cbranch_execz .LBB220_298
.LBB220_357:
	v_sub_u32_e32 v18, v44, v10
	v_mov_b32_e32 v19, 0
	v_lshlrev_b64 v[18:19], 2, v[18:19]
	v_add_co_u32_e32 v18, vcc, v14, v18
	v_addc_co_u32_e32 v19, vcc, v15, v19, vcc
	global_store_dword v[18:19], v58, off
	s_or_b64 exec, exec, s[38:39]
	s_and_saveexec_b64 s[38:39], s[6:7]
	s_cbranch_execz .LBB220_299
.LBB220_358:
	v_sub_u32_e32 v18, v43, v10
	v_mov_b32_e32 v19, 0
	v_lshlrev_b64 v[18:19], 2, v[18:19]
	v_add_co_u32_e32 v18, vcc, v14, v18
	v_addc_co_u32_e32 v19, vcc, v15, v19, vcc
	global_store_dword v[18:19], v56, off
	s_or_b64 exec, exec, s[38:39]
	s_and_saveexec_b64 s[38:39], s[4:5]
	s_cbranch_execz .LBB220_300
.LBB220_359:
	v_sub_u32_e32 v18, v42, v10
	v_mov_b32_e32 v19, 0
	v_lshlrev_b64 v[18:19], 2, v[18:19]
	v_add_co_u32_e32 v18, vcc, v14, v18
	v_addc_co_u32_e32 v19, vcc, v15, v19, vcc
	global_store_dword v[18:19], v55, off
	s_or_b64 exec, exec, s[38:39]
	s_and_saveexec_b64 s[38:39], s[2:3]
	s_cbranch_execnz .LBB220_301
	s_branch .LBB220_302
.LBB220_360:
	v_sub_u32_e32 v5, v5, v10
	v_lshlrev_b32_e32 v5, 2, v5
	ds_write_b32 v5, v71
	s_or_b64 exec, exec, s[38:39]
	s_and_saveexec_b64 s[28:29], s[26:27]
	s_cbranch_execz .LBB220_306
.LBB220_361:
	v_sub_u32_e32 v5, v53, v10
	v_lshlrev_b32_e32 v5, 2, v5
	ds_write_b32 v5, v70
	s_or_b64 exec, exec, s[28:29]
	s_and_saveexec_b64 s[26:27], s[24:25]
	s_cbranch_execz .LBB220_307
.LBB220_362:
	v_sub_u32_e32 v5, v52, v10
	v_lshlrev_b32_e32 v5, 2, v5
	ds_write_b32 v5, v69
	s_or_b64 exec, exec, s[26:27]
	s_and_saveexec_b64 s[24:25], s[22:23]
	s_cbranch_execz .LBB220_308
.LBB220_363:
	v_sub_u32_e32 v5, v51, v10
	v_lshlrev_b32_e32 v5, 2, v5
	ds_write_b32 v5, v68
	s_or_b64 exec, exec, s[24:25]
	s_and_saveexec_b64 s[22:23], s[20:21]
	s_cbranch_execz .LBB220_309
.LBB220_364:
	v_sub_u32_e32 v5, v50, v10
	v_lshlrev_b32_e32 v5, 2, v5
	ds_write_b32 v5, v67
	s_or_b64 exec, exec, s[22:23]
	s_and_saveexec_b64 s[20:21], s[18:19]
	s_cbranch_execz .LBB220_310
.LBB220_365:
	v_sub_u32_e32 v5, v49, v10
	v_lshlrev_b32_e32 v5, 2, v5
	ds_write_b32 v5, v66
	s_or_b64 exec, exec, s[20:21]
	s_and_saveexec_b64 s[18:19], s[16:17]
	s_cbranch_execz .LBB220_311
.LBB220_366:
	v_sub_u32_e32 v5, v48, v10
	v_lshlrev_b32_e32 v5, 2, v5
	ds_write_b32 v5, v65
	s_or_b64 exec, exec, s[18:19]
	s_and_saveexec_b64 s[16:17], s[14:15]
	s_cbranch_execz .LBB220_312
.LBB220_367:
	v_sub_u32_e32 v5, v47, v10
	v_lshlrev_b32_e32 v5, 2, v5
	ds_write_b32 v5, v64
	s_or_b64 exec, exec, s[16:17]
	s_and_saveexec_b64 s[14:15], s[12:13]
	s_cbranch_execz .LBB220_313
.LBB220_368:
	v_sub_u32_e32 v5, v46, v10
	v_lshlrev_b32_e32 v5, 2, v5
	ds_write_b32 v5, v63
	s_or_b64 exec, exec, s[14:15]
	s_and_saveexec_b64 s[12:13], s[10:11]
	s_cbranch_execz .LBB220_314
.LBB220_369:
	v_sub_u32_e32 v5, v45, v10
	v_lshlrev_b32_e32 v5, 2, v5
	ds_write_b32 v5, v59
	s_or_b64 exec, exec, s[12:13]
	s_and_saveexec_b64 s[10:11], s[8:9]
	s_cbranch_execz .LBB220_315
.LBB220_370:
	v_sub_u32_e32 v5, v44, v10
	v_lshlrev_b32_e32 v5, 2, v5
	ds_write_b32 v5, v58
	s_or_b64 exec, exec, s[10:11]
	s_and_saveexec_b64 s[8:9], s[6:7]
	s_cbranch_execz .LBB220_316
.LBB220_371:
	v_sub_u32_e32 v5, v43, v10
	v_lshlrev_b32_e32 v5, 2, v5
	ds_write_b32 v5, v56
	s_or_b64 exec, exec, s[8:9]
	s_and_saveexec_b64 s[6:7], s[4:5]
	s_cbranch_execz .LBB220_317
.LBB220_372:
	v_sub_u32_e32 v5, v42, v10
	v_lshlrev_b32_e32 v5, 2, v5
	ds_write_b32 v5, v55
	s_or_b64 exec, exec, s[6:7]
	s_and_saveexec_b64 s[4:5], s[2:3]
	s_cbranch_execnz .LBB220_318
	s_branch .LBB220_319
	.section	.rodata,"a",@progbits
	.p2align	6, 0x0
	.amdhsa_kernel _ZN7rocprim17ROCPRIM_400000_NS6detail17trampoline_kernelINS0_14default_configENS1_29reduce_by_key_config_selectorIffN6thrust23THRUST_200600_302600_NS4plusIfEEEEZZNS1_33reduce_by_key_impl_wrapped_configILNS1_25lookback_scan_determinismE0ES3_S9_NS6_6detail15normal_iteratorINS6_10device_ptrIfEEEESG_SG_SG_PmS8_22is_equal_div_10_reduceIfEEE10hipError_tPvRmT2_T3_mT4_T5_T6_T7_T8_P12ihipStream_tbENKUlT_T0_E_clISt17integral_constantIbLb1EES10_IbLb0EEEEDaSW_SX_EUlSW_E_NS1_11comp_targetILNS1_3genE4ELNS1_11target_archE910ELNS1_3gpuE8ELNS1_3repE0EEENS1_30default_config_static_selectorELNS0_4arch9wavefront6targetE1EEEvT1_
		.amdhsa_group_segment_fixed_size 15360
		.amdhsa_private_segment_fixed_size 0
		.amdhsa_kernarg_size 120
		.amdhsa_user_sgpr_count 6
		.amdhsa_user_sgpr_private_segment_buffer 1
		.amdhsa_user_sgpr_dispatch_ptr 0
		.amdhsa_user_sgpr_queue_ptr 0
		.amdhsa_user_sgpr_kernarg_segment_ptr 1
		.amdhsa_user_sgpr_dispatch_id 0
		.amdhsa_user_sgpr_flat_scratch_init 0
		.amdhsa_user_sgpr_kernarg_preload_length 0
		.amdhsa_user_sgpr_kernarg_preload_offset 0
		.amdhsa_user_sgpr_private_segment_size 0
		.amdhsa_uses_dynamic_stack 0
		.amdhsa_system_sgpr_private_segment_wavefront_offset 0
		.amdhsa_system_sgpr_workgroup_id_x 1
		.amdhsa_system_sgpr_workgroup_id_y 0
		.amdhsa_system_sgpr_workgroup_id_z 0
		.amdhsa_system_sgpr_workgroup_info 0
		.amdhsa_system_vgpr_workitem_id 0
		.amdhsa_next_free_vgpr 106
		.amdhsa_next_free_sgpr 64
		.amdhsa_accum_offset 108
		.amdhsa_reserve_vcc 1
		.amdhsa_reserve_flat_scratch 0
		.amdhsa_float_round_mode_32 0
		.amdhsa_float_round_mode_16_64 0
		.amdhsa_float_denorm_mode_32 3
		.amdhsa_float_denorm_mode_16_64 3
		.amdhsa_dx10_clamp 1
		.amdhsa_ieee_mode 1
		.amdhsa_fp16_overflow 0
		.amdhsa_tg_split 0
		.amdhsa_exception_fp_ieee_invalid_op 0
		.amdhsa_exception_fp_denorm_src 0
		.amdhsa_exception_fp_ieee_div_zero 0
		.amdhsa_exception_fp_ieee_overflow 0
		.amdhsa_exception_fp_ieee_underflow 0
		.amdhsa_exception_fp_ieee_inexact 0
		.amdhsa_exception_int_div_zero 0
	.end_amdhsa_kernel
	.section	.text._ZN7rocprim17ROCPRIM_400000_NS6detail17trampoline_kernelINS0_14default_configENS1_29reduce_by_key_config_selectorIffN6thrust23THRUST_200600_302600_NS4plusIfEEEEZZNS1_33reduce_by_key_impl_wrapped_configILNS1_25lookback_scan_determinismE0ES3_S9_NS6_6detail15normal_iteratorINS6_10device_ptrIfEEEESG_SG_SG_PmS8_22is_equal_div_10_reduceIfEEE10hipError_tPvRmT2_T3_mT4_T5_T6_T7_T8_P12ihipStream_tbENKUlT_T0_E_clISt17integral_constantIbLb1EES10_IbLb0EEEEDaSW_SX_EUlSW_E_NS1_11comp_targetILNS1_3genE4ELNS1_11target_archE910ELNS1_3gpuE8ELNS1_3repE0EEENS1_30default_config_static_selectorELNS0_4arch9wavefront6targetE1EEEvT1_,"axG",@progbits,_ZN7rocprim17ROCPRIM_400000_NS6detail17trampoline_kernelINS0_14default_configENS1_29reduce_by_key_config_selectorIffN6thrust23THRUST_200600_302600_NS4plusIfEEEEZZNS1_33reduce_by_key_impl_wrapped_configILNS1_25lookback_scan_determinismE0ES3_S9_NS6_6detail15normal_iteratorINS6_10device_ptrIfEEEESG_SG_SG_PmS8_22is_equal_div_10_reduceIfEEE10hipError_tPvRmT2_T3_mT4_T5_T6_T7_T8_P12ihipStream_tbENKUlT_T0_E_clISt17integral_constantIbLb1EES10_IbLb0EEEEDaSW_SX_EUlSW_E_NS1_11comp_targetILNS1_3genE4ELNS1_11target_archE910ELNS1_3gpuE8ELNS1_3repE0EEENS1_30default_config_static_selectorELNS0_4arch9wavefront6targetE1EEEvT1_,comdat
.Lfunc_end220:
	.size	_ZN7rocprim17ROCPRIM_400000_NS6detail17trampoline_kernelINS0_14default_configENS1_29reduce_by_key_config_selectorIffN6thrust23THRUST_200600_302600_NS4plusIfEEEEZZNS1_33reduce_by_key_impl_wrapped_configILNS1_25lookback_scan_determinismE0ES3_S9_NS6_6detail15normal_iteratorINS6_10device_ptrIfEEEESG_SG_SG_PmS8_22is_equal_div_10_reduceIfEEE10hipError_tPvRmT2_T3_mT4_T5_T6_T7_T8_P12ihipStream_tbENKUlT_T0_E_clISt17integral_constantIbLb1EES10_IbLb0EEEEDaSW_SX_EUlSW_E_NS1_11comp_targetILNS1_3genE4ELNS1_11target_archE910ELNS1_3gpuE8ELNS1_3repE0EEENS1_30default_config_static_selectorELNS0_4arch9wavefront6targetE1EEEvT1_, .Lfunc_end220-_ZN7rocprim17ROCPRIM_400000_NS6detail17trampoline_kernelINS0_14default_configENS1_29reduce_by_key_config_selectorIffN6thrust23THRUST_200600_302600_NS4plusIfEEEEZZNS1_33reduce_by_key_impl_wrapped_configILNS1_25lookback_scan_determinismE0ES3_S9_NS6_6detail15normal_iteratorINS6_10device_ptrIfEEEESG_SG_SG_PmS8_22is_equal_div_10_reduceIfEEE10hipError_tPvRmT2_T3_mT4_T5_T6_T7_T8_P12ihipStream_tbENKUlT_T0_E_clISt17integral_constantIbLb1EES10_IbLb0EEEEDaSW_SX_EUlSW_E_NS1_11comp_targetILNS1_3genE4ELNS1_11target_archE910ELNS1_3gpuE8ELNS1_3repE0EEENS1_30default_config_static_selectorELNS0_4arch9wavefront6targetE1EEEvT1_
                                        ; -- End function
	.section	.AMDGPU.csdata,"",@progbits
; Kernel info:
; codeLenInByte = 20140
; NumSgprs: 68
; NumVgprs: 106
; NumAgprs: 0
; TotalNumVgprs: 106
; ScratchSize: 0
; MemoryBound: 0
; FloatMode: 240
; IeeeMode: 1
; LDSByteSize: 15360 bytes/workgroup (compile time only)
; SGPRBlocks: 8
; VGPRBlocks: 13
; NumSGPRsForWavesPerEU: 68
; NumVGPRsForWavesPerEU: 106
; AccumOffset: 108
; Occupancy: 4
; WaveLimiterHint : 1
; COMPUTE_PGM_RSRC2:SCRATCH_EN: 0
; COMPUTE_PGM_RSRC2:USER_SGPR: 6
; COMPUTE_PGM_RSRC2:TRAP_HANDLER: 0
; COMPUTE_PGM_RSRC2:TGID_X_EN: 1
; COMPUTE_PGM_RSRC2:TGID_Y_EN: 0
; COMPUTE_PGM_RSRC2:TGID_Z_EN: 0
; COMPUTE_PGM_RSRC2:TIDIG_COMP_CNT: 0
; COMPUTE_PGM_RSRC3_GFX90A:ACCUM_OFFSET: 26
; COMPUTE_PGM_RSRC3_GFX90A:TG_SPLIT: 0
	.section	.text._ZN7rocprim17ROCPRIM_400000_NS6detail17trampoline_kernelINS0_14default_configENS1_29reduce_by_key_config_selectorIffN6thrust23THRUST_200600_302600_NS4plusIfEEEEZZNS1_33reduce_by_key_impl_wrapped_configILNS1_25lookback_scan_determinismE0ES3_S9_NS6_6detail15normal_iteratorINS6_10device_ptrIfEEEESG_SG_SG_PmS8_22is_equal_div_10_reduceIfEEE10hipError_tPvRmT2_T3_mT4_T5_T6_T7_T8_P12ihipStream_tbENKUlT_T0_E_clISt17integral_constantIbLb1EES10_IbLb0EEEEDaSW_SX_EUlSW_E_NS1_11comp_targetILNS1_3genE3ELNS1_11target_archE908ELNS1_3gpuE7ELNS1_3repE0EEENS1_30default_config_static_selectorELNS0_4arch9wavefront6targetE1EEEvT1_,"axG",@progbits,_ZN7rocprim17ROCPRIM_400000_NS6detail17trampoline_kernelINS0_14default_configENS1_29reduce_by_key_config_selectorIffN6thrust23THRUST_200600_302600_NS4plusIfEEEEZZNS1_33reduce_by_key_impl_wrapped_configILNS1_25lookback_scan_determinismE0ES3_S9_NS6_6detail15normal_iteratorINS6_10device_ptrIfEEEESG_SG_SG_PmS8_22is_equal_div_10_reduceIfEEE10hipError_tPvRmT2_T3_mT4_T5_T6_T7_T8_P12ihipStream_tbENKUlT_T0_E_clISt17integral_constantIbLb1EES10_IbLb0EEEEDaSW_SX_EUlSW_E_NS1_11comp_targetILNS1_3genE3ELNS1_11target_archE908ELNS1_3gpuE7ELNS1_3repE0EEENS1_30default_config_static_selectorELNS0_4arch9wavefront6targetE1EEEvT1_,comdat
	.protected	_ZN7rocprim17ROCPRIM_400000_NS6detail17trampoline_kernelINS0_14default_configENS1_29reduce_by_key_config_selectorIffN6thrust23THRUST_200600_302600_NS4plusIfEEEEZZNS1_33reduce_by_key_impl_wrapped_configILNS1_25lookback_scan_determinismE0ES3_S9_NS6_6detail15normal_iteratorINS6_10device_ptrIfEEEESG_SG_SG_PmS8_22is_equal_div_10_reduceIfEEE10hipError_tPvRmT2_T3_mT4_T5_T6_T7_T8_P12ihipStream_tbENKUlT_T0_E_clISt17integral_constantIbLb1EES10_IbLb0EEEEDaSW_SX_EUlSW_E_NS1_11comp_targetILNS1_3genE3ELNS1_11target_archE908ELNS1_3gpuE7ELNS1_3repE0EEENS1_30default_config_static_selectorELNS0_4arch9wavefront6targetE1EEEvT1_ ; -- Begin function _ZN7rocprim17ROCPRIM_400000_NS6detail17trampoline_kernelINS0_14default_configENS1_29reduce_by_key_config_selectorIffN6thrust23THRUST_200600_302600_NS4plusIfEEEEZZNS1_33reduce_by_key_impl_wrapped_configILNS1_25lookback_scan_determinismE0ES3_S9_NS6_6detail15normal_iteratorINS6_10device_ptrIfEEEESG_SG_SG_PmS8_22is_equal_div_10_reduceIfEEE10hipError_tPvRmT2_T3_mT4_T5_T6_T7_T8_P12ihipStream_tbENKUlT_T0_E_clISt17integral_constantIbLb1EES10_IbLb0EEEEDaSW_SX_EUlSW_E_NS1_11comp_targetILNS1_3genE3ELNS1_11target_archE908ELNS1_3gpuE7ELNS1_3repE0EEENS1_30default_config_static_selectorELNS0_4arch9wavefront6targetE1EEEvT1_
	.globl	_ZN7rocprim17ROCPRIM_400000_NS6detail17trampoline_kernelINS0_14default_configENS1_29reduce_by_key_config_selectorIffN6thrust23THRUST_200600_302600_NS4plusIfEEEEZZNS1_33reduce_by_key_impl_wrapped_configILNS1_25lookback_scan_determinismE0ES3_S9_NS6_6detail15normal_iteratorINS6_10device_ptrIfEEEESG_SG_SG_PmS8_22is_equal_div_10_reduceIfEEE10hipError_tPvRmT2_T3_mT4_T5_T6_T7_T8_P12ihipStream_tbENKUlT_T0_E_clISt17integral_constantIbLb1EES10_IbLb0EEEEDaSW_SX_EUlSW_E_NS1_11comp_targetILNS1_3genE3ELNS1_11target_archE908ELNS1_3gpuE7ELNS1_3repE0EEENS1_30default_config_static_selectorELNS0_4arch9wavefront6targetE1EEEvT1_
	.p2align	8
	.type	_ZN7rocprim17ROCPRIM_400000_NS6detail17trampoline_kernelINS0_14default_configENS1_29reduce_by_key_config_selectorIffN6thrust23THRUST_200600_302600_NS4plusIfEEEEZZNS1_33reduce_by_key_impl_wrapped_configILNS1_25lookback_scan_determinismE0ES3_S9_NS6_6detail15normal_iteratorINS6_10device_ptrIfEEEESG_SG_SG_PmS8_22is_equal_div_10_reduceIfEEE10hipError_tPvRmT2_T3_mT4_T5_T6_T7_T8_P12ihipStream_tbENKUlT_T0_E_clISt17integral_constantIbLb1EES10_IbLb0EEEEDaSW_SX_EUlSW_E_NS1_11comp_targetILNS1_3genE3ELNS1_11target_archE908ELNS1_3gpuE7ELNS1_3repE0EEENS1_30default_config_static_selectorELNS0_4arch9wavefront6targetE1EEEvT1_,@function
_ZN7rocprim17ROCPRIM_400000_NS6detail17trampoline_kernelINS0_14default_configENS1_29reduce_by_key_config_selectorIffN6thrust23THRUST_200600_302600_NS4plusIfEEEEZZNS1_33reduce_by_key_impl_wrapped_configILNS1_25lookback_scan_determinismE0ES3_S9_NS6_6detail15normal_iteratorINS6_10device_ptrIfEEEESG_SG_SG_PmS8_22is_equal_div_10_reduceIfEEE10hipError_tPvRmT2_T3_mT4_T5_T6_T7_T8_P12ihipStream_tbENKUlT_T0_E_clISt17integral_constantIbLb1EES10_IbLb0EEEEDaSW_SX_EUlSW_E_NS1_11comp_targetILNS1_3genE3ELNS1_11target_archE908ELNS1_3gpuE7ELNS1_3repE0EEENS1_30default_config_static_selectorELNS0_4arch9wavefront6targetE1EEEvT1_: ; @_ZN7rocprim17ROCPRIM_400000_NS6detail17trampoline_kernelINS0_14default_configENS1_29reduce_by_key_config_selectorIffN6thrust23THRUST_200600_302600_NS4plusIfEEEEZZNS1_33reduce_by_key_impl_wrapped_configILNS1_25lookback_scan_determinismE0ES3_S9_NS6_6detail15normal_iteratorINS6_10device_ptrIfEEEESG_SG_SG_PmS8_22is_equal_div_10_reduceIfEEE10hipError_tPvRmT2_T3_mT4_T5_T6_T7_T8_P12ihipStream_tbENKUlT_T0_E_clISt17integral_constantIbLb1EES10_IbLb0EEEEDaSW_SX_EUlSW_E_NS1_11comp_targetILNS1_3genE3ELNS1_11target_archE908ELNS1_3gpuE7ELNS1_3repE0EEENS1_30default_config_static_selectorELNS0_4arch9wavefront6targetE1EEEvT1_
; %bb.0:
	.section	.rodata,"a",@progbits
	.p2align	6, 0x0
	.amdhsa_kernel _ZN7rocprim17ROCPRIM_400000_NS6detail17trampoline_kernelINS0_14default_configENS1_29reduce_by_key_config_selectorIffN6thrust23THRUST_200600_302600_NS4plusIfEEEEZZNS1_33reduce_by_key_impl_wrapped_configILNS1_25lookback_scan_determinismE0ES3_S9_NS6_6detail15normal_iteratorINS6_10device_ptrIfEEEESG_SG_SG_PmS8_22is_equal_div_10_reduceIfEEE10hipError_tPvRmT2_T3_mT4_T5_T6_T7_T8_P12ihipStream_tbENKUlT_T0_E_clISt17integral_constantIbLb1EES10_IbLb0EEEEDaSW_SX_EUlSW_E_NS1_11comp_targetILNS1_3genE3ELNS1_11target_archE908ELNS1_3gpuE7ELNS1_3repE0EEENS1_30default_config_static_selectorELNS0_4arch9wavefront6targetE1EEEvT1_
		.amdhsa_group_segment_fixed_size 0
		.amdhsa_private_segment_fixed_size 0
		.amdhsa_kernarg_size 120
		.amdhsa_user_sgpr_count 6
		.amdhsa_user_sgpr_private_segment_buffer 1
		.amdhsa_user_sgpr_dispatch_ptr 0
		.amdhsa_user_sgpr_queue_ptr 0
		.amdhsa_user_sgpr_kernarg_segment_ptr 1
		.amdhsa_user_sgpr_dispatch_id 0
		.amdhsa_user_sgpr_flat_scratch_init 0
		.amdhsa_user_sgpr_kernarg_preload_length 0
		.amdhsa_user_sgpr_kernarg_preload_offset 0
		.amdhsa_user_sgpr_private_segment_size 0
		.amdhsa_uses_dynamic_stack 0
		.amdhsa_system_sgpr_private_segment_wavefront_offset 0
		.amdhsa_system_sgpr_workgroup_id_x 1
		.amdhsa_system_sgpr_workgroup_id_y 0
		.amdhsa_system_sgpr_workgroup_id_z 0
		.amdhsa_system_sgpr_workgroup_info 0
		.amdhsa_system_vgpr_workitem_id 0
		.amdhsa_next_free_vgpr 1
		.amdhsa_next_free_sgpr 0
		.amdhsa_accum_offset 4
		.amdhsa_reserve_vcc 0
		.amdhsa_reserve_flat_scratch 0
		.amdhsa_float_round_mode_32 0
		.amdhsa_float_round_mode_16_64 0
		.amdhsa_float_denorm_mode_32 3
		.amdhsa_float_denorm_mode_16_64 3
		.amdhsa_dx10_clamp 1
		.amdhsa_ieee_mode 1
		.amdhsa_fp16_overflow 0
		.amdhsa_tg_split 0
		.amdhsa_exception_fp_ieee_invalid_op 0
		.amdhsa_exception_fp_denorm_src 0
		.amdhsa_exception_fp_ieee_div_zero 0
		.amdhsa_exception_fp_ieee_overflow 0
		.amdhsa_exception_fp_ieee_underflow 0
		.amdhsa_exception_fp_ieee_inexact 0
		.amdhsa_exception_int_div_zero 0
	.end_amdhsa_kernel
	.section	.text._ZN7rocprim17ROCPRIM_400000_NS6detail17trampoline_kernelINS0_14default_configENS1_29reduce_by_key_config_selectorIffN6thrust23THRUST_200600_302600_NS4plusIfEEEEZZNS1_33reduce_by_key_impl_wrapped_configILNS1_25lookback_scan_determinismE0ES3_S9_NS6_6detail15normal_iteratorINS6_10device_ptrIfEEEESG_SG_SG_PmS8_22is_equal_div_10_reduceIfEEE10hipError_tPvRmT2_T3_mT4_T5_T6_T7_T8_P12ihipStream_tbENKUlT_T0_E_clISt17integral_constantIbLb1EES10_IbLb0EEEEDaSW_SX_EUlSW_E_NS1_11comp_targetILNS1_3genE3ELNS1_11target_archE908ELNS1_3gpuE7ELNS1_3repE0EEENS1_30default_config_static_selectorELNS0_4arch9wavefront6targetE1EEEvT1_,"axG",@progbits,_ZN7rocprim17ROCPRIM_400000_NS6detail17trampoline_kernelINS0_14default_configENS1_29reduce_by_key_config_selectorIffN6thrust23THRUST_200600_302600_NS4plusIfEEEEZZNS1_33reduce_by_key_impl_wrapped_configILNS1_25lookback_scan_determinismE0ES3_S9_NS6_6detail15normal_iteratorINS6_10device_ptrIfEEEESG_SG_SG_PmS8_22is_equal_div_10_reduceIfEEE10hipError_tPvRmT2_T3_mT4_T5_T6_T7_T8_P12ihipStream_tbENKUlT_T0_E_clISt17integral_constantIbLb1EES10_IbLb0EEEEDaSW_SX_EUlSW_E_NS1_11comp_targetILNS1_3genE3ELNS1_11target_archE908ELNS1_3gpuE7ELNS1_3repE0EEENS1_30default_config_static_selectorELNS0_4arch9wavefront6targetE1EEEvT1_,comdat
.Lfunc_end221:
	.size	_ZN7rocprim17ROCPRIM_400000_NS6detail17trampoline_kernelINS0_14default_configENS1_29reduce_by_key_config_selectorIffN6thrust23THRUST_200600_302600_NS4plusIfEEEEZZNS1_33reduce_by_key_impl_wrapped_configILNS1_25lookback_scan_determinismE0ES3_S9_NS6_6detail15normal_iteratorINS6_10device_ptrIfEEEESG_SG_SG_PmS8_22is_equal_div_10_reduceIfEEE10hipError_tPvRmT2_T3_mT4_T5_T6_T7_T8_P12ihipStream_tbENKUlT_T0_E_clISt17integral_constantIbLb1EES10_IbLb0EEEEDaSW_SX_EUlSW_E_NS1_11comp_targetILNS1_3genE3ELNS1_11target_archE908ELNS1_3gpuE7ELNS1_3repE0EEENS1_30default_config_static_selectorELNS0_4arch9wavefront6targetE1EEEvT1_, .Lfunc_end221-_ZN7rocprim17ROCPRIM_400000_NS6detail17trampoline_kernelINS0_14default_configENS1_29reduce_by_key_config_selectorIffN6thrust23THRUST_200600_302600_NS4plusIfEEEEZZNS1_33reduce_by_key_impl_wrapped_configILNS1_25lookback_scan_determinismE0ES3_S9_NS6_6detail15normal_iteratorINS6_10device_ptrIfEEEESG_SG_SG_PmS8_22is_equal_div_10_reduceIfEEE10hipError_tPvRmT2_T3_mT4_T5_T6_T7_T8_P12ihipStream_tbENKUlT_T0_E_clISt17integral_constantIbLb1EES10_IbLb0EEEEDaSW_SX_EUlSW_E_NS1_11comp_targetILNS1_3genE3ELNS1_11target_archE908ELNS1_3gpuE7ELNS1_3repE0EEENS1_30default_config_static_selectorELNS0_4arch9wavefront6targetE1EEEvT1_
                                        ; -- End function
	.section	.AMDGPU.csdata,"",@progbits
; Kernel info:
; codeLenInByte = 0
; NumSgprs: 4
; NumVgprs: 0
; NumAgprs: 0
; TotalNumVgprs: 0
; ScratchSize: 0
; MemoryBound: 0
; FloatMode: 240
; IeeeMode: 1
; LDSByteSize: 0 bytes/workgroup (compile time only)
; SGPRBlocks: 0
; VGPRBlocks: 0
; NumSGPRsForWavesPerEU: 4
; NumVGPRsForWavesPerEU: 1
; AccumOffset: 4
; Occupancy: 8
; WaveLimiterHint : 0
; COMPUTE_PGM_RSRC2:SCRATCH_EN: 0
; COMPUTE_PGM_RSRC2:USER_SGPR: 6
; COMPUTE_PGM_RSRC2:TRAP_HANDLER: 0
; COMPUTE_PGM_RSRC2:TGID_X_EN: 1
; COMPUTE_PGM_RSRC2:TGID_Y_EN: 0
; COMPUTE_PGM_RSRC2:TGID_Z_EN: 0
; COMPUTE_PGM_RSRC2:TIDIG_COMP_CNT: 0
; COMPUTE_PGM_RSRC3_GFX90A:ACCUM_OFFSET: 0
; COMPUTE_PGM_RSRC3_GFX90A:TG_SPLIT: 0
	.section	.text._ZN7rocprim17ROCPRIM_400000_NS6detail17trampoline_kernelINS0_14default_configENS1_29reduce_by_key_config_selectorIffN6thrust23THRUST_200600_302600_NS4plusIfEEEEZZNS1_33reduce_by_key_impl_wrapped_configILNS1_25lookback_scan_determinismE0ES3_S9_NS6_6detail15normal_iteratorINS6_10device_ptrIfEEEESG_SG_SG_PmS8_22is_equal_div_10_reduceIfEEE10hipError_tPvRmT2_T3_mT4_T5_T6_T7_T8_P12ihipStream_tbENKUlT_T0_E_clISt17integral_constantIbLb1EES10_IbLb0EEEEDaSW_SX_EUlSW_E_NS1_11comp_targetILNS1_3genE2ELNS1_11target_archE906ELNS1_3gpuE6ELNS1_3repE0EEENS1_30default_config_static_selectorELNS0_4arch9wavefront6targetE1EEEvT1_,"axG",@progbits,_ZN7rocprim17ROCPRIM_400000_NS6detail17trampoline_kernelINS0_14default_configENS1_29reduce_by_key_config_selectorIffN6thrust23THRUST_200600_302600_NS4plusIfEEEEZZNS1_33reduce_by_key_impl_wrapped_configILNS1_25lookback_scan_determinismE0ES3_S9_NS6_6detail15normal_iteratorINS6_10device_ptrIfEEEESG_SG_SG_PmS8_22is_equal_div_10_reduceIfEEE10hipError_tPvRmT2_T3_mT4_T5_T6_T7_T8_P12ihipStream_tbENKUlT_T0_E_clISt17integral_constantIbLb1EES10_IbLb0EEEEDaSW_SX_EUlSW_E_NS1_11comp_targetILNS1_3genE2ELNS1_11target_archE906ELNS1_3gpuE6ELNS1_3repE0EEENS1_30default_config_static_selectorELNS0_4arch9wavefront6targetE1EEEvT1_,comdat
	.protected	_ZN7rocprim17ROCPRIM_400000_NS6detail17trampoline_kernelINS0_14default_configENS1_29reduce_by_key_config_selectorIffN6thrust23THRUST_200600_302600_NS4plusIfEEEEZZNS1_33reduce_by_key_impl_wrapped_configILNS1_25lookback_scan_determinismE0ES3_S9_NS6_6detail15normal_iteratorINS6_10device_ptrIfEEEESG_SG_SG_PmS8_22is_equal_div_10_reduceIfEEE10hipError_tPvRmT2_T3_mT4_T5_T6_T7_T8_P12ihipStream_tbENKUlT_T0_E_clISt17integral_constantIbLb1EES10_IbLb0EEEEDaSW_SX_EUlSW_E_NS1_11comp_targetILNS1_3genE2ELNS1_11target_archE906ELNS1_3gpuE6ELNS1_3repE0EEENS1_30default_config_static_selectorELNS0_4arch9wavefront6targetE1EEEvT1_ ; -- Begin function _ZN7rocprim17ROCPRIM_400000_NS6detail17trampoline_kernelINS0_14default_configENS1_29reduce_by_key_config_selectorIffN6thrust23THRUST_200600_302600_NS4plusIfEEEEZZNS1_33reduce_by_key_impl_wrapped_configILNS1_25lookback_scan_determinismE0ES3_S9_NS6_6detail15normal_iteratorINS6_10device_ptrIfEEEESG_SG_SG_PmS8_22is_equal_div_10_reduceIfEEE10hipError_tPvRmT2_T3_mT4_T5_T6_T7_T8_P12ihipStream_tbENKUlT_T0_E_clISt17integral_constantIbLb1EES10_IbLb0EEEEDaSW_SX_EUlSW_E_NS1_11comp_targetILNS1_3genE2ELNS1_11target_archE906ELNS1_3gpuE6ELNS1_3repE0EEENS1_30default_config_static_selectorELNS0_4arch9wavefront6targetE1EEEvT1_
	.globl	_ZN7rocprim17ROCPRIM_400000_NS6detail17trampoline_kernelINS0_14default_configENS1_29reduce_by_key_config_selectorIffN6thrust23THRUST_200600_302600_NS4plusIfEEEEZZNS1_33reduce_by_key_impl_wrapped_configILNS1_25lookback_scan_determinismE0ES3_S9_NS6_6detail15normal_iteratorINS6_10device_ptrIfEEEESG_SG_SG_PmS8_22is_equal_div_10_reduceIfEEE10hipError_tPvRmT2_T3_mT4_T5_T6_T7_T8_P12ihipStream_tbENKUlT_T0_E_clISt17integral_constantIbLb1EES10_IbLb0EEEEDaSW_SX_EUlSW_E_NS1_11comp_targetILNS1_3genE2ELNS1_11target_archE906ELNS1_3gpuE6ELNS1_3repE0EEENS1_30default_config_static_selectorELNS0_4arch9wavefront6targetE1EEEvT1_
	.p2align	8
	.type	_ZN7rocprim17ROCPRIM_400000_NS6detail17trampoline_kernelINS0_14default_configENS1_29reduce_by_key_config_selectorIffN6thrust23THRUST_200600_302600_NS4plusIfEEEEZZNS1_33reduce_by_key_impl_wrapped_configILNS1_25lookback_scan_determinismE0ES3_S9_NS6_6detail15normal_iteratorINS6_10device_ptrIfEEEESG_SG_SG_PmS8_22is_equal_div_10_reduceIfEEE10hipError_tPvRmT2_T3_mT4_T5_T6_T7_T8_P12ihipStream_tbENKUlT_T0_E_clISt17integral_constantIbLb1EES10_IbLb0EEEEDaSW_SX_EUlSW_E_NS1_11comp_targetILNS1_3genE2ELNS1_11target_archE906ELNS1_3gpuE6ELNS1_3repE0EEENS1_30default_config_static_selectorELNS0_4arch9wavefront6targetE1EEEvT1_,@function
_ZN7rocprim17ROCPRIM_400000_NS6detail17trampoline_kernelINS0_14default_configENS1_29reduce_by_key_config_selectorIffN6thrust23THRUST_200600_302600_NS4plusIfEEEEZZNS1_33reduce_by_key_impl_wrapped_configILNS1_25lookback_scan_determinismE0ES3_S9_NS6_6detail15normal_iteratorINS6_10device_ptrIfEEEESG_SG_SG_PmS8_22is_equal_div_10_reduceIfEEE10hipError_tPvRmT2_T3_mT4_T5_T6_T7_T8_P12ihipStream_tbENKUlT_T0_E_clISt17integral_constantIbLb1EES10_IbLb0EEEEDaSW_SX_EUlSW_E_NS1_11comp_targetILNS1_3genE2ELNS1_11target_archE906ELNS1_3gpuE6ELNS1_3repE0EEENS1_30default_config_static_selectorELNS0_4arch9wavefront6targetE1EEEvT1_: ; @_ZN7rocprim17ROCPRIM_400000_NS6detail17trampoline_kernelINS0_14default_configENS1_29reduce_by_key_config_selectorIffN6thrust23THRUST_200600_302600_NS4plusIfEEEEZZNS1_33reduce_by_key_impl_wrapped_configILNS1_25lookback_scan_determinismE0ES3_S9_NS6_6detail15normal_iteratorINS6_10device_ptrIfEEEESG_SG_SG_PmS8_22is_equal_div_10_reduceIfEEE10hipError_tPvRmT2_T3_mT4_T5_T6_T7_T8_P12ihipStream_tbENKUlT_T0_E_clISt17integral_constantIbLb1EES10_IbLb0EEEEDaSW_SX_EUlSW_E_NS1_11comp_targetILNS1_3genE2ELNS1_11target_archE906ELNS1_3gpuE6ELNS1_3repE0EEENS1_30default_config_static_selectorELNS0_4arch9wavefront6targetE1EEEvT1_
; %bb.0:
	.section	.rodata,"a",@progbits
	.p2align	6, 0x0
	.amdhsa_kernel _ZN7rocprim17ROCPRIM_400000_NS6detail17trampoline_kernelINS0_14default_configENS1_29reduce_by_key_config_selectorIffN6thrust23THRUST_200600_302600_NS4plusIfEEEEZZNS1_33reduce_by_key_impl_wrapped_configILNS1_25lookback_scan_determinismE0ES3_S9_NS6_6detail15normal_iteratorINS6_10device_ptrIfEEEESG_SG_SG_PmS8_22is_equal_div_10_reduceIfEEE10hipError_tPvRmT2_T3_mT4_T5_T6_T7_T8_P12ihipStream_tbENKUlT_T0_E_clISt17integral_constantIbLb1EES10_IbLb0EEEEDaSW_SX_EUlSW_E_NS1_11comp_targetILNS1_3genE2ELNS1_11target_archE906ELNS1_3gpuE6ELNS1_3repE0EEENS1_30default_config_static_selectorELNS0_4arch9wavefront6targetE1EEEvT1_
		.amdhsa_group_segment_fixed_size 0
		.amdhsa_private_segment_fixed_size 0
		.amdhsa_kernarg_size 120
		.amdhsa_user_sgpr_count 6
		.amdhsa_user_sgpr_private_segment_buffer 1
		.amdhsa_user_sgpr_dispatch_ptr 0
		.amdhsa_user_sgpr_queue_ptr 0
		.amdhsa_user_sgpr_kernarg_segment_ptr 1
		.amdhsa_user_sgpr_dispatch_id 0
		.amdhsa_user_sgpr_flat_scratch_init 0
		.amdhsa_user_sgpr_kernarg_preload_length 0
		.amdhsa_user_sgpr_kernarg_preload_offset 0
		.amdhsa_user_sgpr_private_segment_size 0
		.amdhsa_uses_dynamic_stack 0
		.amdhsa_system_sgpr_private_segment_wavefront_offset 0
		.amdhsa_system_sgpr_workgroup_id_x 1
		.amdhsa_system_sgpr_workgroup_id_y 0
		.amdhsa_system_sgpr_workgroup_id_z 0
		.amdhsa_system_sgpr_workgroup_info 0
		.amdhsa_system_vgpr_workitem_id 0
		.amdhsa_next_free_vgpr 1
		.amdhsa_next_free_sgpr 0
		.amdhsa_accum_offset 4
		.amdhsa_reserve_vcc 0
		.amdhsa_reserve_flat_scratch 0
		.amdhsa_float_round_mode_32 0
		.amdhsa_float_round_mode_16_64 0
		.amdhsa_float_denorm_mode_32 3
		.amdhsa_float_denorm_mode_16_64 3
		.amdhsa_dx10_clamp 1
		.amdhsa_ieee_mode 1
		.amdhsa_fp16_overflow 0
		.amdhsa_tg_split 0
		.amdhsa_exception_fp_ieee_invalid_op 0
		.amdhsa_exception_fp_denorm_src 0
		.amdhsa_exception_fp_ieee_div_zero 0
		.amdhsa_exception_fp_ieee_overflow 0
		.amdhsa_exception_fp_ieee_underflow 0
		.amdhsa_exception_fp_ieee_inexact 0
		.amdhsa_exception_int_div_zero 0
	.end_amdhsa_kernel
	.section	.text._ZN7rocprim17ROCPRIM_400000_NS6detail17trampoline_kernelINS0_14default_configENS1_29reduce_by_key_config_selectorIffN6thrust23THRUST_200600_302600_NS4plusIfEEEEZZNS1_33reduce_by_key_impl_wrapped_configILNS1_25lookback_scan_determinismE0ES3_S9_NS6_6detail15normal_iteratorINS6_10device_ptrIfEEEESG_SG_SG_PmS8_22is_equal_div_10_reduceIfEEE10hipError_tPvRmT2_T3_mT4_T5_T6_T7_T8_P12ihipStream_tbENKUlT_T0_E_clISt17integral_constantIbLb1EES10_IbLb0EEEEDaSW_SX_EUlSW_E_NS1_11comp_targetILNS1_3genE2ELNS1_11target_archE906ELNS1_3gpuE6ELNS1_3repE0EEENS1_30default_config_static_selectorELNS0_4arch9wavefront6targetE1EEEvT1_,"axG",@progbits,_ZN7rocprim17ROCPRIM_400000_NS6detail17trampoline_kernelINS0_14default_configENS1_29reduce_by_key_config_selectorIffN6thrust23THRUST_200600_302600_NS4plusIfEEEEZZNS1_33reduce_by_key_impl_wrapped_configILNS1_25lookback_scan_determinismE0ES3_S9_NS6_6detail15normal_iteratorINS6_10device_ptrIfEEEESG_SG_SG_PmS8_22is_equal_div_10_reduceIfEEE10hipError_tPvRmT2_T3_mT4_T5_T6_T7_T8_P12ihipStream_tbENKUlT_T0_E_clISt17integral_constantIbLb1EES10_IbLb0EEEEDaSW_SX_EUlSW_E_NS1_11comp_targetILNS1_3genE2ELNS1_11target_archE906ELNS1_3gpuE6ELNS1_3repE0EEENS1_30default_config_static_selectorELNS0_4arch9wavefront6targetE1EEEvT1_,comdat
.Lfunc_end222:
	.size	_ZN7rocprim17ROCPRIM_400000_NS6detail17trampoline_kernelINS0_14default_configENS1_29reduce_by_key_config_selectorIffN6thrust23THRUST_200600_302600_NS4plusIfEEEEZZNS1_33reduce_by_key_impl_wrapped_configILNS1_25lookback_scan_determinismE0ES3_S9_NS6_6detail15normal_iteratorINS6_10device_ptrIfEEEESG_SG_SG_PmS8_22is_equal_div_10_reduceIfEEE10hipError_tPvRmT2_T3_mT4_T5_T6_T7_T8_P12ihipStream_tbENKUlT_T0_E_clISt17integral_constantIbLb1EES10_IbLb0EEEEDaSW_SX_EUlSW_E_NS1_11comp_targetILNS1_3genE2ELNS1_11target_archE906ELNS1_3gpuE6ELNS1_3repE0EEENS1_30default_config_static_selectorELNS0_4arch9wavefront6targetE1EEEvT1_, .Lfunc_end222-_ZN7rocprim17ROCPRIM_400000_NS6detail17trampoline_kernelINS0_14default_configENS1_29reduce_by_key_config_selectorIffN6thrust23THRUST_200600_302600_NS4plusIfEEEEZZNS1_33reduce_by_key_impl_wrapped_configILNS1_25lookback_scan_determinismE0ES3_S9_NS6_6detail15normal_iteratorINS6_10device_ptrIfEEEESG_SG_SG_PmS8_22is_equal_div_10_reduceIfEEE10hipError_tPvRmT2_T3_mT4_T5_T6_T7_T8_P12ihipStream_tbENKUlT_T0_E_clISt17integral_constantIbLb1EES10_IbLb0EEEEDaSW_SX_EUlSW_E_NS1_11comp_targetILNS1_3genE2ELNS1_11target_archE906ELNS1_3gpuE6ELNS1_3repE0EEENS1_30default_config_static_selectorELNS0_4arch9wavefront6targetE1EEEvT1_
                                        ; -- End function
	.section	.AMDGPU.csdata,"",@progbits
; Kernel info:
; codeLenInByte = 0
; NumSgprs: 4
; NumVgprs: 0
; NumAgprs: 0
; TotalNumVgprs: 0
; ScratchSize: 0
; MemoryBound: 0
; FloatMode: 240
; IeeeMode: 1
; LDSByteSize: 0 bytes/workgroup (compile time only)
; SGPRBlocks: 0
; VGPRBlocks: 0
; NumSGPRsForWavesPerEU: 4
; NumVGPRsForWavesPerEU: 1
; AccumOffset: 4
; Occupancy: 8
; WaveLimiterHint : 0
; COMPUTE_PGM_RSRC2:SCRATCH_EN: 0
; COMPUTE_PGM_RSRC2:USER_SGPR: 6
; COMPUTE_PGM_RSRC2:TRAP_HANDLER: 0
; COMPUTE_PGM_RSRC2:TGID_X_EN: 1
; COMPUTE_PGM_RSRC2:TGID_Y_EN: 0
; COMPUTE_PGM_RSRC2:TGID_Z_EN: 0
; COMPUTE_PGM_RSRC2:TIDIG_COMP_CNT: 0
; COMPUTE_PGM_RSRC3_GFX90A:ACCUM_OFFSET: 0
; COMPUTE_PGM_RSRC3_GFX90A:TG_SPLIT: 0
	.section	.text._ZN7rocprim17ROCPRIM_400000_NS6detail17trampoline_kernelINS0_14default_configENS1_29reduce_by_key_config_selectorIffN6thrust23THRUST_200600_302600_NS4plusIfEEEEZZNS1_33reduce_by_key_impl_wrapped_configILNS1_25lookback_scan_determinismE0ES3_S9_NS6_6detail15normal_iteratorINS6_10device_ptrIfEEEESG_SG_SG_PmS8_22is_equal_div_10_reduceIfEEE10hipError_tPvRmT2_T3_mT4_T5_T6_T7_T8_P12ihipStream_tbENKUlT_T0_E_clISt17integral_constantIbLb1EES10_IbLb0EEEEDaSW_SX_EUlSW_E_NS1_11comp_targetILNS1_3genE10ELNS1_11target_archE1201ELNS1_3gpuE5ELNS1_3repE0EEENS1_30default_config_static_selectorELNS0_4arch9wavefront6targetE1EEEvT1_,"axG",@progbits,_ZN7rocprim17ROCPRIM_400000_NS6detail17trampoline_kernelINS0_14default_configENS1_29reduce_by_key_config_selectorIffN6thrust23THRUST_200600_302600_NS4plusIfEEEEZZNS1_33reduce_by_key_impl_wrapped_configILNS1_25lookback_scan_determinismE0ES3_S9_NS6_6detail15normal_iteratorINS6_10device_ptrIfEEEESG_SG_SG_PmS8_22is_equal_div_10_reduceIfEEE10hipError_tPvRmT2_T3_mT4_T5_T6_T7_T8_P12ihipStream_tbENKUlT_T0_E_clISt17integral_constantIbLb1EES10_IbLb0EEEEDaSW_SX_EUlSW_E_NS1_11comp_targetILNS1_3genE10ELNS1_11target_archE1201ELNS1_3gpuE5ELNS1_3repE0EEENS1_30default_config_static_selectorELNS0_4arch9wavefront6targetE1EEEvT1_,comdat
	.protected	_ZN7rocprim17ROCPRIM_400000_NS6detail17trampoline_kernelINS0_14default_configENS1_29reduce_by_key_config_selectorIffN6thrust23THRUST_200600_302600_NS4plusIfEEEEZZNS1_33reduce_by_key_impl_wrapped_configILNS1_25lookback_scan_determinismE0ES3_S9_NS6_6detail15normal_iteratorINS6_10device_ptrIfEEEESG_SG_SG_PmS8_22is_equal_div_10_reduceIfEEE10hipError_tPvRmT2_T3_mT4_T5_T6_T7_T8_P12ihipStream_tbENKUlT_T0_E_clISt17integral_constantIbLb1EES10_IbLb0EEEEDaSW_SX_EUlSW_E_NS1_11comp_targetILNS1_3genE10ELNS1_11target_archE1201ELNS1_3gpuE5ELNS1_3repE0EEENS1_30default_config_static_selectorELNS0_4arch9wavefront6targetE1EEEvT1_ ; -- Begin function _ZN7rocprim17ROCPRIM_400000_NS6detail17trampoline_kernelINS0_14default_configENS1_29reduce_by_key_config_selectorIffN6thrust23THRUST_200600_302600_NS4plusIfEEEEZZNS1_33reduce_by_key_impl_wrapped_configILNS1_25lookback_scan_determinismE0ES3_S9_NS6_6detail15normal_iteratorINS6_10device_ptrIfEEEESG_SG_SG_PmS8_22is_equal_div_10_reduceIfEEE10hipError_tPvRmT2_T3_mT4_T5_T6_T7_T8_P12ihipStream_tbENKUlT_T0_E_clISt17integral_constantIbLb1EES10_IbLb0EEEEDaSW_SX_EUlSW_E_NS1_11comp_targetILNS1_3genE10ELNS1_11target_archE1201ELNS1_3gpuE5ELNS1_3repE0EEENS1_30default_config_static_selectorELNS0_4arch9wavefront6targetE1EEEvT1_
	.globl	_ZN7rocprim17ROCPRIM_400000_NS6detail17trampoline_kernelINS0_14default_configENS1_29reduce_by_key_config_selectorIffN6thrust23THRUST_200600_302600_NS4plusIfEEEEZZNS1_33reduce_by_key_impl_wrapped_configILNS1_25lookback_scan_determinismE0ES3_S9_NS6_6detail15normal_iteratorINS6_10device_ptrIfEEEESG_SG_SG_PmS8_22is_equal_div_10_reduceIfEEE10hipError_tPvRmT2_T3_mT4_T5_T6_T7_T8_P12ihipStream_tbENKUlT_T0_E_clISt17integral_constantIbLb1EES10_IbLb0EEEEDaSW_SX_EUlSW_E_NS1_11comp_targetILNS1_3genE10ELNS1_11target_archE1201ELNS1_3gpuE5ELNS1_3repE0EEENS1_30default_config_static_selectorELNS0_4arch9wavefront6targetE1EEEvT1_
	.p2align	8
	.type	_ZN7rocprim17ROCPRIM_400000_NS6detail17trampoline_kernelINS0_14default_configENS1_29reduce_by_key_config_selectorIffN6thrust23THRUST_200600_302600_NS4plusIfEEEEZZNS1_33reduce_by_key_impl_wrapped_configILNS1_25lookback_scan_determinismE0ES3_S9_NS6_6detail15normal_iteratorINS6_10device_ptrIfEEEESG_SG_SG_PmS8_22is_equal_div_10_reduceIfEEE10hipError_tPvRmT2_T3_mT4_T5_T6_T7_T8_P12ihipStream_tbENKUlT_T0_E_clISt17integral_constantIbLb1EES10_IbLb0EEEEDaSW_SX_EUlSW_E_NS1_11comp_targetILNS1_3genE10ELNS1_11target_archE1201ELNS1_3gpuE5ELNS1_3repE0EEENS1_30default_config_static_selectorELNS0_4arch9wavefront6targetE1EEEvT1_,@function
_ZN7rocprim17ROCPRIM_400000_NS6detail17trampoline_kernelINS0_14default_configENS1_29reduce_by_key_config_selectorIffN6thrust23THRUST_200600_302600_NS4plusIfEEEEZZNS1_33reduce_by_key_impl_wrapped_configILNS1_25lookback_scan_determinismE0ES3_S9_NS6_6detail15normal_iteratorINS6_10device_ptrIfEEEESG_SG_SG_PmS8_22is_equal_div_10_reduceIfEEE10hipError_tPvRmT2_T3_mT4_T5_T6_T7_T8_P12ihipStream_tbENKUlT_T0_E_clISt17integral_constantIbLb1EES10_IbLb0EEEEDaSW_SX_EUlSW_E_NS1_11comp_targetILNS1_3genE10ELNS1_11target_archE1201ELNS1_3gpuE5ELNS1_3repE0EEENS1_30default_config_static_selectorELNS0_4arch9wavefront6targetE1EEEvT1_: ; @_ZN7rocprim17ROCPRIM_400000_NS6detail17trampoline_kernelINS0_14default_configENS1_29reduce_by_key_config_selectorIffN6thrust23THRUST_200600_302600_NS4plusIfEEEEZZNS1_33reduce_by_key_impl_wrapped_configILNS1_25lookback_scan_determinismE0ES3_S9_NS6_6detail15normal_iteratorINS6_10device_ptrIfEEEESG_SG_SG_PmS8_22is_equal_div_10_reduceIfEEE10hipError_tPvRmT2_T3_mT4_T5_T6_T7_T8_P12ihipStream_tbENKUlT_T0_E_clISt17integral_constantIbLb1EES10_IbLb0EEEEDaSW_SX_EUlSW_E_NS1_11comp_targetILNS1_3genE10ELNS1_11target_archE1201ELNS1_3gpuE5ELNS1_3repE0EEENS1_30default_config_static_selectorELNS0_4arch9wavefront6targetE1EEEvT1_
; %bb.0:
	.section	.rodata,"a",@progbits
	.p2align	6, 0x0
	.amdhsa_kernel _ZN7rocprim17ROCPRIM_400000_NS6detail17trampoline_kernelINS0_14default_configENS1_29reduce_by_key_config_selectorIffN6thrust23THRUST_200600_302600_NS4plusIfEEEEZZNS1_33reduce_by_key_impl_wrapped_configILNS1_25lookback_scan_determinismE0ES3_S9_NS6_6detail15normal_iteratorINS6_10device_ptrIfEEEESG_SG_SG_PmS8_22is_equal_div_10_reduceIfEEE10hipError_tPvRmT2_T3_mT4_T5_T6_T7_T8_P12ihipStream_tbENKUlT_T0_E_clISt17integral_constantIbLb1EES10_IbLb0EEEEDaSW_SX_EUlSW_E_NS1_11comp_targetILNS1_3genE10ELNS1_11target_archE1201ELNS1_3gpuE5ELNS1_3repE0EEENS1_30default_config_static_selectorELNS0_4arch9wavefront6targetE1EEEvT1_
		.amdhsa_group_segment_fixed_size 0
		.amdhsa_private_segment_fixed_size 0
		.amdhsa_kernarg_size 120
		.amdhsa_user_sgpr_count 6
		.amdhsa_user_sgpr_private_segment_buffer 1
		.amdhsa_user_sgpr_dispatch_ptr 0
		.amdhsa_user_sgpr_queue_ptr 0
		.amdhsa_user_sgpr_kernarg_segment_ptr 1
		.amdhsa_user_sgpr_dispatch_id 0
		.amdhsa_user_sgpr_flat_scratch_init 0
		.amdhsa_user_sgpr_kernarg_preload_length 0
		.amdhsa_user_sgpr_kernarg_preload_offset 0
		.amdhsa_user_sgpr_private_segment_size 0
		.amdhsa_uses_dynamic_stack 0
		.amdhsa_system_sgpr_private_segment_wavefront_offset 0
		.amdhsa_system_sgpr_workgroup_id_x 1
		.amdhsa_system_sgpr_workgroup_id_y 0
		.amdhsa_system_sgpr_workgroup_id_z 0
		.amdhsa_system_sgpr_workgroup_info 0
		.amdhsa_system_vgpr_workitem_id 0
		.amdhsa_next_free_vgpr 1
		.amdhsa_next_free_sgpr 0
		.amdhsa_accum_offset 4
		.amdhsa_reserve_vcc 0
		.amdhsa_reserve_flat_scratch 0
		.amdhsa_float_round_mode_32 0
		.amdhsa_float_round_mode_16_64 0
		.amdhsa_float_denorm_mode_32 3
		.amdhsa_float_denorm_mode_16_64 3
		.amdhsa_dx10_clamp 1
		.amdhsa_ieee_mode 1
		.amdhsa_fp16_overflow 0
		.amdhsa_tg_split 0
		.amdhsa_exception_fp_ieee_invalid_op 0
		.amdhsa_exception_fp_denorm_src 0
		.amdhsa_exception_fp_ieee_div_zero 0
		.amdhsa_exception_fp_ieee_overflow 0
		.amdhsa_exception_fp_ieee_underflow 0
		.amdhsa_exception_fp_ieee_inexact 0
		.amdhsa_exception_int_div_zero 0
	.end_amdhsa_kernel
	.section	.text._ZN7rocprim17ROCPRIM_400000_NS6detail17trampoline_kernelINS0_14default_configENS1_29reduce_by_key_config_selectorIffN6thrust23THRUST_200600_302600_NS4plusIfEEEEZZNS1_33reduce_by_key_impl_wrapped_configILNS1_25lookback_scan_determinismE0ES3_S9_NS6_6detail15normal_iteratorINS6_10device_ptrIfEEEESG_SG_SG_PmS8_22is_equal_div_10_reduceIfEEE10hipError_tPvRmT2_T3_mT4_T5_T6_T7_T8_P12ihipStream_tbENKUlT_T0_E_clISt17integral_constantIbLb1EES10_IbLb0EEEEDaSW_SX_EUlSW_E_NS1_11comp_targetILNS1_3genE10ELNS1_11target_archE1201ELNS1_3gpuE5ELNS1_3repE0EEENS1_30default_config_static_selectorELNS0_4arch9wavefront6targetE1EEEvT1_,"axG",@progbits,_ZN7rocprim17ROCPRIM_400000_NS6detail17trampoline_kernelINS0_14default_configENS1_29reduce_by_key_config_selectorIffN6thrust23THRUST_200600_302600_NS4plusIfEEEEZZNS1_33reduce_by_key_impl_wrapped_configILNS1_25lookback_scan_determinismE0ES3_S9_NS6_6detail15normal_iteratorINS6_10device_ptrIfEEEESG_SG_SG_PmS8_22is_equal_div_10_reduceIfEEE10hipError_tPvRmT2_T3_mT4_T5_T6_T7_T8_P12ihipStream_tbENKUlT_T0_E_clISt17integral_constantIbLb1EES10_IbLb0EEEEDaSW_SX_EUlSW_E_NS1_11comp_targetILNS1_3genE10ELNS1_11target_archE1201ELNS1_3gpuE5ELNS1_3repE0EEENS1_30default_config_static_selectorELNS0_4arch9wavefront6targetE1EEEvT1_,comdat
.Lfunc_end223:
	.size	_ZN7rocprim17ROCPRIM_400000_NS6detail17trampoline_kernelINS0_14default_configENS1_29reduce_by_key_config_selectorIffN6thrust23THRUST_200600_302600_NS4plusIfEEEEZZNS1_33reduce_by_key_impl_wrapped_configILNS1_25lookback_scan_determinismE0ES3_S9_NS6_6detail15normal_iteratorINS6_10device_ptrIfEEEESG_SG_SG_PmS8_22is_equal_div_10_reduceIfEEE10hipError_tPvRmT2_T3_mT4_T5_T6_T7_T8_P12ihipStream_tbENKUlT_T0_E_clISt17integral_constantIbLb1EES10_IbLb0EEEEDaSW_SX_EUlSW_E_NS1_11comp_targetILNS1_3genE10ELNS1_11target_archE1201ELNS1_3gpuE5ELNS1_3repE0EEENS1_30default_config_static_selectorELNS0_4arch9wavefront6targetE1EEEvT1_, .Lfunc_end223-_ZN7rocprim17ROCPRIM_400000_NS6detail17trampoline_kernelINS0_14default_configENS1_29reduce_by_key_config_selectorIffN6thrust23THRUST_200600_302600_NS4plusIfEEEEZZNS1_33reduce_by_key_impl_wrapped_configILNS1_25lookback_scan_determinismE0ES3_S9_NS6_6detail15normal_iteratorINS6_10device_ptrIfEEEESG_SG_SG_PmS8_22is_equal_div_10_reduceIfEEE10hipError_tPvRmT2_T3_mT4_T5_T6_T7_T8_P12ihipStream_tbENKUlT_T0_E_clISt17integral_constantIbLb1EES10_IbLb0EEEEDaSW_SX_EUlSW_E_NS1_11comp_targetILNS1_3genE10ELNS1_11target_archE1201ELNS1_3gpuE5ELNS1_3repE0EEENS1_30default_config_static_selectorELNS0_4arch9wavefront6targetE1EEEvT1_
                                        ; -- End function
	.section	.AMDGPU.csdata,"",@progbits
; Kernel info:
; codeLenInByte = 0
; NumSgprs: 4
; NumVgprs: 0
; NumAgprs: 0
; TotalNumVgprs: 0
; ScratchSize: 0
; MemoryBound: 0
; FloatMode: 240
; IeeeMode: 1
; LDSByteSize: 0 bytes/workgroup (compile time only)
; SGPRBlocks: 0
; VGPRBlocks: 0
; NumSGPRsForWavesPerEU: 4
; NumVGPRsForWavesPerEU: 1
; AccumOffset: 4
; Occupancy: 8
; WaveLimiterHint : 0
; COMPUTE_PGM_RSRC2:SCRATCH_EN: 0
; COMPUTE_PGM_RSRC2:USER_SGPR: 6
; COMPUTE_PGM_RSRC2:TRAP_HANDLER: 0
; COMPUTE_PGM_RSRC2:TGID_X_EN: 1
; COMPUTE_PGM_RSRC2:TGID_Y_EN: 0
; COMPUTE_PGM_RSRC2:TGID_Z_EN: 0
; COMPUTE_PGM_RSRC2:TIDIG_COMP_CNT: 0
; COMPUTE_PGM_RSRC3_GFX90A:ACCUM_OFFSET: 0
; COMPUTE_PGM_RSRC3_GFX90A:TG_SPLIT: 0
	.section	.text._ZN7rocprim17ROCPRIM_400000_NS6detail17trampoline_kernelINS0_14default_configENS1_29reduce_by_key_config_selectorIffN6thrust23THRUST_200600_302600_NS4plusIfEEEEZZNS1_33reduce_by_key_impl_wrapped_configILNS1_25lookback_scan_determinismE0ES3_S9_NS6_6detail15normal_iteratorINS6_10device_ptrIfEEEESG_SG_SG_PmS8_22is_equal_div_10_reduceIfEEE10hipError_tPvRmT2_T3_mT4_T5_T6_T7_T8_P12ihipStream_tbENKUlT_T0_E_clISt17integral_constantIbLb1EES10_IbLb0EEEEDaSW_SX_EUlSW_E_NS1_11comp_targetILNS1_3genE10ELNS1_11target_archE1200ELNS1_3gpuE4ELNS1_3repE0EEENS1_30default_config_static_selectorELNS0_4arch9wavefront6targetE1EEEvT1_,"axG",@progbits,_ZN7rocprim17ROCPRIM_400000_NS6detail17trampoline_kernelINS0_14default_configENS1_29reduce_by_key_config_selectorIffN6thrust23THRUST_200600_302600_NS4plusIfEEEEZZNS1_33reduce_by_key_impl_wrapped_configILNS1_25lookback_scan_determinismE0ES3_S9_NS6_6detail15normal_iteratorINS6_10device_ptrIfEEEESG_SG_SG_PmS8_22is_equal_div_10_reduceIfEEE10hipError_tPvRmT2_T3_mT4_T5_T6_T7_T8_P12ihipStream_tbENKUlT_T0_E_clISt17integral_constantIbLb1EES10_IbLb0EEEEDaSW_SX_EUlSW_E_NS1_11comp_targetILNS1_3genE10ELNS1_11target_archE1200ELNS1_3gpuE4ELNS1_3repE0EEENS1_30default_config_static_selectorELNS0_4arch9wavefront6targetE1EEEvT1_,comdat
	.protected	_ZN7rocprim17ROCPRIM_400000_NS6detail17trampoline_kernelINS0_14default_configENS1_29reduce_by_key_config_selectorIffN6thrust23THRUST_200600_302600_NS4plusIfEEEEZZNS1_33reduce_by_key_impl_wrapped_configILNS1_25lookback_scan_determinismE0ES3_S9_NS6_6detail15normal_iteratorINS6_10device_ptrIfEEEESG_SG_SG_PmS8_22is_equal_div_10_reduceIfEEE10hipError_tPvRmT2_T3_mT4_T5_T6_T7_T8_P12ihipStream_tbENKUlT_T0_E_clISt17integral_constantIbLb1EES10_IbLb0EEEEDaSW_SX_EUlSW_E_NS1_11comp_targetILNS1_3genE10ELNS1_11target_archE1200ELNS1_3gpuE4ELNS1_3repE0EEENS1_30default_config_static_selectorELNS0_4arch9wavefront6targetE1EEEvT1_ ; -- Begin function _ZN7rocprim17ROCPRIM_400000_NS6detail17trampoline_kernelINS0_14default_configENS1_29reduce_by_key_config_selectorIffN6thrust23THRUST_200600_302600_NS4plusIfEEEEZZNS1_33reduce_by_key_impl_wrapped_configILNS1_25lookback_scan_determinismE0ES3_S9_NS6_6detail15normal_iteratorINS6_10device_ptrIfEEEESG_SG_SG_PmS8_22is_equal_div_10_reduceIfEEE10hipError_tPvRmT2_T3_mT4_T5_T6_T7_T8_P12ihipStream_tbENKUlT_T0_E_clISt17integral_constantIbLb1EES10_IbLb0EEEEDaSW_SX_EUlSW_E_NS1_11comp_targetILNS1_3genE10ELNS1_11target_archE1200ELNS1_3gpuE4ELNS1_3repE0EEENS1_30default_config_static_selectorELNS0_4arch9wavefront6targetE1EEEvT1_
	.globl	_ZN7rocprim17ROCPRIM_400000_NS6detail17trampoline_kernelINS0_14default_configENS1_29reduce_by_key_config_selectorIffN6thrust23THRUST_200600_302600_NS4plusIfEEEEZZNS1_33reduce_by_key_impl_wrapped_configILNS1_25lookback_scan_determinismE0ES3_S9_NS6_6detail15normal_iteratorINS6_10device_ptrIfEEEESG_SG_SG_PmS8_22is_equal_div_10_reduceIfEEE10hipError_tPvRmT2_T3_mT4_T5_T6_T7_T8_P12ihipStream_tbENKUlT_T0_E_clISt17integral_constantIbLb1EES10_IbLb0EEEEDaSW_SX_EUlSW_E_NS1_11comp_targetILNS1_3genE10ELNS1_11target_archE1200ELNS1_3gpuE4ELNS1_3repE0EEENS1_30default_config_static_selectorELNS0_4arch9wavefront6targetE1EEEvT1_
	.p2align	8
	.type	_ZN7rocprim17ROCPRIM_400000_NS6detail17trampoline_kernelINS0_14default_configENS1_29reduce_by_key_config_selectorIffN6thrust23THRUST_200600_302600_NS4plusIfEEEEZZNS1_33reduce_by_key_impl_wrapped_configILNS1_25lookback_scan_determinismE0ES3_S9_NS6_6detail15normal_iteratorINS6_10device_ptrIfEEEESG_SG_SG_PmS8_22is_equal_div_10_reduceIfEEE10hipError_tPvRmT2_T3_mT4_T5_T6_T7_T8_P12ihipStream_tbENKUlT_T0_E_clISt17integral_constantIbLb1EES10_IbLb0EEEEDaSW_SX_EUlSW_E_NS1_11comp_targetILNS1_3genE10ELNS1_11target_archE1200ELNS1_3gpuE4ELNS1_3repE0EEENS1_30default_config_static_selectorELNS0_4arch9wavefront6targetE1EEEvT1_,@function
_ZN7rocprim17ROCPRIM_400000_NS6detail17trampoline_kernelINS0_14default_configENS1_29reduce_by_key_config_selectorIffN6thrust23THRUST_200600_302600_NS4plusIfEEEEZZNS1_33reduce_by_key_impl_wrapped_configILNS1_25lookback_scan_determinismE0ES3_S9_NS6_6detail15normal_iteratorINS6_10device_ptrIfEEEESG_SG_SG_PmS8_22is_equal_div_10_reduceIfEEE10hipError_tPvRmT2_T3_mT4_T5_T6_T7_T8_P12ihipStream_tbENKUlT_T0_E_clISt17integral_constantIbLb1EES10_IbLb0EEEEDaSW_SX_EUlSW_E_NS1_11comp_targetILNS1_3genE10ELNS1_11target_archE1200ELNS1_3gpuE4ELNS1_3repE0EEENS1_30default_config_static_selectorELNS0_4arch9wavefront6targetE1EEEvT1_: ; @_ZN7rocprim17ROCPRIM_400000_NS6detail17trampoline_kernelINS0_14default_configENS1_29reduce_by_key_config_selectorIffN6thrust23THRUST_200600_302600_NS4plusIfEEEEZZNS1_33reduce_by_key_impl_wrapped_configILNS1_25lookback_scan_determinismE0ES3_S9_NS6_6detail15normal_iteratorINS6_10device_ptrIfEEEESG_SG_SG_PmS8_22is_equal_div_10_reduceIfEEE10hipError_tPvRmT2_T3_mT4_T5_T6_T7_T8_P12ihipStream_tbENKUlT_T0_E_clISt17integral_constantIbLb1EES10_IbLb0EEEEDaSW_SX_EUlSW_E_NS1_11comp_targetILNS1_3genE10ELNS1_11target_archE1200ELNS1_3gpuE4ELNS1_3repE0EEENS1_30default_config_static_selectorELNS0_4arch9wavefront6targetE1EEEvT1_
; %bb.0:
	.section	.rodata,"a",@progbits
	.p2align	6, 0x0
	.amdhsa_kernel _ZN7rocprim17ROCPRIM_400000_NS6detail17trampoline_kernelINS0_14default_configENS1_29reduce_by_key_config_selectorIffN6thrust23THRUST_200600_302600_NS4plusIfEEEEZZNS1_33reduce_by_key_impl_wrapped_configILNS1_25lookback_scan_determinismE0ES3_S9_NS6_6detail15normal_iteratorINS6_10device_ptrIfEEEESG_SG_SG_PmS8_22is_equal_div_10_reduceIfEEE10hipError_tPvRmT2_T3_mT4_T5_T6_T7_T8_P12ihipStream_tbENKUlT_T0_E_clISt17integral_constantIbLb1EES10_IbLb0EEEEDaSW_SX_EUlSW_E_NS1_11comp_targetILNS1_3genE10ELNS1_11target_archE1200ELNS1_3gpuE4ELNS1_3repE0EEENS1_30default_config_static_selectorELNS0_4arch9wavefront6targetE1EEEvT1_
		.amdhsa_group_segment_fixed_size 0
		.amdhsa_private_segment_fixed_size 0
		.amdhsa_kernarg_size 120
		.amdhsa_user_sgpr_count 6
		.amdhsa_user_sgpr_private_segment_buffer 1
		.amdhsa_user_sgpr_dispatch_ptr 0
		.amdhsa_user_sgpr_queue_ptr 0
		.amdhsa_user_sgpr_kernarg_segment_ptr 1
		.amdhsa_user_sgpr_dispatch_id 0
		.amdhsa_user_sgpr_flat_scratch_init 0
		.amdhsa_user_sgpr_kernarg_preload_length 0
		.amdhsa_user_sgpr_kernarg_preload_offset 0
		.amdhsa_user_sgpr_private_segment_size 0
		.amdhsa_uses_dynamic_stack 0
		.amdhsa_system_sgpr_private_segment_wavefront_offset 0
		.amdhsa_system_sgpr_workgroup_id_x 1
		.amdhsa_system_sgpr_workgroup_id_y 0
		.amdhsa_system_sgpr_workgroup_id_z 0
		.amdhsa_system_sgpr_workgroup_info 0
		.amdhsa_system_vgpr_workitem_id 0
		.amdhsa_next_free_vgpr 1
		.amdhsa_next_free_sgpr 0
		.amdhsa_accum_offset 4
		.amdhsa_reserve_vcc 0
		.amdhsa_reserve_flat_scratch 0
		.amdhsa_float_round_mode_32 0
		.amdhsa_float_round_mode_16_64 0
		.amdhsa_float_denorm_mode_32 3
		.amdhsa_float_denorm_mode_16_64 3
		.amdhsa_dx10_clamp 1
		.amdhsa_ieee_mode 1
		.amdhsa_fp16_overflow 0
		.amdhsa_tg_split 0
		.amdhsa_exception_fp_ieee_invalid_op 0
		.amdhsa_exception_fp_denorm_src 0
		.amdhsa_exception_fp_ieee_div_zero 0
		.amdhsa_exception_fp_ieee_overflow 0
		.amdhsa_exception_fp_ieee_underflow 0
		.amdhsa_exception_fp_ieee_inexact 0
		.amdhsa_exception_int_div_zero 0
	.end_amdhsa_kernel
	.section	.text._ZN7rocprim17ROCPRIM_400000_NS6detail17trampoline_kernelINS0_14default_configENS1_29reduce_by_key_config_selectorIffN6thrust23THRUST_200600_302600_NS4plusIfEEEEZZNS1_33reduce_by_key_impl_wrapped_configILNS1_25lookback_scan_determinismE0ES3_S9_NS6_6detail15normal_iteratorINS6_10device_ptrIfEEEESG_SG_SG_PmS8_22is_equal_div_10_reduceIfEEE10hipError_tPvRmT2_T3_mT4_T5_T6_T7_T8_P12ihipStream_tbENKUlT_T0_E_clISt17integral_constantIbLb1EES10_IbLb0EEEEDaSW_SX_EUlSW_E_NS1_11comp_targetILNS1_3genE10ELNS1_11target_archE1200ELNS1_3gpuE4ELNS1_3repE0EEENS1_30default_config_static_selectorELNS0_4arch9wavefront6targetE1EEEvT1_,"axG",@progbits,_ZN7rocprim17ROCPRIM_400000_NS6detail17trampoline_kernelINS0_14default_configENS1_29reduce_by_key_config_selectorIffN6thrust23THRUST_200600_302600_NS4plusIfEEEEZZNS1_33reduce_by_key_impl_wrapped_configILNS1_25lookback_scan_determinismE0ES3_S9_NS6_6detail15normal_iteratorINS6_10device_ptrIfEEEESG_SG_SG_PmS8_22is_equal_div_10_reduceIfEEE10hipError_tPvRmT2_T3_mT4_T5_T6_T7_T8_P12ihipStream_tbENKUlT_T0_E_clISt17integral_constantIbLb1EES10_IbLb0EEEEDaSW_SX_EUlSW_E_NS1_11comp_targetILNS1_3genE10ELNS1_11target_archE1200ELNS1_3gpuE4ELNS1_3repE0EEENS1_30default_config_static_selectorELNS0_4arch9wavefront6targetE1EEEvT1_,comdat
.Lfunc_end224:
	.size	_ZN7rocprim17ROCPRIM_400000_NS6detail17trampoline_kernelINS0_14default_configENS1_29reduce_by_key_config_selectorIffN6thrust23THRUST_200600_302600_NS4plusIfEEEEZZNS1_33reduce_by_key_impl_wrapped_configILNS1_25lookback_scan_determinismE0ES3_S9_NS6_6detail15normal_iteratorINS6_10device_ptrIfEEEESG_SG_SG_PmS8_22is_equal_div_10_reduceIfEEE10hipError_tPvRmT2_T3_mT4_T5_T6_T7_T8_P12ihipStream_tbENKUlT_T0_E_clISt17integral_constantIbLb1EES10_IbLb0EEEEDaSW_SX_EUlSW_E_NS1_11comp_targetILNS1_3genE10ELNS1_11target_archE1200ELNS1_3gpuE4ELNS1_3repE0EEENS1_30default_config_static_selectorELNS0_4arch9wavefront6targetE1EEEvT1_, .Lfunc_end224-_ZN7rocprim17ROCPRIM_400000_NS6detail17trampoline_kernelINS0_14default_configENS1_29reduce_by_key_config_selectorIffN6thrust23THRUST_200600_302600_NS4plusIfEEEEZZNS1_33reduce_by_key_impl_wrapped_configILNS1_25lookback_scan_determinismE0ES3_S9_NS6_6detail15normal_iteratorINS6_10device_ptrIfEEEESG_SG_SG_PmS8_22is_equal_div_10_reduceIfEEE10hipError_tPvRmT2_T3_mT4_T5_T6_T7_T8_P12ihipStream_tbENKUlT_T0_E_clISt17integral_constantIbLb1EES10_IbLb0EEEEDaSW_SX_EUlSW_E_NS1_11comp_targetILNS1_3genE10ELNS1_11target_archE1200ELNS1_3gpuE4ELNS1_3repE0EEENS1_30default_config_static_selectorELNS0_4arch9wavefront6targetE1EEEvT1_
                                        ; -- End function
	.section	.AMDGPU.csdata,"",@progbits
; Kernel info:
; codeLenInByte = 0
; NumSgprs: 4
; NumVgprs: 0
; NumAgprs: 0
; TotalNumVgprs: 0
; ScratchSize: 0
; MemoryBound: 0
; FloatMode: 240
; IeeeMode: 1
; LDSByteSize: 0 bytes/workgroup (compile time only)
; SGPRBlocks: 0
; VGPRBlocks: 0
; NumSGPRsForWavesPerEU: 4
; NumVGPRsForWavesPerEU: 1
; AccumOffset: 4
; Occupancy: 8
; WaveLimiterHint : 0
; COMPUTE_PGM_RSRC2:SCRATCH_EN: 0
; COMPUTE_PGM_RSRC2:USER_SGPR: 6
; COMPUTE_PGM_RSRC2:TRAP_HANDLER: 0
; COMPUTE_PGM_RSRC2:TGID_X_EN: 1
; COMPUTE_PGM_RSRC2:TGID_Y_EN: 0
; COMPUTE_PGM_RSRC2:TGID_Z_EN: 0
; COMPUTE_PGM_RSRC2:TIDIG_COMP_CNT: 0
; COMPUTE_PGM_RSRC3_GFX90A:ACCUM_OFFSET: 0
; COMPUTE_PGM_RSRC3_GFX90A:TG_SPLIT: 0
	.section	.text._ZN7rocprim17ROCPRIM_400000_NS6detail17trampoline_kernelINS0_14default_configENS1_29reduce_by_key_config_selectorIffN6thrust23THRUST_200600_302600_NS4plusIfEEEEZZNS1_33reduce_by_key_impl_wrapped_configILNS1_25lookback_scan_determinismE0ES3_S9_NS6_6detail15normal_iteratorINS6_10device_ptrIfEEEESG_SG_SG_PmS8_22is_equal_div_10_reduceIfEEE10hipError_tPvRmT2_T3_mT4_T5_T6_T7_T8_P12ihipStream_tbENKUlT_T0_E_clISt17integral_constantIbLb1EES10_IbLb0EEEEDaSW_SX_EUlSW_E_NS1_11comp_targetILNS1_3genE9ELNS1_11target_archE1100ELNS1_3gpuE3ELNS1_3repE0EEENS1_30default_config_static_selectorELNS0_4arch9wavefront6targetE1EEEvT1_,"axG",@progbits,_ZN7rocprim17ROCPRIM_400000_NS6detail17trampoline_kernelINS0_14default_configENS1_29reduce_by_key_config_selectorIffN6thrust23THRUST_200600_302600_NS4plusIfEEEEZZNS1_33reduce_by_key_impl_wrapped_configILNS1_25lookback_scan_determinismE0ES3_S9_NS6_6detail15normal_iteratorINS6_10device_ptrIfEEEESG_SG_SG_PmS8_22is_equal_div_10_reduceIfEEE10hipError_tPvRmT2_T3_mT4_T5_T6_T7_T8_P12ihipStream_tbENKUlT_T0_E_clISt17integral_constantIbLb1EES10_IbLb0EEEEDaSW_SX_EUlSW_E_NS1_11comp_targetILNS1_3genE9ELNS1_11target_archE1100ELNS1_3gpuE3ELNS1_3repE0EEENS1_30default_config_static_selectorELNS0_4arch9wavefront6targetE1EEEvT1_,comdat
	.protected	_ZN7rocprim17ROCPRIM_400000_NS6detail17trampoline_kernelINS0_14default_configENS1_29reduce_by_key_config_selectorIffN6thrust23THRUST_200600_302600_NS4plusIfEEEEZZNS1_33reduce_by_key_impl_wrapped_configILNS1_25lookback_scan_determinismE0ES3_S9_NS6_6detail15normal_iteratorINS6_10device_ptrIfEEEESG_SG_SG_PmS8_22is_equal_div_10_reduceIfEEE10hipError_tPvRmT2_T3_mT4_T5_T6_T7_T8_P12ihipStream_tbENKUlT_T0_E_clISt17integral_constantIbLb1EES10_IbLb0EEEEDaSW_SX_EUlSW_E_NS1_11comp_targetILNS1_3genE9ELNS1_11target_archE1100ELNS1_3gpuE3ELNS1_3repE0EEENS1_30default_config_static_selectorELNS0_4arch9wavefront6targetE1EEEvT1_ ; -- Begin function _ZN7rocprim17ROCPRIM_400000_NS6detail17trampoline_kernelINS0_14default_configENS1_29reduce_by_key_config_selectorIffN6thrust23THRUST_200600_302600_NS4plusIfEEEEZZNS1_33reduce_by_key_impl_wrapped_configILNS1_25lookback_scan_determinismE0ES3_S9_NS6_6detail15normal_iteratorINS6_10device_ptrIfEEEESG_SG_SG_PmS8_22is_equal_div_10_reduceIfEEE10hipError_tPvRmT2_T3_mT4_T5_T6_T7_T8_P12ihipStream_tbENKUlT_T0_E_clISt17integral_constantIbLb1EES10_IbLb0EEEEDaSW_SX_EUlSW_E_NS1_11comp_targetILNS1_3genE9ELNS1_11target_archE1100ELNS1_3gpuE3ELNS1_3repE0EEENS1_30default_config_static_selectorELNS0_4arch9wavefront6targetE1EEEvT1_
	.globl	_ZN7rocprim17ROCPRIM_400000_NS6detail17trampoline_kernelINS0_14default_configENS1_29reduce_by_key_config_selectorIffN6thrust23THRUST_200600_302600_NS4plusIfEEEEZZNS1_33reduce_by_key_impl_wrapped_configILNS1_25lookback_scan_determinismE0ES3_S9_NS6_6detail15normal_iteratorINS6_10device_ptrIfEEEESG_SG_SG_PmS8_22is_equal_div_10_reduceIfEEE10hipError_tPvRmT2_T3_mT4_T5_T6_T7_T8_P12ihipStream_tbENKUlT_T0_E_clISt17integral_constantIbLb1EES10_IbLb0EEEEDaSW_SX_EUlSW_E_NS1_11comp_targetILNS1_3genE9ELNS1_11target_archE1100ELNS1_3gpuE3ELNS1_3repE0EEENS1_30default_config_static_selectorELNS0_4arch9wavefront6targetE1EEEvT1_
	.p2align	8
	.type	_ZN7rocprim17ROCPRIM_400000_NS6detail17trampoline_kernelINS0_14default_configENS1_29reduce_by_key_config_selectorIffN6thrust23THRUST_200600_302600_NS4plusIfEEEEZZNS1_33reduce_by_key_impl_wrapped_configILNS1_25lookback_scan_determinismE0ES3_S9_NS6_6detail15normal_iteratorINS6_10device_ptrIfEEEESG_SG_SG_PmS8_22is_equal_div_10_reduceIfEEE10hipError_tPvRmT2_T3_mT4_T5_T6_T7_T8_P12ihipStream_tbENKUlT_T0_E_clISt17integral_constantIbLb1EES10_IbLb0EEEEDaSW_SX_EUlSW_E_NS1_11comp_targetILNS1_3genE9ELNS1_11target_archE1100ELNS1_3gpuE3ELNS1_3repE0EEENS1_30default_config_static_selectorELNS0_4arch9wavefront6targetE1EEEvT1_,@function
_ZN7rocprim17ROCPRIM_400000_NS6detail17trampoline_kernelINS0_14default_configENS1_29reduce_by_key_config_selectorIffN6thrust23THRUST_200600_302600_NS4plusIfEEEEZZNS1_33reduce_by_key_impl_wrapped_configILNS1_25lookback_scan_determinismE0ES3_S9_NS6_6detail15normal_iteratorINS6_10device_ptrIfEEEESG_SG_SG_PmS8_22is_equal_div_10_reduceIfEEE10hipError_tPvRmT2_T3_mT4_T5_T6_T7_T8_P12ihipStream_tbENKUlT_T0_E_clISt17integral_constantIbLb1EES10_IbLb0EEEEDaSW_SX_EUlSW_E_NS1_11comp_targetILNS1_3genE9ELNS1_11target_archE1100ELNS1_3gpuE3ELNS1_3repE0EEENS1_30default_config_static_selectorELNS0_4arch9wavefront6targetE1EEEvT1_: ; @_ZN7rocprim17ROCPRIM_400000_NS6detail17trampoline_kernelINS0_14default_configENS1_29reduce_by_key_config_selectorIffN6thrust23THRUST_200600_302600_NS4plusIfEEEEZZNS1_33reduce_by_key_impl_wrapped_configILNS1_25lookback_scan_determinismE0ES3_S9_NS6_6detail15normal_iteratorINS6_10device_ptrIfEEEESG_SG_SG_PmS8_22is_equal_div_10_reduceIfEEE10hipError_tPvRmT2_T3_mT4_T5_T6_T7_T8_P12ihipStream_tbENKUlT_T0_E_clISt17integral_constantIbLb1EES10_IbLb0EEEEDaSW_SX_EUlSW_E_NS1_11comp_targetILNS1_3genE9ELNS1_11target_archE1100ELNS1_3gpuE3ELNS1_3repE0EEENS1_30default_config_static_selectorELNS0_4arch9wavefront6targetE1EEEvT1_
; %bb.0:
	.section	.rodata,"a",@progbits
	.p2align	6, 0x0
	.amdhsa_kernel _ZN7rocprim17ROCPRIM_400000_NS6detail17trampoline_kernelINS0_14default_configENS1_29reduce_by_key_config_selectorIffN6thrust23THRUST_200600_302600_NS4plusIfEEEEZZNS1_33reduce_by_key_impl_wrapped_configILNS1_25lookback_scan_determinismE0ES3_S9_NS6_6detail15normal_iteratorINS6_10device_ptrIfEEEESG_SG_SG_PmS8_22is_equal_div_10_reduceIfEEE10hipError_tPvRmT2_T3_mT4_T5_T6_T7_T8_P12ihipStream_tbENKUlT_T0_E_clISt17integral_constantIbLb1EES10_IbLb0EEEEDaSW_SX_EUlSW_E_NS1_11comp_targetILNS1_3genE9ELNS1_11target_archE1100ELNS1_3gpuE3ELNS1_3repE0EEENS1_30default_config_static_selectorELNS0_4arch9wavefront6targetE1EEEvT1_
		.amdhsa_group_segment_fixed_size 0
		.amdhsa_private_segment_fixed_size 0
		.amdhsa_kernarg_size 120
		.amdhsa_user_sgpr_count 6
		.amdhsa_user_sgpr_private_segment_buffer 1
		.amdhsa_user_sgpr_dispatch_ptr 0
		.amdhsa_user_sgpr_queue_ptr 0
		.amdhsa_user_sgpr_kernarg_segment_ptr 1
		.amdhsa_user_sgpr_dispatch_id 0
		.amdhsa_user_sgpr_flat_scratch_init 0
		.amdhsa_user_sgpr_kernarg_preload_length 0
		.amdhsa_user_sgpr_kernarg_preload_offset 0
		.amdhsa_user_sgpr_private_segment_size 0
		.amdhsa_uses_dynamic_stack 0
		.amdhsa_system_sgpr_private_segment_wavefront_offset 0
		.amdhsa_system_sgpr_workgroup_id_x 1
		.amdhsa_system_sgpr_workgroup_id_y 0
		.amdhsa_system_sgpr_workgroup_id_z 0
		.amdhsa_system_sgpr_workgroup_info 0
		.amdhsa_system_vgpr_workitem_id 0
		.amdhsa_next_free_vgpr 1
		.amdhsa_next_free_sgpr 0
		.amdhsa_accum_offset 4
		.amdhsa_reserve_vcc 0
		.amdhsa_reserve_flat_scratch 0
		.amdhsa_float_round_mode_32 0
		.amdhsa_float_round_mode_16_64 0
		.amdhsa_float_denorm_mode_32 3
		.amdhsa_float_denorm_mode_16_64 3
		.amdhsa_dx10_clamp 1
		.amdhsa_ieee_mode 1
		.amdhsa_fp16_overflow 0
		.amdhsa_tg_split 0
		.amdhsa_exception_fp_ieee_invalid_op 0
		.amdhsa_exception_fp_denorm_src 0
		.amdhsa_exception_fp_ieee_div_zero 0
		.amdhsa_exception_fp_ieee_overflow 0
		.amdhsa_exception_fp_ieee_underflow 0
		.amdhsa_exception_fp_ieee_inexact 0
		.amdhsa_exception_int_div_zero 0
	.end_amdhsa_kernel
	.section	.text._ZN7rocprim17ROCPRIM_400000_NS6detail17trampoline_kernelINS0_14default_configENS1_29reduce_by_key_config_selectorIffN6thrust23THRUST_200600_302600_NS4plusIfEEEEZZNS1_33reduce_by_key_impl_wrapped_configILNS1_25lookback_scan_determinismE0ES3_S9_NS6_6detail15normal_iteratorINS6_10device_ptrIfEEEESG_SG_SG_PmS8_22is_equal_div_10_reduceIfEEE10hipError_tPvRmT2_T3_mT4_T5_T6_T7_T8_P12ihipStream_tbENKUlT_T0_E_clISt17integral_constantIbLb1EES10_IbLb0EEEEDaSW_SX_EUlSW_E_NS1_11comp_targetILNS1_3genE9ELNS1_11target_archE1100ELNS1_3gpuE3ELNS1_3repE0EEENS1_30default_config_static_selectorELNS0_4arch9wavefront6targetE1EEEvT1_,"axG",@progbits,_ZN7rocprim17ROCPRIM_400000_NS6detail17trampoline_kernelINS0_14default_configENS1_29reduce_by_key_config_selectorIffN6thrust23THRUST_200600_302600_NS4plusIfEEEEZZNS1_33reduce_by_key_impl_wrapped_configILNS1_25lookback_scan_determinismE0ES3_S9_NS6_6detail15normal_iteratorINS6_10device_ptrIfEEEESG_SG_SG_PmS8_22is_equal_div_10_reduceIfEEE10hipError_tPvRmT2_T3_mT4_T5_T6_T7_T8_P12ihipStream_tbENKUlT_T0_E_clISt17integral_constantIbLb1EES10_IbLb0EEEEDaSW_SX_EUlSW_E_NS1_11comp_targetILNS1_3genE9ELNS1_11target_archE1100ELNS1_3gpuE3ELNS1_3repE0EEENS1_30default_config_static_selectorELNS0_4arch9wavefront6targetE1EEEvT1_,comdat
.Lfunc_end225:
	.size	_ZN7rocprim17ROCPRIM_400000_NS6detail17trampoline_kernelINS0_14default_configENS1_29reduce_by_key_config_selectorIffN6thrust23THRUST_200600_302600_NS4plusIfEEEEZZNS1_33reduce_by_key_impl_wrapped_configILNS1_25lookback_scan_determinismE0ES3_S9_NS6_6detail15normal_iteratorINS6_10device_ptrIfEEEESG_SG_SG_PmS8_22is_equal_div_10_reduceIfEEE10hipError_tPvRmT2_T3_mT4_T5_T6_T7_T8_P12ihipStream_tbENKUlT_T0_E_clISt17integral_constantIbLb1EES10_IbLb0EEEEDaSW_SX_EUlSW_E_NS1_11comp_targetILNS1_3genE9ELNS1_11target_archE1100ELNS1_3gpuE3ELNS1_3repE0EEENS1_30default_config_static_selectorELNS0_4arch9wavefront6targetE1EEEvT1_, .Lfunc_end225-_ZN7rocprim17ROCPRIM_400000_NS6detail17trampoline_kernelINS0_14default_configENS1_29reduce_by_key_config_selectorIffN6thrust23THRUST_200600_302600_NS4plusIfEEEEZZNS1_33reduce_by_key_impl_wrapped_configILNS1_25lookback_scan_determinismE0ES3_S9_NS6_6detail15normal_iteratorINS6_10device_ptrIfEEEESG_SG_SG_PmS8_22is_equal_div_10_reduceIfEEE10hipError_tPvRmT2_T3_mT4_T5_T6_T7_T8_P12ihipStream_tbENKUlT_T0_E_clISt17integral_constantIbLb1EES10_IbLb0EEEEDaSW_SX_EUlSW_E_NS1_11comp_targetILNS1_3genE9ELNS1_11target_archE1100ELNS1_3gpuE3ELNS1_3repE0EEENS1_30default_config_static_selectorELNS0_4arch9wavefront6targetE1EEEvT1_
                                        ; -- End function
	.section	.AMDGPU.csdata,"",@progbits
; Kernel info:
; codeLenInByte = 0
; NumSgprs: 4
; NumVgprs: 0
; NumAgprs: 0
; TotalNumVgprs: 0
; ScratchSize: 0
; MemoryBound: 0
; FloatMode: 240
; IeeeMode: 1
; LDSByteSize: 0 bytes/workgroup (compile time only)
; SGPRBlocks: 0
; VGPRBlocks: 0
; NumSGPRsForWavesPerEU: 4
; NumVGPRsForWavesPerEU: 1
; AccumOffset: 4
; Occupancy: 8
; WaveLimiterHint : 0
; COMPUTE_PGM_RSRC2:SCRATCH_EN: 0
; COMPUTE_PGM_RSRC2:USER_SGPR: 6
; COMPUTE_PGM_RSRC2:TRAP_HANDLER: 0
; COMPUTE_PGM_RSRC2:TGID_X_EN: 1
; COMPUTE_PGM_RSRC2:TGID_Y_EN: 0
; COMPUTE_PGM_RSRC2:TGID_Z_EN: 0
; COMPUTE_PGM_RSRC2:TIDIG_COMP_CNT: 0
; COMPUTE_PGM_RSRC3_GFX90A:ACCUM_OFFSET: 0
; COMPUTE_PGM_RSRC3_GFX90A:TG_SPLIT: 0
	.section	.text._ZN7rocprim17ROCPRIM_400000_NS6detail17trampoline_kernelINS0_14default_configENS1_29reduce_by_key_config_selectorIffN6thrust23THRUST_200600_302600_NS4plusIfEEEEZZNS1_33reduce_by_key_impl_wrapped_configILNS1_25lookback_scan_determinismE0ES3_S9_NS6_6detail15normal_iteratorINS6_10device_ptrIfEEEESG_SG_SG_PmS8_22is_equal_div_10_reduceIfEEE10hipError_tPvRmT2_T3_mT4_T5_T6_T7_T8_P12ihipStream_tbENKUlT_T0_E_clISt17integral_constantIbLb1EES10_IbLb0EEEEDaSW_SX_EUlSW_E_NS1_11comp_targetILNS1_3genE8ELNS1_11target_archE1030ELNS1_3gpuE2ELNS1_3repE0EEENS1_30default_config_static_selectorELNS0_4arch9wavefront6targetE1EEEvT1_,"axG",@progbits,_ZN7rocprim17ROCPRIM_400000_NS6detail17trampoline_kernelINS0_14default_configENS1_29reduce_by_key_config_selectorIffN6thrust23THRUST_200600_302600_NS4plusIfEEEEZZNS1_33reduce_by_key_impl_wrapped_configILNS1_25lookback_scan_determinismE0ES3_S9_NS6_6detail15normal_iteratorINS6_10device_ptrIfEEEESG_SG_SG_PmS8_22is_equal_div_10_reduceIfEEE10hipError_tPvRmT2_T3_mT4_T5_T6_T7_T8_P12ihipStream_tbENKUlT_T0_E_clISt17integral_constantIbLb1EES10_IbLb0EEEEDaSW_SX_EUlSW_E_NS1_11comp_targetILNS1_3genE8ELNS1_11target_archE1030ELNS1_3gpuE2ELNS1_3repE0EEENS1_30default_config_static_selectorELNS0_4arch9wavefront6targetE1EEEvT1_,comdat
	.protected	_ZN7rocprim17ROCPRIM_400000_NS6detail17trampoline_kernelINS0_14default_configENS1_29reduce_by_key_config_selectorIffN6thrust23THRUST_200600_302600_NS4plusIfEEEEZZNS1_33reduce_by_key_impl_wrapped_configILNS1_25lookback_scan_determinismE0ES3_S9_NS6_6detail15normal_iteratorINS6_10device_ptrIfEEEESG_SG_SG_PmS8_22is_equal_div_10_reduceIfEEE10hipError_tPvRmT2_T3_mT4_T5_T6_T7_T8_P12ihipStream_tbENKUlT_T0_E_clISt17integral_constantIbLb1EES10_IbLb0EEEEDaSW_SX_EUlSW_E_NS1_11comp_targetILNS1_3genE8ELNS1_11target_archE1030ELNS1_3gpuE2ELNS1_3repE0EEENS1_30default_config_static_selectorELNS0_4arch9wavefront6targetE1EEEvT1_ ; -- Begin function _ZN7rocprim17ROCPRIM_400000_NS6detail17trampoline_kernelINS0_14default_configENS1_29reduce_by_key_config_selectorIffN6thrust23THRUST_200600_302600_NS4plusIfEEEEZZNS1_33reduce_by_key_impl_wrapped_configILNS1_25lookback_scan_determinismE0ES3_S9_NS6_6detail15normal_iteratorINS6_10device_ptrIfEEEESG_SG_SG_PmS8_22is_equal_div_10_reduceIfEEE10hipError_tPvRmT2_T3_mT4_T5_T6_T7_T8_P12ihipStream_tbENKUlT_T0_E_clISt17integral_constantIbLb1EES10_IbLb0EEEEDaSW_SX_EUlSW_E_NS1_11comp_targetILNS1_3genE8ELNS1_11target_archE1030ELNS1_3gpuE2ELNS1_3repE0EEENS1_30default_config_static_selectorELNS0_4arch9wavefront6targetE1EEEvT1_
	.globl	_ZN7rocprim17ROCPRIM_400000_NS6detail17trampoline_kernelINS0_14default_configENS1_29reduce_by_key_config_selectorIffN6thrust23THRUST_200600_302600_NS4plusIfEEEEZZNS1_33reduce_by_key_impl_wrapped_configILNS1_25lookback_scan_determinismE0ES3_S9_NS6_6detail15normal_iteratorINS6_10device_ptrIfEEEESG_SG_SG_PmS8_22is_equal_div_10_reduceIfEEE10hipError_tPvRmT2_T3_mT4_T5_T6_T7_T8_P12ihipStream_tbENKUlT_T0_E_clISt17integral_constantIbLb1EES10_IbLb0EEEEDaSW_SX_EUlSW_E_NS1_11comp_targetILNS1_3genE8ELNS1_11target_archE1030ELNS1_3gpuE2ELNS1_3repE0EEENS1_30default_config_static_selectorELNS0_4arch9wavefront6targetE1EEEvT1_
	.p2align	8
	.type	_ZN7rocprim17ROCPRIM_400000_NS6detail17trampoline_kernelINS0_14default_configENS1_29reduce_by_key_config_selectorIffN6thrust23THRUST_200600_302600_NS4plusIfEEEEZZNS1_33reduce_by_key_impl_wrapped_configILNS1_25lookback_scan_determinismE0ES3_S9_NS6_6detail15normal_iteratorINS6_10device_ptrIfEEEESG_SG_SG_PmS8_22is_equal_div_10_reduceIfEEE10hipError_tPvRmT2_T3_mT4_T5_T6_T7_T8_P12ihipStream_tbENKUlT_T0_E_clISt17integral_constantIbLb1EES10_IbLb0EEEEDaSW_SX_EUlSW_E_NS1_11comp_targetILNS1_3genE8ELNS1_11target_archE1030ELNS1_3gpuE2ELNS1_3repE0EEENS1_30default_config_static_selectorELNS0_4arch9wavefront6targetE1EEEvT1_,@function
_ZN7rocprim17ROCPRIM_400000_NS6detail17trampoline_kernelINS0_14default_configENS1_29reduce_by_key_config_selectorIffN6thrust23THRUST_200600_302600_NS4plusIfEEEEZZNS1_33reduce_by_key_impl_wrapped_configILNS1_25lookback_scan_determinismE0ES3_S9_NS6_6detail15normal_iteratorINS6_10device_ptrIfEEEESG_SG_SG_PmS8_22is_equal_div_10_reduceIfEEE10hipError_tPvRmT2_T3_mT4_T5_T6_T7_T8_P12ihipStream_tbENKUlT_T0_E_clISt17integral_constantIbLb1EES10_IbLb0EEEEDaSW_SX_EUlSW_E_NS1_11comp_targetILNS1_3genE8ELNS1_11target_archE1030ELNS1_3gpuE2ELNS1_3repE0EEENS1_30default_config_static_selectorELNS0_4arch9wavefront6targetE1EEEvT1_: ; @_ZN7rocprim17ROCPRIM_400000_NS6detail17trampoline_kernelINS0_14default_configENS1_29reduce_by_key_config_selectorIffN6thrust23THRUST_200600_302600_NS4plusIfEEEEZZNS1_33reduce_by_key_impl_wrapped_configILNS1_25lookback_scan_determinismE0ES3_S9_NS6_6detail15normal_iteratorINS6_10device_ptrIfEEEESG_SG_SG_PmS8_22is_equal_div_10_reduceIfEEE10hipError_tPvRmT2_T3_mT4_T5_T6_T7_T8_P12ihipStream_tbENKUlT_T0_E_clISt17integral_constantIbLb1EES10_IbLb0EEEEDaSW_SX_EUlSW_E_NS1_11comp_targetILNS1_3genE8ELNS1_11target_archE1030ELNS1_3gpuE2ELNS1_3repE0EEENS1_30default_config_static_selectorELNS0_4arch9wavefront6targetE1EEEvT1_
; %bb.0:
	.section	.rodata,"a",@progbits
	.p2align	6, 0x0
	.amdhsa_kernel _ZN7rocprim17ROCPRIM_400000_NS6detail17trampoline_kernelINS0_14default_configENS1_29reduce_by_key_config_selectorIffN6thrust23THRUST_200600_302600_NS4plusIfEEEEZZNS1_33reduce_by_key_impl_wrapped_configILNS1_25lookback_scan_determinismE0ES3_S9_NS6_6detail15normal_iteratorINS6_10device_ptrIfEEEESG_SG_SG_PmS8_22is_equal_div_10_reduceIfEEE10hipError_tPvRmT2_T3_mT4_T5_T6_T7_T8_P12ihipStream_tbENKUlT_T0_E_clISt17integral_constantIbLb1EES10_IbLb0EEEEDaSW_SX_EUlSW_E_NS1_11comp_targetILNS1_3genE8ELNS1_11target_archE1030ELNS1_3gpuE2ELNS1_3repE0EEENS1_30default_config_static_selectorELNS0_4arch9wavefront6targetE1EEEvT1_
		.amdhsa_group_segment_fixed_size 0
		.amdhsa_private_segment_fixed_size 0
		.amdhsa_kernarg_size 120
		.amdhsa_user_sgpr_count 6
		.amdhsa_user_sgpr_private_segment_buffer 1
		.amdhsa_user_sgpr_dispatch_ptr 0
		.amdhsa_user_sgpr_queue_ptr 0
		.amdhsa_user_sgpr_kernarg_segment_ptr 1
		.amdhsa_user_sgpr_dispatch_id 0
		.amdhsa_user_sgpr_flat_scratch_init 0
		.amdhsa_user_sgpr_kernarg_preload_length 0
		.amdhsa_user_sgpr_kernarg_preload_offset 0
		.amdhsa_user_sgpr_private_segment_size 0
		.amdhsa_uses_dynamic_stack 0
		.amdhsa_system_sgpr_private_segment_wavefront_offset 0
		.amdhsa_system_sgpr_workgroup_id_x 1
		.amdhsa_system_sgpr_workgroup_id_y 0
		.amdhsa_system_sgpr_workgroup_id_z 0
		.amdhsa_system_sgpr_workgroup_info 0
		.amdhsa_system_vgpr_workitem_id 0
		.amdhsa_next_free_vgpr 1
		.amdhsa_next_free_sgpr 0
		.amdhsa_accum_offset 4
		.amdhsa_reserve_vcc 0
		.amdhsa_reserve_flat_scratch 0
		.amdhsa_float_round_mode_32 0
		.amdhsa_float_round_mode_16_64 0
		.amdhsa_float_denorm_mode_32 3
		.amdhsa_float_denorm_mode_16_64 3
		.amdhsa_dx10_clamp 1
		.amdhsa_ieee_mode 1
		.amdhsa_fp16_overflow 0
		.amdhsa_tg_split 0
		.amdhsa_exception_fp_ieee_invalid_op 0
		.amdhsa_exception_fp_denorm_src 0
		.amdhsa_exception_fp_ieee_div_zero 0
		.amdhsa_exception_fp_ieee_overflow 0
		.amdhsa_exception_fp_ieee_underflow 0
		.amdhsa_exception_fp_ieee_inexact 0
		.amdhsa_exception_int_div_zero 0
	.end_amdhsa_kernel
	.section	.text._ZN7rocprim17ROCPRIM_400000_NS6detail17trampoline_kernelINS0_14default_configENS1_29reduce_by_key_config_selectorIffN6thrust23THRUST_200600_302600_NS4plusIfEEEEZZNS1_33reduce_by_key_impl_wrapped_configILNS1_25lookback_scan_determinismE0ES3_S9_NS6_6detail15normal_iteratorINS6_10device_ptrIfEEEESG_SG_SG_PmS8_22is_equal_div_10_reduceIfEEE10hipError_tPvRmT2_T3_mT4_T5_T6_T7_T8_P12ihipStream_tbENKUlT_T0_E_clISt17integral_constantIbLb1EES10_IbLb0EEEEDaSW_SX_EUlSW_E_NS1_11comp_targetILNS1_3genE8ELNS1_11target_archE1030ELNS1_3gpuE2ELNS1_3repE0EEENS1_30default_config_static_selectorELNS0_4arch9wavefront6targetE1EEEvT1_,"axG",@progbits,_ZN7rocprim17ROCPRIM_400000_NS6detail17trampoline_kernelINS0_14default_configENS1_29reduce_by_key_config_selectorIffN6thrust23THRUST_200600_302600_NS4plusIfEEEEZZNS1_33reduce_by_key_impl_wrapped_configILNS1_25lookback_scan_determinismE0ES3_S9_NS6_6detail15normal_iteratorINS6_10device_ptrIfEEEESG_SG_SG_PmS8_22is_equal_div_10_reduceIfEEE10hipError_tPvRmT2_T3_mT4_T5_T6_T7_T8_P12ihipStream_tbENKUlT_T0_E_clISt17integral_constantIbLb1EES10_IbLb0EEEEDaSW_SX_EUlSW_E_NS1_11comp_targetILNS1_3genE8ELNS1_11target_archE1030ELNS1_3gpuE2ELNS1_3repE0EEENS1_30default_config_static_selectorELNS0_4arch9wavefront6targetE1EEEvT1_,comdat
.Lfunc_end226:
	.size	_ZN7rocprim17ROCPRIM_400000_NS6detail17trampoline_kernelINS0_14default_configENS1_29reduce_by_key_config_selectorIffN6thrust23THRUST_200600_302600_NS4plusIfEEEEZZNS1_33reduce_by_key_impl_wrapped_configILNS1_25lookback_scan_determinismE0ES3_S9_NS6_6detail15normal_iteratorINS6_10device_ptrIfEEEESG_SG_SG_PmS8_22is_equal_div_10_reduceIfEEE10hipError_tPvRmT2_T3_mT4_T5_T6_T7_T8_P12ihipStream_tbENKUlT_T0_E_clISt17integral_constantIbLb1EES10_IbLb0EEEEDaSW_SX_EUlSW_E_NS1_11comp_targetILNS1_3genE8ELNS1_11target_archE1030ELNS1_3gpuE2ELNS1_3repE0EEENS1_30default_config_static_selectorELNS0_4arch9wavefront6targetE1EEEvT1_, .Lfunc_end226-_ZN7rocprim17ROCPRIM_400000_NS6detail17trampoline_kernelINS0_14default_configENS1_29reduce_by_key_config_selectorIffN6thrust23THRUST_200600_302600_NS4plusIfEEEEZZNS1_33reduce_by_key_impl_wrapped_configILNS1_25lookback_scan_determinismE0ES3_S9_NS6_6detail15normal_iteratorINS6_10device_ptrIfEEEESG_SG_SG_PmS8_22is_equal_div_10_reduceIfEEE10hipError_tPvRmT2_T3_mT4_T5_T6_T7_T8_P12ihipStream_tbENKUlT_T0_E_clISt17integral_constantIbLb1EES10_IbLb0EEEEDaSW_SX_EUlSW_E_NS1_11comp_targetILNS1_3genE8ELNS1_11target_archE1030ELNS1_3gpuE2ELNS1_3repE0EEENS1_30default_config_static_selectorELNS0_4arch9wavefront6targetE1EEEvT1_
                                        ; -- End function
	.section	.AMDGPU.csdata,"",@progbits
; Kernel info:
; codeLenInByte = 0
; NumSgprs: 4
; NumVgprs: 0
; NumAgprs: 0
; TotalNumVgprs: 0
; ScratchSize: 0
; MemoryBound: 0
; FloatMode: 240
; IeeeMode: 1
; LDSByteSize: 0 bytes/workgroup (compile time only)
; SGPRBlocks: 0
; VGPRBlocks: 0
; NumSGPRsForWavesPerEU: 4
; NumVGPRsForWavesPerEU: 1
; AccumOffset: 4
; Occupancy: 8
; WaveLimiterHint : 0
; COMPUTE_PGM_RSRC2:SCRATCH_EN: 0
; COMPUTE_PGM_RSRC2:USER_SGPR: 6
; COMPUTE_PGM_RSRC2:TRAP_HANDLER: 0
; COMPUTE_PGM_RSRC2:TGID_X_EN: 1
; COMPUTE_PGM_RSRC2:TGID_Y_EN: 0
; COMPUTE_PGM_RSRC2:TGID_Z_EN: 0
; COMPUTE_PGM_RSRC2:TIDIG_COMP_CNT: 0
; COMPUTE_PGM_RSRC3_GFX90A:ACCUM_OFFSET: 0
; COMPUTE_PGM_RSRC3_GFX90A:TG_SPLIT: 0
	.section	.text._ZN7rocprim17ROCPRIM_400000_NS6detail17trampoline_kernelINS0_14default_configENS1_29reduce_by_key_config_selectorIffN6thrust23THRUST_200600_302600_NS4plusIfEEEEZZNS1_33reduce_by_key_impl_wrapped_configILNS1_25lookback_scan_determinismE0ES3_S9_NS6_6detail15normal_iteratorINS6_10device_ptrIfEEEESG_SG_SG_PmS8_22is_equal_div_10_reduceIfEEE10hipError_tPvRmT2_T3_mT4_T5_T6_T7_T8_P12ihipStream_tbENKUlT_T0_E_clISt17integral_constantIbLb0EES10_IbLb1EEEEDaSW_SX_EUlSW_E_NS1_11comp_targetILNS1_3genE0ELNS1_11target_archE4294967295ELNS1_3gpuE0ELNS1_3repE0EEENS1_30default_config_static_selectorELNS0_4arch9wavefront6targetE1EEEvT1_,"axG",@progbits,_ZN7rocprim17ROCPRIM_400000_NS6detail17trampoline_kernelINS0_14default_configENS1_29reduce_by_key_config_selectorIffN6thrust23THRUST_200600_302600_NS4plusIfEEEEZZNS1_33reduce_by_key_impl_wrapped_configILNS1_25lookback_scan_determinismE0ES3_S9_NS6_6detail15normal_iteratorINS6_10device_ptrIfEEEESG_SG_SG_PmS8_22is_equal_div_10_reduceIfEEE10hipError_tPvRmT2_T3_mT4_T5_T6_T7_T8_P12ihipStream_tbENKUlT_T0_E_clISt17integral_constantIbLb0EES10_IbLb1EEEEDaSW_SX_EUlSW_E_NS1_11comp_targetILNS1_3genE0ELNS1_11target_archE4294967295ELNS1_3gpuE0ELNS1_3repE0EEENS1_30default_config_static_selectorELNS0_4arch9wavefront6targetE1EEEvT1_,comdat
	.protected	_ZN7rocprim17ROCPRIM_400000_NS6detail17trampoline_kernelINS0_14default_configENS1_29reduce_by_key_config_selectorIffN6thrust23THRUST_200600_302600_NS4plusIfEEEEZZNS1_33reduce_by_key_impl_wrapped_configILNS1_25lookback_scan_determinismE0ES3_S9_NS6_6detail15normal_iteratorINS6_10device_ptrIfEEEESG_SG_SG_PmS8_22is_equal_div_10_reduceIfEEE10hipError_tPvRmT2_T3_mT4_T5_T6_T7_T8_P12ihipStream_tbENKUlT_T0_E_clISt17integral_constantIbLb0EES10_IbLb1EEEEDaSW_SX_EUlSW_E_NS1_11comp_targetILNS1_3genE0ELNS1_11target_archE4294967295ELNS1_3gpuE0ELNS1_3repE0EEENS1_30default_config_static_selectorELNS0_4arch9wavefront6targetE1EEEvT1_ ; -- Begin function _ZN7rocprim17ROCPRIM_400000_NS6detail17trampoline_kernelINS0_14default_configENS1_29reduce_by_key_config_selectorIffN6thrust23THRUST_200600_302600_NS4plusIfEEEEZZNS1_33reduce_by_key_impl_wrapped_configILNS1_25lookback_scan_determinismE0ES3_S9_NS6_6detail15normal_iteratorINS6_10device_ptrIfEEEESG_SG_SG_PmS8_22is_equal_div_10_reduceIfEEE10hipError_tPvRmT2_T3_mT4_T5_T6_T7_T8_P12ihipStream_tbENKUlT_T0_E_clISt17integral_constantIbLb0EES10_IbLb1EEEEDaSW_SX_EUlSW_E_NS1_11comp_targetILNS1_3genE0ELNS1_11target_archE4294967295ELNS1_3gpuE0ELNS1_3repE0EEENS1_30default_config_static_selectorELNS0_4arch9wavefront6targetE1EEEvT1_
	.globl	_ZN7rocprim17ROCPRIM_400000_NS6detail17trampoline_kernelINS0_14default_configENS1_29reduce_by_key_config_selectorIffN6thrust23THRUST_200600_302600_NS4plusIfEEEEZZNS1_33reduce_by_key_impl_wrapped_configILNS1_25lookback_scan_determinismE0ES3_S9_NS6_6detail15normal_iteratorINS6_10device_ptrIfEEEESG_SG_SG_PmS8_22is_equal_div_10_reduceIfEEE10hipError_tPvRmT2_T3_mT4_T5_T6_T7_T8_P12ihipStream_tbENKUlT_T0_E_clISt17integral_constantIbLb0EES10_IbLb1EEEEDaSW_SX_EUlSW_E_NS1_11comp_targetILNS1_3genE0ELNS1_11target_archE4294967295ELNS1_3gpuE0ELNS1_3repE0EEENS1_30default_config_static_selectorELNS0_4arch9wavefront6targetE1EEEvT1_
	.p2align	8
	.type	_ZN7rocprim17ROCPRIM_400000_NS6detail17trampoline_kernelINS0_14default_configENS1_29reduce_by_key_config_selectorIffN6thrust23THRUST_200600_302600_NS4plusIfEEEEZZNS1_33reduce_by_key_impl_wrapped_configILNS1_25lookback_scan_determinismE0ES3_S9_NS6_6detail15normal_iteratorINS6_10device_ptrIfEEEESG_SG_SG_PmS8_22is_equal_div_10_reduceIfEEE10hipError_tPvRmT2_T3_mT4_T5_T6_T7_T8_P12ihipStream_tbENKUlT_T0_E_clISt17integral_constantIbLb0EES10_IbLb1EEEEDaSW_SX_EUlSW_E_NS1_11comp_targetILNS1_3genE0ELNS1_11target_archE4294967295ELNS1_3gpuE0ELNS1_3repE0EEENS1_30default_config_static_selectorELNS0_4arch9wavefront6targetE1EEEvT1_,@function
_ZN7rocprim17ROCPRIM_400000_NS6detail17trampoline_kernelINS0_14default_configENS1_29reduce_by_key_config_selectorIffN6thrust23THRUST_200600_302600_NS4plusIfEEEEZZNS1_33reduce_by_key_impl_wrapped_configILNS1_25lookback_scan_determinismE0ES3_S9_NS6_6detail15normal_iteratorINS6_10device_ptrIfEEEESG_SG_SG_PmS8_22is_equal_div_10_reduceIfEEE10hipError_tPvRmT2_T3_mT4_T5_T6_T7_T8_P12ihipStream_tbENKUlT_T0_E_clISt17integral_constantIbLb0EES10_IbLb1EEEEDaSW_SX_EUlSW_E_NS1_11comp_targetILNS1_3genE0ELNS1_11target_archE4294967295ELNS1_3gpuE0ELNS1_3repE0EEENS1_30default_config_static_selectorELNS0_4arch9wavefront6targetE1EEEvT1_: ; @_ZN7rocprim17ROCPRIM_400000_NS6detail17trampoline_kernelINS0_14default_configENS1_29reduce_by_key_config_selectorIffN6thrust23THRUST_200600_302600_NS4plusIfEEEEZZNS1_33reduce_by_key_impl_wrapped_configILNS1_25lookback_scan_determinismE0ES3_S9_NS6_6detail15normal_iteratorINS6_10device_ptrIfEEEESG_SG_SG_PmS8_22is_equal_div_10_reduceIfEEE10hipError_tPvRmT2_T3_mT4_T5_T6_T7_T8_P12ihipStream_tbENKUlT_T0_E_clISt17integral_constantIbLb0EES10_IbLb1EEEEDaSW_SX_EUlSW_E_NS1_11comp_targetILNS1_3genE0ELNS1_11target_archE4294967295ELNS1_3gpuE0ELNS1_3repE0EEENS1_30default_config_static_selectorELNS0_4arch9wavefront6targetE1EEEvT1_
; %bb.0:
	.section	.rodata,"a",@progbits
	.p2align	6, 0x0
	.amdhsa_kernel _ZN7rocprim17ROCPRIM_400000_NS6detail17trampoline_kernelINS0_14default_configENS1_29reduce_by_key_config_selectorIffN6thrust23THRUST_200600_302600_NS4plusIfEEEEZZNS1_33reduce_by_key_impl_wrapped_configILNS1_25lookback_scan_determinismE0ES3_S9_NS6_6detail15normal_iteratorINS6_10device_ptrIfEEEESG_SG_SG_PmS8_22is_equal_div_10_reduceIfEEE10hipError_tPvRmT2_T3_mT4_T5_T6_T7_T8_P12ihipStream_tbENKUlT_T0_E_clISt17integral_constantIbLb0EES10_IbLb1EEEEDaSW_SX_EUlSW_E_NS1_11comp_targetILNS1_3genE0ELNS1_11target_archE4294967295ELNS1_3gpuE0ELNS1_3repE0EEENS1_30default_config_static_selectorELNS0_4arch9wavefront6targetE1EEEvT1_
		.amdhsa_group_segment_fixed_size 0
		.amdhsa_private_segment_fixed_size 0
		.amdhsa_kernarg_size 120
		.amdhsa_user_sgpr_count 6
		.amdhsa_user_sgpr_private_segment_buffer 1
		.amdhsa_user_sgpr_dispatch_ptr 0
		.amdhsa_user_sgpr_queue_ptr 0
		.amdhsa_user_sgpr_kernarg_segment_ptr 1
		.amdhsa_user_sgpr_dispatch_id 0
		.amdhsa_user_sgpr_flat_scratch_init 0
		.amdhsa_user_sgpr_kernarg_preload_length 0
		.amdhsa_user_sgpr_kernarg_preload_offset 0
		.amdhsa_user_sgpr_private_segment_size 0
		.amdhsa_uses_dynamic_stack 0
		.amdhsa_system_sgpr_private_segment_wavefront_offset 0
		.amdhsa_system_sgpr_workgroup_id_x 1
		.amdhsa_system_sgpr_workgroup_id_y 0
		.amdhsa_system_sgpr_workgroup_id_z 0
		.amdhsa_system_sgpr_workgroup_info 0
		.amdhsa_system_vgpr_workitem_id 0
		.amdhsa_next_free_vgpr 1
		.amdhsa_next_free_sgpr 0
		.amdhsa_accum_offset 4
		.amdhsa_reserve_vcc 0
		.amdhsa_reserve_flat_scratch 0
		.amdhsa_float_round_mode_32 0
		.amdhsa_float_round_mode_16_64 0
		.amdhsa_float_denorm_mode_32 3
		.amdhsa_float_denorm_mode_16_64 3
		.amdhsa_dx10_clamp 1
		.amdhsa_ieee_mode 1
		.amdhsa_fp16_overflow 0
		.amdhsa_tg_split 0
		.amdhsa_exception_fp_ieee_invalid_op 0
		.amdhsa_exception_fp_denorm_src 0
		.amdhsa_exception_fp_ieee_div_zero 0
		.amdhsa_exception_fp_ieee_overflow 0
		.amdhsa_exception_fp_ieee_underflow 0
		.amdhsa_exception_fp_ieee_inexact 0
		.amdhsa_exception_int_div_zero 0
	.end_amdhsa_kernel
	.section	.text._ZN7rocprim17ROCPRIM_400000_NS6detail17trampoline_kernelINS0_14default_configENS1_29reduce_by_key_config_selectorIffN6thrust23THRUST_200600_302600_NS4plusIfEEEEZZNS1_33reduce_by_key_impl_wrapped_configILNS1_25lookback_scan_determinismE0ES3_S9_NS6_6detail15normal_iteratorINS6_10device_ptrIfEEEESG_SG_SG_PmS8_22is_equal_div_10_reduceIfEEE10hipError_tPvRmT2_T3_mT4_T5_T6_T7_T8_P12ihipStream_tbENKUlT_T0_E_clISt17integral_constantIbLb0EES10_IbLb1EEEEDaSW_SX_EUlSW_E_NS1_11comp_targetILNS1_3genE0ELNS1_11target_archE4294967295ELNS1_3gpuE0ELNS1_3repE0EEENS1_30default_config_static_selectorELNS0_4arch9wavefront6targetE1EEEvT1_,"axG",@progbits,_ZN7rocprim17ROCPRIM_400000_NS6detail17trampoline_kernelINS0_14default_configENS1_29reduce_by_key_config_selectorIffN6thrust23THRUST_200600_302600_NS4plusIfEEEEZZNS1_33reduce_by_key_impl_wrapped_configILNS1_25lookback_scan_determinismE0ES3_S9_NS6_6detail15normal_iteratorINS6_10device_ptrIfEEEESG_SG_SG_PmS8_22is_equal_div_10_reduceIfEEE10hipError_tPvRmT2_T3_mT4_T5_T6_T7_T8_P12ihipStream_tbENKUlT_T0_E_clISt17integral_constantIbLb0EES10_IbLb1EEEEDaSW_SX_EUlSW_E_NS1_11comp_targetILNS1_3genE0ELNS1_11target_archE4294967295ELNS1_3gpuE0ELNS1_3repE0EEENS1_30default_config_static_selectorELNS0_4arch9wavefront6targetE1EEEvT1_,comdat
.Lfunc_end227:
	.size	_ZN7rocprim17ROCPRIM_400000_NS6detail17trampoline_kernelINS0_14default_configENS1_29reduce_by_key_config_selectorIffN6thrust23THRUST_200600_302600_NS4plusIfEEEEZZNS1_33reduce_by_key_impl_wrapped_configILNS1_25lookback_scan_determinismE0ES3_S9_NS6_6detail15normal_iteratorINS6_10device_ptrIfEEEESG_SG_SG_PmS8_22is_equal_div_10_reduceIfEEE10hipError_tPvRmT2_T3_mT4_T5_T6_T7_T8_P12ihipStream_tbENKUlT_T0_E_clISt17integral_constantIbLb0EES10_IbLb1EEEEDaSW_SX_EUlSW_E_NS1_11comp_targetILNS1_3genE0ELNS1_11target_archE4294967295ELNS1_3gpuE0ELNS1_3repE0EEENS1_30default_config_static_selectorELNS0_4arch9wavefront6targetE1EEEvT1_, .Lfunc_end227-_ZN7rocprim17ROCPRIM_400000_NS6detail17trampoline_kernelINS0_14default_configENS1_29reduce_by_key_config_selectorIffN6thrust23THRUST_200600_302600_NS4plusIfEEEEZZNS1_33reduce_by_key_impl_wrapped_configILNS1_25lookback_scan_determinismE0ES3_S9_NS6_6detail15normal_iteratorINS6_10device_ptrIfEEEESG_SG_SG_PmS8_22is_equal_div_10_reduceIfEEE10hipError_tPvRmT2_T3_mT4_T5_T6_T7_T8_P12ihipStream_tbENKUlT_T0_E_clISt17integral_constantIbLb0EES10_IbLb1EEEEDaSW_SX_EUlSW_E_NS1_11comp_targetILNS1_3genE0ELNS1_11target_archE4294967295ELNS1_3gpuE0ELNS1_3repE0EEENS1_30default_config_static_selectorELNS0_4arch9wavefront6targetE1EEEvT1_
                                        ; -- End function
	.section	.AMDGPU.csdata,"",@progbits
; Kernel info:
; codeLenInByte = 0
; NumSgprs: 4
; NumVgprs: 0
; NumAgprs: 0
; TotalNumVgprs: 0
; ScratchSize: 0
; MemoryBound: 0
; FloatMode: 240
; IeeeMode: 1
; LDSByteSize: 0 bytes/workgroup (compile time only)
; SGPRBlocks: 0
; VGPRBlocks: 0
; NumSGPRsForWavesPerEU: 4
; NumVGPRsForWavesPerEU: 1
; AccumOffset: 4
; Occupancy: 8
; WaveLimiterHint : 0
; COMPUTE_PGM_RSRC2:SCRATCH_EN: 0
; COMPUTE_PGM_RSRC2:USER_SGPR: 6
; COMPUTE_PGM_RSRC2:TRAP_HANDLER: 0
; COMPUTE_PGM_RSRC2:TGID_X_EN: 1
; COMPUTE_PGM_RSRC2:TGID_Y_EN: 0
; COMPUTE_PGM_RSRC2:TGID_Z_EN: 0
; COMPUTE_PGM_RSRC2:TIDIG_COMP_CNT: 0
; COMPUTE_PGM_RSRC3_GFX90A:ACCUM_OFFSET: 0
; COMPUTE_PGM_RSRC3_GFX90A:TG_SPLIT: 0
	.section	.text._ZN7rocprim17ROCPRIM_400000_NS6detail17trampoline_kernelINS0_14default_configENS1_29reduce_by_key_config_selectorIffN6thrust23THRUST_200600_302600_NS4plusIfEEEEZZNS1_33reduce_by_key_impl_wrapped_configILNS1_25lookback_scan_determinismE0ES3_S9_NS6_6detail15normal_iteratorINS6_10device_ptrIfEEEESG_SG_SG_PmS8_22is_equal_div_10_reduceIfEEE10hipError_tPvRmT2_T3_mT4_T5_T6_T7_T8_P12ihipStream_tbENKUlT_T0_E_clISt17integral_constantIbLb0EES10_IbLb1EEEEDaSW_SX_EUlSW_E_NS1_11comp_targetILNS1_3genE5ELNS1_11target_archE942ELNS1_3gpuE9ELNS1_3repE0EEENS1_30default_config_static_selectorELNS0_4arch9wavefront6targetE1EEEvT1_,"axG",@progbits,_ZN7rocprim17ROCPRIM_400000_NS6detail17trampoline_kernelINS0_14default_configENS1_29reduce_by_key_config_selectorIffN6thrust23THRUST_200600_302600_NS4plusIfEEEEZZNS1_33reduce_by_key_impl_wrapped_configILNS1_25lookback_scan_determinismE0ES3_S9_NS6_6detail15normal_iteratorINS6_10device_ptrIfEEEESG_SG_SG_PmS8_22is_equal_div_10_reduceIfEEE10hipError_tPvRmT2_T3_mT4_T5_T6_T7_T8_P12ihipStream_tbENKUlT_T0_E_clISt17integral_constantIbLb0EES10_IbLb1EEEEDaSW_SX_EUlSW_E_NS1_11comp_targetILNS1_3genE5ELNS1_11target_archE942ELNS1_3gpuE9ELNS1_3repE0EEENS1_30default_config_static_selectorELNS0_4arch9wavefront6targetE1EEEvT1_,comdat
	.protected	_ZN7rocprim17ROCPRIM_400000_NS6detail17trampoline_kernelINS0_14default_configENS1_29reduce_by_key_config_selectorIffN6thrust23THRUST_200600_302600_NS4plusIfEEEEZZNS1_33reduce_by_key_impl_wrapped_configILNS1_25lookback_scan_determinismE0ES3_S9_NS6_6detail15normal_iteratorINS6_10device_ptrIfEEEESG_SG_SG_PmS8_22is_equal_div_10_reduceIfEEE10hipError_tPvRmT2_T3_mT4_T5_T6_T7_T8_P12ihipStream_tbENKUlT_T0_E_clISt17integral_constantIbLb0EES10_IbLb1EEEEDaSW_SX_EUlSW_E_NS1_11comp_targetILNS1_3genE5ELNS1_11target_archE942ELNS1_3gpuE9ELNS1_3repE0EEENS1_30default_config_static_selectorELNS0_4arch9wavefront6targetE1EEEvT1_ ; -- Begin function _ZN7rocprim17ROCPRIM_400000_NS6detail17trampoline_kernelINS0_14default_configENS1_29reduce_by_key_config_selectorIffN6thrust23THRUST_200600_302600_NS4plusIfEEEEZZNS1_33reduce_by_key_impl_wrapped_configILNS1_25lookback_scan_determinismE0ES3_S9_NS6_6detail15normal_iteratorINS6_10device_ptrIfEEEESG_SG_SG_PmS8_22is_equal_div_10_reduceIfEEE10hipError_tPvRmT2_T3_mT4_T5_T6_T7_T8_P12ihipStream_tbENKUlT_T0_E_clISt17integral_constantIbLb0EES10_IbLb1EEEEDaSW_SX_EUlSW_E_NS1_11comp_targetILNS1_3genE5ELNS1_11target_archE942ELNS1_3gpuE9ELNS1_3repE0EEENS1_30default_config_static_selectorELNS0_4arch9wavefront6targetE1EEEvT1_
	.globl	_ZN7rocprim17ROCPRIM_400000_NS6detail17trampoline_kernelINS0_14default_configENS1_29reduce_by_key_config_selectorIffN6thrust23THRUST_200600_302600_NS4plusIfEEEEZZNS1_33reduce_by_key_impl_wrapped_configILNS1_25lookback_scan_determinismE0ES3_S9_NS6_6detail15normal_iteratorINS6_10device_ptrIfEEEESG_SG_SG_PmS8_22is_equal_div_10_reduceIfEEE10hipError_tPvRmT2_T3_mT4_T5_T6_T7_T8_P12ihipStream_tbENKUlT_T0_E_clISt17integral_constantIbLb0EES10_IbLb1EEEEDaSW_SX_EUlSW_E_NS1_11comp_targetILNS1_3genE5ELNS1_11target_archE942ELNS1_3gpuE9ELNS1_3repE0EEENS1_30default_config_static_selectorELNS0_4arch9wavefront6targetE1EEEvT1_
	.p2align	8
	.type	_ZN7rocprim17ROCPRIM_400000_NS6detail17trampoline_kernelINS0_14default_configENS1_29reduce_by_key_config_selectorIffN6thrust23THRUST_200600_302600_NS4plusIfEEEEZZNS1_33reduce_by_key_impl_wrapped_configILNS1_25lookback_scan_determinismE0ES3_S9_NS6_6detail15normal_iteratorINS6_10device_ptrIfEEEESG_SG_SG_PmS8_22is_equal_div_10_reduceIfEEE10hipError_tPvRmT2_T3_mT4_T5_T6_T7_T8_P12ihipStream_tbENKUlT_T0_E_clISt17integral_constantIbLb0EES10_IbLb1EEEEDaSW_SX_EUlSW_E_NS1_11comp_targetILNS1_3genE5ELNS1_11target_archE942ELNS1_3gpuE9ELNS1_3repE0EEENS1_30default_config_static_selectorELNS0_4arch9wavefront6targetE1EEEvT1_,@function
_ZN7rocprim17ROCPRIM_400000_NS6detail17trampoline_kernelINS0_14default_configENS1_29reduce_by_key_config_selectorIffN6thrust23THRUST_200600_302600_NS4plusIfEEEEZZNS1_33reduce_by_key_impl_wrapped_configILNS1_25lookback_scan_determinismE0ES3_S9_NS6_6detail15normal_iteratorINS6_10device_ptrIfEEEESG_SG_SG_PmS8_22is_equal_div_10_reduceIfEEE10hipError_tPvRmT2_T3_mT4_T5_T6_T7_T8_P12ihipStream_tbENKUlT_T0_E_clISt17integral_constantIbLb0EES10_IbLb1EEEEDaSW_SX_EUlSW_E_NS1_11comp_targetILNS1_3genE5ELNS1_11target_archE942ELNS1_3gpuE9ELNS1_3repE0EEENS1_30default_config_static_selectorELNS0_4arch9wavefront6targetE1EEEvT1_: ; @_ZN7rocprim17ROCPRIM_400000_NS6detail17trampoline_kernelINS0_14default_configENS1_29reduce_by_key_config_selectorIffN6thrust23THRUST_200600_302600_NS4plusIfEEEEZZNS1_33reduce_by_key_impl_wrapped_configILNS1_25lookback_scan_determinismE0ES3_S9_NS6_6detail15normal_iteratorINS6_10device_ptrIfEEEESG_SG_SG_PmS8_22is_equal_div_10_reduceIfEEE10hipError_tPvRmT2_T3_mT4_T5_T6_T7_T8_P12ihipStream_tbENKUlT_T0_E_clISt17integral_constantIbLb0EES10_IbLb1EEEEDaSW_SX_EUlSW_E_NS1_11comp_targetILNS1_3genE5ELNS1_11target_archE942ELNS1_3gpuE9ELNS1_3repE0EEENS1_30default_config_static_selectorELNS0_4arch9wavefront6targetE1EEEvT1_
; %bb.0:
	.section	.rodata,"a",@progbits
	.p2align	6, 0x0
	.amdhsa_kernel _ZN7rocprim17ROCPRIM_400000_NS6detail17trampoline_kernelINS0_14default_configENS1_29reduce_by_key_config_selectorIffN6thrust23THRUST_200600_302600_NS4plusIfEEEEZZNS1_33reduce_by_key_impl_wrapped_configILNS1_25lookback_scan_determinismE0ES3_S9_NS6_6detail15normal_iteratorINS6_10device_ptrIfEEEESG_SG_SG_PmS8_22is_equal_div_10_reduceIfEEE10hipError_tPvRmT2_T3_mT4_T5_T6_T7_T8_P12ihipStream_tbENKUlT_T0_E_clISt17integral_constantIbLb0EES10_IbLb1EEEEDaSW_SX_EUlSW_E_NS1_11comp_targetILNS1_3genE5ELNS1_11target_archE942ELNS1_3gpuE9ELNS1_3repE0EEENS1_30default_config_static_selectorELNS0_4arch9wavefront6targetE1EEEvT1_
		.amdhsa_group_segment_fixed_size 0
		.amdhsa_private_segment_fixed_size 0
		.amdhsa_kernarg_size 120
		.amdhsa_user_sgpr_count 6
		.amdhsa_user_sgpr_private_segment_buffer 1
		.amdhsa_user_sgpr_dispatch_ptr 0
		.amdhsa_user_sgpr_queue_ptr 0
		.amdhsa_user_sgpr_kernarg_segment_ptr 1
		.amdhsa_user_sgpr_dispatch_id 0
		.amdhsa_user_sgpr_flat_scratch_init 0
		.amdhsa_user_sgpr_kernarg_preload_length 0
		.amdhsa_user_sgpr_kernarg_preload_offset 0
		.amdhsa_user_sgpr_private_segment_size 0
		.amdhsa_uses_dynamic_stack 0
		.amdhsa_system_sgpr_private_segment_wavefront_offset 0
		.amdhsa_system_sgpr_workgroup_id_x 1
		.amdhsa_system_sgpr_workgroup_id_y 0
		.amdhsa_system_sgpr_workgroup_id_z 0
		.amdhsa_system_sgpr_workgroup_info 0
		.amdhsa_system_vgpr_workitem_id 0
		.amdhsa_next_free_vgpr 1
		.amdhsa_next_free_sgpr 0
		.amdhsa_accum_offset 4
		.amdhsa_reserve_vcc 0
		.amdhsa_reserve_flat_scratch 0
		.amdhsa_float_round_mode_32 0
		.amdhsa_float_round_mode_16_64 0
		.amdhsa_float_denorm_mode_32 3
		.amdhsa_float_denorm_mode_16_64 3
		.amdhsa_dx10_clamp 1
		.amdhsa_ieee_mode 1
		.amdhsa_fp16_overflow 0
		.amdhsa_tg_split 0
		.amdhsa_exception_fp_ieee_invalid_op 0
		.amdhsa_exception_fp_denorm_src 0
		.amdhsa_exception_fp_ieee_div_zero 0
		.amdhsa_exception_fp_ieee_overflow 0
		.amdhsa_exception_fp_ieee_underflow 0
		.amdhsa_exception_fp_ieee_inexact 0
		.amdhsa_exception_int_div_zero 0
	.end_amdhsa_kernel
	.section	.text._ZN7rocprim17ROCPRIM_400000_NS6detail17trampoline_kernelINS0_14default_configENS1_29reduce_by_key_config_selectorIffN6thrust23THRUST_200600_302600_NS4plusIfEEEEZZNS1_33reduce_by_key_impl_wrapped_configILNS1_25lookback_scan_determinismE0ES3_S9_NS6_6detail15normal_iteratorINS6_10device_ptrIfEEEESG_SG_SG_PmS8_22is_equal_div_10_reduceIfEEE10hipError_tPvRmT2_T3_mT4_T5_T6_T7_T8_P12ihipStream_tbENKUlT_T0_E_clISt17integral_constantIbLb0EES10_IbLb1EEEEDaSW_SX_EUlSW_E_NS1_11comp_targetILNS1_3genE5ELNS1_11target_archE942ELNS1_3gpuE9ELNS1_3repE0EEENS1_30default_config_static_selectorELNS0_4arch9wavefront6targetE1EEEvT1_,"axG",@progbits,_ZN7rocprim17ROCPRIM_400000_NS6detail17trampoline_kernelINS0_14default_configENS1_29reduce_by_key_config_selectorIffN6thrust23THRUST_200600_302600_NS4plusIfEEEEZZNS1_33reduce_by_key_impl_wrapped_configILNS1_25lookback_scan_determinismE0ES3_S9_NS6_6detail15normal_iteratorINS6_10device_ptrIfEEEESG_SG_SG_PmS8_22is_equal_div_10_reduceIfEEE10hipError_tPvRmT2_T3_mT4_T5_T6_T7_T8_P12ihipStream_tbENKUlT_T0_E_clISt17integral_constantIbLb0EES10_IbLb1EEEEDaSW_SX_EUlSW_E_NS1_11comp_targetILNS1_3genE5ELNS1_11target_archE942ELNS1_3gpuE9ELNS1_3repE0EEENS1_30default_config_static_selectorELNS0_4arch9wavefront6targetE1EEEvT1_,comdat
.Lfunc_end228:
	.size	_ZN7rocprim17ROCPRIM_400000_NS6detail17trampoline_kernelINS0_14default_configENS1_29reduce_by_key_config_selectorIffN6thrust23THRUST_200600_302600_NS4plusIfEEEEZZNS1_33reduce_by_key_impl_wrapped_configILNS1_25lookback_scan_determinismE0ES3_S9_NS6_6detail15normal_iteratorINS6_10device_ptrIfEEEESG_SG_SG_PmS8_22is_equal_div_10_reduceIfEEE10hipError_tPvRmT2_T3_mT4_T5_T6_T7_T8_P12ihipStream_tbENKUlT_T0_E_clISt17integral_constantIbLb0EES10_IbLb1EEEEDaSW_SX_EUlSW_E_NS1_11comp_targetILNS1_3genE5ELNS1_11target_archE942ELNS1_3gpuE9ELNS1_3repE0EEENS1_30default_config_static_selectorELNS0_4arch9wavefront6targetE1EEEvT1_, .Lfunc_end228-_ZN7rocprim17ROCPRIM_400000_NS6detail17trampoline_kernelINS0_14default_configENS1_29reduce_by_key_config_selectorIffN6thrust23THRUST_200600_302600_NS4plusIfEEEEZZNS1_33reduce_by_key_impl_wrapped_configILNS1_25lookback_scan_determinismE0ES3_S9_NS6_6detail15normal_iteratorINS6_10device_ptrIfEEEESG_SG_SG_PmS8_22is_equal_div_10_reduceIfEEE10hipError_tPvRmT2_T3_mT4_T5_T6_T7_T8_P12ihipStream_tbENKUlT_T0_E_clISt17integral_constantIbLb0EES10_IbLb1EEEEDaSW_SX_EUlSW_E_NS1_11comp_targetILNS1_3genE5ELNS1_11target_archE942ELNS1_3gpuE9ELNS1_3repE0EEENS1_30default_config_static_selectorELNS0_4arch9wavefront6targetE1EEEvT1_
                                        ; -- End function
	.section	.AMDGPU.csdata,"",@progbits
; Kernel info:
; codeLenInByte = 0
; NumSgprs: 4
; NumVgprs: 0
; NumAgprs: 0
; TotalNumVgprs: 0
; ScratchSize: 0
; MemoryBound: 0
; FloatMode: 240
; IeeeMode: 1
; LDSByteSize: 0 bytes/workgroup (compile time only)
; SGPRBlocks: 0
; VGPRBlocks: 0
; NumSGPRsForWavesPerEU: 4
; NumVGPRsForWavesPerEU: 1
; AccumOffset: 4
; Occupancy: 8
; WaveLimiterHint : 0
; COMPUTE_PGM_RSRC2:SCRATCH_EN: 0
; COMPUTE_PGM_RSRC2:USER_SGPR: 6
; COMPUTE_PGM_RSRC2:TRAP_HANDLER: 0
; COMPUTE_PGM_RSRC2:TGID_X_EN: 1
; COMPUTE_PGM_RSRC2:TGID_Y_EN: 0
; COMPUTE_PGM_RSRC2:TGID_Z_EN: 0
; COMPUTE_PGM_RSRC2:TIDIG_COMP_CNT: 0
; COMPUTE_PGM_RSRC3_GFX90A:ACCUM_OFFSET: 0
; COMPUTE_PGM_RSRC3_GFX90A:TG_SPLIT: 0
	.section	.text._ZN7rocprim17ROCPRIM_400000_NS6detail17trampoline_kernelINS0_14default_configENS1_29reduce_by_key_config_selectorIffN6thrust23THRUST_200600_302600_NS4plusIfEEEEZZNS1_33reduce_by_key_impl_wrapped_configILNS1_25lookback_scan_determinismE0ES3_S9_NS6_6detail15normal_iteratorINS6_10device_ptrIfEEEESG_SG_SG_PmS8_22is_equal_div_10_reduceIfEEE10hipError_tPvRmT2_T3_mT4_T5_T6_T7_T8_P12ihipStream_tbENKUlT_T0_E_clISt17integral_constantIbLb0EES10_IbLb1EEEEDaSW_SX_EUlSW_E_NS1_11comp_targetILNS1_3genE4ELNS1_11target_archE910ELNS1_3gpuE8ELNS1_3repE0EEENS1_30default_config_static_selectorELNS0_4arch9wavefront6targetE1EEEvT1_,"axG",@progbits,_ZN7rocprim17ROCPRIM_400000_NS6detail17trampoline_kernelINS0_14default_configENS1_29reduce_by_key_config_selectorIffN6thrust23THRUST_200600_302600_NS4plusIfEEEEZZNS1_33reduce_by_key_impl_wrapped_configILNS1_25lookback_scan_determinismE0ES3_S9_NS6_6detail15normal_iteratorINS6_10device_ptrIfEEEESG_SG_SG_PmS8_22is_equal_div_10_reduceIfEEE10hipError_tPvRmT2_T3_mT4_T5_T6_T7_T8_P12ihipStream_tbENKUlT_T0_E_clISt17integral_constantIbLb0EES10_IbLb1EEEEDaSW_SX_EUlSW_E_NS1_11comp_targetILNS1_3genE4ELNS1_11target_archE910ELNS1_3gpuE8ELNS1_3repE0EEENS1_30default_config_static_selectorELNS0_4arch9wavefront6targetE1EEEvT1_,comdat
	.protected	_ZN7rocprim17ROCPRIM_400000_NS6detail17trampoline_kernelINS0_14default_configENS1_29reduce_by_key_config_selectorIffN6thrust23THRUST_200600_302600_NS4plusIfEEEEZZNS1_33reduce_by_key_impl_wrapped_configILNS1_25lookback_scan_determinismE0ES3_S9_NS6_6detail15normal_iteratorINS6_10device_ptrIfEEEESG_SG_SG_PmS8_22is_equal_div_10_reduceIfEEE10hipError_tPvRmT2_T3_mT4_T5_T6_T7_T8_P12ihipStream_tbENKUlT_T0_E_clISt17integral_constantIbLb0EES10_IbLb1EEEEDaSW_SX_EUlSW_E_NS1_11comp_targetILNS1_3genE4ELNS1_11target_archE910ELNS1_3gpuE8ELNS1_3repE0EEENS1_30default_config_static_selectorELNS0_4arch9wavefront6targetE1EEEvT1_ ; -- Begin function _ZN7rocprim17ROCPRIM_400000_NS6detail17trampoline_kernelINS0_14default_configENS1_29reduce_by_key_config_selectorIffN6thrust23THRUST_200600_302600_NS4plusIfEEEEZZNS1_33reduce_by_key_impl_wrapped_configILNS1_25lookback_scan_determinismE0ES3_S9_NS6_6detail15normal_iteratorINS6_10device_ptrIfEEEESG_SG_SG_PmS8_22is_equal_div_10_reduceIfEEE10hipError_tPvRmT2_T3_mT4_T5_T6_T7_T8_P12ihipStream_tbENKUlT_T0_E_clISt17integral_constantIbLb0EES10_IbLb1EEEEDaSW_SX_EUlSW_E_NS1_11comp_targetILNS1_3genE4ELNS1_11target_archE910ELNS1_3gpuE8ELNS1_3repE0EEENS1_30default_config_static_selectorELNS0_4arch9wavefront6targetE1EEEvT1_
	.globl	_ZN7rocprim17ROCPRIM_400000_NS6detail17trampoline_kernelINS0_14default_configENS1_29reduce_by_key_config_selectorIffN6thrust23THRUST_200600_302600_NS4plusIfEEEEZZNS1_33reduce_by_key_impl_wrapped_configILNS1_25lookback_scan_determinismE0ES3_S9_NS6_6detail15normal_iteratorINS6_10device_ptrIfEEEESG_SG_SG_PmS8_22is_equal_div_10_reduceIfEEE10hipError_tPvRmT2_T3_mT4_T5_T6_T7_T8_P12ihipStream_tbENKUlT_T0_E_clISt17integral_constantIbLb0EES10_IbLb1EEEEDaSW_SX_EUlSW_E_NS1_11comp_targetILNS1_3genE4ELNS1_11target_archE910ELNS1_3gpuE8ELNS1_3repE0EEENS1_30default_config_static_selectorELNS0_4arch9wavefront6targetE1EEEvT1_
	.p2align	8
	.type	_ZN7rocprim17ROCPRIM_400000_NS6detail17trampoline_kernelINS0_14default_configENS1_29reduce_by_key_config_selectorIffN6thrust23THRUST_200600_302600_NS4plusIfEEEEZZNS1_33reduce_by_key_impl_wrapped_configILNS1_25lookback_scan_determinismE0ES3_S9_NS6_6detail15normal_iteratorINS6_10device_ptrIfEEEESG_SG_SG_PmS8_22is_equal_div_10_reduceIfEEE10hipError_tPvRmT2_T3_mT4_T5_T6_T7_T8_P12ihipStream_tbENKUlT_T0_E_clISt17integral_constantIbLb0EES10_IbLb1EEEEDaSW_SX_EUlSW_E_NS1_11comp_targetILNS1_3genE4ELNS1_11target_archE910ELNS1_3gpuE8ELNS1_3repE0EEENS1_30default_config_static_selectorELNS0_4arch9wavefront6targetE1EEEvT1_,@function
_ZN7rocprim17ROCPRIM_400000_NS6detail17trampoline_kernelINS0_14default_configENS1_29reduce_by_key_config_selectorIffN6thrust23THRUST_200600_302600_NS4plusIfEEEEZZNS1_33reduce_by_key_impl_wrapped_configILNS1_25lookback_scan_determinismE0ES3_S9_NS6_6detail15normal_iteratorINS6_10device_ptrIfEEEESG_SG_SG_PmS8_22is_equal_div_10_reduceIfEEE10hipError_tPvRmT2_T3_mT4_T5_T6_T7_T8_P12ihipStream_tbENKUlT_T0_E_clISt17integral_constantIbLb0EES10_IbLb1EEEEDaSW_SX_EUlSW_E_NS1_11comp_targetILNS1_3genE4ELNS1_11target_archE910ELNS1_3gpuE8ELNS1_3repE0EEENS1_30default_config_static_selectorELNS0_4arch9wavefront6targetE1EEEvT1_: ; @_ZN7rocprim17ROCPRIM_400000_NS6detail17trampoline_kernelINS0_14default_configENS1_29reduce_by_key_config_selectorIffN6thrust23THRUST_200600_302600_NS4plusIfEEEEZZNS1_33reduce_by_key_impl_wrapped_configILNS1_25lookback_scan_determinismE0ES3_S9_NS6_6detail15normal_iteratorINS6_10device_ptrIfEEEESG_SG_SG_PmS8_22is_equal_div_10_reduceIfEEE10hipError_tPvRmT2_T3_mT4_T5_T6_T7_T8_P12ihipStream_tbENKUlT_T0_E_clISt17integral_constantIbLb0EES10_IbLb1EEEEDaSW_SX_EUlSW_E_NS1_11comp_targetILNS1_3genE4ELNS1_11target_archE910ELNS1_3gpuE8ELNS1_3repE0EEENS1_30default_config_static_selectorELNS0_4arch9wavefront6targetE1EEEvT1_
; %bb.0:
	s_load_dwordx8 s[36:43], s[4:5], 0x0
	s_load_dwordx4 s[52:55], s[4:5], 0x20
	s_load_dwordx8 s[44:51], s[4:5], 0x38
	s_load_dwordx2 s[60:61], s[4:5], 0x68
	s_load_dwordx4 s[56:59], s[4:5], 0x58
	v_cmp_ne_u32_e64 s[2:3], 0, v0
	v_cmp_eq_u32_e64 s[0:1], 0, v0
	s_and_saveexec_b64 s[6:7], s[0:1]
	s_cbranch_execz .LBB229_4
; %bb.1:
	s_mov_b64 s[10:11], exec
	v_mbcnt_lo_u32_b32 v1, s10, 0
	v_mbcnt_hi_u32_b32 v1, s11, v1
	v_cmp_eq_u32_e32 vcc, 0, v1
                                        ; implicit-def: $vgpr2
	s_and_saveexec_b64 s[8:9], vcc
	s_cbranch_execz .LBB229_3
; %bb.2:
	s_load_dwordx2 s[4:5], s[4:5], 0x70
	s_bcnt1_i32_b64 s10, s[10:11]
	v_mov_b32_e32 v2, 0
	v_mov_b32_e32 v3, s10
	s_waitcnt lgkmcnt(0)
	global_atomic_add v2, v2, v3, s[4:5] glc
.LBB229_3:
	s_or_b64 exec, exec, s[8:9]
	s_waitcnt vmcnt(0)
	v_readfirstlane_b32 s4, v2
	v_add_u32_e32 v1, s4, v1
	v_mov_b32_e32 v2, 0
	ds_write_b32 v2, v1
.LBB229_4:
	s_or_b64 exec, exec, s[6:7]
	v_mov_b32_e32 v3, 0
	s_waitcnt lgkmcnt(0)
	s_lshl_b64 s[4:5], s[38:39], 2
	s_barrier
	ds_read_b32 v1, v3
	s_add_u32 s6, s36, s4
	s_addc_u32 s7, s37, s5
	s_add_u32 s4, s40, s4
	s_mul_i32 s8, s48, s47
	s_mul_hi_u32 s9, s48, s46
	s_addc_u32 s5, s41, s5
	s_add_i32 s8, s9, s8
	s_mul_i32 s9, s49, s46
	s_add_i32 s8, s8, s9
	s_mul_i32 s9, s48, s46
	s_waitcnt lgkmcnt(0)
	v_readfirstlane_b32 s62, v1
	s_movk_i32 s10, 0xf00
	v_mul_lo_u32 v2, v1, s10
	s_add_u32 s40, s9, s62
	v_lshlrev_b64 v[6:7], 2, v[2:3]
	s_addc_u32 s41, s8, 0
	v_mov_b32_e32 v1, s7
	v_add_co_u32_e32 v3, vcc, s6, v6
	s_add_u32 s6, s50, -1
	v_addc_co_u32_e32 v4, vcc, v1, v7, vcc
	s_addc_u32 s7, s51, -1
	v_mov_b32_e32 v1, s5
	v_add_co_u32_e32 v5, vcc, s4, v6
	s_cmp_eq_u64 s[40:41], s[6:7]
	v_addc_co_u32_e32 v6, vcc, v1, v7, vcc
	s_cselect_b64 s[36:37], -1, 0
	s_cmp_lg_u64 s[40:41], s[6:7]
	s_mov_b64 s[4:5], -1
	s_cselect_b64 s[48:49], -1, 0
	s_mul_i32 s33, s6, 0xfffff100
	s_and_b64 vcc, exec, s[36:37]
	v_mul_u32_u24_e32 v2, 15, v0
	s_barrier
	s_cbranch_vccnz .LBB229_6
; %bb.5:
	v_lshlrev_b32_e32 v30, 2, v0
	v_add_co_u32_e32 v8, vcc, v3, v30
	v_addc_co_u32_e32 v9, vcc, 0, v4, vcc
	v_add_co_u32_e32 v10, vcc, 0x1000, v8
	v_addc_co_u32_e32 v11, vcc, 0, v9, vcc
	flat_load_dword v1, v[8:9]
	flat_load_dword v12, v[8:9] offset:1024
	flat_load_dword v13, v[8:9] offset:2048
	;; [unrolled: 1-line block ×3, first 2 shown]
	flat_load_dword v15, v[10:11]
	flat_load_dword v16, v[10:11] offset:1024
	flat_load_dword v17, v[10:11] offset:2048
	;; [unrolled: 1-line block ×3, first 2 shown]
	v_add_co_u32_e32 v10, vcc, 0x2000, v8
	v_addc_co_u32_e32 v11, vcc, 0, v9, vcc
	v_add_co_u32_e32 v8, vcc, 0x3000, v8
	v_addc_co_u32_e32 v9, vcc, 0, v9, vcc
	flat_load_dword v19, v[10:11]
	flat_load_dword v20, v[10:11] offset:1024
	flat_load_dword v21, v[10:11] offset:2048
	;; [unrolled: 1-line block ×3, first 2 shown]
	flat_load_dword v23, v[8:9]
	flat_load_dword v24, v[8:9] offset:1024
	flat_load_dword v25, v[8:9] offset:2048
	v_add_co_u32_e32 v8, vcc, v5, v30
	s_movk_i32 s4, 0x1000
	v_addc_co_u32_e32 v9, vcc, 0, v6, vcc
	v_add_co_u32_e32 v10, vcc, s4, v8
	s_movk_i32 s5, 0x2000
	v_addc_co_u32_e32 v11, vcc, 0, v9, vcc
	v_add_co_u32_e32 v26, vcc, s5, v8
	s_movk_i32 s6, 0x3000
	v_addc_co_u32_e32 v27, vcc, 0, v9, vcc
	v_mad_u32_u24 v7, v0, 56, v30
	v_add_co_u32_e32 v28, vcc, s6, v8
	v_addc_co_u32_e32 v29, vcc, 0, v9, vcc
	s_waitcnt vmcnt(0) lgkmcnt(0)
	ds_write2st64_b32 v30, v1, v12 offset1:4
	ds_write2st64_b32 v30, v13, v14 offset0:8 offset1:12
	ds_write2st64_b32 v30, v15, v16 offset0:16 offset1:20
	;; [unrolled: 1-line block ×6, first 2 shown]
	ds_write_b32 v30, v25 offset:14336
	s_waitcnt lgkmcnt(0)
	s_barrier
	ds_read2_b32 v[24:25], v7 offset1:1
	ds_read2_b32 v[22:23], v7 offset0:2 offset1:3
	ds_read2_b32 v[20:21], v7 offset0:4 offset1:5
	;; [unrolled: 1-line block ×6, first 2 shown]
	ds_read_b32 v1, v7 offset:56
	s_waitcnt lgkmcnt(0)
	s_barrier
	flat_load_dword v31, v[8:9]
	flat_load_dword v32, v[8:9] offset:1024
	flat_load_dword v33, v[8:9] offset:2048
	flat_load_dword v34, v[8:9] offset:3072
	flat_load_dword v35, v[10:11]
	flat_load_dword v36, v[10:11] offset:1024
	flat_load_dword v37, v[10:11] offset:2048
	flat_load_dword v38, v[10:11] offset:3072
	;; [unrolled: 4-line block ×3, first 2 shown]
	flat_load_dword v43, v[28:29]
	flat_load_dword v44, v[28:29] offset:1024
	flat_load_dword v45, v[28:29] offset:2048
	v_mul_u32_u24_e32 v8, 15, v0
	s_waitcnt vmcnt(0) lgkmcnt(0)
	ds_write2st64_b32 v30, v31, v32 offset1:4
	ds_write2st64_b32 v30, v33, v34 offset0:8 offset1:12
	ds_write2st64_b32 v30, v35, v36 offset0:16 offset1:20
	;; [unrolled: 1-line block ×6, first 2 shown]
	ds_write_b32 v30, v45 offset:14336
	s_waitcnt lgkmcnt(0)
	s_barrier
	s_add_i32 s33, s33, s56
	s_cbranch_execz .LBB229_7
	s_branch .LBB229_54
.LBB229_6:
                                        ; implicit-def: $vgpr12_vgpr13
                                        ; implicit-def: $vgpr14_vgpr15
                                        ; implicit-def: $vgpr16_vgpr17
                                        ; implicit-def: $vgpr18_vgpr19
                                        ; implicit-def: $vgpr20_vgpr21
                                        ; implicit-def: $vgpr22_vgpr23
                                        ; implicit-def: $vgpr24_vgpr25
                                        ; implicit-def: $vgpr8
                                        ; implicit-def: $vgpr7
                                        ; implicit-def: $vgpr1
	s_andn2_b64 vcc, exec, s[4:5]
	s_add_i32 s33, s33, s56
	s_cbranch_vccnz .LBB229_54
.LBB229_7:
	v_cmp_gt_u32_e32 vcc, s33, v0
                                        ; implicit-def: $vgpr1
	s_and_saveexec_b64 s[6:7], vcc
	s_cbranch_execz .LBB229_9
; %bb.8:
	v_lshlrev_b32_e32 v1, 2, v0
	v_add_co_u32_e64 v8, s[4:5], v3, v1
	v_addc_co_u32_e64 v9, s[4:5], 0, v4, s[4:5]
	flat_load_dword v1, v[8:9]
.LBB229_9:
	s_or_b64 exec, exec, s[6:7]
	v_or_b32_e32 v7, 0x100, v0
	v_cmp_gt_u32_e64 s[4:5], s33, v7
                                        ; implicit-def: $vgpr7
	s_and_saveexec_b64 s[8:9], s[4:5]
	s_cbranch_execz .LBB229_11
; %bb.10:
	v_lshlrev_b32_e32 v7, 2, v0
	v_add_co_u32_e64 v8, s[6:7], v3, v7
	v_addc_co_u32_e64 v9, s[6:7], 0, v4, s[6:7]
	flat_load_dword v7, v[8:9] offset:1024
.LBB229_11:
	s_or_b64 exec, exec, s[8:9]
	v_or_b32_e32 v8, 0x200, v0
	v_cmp_gt_u32_e64 s[6:7], s33, v8
                                        ; implicit-def: $vgpr12
	s_and_saveexec_b64 s[10:11], s[6:7]
	s_cbranch_execz .LBB229_13
; %bb.12:
	v_lshlrev_b32_e32 v8, 2, v0
	v_add_co_u32_e64 v8, s[8:9], v3, v8
	v_addc_co_u32_e64 v9, s[8:9], 0, v4, s[8:9]
	flat_load_dword v12, v[8:9] offset:2048
.LBB229_13:
	s_or_b64 exec, exec, s[10:11]
	v_or_b32_e32 v8, 0x300, v0
	v_cmp_gt_u32_e64 s[8:9], s33, v8
                                        ; implicit-def: $vgpr13
	s_and_saveexec_b64 s[12:13], s[8:9]
	s_cbranch_execz .LBB229_15
; %bb.14:
	v_lshlrev_b32_e32 v8, 2, v0
	v_add_co_u32_e64 v8, s[10:11], v3, v8
	v_addc_co_u32_e64 v9, s[10:11], 0, v4, s[10:11]
	flat_load_dword v13, v[8:9] offset:3072
.LBB229_15:
	s_or_b64 exec, exec, s[12:13]
	v_or_b32_e32 v8, 0x400, v0
	v_cmp_gt_u32_e64 s[10:11], s33, v8
	v_lshlrev_b32_e32 v8, 2, v8
                                        ; implicit-def: $vgpr14
	s_and_saveexec_b64 s[14:15], s[10:11]
	s_cbranch_execz .LBB229_17
; %bb.16:
	v_add_co_u32_e64 v10, s[12:13], v3, v8
	v_addc_co_u32_e64 v11, s[12:13], 0, v4, s[12:13]
	flat_load_dword v14, v[10:11]
.LBB229_17:
	s_or_b64 exec, exec, s[14:15]
	v_or_b32_e32 v9, 0x500, v0
	v_cmp_gt_u32_e64 s[12:13], s33, v9
	v_lshlrev_b32_e32 v9, 2, v9
                                        ; implicit-def: $vgpr15
	s_and_saveexec_b64 s[16:17], s[12:13]
	s_cbranch_execz .LBB229_19
; %bb.18:
	v_add_co_u32_e64 v10, s[14:15], v3, v9
	v_addc_co_u32_e64 v11, s[14:15], 0, v4, s[14:15]
	flat_load_dword v15, v[10:11]
.LBB229_19:
	s_or_b64 exec, exec, s[16:17]
	v_or_b32_e32 v10, 0x600, v0
	v_cmp_gt_u32_e64 s[14:15], s33, v10
	v_lshlrev_b32_e32 v10, 2, v10
                                        ; implicit-def: $vgpr16
	s_and_saveexec_b64 s[18:19], s[14:15]
	s_cbranch_execz .LBB229_21
; %bb.20:
	v_add_co_u32_e64 v16, s[16:17], v3, v10
	v_addc_co_u32_e64 v17, s[16:17], 0, v4, s[16:17]
	flat_load_dword v16, v[16:17]
.LBB229_21:
	s_or_b64 exec, exec, s[18:19]
	v_or_b32_e32 v11, 0x700, v0
	v_cmp_gt_u32_e64 s[16:17], s33, v11
	v_lshlrev_b32_e32 v11, 2, v11
                                        ; implicit-def: $vgpr17
	s_and_saveexec_b64 s[20:21], s[16:17]
	s_cbranch_execz .LBB229_23
; %bb.22:
	v_add_co_u32_e64 v18, s[18:19], v3, v11
	v_addc_co_u32_e64 v19, s[18:19], 0, v4, s[18:19]
	flat_load_dword v17, v[18:19]
.LBB229_23:
	s_or_b64 exec, exec, s[20:21]
	v_or_b32_e32 v18, 0x800, v0
	v_cmp_gt_u32_e64 s[18:19], s33, v18
	v_lshlrev_b32_e32 v26, 2, v18
                                        ; implicit-def: $vgpr18
	s_and_saveexec_b64 s[22:23], s[18:19]
	s_cbranch_execz .LBB229_25
; %bb.24:
	v_add_co_u32_e64 v18, s[20:21], v3, v26
	v_addc_co_u32_e64 v19, s[20:21], 0, v4, s[20:21]
	flat_load_dword v18, v[18:19]
.LBB229_25:
	s_or_b64 exec, exec, s[22:23]
	v_or_b32_e32 v19, 0x900, v0
	v_cmp_gt_u32_e64 s[20:21], s33, v19
	v_lshlrev_b32_e32 v27, 2, v19
                                        ; implicit-def: $vgpr19
	s_and_saveexec_b64 s[24:25], s[20:21]
	s_cbranch_execz .LBB229_27
; %bb.26:
	v_add_co_u32_e64 v20, s[22:23], v3, v27
	v_addc_co_u32_e64 v21, s[22:23], 0, v4, s[22:23]
	flat_load_dword v19, v[20:21]
.LBB229_27:
	s_or_b64 exec, exec, s[24:25]
	v_or_b32_e32 v20, 0xa00, v0
	v_cmp_gt_u32_e64 s[22:23], s33, v20
	v_lshlrev_b32_e32 v28, 2, v20
                                        ; implicit-def: $vgpr20
	s_and_saveexec_b64 s[26:27], s[22:23]
	s_cbranch_execz .LBB229_29
; %bb.28:
	v_add_co_u32_e64 v20, s[24:25], v3, v28
	v_addc_co_u32_e64 v21, s[24:25], 0, v4, s[24:25]
	flat_load_dword v20, v[20:21]
.LBB229_29:
	s_or_b64 exec, exec, s[26:27]
	v_or_b32_e32 v21, 0xb00, v0
	v_cmp_gt_u32_e64 s[24:25], s33, v21
	v_lshlrev_b32_e32 v29, 2, v21
                                        ; implicit-def: $vgpr21
	s_and_saveexec_b64 s[28:29], s[24:25]
	s_cbranch_execz .LBB229_31
; %bb.30:
	v_add_co_u32_e64 v22, s[26:27], v3, v29
	v_addc_co_u32_e64 v23, s[26:27], 0, v4, s[26:27]
	flat_load_dword v21, v[22:23]
.LBB229_31:
	s_or_b64 exec, exec, s[28:29]
	v_or_b32_e32 v22, 0xc00, v0
	v_cmp_gt_u32_e64 s[26:27], s33, v22
	v_lshlrev_b32_e32 v30, 2, v22
                                        ; implicit-def: $vgpr22
	s_and_saveexec_b64 s[30:31], s[26:27]
	s_cbranch_execz .LBB229_33
; %bb.32:
	v_add_co_u32_e64 v22, s[28:29], v3, v30
	v_addc_co_u32_e64 v23, s[28:29], 0, v4, s[28:29]
	flat_load_dword v22, v[22:23]
.LBB229_33:
	s_or_b64 exec, exec, s[30:31]
	v_or_b32_e32 v23, 0xd00, v0
	v_cmp_gt_u32_e64 s[28:29], s33, v23
	v_lshlrev_b32_e32 v31, 2, v23
                                        ; implicit-def: $vgpr23
	s_and_saveexec_b64 s[34:35], s[28:29]
	s_cbranch_execz .LBB229_35
; %bb.34:
	v_add_co_u32_e64 v24, s[30:31], v3, v31
	v_addc_co_u32_e64 v25, s[30:31], 0, v4, s[30:31]
	flat_load_dword v23, v[24:25]
.LBB229_35:
	s_or_b64 exec, exec, s[34:35]
	v_or_b32_e32 v24, 0xe00, v0
	v_cmp_gt_u32_e64 s[30:31], s33, v24
	v_lshlrev_b32_e32 v32, 2, v24
                                        ; implicit-def: $vgpr24
	s_and_saveexec_b64 s[38:39], s[30:31]
	s_cbranch_execz .LBB229_37
; %bb.36:
	v_add_co_u32_e64 v24, s[34:35], v3, v32
	v_addc_co_u32_e64 v25, s[34:35], 0, v4, s[34:35]
	flat_load_dword v24, v[24:25]
.LBB229_37:
	s_or_b64 exec, exec, s[38:39]
	v_lshlrev_b32_e32 v33, 2, v0
	s_waitcnt vmcnt(0) lgkmcnt(0)
	ds_write2st64_b32 v33, v1, v7 offset1:4
	ds_write2st64_b32 v33, v12, v13 offset0:8 offset1:12
	ds_write2st64_b32 v33, v14, v15 offset0:16 offset1:20
	;; [unrolled: 1-line block ×6, first 2 shown]
	ds_write_b32 v33, v24 offset:14336
	v_mad_u32_u24 v7, v0, 56, v33
	s_waitcnt lgkmcnt(0)
	s_barrier
	ds_read2_b32 v[24:25], v7 offset1:1
	ds_read2_b32 v[22:23], v7 offset0:2 offset1:3
	ds_read2_b32 v[20:21], v7 offset0:4 offset1:5
	;; [unrolled: 1-line block ×6, first 2 shown]
	ds_read_b32 v1, v7 offset:56
	s_waitcnt lgkmcnt(0)
	s_barrier
	s_waitcnt lgkmcnt(0)
                                        ; implicit-def: $vgpr34
	s_and_saveexec_b64 s[34:35], vcc
	s_cbranch_execnz .LBB229_61
; %bb.38:
	s_or_b64 exec, exec, s[34:35]
                                        ; implicit-def: $vgpr35
	s_and_saveexec_b64 s[34:35], s[4:5]
	s_cbranch_execnz .LBB229_62
.LBB229_39:
	s_or_b64 exec, exec, s[34:35]
                                        ; implicit-def: $vgpr36
	s_and_saveexec_b64 s[4:5], s[6:7]
	s_cbranch_execnz .LBB229_63
.LBB229_40:
	s_or_b64 exec, exec, s[4:5]
                                        ; implicit-def: $vgpr37
	s_and_saveexec_b64 s[4:5], s[8:9]
	s_cbranch_execnz .LBB229_64
.LBB229_41:
	s_or_b64 exec, exec, s[4:5]
                                        ; implicit-def: $vgpr38
	s_and_saveexec_b64 s[4:5], s[10:11]
	s_cbranch_execnz .LBB229_65
.LBB229_42:
	s_or_b64 exec, exec, s[4:5]
                                        ; implicit-def: $vgpr8
	s_and_saveexec_b64 s[4:5], s[12:13]
	s_cbranch_execnz .LBB229_66
.LBB229_43:
	s_or_b64 exec, exec, s[4:5]
                                        ; implicit-def: $vgpr9
	s_and_saveexec_b64 s[4:5], s[14:15]
	s_cbranch_execnz .LBB229_67
.LBB229_44:
	s_or_b64 exec, exec, s[4:5]
                                        ; implicit-def: $vgpr10
	s_and_saveexec_b64 s[4:5], s[16:17]
	s_cbranch_execnz .LBB229_68
.LBB229_45:
	s_or_b64 exec, exec, s[4:5]
                                        ; implicit-def: $vgpr11
	s_and_saveexec_b64 s[4:5], s[18:19]
	s_cbranch_execnz .LBB229_69
.LBB229_46:
	s_or_b64 exec, exec, s[4:5]
                                        ; implicit-def: $vgpr26
	s_and_saveexec_b64 s[4:5], s[20:21]
	s_cbranch_execnz .LBB229_70
.LBB229_47:
	s_or_b64 exec, exec, s[4:5]
                                        ; implicit-def: $vgpr27
	s_and_saveexec_b64 s[4:5], s[22:23]
	s_cbranch_execnz .LBB229_71
.LBB229_48:
	s_or_b64 exec, exec, s[4:5]
                                        ; implicit-def: $vgpr28
	s_and_saveexec_b64 s[4:5], s[24:25]
	s_cbranch_execnz .LBB229_72
.LBB229_49:
	s_or_b64 exec, exec, s[4:5]
                                        ; implicit-def: $vgpr29
	s_and_saveexec_b64 s[4:5], s[26:27]
	s_cbranch_execnz .LBB229_73
.LBB229_50:
	s_or_b64 exec, exec, s[4:5]
                                        ; implicit-def: $vgpr30
	s_and_saveexec_b64 s[4:5], s[28:29]
	s_cbranch_execnz .LBB229_74
.LBB229_51:
	s_or_b64 exec, exec, s[4:5]
                                        ; implicit-def: $vgpr31
	s_and_saveexec_b64 s[4:5], s[30:31]
	s_cbranch_execz .LBB229_53
.LBB229_52:
	v_add_co_u32_e32 v40, vcc, v5, v32
	v_addc_co_u32_e32 v41, vcc, 0, v6, vcc
	flat_load_dword v31, v[40:41]
.LBB229_53:
	s_or_b64 exec, exec, s[4:5]
	s_waitcnt vmcnt(0) lgkmcnt(0)
	ds_write2st64_b32 v33, v34, v35 offset1:4
	ds_write2st64_b32 v33, v36, v37 offset0:8 offset1:12
	ds_write2st64_b32 v33, v38, v8 offset0:16 offset1:20
	ds_write2st64_b32 v33, v9, v10 offset0:24 offset1:28
	ds_write2st64_b32 v33, v11, v26 offset0:32 offset1:36
	ds_write2st64_b32 v33, v27, v28 offset0:40 offset1:44
	ds_write2st64_b32 v33, v29, v30 offset0:48 offset1:52
	ds_write_b32 v33, v31 offset:14336
	v_mov_b32_e32 v8, v2
	s_waitcnt lgkmcnt(0)
	s_barrier
.LBB229_54:
	v_lshlrev_b32_e32 v5, 2, v8
	ds_read2_b32 v[50:51], v7 offset1:2
	ds_read2_b32 v[46:47], v7 offset0:4 offset1:6
	ds_read2_b32 v[44:45], v7 offset0:8 offset1:10
	;; [unrolled: 1-line block ×6, first 2 shown]
	ds_read_b32 v62, v5 offset:52
	s_cmp_eq_u64 s[40:41], 0
	s_cselect_b64 s[38:39], -1, 0
	s_cmp_lg_u64 s[40:41], 0
	s_mov_b64 s[4:5], 0
	s_cselect_b64 s[8:9], -1, 0
	s_and_b64 vcc, exec, s[48:49]
	s_waitcnt lgkmcnt(0)
	s_barrier
	s_cbranch_vccz .LBB229_60
; %bb.55:
	s_and_b64 vcc, exec, s[8:9]
	s_cbranch_vccz .LBB229_75
; %bb.56:
	v_add_co_u32_e32 v6, vcc, -4, v3
	v_addc_co_u32_e32 v7, vcc, -1, v4, vcc
	flat_load_dword v5, v[6:7]
	v_lshlrev_b32_e32 v6, 2, v0
	ds_write_b32 v6, v1
	s_waitcnt lgkmcnt(0)
	s_barrier
	s_and_saveexec_b64 s[4:5], s[2:3]
	s_cbranch_execz .LBB229_58
; %bb.57:
	s_waitcnt vmcnt(0)
	v_add_u32_e32 v5, -4, v6
	ds_read_b32 v5, v5
.LBB229_58:
	s_or_b64 exec, exec, s[4:5]
	v_cvt_i32_f32_e32 v6, v13
	s_mov_b32 s4, 0x66666667
	v_cvt_i32_f32_e32 v7, v12
	v_cvt_i32_f32_e32 v26, v16
	v_mul_hi_i32 v6, v6, s4
	v_lshrrev_b32_e32 v8, 31, v6
	v_ashrrev_i32_e32 v6, 2, v6
	v_add_u32_e32 v6, v6, v8
	v_cvt_i32_f32_e32 v8, v1
	v_mul_hi_i32 v7, v7, s4
	v_lshrrev_b32_e32 v9, 31, v7
	v_ashrrev_i32_e32 v7, 2, v7
	v_mul_hi_i32 v8, v8, s4
	v_add_u32_e32 v7, v7, v9
	v_cvt_i32_f32_e32 v9, v15
	v_lshrrev_b32_e32 v10, 31, v8
	v_ashrrev_i32_e32 v8, 2, v8
	v_add_u32_e32 v8, v8, v10
	v_cvt_i32_f32_e32 v10, v17
	v_mul_hi_i32 v9, v9, s4
	v_lshrrev_b32_e32 v11, 31, v9
	v_ashrrev_i32_e32 v9, 2, v9
	v_mul_hi_i32 v10, v10, s4
	v_add_u32_e32 v9, v9, v11
	v_lshrrev_b32_e32 v11, 31, v10
	v_ashrrev_i32_e32 v10, 2, v10
	v_add_u32_e32 v10, v10, v11
	v_cvt_i32_f32_e32 v11, v14
	v_mul_hi_i32 v26, v26, s4
	v_lshrrev_b32_e32 v27, 31, v26
	v_ashrrev_i32_e32 v26, 2, v26
	v_mul_hi_i32 v11, v11, s4
	v_add_u32_e32 v26, v26, v27
	v_cvt_i32_f32_e32 v27, v19
	v_lshrrev_b32_e32 v28, 31, v11
	v_ashrrev_i32_e32 v11, 2, v11
	v_add_u32_e32 v11, v11, v28
	v_cvt_i32_f32_e32 v28, v21
	v_mul_hi_i32 v27, v27, s4
	v_lshrrev_b32_e32 v29, 31, v27
	v_ashrrev_i32_e32 v27, 2, v27
	v_mul_hi_i32 v28, v28, s4
	v_add_u32_e32 v27, v27, v29
	v_lshrrev_b32_e32 v29, 31, v28
	v_cvt_i32_f32_e32 v30, v20
	v_ashrrev_i32_e32 v28, 2, v28
	v_add_u32_e32 v28, v28, v29
	v_cvt_i32_f32_e32 v29, v18
	v_mul_hi_i32 v30, v30, s4
	v_lshrrev_b32_e32 v31, 31, v30
	v_ashrrev_i32_e32 v30, 2, v30
	v_mul_hi_i32 v29, v29, s4
	v_add_u32_e32 v30, v30, v31
	v_cvt_i32_f32_e32 v31, v23
	v_lshrrev_b32_e32 v32, 31, v29
	v_ashrrev_i32_e32 v29, 2, v29
	v_add_u32_e32 v29, v29, v32
	v_cvt_i32_f32_e32 v32, v25
	v_mul_hi_i32 v31, v31, s4
	v_lshrrev_b32_e32 v33, 31, v31
	v_ashrrev_i32_e32 v31, 2, v31
	v_mul_hi_i32 v32, v32, s4
	v_add_u32_e32 v31, v31, v33
	v_lshrrev_b32_e32 v33, 31, v32
	v_cvt_i32_f32_e32 v34, v24
	v_ashrrev_i32_e32 v32, 2, v32
	v_add_u32_e32 v32, v32, v33
	v_cvt_i32_f32_e32 v33, v22
	v_mul_hi_i32 v34, v34, s4
	v_lshrrev_b32_e32 v35, 31, v34
	v_ashrrev_i32_e32 v34, 2, v34
	v_mul_hi_i32 v33, v33, s4
	v_add_u32_e32 v38, v34, v35
	v_lshrrev_b32_e32 v34, 31, v33
	v_ashrrev_i32_e32 v33, 2, v33
	v_add_u32_e32 v33, v33, v34
	v_cmp_ne_u32_e32 vcc, v32, v38
	v_cndmask_b32_e64 v39, 0, 1, vcc
	v_cmp_ne_u32_e32 vcc, v32, v33
	v_cndmask_b32_e64 v36, 0, 1, vcc
	;; [unrolled: 2-line block ×11, first 2 shown]
	v_cmp_ne_u32_e32 vcc, v7, v9
	s_waitcnt vmcnt(0) lgkmcnt(0)
	v_cvt_i32_f32_e32 v9, v5
	v_cndmask_b32_e64 v61, 0, 1, vcc
	v_cmp_ne_u32_e32 vcc, v6, v7
	v_cndmask_b32_e64 v5, 0, 1, vcc
	v_cmp_ne_u32_e32 vcc, v6, v8
	v_mul_hi_i32 v6, v9, s4
	v_lshrrev_b32_e32 v7, 31, v6
	v_ashrrev_i32_e32 v6, 2, v6
	v_add_u32_e32 v6, v6, v7
	v_cndmask_b32_e64 v60, 0, 1, vcc
	v_cmp_ne_u32_e64 s[10:11], v6, v38
	s_mov_b64 s[4:5], -1
.LBB229_59:
                                        ; implicit-def: $sgpr12
	s_branch .LBB229_79
.LBB229_60:
                                        ; implicit-def: $sgpr10_sgpr11
                                        ; implicit-def: $vgpr60
                                        ; implicit-def: $vgpr5
                                        ; implicit-def: $vgpr61
                                        ; implicit-def: $vgpr27
                                        ; implicit-def: $vgpr26
                                        ; implicit-def: $vgpr29
                                        ; implicit-def: $vgpr28
                                        ; implicit-def: $vgpr33
                                        ; implicit-def: $vgpr32
                                        ; implicit-def: $vgpr35
                                        ; implicit-def: $vgpr34
                                        ; implicit-def: $vgpr37
                                        ; implicit-def: $vgpr36
                                        ; implicit-def: $vgpr39
                                        ; implicit-def: $vgpr31
                                        ; implicit-def: $sgpr12
	s_cbranch_execnz .LBB229_80
	s_branch .LBB229_115
.LBB229_61:
	v_add_co_u32_e32 v34, vcc, v5, v33
	v_addc_co_u32_e32 v35, vcc, 0, v6, vcc
	flat_load_dword v34, v[34:35]
	s_or_b64 exec, exec, s[34:35]
                                        ; implicit-def: $vgpr35
	s_and_saveexec_b64 s[34:35], s[4:5]
	s_cbranch_execz .LBB229_39
.LBB229_62:
	v_add_co_u32_e32 v36, vcc, v5, v33
	v_addc_co_u32_e32 v37, vcc, 0, v6, vcc
	flat_load_dword v35, v[36:37] offset:1024
	s_or_b64 exec, exec, s[34:35]
                                        ; implicit-def: $vgpr36
	s_and_saveexec_b64 s[4:5], s[6:7]
	s_cbranch_execz .LBB229_40
.LBB229_63:
	v_add_co_u32_e32 v36, vcc, v5, v33
	v_addc_co_u32_e32 v37, vcc, 0, v6, vcc
	flat_load_dword v36, v[36:37] offset:2048
	s_or_b64 exec, exec, s[4:5]
                                        ; implicit-def: $vgpr37
	s_and_saveexec_b64 s[4:5], s[8:9]
	s_cbranch_execz .LBB229_41
.LBB229_64:
	v_add_co_u32_e32 v38, vcc, v5, v33
	v_addc_co_u32_e32 v39, vcc, 0, v6, vcc
	flat_load_dword v37, v[38:39] offset:3072
	s_or_b64 exec, exec, s[4:5]
                                        ; implicit-def: $vgpr38
	s_and_saveexec_b64 s[4:5], s[10:11]
	s_cbranch_execz .LBB229_42
.LBB229_65:
	v_add_co_u32_e32 v38, vcc, v5, v8
	v_addc_co_u32_e32 v39, vcc, 0, v6, vcc
	flat_load_dword v38, v[38:39]
	s_or_b64 exec, exec, s[4:5]
                                        ; implicit-def: $vgpr8
	s_and_saveexec_b64 s[4:5], s[12:13]
	s_cbranch_execz .LBB229_43
.LBB229_66:
	v_add_co_u32_e32 v8, vcc, v5, v9
	v_addc_co_u32_e32 v9, vcc, 0, v6, vcc
	flat_load_dword v8, v[8:9]
	s_or_b64 exec, exec, s[4:5]
                                        ; implicit-def: $vgpr9
	s_and_saveexec_b64 s[4:5], s[14:15]
	s_cbranch_execz .LBB229_44
.LBB229_67:
	v_add_co_u32_e32 v40, vcc, v5, v10
	v_addc_co_u32_e32 v41, vcc, 0, v6, vcc
	flat_load_dword v9, v[40:41]
	s_or_b64 exec, exec, s[4:5]
                                        ; implicit-def: $vgpr10
	s_and_saveexec_b64 s[4:5], s[16:17]
	s_cbranch_execz .LBB229_45
.LBB229_68:
	v_add_co_u32_e32 v10, vcc, v5, v11
	v_addc_co_u32_e32 v11, vcc, 0, v6, vcc
	flat_load_dword v10, v[10:11]
	s_or_b64 exec, exec, s[4:5]
                                        ; implicit-def: $vgpr11
	s_and_saveexec_b64 s[4:5], s[18:19]
	s_cbranch_execz .LBB229_46
.LBB229_69:
	v_add_co_u32_e32 v40, vcc, v5, v26
	v_addc_co_u32_e32 v41, vcc, 0, v6, vcc
	flat_load_dword v11, v[40:41]
	s_or_b64 exec, exec, s[4:5]
                                        ; implicit-def: $vgpr26
	s_and_saveexec_b64 s[4:5], s[20:21]
	s_cbranch_execz .LBB229_47
.LBB229_70:
	v_add_co_u32_e32 v26, vcc, v5, v27
	v_addc_co_u32_e32 v27, vcc, 0, v6, vcc
	flat_load_dword v26, v[26:27]
	s_or_b64 exec, exec, s[4:5]
                                        ; implicit-def: $vgpr27
	s_and_saveexec_b64 s[4:5], s[22:23]
	s_cbranch_execz .LBB229_48
.LBB229_71:
	v_add_co_u32_e32 v40, vcc, v5, v28
	v_addc_co_u32_e32 v41, vcc, 0, v6, vcc
	flat_load_dword v27, v[40:41]
	s_or_b64 exec, exec, s[4:5]
                                        ; implicit-def: $vgpr28
	s_and_saveexec_b64 s[4:5], s[24:25]
	s_cbranch_execz .LBB229_49
.LBB229_72:
	v_add_co_u32_e32 v28, vcc, v5, v29
	v_addc_co_u32_e32 v29, vcc, 0, v6, vcc
	flat_load_dword v28, v[28:29]
	s_or_b64 exec, exec, s[4:5]
                                        ; implicit-def: $vgpr29
	s_and_saveexec_b64 s[4:5], s[26:27]
	s_cbranch_execz .LBB229_50
.LBB229_73:
	v_add_co_u32_e32 v40, vcc, v5, v30
	v_addc_co_u32_e32 v41, vcc, 0, v6, vcc
	flat_load_dword v29, v[40:41]
	s_or_b64 exec, exec, s[4:5]
                                        ; implicit-def: $vgpr30
	s_and_saveexec_b64 s[4:5], s[28:29]
	s_cbranch_execz .LBB229_51
.LBB229_74:
	v_add_co_u32_e32 v30, vcc, v5, v31
	v_addc_co_u32_e32 v31, vcc, 0, v6, vcc
	flat_load_dword v30, v[30:31]
	s_or_b64 exec, exec, s[4:5]
                                        ; implicit-def: $vgpr31
	s_and_saveexec_b64 s[4:5], s[30:31]
	s_cbranch_execnz .LBB229_52
	s_branch .LBB229_53
.LBB229_75:
                                        ; implicit-def: $sgpr10_sgpr11
                                        ; implicit-def: $vgpr60
                                        ; implicit-def: $vgpr5
                                        ; implicit-def: $vgpr61
                                        ; implicit-def: $vgpr27
                                        ; implicit-def: $vgpr26
                                        ; implicit-def: $vgpr29
                                        ; implicit-def: $vgpr28
                                        ; implicit-def: $vgpr33
                                        ; implicit-def: $vgpr32
                                        ; implicit-def: $vgpr35
                                        ; implicit-def: $vgpr34
                                        ; implicit-def: $vgpr37
                                        ; implicit-def: $vgpr36
                                        ; implicit-def: $vgpr39
	s_cbranch_execz .LBB229_59
; %bb.76:
	v_cvt_i32_f32_e32 v5, v13
	v_cvt_i32_f32_e32 v8, v12
	s_mov_b32 s12, 0x66666667
	v_cvt_i32_f32_e32 v26, v16
	v_mul_hi_i32 v5, v5, s12
	v_lshrrev_b32_e32 v7, 31, v5
	v_ashrrev_i32_e32 v5, 2, v5
	v_add_u32_e32 v9, v5, v7
	v_cvt_i32_f32_e32 v5, v1
	v_mul_hi_i32 v7, v8, s12
	v_lshrrev_b32_e32 v8, 31, v7
	v_ashrrev_i32_e32 v7, 2, v7
	v_add_u32_e32 v8, v7, v8
	;; [unrolled: 5-line block ×3, first 2 shown]
	v_mul_hi_i32 v5, v7, s12
	v_cvt_i32_f32_e32 v7, v17
	v_lshrrev_b32_e32 v11, 31, v5
	v_ashrrev_i32_e32 v5, 2, v5
	v_add_u32_e32 v5, v5, v11
	v_mul_hi_i32 v7, v7, s12
	v_lshrrev_b32_e32 v11, 31, v7
	v_ashrrev_i32_e32 v7, 2, v7
	v_add_u32_e32 v11, v7, v11
	v_cvt_i32_f32_e32 v7, v14
	v_mul_hi_i32 v26, v26, s12
	v_lshrrev_b32_e32 v27, 31, v26
	v_ashrrev_i32_e32 v26, 2, v26
	v_add_u32_e32 v26, v26, v27
	v_cvt_i32_f32_e32 v27, v19
	v_mul_hi_i32 v7, v7, s12
	v_lshrrev_b32_e32 v28, 31, v7
	v_ashrrev_i32_e32 v7, 2, v7
	v_add_u32_e32 v30, v7, v28
	v_mul_hi_i32 v7, v27, s12
	v_cvt_i32_f32_e32 v27, v21
	v_cvt_i32_f32_e32 v29, v20
	v_lshrrev_b32_e32 v28, 31, v7
	v_ashrrev_i32_e32 v7, 2, v7
	v_add_u32_e32 v28, v7, v28
	v_mul_hi_i32 v7, v27, s12
	v_lshrrev_b32_e32 v27, 31, v7
	v_ashrrev_i32_e32 v7, 2, v7
	v_add_u32_e32 v27, v7, v27
	v_cvt_i32_f32_e32 v7, v18
	v_mul_hi_i32 v29, v29, s12
	v_lshrrev_b32_e32 v31, 31, v29
	v_ashrrev_i32_e32 v29, 2, v29
	v_add_u32_e32 v29, v29, v31
	v_cvt_i32_f32_e32 v31, v23
	v_mul_hi_i32 v7, v7, s12
	v_lshrrev_b32_e32 v32, 31, v7
	v_ashrrev_i32_e32 v7, 2, v7
	v_add_u32_e32 v33, v7, v32
	v_mul_hi_i32 v7, v31, s12
	v_cvt_i32_f32_e32 v31, v25
	v_cvt_i32_f32_e32 v34, v24
	v_lshrrev_b32_e32 v32, 31, v7
	v_ashrrev_i32_e32 v7, 2, v7
	v_add_u32_e32 v32, v7, v32
	v_mul_hi_i32 v7, v31, s12
	v_cvt_i32_f32_e32 v35, v22
	v_lshrrev_b32_e32 v31, 31, v7
	v_ashrrev_i32_e32 v7, 2, v7
	v_add_u32_e32 v31, v7, v31
	v_mul_hi_i32 v7, v34, s12
	v_lshrrev_b32_e32 v34, 31, v7
	v_ashrrev_i32_e32 v7, 2, v7
	v_add_u32_e32 v7, v7, v34
	v_mul_hi_i32 v34, v35, s12
	v_lshrrev_b32_e32 v35, 31, v34
	v_ashrrev_i32_e32 v34, 2, v34
	v_add_u32_e32 v34, v34, v35
	v_cmp_ne_u32_e32 vcc, v31, v7
	v_cndmask_b32_e64 v39, 0, 1, vcc
	v_cmp_ne_u32_e32 vcc, v31, v34
	v_cndmask_b32_e64 v36, 0, 1, vcc
	;; [unrolled: 2-line block ×13, first 2 shown]
	v_cmp_ne_u32_e32 vcc, v9, v10
	v_lshlrev_b32_e32 v6, 2, v0
	v_cndmask_b32_e64 v60, 0, 1, vcc
	ds_write_b32 v6, v1
	s_waitcnt lgkmcnt(0)
	s_barrier
	s_waitcnt lgkmcnt(0)
                                        ; implicit-def: $sgpr10_sgpr11
	s_and_saveexec_b64 s[6:7], s[2:3]
	s_xor_b64 s[6:7], exec, s[6:7]
	s_cbranch_execz .LBB229_78
; %bb.77:
	v_add_u32_e32 v6, -4, v6
	ds_read_b32 v6, v6
	s_or_b64 s[4:5], s[4:5], exec
	s_waitcnt lgkmcnt(0)
	v_cvt_i32_f32_e32 v6, v6
	v_mul_hi_i32 v6, v6, s12
	v_lshrrev_b32_e32 v8, 31, v6
	v_ashrrev_i32_e32 v6, 2, v6
	v_add_u32_e32 v6, v6, v8
	v_cmp_ne_u32_e32 vcc, v6, v7
	s_and_b64 s[10:11], vcc, exec
.LBB229_78:
	s_or_b64 exec, exec, s[6:7]
	s_mov_b32 s12, 1
.LBB229_79:
	v_mov_b32_e32 v31, v5
	s_branch .LBB229_115
.LBB229_80:
	s_mul_hi_u32 s7, s40, 0xfffff100
	s_mul_i32 s6, s41, 0xfffff100
	s_sub_i32 s7, s7, s40
	s_add_i32 s7, s7, s6
	s_mul_i32 s6, s40, 0xfffff100
	s_add_u32 s6, s6, s56
	s_addc_u32 s7, s7, s57
	s_and_b64 vcc, exec, s[8:9]
	v_mad_u32_u24 v30, v0, 15, 14
	s_cbranch_vccz .LBB229_220
; %bb.81:
	v_add_co_u32_e32 v6, vcc, -4, v3
	v_addc_co_u32_e32 v7, vcc, -1, v4, vcc
	flat_load_dword v6, v[6:7]
	v_mov_b32_e32 v5, 0
	v_mov_b32_e32 v31, v5
	v_lshlrev_b32_e32 v3, 2, v0
	v_cmp_gt_u64_e32 vcc, s[6:7], v[30:31]
	v_mov_b32_e32 v60, 0
	ds_write_b32 v3, v1
	s_and_saveexec_b64 s[4:5], vcc
	s_cbranch_execz .LBB229_83
; %bb.82:
	v_cvt_i32_f32_e32 v4, v13
	v_cvt_i32_f32_e32 v7, v1
	s_mov_b32 s8, 0x66666667
	v_mul_hi_i32 v4, v4, s8
	v_lshrrev_b32_e32 v8, 31, v4
	v_ashrrev_i32_e32 v4, 2, v4
	v_mul_hi_i32 v7, v7, s8
	v_add_u32_e32 v4, v4, v8
	v_lshrrev_b32_e32 v8, 31, v7
	v_ashrrev_i32_e32 v7, 2, v7
	v_add_u32_e32 v7, v7, v8
	v_cmp_ne_u32_e32 vcc, v4, v7
	v_cndmask_b32_e64 v60, 0, 1, vcc
.LBB229_83:
	s_or_b64 exec, exec, s[4:5]
	v_add_u32_e32 v4, 13, v2
	v_cmp_gt_u64_e32 vcc, s[6:7], v[4:5]
	s_and_saveexec_b64 s[4:5], vcc
	s_cbranch_execz .LBB229_85
; %bb.84:
	v_cvt_i32_f32_e32 v4, v12
	v_cvt_i32_f32_e32 v5, v13
	s_mov_b32 s8, 0x66666667
	v_mul_hi_i32 v4, v4, s8
	v_lshrrev_b32_e32 v7, 31, v4
	v_ashrrev_i32_e32 v4, 2, v4
	v_mul_hi_i32 v5, v5, s8
	v_add_u32_e32 v4, v4, v7
	v_lshrrev_b32_e32 v7, 31, v5
	v_ashrrev_i32_e32 v5, 2, v5
	v_add_u32_e32 v5, v5, v7
	v_cmp_ne_u32_e32 vcc, v4, v5
	v_cndmask_b32_e64 v5, 0, 1, vcc
.LBB229_85:
	s_or_b64 exec, exec, s[4:5]
	v_add_u32_e32 v26, 12, v2
	v_mov_b32_e32 v27, 0
	v_cmp_gt_u64_e32 vcc, s[6:7], v[26:27]
	v_mov_b32_e32 v61, 0
	s_and_saveexec_b64 s[4:5], vcc
	s_cbranch_execz .LBB229_87
; %bb.86:
	v_cvt_i32_f32_e32 v4, v15
	v_cvt_i32_f32_e32 v7, v12
	s_mov_b32 s8, 0x66666667
	v_mul_hi_i32 v4, v4, s8
	v_lshrrev_b32_e32 v8, 31, v4
	v_ashrrev_i32_e32 v4, 2, v4
	v_mul_hi_i32 v7, v7, s8
	v_add_u32_e32 v4, v4, v8
	v_lshrrev_b32_e32 v8, 31, v7
	v_ashrrev_i32_e32 v7, 2, v7
	v_add_u32_e32 v7, v7, v8
	v_cmp_ne_u32_e32 vcc, v4, v7
	v_cndmask_b32_e64 v61, 0, 1, vcc
.LBB229_87:
	s_or_b64 exec, exec, s[4:5]
	v_add_u32_e32 v26, 11, v2
	v_cmp_gt_u64_e32 vcc, s[6:7], v[26:27]
	s_and_saveexec_b64 s[4:5], vcc
	s_cbranch_execz .LBB229_89
; %bb.88:
	v_cvt_i32_f32_e32 v4, v14
	v_cvt_i32_f32_e32 v7, v15
	s_mov_b32 s8, 0x66666667
	v_mul_hi_i32 v4, v4, s8
	v_lshrrev_b32_e32 v8, 31, v4
	v_ashrrev_i32_e32 v4, 2, v4
	v_mul_hi_i32 v7, v7, s8
	v_add_u32_e32 v4, v4, v8
	v_lshrrev_b32_e32 v8, 31, v7
	v_ashrrev_i32_e32 v7, 2, v7
	v_add_u32_e32 v7, v7, v8
	v_cmp_ne_u32_e32 vcc, v4, v7
	v_cndmask_b32_e64 v27, 0, 1, vcc
.LBB229_89:
	s_or_b64 exec, exec, s[4:5]
	v_add_u32_e32 v28, 10, v2
	v_mov_b32_e32 v29, 0
	v_cmp_gt_u64_e32 vcc, s[6:7], v[28:29]
	v_mov_b32_e32 v26, 0
	;; [unrolled: 42-line block ×6, first 2 shown]
	s_and_saveexec_b64 s[4:5], vcc
	s_cbranch_execz .LBB229_107
; %bb.106:
	v_cvt_i32_f32_e32 v4, v25
	v_cvt_i32_f32_e32 v7, v22
	s_mov_b32 s8, 0x66666667
	v_mul_hi_i32 v4, v4, s8
	v_lshrrev_b32_e32 v8, 31, v4
	v_ashrrev_i32_e32 v4, 2, v4
	v_mul_hi_i32 v7, v7, s8
	v_add_u32_e32 v4, v4, v8
	v_lshrrev_b32_e32 v8, 31, v7
	v_ashrrev_i32_e32 v7, 2, v7
	v_add_u32_e32 v7, v7, v8
	v_cmp_ne_u32_e32 vcc, v4, v7
	v_cndmask_b32_e64 v36, 0, 1, vcc
.LBB229_107:
	s_or_b64 exec, exec, s[4:5]
	v_add_u32_e32 v38, 1, v2
	v_cmp_gt_u64_e32 vcc, s[6:7], v[38:39]
	s_and_saveexec_b64 s[4:5], vcc
	s_cbranch_execz .LBB229_109
; %bb.108:
	v_cvt_i32_f32_e32 v4, v24
	v_cvt_i32_f32_e32 v7, v25
	s_mov_b32 s8, 0x66666667
	v_mul_hi_i32 v4, v4, s8
	v_lshrrev_b32_e32 v8, 31, v4
	v_ashrrev_i32_e32 v4, 2, v4
	v_mul_hi_i32 v7, v7, s8
	v_add_u32_e32 v4, v4, v8
	v_lshrrev_b32_e32 v8, 31, v7
	v_ashrrev_i32_e32 v7, 2, v7
	v_add_u32_e32 v7, v7, v8
	v_cmp_ne_u32_e32 vcc, v4, v7
	v_cndmask_b32_e64 v39, 0, 1, vcc
.LBB229_109:
	s_or_b64 exec, exec, s[4:5]
	s_waitcnt lgkmcnt(0)
	s_barrier
	s_and_saveexec_b64 s[4:5], s[2:3]
	s_cbranch_execz .LBB229_111
; %bb.110:
	v_add_u32_e32 v3, -4, v3
	s_waitcnt vmcnt(0)
	ds_read_b32 v6, v3
.LBB229_111:
	s_or_b64 exec, exec, s[4:5]
	v_mov_b32_e32 v3, 0
	v_cmp_gt_u64_e32 vcc, s[6:7], v[2:3]
	s_mov_b64 s[8:9], 0
	s_mov_b64 s[10:11], 0
	s_and_saveexec_b64 s[4:5], vcc
	s_cbranch_execz .LBB229_113
; %bb.112:
	s_waitcnt vmcnt(0) lgkmcnt(0)
	v_cvt_i32_f32_e32 v3, v6
	v_cvt_i32_f32_e32 v4, v24
	s_mov_b32 s10, 0x66666667
	v_mul_hi_i32 v3, v3, s10
	v_lshrrev_b32_e32 v6, 31, v3
	v_ashrrev_i32_e32 v3, 2, v3
	v_mul_hi_i32 v4, v4, s10
	v_add_u32_e32 v3, v3, v6
	v_lshrrev_b32_e32 v6, 31, v4
	v_ashrrev_i32_e32 v4, 2, v4
	v_add_u32_e32 v4, v4, v6
	v_cmp_ne_u32_e32 vcc, v3, v4
	s_and_b64 s[10:11], vcc, exec
.LBB229_113:
	s_or_b64 exec, exec, s[4:5]
	s_mov_b64 s[4:5], -1
	s_and_b64 vcc, exec, s[8:9]
	s_cbranch_vccnz .LBB229_221
.LBB229_114:
                                        ; implicit-def: $vgpr31
                                        ; implicit-def: $sgpr12
.LBB229_115:
	v_mov_b32_e32 v38, s12
	s_and_saveexec_b64 s[2:3], s[4:5]
.LBB229_116:
	v_cndmask_b32_e64 v38, 0, 1, s[10:11]
	v_mov_b32_e32 v31, v5
.LBB229_117:
	s_or_b64 exec, exec, s[2:3]
	s_cmp_eq_u64 s[46:47], 0
	v_add3_u32 v2, v39, v38, v36
	s_cselect_b64 s[34:35], -1, 0
	s_cmp_lg_u32 s62, 0
	v_add_f32_e32 v76, v50, v52
	v_cmp_eq_u32_e64 s[26:27], 0, v39
	v_cmp_eq_u32_e64 s[24:25], 0, v36
	;; [unrolled: 1-line block ×3, first 2 shown]
	v_add3_u32 v75, v2, v37, v34
	v_cmp_eq_u32_e64 s[22:23], 0, v34
	v_cmp_eq_u32_e64 s[18:19], 0, v35
	;; [unrolled: 1-line block ×10, first 2 shown]
	v_cmp_eq_u32_e32 vcc, 0, v60
	v_mbcnt_lo_u32_b32 v74, -1, 0
	v_lshrrev_b32_e32 v72, 6, v0
	v_or_b32_e32 v73, 63, v0
	s_cbranch_scc0 .LBB229_144
; %bb.118:
	v_cndmask_b32_e64 v2, v52, v76, s[26:27]
	v_add_f32_e32 v2, v51, v2
	v_cndmask_b32_e64 v2, v51, v2, s[24:25]
	v_add_f32_e32 v2, v53, v2
	;; [unrolled: 2-line block ×11, first 2 shown]
	v_cndmask_b32_e64 v2, v40, v2, s[4:5]
	v_add3_u32 v3, v75, v35, v32
	v_add_f32_e32 v2, v62, v2
	v_add3_u32 v3, v3, v33, v28
	v_cndmask_b32_e64 v2, v62, v2, s[2:3]
	v_add3_u32 v3, v3, v29, v26
	v_add_f32_e32 v2, v41, v2
	v_add3_u32 v3, v3, v27, v61
	v_cndmask_b32_e32 v2, v41, v2, vcc
	v_add3_u32 v3, v3, v31, v60
	v_mbcnt_hi_u32_b32 v57, -1, v74
	s_waitcnt vmcnt(0) lgkmcnt(0)
	v_mov_b32_dpp v6, v2 row_shr:1 row_mask:0xf bank_mask:0xf
	v_and_b32_e32 v4, 15, v57
	v_add_f32_e32 v6, v2, v6
	v_cmp_eq_u32_e32 vcc, 0, v3
	v_mov_b32_dpp v5, v3 row_shr:1 row_mask:0xf bank_mask:0xf
	v_cndmask_b32_e32 v6, v2, v6, vcc
	v_cmp_eq_u32_e32 vcc, 0, v4
	v_cndmask_b32_e64 v5, v5, 0, vcc
	v_cndmask_b32_e32 v2, v6, v2, vcc
	v_add_u32_e32 v3, v5, v3
	v_cmp_eq_u32_e32 vcc, 0, v3
	v_mov_b32_dpp v6, v2 row_shr:2 row_mask:0xf bank_mask:0xf
	v_add_f32_e32 v6, v2, v6
	v_mov_b32_dpp v5, v3 row_shr:2 row_mask:0xf bank_mask:0xf
	v_cndmask_b32_e32 v6, v2, v6, vcc
	v_cmp_lt_u32_e32 vcc, 1, v4
	v_cndmask_b32_e32 v2, v2, v6, vcc
	v_cndmask_b32_e32 v5, 0, v5, vcc
	v_add_u32_e32 v3, v3, v5
	v_mov_b32_dpp v6, v2 row_shr:4 row_mask:0xf bank_mask:0xf
	v_add_f32_e32 v6, v2, v6
	v_cmp_eq_u32_e32 vcc, 0, v3
	v_mov_b32_dpp v5, v3 row_shr:4 row_mask:0xf bank_mask:0xf
	v_cndmask_b32_e32 v6, v2, v6, vcc
	v_cmp_lt_u32_e32 vcc, 3, v4
	v_cndmask_b32_e32 v2, v2, v6, vcc
	v_cndmask_b32_e32 v5, 0, v5, vcc
	v_add_u32_e32 v3, v5, v3
	v_mov_b32_dpp v6, v2 row_shr:8 row_mask:0xf bank_mask:0xf
	v_add_f32_e32 v6, v2, v6
	v_cmp_eq_u32_e32 vcc, 0, v3
	v_mov_b32_dpp v5, v3 row_shr:8 row_mask:0xf bank_mask:0xf
	v_cndmask_b32_e32 v6, v2, v6, vcc
	v_cmp_lt_u32_e32 vcc, 7, v4
	v_cndmask_b32_e32 v2, v2, v6, vcc
	v_cndmask_b32_e32 v4, 0, v5, vcc
	v_add_u32_e32 v3, v4, v3
	v_mov_b32_dpp v5, v2 row_bcast:15 row_mask:0xf bank_mask:0xf
	v_bfe_i32 v6, v57, 4, 1
	v_mov_b32_dpp v4, v3 row_bcast:15 row_mask:0xf bank_mask:0xf
	v_and_b32_e32 v7, 16, v57
	v_add_f32_e32 v5, v2, v5
	v_cmp_eq_u32_e32 vcc, 0, v3
	v_cndmask_b32_e32 v5, v2, v5, vcc
	v_and_b32_e32 v4, v6, v4
	v_cmp_eq_u32_e32 vcc, 0, v7
	v_add_u32_e32 v4, v4, v3
	v_cndmask_b32_e32 v3, v5, v2, vcc
	v_cmp_eq_u32_e32 vcc, 0, v4
	v_mov_b32_dpp v2, v4 row_bcast:31 row_mask:0xf bank_mask:0xf
	v_mov_b32_dpp v5, v3 row_bcast:31 row_mask:0xf bank_mask:0xf
	v_add_f32_e32 v5, v3, v5
	v_cndmask_b32_e32 v6, v3, v5, vcc
	v_cmp_lt_u32_e32 vcc, 31, v57
	v_cndmask_b32_e32 v2, 0, v2, vcc
	v_add_u32_e32 v2, v2, v4
	v_cmp_eq_u32_e64 s[28:29], v73, v0
	v_lshlrev_b32_e32 v5, 3, v72
	v_cndmask_b32_e32 v4, v3, v6, vcc
	s_and_saveexec_b64 s[30:31], s[28:29]
	s_cbranch_execz .LBB229_120
; %bb.119:
	v_cndmask_b32_e32 v3, v3, v6, vcc
	ds_write_b64 v5, v[2:3] offset:2064
.LBB229_120:
	s_or_b64 exec, exec, s[30:31]
	v_cmp_gt_u32_e32 vcc, 4, v0
	s_waitcnt lgkmcnt(0)
	s_barrier
	s_and_saveexec_b64 s[30:31], vcc
	s_cbranch_execz .LBB229_122
; %bb.121:
	v_lshlrev_b32_e32 v3, 3, v0
	ds_read_b64 v[6:7], v3 offset:2064
	v_and_b32_e32 v8, 3, v57
	v_cmp_lt_u32_e64 s[28:29], 1, v8
	s_waitcnt lgkmcnt(0)
	v_mov_b32_dpp v10, v7 row_shr:1 row_mask:0xf bank_mask:0xf
	v_add_f32_e32 v10, v7, v10
	v_cmp_eq_u32_e32 vcc, 0, v6
	v_mov_b32_dpp v9, v6 row_shr:1 row_mask:0xf bank_mask:0xf
	v_cndmask_b32_e32 v10, v7, v10, vcc
	v_cmp_eq_u32_e32 vcc, 0, v8
	v_cndmask_b32_e64 v9, v9, 0, vcc
	v_add_u32_e32 v6, v9, v6
	v_cndmask_b32_e32 v7, v10, v7, vcc
	v_cmp_eq_u32_e32 vcc, 0, v6
	v_mov_b32_dpp v9, v6 row_shr:2 row_mask:0xf bank_mask:0xf
	v_mov_b32_dpp v10, v7 row_shr:2 row_mask:0xf bank_mask:0xf
	v_add_f32_e32 v10, v7, v10
	v_cndmask_b32_e64 v8, 0, v9, s[28:29]
	s_and_b64 vcc, s[28:29], vcc
	v_add_u32_e32 v6, v8, v6
	v_cndmask_b32_e32 v7, v7, v10, vcc
	ds_write_b64 v3, v[6:7] offset:2064
.LBB229_122:
	s_or_b64 exec, exec, s[30:31]
	v_cmp_gt_u32_e32 vcc, 64, v0
	v_cmp_lt_u32_e64 s[28:29], 63, v0
	v_mov_b32_e32 v54, 0
	v_mov_b32_e32 v55, 0
	s_waitcnt lgkmcnt(0)
	s_barrier
	s_and_saveexec_b64 s[30:31], s[28:29]
	s_cbranch_execz .LBB229_124
; %bb.123:
	ds_read_b64 v[54:55], v5 offset:2056
	v_cmp_eq_u32_e64 s[28:29], 0, v2
	s_waitcnt lgkmcnt(0)
	v_add_u32_e32 v3, v54, v2
	v_add_f32_e32 v5, v4, v55
	v_cndmask_b32_e64 v4, v4, v5, s[28:29]
	v_mov_b32_e32 v2, v3
.LBB229_124:
	s_or_b64 exec, exec, s[30:31]
	v_add_u32_e32 v3, -1, v57
	v_and_b32_e32 v5, 64, v57
	v_cmp_lt_i32_e64 s[28:29], v3, v5
	v_cndmask_b32_e64 v3, v3, v57, s[28:29]
	v_lshlrev_b32_e32 v3, 2, v3
	ds_bpermute_b32 v30, v3, v2
	ds_bpermute_b32 v63, v3, v4
	v_cmp_eq_u32_e64 s[28:29], 0, v57
	s_and_saveexec_b64 s[40:41], vcc
	s_cbranch_execz .LBB229_143
; %bb.125:
	v_mov_b32_e32 v11, 0
	ds_read_b64 v[2:3], v11 offset:2088
	s_waitcnt lgkmcnt(0)
	v_readfirstlane_b32 s48, v3
	s_and_saveexec_b64 s[30:31], s[28:29]
	s_cbranch_execz .LBB229_127
; %bb.126:
	s_add_i32 s46, s62, 64
	s_mov_b32 s47, 0
	s_lshl_b64 s[50:51], s[46:47], 4
	s_add_u32 s50, s44, s50
	s_addc_u32 s51, s45, s51
	s_and_b32 s57, s48, 0xff000000
	s_mov_b32 s56, s47
	s_and_b32 s65, s48, 0xff0000
	s_mov_b32 s64, s47
	s_or_b64 s[56:57], s[64:65], s[56:57]
	s_and_b32 s65, s48, 0xff00
	s_or_b64 s[56:57], s[56:57], s[64:65]
	s_and_b32 s65, s48, 0xff
	s_or_b64 s[46:47], s[56:57], s[64:65]
	v_mov_b32_e32 v9, s47
	v_mov_b32_e32 v10, 1
	;; [unrolled: 1-line block ×3, first 2 shown]
	v_pk_mov_b32 v[4:5], s[50:51], s[50:51] op_sel:[0,1]
	;;#ASMSTART
	global_store_dwordx4 v[4:5], v[8:11] off	
s_waitcnt vmcnt(0)
	;;#ASMEND
.LBB229_127:
	s_or_b64 exec, exec, s[30:31]
	v_xad_u32 v56, v57, -1, s62
	v_add_u32_e32 v10, 64, v56
	v_lshlrev_b64 v[4:5], 4, v[10:11]
	v_mov_b32_e32 v6, s45
	v_add_co_u32_e32 v4, vcc, s44, v4
	s_mov_b32 s30, 0x70605
	v_addc_co_u32_e32 v5, vcc, v6, v5, vcc
	;;#ASMSTART
	global_load_dwordx4 v[6:9], v[4:5] off glc	
s_waitcnt vmcnt(0)
	;;#ASMEND
	v_perm_b32 v59, v7, v8, s30
	s_mov_b32 s30, 0x1000706
	v_perm_b32 v64, v7, v8, s30
	s_mov_b32 s30, 0x2010007
	v_perm_b32 v65, v7, v8, s30
	v_lshlrev_b32_e32 v59, 8, v59
	s_mov_b32 s30, 0xc0c0500
	v_alignbit_b32 v9, v7, v6, 8
	v_alignbit_b32 v58, v7, v6, 16
	v_alignbit_b32 v10, v7, v6, 24
	v_perm_b32 v7, v59, v7, s30
	v_lshlrev_b32_e32 v59, 16, v64
	v_and_b32_e32 v59, 0xff0000, v59
	v_lshlrev_b32_e32 v64, 24, v65
	v_or3_b32 v7, v7, v59, v64
	v_cmp_eq_u16_sdwa s[46:47], v8, v11 src0_sel:BYTE_0 src1_sel:DWORD
	s_and_saveexec_b64 s[30:31], s[46:47]
	s_cbranch_execz .LBB229_131
; %bb.128:
	s_mov_b64 s[46:47], 0
	v_mov_b32_e32 v10, 0
.LBB229_129:                            ; =>This Inner Loop Header: Depth=1
	;;#ASMSTART
	global_load_dwordx4 v[6:9], v[4:5] off glc	
s_waitcnt vmcnt(0)
	;;#ASMEND
	v_cmp_ne_u16_sdwa s[50:51], v8, v10 src0_sel:BYTE_0 src1_sel:DWORD
	s_or_b64 s[46:47], s[50:51], s[46:47]
	s_andn2_b64 exec, exec, s[46:47]
	s_cbranch_execnz .LBB229_129
; %bb.130:
	s_or_b64 exec, exec, s[46:47]
	s_mov_b32 s46, 0x70605
	v_perm_b32 v4, v7, v8, s46
	s_mov_b32 s46, 0x1000706
	v_perm_b32 v5, v7, v8, s46
	;; [unrolled: 2-line block ×3, first 2 shown]
	v_lshlrev_b32_e32 v4, 8, v4
	s_mov_b32 s46, 0xc0c0500
	v_lshlrev_b32_e32 v5, 16, v5
	v_alignbit_b32 v9, v7, v6, 8
	v_alignbit_b32 v58, v7, v6, 16
	v_alignbit_b32 v10, v7, v6, 24
	v_perm_b32 v4, v4, v7, s46
	v_lshlrev_b32_e32 v7, 24, v11
	v_and_b32_e32 v5, 0xff0000, v5
	v_or3_b32 v7, v4, v5, v7
.LBB229_131:
	s_or_b64 exec, exec, s[30:31]
	v_and_b32_e32 v65, 63, v57
	v_cmp_ne_u32_e32 vcc, 63, v65
	v_lshlrev_b32_e32 v5, 8, v9
	v_addc_co_u32_e32 v9, vcc, 0, v57, vcc
	v_lshlrev_b32_e32 v4, 16, v58
	s_mov_b32 s49, 0x4020c0c
	v_mov_b32_e32 v64, 2
	v_lshlrev_b32_e32 v66, 2, v9
	v_perm_b32 v4, v10, v4, s49
	v_and_b32_e32 v5, 0xff00, v5
	v_and_b32_e32 v6, 0xff, v6
	v_cmp_eq_u16_sdwa s[30:31], v8, v64 src0_sel:BYTE_0 src1_sel:DWORD
	v_lshlrev_b64 v[10:11], v57, -1
	ds_bpermute_b32 v9, v66, v7
	v_or3_b32 v4, v4, v5, v6
	v_and_b32_e32 v5, s31, v11
	v_or_b32_e32 v5, 0x80000000, v5
	v_and_b32_e32 v6, s30, v10
	v_ffbl_b32_e32 v5, v5
	v_add_u32_e32 v5, 32, v5
	v_ffbl_b32_e32 v6, v6
	v_min_u32_e32 v5, v6, v5
	s_waitcnt lgkmcnt(0)
	v_add_f32_e32 v9, v7, v9
	v_cmp_eq_u32_e32 vcc, 0, v4
	v_cndmask_b32_e32 v9, v7, v9, vcc
	v_cmp_lt_u32_e32 vcc, v65, v5
	v_cmp_gt_u32_e64 s[30:31], 62, v65
	v_cndmask_b32_e32 v7, v7, v9, vcc
	v_cndmask_b32_e64 v9, 0, 1, s[30:31]
	ds_bpermute_b32 v6, v66, v4
	v_lshlrev_b32_e32 v9, 1, v9
	v_add_lshl_u32 v67, v9, v57, 2
	ds_bpermute_b32 v9, v67, v7
	v_add_u32_e32 v68, 2, v65
	s_waitcnt lgkmcnt(1)
	v_cndmask_b32_e32 v6, 0, v6, vcc
	v_add_u32_e32 v4, v6, v4
	v_cmp_eq_u32_e32 vcc, 0, v4
	s_waitcnt lgkmcnt(0)
	v_add_f32_e32 v9, v7, v9
	v_cndmask_b32_e32 v9, v7, v9, vcc
	v_cmp_gt_u32_e32 vcc, v68, v5
	v_cmp_gt_u32_e64 s[30:31], 60, v65
	v_cndmask_b32_e32 v7, v9, v7, vcc
	v_cndmask_b32_e64 v9, 0, 1, s[30:31]
	ds_bpermute_b32 v6, v67, v4
	v_lshlrev_b32_e32 v9, 2, v9
	v_add_lshl_u32 v69, v9, v57, 2
	ds_bpermute_b32 v9, v69, v7
	v_add_u32_e32 v70, 4, v65
	s_waitcnt lgkmcnt(1)
	v_cndmask_b32_e64 v6, v6, 0, vcc
	v_add_u32_e32 v4, v4, v6
	v_cmp_eq_u32_e32 vcc, 0, v4
	s_waitcnt lgkmcnt(0)
	v_add_f32_e32 v9, v7, v9
	v_cndmask_b32_e32 v9, v7, v9, vcc
	v_cmp_gt_u32_e32 vcc, v70, v5
	v_cmp_gt_u32_e64 s[30:31], 56, v65
	v_cndmask_b32_e32 v7, v9, v7, vcc
	v_cndmask_b32_e64 v9, 0, 1, s[30:31]
	ds_bpermute_b32 v6, v69, v4
	v_lshlrev_b32_e32 v9, 3, v9
	v_add_lshl_u32 v71, v9, v57, 2
	ds_bpermute_b32 v9, v71, v7
	v_add_u32_e32 v77, 8, v65
	s_waitcnt lgkmcnt(1)
	v_cndmask_b32_e64 v6, v6, 0, vcc
	;; [unrolled: 16-line block ×3, first 2 shown]
	v_add_u32_e32 v4, v4, v6
	ds_bpermute_b32 v6, v78, v4
	s_waitcnt lgkmcnt(1)
	v_add_f32_e32 v9, v7, v9
	v_cmp_eq_u32_e32 vcc, 0, v4
	v_cndmask_b32_e32 v9, v7, v9, vcc
	v_cmp_gt_u32_e32 vcc, v79, v5
	v_cmp_gt_u32_e64 s[30:31], 32, v65
	v_cndmask_b32_e32 v7, v9, v7, vcc
	v_cndmask_b32_e64 v9, 0, 1, s[30:31]
	v_lshlrev_b32_e32 v9, 5, v9
	v_add_lshl_u32 v80, v9, v57, 2
	ds_bpermute_b32 v9, v80, v7
	s_waitcnt lgkmcnt(1)
	v_cndmask_b32_e64 v6, v6, 0, vcc
	v_add_u32_e32 v4, v4, v6
	ds_bpermute_b32 v6, v80, v4
	v_add_u32_e32 v81, 32, v65
	s_waitcnt lgkmcnt(1)
	v_add_f32_e32 v9, v7, v9
	v_cmp_eq_u32_e32 vcc, 0, v4
	v_cndmask_b32_e32 v9, v7, v9, vcc
	v_cmp_gt_u32_e32 vcc, v81, v5
	s_waitcnt lgkmcnt(0)
	v_cndmask_b32_e64 v5, v6, 0, vcc
	v_cndmask_b32_e32 v7, v9, v7, vcc
	v_add_u32_e32 v6, v5, v4
	v_mov_b32_e32 v57, 0
	s_mov_b32 s50, 0x70605
	s_mov_b32 s51, 0x1000706
	s_mov_b32 s56, 0x2010007
	s_mov_b32 s57, 0xc0c0500
	s_branch .LBB229_133
.LBB229_132:                            ;   in Loop: Header=BB229_133 Depth=1
	s_or_b64 exec, exec, s[30:31]
	v_lshlrev_b32_e32 v58, 16, v82
	v_lshlrev_b32_e32 v9, 8, v9
	v_perm_b32 v58, v83, v58, s49
	v_and_b32_e32 v9, 0xff00, v9
	v_and_b32_e32 v6, 0xff, v6
	v_cmp_eq_u16_sdwa s[30:31], v8, v64 src0_sel:BYTE_0 src1_sel:DWORD
	ds_bpermute_b32 v59, v66, v7
	v_or3_b32 v6, v58, v9, v6
	v_and_b32_e32 v9, s31, v11
	v_or_b32_e32 v9, 0x80000000, v9
	v_and_b32_e32 v58, s30, v10
	v_ffbl_b32_e32 v9, v9
	v_add_u32_e32 v9, 32, v9
	v_ffbl_b32_e32 v58, v58
	v_min_u32_e32 v9, v58, v9
	s_waitcnt lgkmcnt(0)
	v_add_f32_e32 v59, v7, v59
	v_cmp_eq_u32_e32 vcc, 0, v6
	ds_bpermute_b32 v58, v66, v6
	v_cndmask_b32_e32 v59, v7, v59, vcc
	v_cmp_lt_u32_e32 vcc, v65, v9
	v_cndmask_b32_e32 v7, v7, v59, vcc
	ds_bpermute_b32 v59, v67, v7
	s_waitcnt lgkmcnt(1)
	v_cndmask_b32_e32 v58, 0, v58, vcc
	v_add_u32_e32 v6, v58, v6
	v_cmp_eq_u32_e32 vcc, 0, v6
	ds_bpermute_b32 v58, v67, v6
	s_waitcnt lgkmcnt(1)
	v_add_f32_e32 v59, v7, v59
	v_cndmask_b32_e32 v59, v7, v59, vcc
	v_cmp_gt_u32_e32 vcc, v68, v9
	v_cndmask_b32_e32 v7, v59, v7, vcc
	ds_bpermute_b32 v59, v69, v7
	s_waitcnt lgkmcnt(1)
	v_cndmask_b32_e64 v58, v58, 0, vcc
	v_add_u32_e32 v6, v6, v58
	v_cmp_eq_u32_e32 vcc, 0, v6
	ds_bpermute_b32 v58, v69, v6
	s_waitcnt lgkmcnt(1)
	v_add_f32_e32 v59, v7, v59
	v_cndmask_b32_e32 v59, v7, v59, vcc
	v_cmp_gt_u32_e32 vcc, v70, v9
	v_cndmask_b32_e32 v7, v59, v7, vcc
	ds_bpermute_b32 v59, v71, v7
	s_waitcnt lgkmcnt(1)
	v_cndmask_b32_e64 v58, v58, 0, vcc
	v_add_u32_e32 v6, v6, v58
	ds_bpermute_b32 v58, v71, v6
	v_cmp_eq_u32_e32 vcc, 0, v6
	s_waitcnt lgkmcnt(1)
	v_add_f32_e32 v59, v7, v59
	v_cndmask_b32_e32 v59, v7, v59, vcc
	v_cmp_gt_u32_e32 vcc, v77, v9
	v_cndmask_b32_e32 v7, v59, v7, vcc
	ds_bpermute_b32 v59, v78, v7
	s_waitcnt lgkmcnt(1)
	v_cndmask_b32_e64 v58, v58, 0, vcc
	v_add_u32_e32 v6, v6, v58
	ds_bpermute_b32 v58, v78, v6
	v_cmp_eq_u32_e32 vcc, 0, v6
	;; [unrolled: 11-line block ×3, first 2 shown]
	s_waitcnt lgkmcnt(1)
	v_add_f32_e32 v59, v7, v59
	v_cndmask_b32_e32 v59, v7, v59, vcc
	v_cmp_gt_u32_e32 vcc, v81, v9
	v_cndmask_b32_e32 v7, v59, v7, vcc
	s_waitcnt lgkmcnt(0)
	v_cndmask_b32_e64 v9, v58, 0, vcc
	v_add_f32_e32 v7, v5, v7
	v_cmp_eq_u32_e32 vcc, 0, v4
	v_subrev_u32_e32 v56, 64, v56
	v_add3_u32 v6, v6, v4, v9
	v_cndmask_b32_e32 v7, v5, v7, vcc
.LBB229_133:                            ; =>This Loop Header: Depth=1
                                        ;     Child Loop BB229_136 Depth 2
	v_cmp_ne_u16_sdwa s[30:31], v8, v64 src0_sel:BYTE_0 src1_sel:DWORD
	v_cndmask_b32_e64 v4, 0, 1, s[30:31]
	;;#ASMSTART
	;;#ASMEND
	v_cmp_ne_u32_e32 vcc, 0, v4
	v_mov_b32_e32 v5, v7
	s_cmp_lg_u64 vcc, exec
	v_mov_b32_e32 v4, v6
	s_cbranch_scc1 .LBB229_138
; %bb.134:                              ;   in Loop: Header=BB229_133 Depth=1
	v_lshlrev_b64 v[6:7], 4, v[56:57]
	v_mov_b32_e32 v8, s45
	v_add_co_u32_e32 v58, vcc, s44, v6
	v_addc_co_u32_e32 v59, vcc, v8, v7, vcc
	;;#ASMSTART
	global_load_dwordx4 v[6:9], v[58:59] off glc	
s_waitcnt vmcnt(0)
	;;#ASMEND
	v_perm_b32 v84, v7, v8, s50
	v_perm_b32 v85, v7, v8, s51
	v_lshlrev_b32_e32 v84, 8, v84
	v_alignbit_b32 v9, v7, v6, 8
	v_alignbit_b32 v82, v7, v6, 16
	;; [unrolled: 1-line block ×3, first 2 shown]
	v_perm_b32 v86, v7, v8, s56
	v_perm_b32 v7, v84, v7, s57
	v_lshlrev_b32_e32 v84, 16, v85
	v_and_b32_e32 v84, 0xff0000, v84
	v_lshlrev_b32_e32 v85, 24, v86
	v_or3_b32 v7, v7, v84, v85
	v_cmp_eq_u16_sdwa s[46:47], v8, v57 src0_sel:BYTE_0 src1_sel:DWORD
	s_and_saveexec_b64 s[30:31], s[46:47]
	s_cbranch_execz .LBB229_132
; %bb.135:                              ;   in Loop: Header=BB229_133 Depth=1
	s_mov_b64 s[46:47], 0
.LBB229_136:                            ;   Parent Loop BB229_133 Depth=1
                                        ; =>  This Inner Loop Header: Depth=2
	;;#ASMSTART
	global_load_dwordx4 v[6:9], v[58:59] off glc	
s_waitcnt vmcnt(0)
	;;#ASMEND
	v_cmp_ne_u16_sdwa s[64:65], v8, v57 src0_sel:BYTE_0 src1_sel:DWORD
	s_or_b64 s[46:47], s[64:65], s[46:47]
	s_andn2_b64 exec, exec, s[46:47]
	s_cbranch_execnz .LBB229_136
; %bb.137:                              ;   in Loop: Header=BB229_133 Depth=1
	s_or_b64 exec, exec, s[46:47]
	v_perm_b32 v58, v7, v8, s50
	v_perm_b32 v59, v7, v8, s51
	v_lshlrev_b32_e32 v58, 8, v58
	v_alignbit_b32 v9, v7, v6, 8
	v_alignbit_b32 v82, v7, v6, 16
	;; [unrolled: 1-line block ×3, first 2 shown]
	v_perm_b32 v84, v7, v8, s56
	v_perm_b32 v7, v58, v7, s57
	v_lshlrev_b32_e32 v58, 16, v59
	v_lshlrev_b32_e32 v59, 24, v84
	v_and_b32_e32 v58, 0xff0000, v58
	v_or3_b32 v7, v7, v58, v59
	s_branch .LBB229_132
.LBB229_138:                            ;   in Loop: Header=BB229_133 Depth=1
                                        ; implicit-def: $vgpr7
                                        ; implicit-def: $vgpr6
                                        ; implicit-def: $vgpr8
	s_cbranch_execz .LBB229_133
; %bb.139:
	s_and_saveexec_b64 s[30:31], s[28:29]
	s_cbranch_execz .LBB229_141
; %bb.140:
	s_mov_b32 s47, 0
	v_add_f32_e32 v7, s48, v5
	v_mov_b32_e32 v8, s48
	v_cmp_eq_u32_e32 vcc, 0, v2
	s_add_i32 s46, s62, 64
	v_cndmask_b32_e32 v7, v8, v7, vcc
	s_lshl_b64 s[46:47], s[46:47], 4
	s_add_u32 s46, s44, s46
	v_and_b32_e32 v8, 0xff000000, v7
	v_and_b32_e32 v10, 0xff0000, v7
	s_addc_u32 s47, s45, s47
	v_or_b32_e32 v8, v10, v8
	v_and_b32_e32 v10, 0xff00, v7
	v_and_b32_e32 v7, 0xff, v7
	v_add_u32_e32 v6, v4, v2
	v_mov_b32_e32 v9, 0
	v_or3_b32 v7, v8, v10, v7
	v_mov_b32_e32 v8, 2
	v_pk_mov_b32 v[10:11], s[46:47], s[46:47] op_sel:[0,1]
	;;#ASMSTART
	global_store_dwordx4 v[10:11], v[6:9] off	
s_waitcnt vmcnt(0)
	;;#ASMEND
	ds_write_b128 v9, v[2:5] offset:2048
.LBB229_141:
	s_or_b64 exec, exec, s[30:31]
	s_and_b64 exec, exec, s[0:1]
	s_cbranch_execz .LBB229_143
; %bb.142:
	v_mov_b32_e32 v2, 0
	ds_write_b64 v2, v[4:5] offset:2088
.LBB229_143:
	s_or_b64 exec, exec, s[40:41]
	v_mov_b32_e32 v4, 0
	s_waitcnt lgkmcnt(0)
	s_barrier
	ds_read_b64 v[2:3], v4 offset:2088
	v_cndmask_b32_e64 v5, v63, v55, s[28:29]
	v_cndmask_b32_e64 v6, v30, v54, s[28:29]
	v_cmp_eq_u32_e32 vcc, 0, v6
	s_waitcnt lgkmcnt(0)
	v_add_f32_e32 v7, v5, v3
	v_cndmask_b32_e32 v5, v5, v7, vcc
	v_cndmask_b32_e64 v71, v5, v3, s[0:1]
	v_cndmask_b32_e64 v3, v6, 0, s[0:1]
	v_add_u32_e32 v7, v2, v3
	v_add_f32_e32 v2, v50, v71
	v_cmp_eq_u32_e32 vcc, 0, v38
	v_cndmask_b32_e32 v70, v50, v2, vcc
	v_add_f32_e32 v2, v52, v70
	v_cndmask_b32_e64 v69, v52, v2, s[26:27]
	v_add_f32_e32 v2, v51, v69
	v_cndmask_b32_e64 v68, v51, v2, s[24:25]
	;; [unrolled: 2-line block ×11, first 2 shown]
	s_barrier
	ds_read_b128 v[2:5], v4 offset:2048
	v_add_f32_e32 v6, v40, v55
	v_cndmask_b32_e64 v54, v40, v6, s[4:5]
	v_add_f32_e32 v6, v62, v54
	v_cndmask_b32_e64 v57, v62, v6, s[2:3]
	s_waitcnt lgkmcnt(0)
	v_add_f32_e32 v5, v5, v3
	v_cmp_eq_u32_e32 vcc, 0, v2
	v_cndmask_b32_e32 v30, v3, v5, vcc
	v_mov_b32_e32 v6, v4
	v_mov_b32_e32 v5, v7
	s_branch .LBB229_156
.LBB229_144:
                                        ; implicit-def: $vgpr2
                                        ; implicit-def: $vgpr30
                                        ; implicit-def: $vgpr6
                                        ; implicit-def: $vgpr57
                                        ; implicit-def: $vgpr54
                                        ; implicit-def: $vgpr55
                                        ; implicit-def: $vgpr56
                                        ; implicit-def: $vgpr58
                                        ; implicit-def: $vgpr59
                                        ; implicit-def: $vgpr63
                                        ; implicit-def: $vgpr64
                                        ; implicit-def: $vgpr65
                                        ; implicit-def: $vgpr66
                                        ; implicit-def: $vgpr67
                                        ; implicit-def: $vgpr68
                                        ; implicit-def: $vgpr69
                                        ; implicit-def: $vgpr70
                                        ; implicit-def: $vgpr71
	s_cbranch_execz .LBB229_156
; %bb.145:
	s_and_b64 s[2:3], s[34:35], exec
	s_cselect_b32 s3, 0, s61
	s_cselect_b32 s2, 0, s60
	s_cmp_eq_u64 s[2:3], 0
	s_waitcnt vmcnt(0) lgkmcnt(0)
	v_mov_b32_e32 v6, v50
	s_cbranch_scc1 .LBB229_147
; %bb.146:
	v_mov_b32_e32 v2, 0
	global_load_dword v6, v2, s[2:3]
.LBB229_147:
	v_cmp_eq_u32_e64 s[2:3], 0, v39
	v_cndmask_b32_e64 v2, v52, v76, s[2:3]
	v_add_f32_e32 v2, v51, v2
	v_cmp_eq_u32_e64 s[4:5], 0, v36
	v_cndmask_b32_e64 v2, v51, v2, s[4:5]
	v_add_f32_e32 v2, v53, v2
	;; [unrolled: 3-line block ×11, first 2 shown]
	v_cmp_eq_u32_e64 s[24:25], 0, v61
	v_cndmask_b32_e64 v2, v40, v2, s[24:25]
	v_add3_u32 v3, v75, v35, v32
	v_add_f32_e32 v2, v62, v2
	v_cmp_eq_u32_e32 vcc, 0, v31
	v_add3_u32 v3, v3, v33, v28
	v_cndmask_b32_e32 v2, v62, v2, vcc
	v_add3_u32 v3, v3, v29, v26
	v_add_f32_e32 v2, v41, v2
	v_cmp_eq_u32_e64 s[26:27], 0, v60
	v_add3_u32 v3, v3, v27, v61
	v_cndmask_b32_e64 v2, v41, v2, s[26:27]
	v_add3_u32 v3, v3, v31, v60
	v_mbcnt_hi_u32_b32 v7, -1, v74
	v_mov_b32_dpp v8, v2 row_shr:1 row_mask:0xf bank_mask:0xf
	v_and_b32_e32 v4, 15, v7
	v_add_f32_e32 v8, v2, v8
	v_cmp_eq_u32_e64 s[26:27], 0, v3
	v_mov_b32_dpp v5, v3 row_shr:1 row_mask:0xf bank_mask:0xf
	v_cndmask_b32_e64 v8, v2, v8, s[26:27]
	v_cmp_eq_u32_e64 s[26:27], 0, v4
	v_cndmask_b32_e64 v5, v5, 0, s[26:27]
	v_cndmask_b32_e64 v2, v8, v2, s[26:27]
	v_add_u32_e32 v3, v5, v3
	v_cmp_eq_u32_e64 s[26:27], 0, v3
	v_mov_b32_dpp v8, v2 row_shr:2 row_mask:0xf bank_mask:0xf
	v_add_f32_e32 v8, v2, v8
	v_mov_b32_dpp v5, v3 row_shr:2 row_mask:0xf bank_mask:0xf
	v_cndmask_b32_e64 v8, v2, v8, s[26:27]
	v_cmp_lt_u32_e64 s[26:27], 1, v4
	v_cndmask_b32_e64 v2, v2, v8, s[26:27]
	v_cndmask_b32_e64 v5, 0, v5, s[26:27]
	v_add_u32_e32 v3, v3, v5
	v_mov_b32_dpp v8, v2 row_shr:4 row_mask:0xf bank_mask:0xf
	v_add_f32_e32 v8, v2, v8
	v_cmp_eq_u32_e64 s[26:27], 0, v3
	v_mov_b32_dpp v5, v3 row_shr:4 row_mask:0xf bank_mask:0xf
	v_cndmask_b32_e64 v8, v2, v8, s[26:27]
	v_cmp_lt_u32_e64 s[26:27], 3, v4
	v_cndmask_b32_e64 v2, v2, v8, s[26:27]
	v_cndmask_b32_e64 v5, 0, v5, s[26:27]
	v_add_u32_e32 v3, v5, v3
	v_mov_b32_dpp v8, v2 row_shr:8 row_mask:0xf bank_mask:0xf
	v_add_f32_e32 v8, v2, v8
	v_cmp_eq_u32_e64 s[26:27], 0, v3
	v_mov_b32_dpp v5, v3 row_shr:8 row_mask:0xf bank_mask:0xf
	v_cndmask_b32_e64 v8, v2, v8, s[26:27]
	v_cmp_lt_u32_e64 s[26:27], 7, v4
	v_cndmask_b32_e64 v2, v2, v8, s[26:27]
	v_cndmask_b32_e64 v4, 0, v5, s[26:27]
	v_add_u32_e32 v3, v4, v3
	v_mov_b32_dpp v5, v2 row_bcast:15 row_mask:0xf bank_mask:0xf
	v_bfe_i32 v8, v7, 4, 1
	v_mov_b32_dpp v4, v3 row_bcast:15 row_mask:0xf bank_mask:0xf
	v_and_b32_e32 v9, 16, v7
	v_add_f32_e32 v5, v2, v5
	v_cmp_eq_u32_e64 s[26:27], 0, v3
	v_cndmask_b32_e64 v5, v2, v5, s[26:27]
	v_and_b32_e32 v4, v8, v4
	v_cmp_eq_u32_e64 s[26:27], 0, v9
	v_add_u32_e32 v3, v4, v3
	v_cndmask_b32_e64 v4, v5, v2, s[26:27]
	v_cmp_eq_u32_e64 s[26:27], 0, v3
	v_mov_b32_dpp v2, v3 row_bcast:31 row_mask:0xf bank_mask:0xf
	v_mov_b32_dpp v5, v4 row_bcast:31 row_mask:0xf bank_mask:0xf
	v_add_f32_e32 v5, v4, v5
	v_cndmask_b32_e64 v5, v4, v5, s[26:27]
	v_cmp_lt_u32_e64 s[26:27], 31, v7
	v_cndmask_b32_e64 v2, 0, v2, s[26:27]
	v_add_u32_e32 v2, v2, v3
	v_cmp_eq_u32_e64 s[28:29], v73, v0
	v_cndmask_b32_e64 v3, v4, v5, s[26:27]
	v_lshlrev_b32_e32 v5, 3, v72
	s_and_saveexec_b64 s[26:27], s[28:29]
	s_cbranch_execz .LBB229_149
; %bb.148:
	ds_write_b64 v5, v[2:3] offset:2064
.LBB229_149:
	s_or_b64 exec, exec, s[26:27]
	v_cmp_gt_u32_e64 s[26:27], 4, v0
	s_waitcnt lgkmcnt(0)
	s_barrier
	s_and_saveexec_b64 s[30:31], s[26:27]
	s_cbranch_execz .LBB229_151
; %bb.150:
	v_lshlrev_b32_e32 v4, 3, v0
	ds_read_b64 v[8:9], v4 offset:2064
	v_and_b32_e32 v10, 3, v7
	v_cmp_lt_u32_e64 s[28:29], 1, v10
	s_waitcnt lgkmcnt(0)
	v_mov_b32_dpp v30, v9 row_shr:1 row_mask:0xf bank_mask:0xf
	v_add_f32_e32 v30, v9, v30
	v_cmp_eq_u32_e64 s[26:27], 0, v8
	v_mov_b32_dpp v11, v8 row_shr:1 row_mask:0xf bank_mask:0xf
	v_cndmask_b32_e64 v30, v9, v30, s[26:27]
	v_cmp_eq_u32_e64 s[26:27], 0, v10
	v_cndmask_b32_e64 v11, v11, 0, s[26:27]
	v_add_u32_e32 v8, v11, v8
	v_cndmask_b32_e64 v9, v30, v9, s[26:27]
	v_cmp_eq_u32_e64 s[26:27], 0, v8
	v_mov_b32_dpp v11, v8 row_shr:2 row_mask:0xf bank_mask:0xf
	v_mov_b32_dpp v30, v9 row_shr:2 row_mask:0xf bank_mask:0xf
	v_add_f32_e32 v30, v9, v30
	v_cndmask_b32_e64 v10, 0, v11, s[28:29]
	s_and_b64 s[26:27], s[28:29], s[26:27]
	v_add_u32_e32 v8, v10, v8
	v_cndmask_b32_e64 v9, v9, v30, s[26:27]
	ds_write_b64 v4, v[8:9] offset:2064
.LBB229_151:
	s_or_b64 exec, exec, s[30:31]
	v_cmp_lt_u32_e64 s[26:27], 63, v0
	v_mov_b32_e32 v8, 0
	v_mov_b32_e32 v4, 0
	s_waitcnt vmcnt(0)
	v_mov_b32_e32 v9, v6
	s_waitcnt lgkmcnt(0)
	s_barrier
	s_and_saveexec_b64 s[28:29], s[26:27]
	s_cbranch_execz .LBB229_153
; %bb.152:
	ds_read_b64 v[4:5], v5 offset:2056
	s_waitcnt lgkmcnt(0)
	v_add_f32_e32 v9, v6, v5
	v_cmp_eq_u32_e64 s[26:27], 0, v4
	v_cndmask_b32_e64 v9, v5, v9, s[26:27]
.LBB229_153:
	s_or_b64 exec, exec, s[28:29]
	v_add_f32_e32 v10, v3, v9
	v_cmp_eq_u32_e64 s[26:27], 0, v2
	v_add_u32_e32 v5, v4, v2
	v_cndmask_b32_e64 v2, v3, v10, s[26:27]
	v_add_u32_e32 v3, -1, v7
	v_and_b32_e32 v10, 64, v7
	v_cmp_lt_i32_e64 s[26:27], v3, v10
	v_cndmask_b32_e64 v3, v3, v7, s[26:27]
	v_lshlrev_b32_e32 v3, 2, v3
	ds_bpermute_b32 v2, v3, v2
	ds_bpermute_b32 v5, v3, v5
	v_cmp_eq_u32_e64 s[26:27], 0, v7
	s_waitcnt lgkmcnt(1)
	v_cndmask_b32_e64 v71, v2, v9, s[26:27]
	v_cndmask_b32_e64 v2, v71, v6, s[0:1]
	s_waitcnt lgkmcnt(0)
	v_cndmask_b32_e64 v5, v5, v4, s[26:27]
	v_add_f32_e32 v2, v50, v2
	v_cmp_eq_u32_e64 s[26:27], 0, v38
	v_cndmask_b32_e64 v70, v50, v2, s[26:27]
	v_add_f32_e32 v2, v52, v70
	v_cndmask_b32_e64 v69, v52, v2, s[2:3]
	v_add_f32_e32 v2, v51, v69
	;; [unrolled: 2-line block ×10, first 2 shown]
	v_cndmask_b32_e64 v56, v45, v2, s[22:23]
	ds_read_b64 v[2:3], v8 offset:2088
	v_add_f32_e32 v4, v43, v56
	v_cndmask_b32_e64 v55, v43, v4, s[20:21]
	v_add_f32_e32 v4, v40, v55
	v_cndmask_b32_e64 v54, v40, v4, s[24:25]
	s_waitcnt lgkmcnt(0)
	v_add_f32_e32 v4, v6, v3
	v_cmp_eq_u32_e64 s[2:3], 0, v2
	v_add_f32_e32 v7, v62, v54
	v_cndmask_b32_e64 v30, v3, v4, s[2:3]
	s_and_saveexec_b64 s[2:3], s[0:1]
	s_cbranch_execz .LBB229_155
; %bb.154:
	s_add_u32 s4, s44, 0x400
	v_and_b32_e32 v3, 0xff000000, v30
	v_and_b32_e32 v4, 0xff0000, v30
	s_addc_u32 s5, s45, 0
	v_or_b32_e32 v3, v4, v3
	v_and_b32_e32 v4, 0xff00, v30
	v_and_b32_e32 v8, 0xff, v30
	v_mov_b32_e32 v5, 0
	v_or3_b32 v3, v3, v4, v8
	v_mov_b32_e32 v4, 2
	v_pk_mov_b32 v[8:9], s[4:5], s[4:5] op_sel:[0,1]
	;;#ASMSTART
	global_store_dwordx4 v[8:9], v[2:5] off	
s_waitcnt vmcnt(0)
	;;#ASMEND
	v_mov_b32_e32 v71, v6
.LBB229_155:
	s_or_b64 exec, exec, s[2:3]
	v_cndmask_b32_e32 v57, v62, v7, vcc
	v_mov_b32_e32 v6, 0
.LBB229_156:
	s_and_b64 s[2:3], s[34:35], exec
	s_cselect_b32 s3, 0, s59
	s_cselect_b32 s2, 0, s58
	s_cmp_eq_u64 s[2:3], 0
	v_pk_mov_b32 v[8:9], 0, 0
	s_waitcnt lgkmcnt(0)
	s_barrier
	s_cbranch_scc1 .LBB229_158
; %bb.157:
	v_mov_b32_e32 v3, 0
	global_load_dwordx2 v[8:9], v3, s[2:3]
.LBB229_158:
	s_waitcnt vmcnt(0)
	v_lshlrev_b64 v[10:11], 2, v[8:9]
	v_mov_b32_e32 v7, s43
	v_add_co_u32_e32 v62, vcc, s42, v10
	v_addc_co_u32_e32 v72, vcc, v7, v11, vcc
	v_mov_b32_e32 v7, 0
	v_lshlrev_b64 v[40:41], 2, v[6:7]
	v_add_co_u32_e32 v7, vcc, v62, v40
	v_addc_co_u32_e32 v62, vcc, v72, v41, vcc
	v_cmp_eq_u32_e32 vcc, 0, v38
	v_cndmask_b32_e64 v72, 1, 2, vcc
	v_cmp_eq_u32_e32 vcc, 0, v39
	v_cndmask_b32_e64 v73, 1, 2, vcc
	v_cmp_eq_u32_e32 vcc, 0, v36
	v_and_b32_e32 v72, v73, v72
	v_cndmask_b32_e64 v73, 1, 2, vcc
	v_cmp_eq_u32_e32 vcc, 0, v37
	v_add_u32_e32 v53, v5, v38
	v_and_b32_e32 v72, v72, v73
	v_cndmask_b32_e64 v73, 1, 2, vcc
	v_cmp_eq_u32_e32 vcc, 0, v34
	v_add_u32_e32 v52, v53, v39
	;; [unrolled: 4-line block ×12, first 2 shown]
	v_and_b32_e32 v72, v72, v73
	v_cndmask_b32_e64 v73, 1, 2, vcc
	s_movk_i32 s34, 0x100
	v_add_u32_e32 v4, v42, v61
	v_and_b32_e32 v72, v72, v73
	v_cmp_gt_u32_e32 vcc, s34, v2
	v_add_u32_e32 v3, v4, v31
	v_cmp_ne_u32_e64 s[30:31], 0, v38
	v_cmp_ne_u32_e64 s[28:29], 0, v39
	;; [unrolled: 1-line block ×15, first 2 shown]
	s_mov_b64 s[40:41], -1
	v_cmp_gt_i16_e64 s[34:35], 2, v72
	s_cbranch_vccz .LBB229_165
; %bb.159:
	s_and_saveexec_b64 s[40:41], s[34:35]
	s_cbranch_execz .LBB229_164
; %bb.160:
	v_cmp_ne_u16_e32 vcc, 1, v72
	s_mov_b64 s[42:43], 0
	s_and_saveexec_b64 s[34:35], vcc
	s_xor_b64 s[34:35], exec, s[34:35]
	s_cbranch_execnz .LBB229_254
; %bb.161:
	s_andn2_saveexec_b64 s[34:35], s[34:35]
	s_cbranch_execnz .LBB229_270
.LBB229_162:
	s_or_b64 exec, exec, s[34:35]
	s_and_b64 exec, exec, s[42:43]
	s_cbranch_execz .LBB229_164
.LBB229_163:
	v_sub_u32_e32 v74, v3, v6
	v_mov_b32_e32 v75, 0
	v_lshlrev_b64 v[74:75], 2, v[74:75]
	v_add_co_u32_e32 v74, vcc, v7, v74
	v_addc_co_u32_e32 v75, vcc, v62, v75, vcc
	global_store_dword v[74:75], v1, off
.LBB229_164:
	s_or_b64 exec, exec, s[40:41]
	s_mov_b64 s[40:41], 0
.LBB229_165:
	s_and_b64 vcc, exec, s[40:41]
	s_cbranch_vccz .LBB229_187
; %bb.166:
	v_cmp_gt_i16_e32 vcc, 2, v72
	s_and_saveexec_b64 s[34:35], vcc
	s_cbranch_execz .LBB229_171
; %bb.167:
	v_cmp_ne_u16_e32 vcc, 1, v72
	s_mov_b64 s[42:43], 0
	s_and_saveexec_b64 s[40:41], vcc
	s_xor_b64 s[40:41], exec, s[40:41]
	s_cbranch_execnz .LBB229_271
; %bb.168:
	s_andn2_saveexec_b64 s[2:3], s[40:41]
	s_cbranch_execnz .LBB229_287
.LBB229_169:
	s_or_b64 exec, exec, s[2:3]
	s_and_b64 exec, exec, s[42:43]
	s_cbranch_execz .LBB229_171
.LBB229_170:
	v_sub_u32_e32 v12, v3, v6
	v_lshlrev_b32_e32 v12, 2, v12
	ds_write_b32 v12, v1
.LBB229_171:
	s_or_b64 exec, exec, s[34:35]
	v_cmp_lt_u32_e32 vcc, v0, v2
	s_waitcnt lgkmcnt(0)
	s_barrier
	s_and_saveexec_b64 s[4:5], vcc
	s_cbranch_execz .LBB229_186
; %bb.172:
	v_xad_u32 v1, v0, -1, v2
	s_movk_i32 s2, 0x1700
	v_cmp_gt_u32_e64 s[6:7], s2, v1
	s_movk_i32 s2, 0x16ff
	v_cmp_lt_u32_e32 vcc, s2, v1
	v_mov_b32_e32 v12, v0
	s_and_saveexec_b64 s[8:9], vcc
	s_cbranch_execz .LBB229_183
; %bb.173:
	v_sub_u32_e32 v12, v0, v2
	v_or_b32_e32 v12, 0xff, v12
	v_cmp_ge_u32_e32 vcc, v12, v0
	s_mov_b64 s[2:3], -1
	v_mov_b32_e32 v12, v0
	s_and_saveexec_b64 s[10:11], vcc
	s_cbranch_execz .LBB229_182
; %bb.174:
	v_lshrrev_b32_e32 v16, 8, v1
	v_add_u32_e32 v12, -1, v16
	v_or_b32_e32 v1, 0x100, v0
	v_lshrrev_b32_e32 v13, 1, v12
	v_add_u32_e32 v17, 1, v13
	v_cmp_lt_u32_e32 vcc, 13, v12
	v_mov_b32_e32 v20, 0
	v_pk_mov_b32 v[12:13], v[0:1], v[0:1] op_sel:[0,1]
	s_and_saveexec_b64 s[12:13], vcc
	s_cbranch_execz .LBB229_178
; %bb.175:
	v_and_b32_e32 v18, -8, v17
	v_lshlrev_b32_e32 v19, 2, v0
	s_mov_b32 s16, 0
	s_mov_b64 s[14:15], 0
	v_mov_b32_e32 v15, 0
	v_pk_mov_b32 v[12:13], v[0:1], v[0:1] op_sel:[0,1]
.LBB229_176:                            ; =>This Inner Loop Header: Depth=1
	v_mov_b32_e32 v14, v12
	v_add_u32_e32 v18, -8, v18
	v_lshlrev_b64 v[96:97], 2, v[14:15]
	v_mov_b32_e32 v14, v13
	ds_read2st64_b32 v[22:23], v19 offset1:4
	s_add_i32 s16, s16, 16
	v_cmp_eq_u32_e32 vcc, 0, v18
	v_lshlrev_b64 v[100:101], 2, v[14:15]
	v_add_u32_e32 v14, 0x200, v12
	s_or_b64 s[14:15], vcc, s[14:15]
	v_add_co_u32_e32 v100, vcc, v7, v100
	v_add_u32_e32 v20, 0x200, v13
	v_mov_b32_e32 v21, v15
	ds_read2st64_b32 v[24:25], v19 offset0:8 offset1:12
	ds_read2st64_b32 v[74:75], v19 offset0:16 offset1:20
	v_add_co_u32_e64 v96, s[2:3], v7, v96
	v_addc_co_u32_e32 v101, vcc, v62, v101, vcc
	v_lshlrev_b64 v[102:103], 2, v[14:15]
	v_lshlrev_b64 v[98:99], 2, v[20:21]
	v_addc_co_u32_e64 v97, s[2:3], v62, v97, s[2:3]
	v_add_u32_e32 v14, 0x400, v12
	v_add_co_u32_e32 v102, vcc, v7, v102
	v_add_u32_e32 v72, 0x400, v13
	v_mov_b32_e32 v73, v15
	ds_read2st64_b32 v[78:79], v19 offset0:24 offset1:28
	v_add_co_u32_e64 v98, s[2:3], v7, v98
	v_addc_co_u32_e32 v103, vcc, v62, v103, vcc
	v_lshlrev_b64 v[104:105], 2, v[14:15]
	ds_read2st64_b32 v[82:83], v19 offset0:32 offset1:36
	ds_read2st64_b32 v[86:87], v19 offset0:40 offset1:44
	;; [unrolled: 1-line block ×4, first 2 shown]
	v_lshlrev_b64 v[72:73], 2, v[72:73]
	v_addc_co_u32_e64 v99, s[2:3], v62, v99, s[2:3]
	v_add_u32_e32 v14, 0x600, v12
	s_waitcnt lgkmcnt(7)
	global_store_dword v[96:97], v22, off
	global_store_dword v[100:101], v23, off
	s_waitcnt lgkmcnt(6)
	global_store_dword v[102:103], v24, off
	global_store_dword v[98:99], v25, off
	v_add_co_u32_e32 v22, vcc, v7, v104
	v_add_u32_e32 v76, 0x600, v13
	v_mov_b32_e32 v77, v15
	v_add_co_u32_e64 v72, s[2:3], v7, v72
	v_addc_co_u32_e32 v23, vcc, v62, v105, vcc
	v_lshlrev_b64 v[24:25], 2, v[14:15]
	v_lshlrev_b64 v[76:77], 2, v[76:77]
	v_addc_co_u32_e64 v73, s[2:3], v62, v73, s[2:3]
	v_add_u32_e32 v14, 0x800, v12
	s_waitcnt lgkmcnt(5)
	global_store_dword v[22:23], v74, off
	global_store_dword v[72:73], v75, off
	v_add_co_u32_e32 v22, vcc, v7, v24
	v_add_u32_e32 v80, 0x800, v13
	v_mov_b32_e32 v81, v15
	v_add_co_u32_e64 v76, s[2:3], v7, v76
	v_addc_co_u32_e32 v23, vcc, v62, v25, vcc
	v_lshlrev_b64 v[24:25], 2, v[14:15]
	v_lshlrev_b64 v[80:81], 2, v[80:81]
	v_addc_co_u32_e64 v77, s[2:3], v62, v77, s[2:3]
	v_add_u32_e32 v14, 0xa00, v12
	;; [unrolled: 12-line block ×4, first 2 shown]
	s_waitcnt lgkmcnt(2)
	global_store_dword v[22:23], v86, off
	global_store_dword v[84:85], v87, off
	v_add_co_u32_e32 v22, vcc, v7, v24
	v_add_u32_e32 v92, 0xe00, v13
	v_mov_b32_e32 v93, v15
	v_add_co_u32_e64 v88, s[2:3], v7, v88
	v_addc_co_u32_e32 v23, vcc, v62, v25, vcc
	v_lshlrev_b64 v[24:25], 2, v[14:15]
	v_lshlrev_b64 v[92:93], 2, v[92:93]
	v_addc_co_u32_e64 v89, s[2:3], v62, v89, s[2:3]
	s_waitcnt lgkmcnt(1)
	global_store_dword v[22:23], v90, off
	global_store_dword v[88:89], v91, off
	v_add_co_u32_e32 v22, vcc, v7, v24
	v_add_u32_e32 v19, 0x4000, v19
	v_add_u32_e32 v13, 0x1000, v13
	v_mov_b32_e32 v20, s16
	v_add_co_u32_e64 v92, s[2:3], v7, v92
	v_add_u32_e32 v12, 0x1000, v12
	v_addc_co_u32_e32 v23, vcc, v62, v25, vcc
	v_addc_co_u32_e64 v93, s[2:3], v62, v93, s[2:3]
	s_waitcnt lgkmcnt(0)
	global_store_dword v[22:23], v94, off
	global_store_dword v[92:93], v95, off
	s_andn2_b64 exec, exec, s[14:15]
	s_cbranch_execnz .LBB229_176
; %bb.177:
	s_or_b64 exec, exec, s[14:15]
.LBB229_178:
	s_or_b64 exec, exec, s[12:13]
	v_and_b32_e32 v1, 7, v17
	v_cmp_ne_u32_e32 vcc, 0, v1
	s_and_saveexec_b64 s[12:13], vcc
	s_cbranch_execz .LBB229_181
; %bb.179:
	v_lshlrev_b32_e32 v14, 2, v0
	v_lshl_or_b32 v17, v20, 10, v14
	s_mov_b64 s[14:15], 0
	v_mov_b32_e32 v15, 0
.LBB229_180:                            ; =>This Inner Loop Header: Depth=1
	ds_read2st64_b32 v[18:19], v17 offset1:4
	v_mov_b32_e32 v14, v12
	v_add_u32_e32 v1, -1, v1
	v_lshlrev_b64 v[20:21], 2, v[14:15]
	v_mov_b32_e32 v14, v13
	v_cmp_eq_u32_e32 vcc, 0, v1
	v_add_co_u32_e64 v20, s[2:3], v7, v20
	v_lshlrev_b64 v[22:23], 2, v[14:15]
	v_add_u32_e32 v12, 0x200, v12
	v_add_u32_e32 v17, 0x800, v17
	;; [unrolled: 1-line block ×3, first 2 shown]
	v_addc_co_u32_e64 v21, s[2:3], v62, v21, s[2:3]
	s_or_b64 s[14:15], vcc, s[14:15]
	v_add_co_u32_e32 v22, vcc, v7, v22
	v_addc_co_u32_e32 v23, vcc, v62, v23, vcc
	s_waitcnt lgkmcnt(0)
	global_store_dword v[20:21], v18, off
	global_store_dword v[22:23], v19, off
	s_andn2_b64 exec, exec, s[14:15]
	s_cbranch_execnz .LBB229_180
.LBB229_181:
	s_or_b64 exec, exec, s[12:13]
	v_add_u32_e32 v1, 1, v16
	v_and_b32_e32 v13, 0x1fffffe, v1
	v_cmp_ne_u32_e32 vcc, v1, v13
	v_lshl_or_b32 v12, v13, 8, v0
	s_orn2_b64 s[2:3], vcc, exec
.LBB229_182:
	s_or_b64 exec, exec, s[10:11]
	s_andn2_b64 s[6:7], s[6:7], exec
	s_and_b64 s[2:3], s[2:3], exec
	s_or_b64 s[6:7], s[6:7], s[2:3]
.LBB229_183:
	s_or_b64 exec, exec, s[8:9]
	s_and_b64 exec, exec, s[6:7]
	s_cbranch_execz .LBB229_186
; %bb.184:
	v_lshlrev_b32_e32 v1, 2, v12
	s_mov_b64 s[2:3], 0
	v_mov_b32_e32 v13, 0
.LBB229_185:                            ; =>This Inner Loop Header: Depth=1
	v_lshlrev_b64 v[14:15], 2, v[12:13]
	ds_read_b32 v16, v1
	v_add_co_u32_e32 v14, vcc, v7, v14
	v_add_u32_e32 v12, 0x100, v12
	v_addc_co_u32_e32 v15, vcc, v62, v15, vcc
	v_cmp_ge_u32_e32 vcc, v12, v2
	v_add_u32_e32 v1, 0x400, v1
	s_or_b64 s[2:3], vcc, s[2:3]
	s_waitcnt lgkmcnt(0)
	global_store_dword v[14:15], v16, off
	s_andn2_b64 exec, exec, s[2:3]
	s_cbranch_execnz .LBB229_185
.LBB229_186:
	s_or_b64 exec, exec, s[4:5]
.LBB229_187:
	s_cmpk_lg_i32 s33, 0xf00
	s_cselect_b64 s[2:3], -1, 0
	s_and_b64 s[0:1], s[0:1], s[38:39]
	v_cndmask_b32_e64 v12, v38, 0, s[0:1]
	s_mul_hi_u32 s0, s33, 0x88888889
	s_lshr_b32 s0, s0, 3
	v_mad_i32_i24 v13, v0, -15, s33
	v_cmp_eq_u32_e32 vcc, s0, v0
	v_cmp_ne_u32_e64 s[0:1], 0, v13
	v_cndmask_b32_e64 v14, 1, v12, s[0:1]
	v_cmp_ne_u32_e64 s[0:1], 1, v13
	v_cndmask_b32_e64 v15, 1, v39, s[0:1]
	;; [unrolled: 2-line block ×15, first 2 shown]
	s_and_b64 vcc, vcc, s[36:37]
	v_cndmask_b32_e32 v60, v60, v13, vcc
	v_cndmask_b32_e32 v31, v31, v72, vcc
	;; [unrolled: 1-line block ×15, first 2 shown]
	v_mov_b32_e32 v12, s53
	v_add_co_u32_e32 v10, vcc, s52, v10
	v_addc_co_u32_e32 v11, vcc, v12, v11, vcc
	v_cndmask_b32_e64 v1, 0, 1, s[38:39]
	v_add_co_u32_e32 v12, vcc, v10, v40
	v_addc_co_u32_e32 v13, vcc, v11, v41, vcc
	v_lshlrev_b32_e32 v10, 2, v1
	v_add_co_u32_e32 v10, vcc, v10, v12
	v_addc_co_u32_e32 v11, vcc, 0, v13, vcc
	v_add_co_u32_e32 v14, vcc, -4, v10
	v_addc_co_u32_e32 v15, vcc, -1, v11, vcc
	v_cmp_eq_u32_e32 vcc, 0, v28
	v_cndmask_b32_e64 v11, 1, 2, vcc
	v_cmp_eq_u32_e32 vcc, 0, v26
	v_cmp_ne_u32_e64 s[26:27], 0, v26
	v_cndmask_b32_e64 v26, 1, 2, vcc
	v_cmp_eq_u32_e32 vcc, 0, v17
	v_and_b32_e32 v11, v26, v11
	v_cmp_ne_u32_e64 s[24:25], 0, v17
	v_cndmask_b32_e64 v17, 1, 2, vcc
	v_cmp_eq_u32_e32 vcc, 0, v18
	v_and_b32_e32 v11, v11, v17
	v_cndmask_b32_e64 v17, 1, 2, vcc
	v_cmp_eq_u32_e32 vcc, 0, v19
	v_and_b32_e32 v11, v11, v17
	;; [unrolled: 3-line block ×9, first 2 shown]
	v_cndmask_b32_e64 v17, 1, 2, vcc
	v_cmp_eq_u32_e32 vcc, 0, v61
	s_and_b64 s[2:3], s[2:3], s[36:37]
	v_and_b32_e32 v11, v11, v17
	v_cndmask_b32_e64 v17, 1, 2, vcc
	v_cmp_eq_u32_e32 vcc, 0, v31
	v_sub_u32_e32 v7, v2, v1
	v_cndmask_b32_e64 v16, 0, 1, s[2:3]
	v_and_b32_e32 v11, v11, v17
	v_cndmask_b32_e64 v17, 1, 2, vcc
	v_cmp_eq_u32_e32 vcc, 0, v60
	v_add_u32_e32 v7, v7, v16
	v_and_b32_e32 v11, v11, v17
	v_cndmask_b32_e64 v17, 1, 2, vcc
	s_movk_i32 s30, 0x100
	v_and_b32_e32 v11, v11, v17
	v_cmp_gt_u32_e32 vcc, s30, v7
	v_add_u32_e32 v10, v6, v1
	v_cmp_ne_u32_e64 s[28:29], 0, v28
	v_cmp_ne_u32_e64 s[22:23], 0, v18
	;; [unrolled: 1-line block ×13, first 2 shown]
	s_mov_b64 s[34:35], -1
	v_cmp_gt_i16_e64 s[30:31], 2, v11
	s_barrier
	s_cbranch_vccz .LBB229_194
; %bb.188:
	s_and_saveexec_b64 s[34:35], s[30:31]
	s_cbranch_execz .LBB229_193
; %bb.189:
	v_cmp_ne_u16_e32 vcc, 1, v11
	s_mov_b64 s[38:39], 0
	s_and_saveexec_b64 s[30:31], vcc
	s_xor_b64 s[30:31], exec, s[30:31]
	s_cbranch_execnz .LBB229_288
; %bb.190:
	s_andn2_saveexec_b64 s[30:31], s[30:31]
	s_cbranch_execnz .LBB229_304
.LBB229_191:
	s_or_b64 exec, exec, s[30:31]
	s_and_b64 exec, exec, s[38:39]
	s_cbranch_execz .LBB229_193
.LBB229_192:
	v_sub_u32_e32 v18, v3, v10
	v_mov_b32_e32 v19, 0
	v_lshlrev_b64 v[18:19], 2, v[18:19]
	v_add_co_u32_e32 v18, vcc, v14, v18
	v_addc_co_u32_e32 v19, vcc, v15, v19, vcc
	global_store_dword v[18:19], v57, off
.LBB229_193:
	s_or_b64 exec, exec, s[34:35]
	s_mov_b64 s[34:35], 0
.LBB229_194:
	s_and_b64 vcc, exec, s[34:35]
	s_cbranch_vccz .LBB229_216
; %bb.195:
	v_cmp_gt_i16_e32 vcc, 2, v11
	s_and_saveexec_b64 s[30:31], vcc
	s_cbranch_execz .LBB229_200
; %bb.196:
	v_cmp_ne_u16_e32 vcc, 1, v11
	s_mov_b64 s[38:39], 0
	s_and_saveexec_b64 s[34:35], vcc
	s_xor_b64 s[34:35], exec, s[34:35]
	s_cbranch_execnz .LBB229_305
; %bb.197:
	s_andn2_saveexec_b64 s[0:1], s[34:35]
	s_cbranch_execnz .LBB229_321
.LBB229_198:
	s_or_b64 exec, exec, s[0:1]
	s_and_b64 exec, exec, s[38:39]
	s_cbranch_execz .LBB229_200
.LBB229_199:
	v_sub_u32_e32 v3, v3, v10
	v_lshlrev_b32_e32 v3, 2, v3
	ds_write_b32 v3, v57
.LBB229_200:
	s_or_b64 exec, exec, s[30:31]
	v_cmp_lt_u32_e32 vcc, v0, v7
	s_waitcnt lgkmcnt(0)
	s_barrier
	s_and_saveexec_b64 s[2:3], vcc
	s_cbranch_execz .LBB229_215
; %bb.201:
	v_add_u32_e32 v5, v2, v16
	v_xad_u32 v3, v0, -1, v5
	v_sub_u32_e32 v3, v3, v1
	s_movk_i32 s0, 0x1900
	v_cmp_gt_u32_e64 s[4:5], s0, v3
	s_movk_i32 s0, 0x18ff
	v_cmp_lt_u32_e32 vcc, s0, v3
	v_mov_b32_e32 v4, v0
	s_and_saveexec_b64 s[6:7], vcc
	s_cbranch_execz .LBB229_212
; %bb.202:
	v_sub_u32_e32 v4, v0, v5
	v_add_u32_e32 v1, v4, v1
	v_or_b32_e32 v1, 0xff, v1
	v_cmp_ge_u32_e32 vcc, v1, v0
	s_mov_b64 s[0:1], -1
	v_mov_b32_e32 v4, v0
	s_and_saveexec_b64 s[8:9], vcc
	s_cbranch_execz .LBB229_211
; %bb.203:
	v_lshrrev_b32_e32 v3, 8, v3
	v_add_u32_e32 v4, -1, v3
	v_or_b32_e32 v1, 0x100, v0
	v_lshrrev_b32_e32 v5, 1, v4
	v_add_u32_e32 v17, 1, v5
	v_cmp_lt_u32_e32 vcc, 13, v4
	v_mov_b32_e32 v20, 0
	v_lshlrev_b32_e32 v16, 2, v0
	v_pk_mov_b32 v[4:5], v[0:1], v[0:1] op_sel:[0,1]
	s_and_saveexec_b64 s[10:11], vcc
	s_cbranch_execz .LBB229_207
; %bb.204:
	v_and_b32_e32 v18, -8, v17
	s_mov_b32 s14, 0
	s_mov_b64 s[12:13], 0
	v_mov_b32_e32 v11, 0
	v_mov_b32_e32 v19, v16
	v_pk_mov_b32 v[4:5], v[0:1], v[0:1] op_sel:[0,1]
.LBB229_205:                            ; =>This Inner Loop Header: Depth=1
	v_mov_b32_e32 v10, v4
	v_add_u32_e32 v18, -8, v18
	v_lshlrev_b64 v[52:53], 2, v[10:11]
	v_mov_b32_e32 v10, v5
	ds_read2st64_b32 v[22:23], v19 offset1:4
	s_add_i32 s14, s14, 16
	v_cmp_eq_u32_e32 vcc, 0, v18
	v_lshlrev_b64 v[56:57], 2, v[10:11]
	v_add_u32_e32 v10, 0x200, v4
	s_or_b64 s[12:13], vcc, s[12:13]
	v_add_co_u32_e32 v56, vcc, v14, v56
	v_add_u32_e32 v20, 0x200, v5
	v_mov_b32_e32 v21, v11
	ds_read2st64_b32 v[24:25], v19 offset0:8 offset1:12
	ds_read2st64_b32 v[28:29], v19 offset0:16 offset1:20
	v_add_co_u32_e64 v52, s[0:1], v14, v52
	v_addc_co_u32_e32 v57, vcc, v15, v57, vcc
	v_lshlrev_b64 v[58:59], 2, v[10:11]
	v_lshlrev_b64 v[54:55], 2, v[20:21]
	v_addc_co_u32_e64 v53, s[0:1], v15, v53, s[0:1]
	v_add_u32_e32 v10, 0x400, v4
	v_add_co_u32_e32 v58, vcc, v14, v58
	v_add_u32_e32 v26, 0x400, v5
	v_mov_b32_e32 v27, v11
	ds_read2st64_b32 v[34:35], v19 offset0:24 offset1:28
	v_add_co_u32_e64 v54, s[0:1], v14, v54
	v_addc_co_u32_e32 v59, vcc, v15, v59, vcc
	v_lshlrev_b64 v[60:61], 2, v[10:11]
	ds_read2st64_b32 v[38:39], v19 offset0:32 offset1:36
	ds_read2st64_b32 v[42:43], v19 offset0:40 offset1:44
	;; [unrolled: 1-line block ×4, first 2 shown]
	v_lshlrev_b64 v[26:27], 2, v[26:27]
	v_addc_co_u32_e64 v55, s[0:1], v15, v55, s[0:1]
	v_add_u32_e32 v10, 0x600, v4
	s_waitcnt lgkmcnt(7)
	global_store_dword v[52:53], v22, off
	global_store_dword v[56:57], v23, off
	s_waitcnt lgkmcnt(6)
	global_store_dword v[58:59], v24, off
	global_store_dword v[54:55], v25, off
	v_add_co_u32_e32 v22, vcc, v14, v60
	v_add_u32_e32 v32, 0x600, v5
	v_mov_b32_e32 v33, v11
	v_add_co_u32_e64 v26, s[0:1], v14, v26
	v_addc_co_u32_e32 v23, vcc, v15, v61, vcc
	v_lshlrev_b64 v[24:25], 2, v[10:11]
	v_lshlrev_b64 v[32:33], 2, v[32:33]
	v_addc_co_u32_e64 v27, s[0:1], v15, v27, s[0:1]
	v_add_u32_e32 v10, 0x800, v4
	s_waitcnt lgkmcnt(5)
	global_store_dword v[22:23], v28, off
	global_store_dword v[26:27], v29, off
	v_add_co_u32_e32 v22, vcc, v14, v24
	v_add_u32_e32 v36, 0x800, v5
	v_mov_b32_e32 v37, v11
	v_add_co_u32_e64 v32, s[0:1], v14, v32
	v_addc_co_u32_e32 v23, vcc, v15, v25, vcc
	v_lshlrev_b64 v[24:25], 2, v[10:11]
	v_lshlrev_b64 v[36:37], 2, v[36:37]
	v_addc_co_u32_e64 v33, s[0:1], v15, v33, s[0:1]
	v_add_u32_e32 v10, 0xa00, v4
	;; [unrolled: 12-line block ×4, first 2 shown]
	s_waitcnt lgkmcnt(2)
	global_store_dword v[22:23], v42, off
	global_store_dword v[40:41], v43, off
	v_add_co_u32_e32 v22, vcc, v14, v24
	v_add_u32_e32 v48, 0xe00, v5
	v_mov_b32_e32 v49, v11
	v_add_co_u32_e64 v44, s[0:1], v14, v44
	v_addc_co_u32_e32 v23, vcc, v15, v25, vcc
	v_lshlrev_b64 v[24:25], 2, v[10:11]
	v_lshlrev_b64 v[48:49], 2, v[48:49]
	v_addc_co_u32_e64 v45, s[0:1], v15, v45, s[0:1]
	s_waitcnt lgkmcnt(1)
	global_store_dword v[22:23], v46, off
	global_store_dword v[44:45], v47, off
	v_add_co_u32_e32 v22, vcc, v14, v24
	v_add_u32_e32 v19, 0x4000, v19
	v_add_u32_e32 v5, 0x1000, v5
	v_mov_b32_e32 v20, s14
	v_add_co_u32_e64 v48, s[0:1], v14, v48
	v_add_u32_e32 v4, 0x1000, v4
	v_addc_co_u32_e32 v23, vcc, v15, v25, vcc
	v_addc_co_u32_e64 v49, s[0:1], v15, v49, s[0:1]
	s_waitcnt lgkmcnt(0)
	global_store_dword v[22:23], v50, off
	global_store_dword v[48:49], v51, off
	s_andn2_b64 exec, exec, s[12:13]
	s_cbranch_execnz .LBB229_205
; %bb.206:
	s_or_b64 exec, exec, s[12:13]
.LBB229_207:
	s_or_b64 exec, exec, s[10:11]
	v_and_b32_e32 v1, 7, v17
	v_cmp_ne_u32_e32 vcc, 0, v1
	s_and_saveexec_b64 s[10:11], vcc
	s_cbranch_execz .LBB229_210
; %bb.208:
	v_lshl_or_b32 v16, v20, 10, v16
	s_mov_b64 s[12:13], 0
	v_mov_b32_e32 v11, 0
.LBB229_209:                            ; =>This Inner Loop Header: Depth=1
	ds_read2st64_b32 v[18:19], v16 offset1:4
	v_mov_b32_e32 v10, v4
	v_add_u32_e32 v1, -1, v1
	v_lshlrev_b64 v[20:21], 2, v[10:11]
	v_mov_b32_e32 v10, v5
	v_cmp_eq_u32_e32 vcc, 0, v1
	v_add_co_u32_e64 v20, s[0:1], v14, v20
	v_lshlrev_b64 v[22:23], 2, v[10:11]
	v_add_u32_e32 v4, 0x200, v4
	v_add_u32_e32 v16, 0x800, v16
	;; [unrolled: 1-line block ×3, first 2 shown]
	v_addc_co_u32_e64 v21, s[0:1], v15, v21, s[0:1]
	s_or_b64 s[12:13], vcc, s[12:13]
	v_add_co_u32_e32 v22, vcc, v14, v22
	v_addc_co_u32_e32 v23, vcc, v15, v23, vcc
	s_waitcnt lgkmcnt(0)
	global_store_dword v[20:21], v18, off
	global_store_dword v[22:23], v19, off
	s_andn2_b64 exec, exec, s[12:13]
	s_cbranch_execnz .LBB229_209
.LBB229_210:
	s_or_b64 exec, exec, s[10:11]
	v_add_u32_e32 v1, 1, v3
	v_and_b32_e32 v3, 0x1fffffe, v1
	v_cmp_ne_u32_e32 vcc, v1, v3
	v_lshl_or_b32 v4, v3, 8, v0
	s_orn2_b64 s[0:1], vcc, exec
.LBB229_211:
	s_or_b64 exec, exec, s[8:9]
	s_andn2_b64 s[4:5], s[4:5], exec
	s_and_b64 s[0:1], s[0:1], exec
	s_or_b64 s[4:5], s[4:5], s[0:1]
.LBB229_212:
	s_or_b64 exec, exec, s[6:7]
	s_and_b64 exec, exec, s[4:5]
	s_cbranch_execz .LBB229_215
; %bb.213:
	v_lshlrev_b32_e32 v1, 2, v4
	s_mov_b64 s[0:1], 0
	v_mov_b32_e32 v5, 0
.LBB229_214:                            ; =>This Inner Loop Header: Depth=1
	v_lshlrev_b64 v[10:11], 2, v[4:5]
	ds_read_b32 v3, v1
	v_add_co_u32_e32 v10, vcc, v14, v10
	v_add_u32_e32 v4, 0x100, v4
	v_addc_co_u32_e32 v11, vcc, v15, v11, vcc
	v_cmp_ge_u32_e32 vcc, v4, v7
	v_add_u32_e32 v1, 0x400, v1
	s_or_b64 s[0:1], vcc, s[0:1]
	s_waitcnt lgkmcnt(0)
	global_store_dword v[10:11], v3, off
	s_andn2_b64 exec, exec, s[0:1]
	s_cbranch_execnz .LBB229_214
.LBB229_215:
	s_or_b64 exec, exec, s[2:3]
.LBB229_216:
	s_movk_i32 s0, 0xff
	v_cmp_eq_u32_e32 vcc, s0, v0
	s_and_b64 s[0:1], vcc, s[36:37]
	s_and_saveexec_b64 s[2:3], s[0:1]
	s_cbranch_execz .LBB229_219
; %bb.217:
	v_add_co_u32_e32 v0, vcc, v2, v6
	v_addc_co_u32_e64 v1, s[0:1], 0, 0, vcc
	v_add_co_u32_e32 v0, vcc, v0, v8
	v_mov_b32_e32 v3, 0
	v_addc_co_u32_e32 v1, vcc, v1, v9, vcc
	s_cmpk_lg_i32 s33, 0xf00
	global_store_dwordx2 v3, v[0:1], s[54:55]
	s_cbranch_scc1 .LBB229_219
; %bb.218:
	v_lshlrev_b64 v[0:1], 2, v[2:3]
	v_add_co_u32_e32 v0, vcc, v12, v0
	v_addc_co_u32_e32 v1, vcc, v13, v1, vcc
	global_store_dword v[0:1], v30, off offset:-4
.LBB229_219:
	s_endpgm
.LBB229_220:
                                        ; implicit-def: $sgpr10_sgpr11
                                        ; implicit-def: $vgpr60
                                        ; implicit-def: $vgpr5
                                        ; implicit-def: $vgpr61
                                        ; implicit-def: $vgpr27
                                        ; implicit-def: $vgpr26
                                        ; implicit-def: $vgpr29
                                        ; implicit-def: $vgpr28
                                        ; implicit-def: $vgpr33
                                        ; implicit-def: $vgpr32
                                        ; implicit-def: $vgpr35
                                        ; implicit-def: $vgpr34
                                        ; implicit-def: $vgpr37
                                        ; implicit-def: $vgpr36
                                        ; implicit-def: $vgpr39
	s_cbranch_execz .LBB229_114
.LBB229_221:
	v_mov_b32_e32 v31, 0
	v_lshlrev_b32_e32 v4, 2, v0
	v_cmp_gt_u64_e32 vcc, s[6:7], v[30:31]
	v_mov_b32_e32 v60, 0
	ds_write_b32 v4, v1
	s_and_saveexec_b64 s[8:9], vcc
	s_cbranch_execz .LBB229_223
; %bb.222:
	v_cvt_i32_f32_e32 v3, v13
	v_cvt_i32_f32_e32 v5, v1
	s_mov_b32 s10, 0x66666667
	v_mul_hi_i32 v3, v3, s10
	s_waitcnt vmcnt(0) lgkmcnt(0)
	v_lshrrev_b32_e32 v6, 31, v3
	v_ashrrev_i32_e32 v3, 2, v3
	v_mul_hi_i32 v5, v5, s10
	v_add_u32_e32 v3, v3, v6
	v_lshrrev_b32_e32 v6, 31, v5
	v_ashrrev_i32_e32 v5, 2, v5
	v_add_u32_e32 v5, v5, v6
	v_cmp_ne_u32_e32 vcc, v3, v5
	v_cndmask_b32_e64 v60, 0, 1, vcc
.LBB229_223:
	s_or_b64 exec, exec, s[8:9]
	v_add_u32_e32 v30, 13, v2
	v_cmp_gt_u64_e32 vcc, s[6:7], v[30:31]
	s_and_saveexec_b64 s[8:9], vcc
	s_cbranch_execz .LBB229_225
; %bb.224:
	v_cvt_i32_f32_e32 v3, v12
	v_cvt_i32_f32_e32 v5, v13
	s_mov_b32 s10, 0x66666667
	v_mul_hi_i32 v3, v3, s10
	s_waitcnt vmcnt(0) lgkmcnt(0)
	v_lshrrev_b32_e32 v6, 31, v3
	v_ashrrev_i32_e32 v3, 2, v3
	v_mul_hi_i32 v5, v5, s10
	v_add_u32_e32 v3, v3, v6
	v_lshrrev_b32_e32 v6, 31, v5
	v_ashrrev_i32_e32 v5, 2, v5
	v_add_u32_e32 v5, v5, v6
	v_cmp_ne_u32_e32 vcc, v3, v5
	v_cndmask_b32_e64 v31, 0, 1, vcc
.LBB229_225:
	s_or_b64 exec, exec, s[8:9]
	v_add_u32_e32 v26, 12, v2
	v_mov_b32_e32 v27, 0
	v_cmp_gt_u64_e32 vcc, s[6:7], v[26:27]
	v_mov_b32_e32 v61, 0
	s_and_saveexec_b64 s[8:9], vcc
	s_cbranch_execz .LBB229_227
; %bb.226:
	v_cvt_i32_f32_e32 v3, v15
	v_cvt_i32_f32_e32 v5, v12
	s_mov_b32 s10, 0x66666667
	v_mul_hi_i32 v3, v3, s10
	s_waitcnt vmcnt(0) lgkmcnt(0)
	v_lshrrev_b32_e32 v6, 31, v3
	v_ashrrev_i32_e32 v3, 2, v3
	v_mul_hi_i32 v5, v5, s10
	v_add_u32_e32 v3, v3, v6
	v_lshrrev_b32_e32 v6, 31, v5
	v_ashrrev_i32_e32 v5, 2, v5
	v_add_u32_e32 v5, v5, v6
	v_cmp_ne_u32_e32 vcc, v3, v5
	v_cndmask_b32_e64 v61, 0, 1, vcc
.LBB229_227:
	s_or_b64 exec, exec, s[8:9]
	v_add_u32_e32 v26, 11, v2
	v_cmp_gt_u64_e32 vcc, s[6:7], v[26:27]
	s_and_saveexec_b64 s[8:9], vcc
	s_cbranch_execz .LBB229_229
; %bb.228:
	v_cvt_i32_f32_e32 v3, v14
	v_cvt_i32_f32_e32 v5, v15
	s_mov_b32 s10, 0x66666667
	v_mul_hi_i32 v3, v3, s10
	s_waitcnt vmcnt(0) lgkmcnt(0)
	v_lshrrev_b32_e32 v6, 31, v3
	v_ashrrev_i32_e32 v3, 2, v3
	v_mul_hi_i32 v5, v5, s10
	v_add_u32_e32 v3, v3, v6
	v_lshrrev_b32_e32 v6, 31, v5
	v_ashrrev_i32_e32 v5, 2, v5
	v_add_u32_e32 v5, v5, v6
	v_cmp_ne_u32_e32 vcc, v3, v5
	v_cndmask_b32_e64 v27, 0, 1, vcc
.LBB229_229:
	s_or_b64 exec, exec, s[8:9]
	v_add_u32_e32 v28, 10, v2
	v_mov_b32_e32 v29, 0
	v_cmp_gt_u64_e32 vcc, s[6:7], v[28:29]
	v_mov_b32_e32 v26, 0
	;; [unrolled: 44-line block ×6, first 2 shown]
	s_and_saveexec_b64 s[8:9], vcc
	s_cbranch_execz .LBB229_247
; %bb.246:
	v_cvt_i32_f32_e32 v3, v25
	v_cvt_i32_f32_e32 v5, v22
	s_mov_b32 s10, 0x66666667
	v_mul_hi_i32 v3, v3, s10
	s_waitcnt vmcnt(0) lgkmcnt(0)
	v_lshrrev_b32_e32 v6, 31, v3
	v_ashrrev_i32_e32 v3, 2, v3
	v_mul_hi_i32 v5, v5, s10
	v_add_u32_e32 v3, v3, v6
	v_lshrrev_b32_e32 v6, 31, v5
	v_ashrrev_i32_e32 v5, 2, v5
	v_add_u32_e32 v5, v5, v6
	v_cmp_ne_u32_e32 vcc, v3, v5
	v_cndmask_b32_e64 v36, 0, 1, vcc
.LBB229_247:
	s_or_b64 exec, exec, s[8:9]
	v_add_u32_e32 v38, 1, v2
	v_cmp_gt_u64_e32 vcc, s[6:7], v[38:39]
	s_and_saveexec_b64 s[8:9], vcc
	s_cbranch_execz .LBB229_249
; %bb.248:
	v_cvt_i32_f32_e32 v3, v24
	v_cvt_i32_f32_e32 v5, v25
	s_mov_b32 s10, 0x66666667
	v_mul_hi_i32 v3, v3, s10
	s_waitcnt vmcnt(0) lgkmcnt(0)
	v_lshrrev_b32_e32 v6, 31, v3
	v_ashrrev_i32_e32 v3, 2, v3
	v_mul_hi_i32 v5, v5, s10
	v_add_u32_e32 v3, v3, v6
	v_lshrrev_b32_e32 v6, 31, v5
	v_ashrrev_i32_e32 v5, 2, v5
	v_add_u32_e32 v5, v5, v6
	v_cmp_ne_u32_e32 vcc, v3, v5
	v_cndmask_b32_e64 v39, 0, 1, vcc
.LBB229_249:
	s_or_b64 exec, exec, s[8:9]
	s_waitcnt lgkmcnt(0)
	s_barrier
	s_waitcnt lgkmcnt(0)
                                        ; implicit-def: $sgpr10_sgpr11
	s_and_saveexec_b64 s[8:9], s[2:3]
	s_cbranch_execz .LBB229_253
; %bb.250:
	v_mov_b32_e32 v3, 0
	v_cmp_gt_u64_e32 vcc, s[6:7], v[2:3]
	s_mov_b64 s[6:7], 0
	s_and_saveexec_b64 s[2:3], vcc
	s_cbranch_execz .LBB229_252
; %bb.251:
	v_add_u32_e32 v2, -4, v4
	ds_read_b32 v2, v2
	v_cvt_i32_f32_e32 v3, v24
	s_mov_b32 s6, 0x66666667
	v_mul_hi_i32 v3, v3, s6
	s_waitcnt lgkmcnt(0)
	v_cvt_i32_f32_e32 v2, v2
	v_lshrrev_b32_e32 v4, 31, v3
	v_ashrrev_i32_e32 v3, 2, v3
	v_add_u32_e32 v3, v3, v4
	v_mul_hi_i32 v2, v2, s6
	v_lshrrev_b32_e32 v5, 31, v2
	v_ashrrev_i32_e32 v2, 2, v2
	v_add_u32_e32 v2, v2, v5
	v_cmp_ne_u32_e32 vcc, v2, v3
	s_and_b64 s[6:7], vcc, exec
.LBB229_252:
	s_or_b64 exec, exec, s[2:3]
	s_and_b64 s[10:11], s[6:7], exec
	s_or_b64 s[4:5], s[4:5], exec
.LBB229_253:
	s_or_b64 exec, exec, s[8:9]
	s_mov_b32 s12, 1
	v_mov_b32_e32 v5, v31
	v_mov_b32_e32 v38, s12
	s_and_saveexec_b64 s[2:3], s[4:5]
	s_cbranch_execnz .LBB229_116
	s_branch .LBB229_117
.LBB229_254:
	s_and_saveexec_b64 s[42:43], s[30:31]
	s_cbranch_execnz .LBB229_322
; %bb.255:
	s_or_b64 exec, exec, s[42:43]
	s_and_saveexec_b64 s[42:43], s[28:29]
	s_cbranch_execnz .LBB229_323
.LBB229_256:
	s_or_b64 exec, exec, s[42:43]
	s_and_saveexec_b64 s[42:43], s[26:27]
	s_cbranch_execnz .LBB229_324
.LBB229_257:
	s_or_b64 exec, exec, s[42:43]
	s_and_saveexec_b64 s[42:43], s[24:25]
	s_cbranch_execnz .LBB229_325
.LBB229_258:
	s_or_b64 exec, exec, s[42:43]
	s_and_saveexec_b64 s[42:43], s[22:23]
	s_cbranch_execnz .LBB229_326
.LBB229_259:
	s_or_b64 exec, exec, s[42:43]
	s_and_saveexec_b64 s[42:43], s[20:21]
	s_cbranch_execnz .LBB229_327
.LBB229_260:
	s_or_b64 exec, exec, s[42:43]
	s_and_saveexec_b64 s[42:43], s[18:19]
	s_cbranch_execnz .LBB229_328
.LBB229_261:
	s_or_b64 exec, exec, s[42:43]
	s_and_saveexec_b64 s[42:43], s[16:17]
	s_cbranch_execnz .LBB229_329
.LBB229_262:
	s_or_b64 exec, exec, s[42:43]
	s_and_saveexec_b64 s[42:43], s[14:15]
	s_cbranch_execnz .LBB229_330
.LBB229_263:
	s_or_b64 exec, exec, s[42:43]
	s_and_saveexec_b64 s[42:43], s[12:13]
	s_cbranch_execnz .LBB229_331
.LBB229_264:
	s_or_b64 exec, exec, s[42:43]
	s_and_saveexec_b64 s[42:43], s[10:11]
	s_cbranch_execnz .LBB229_332
.LBB229_265:
	s_or_b64 exec, exec, s[42:43]
	s_and_saveexec_b64 s[42:43], s[8:9]
	s_cbranch_execnz .LBB229_333
.LBB229_266:
	s_or_b64 exec, exec, s[42:43]
	s_and_saveexec_b64 s[42:43], s[6:7]
	s_cbranch_execnz .LBB229_334
.LBB229_267:
	s_or_b64 exec, exec, s[42:43]
	s_and_saveexec_b64 s[42:43], s[4:5]
	s_cbranch_execz .LBB229_269
.LBB229_268:
	v_sub_u32_e32 v74, v4, v6
	v_mov_b32_e32 v75, 0
	v_lshlrev_b64 v[74:75], 2, v[74:75]
	v_add_co_u32_e32 v74, vcc, v7, v74
	v_addc_co_u32_e32 v75, vcc, v62, v75, vcc
	global_store_dword v[74:75], v13, off
.LBB229_269:
	s_or_b64 exec, exec, s[42:43]
	s_and_b64 s[42:43], s[2:3], exec
	s_andn2_saveexec_b64 s[34:35], s[34:35]
	s_cbranch_execz .LBB229_162
.LBB229_270:
	v_sub_u32_e32 v74, v5, v6
	v_mov_b32_e32 v75, 0
	v_lshlrev_b64 v[76:77], 2, v[74:75]
	v_add_co_u32_e32 v76, vcc, v7, v76
	v_addc_co_u32_e32 v77, vcc, v62, v77, vcc
	v_sub_u32_e32 v74, v53, v6
	global_store_dword v[76:77], v24, off
	v_lshlrev_b64 v[76:77], 2, v[74:75]
	v_add_co_u32_e32 v76, vcc, v7, v76
	v_addc_co_u32_e32 v77, vcc, v62, v77, vcc
	v_sub_u32_e32 v74, v52, v6
	global_store_dword v[76:77], v25, off
	;; [unrolled: 5-line block ×12, first 2 shown]
	v_lshlrev_b64 v[76:77], 2, v[74:75]
	v_add_co_u32_e32 v76, vcc, v7, v76
	v_sub_u32_e32 v74, v4, v6
	v_addc_co_u32_e32 v77, vcc, v62, v77, vcc
	v_lshlrev_b64 v[74:75], 2, v[74:75]
	v_add_co_u32_e32 v74, vcc, v7, v74
	v_addc_co_u32_e32 v75, vcc, v62, v75, vcc
	s_or_b64 s[42:43], s[42:43], exec
	global_store_dword v[76:77], v12, off
	global_store_dword v[74:75], v13, off
	s_or_b64 exec, exec, s[34:35]
	s_and_b64 exec, exec, s[42:43]
	s_cbranch_execnz .LBB229_163
	s_branch .LBB229_164
.LBB229_271:
	s_and_saveexec_b64 s[42:43], s[30:31]
	s_cbranch_execnz .LBB229_335
; %bb.272:
	s_or_b64 exec, exec, s[42:43]
	s_and_saveexec_b64 s[30:31], s[28:29]
	s_cbranch_execnz .LBB229_336
.LBB229_273:
	s_or_b64 exec, exec, s[30:31]
	s_and_saveexec_b64 s[28:29], s[26:27]
	s_cbranch_execnz .LBB229_337
.LBB229_274:
	s_or_b64 exec, exec, s[28:29]
	s_and_saveexec_b64 s[26:27], s[24:25]
	s_cbranch_execnz .LBB229_338
.LBB229_275:
	s_or_b64 exec, exec, s[26:27]
	s_and_saveexec_b64 s[24:25], s[22:23]
	s_cbranch_execnz .LBB229_339
.LBB229_276:
	s_or_b64 exec, exec, s[24:25]
	s_and_saveexec_b64 s[22:23], s[20:21]
	s_cbranch_execnz .LBB229_340
.LBB229_277:
	s_or_b64 exec, exec, s[22:23]
	s_and_saveexec_b64 s[20:21], s[18:19]
	s_cbranch_execnz .LBB229_341
.LBB229_278:
	s_or_b64 exec, exec, s[20:21]
	s_and_saveexec_b64 s[18:19], s[16:17]
	s_cbranch_execnz .LBB229_342
.LBB229_279:
	s_or_b64 exec, exec, s[18:19]
	s_and_saveexec_b64 s[16:17], s[14:15]
	s_cbranch_execnz .LBB229_343
.LBB229_280:
	s_or_b64 exec, exec, s[16:17]
	s_and_saveexec_b64 s[14:15], s[12:13]
	s_cbranch_execnz .LBB229_344
.LBB229_281:
	s_or_b64 exec, exec, s[14:15]
	s_and_saveexec_b64 s[12:13], s[10:11]
	s_cbranch_execnz .LBB229_345
.LBB229_282:
	s_or_b64 exec, exec, s[12:13]
	s_and_saveexec_b64 s[10:11], s[8:9]
	s_cbranch_execnz .LBB229_346
.LBB229_283:
	s_or_b64 exec, exec, s[10:11]
	s_and_saveexec_b64 s[8:9], s[6:7]
	s_cbranch_execnz .LBB229_347
.LBB229_284:
	s_or_b64 exec, exec, s[8:9]
	s_and_saveexec_b64 s[6:7], s[4:5]
	s_cbranch_execz .LBB229_286
.LBB229_285:
	v_sub_u32_e32 v12, v4, v6
	v_lshlrev_b32_e32 v12, 2, v12
	ds_write_b32 v12, v13
.LBB229_286:
	s_or_b64 exec, exec, s[6:7]
	s_and_b64 s[42:43], s[2:3], exec
                                        ; implicit-def: $vgpr24_vgpr25
                                        ; implicit-def: $vgpr22_vgpr23
                                        ; implicit-def: $vgpr20_vgpr21
                                        ; implicit-def: $vgpr18_vgpr19
                                        ; implicit-def: $vgpr16_vgpr17
                                        ; implicit-def: $vgpr14_vgpr15
                                        ; implicit-def: $vgpr12_vgpr13
	s_andn2_saveexec_b64 s[2:3], s[40:41]
	s_cbranch_execz .LBB229_169
.LBB229_287:
	v_sub_u32_e32 v72, v5, v6
	v_lshlrev_b32_e32 v72, 2, v72
	ds_write_b32 v72, v24
	v_sub_u32_e32 v24, v53, v6
	v_lshlrev_b32_e32 v24, 2, v24
	ds_write_b32 v24, v25
	;; [unrolled: 3-line block ×13, first 2 shown]
	v_sub_u32_e32 v12, v4, v6
	v_lshlrev_b32_e32 v12, 2, v12
	s_or_b64 s[42:43], s[42:43], exec
	ds_write_b32 v12, v13
	s_or_b64 exec, exec, s[2:3]
	s_and_b64 exec, exec, s[42:43]
	s_cbranch_execnz .LBB229_170
	s_branch .LBB229_171
.LBB229_288:
	s_and_saveexec_b64 s[38:39], s[28:29]
	s_cbranch_execnz .LBB229_348
; %bb.289:
	s_or_b64 exec, exec, s[38:39]
	s_and_saveexec_b64 s[38:39], s[26:27]
	s_cbranch_execnz .LBB229_349
.LBB229_290:
	s_or_b64 exec, exec, s[38:39]
	s_and_saveexec_b64 s[38:39], s[24:25]
	s_cbranch_execnz .LBB229_350
.LBB229_291:
	s_or_b64 exec, exec, s[38:39]
	s_and_saveexec_b64 s[38:39], s[22:23]
	s_cbranch_execnz .LBB229_351
.LBB229_292:
	s_or_b64 exec, exec, s[38:39]
	s_and_saveexec_b64 s[38:39], s[20:21]
	s_cbranch_execnz .LBB229_352
.LBB229_293:
	s_or_b64 exec, exec, s[38:39]
	s_and_saveexec_b64 s[38:39], s[18:19]
	s_cbranch_execnz .LBB229_353
.LBB229_294:
	s_or_b64 exec, exec, s[38:39]
	s_and_saveexec_b64 s[38:39], s[16:17]
	s_cbranch_execnz .LBB229_354
.LBB229_295:
	s_or_b64 exec, exec, s[38:39]
	s_and_saveexec_b64 s[38:39], s[14:15]
	s_cbranch_execnz .LBB229_355
.LBB229_296:
	s_or_b64 exec, exec, s[38:39]
	s_and_saveexec_b64 s[38:39], s[12:13]
	s_cbranch_execnz .LBB229_356
.LBB229_297:
	s_or_b64 exec, exec, s[38:39]
	s_and_saveexec_b64 s[38:39], s[10:11]
	s_cbranch_execnz .LBB229_357
.LBB229_298:
	s_or_b64 exec, exec, s[38:39]
	s_and_saveexec_b64 s[38:39], s[8:9]
	s_cbranch_execnz .LBB229_358
.LBB229_299:
	s_or_b64 exec, exec, s[38:39]
	s_and_saveexec_b64 s[38:39], s[6:7]
	s_cbranch_execnz .LBB229_359
.LBB229_300:
	s_or_b64 exec, exec, s[38:39]
	s_and_saveexec_b64 s[38:39], s[4:5]
	s_cbranch_execnz .LBB229_360
.LBB229_301:
	s_or_b64 exec, exec, s[38:39]
	s_and_saveexec_b64 s[38:39], s[2:3]
	s_cbranch_execz .LBB229_303
.LBB229_302:
	v_sub_u32_e32 v18, v4, v10
	v_mov_b32_e32 v19, 0
	v_lshlrev_b64 v[18:19], 2, v[18:19]
	v_add_co_u32_e32 v18, vcc, v14, v18
	v_addc_co_u32_e32 v19, vcc, v15, v19, vcc
	global_store_dword v[18:19], v54, off
.LBB229_303:
	s_or_b64 exec, exec, s[38:39]
	s_and_b64 s[38:39], s[0:1], exec
	s_andn2_saveexec_b64 s[30:31], s[30:31]
	s_cbranch_execz .LBB229_191
.LBB229_304:
	v_sub_u32_e32 v18, v5, v10
	v_mov_b32_e32 v19, 0
	v_lshlrev_b64 v[20:21], 2, v[18:19]
	v_add_co_u32_e32 v20, vcc, v14, v20
	v_addc_co_u32_e32 v21, vcc, v15, v21, vcc
	v_sub_u32_e32 v18, v53, v10
	global_store_dword v[20:21], v71, off
	v_lshlrev_b64 v[20:21], 2, v[18:19]
	v_add_co_u32_e32 v20, vcc, v14, v20
	v_addc_co_u32_e32 v21, vcc, v15, v21, vcc
	v_sub_u32_e32 v18, v52, v10
	global_store_dword v[20:21], v70, off
	v_lshlrev_b64 v[20:21], 2, v[18:19]
	v_add_co_u32_e32 v20, vcc, v14, v20
	v_addc_co_u32_e32 v21, vcc, v15, v21, vcc
	v_sub_u32_e32 v18, v51, v10
	global_store_dword v[20:21], v69, off
	v_lshlrev_b64 v[20:21], 2, v[18:19]
	v_add_co_u32_e32 v20, vcc, v14, v20
	v_addc_co_u32_e32 v21, vcc, v15, v21, vcc
	v_sub_u32_e32 v18, v50, v10
	global_store_dword v[20:21], v68, off
	v_lshlrev_b64 v[20:21], 2, v[18:19]
	v_add_co_u32_e32 v20, vcc, v14, v20
	v_addc_co_u32_e32 v21, vcc, v15, v21, vcc
	v_sub_u32_e32 v18, v49, v10
	global_store_dword v[20:21], v67, off
	v_lshlrev_b64 v[20:21], 2, v[18:19]
	v_add_co_u32_e32 v20, vcc, v14, v20
	v_addc_co_u32_e32 v21, vcc, v15, v21, vcc
	v_sub_u32_e32 v18, v48, v10
	global_store_dword v[20:21], v66, off
	v_lshlrev_b64 v[20:21], 2, v[18:19]
	v_add_co_u32_e32 v20, vcc, v14, v20
	v_addc_co_u32_e32 v21, vcc, v15, v21, vcc
	v_sub_u32_e32 v18, v47, v10
	global_store_dword v[20:21], v65, off
	v_lshlrev_b64 v[20:21], 2, v[18:19]
	v_add_co_u32_e32 v20, vcc, v14, v20
	v_addc_co_u32_e32 v21, vcc, v15, v21, vcc
	v_sub_u32_e32 v18, v46, v10
	global_store_dword v[20:21], v64, off
	v_lshlrev_b64 v[20:21], 2, v[18:19]
	v_add_co_u32_e32 v20, vcc, v14, v20
	v_addc_co_u32_e32 v21, vcc, v15, v21, vcc
	v_sub_u32_e32 v18, v45, v10
	global_store_dword v[20:21], v63, off
	v_lshlrev_b64 v[20:21], 2, v[18:19]
	v_add_co_u32_e32 v20, vcc, v14, v20
	v_addc_co_u32_e32 v21, vcc, v15, v21, vcc
	v_sub_u32_e32 v18, v44, v10
	global_store_dword v[20:21], v59, off
	v_lshlrev_b64 v[20:21], 2, v[18:19]
	v_add_co_u32_e32 v20, vcc, v14, v20
	v_addc_co_u32_e32 v21, vcc, v15, v21, vcc
	v_sub_u32_e32 v18, v43, v10
	global_store_dword v[20:21], v58, off
	v_lshlrev_b64 v[20:21], 2, v[18:19]
	v_add_co_u32_e32 v20, vcc, v14, v20
	v_addc_co_u32_e32 v21, vcc, v15, v21, vcc
	v_sub_u32_e32 v18, v42, v10
	global_store_dword v[20:21], v56, off
	v_lshlrev_b64 v[20:21], 2, v[18:19]
	v_add_co_u32_e32 v20, vcc, v14, v20
	v_sub_u32_e32 v18, v4, v10
	v_addc_co_u32_e32 v21, vcc, v15, v21, vcc
	v_lshlrev_b64 v[18:19], 2, v[18:19]
	v_add_co_u32_e32 v18, vcc, v14, v18
	v_addc_co_u32_e32 v19, vcc, v15, v19, vcc
	s_or_b64 s[38:39], s[38:39], exec
	global_store_dword v[20:21], v55, off
	global_store_dword v[18:19], v54, off
	s_or_b64 exec, exec, s[30:31]
	s_and_b64 exec, exec, s[38:39]
	s_cbranch_execnz .LBB229_192
	s_branch .LBB229_193
.LBB229_305:
	s_and_saveexec_b64 s[38:39], s[28:29]
	s_cbranch_execnz .LBB229_361
; %bb.306:
	s_or_b64 exec, exec, s[38:39]
	s_and_saveexec_b64 s[28:29], s[26:27]
	s_cbranch_execnz .LBB229_362
.LBB229_307:
	s_or_b64 exec, exec, s[28:29]
	s_and_saveexec_b64 s[26:27], s[24:25]
	s_cbranch_execnz .LBB229_363
.LBB229_308:
	s_or_b64 exec, exec, s[26:27]
	s_and_saveexec_b64 s[24:25], s[22:23]
	s_cbranch_execnz .LBB229_364
.LBB229_309:
	s_or_b64 exec, exec, s[24:25]
	s_and_saveexec_b64 s[22:23], s[20:21]
	s_cbranch_execnz .LBB229_365
.LBB229_310:
	s_or_b64 exec, exec, s[22:23]
	s_and_saveexec_b64 s[20:21], s[18:19]
	s_cbranch_execnz .LBB229_366
.LBB229_311:
	s_or_b64 exec, exec, s[20:21]
	s_and_saveexec_b64 s[18:19], s[16:17]
	s_cbranch_execnz .LBB229_367
.LBB229_312:
	s_or_b64 exec, exec, s[18:19]
	s_and_saveexec_b64 s[16:17], s[14:15]
	s_cbranch_execnz .LBB229_368
.LBB229_313:
	s_or_b64 exec, exec, s[16:17]
	s_and_saveexec_b64 s[14:15], s[12:13]
	s_cbranch_execnz .LBB229_369
.LBB229_314:
	s_or_b64 exec, exec, s[14:15]
	s_and_saveexec_b64 s[12:13], s[10:11]
	s_cbranch_execnz .LBB229_370
.LBB229_315:
	s_or_b64 exec, exec, s[12:13]
	s_and_saveexec_b64 s[10:11], s[8:9]
	s_cbranch_execnz .LBB229_371
.LBB229_316:
	s_or_b64 exec, exec, s[10:11]
	s_and_saveexec_b64 s[8:9], s[6:7]
	s_cbranch_execnz .LBB229_372
.LBB229_317:
	s_or_b64 exec, exec, s[8:9]
	s_and_saveexec_b64 s[6:7], s[4:5]
	s_cbranch_execnz .LBB229_373
.LBB229_318:
	s_or_b64 exec, exec, s[6:7]
	s_and_saveexec_b64 s[4:5], s[2:3]
	s_cbranch_execz .LBB229_320
.LBB229_319:
	v_sub_u32_e32 v4, v4, v10
	v_lshlrev_b32_e32 v4, 2, v4
	ds_write_b32 v4, v54
.LBB229_320:
	s_or_b64 exec, exec, s[4:5]
	s_and_b64 s[38:39], s[0:1], exec
                                        ; implicit-def: $vgpr54
                                        ; implicit-def: $vgpr55
                                        ; implicit-def: $vgpr56
                                        ; implicit-def: $vgpr58
                                        ; implicit-def: $vgpr59
                                        ; implicit-def: $vgpr63
                                        ; implicit-def: $vgpr64
                                        ; implicit-def: $vgpr65
                                        ; implicit-def: $vgpr66
                                        ; implicit-def: $vgpr67
                                        ; implicit-def: $vgpr68
                                        ; implicit-def: $vgpr69
                                        ; implicit-def: $vgpr70
                                        ; implicit-def: $vgpr71
                                        ; implicit-def: $vgpr53
                                        ; implicit-def: $vgpr52
                                        ; implicit-def: $vgpr51
                                        ; implicit-def: $vgpr50
                                        ; implicit-def: $vgpr49
                                        ; implicit-def: $vgpr48
                                        ; implicit-def: $vgpr47
                                        ; implicit-def: $vgpr46
                                        ; implicit-def: $vgpr45
                                        ; implicit-def: $vgpr44
                                        ; implicit-def: $vgpr43
                                        ; implicit-def: $vgpr42
                                        ; implicit-def: $vgpr4
	s_andn2_saveexec_b64 s[0:1], s[34:35]
	s_cbranch_execz .LBB229_198
.LBB229_321:
	v_sub_u32_e32 v5, v5, v10
	v_lshlrev_b32_e32 v5, 2, v5
	ds_write_b32 v5, v71
	v_sub_u32_e32 v5, v53, v10
	v_lshlrev_b32_e32 v5, 2, v5
	ds_write_b32 v5, v70
	;; [unrolled: 3-line block ×12, first 2 shown]
	v_sub_u32_e32 v5, v42, v10
	v_sub_u32_e32 v4, v4, v10
	v_lshlrev_b32_e32 v5, 2, v5
	v_lshlrev_b32_e32 v4, 2, v4
	s_or_b64 s[38:39], s[38:39], exec
	ds_write_b32 v5, v55
	ds_write_b32 v4, v54
	s_or_b64 exec, exec, s[0:1]
	s_and_b64 exec, exec, s[38:39]
	s_cbranch_execnz .LBB229_199
	s_branch .LBB229_200
.LBB229_322:
	v_sub_u32_e32 v74, v5, v6
	v_mov_b32_e32 v75, 0
	v_lshlrev_b64 v[74:75], 2, v[74:75]
	v_add_co_u32_e32 v74, vcc, v7, v74
	v_addc_co_u32_e32 v75, vcc, v62, v75, vcc
	global_store_dword v[74:75], v24, off
	s_or_b64 exec, exec, s[42:43]
	s_and_saveexec_b64 s[42:43], s[28:29]
	s_cbranch_execz .LBB229_256
.LBB229_323:
	v_sub_u32_e32 v74, v53, v6
	v_mov_b32_e32 v75, 0
	v_lshlrev_b64 v[74:75], 2, v[74:75]
	v_add_co_u32_e32 v74, vcc, v7, v74
	v_addc_co_u32_e32 v75, vcc, v62, v75, vcc
	global_store_dword v[74:75], v25, off
	s_or_b64 exec, exec, s[42:43]
	s_and_saveexec_b64 s[42:43], s[26:27]
	s_cbranch_execz .LBB229_257
.LBB229_324:
	v_sub_u32_e32 v74, v52, v6
	v_mov_b32_e32 v75, 0
	v_lshlrev_b64 v[74:75], 2, v[74:75]
	v_add_co_u32_e32 v74, vcc, v7, v74
	v_addc_co_u32_e32 v75, vcc, v62, v75, vcc
	global_store_dword v[74:75], v22, off
	s_or_b64 exec, exec, s[42:43]
	s_and_saveexec_b64 s[42:43], s[24:25]
	s_cbranch_execz .LBB229_258
.LBB229_325:
	v_sub_u32_e32 v74, v51, v6
	v_mov_b32_e32 v75, 0
	v_lshlrev_b64 v[74:75], 2, v[74:75]
	v_add_co_u32_e32 v74, vcc, v7, v74
	v_addc_co_u32_e32 v75, vcc, v62, v75, vcc
	global_store_dword v[74:75], v23, off
	s_or_b64 exec, exec, s[42:43]
	s_and_saveexec_b64 s[42:43], s[22:23]
	s_cbranch_execz .LBB229_259
.LBB229_326:
	v_sub_u32_e32 v74, v50, v6
	v_mov_b32_e32 v75, 0
	v_lshlrev_b64 v[74:75], 2, v[74:75]
	v_add_co_u32_e32 v74, vcc, v7, v74
	v_addc_co_u32_e32 v75, vcc, v62, v75, vcc
	global_store_dword v[74:75], v20, off
	s_or_b64 exec, exec, s[42:43]
	s_and_saveexec_b64 s[42:43], s[20:21]
	s_cbranch_execz .LBB229_260
.LBB229_327:
	v_sub_u32_e32 v74, v49, v6
	v_mov_b32_e32 v75, 0
	v_lshlrev_b64 v[74:75], 2, v[74:75]
	v_add_co_u32_e32 v74, vcc, v7, v74
	v_addc_co_u32_e32 v75, vcc, v62, v75, vcc
	global_store_dword v[74:75], v21, off
	s_or_b64 exec, exec, s[42:43]
	s_and_saveexec_b64 s[42:43], s[18:19]
	s_cbranch_execz .LBB229_261
.LBB229_328:
	v_sub_u32_e32 v74, v48, v6
	v_mov_b32_e32 v75, 0
	v_lshlrev_b64 v[74:75], 2, v[74:75]
	v_add_co_u32_e32 v74, vcc, v7, v74
	v_addc_co_u32_e32 v75, vcc, v62, v75, vcc
	global_store_dword v[74:75], v18, off
	s_or_b64 exec, exec, s[42:43]
	s_and_saveexec_b64 s[42:43], s[16:17]
	s_cbranch_execz .LBB229_262
.LBB229_329:
	v_sub_u32_e32 v74, v47, v6
	v_mov_b32_e32 v75, 0
	v_lshlrev_b64 v[74:75], 2, v[74:75]
	v_add_co_u32_e32 v74, vcc, v7, v74
	v_addc_co_u32_e32 v75, vcc, v62, v75, vcc
	global_store_dword v[74:75], v19, off
	s_or_b64 exec, exec, s[42:43]
	s_and_saveexec_b64 s[42:43], s[14:15]
	s_cbranch_execz .LBB229_263
.LBB229_330:
	v_sub_u32_e32 v74, v46, v6
	v_mov_b32_e32 v75, 0
	v_lshlrev_b64 v[74:75], 2, v[74:75]
	v_add_co_u32_e32 v74, vcc, v7, v74
	v_addc_co_u32_e32 v75, vcc, v62, v75, vcc
	global_store_dword v[74:75], v16, off
	s_or_b64 exec, exec, s[42:43]
	s_and_saveexec_b64 s[42:43], s[12:13]
	s_cbranch_execz .LBB229_264
.LBB229_331:
	v_sub_u32_e32 v74, v45, v6
	v_mov_b32_e32 v75, 0
	v_lshlrev_b64 v[74:75], 2, v[74:75]
	v_add_co_u32_e32 v74, vcc, v7, v74
	v_addc_co_u32_e32 v75, vcc, v62, v75, vcc
	global_store_dword v[74:75], v17, off
	s_or_b64 exec, exec, s[42:43]
	s_and_saveexec_b64 s[42:43], s[10:11]
	s_cbranch_execz .LBB229_265
.LBB229_332:
	v_sub_u32_e32 v74, v44, v6
	v_mov_b32_e32 v75, 0
	v_lshlrev_b64 v[74:75], 2, v[74:75]
	v_add_co_u32_e32 v74, vcc, v7, v74
	v_addc_co_u32_e32 v75, vcc, v62, v75, vcc
	global_store_dword v[74:75], v14, off
	s_or_b64 exec, exec, s[42:43]
	s_and_saveexec_b64 s[42:43], s[8:9]
	s_cbranch_execz .LBB229_266
.LBB229_333:
	v_sub_u32_e32 v74, v43, v6
	v_mov_b32_e32 v75, 0
	v_lshlrev_b64 v[74:75], 2, v[74:75]
	v_add_co_u32_e32 v74, vcc, v7, v74
	v_addc_co_u32_e32 v75, vcc, v62, v75, vcc
	global_store_dword v[74:75], v15, off
	s_or_b64 exec, exec, s[42:43]
	s_and_saveexec_b64 s[42:43], s[6:7]
	s_cbranch_execz .LBB229_267
.LBB229_334:
	v_sub_u32_e32 v74, v42, v6
	v_mov_b32_e32 v75, 0
	v_lshlrev_b64 v[74:75], 2, v[74:75]
	v_add_co_u32_e32 v74, vcc, v7, v74
	v_addc_co_u32_e32 v75, vcc, v62, v75, vcc
	global_store_dword v[74:75], v12, off
	s_or_b64 exec, exec, s[42:43]
	s_and_saveexec_b64 s[42:43], s[4:5]
	s_cbranch_execnz .LBB229_268
	s_branch .LBB229_269
.LBB229_335:
	v_sub_u32_e32 v72, v5, v6
	v_lshlrev_b32_e32 v72, 2, v72
	ds_write_b32 v72, v24
	s_or_b64 exec, exec, s[42:43]
	s_and_saveexec_b64 s[30:31], s[28:29]
	s_cbranch_execz .LBB229_273
.LBB229_336:
	v_sub_u32_e32 v24, v53, v6
	v_lshlrev_b32_e32 v24, 2, v24
	ds_write_b32 v24, v25
	s_or_b64 exec, exec, s[30:31]
	s_and_saveexec_b64 s[28:29], s[26:27]
	s_cbranch_execz .LBB229_274
.LBB229_337:
	v_sub_u32_e32 v24, v52, v6
	v_lshlrev_b32_e32 v24, 2, v24
	ds_write_b32 v24, v22
	s_or_b64 exec, exec, s[28:29]
	s_and_saveexec_b64 s[26:27], s[24:25]
	s_cbranch_execz .LBB229_275
.LBB229_338:
	v_sub_u32_e32 v22, v51, v6
	v_lshlrev_b32_e32 v22, 2, v22
	ds_write_b32 v22, v23
	s_or_b64 exec, exec, s[26:27]
	s_and_saveexec_b64 s[24:25], s[22:23]
	s_cbranch_execz .LBB229_276
.LBB229_339:
	v_sub_u32_e32 v22, v50, v6
	v_lshlrev_b32_e32 v22, 2, v22
	ds_write_b32 v22, v20
	s_or_b64 exec, exec, s[24:25]
	s_and_saveexec_b64 s[22:23], s[20:21]
	s_cbranch_execz .LBB229_277
.LBB229_340:
	v_sub_u32_e32 v20, v49, v6
	v_lshlrev_b32_e32 v20, 2, v20
	ds_write_b32 v20, v21
	s_or_b64 exec, exec, s[22:23]
	s_and_saveexec_b64 s[20:21], s[18:19]
	s_cbranch_execz .LBB229_278
.LBB229_341:
	v_sub_u32_e32 v20, v48, v6
	v_lshlrev_b32_e32 v20, 2, v20
	ds_write_b32 v20, v18
	s_or_b64 exec, exec, s[20:21]
	s_and_saveexec_b64 s[18:19], s[16:17]
	s_cbranch_execz .LBB229_279
.LBB229_342:
	v_sub_u32_e32 v18, v47, v6
	v_lshlrev_b32_e32 v18, 2, v18
	ds_write_b32 v18, v19
	s_or_b64 exec, exec, s[18:19]
	s_and_saveexec_b64 s[16:17], s[14:15]
	s_cbranch_execz .LBB229_280
.LBB229_343:
	v_sub_u32_e32 v18, v46, v6
	v_lshlrev_b32_e32 v18, 2, v18
	ds_write_b32 v18, v16
	s_or_b64 exec, exec, s[16:17]
	s_and_saveexec_b64 s[14:15], s[12:13]
	s_cbranch_execz .LBB229_281
.LBB229_344:
	v_sub_u32_e32 v16, v45, v6
	v_lshlrev_b32_e32 v16, 2, v16
	ds_write_b32 v16, v17
	s_or_b64 exec, exec, s[14:15]
	s_and_saveexec_b64 s[12:13], s[10:11]
	s_cbranch_execz .LBB229_282
.LBB229_345:
	v_sub_u32_e32 v16, v44, v6
	v_lshlrev_b32_e32 v16, 2, v16
	ds_write_b32 v16, v14
	s_or_b64 exec, exec, s[12:13]
	s_and_saveexec_b64 s[10:11], s[8:9]
	s_cbranch_execz .LBB229_283
.LBB229_346:
	v_sub_u32_e32 v14, v43, v6
	v_lshlrev_b32_e32 v14, 2, v14
	ds_write_b32 v14, v15
	s_or_b64 exec, exec, s[10:11]
	s_and_saveexec_b64 s[8:9], s[6:7]
	s_cbranch_execz .LBB229_284
.LBB229_347:
	v_sub_u32_e32 v14, v42, v6
	v_lshlrev_b32_e32 v14, 2, v14
	ds_write_b32 v14, v12
	s_or_b64 exec, exec, s[8:9]
	s_and_saveexec_b64 s[6:7], s[4:5]
	s_cbranch_execnz .LBB229_285
	s_branch .LBB229_286
.LBB229_348:
	v_sub_u32_e32 v18, v5, v10
	v_mov_b32_e32 v19, 0
	v_lshlrev_b64 v[18:19], 2, v[18:19]
	v_add_co_u32_e32 v18, vcc, v14, v18
	v_addc_co_u32_e32 v19, vcc, v15, v19, vcc
	global_store_dword v[18:19], v71, off
	s_or_b64 exec, exec, s[38:39]
	s_and_saveexec_b64 s[38:39], s[26:27]
	s_cbranch_execz .LBB229_290
.LBB229_349:
	v_sub_u32_e32 v18, v53, v10
	v_mov_b32_e32 v19, 0
	v_lshlrev_b64 v[18:19], 2, v[18:19]
	v_add_co_u32_e32 v18, vcc, v14, v18
	v_addc_co_u32_e32 v19, vcc, v15, v19, vcc
	global_store_dword v[18:19], v70, off
	s_or_b64 exec, exec, s[38:39]
	s_and_saveexec_b64 s[38:39], s[24:25]
	s_cbranch_execz .LBB229_291
.LBB229_350:
	v_sub_u32_e32 v18, v52, v10
	v_mov_b32_e32 v19, 0
	v_lshlrev_b64 v[18:19], 2, v[18:19]
	v_add_co_u32_e32 v18, vcc, v14, v18
	v_addc_co_u32_e32 v19, vcc, v15, v19, vcc
	global_store_dword v[18:19], v69, off
	s_or_b64 exec, exec, s[38:39]
	s_and_saveexec_b64 s[38:39], s[22:23]
	s_cbranch_execz .LBB229_292
.LBB229_351:
	v_sub_u32_e32 v18, v51, v10
	v_mov_b32_e32 v19, 0
	v_lshlrev_b64 v[18:19], 2, v[18:19]
	v_add_co_u32_e32 v18, vcc, v14, v18
	v_addc_co_u32_e32 v19, vcc, v15, v19, vcc
	global_store_dword v[18:19], v68, off
	s_or_b64 exec, exec, s[38:39]
	s_and_saveexec_b64 s[38:39], s[20:21]
	s_cbranch_execz .LBB229_293
.LBB229_352:
	v_sub_u32_e32 v18, v50, v10
	v_mov_b32_e32 v19, 0
	v_lshlrev_b64 v[18:19], 2, v[18:19]
	v_add_co_u32_e32 v18, vcc, v14, v18
	v_addc_co_u32_e32 v19, vcc, v15, v19, vcc
	global_store_dword v[18:19], v67, off
	s_or_b64 exec, exec, s[38:39]
	s_and_saveexec_b64 s[38:39], s[18:19]
	s_cbranch_execz .LBB229_294
.LBB229_353:
	v_sub_u32_e32 v18, v49, v10
	v_mov_b32_e32 v19, 0
	v_lshlrev_b64 v[18:19], 2, v[18:19]
	v_add_co_u32_e32 v18, vcc, v14, v18
	v_addc_co_u32_e32 v19, vcc, v15, v19, vcc
	global_store_dword v[18:19], v66, off
	s_or_b64 exec, exec, s[38:39]
	s_and_saveexec_b64 s[38:39], s[16:17]
	s_cbranch_execz .LBB229_295
.LBB229_354:
	v_sub_u32_e32 v18, v48, v10
	v_mov_b32_e32 v19, 0
	v_lshlrev_b64 v[18:19], 2, v[18:19]
	v_add_co_u32_e32 v18, vcc, v14, v18
	v_addc_co_u32_e32 v19, vcc, v15, v19, vcc
	global_store_dword v[18:19], v65, off
	s_or_b64 exec, exec, s[38:39]
	s_and_saveexec_b64 s[38:39], s[14:15]
	s_cbranch_execz .LBB229_296
.LBB229_355:
	v_sub_u32_e32 v18, v47, v10
	v_mov_b32_e32 v19, 0
	v_lshlrev_b64 v[18:19], 2, v[18:19]
	v_add_co_u32_e32 v18, vcc, v14, v18
	v_addc_co_u32_e32 v19, vcc, v15, v19, vcc
	global_store_dword v[18:19], v64, off
	s_or_b64 exec, exec, s[38:39]
	s_and_saveexec_b64 s[38:39], s[12:13]
	s_cbranch_execz .LBB229_297
.LBB229_356:
	v_sub_u32_e32 v18, v46, v10
	v_mov_b32_e32 v19, 0
	v_lshlrev_b64 v[18:19], 2, v[18:19]
	v_add_co_u32_e32 v18, vcc, v14, v18
	v_addc_co_u32_e32 v19, vcc, v15, v19, vcc
	global_store_dword v[18:19], v63, off
	s_or_b64 exec, exec, s[38:39]
	s_and_saveexec_b64 s[38:39], s[10:11]
	s_cbranch_execz .LBB229_298
.LBB229_357:
	v_sub_u32_e32 v18, v45, v10
	v_mov_b32_e32 v19, 0
	v_lshlrev_b64 v[18:19], 2, v[18:19]
	v_add_co_u32_e32 v18, vcc, v14, v18
	v_addc_co_u32_e32 v19, vcc, v15, v19, vcc
	global_store_dword v[18:19], v59, off
	s_or_b64 exec, exec, s[38:39]
	s_and_saveexec_b64 s[38:39], s[8:9]
	s_cbranch_execz .LBB229_299
.LBB229_358:
	v_sub_u32_e32 v18, v44, v10
	v_mov_b32_e32 v19, 0
	v_lshlrev_b64 v[18:19], 2, v[18:19]
	v_add_co_u32_e32 v18, vcc, v14, v18
	v_addc_co_u32_e32 v19, vcc, v15, v19, vcc
	global_store_dword v[18:19], v58, off
	s_or_b64 exec, exec, s[38:39]
	s_and_saveexec_b64 s[38:39], s[6:7]
	s_cbranch_execz .LBB229_300
.LBB229_359:
	v_sub_u32_e32 v18, v43, v10
	v_mov_b32_e32 v19, 0
	v_lshlrev_b64 v[18:19], 2, v[18:19]
	v_add_co_u32_e32 v18, vcc, v14, v18
	v_addc_co_u32_e32 v19, vcc, v15, v19, vcc
	global_store_dword v[18:19], v56, off
	s_or_b64 exec, exec, s[38:39]
	s_and_saveexec_b64 s[38:39], s[4:5]
	s_cbranch_execz .LBB229_301
.LBB229_360:
	v_sub_u32_e32 v18, v42, v10
	v_mov_b32_e32 v19, 0
	v_lshlrev_b64 v[18:19], 2, v[18:19]
	v_add_co_u32_e32 v18, vcc, v14, v18
	v_addc_co_u32_e32 v19, vcc, v15, v19, vcc
	global_store_dword v[18:19], v55, off
	s_or_b64 exec, exec, s[38:39]
	s_and_saveexec_b64 s[38:39], s[2:3]
	s_cbranch_execnz .LBB229_302
	s_branch .LBB229_303
.LBB229_361:
	v_sub_u32_e32 v5, v5, v10
	v_lshlrev_b32_e32 v5, 2, v5
	ds_write_b32 v5, v71
	s_or_b64 exec, exec, s[38:39]
	s_and_saveexec_b64 s[28:29], s[26:27]
	s_cbranch_execz .LBB229_307
.LBB229_362:
	v_sub_u32_e32 v5, v53, v10
	v_lshlrev_b32_e32 v5, 2, v5
	ds_write_b32 v5, v70
	s_or_b64 exec, exec, s[28:29]
	s_and_saveexec_b64 s[26:27], s[24:25]
	s_cbranch_execz .LBB229_308
.LBB229_363:
	v_sub_u32_e32 v5, v52, v10
	v_lshlrev_b32_e32 v5, 2, v5
	ds_write_b32 v5, v69
	s_or_b64 exec, exec, s[26:27]
	s_and_saveexec_b64 s[24:25], s[22:23]
	s_cbranch_execz .LBB229_309
.LBB229_364:
	v_sub_u32_e32 v5, v51, v10
	v_lshlrev_b32_e32 v5, 2, v5
	ds_write_b32 v5, v68
	s_or_b64 exec, exec, s[24:25]
	s_and_saveexec_b64 s[22:23], s[20:21]
	s_cbranch_execz .LBB229_310
.LBB229_365:
	v_sub_u32_e32 v5, v50, v10
	v_lshlrev_b32_e32 v5, 2, v5
	ds_write_b32 v5, v67
	s_or_b64 exec, exec, s[22:23]
	s_and_saveexec_b64 s[20:21], s[18:19]
	s_cbranch_execz .LBB229_311
.LBB229_366:
	v_sub_u32_e32 v5, v49, v10
	v_lshlrev_b32_e32 v5, 2, v5
	ds_write_b32 v5, v66
	s_or_b64 exec, exec, s[20:21]
	s_and_saveexec_b64 s[18:19], s[16:17]
	s_cbranch_execz .LBB229_312
.LBB229_367:
	v_sub_u32_e32 v5, v48, v10
	v_lshlrev_b32_e32 v5, 2, v5
	ds_write_b32 v5, v65
	s_or_b64 exec, exec, s[18:19]
	s_and_saveexec_b64 s[16:17], s[14:15]
	s_cbranch_execz .LBB229_313
.LBB229_368:
	v_sub_u32_e32 v5, v47, v10
	v_lshlrev_b32_e32 v5, 2, v5
	ds_write_b32 v5, v64
	s_or_b64 exec, exec, s[16:17]
	s_and_saveexec_b64 s[14:15], s[12:13]
	s_cbranch_execz .LBB229_314
.LBB229_369:
	v_sub_u32_e32 v5, v46, v10
	v_lshlrev_b32_e32 v5, 2, v5
	ds_write_b32 v5, v63
	s_or_b64 exec, exec, s[14:15]
	s_and_saveexec_b64 s[12:13], s[10:11]
	s_cbranch_execz .LBB229_315
.LBB229_370:
	v_sub_u32_e32 v5, v45, v10
	v_lshlrev_b32_e32 v5, 2, v5
	ds_write_b32 v5, v59
	s_or_b64 exec, exec, s[12:13]
	s_and_saveexec_b64 s[10:11], s[8:9]
	s_cbranch_execz .LBB229_316
.LBB229_371:
	v_sub_u32_e32 v5, v44, v10
	v_lshlrev_b32_e32 v5, 2, v5
	ds_write_b32 v5, v58
	s_or_b64 exec, exec, s[10:11]
	s_and_saveexec_b64 s[8:9], s[6:7]
	s_cbranch_execz .LBB229_317
.LBB229_372:
	v_sub_u32_e32 v5, v43, v10
	v_lshlrev_b32_e32 v5, 2, v5
	ds_write_b32 v5, v56
	s_or_b64 exec, exec, s[8:9]
	s_and_saveexec_b64 s[6:7], s[4:5]
	s_cbranch_execz .LBB229_318
.LBB229_373:
	v_sub_u32_e32 v5, v42, v10
	v_lshlrev_b32_e32 v5, 2, v5
	ds_write_b32 v5, v55
	s_or_b64 exec, exec, s[6:7]
	s_and_saveexec_b64 s[4:5], s[2:3]
	s_cbranch_execnz .LBB229_319
	s_branch .LBB229_320
	.section	.rodata,"a",@progbits
	.p2align	6, 0x0
	.amdhsa_kernel _ZN7rocprim17ROCPRIM_400000_NS6detail17trampoline_kernelINS0_14default_configENS1_29reduce_by_key_config_selectorIffN6thrust23THRUST_200600_302600_NS4plusIfEEEEZZNS1_33reduce_by_key_impl_wrapped_configILNS1_25lookback_scan_determinismE0ES3_S9_NS6_6detail15normal_iteratorINS6_10device_ptrIfEEEESG_SG_SG_PmS8_22is_equal_div_10_reduceIfEEE10hipError_tPvRmT2_T3_mT4_T5_T6_T7_T8_P12ihipStream_tbENKUlT_T0_E_clISt17integral_constantIbLb0EES10_IbLb1EEEEDaSW_SX_EUlSW_E_NS1_11comp_targetILNS1_3genE4ELNS1_11target_archE910ELNS1_3gpuE8ELNS1_3repE0EEENS1_30default_config_static_selectorELNS0_4arch9wavefront6targetE1EEEvT1_
		.amdhsa_group_segment_fixed_size 15360
		.amdhsa_private_segment_fixed_size 0
		.amdhsa_kernarg_size 120
		.amdhsa_user_sgpr_count 6
		.amdhsa_user_sgpr_private_segment_buffer 1
		.amdhsa_user_sgpr_dispatch_ptr 0
		.amdhsa_user_sgpr_queue_ptr 0
		.amdhsa_user_sgpr_kernarg_segment_ptr 1
		.amdhsa_user_sgpr_dispatch_id 0
		.amdhsa_user_sgpr_flat_scratch_init 0
		.amdhsa_user_sgpr_kernarg_preload_length 0
		.amdhsa_user_sgpr_kernarg_preload_offset 0
		.amdhsa_user_sgpr_private_segment_size 0
		.amdhsa_uses_dynamic_stack 0
		.amdhsa_system_sgpr_private_segment_wavefront_offset 0
		.amdhsa_system_sgpr_workgroup_id_x 1
		.amdhsa_system_sgpr_workgroup_id_y 0
		.amdhsa_system_sgpr_workgroup_id_z 0
		.amdhsa_system_sgpr_workgroup_info 0
		.amdhsa_system_vgpr_workitem_id 0
		.amdhsa_next_free_vgpr 106
		.amdhsa_next_free_sgpr 66
		.amdhsa_accum_offset 108
		.amdhsa_reserve_vcc 1
		.amdhsa_reserve_flat_scratch 0
		.amdhsa_float_round_mode_32 0
		.amdhsa_float_round_mode_16_64 0
		.amdhsa_float_denorm_mode_32 3
		.amdhsa_float_denorm_mode_16_64 3
		.amdhsa_dx10_clamp 1
		.amdhsa_ieee_mode 1
		.amdhsa_fp16_overflow 0
		.amdhsa_tg_split 0
		.amdhsa_exception_fp_ieee_invalid_op 0
		.amdhsa_exception_fp_denorm_src 0
		.amdhsa_exception_fp_ieee_div_zero 0
		.amdhsa_exception_fp_ieee_overflow 0
		.amdhsa_exception_fp_ieee_underflow 0
		.amdhsa_exception_fp_ieee_inexact 0
		.amdhsa_exception_int_div_zero 0
	.end_amdhsa_kernel
	.section	.text._ZN7rocprim17ROCPRIM_400000_NS6detail17trampoline_kernelINS0_14default_configENS1_29reduce_by_key_config_selectorIffN6thrust23THRUST_200600_302600_NS4plusIfEEEEZZNS1_33reduce_by_key_impl_wrapped_configILNS1_25lookback_scan_determinismE0ES3_S9_NS6_6detail15normal_iteratorINS6_10device_ptrIfEEEESG_SG_SG_PmS8_22is_equal_div_10_reduceIfEEE10hipError_tPvRmT2_T3_mT4_T5_T6_T7_T8_P12ihipStream_tbENKUlT_T0_E_clISt17integral_constantIbLb0EES10_IbLb1EEEEDaSW_SX_EUlSW_E_NS1_11comp_targetILNS1_3genE4ELNS1_11target_archE910ELNS1_3gpuE8ELNS1_3repE0EEENS1_30default_config_static_selectorELNS0_4arch9wavefront6targetE1EEEvT1_,"axG",@progbits,_ZN7rocprim17ROCPRIM_400000_NS6detail17trampoline_kernelINS0_14default_configENS1_29reduce_by_key_config_selectorIffN6thrust23THRUST_200600_302600_NS4plusIfEEEEZZNS1_33reduce_by_key_impl_wrapped_configILNS1_25lookback_scan_determinismE0ES3_S9_NS6_6detail15normal_iteratorINS6_10device_ptrIfEEEESG_SG_SG_PmS8_22is_equal_div_10_reduceIfEEE10hipError_tPvRmT2_T3_mT4_T5_T6_T7_T8_P12ihipStream_tbENKUlT_T0_E_clISt17integral_constantIbLb0EES10_IbLb1EEEEDaSW_SX_EUlSW_E_NS1_11comp_targetILNS1_3genE4ELNS1_11target_archE910ELNS1_3gpuE8ELNS1_3repE0EEENS1_30default_config_static_selectorELNS0_4arch9wavefront6targetE1EEEvT1_,comdat
.Lfunc_end229:
	.size	_ZN7rocprim17ROCPRIM_400000_NS6detail17trampoline_kernelINS0_14default_configENS1_29reduce_by_key_config_selectorIffN6thrust23THRUST_200600_302600_NS4plusIfEEEEZZNS1_33reduce_by_key_impl_wrapped_configILNS1_25lookback_scan_determinismE0ES3_S9_NS6_6detail15normal_iteratorINS6_10device_ptrIfEEEESG_SG_SG_PmS8_22is_equal_div_10_reduceIfEEE10hipError_tPvRmT2_T3_mT4_T5_T6_T7_T8_P12ihipStream_tbENKUlT_T0_E_clISt17integral_constantIbLb0EES10_IbLb1EEEEDaSW_SX_EUlSW_E_NS1_11comp_targetILNS1_3genE4ELNS1_11target_archE910ELNS1_3gpuE8ELNS1_3repE0EEENS1_30default_config_static_selectorELNS0_4arch9wavefront6targetE1EEEvT1_, .Lfunc_end229-_ZN7rocprim17ROCPRIM_400000_NS6detail17trampoline_kernelINS0_14default_configENS1_29reduce_by_key_config_selectorIffN6thrust23THRUST_200600_302600_NS4plusIfEEEEZZNS1_33reduce_by_key_impl_wrapped_configILNS1_25lookback_scan_determinismE0ES3_S9_NS6_6detail15normal_iteratorINS6_10device_ptrIfEEEESG_SG_SG_PmS8_22is_equal_div_10_reduceIfEEE10hipError_tPvRmT2_T3_mT4_T5_T6_T7_T8_P12ihipStream_tbENKUlT_T0_E_clISt17integral_constantIbLb0EES10_IbLb1EEEEDaSW_SX_EUlSW_E_NS1_11comp_targetILNS1_3genE4ELNS1_11target_archE910ELNS1_3gpuE8ELNS1_3repE0EEENS1_30default_config_static_selectorELNS0_4arch9wavefront6targetE1EEEvT1_
                                        ; -- End function
	.section	.AMDGPU.csdata,"",@progbits
; Kernel info:
; codeLenInByte = 20056
; NumSgprs: 70
; NumVgprs: 106
; NumAgprs: 0
; TotalNumVgprs: 106
; ScratchSize: 0
; MemoryBound: 0
; FloatMode: 240
; IeeeMode: 1
; LDSByteSize: 15360 bytes/workgroup (compile time only)
; SGPRBlocks: 8
; VGPRBlocks: 13
; NumSGPRsForWavesPerEU: 70
; NumVGPRsForWavesPerEU: 106
; AccumOffset: 108
; Occupancy: 4
; WaveLimiterHint : 1
; COMPUTE_PGM_RSRC2:SCRATCH_EN: 0
; COMPUTE_PGM_RSRC2:USER_SGPR: 6
; COMPUTE_PGM_RSRC2:TRAP_HANDLER: 0
; COMPUTE_PGM_RSRC2:TGID_X_EN: 1
; COMPUTE_PGM_RSRC2:TGID_Y_EN: 0
; COMPUTE_PGM_RSRC2:TGID_Z_EN: 0
; COMPUTE_PGM_RSRC2:TIDIG_COMP_CNT: 0
; COMPUTE_PGM_RSRC3_GFX90A:ACCUM_OFFSET: 26
; COMPUTE_PGM_RSRC3_GFX90A:TG_SPLIT: 0
	.section	.text._ZN7rocprim17ROCPRIM_400000_NS6detail17trampoline_kernelINS0_14default_configENS1_29reduce_by_key_config_selectorIffN6thrust23THRUST_200600_302600_NS4plusIfEEEEZZNS1_33reduce_by_key_impl_wrapped_configILNS1_25lookback_scan_determinismE0ES3_S9_NS6_6detail15normal_iteratorINS6_10device_ptrIfEEEESG_SG_SG_PmS8_22is_equal_div_10_reduceIfEEE10hipError_tPvRmT2_T3_mT4_T5_T6_T7_T8_P12ihipStream_tbENKUlT_T0_E_clISt17integral_constantIbLb0EES10_IbLb1EEEEDaSW_SX_EUlSW_E_NS1_11comp_targetILNS1_3genE3ELNS1_11target_archE908ELNS1_3gpuE7ELNS1_3repE0EEENS1_30default_config_static_selectorELNS0_4arch9wavefront6targetE1EEEvT1_,"axG",@progbits,_ZN7rocprim17ROCPRIM_400000_NS6detail17trampoline_kernelINS0_14default_configENS1_29reduce_by_key_config_selectorIffN6thrust23THRUST_200600_302600_NS4plusIfEEEEZZNS1_33reduce_by_key_impl_wrapped_configILNS1_25lookback_scan_determinismE0ES3_S9_NS6_6detail15normal_iteratorINS6_10device_ptrIfEEEESG_SG_SG_PmS8_22is_equal_div_10_reduceIfEEE10hipError_tPvRmT2_T3_mT4_T5_T6_T7_T8_P12ihipStream_tbENKUlT_T0_E_clISt17integral_constantIbLb0EES10_IbLb1EEEEDaSW_SX_EUlSW_E_NS1_11comp_targetILNS1_3genE3ELNS1_11target_archE908ELNS1_3gpuE7ELNS1_3repE0EEENS1_30default_config_static_selectorELNS0_4arch9wavefront6targetE1EEEvT1_,comdat
	.protected	_ZN7rocprim17ROCPRIM_400000_NS6detail17trampoline_kernelINS0_14default_configENS1_29reduce_by_key_config_selectorIffN6thrust23THRUST_200600_302600_NS4plusIfEEEEZZNS1_33reduce_by_key_impl_wrapped_configILNS1_25lookback_scan_determinismE0ES3_S9_NS6_6detail15normal_iteratorINS6_10device_ptrIfEEEESG_SG_SG_PmS8_22is_equal_div_10_reduceIfEEE10hipError_tPvRmT2_T3_mT4_T5_T6_T7_T8_P12ihipStream_tbENKUlT_T0_E_clISt17integral_constantIbLb0EES10_IbLb1EEEEDaSW_SX_EUlSW_E_NS1_11comp_targetILNS1_3genE3ELNS1_11target_archE908ELNS1_3gpuE7ELNS1_3repE0EEENS1_30default_config_static_selectorELNS0_4arch9wavefront6targetE1EEEvT1_ ; -- Begin function _ZN7rocprim17ROCPRIM_400000_NS6detail17trampoline_kernelINS0_14default_configENS1_29reduce_by_key_config_selectorIffN6thrust23THRUST_200600_302600_NS4plusIfEEEEZZNS1_33reduce_by_key_impl_wrapped_configILNS1_25lookback_scan_determinismE0ES3_S9_NS6_6detail15normal_iteratorINS6_10device_ptrIfEEEESG_SG_SG_PmS8_22is_equal_div_10_reduceIfEEE10hipError_tPvRmT2_T3_mT4_T5_T6_T7_T8_P12ihipStream_tbENKUlT_T0_E_clISt17integral_constantIbLb0EES10_IbLb1EEEEDaSW_SX_EUlSW_E_NS1_11comp_targetILNS1_3genE3ELNS1_11target_archE908ELNS1_3gpuE7ELNS1_3repE0EEENS1_30default_config_static_selectorELNS0_4arch9wavefront6targetE1EEEvT1_
	.globl	_ZN7rocprim17ROCPRIM_400000_NS6detail17trampoline_kernelINS0_14default_configENS1_29reduce_by_key_config_selectorIffN6thrust23THRUST_200600_302600_NS4plusIfEEEEZZNS1_33reduce_by_key_impl_wrapped_configILNS1_25lookback_scan_determinismE0ES3_S9_NS6_6detail15normal_iteratorINS6_10device_ptrIfEEEESG_SG_SG_PmS8_22is_equal_div_10_reduceIfEEE10hipError_tPvRmT2_T3_mT4_T5_T6_T7_T8_P12ihipStream_tbENKUlT_T0_E_clISt17integral_constantIbLb0EES10_IbLb1EEEEDaSW_SX_EUlSW_E_NS1_11comp_targetILNS1_3genE3ELNS1_11target_archE908ELNS1_3gpuE7ELNS1_3repE0EEENS1_30default_config_static_selectorELNS0_4arch9wavefront6targetE1EEEvT1_
	.p2align	8
	.type	_ZN7rocprim17ROCPRIM_400000_NS6detail17trampoline_kernelINS0_14default_configENS1_29reduce_by_key_config_selectorIffN6thrust23THRUST_200600_302600_NS4plusIfEEEEZZNS1_33reduce_by_key_impl_wrapped_configILNS1_25lookback_scan_determinismE0ES3_S9_NS6_6detail15normal_iteratorINS6_10device_ptrIfEEEESG_SG_SG_PmS8_22is_equal_div_10_reduceIfEEE10hipError_tPvRmT2_T3_mT4_T5_T6_T7_T8_P12ihipStream_tbENKUlT_T0_E_clISt17integral_constantIbLb0EES10_IbLb1EEEEDaSW_SX_EUlSW_E_NS1_11comp_targetILNS1_3genE3ELNS1_11target_archE908ELNS1_3gpuE7ELNS1_3repE0EEENS1_30default_config_static_selectorELNS0_4arch9wavefront6targetE1EEEvT1_,@function
_ZN7rocprim17ROCPRIM_400000_NS6detail17trampoline_kernelINS0_14default_configENS1_29reduce_by_key_config_selectorIffN6thrust23THRUST_200600_302600_NS4plusIfEEEEZZNS1_33reduce_by_key_impl_wrapped_configILNS1_25lookback_scan_determinismE0ES3_S9_NS6_6detail15normal_iteratorINS6_10device_ptrIfEEEESG_SG_SG_PmS8_22is_equal_div_10_reduceIfEEE10hipError_tPvRmT2_T3_mT4_T5_T6_T7_T8_P12ihipStream_tbENKUlT_T0_E_clISt17integral_constantIbLb0EES10_IbLb1EEEEDaSW_SX_EUlSW_E_NS1_11comp_targetILNS1_3genE3ELNS1_11target_archE908ELNS1_3gpuE7ELNS1_3repE0EEENS1_30default_config_static_selectorELNS0_4arch9wavefront6targetE1EEEvT1_: ; @_ZN7rocprim17ROCPRIM_400000_NS6detail17trampoline_kernelINS0_14default_configENS1_29reduce_by_key_config_selectorIffN6thrust23THRUST_200600_302600_NS4plusIfEEEEZZNS1_33reduce_by_key_impl_wrapped_configILNS1_25lookback_scan_determinismE0ES3_S9_NS6_6detail15normal_iteratorINS6_10device_ptrIfEEEESG_SG_SG_PmS8_22is_equal_div_10_reduceIfEEE10hipError_tPvRmT2_T3_mT4_T5_T6_T7_T8_P12ihipStream_tbENKUlT_T0_E_clISt17integral_constantIbLb0EES10_IbLb1EEEEDaSW_SX_EUlSW_E_NS1_11comp_targetILNS1_3genE3ELNS1_11target_archE908ELNS1_3gpuE7ELNS1_3repE0EEENS1_30default_config_static_selectorELNS0_4arch9wavefront6targetE1EEEvT1_
; %bb.0:
	.section	.rodata,"a",@progbits
	.p2align	6, 0x0
	.amdhsa_kernel _ZN7rocprim17ROCPRIM_400000_NS6detail17trampoline_kernelINS0_14default_configENS1_29reduce_by_key_config_selectorIffN6thrust23THRUST_200600_302600_NS4plusIfEEEEZZNS1_33reduce_by_key_impl_wrapped_configILNS1_25lookback_scan_determinismE0ES3_S9_NS6_6detail15normal_iteratorINS6_10device_ptrIfEEEESG_SG_SG_PmS8_22is_equal_div_10_reduceIfEEE10hipError_tPvRmT2_T3_mT4_T5_T6_T7_T8_P12ihipStream_tbENKUlT_T0_E_clISt17integral_constantIbLb0EES10_IbLb1EEEEDaSW_SX_EUlSW_E_NS1_11comp_targetILNS1_3genE3ELNS1_11target_archE908ELNS1_3gpuE7ELNS1_3repE0EEENS1_30default_config_static_selectorELNS0_4arch9wavefront6targetE1EEEvT1_
		.amdhsa_group_segment_fixed_size 0
		.amdhsa_private_segment_fixed_size 0
		.amdhsa_kernarg_size 120
		.amdhsa_user_sgpr_count 6
		.amdhsa_user_sgpr_private_segment_buffer 1
		.amdhsa_user_sgpr_dispatch_ptr 0
		.amdhsa_user_sgpr_queue_ptr 0
		.amdhsa_user_sgpr_kernarg_segment_ptr 1
		.amdhsa_user_sgpr_dispatch_id 0
		.amdhsa_user_sgpr_flat_scratch_init 0
		.amdhsa_user_sgpr_kernarg_preload_length 0
		.amdhsa_user_sgpr_kernarg_preload_offset 0
		.amdhsa_user_sgpr_private_segment_size 0
		.amdhsa_uses_dynamic_stack 0
		.amdhsa_system_sgpr_private_segment_wavefront_offset 0
		.amdhsa_system_sgpr_workgroup_id_x 1
		.amdhsa_system_sgpr_workgroup_id_y 0
		.amdhsa_system_sgpr_workgroup_id_z 0
		.amdhsa_system_sgpr_workgroup_info 0
		.amdhsa_system_vgpr_workitem_id 0
		.amdhsa_next_free_vgpr 1
		.amdhsa_next_free_sgpr 0
		.amdhsa_accum_offset 4
		.amdhsa_reserve_vcc 0
		.amdhsa_reserve_flat_scratch 0
		.amdhsa_float_round_mode_32 0
		.amdhsa_float_round_mode_16_64 0
		.amdhsa_float_denorm_mode_32 3
		.amdhsa_float_denorm_mode_16_64 3
		.amdhsa_dx10_clamp 1
		.amdhsa_ieee_mode 1
		.amdhsa_fp16_overflow 0
		.amdhsa_tg_split 0
		.amdhsa_exception_fp_ieee_invalid_op 0
		.amdhsa_exception_fp_denorm_src 0
		.amdhsa_exception_fp_ieee_div_zero 0
		.amdhsa_exception_fp_ieee_overflow 0
		.amdhsa_exception_fp_ieee_underflow 0
		.amdhsa_exception_fp_ieee_inexact 0
		.amdhsa_exception_int_div_zero 0
	.end_amdhsa_kernel
	.section	.text._ZN7rocprim17ROCPRIM_400000_NS6detail17trampoline_kernelINS0_14default_configENS1_29reduce_by_key_config_selectorIffN6thrust23THRUST_200600_302600_NS4plusIfEEEEZZNS1_33reduce_by_key_impl_wrapped_configILNS1_25lookback_scan_determinismE0ES3_S9_NS6_6detail15normal_iteratorINS6_10device_ptrIfEEEESG_SG_SG_PmS8_22is_equal_div_10_reduceIfEEE10hipError_tPvRmT2_T3_mT4_T5_T6_T7_T8_P12ihipStream_tbENKUlT_T0_E_clISt17integral_constantIbLb0EES10_IbLb1EEEEDaSW_SX_EUlSW_E_NS1_11comp_targetILNS1_3genE3ELNS1_11target_archE908ELNS1_3gpuE7ELNS1_3repE0EEENS1_30default_config_static_selectorELNS0_4arch9wavefront6targetE1EEEvT1_,"axG",@progbits,_ZN7rocprim17ROCPRIM_400000_NS6detail17trampoline_kernelINS0_14default_configENS1_29reduce_by_key_config_selectorIffN6thrust23THRUST_200600_302600_NS4plusIfEEEEZZNS1_33reduce_by_key_impl_wrapped_configILNS1_25lookback_scan_determinismE0ES3_S9_NS6_6detail15normal_iteratorINS6_10device_ptrIfEEEESG_SG_SG_PmS8_22is_equal_div_10_reduceIfEEE10hipError_tPvRmT2_T3_mT4_T5_T6_T7_T8_P12ihipStream_tbENKUlT_T0_E_clISt17integral_constantIbLb0EES10_IbLb1EEEEDaSW_SX_EUlSW_E_NS1_11comp_targetILNS1_3genE3ELNS1_11target_archE908ELNS1_3gpuE7ELNS1_3repE0EEENS1_30default_config_static_selectorELNS0_4arch9wavefront6targetE1EEEvT1_,comdat
.Lfunc_end230:
	.size	_ZN7rocprim17ROCPRIM_400000_NS6detail17trampoline_kernelINS0_14default_configENS1_29reduce_by_key_config_selectorIffN6thrust23THRUST_200600_302600_NS4plusIfEEEEZZNS1_33reduce_by_key_impl_wrapped_configILNS1_25lookback_scan_determinismE0ES3_S9_NS6_6detail15normal_iteratorINS6_10device_ptrIfEEEESG_SG_SG_PmS8_22is_equal_div_10_reduceIfEEE10hipError_tPvRmT2_T3_mT4_T5_T6_T7_T8_P12ihipStream_tbENKUlT_T0_E_clISt17integral_constantIbLb0EES10_IbLb1EEEEDaSW_SX_EUlSW_E_NS1_11comp_targetILNS1_3genE3ELNS1_11target_archE908ELNS1_3gpuE7ELNS1_3repE0EEENS1_30default_config_static_selectorELNS0_4arch9wavefront6targetE1EEEvT1_, .Lfunc_end230-_ZN7rocprim17ROCPRIM_400000_NS6detail17trampoline_kernelINS0_14default_configENS1_29reduce_by_key_config_selectorIffN6thrust23THRUST_200600_302600_NS4plusIfEEEEZZNS1_33reduce_by_key_impl_wrapped_configILNS1_25lookback_scan_determinismE0ES3_S9_NS6_6detail15normal_iteratorINS6_10device_ptrIfEEEESG_SG_SG_PmS8_22is_equal_div_10_reduceIfEEE10hipError_tPvRmT2_T3_mT4_T5_T6_T7_T8_P12ihipStream_tbENKUlT_T0_E_clISt17integral_constantIbLb0EES10_IbLb1EEEEDaSW_SX_EUlSW_E_NS1_11comp_targetILNS1_3genE3ELNS1_11target_archE908ELNS1_3gpuE7ELNS1_3repE0EEENS1_30default_config_static_selectorELNS0_4arch9wavefront6targetE1EEEvT1_
                                        ; -- End function
	.section	.AMDGPU.csdata,"",@progbits
; Kernel info:
; codeLenInByte = 0
; NumSgprs: 4
; NumVgprs: 0
; NumAgprs: 0
; TotalNumVgprs: 0
; ScratchSize: 0
; MemoryBound: 0
; FloatMode: 240
; IeeeMode: 1
; LDSByteSize: 0 bytes/workgroup (compile time only)
; SGPRBlocks: 0
; VGPRBlocks: 0
; NumSGPRsForWavesPerEU: 4
; NumVGPRsForWavesPerEU: 1
; AccumOffset: 4
; Occupancy: 8
; WaveLimiterHint : 0
; COMPUTE_PGM_RSRC2:SCRATCH_EN: 0
; COMPUTE_PGM_RSRC2:USER_SGPR: 6
; COMPUTE_PGM_RSRC2:TRAP_HANDLER: 0
; COMPUTE_PGM_RSRC2:TGID_X_EN: 1
; COMPUTE_PGM_RSRC2:TGID_Y_EN: 0
; COMPUTE_PGM_RSRC2:TGID_Z_EN: 0
; COMPUTE_PGM_RSRC2:TIDIG_COMP_CNT: 0
; COMPUTE_PGM_RSRC3_GFX90A:ACCUM_OFFSET: 0
; COMPUTE_PGM_RSRC3_GFX90A:TG_SPLIT: 0
	.section	.text._ZN7rocprim17ROCPRIM_400000_NS6detail17trampoline_kernelINS0_14default_configENS1_29reduce_by_key_config_selectorIffN6thrust23THRUST_200600_302600_NS4plusIfEEEEZZNS1_33reduce_by_key_impl_wrapped_configILNS1_25lookback_scan_determinismE0ES3_S9_NS6_6detail15normal_iteratorINS6_10device_ptrIfEEEESG_SG_SG_PmS8_22is_equal_div_10_reduceIfEEE10hipError_tPvRmT2_T3_mT4_T5_T6_T7_T8_P12ihipStream_tbENKUlT_T0_E_clISt17integral_constantIbLb0EES10_IbLb1EEEEDaSW_SX_EUlSW_E_NS1_11comp_targetILNS1_3genE2ELNS1_11target_archE906ELNS1_3gpuE6ELNS1_3repE0EEENS1_30default_config_static_selectorELNS0_4arch9wavefront6targetE1EEEvT1_,"axG",@progbits,_ZN7rocprim17ROCPRIM_400000_NS6detail17trampoline_kernelINS0_14default_configENS1_29reduce_by_key_config_selectorIffN6thrust23THRUST_200600_302600_NS4plusIfEEEEZZNS1_33reduce_by_key_impl_wrapped_configILNS1_25lookback_scan_determinismE0ES3_S9_NS6_6detail15normal_iteratorINS6_10device_ptrIfEEEESG_SG_SG_PmS8_22is_equal_div_10_reduceIfEEE10hipError_tPvRmT2_T3_mT4_T5_T6_T7_T8_P12ihipStream_tbENKUlT_T0_E_clISt17integral_constantIbLb0EES10_IbLb1EEEEDaSW_SX_EUlSW_E_NS1_11comp_targetILNS1_3genE2ELNS1_11target_archE906ELNS1_3gpuE6ELNS1_3repE0EEENS1_30default_config_static_selectorELNS0_4arch9wavefront6targetE1EEEvT1_,comdat
	.protected	_ZN7rocprim17ROCPRIM_400000_NS6detail17trampoline_kernelINS0_14default_configENS1_29reduce_by_key_config_selectorIffN6thrust23THRUST_200600_302600_NS4plusIfEEEEZZNS1_33reduce_by_key_impl_wrapped_configILNS1_25lookback_scan_determinismE0ES3_S9_NS6_6detail15normal_iteratorINS6_10device_ptrIfEEEESG_SG_SG_PmS8_22is_equal_div_10_reduceIfEEE10hipError_tPvRmT2_T3_mT4_T5_T6_T7_T8_P12ihipStream_tbENKUlT_T0_E_clISt17integral_constantIbLb0EES10_IbLb1EEEEDaSW_SX_EUlSW_E_NS1_11comp_targetILNS1_3genE2ELNS1_11target_archE906ELNS1_3gpuE6ELNS1_3repE0EEENS1_30default_config_static_selectorELNS0_4arch9wavefront6targetE1EEEvT1_ ; -- Begin function _ZN7rocprim17ROCPRIM_400000_NS6detail17trampoline_kernelINS0_14default_configENS1_29reduce_by_key_config_selectorIffN6thrust23THRUST_200600_302600_NS4plusIfEEEEZZNS1_33reduce_by_key_impl_wrapped_configILNS1_25lookback_scan_determinismE0ES3_S9_NS6_6detail15normal_iteratorINS6_10device_ptrIfEEEESG_SG_SG_PmS8_22is_equal_div_10_reduceIfEEE10hipError_tPvRmT2_T3_mT4_T5_T6_T7_T8_P12ihipStream_tbENKUlT_T0_E_clISt17integral_constantIbLb0EES10_IbLb1EEEEDaSW_SX_EUlSW_E_NS1_11comp_targetILNS1_3genE2ELNS1_11target_archE906ELNS1_3gpuE6ELNS1_3repE0EEENS1_30default_config_static_selectorELNS0_4arch9wavefront6targetE1EEEvT1_
	.globl	_ZN7rocprim17ROCPRIM_400000_NS6detail17trampoline_kernelINS0_14default_configENS1_29reduce_by_key_config_selectorIffN6thrust23THRUST_200600_302600_NS4plusIfEEEEZZNS1_33reduce_by_key_impl_wrapped_configILNS1_25lookback_scan_determinismE0ES3_S9_NS6_6detail15normal_iteratorINS6_10device_ptrIfEEEESG_SG_SG_PmS8_22is_equal_div_10_reduceIfEEE10hipError_tPvRmT2_T3_mT4_T5_T6_T7_T8_P12ihipStream_tbENKUlT_T0_E_clISt17integral_constantIbLb0EES10_IbLb1EEEEDaSW_SX_EUlSW_E_NS1_11comp_targetILNS1_3genE2ELNS1_11target_archE906ELNS1_3gpuE6ELNS1_3repE0EEENS1_30default_config_static_selectorELNS0_4arch9wavefront6targetE1EEEvT1_
	.p2align	8
	.type	_ZN7rocprim17ROCPRIM_400000_NS6detail17trampoline_kernelINS0_14default_configENS1_29reduce_by_key_config_selectorIffN6thrust23THRUST_200600_302600_NS4plusIfEEEEZZNS1_33reduce_by_key_impl_wrapped_configILNS1_25lookback_scan_determinismE0ES3_S9_NS6_6detail15normal_iteratorINS6_10device_ptrIfEEEESG_SG_SG_PmS8_22is_equal_div_10_reduceIfEEE10hipError_tPvRmT2_T3_mT4_T5_T6_T7_T8_P12ihipStream_tbENKUlT_T0_E_clISt17integral_constantIbLb0EES10_IbLb1EEEEDaSW_SX_EUlSW_E_NS1_11comp_targetILNS1_3genE2ELNS1_11target_archE906ELNS1_3gpuE6ELNS1_3repE0EEENS1_30default_config_static_selectorELNS0_4arch9wavefront6targetE1EEEvT1_,@function
_ZN7rocprim17ROCPRIM_400000_NS6detail17trampoline_kernelINS0_14default_configENS1_29reduce_by_key_config_selectorIffN6thrust23THRUST_200600_302600_NS4plusIfEEEEZZNS1_33reduce_by_key_impl_wrapped_configILNS1_25lookback_scan_determinismE0ES3_S9_NS6_6detail15normal_iteratorINS6_10device_ptrIfEEEESG_SG_SG_PmS8_22is_equal_div_10_reduceIfEEE10hipError_tPvRmT2_T3_mT4_T5_T6_T7_T8_P12ihipStream_tbENKUlT_T0_E_clISt17integral_constantIbLb0EES10_IbLb1EEEEDaSW_SX_EUlSW_E_NS1_11comp_targetILNS1_3genE2ELNS1_11target_archE906ELNS1_3gpuE6ELNS1_3repE0EEENS1_30default_config_static_selectorELNS0_4arch9wavefront6targetE1EEEvT1_: ; @_ZN7rocprim17ROCPRIM_400000_NS6detail17trampoline_kernelINS0_14default_configENS1_29reduce_by_key_config_selectorIffN6thrust23THRUST_200600_302600_NS4plusIfEEEEZZNS1_33reduce_by_key_impl_wrapped_configILNS1_25lookback_scan_determinismE0ES3_S9_NS6_6detail15normal_iteratorINS6_10device_ptrIfEEEESG_SG_SG_PmS8_22is_equal_div_10_reduceIfEEE10hipError_tPvRmT2_T3_mT4_T5_T6_T7_T8_P12ihipStream_tbENKUlT_T0_E_clISt17integral_constantIbLb0EES10_IbLb1EEEEDaSW_SX_EUlSW_E_NS1_11comp_targetILNS1_3genE2ELNS1_11target_archE906ELNS1_3gpuE6ELNS1_3repE0EEENS1_30default_config_static_selectorELNS0_4arch9wavefront6targetE1EEEvT1_
; %bb.0:
	.section	.rodata,"a",@progbits
	.p2align	6, 0x0
	.amdhsa_kernel _ZN7rocprim17ROCPRIM_400000_NS6detail17trampoline_kernelINS0_14default_configENS1_29reduce_by_key_config_selectorIffN6thrust23THRUST_200600_302600_NS4plusIfEEEEZZNS1_33reduce_by_key_impl_wrapped_configILNS1_25lookback_scan_determinismE0ES3_S9_NS6_6detail15normal_iteratorINS6_10device_ptrIfEEEESG_SG_SG_PmS8_22is_equal_div_10_reduceIfEEE10hipError_tPvRmT2_T3_mT4_T5_T6_T7_T8_P12ihipStream_tbENKUlT_T0_E_clISt17integral_constantIbLb0EES10_IbLb1EEEEDaSW_SX_EUlSW_E_NS1_11comp_targetILNS1_3genE2ELNS1_11target_archE906ELNS1_3gpuE6ELNS1_3repE0EEENS1_30default_config_static_selectorELNS0_4arch9wavefront6targetE1EEEvT1_
		.amdhsa_group_segment_fixed_size 0
		.amdhsa_private_segment_fixed_size 0
		.amdhsa_kernarg_size 120
		.amdhsa_user_sgpr_count 6
		.amdhsa_user_sgpr_private_segment_buffer 1
		.amdhsa_user_sgpr_dispatch_ptr 0
		.amdhsa_user_sgpr_queue_ptr 0
		.amdhsa_user_sgpr_kernarg_segment_ptr 1
		.amdhsa_user_sgpr_dispatch_id 0
		.amdhsa_user_sgpr_flat_scratch_init 0
		.amdhsa_user_sgpr_kernarg_preload_length 0
		.amdhsa_user_sgpr_kernarg_preload_offset 0
		.amdhsa_user_sgpr_private_segment_size 0
		.amdhsa_uses_dynamic_stack 0
		.amdhsa_system_sgpr_private_segment_wavefront_offset 0
		.amdhsa_system_sgpr_workgroup_id_x 1
		.amdhsa_system_sgpr_workgroup_id_y 0
		.amdhsa_system_sgpr_workgroup_id_z 0
		.amdhsa_system_sgpr_workgroup_info 0
		.amdhsa_system_vgpr_workitem_id 0
		.amdhsa_next_free_vgpr 1
		.amdhsa_next_free_sgpr 0
		.amdhsa_accum_offset 4
		.amdhsa_reserve_vcc 0
		.amdhsa_reserve_flat_scratch 0
		.amdhsa_float_round_mode_32 0
		.amdhsa_float_round_mode_16_64 0
		.amdhsa_float_denorm_mode_32 3
		.amdhsa_float_denorm_mode_16_64 3
		.amdhsa_dx10_clamp 1
		.amdhsa_ieee_mode 1
		.amdhsa_fp16_overflow 0
		.amdhsa_tg_split 0
		.amdhsa_exception_fp_ieee_invalid_op 0
		.amdhsa_exception_fp_denorm_src 0
		.amdhsa_exception_fp_ieee_div_zero 0
		.amdhsa_exception_fp_ieee_overflow 0
		.amdhsa_exception_fp_ieee_underflow 0
		.amdhsa_exception_fp_ieee_inexact 0
		.amdhsa_exception_int_div_zero 0
	.end_amdhsa_kernel
	.section	.text._ZN7rocprim17ROCPRIM_400000_NS6detail17trampoline_kernelINS0_14default_configENS1_29reduce_by_key_config_selectorIffN6thrust23THRUST_200600_302600_NS4plusIfEEEEZZNS1_33reduce_by_key_impl_wrapped_configILNS1_25lookback_scan_determinismE0ES3_S9_NS6_6detail15normal_iteratorINS6_10device_ptrIfEEEESG_SG_SG_PmS8_22is_equal_div_10_reduceIfEEE10hipError_tPvRmT2_T3_mT4_T5_T6_T7_T8_P12ihipStream_tbENKUlT_T0_E_clISt17integral_constantIbLb0EES10_IbLb1EEEEDaSW_SX_EUlSW_E_NS1_11comp_targetILNS1_3genE2ELNS1_11target_archE906ELNS1_3gpuE6ELNS1_3repE0EEENS1_30default_config_static_selectorELNS0_4arch9wavefront6targetE1EEEvT1_,"axG",@progbits,_ZN7rocprim17ROCPRIM_400000_NS6detail17trampoline_kernelINS0_14default_configENS1_29reduce_by_key_config_selectorIffN6thrust23THRUST_200600_302600_NS4plusIfEEEEZZNS1_33reduce_by_key_impl_wrapped_configILNS1_25lookback_scan_determinismE0ES3_S9_NS6_6detail15normal_iteratorINS6_10device_ptrIfEEEESG_SG_SG_PmS8_22is_equal_div_10_reduceIfEEE10hipError_tPvRmT2_T3_mT4_T5_T6_T7_T8_P12ihipStream_tbENKUlT_T0_E_clISt17integral_constantIbLb0EES10_IbLb1EEEEDaSW_SX_EUlSW_E_NS1_11comp_targetILNS1_3genE2ELNS1_11target_archE906ELNS1_3gpuE6ELNS1_3repE0EEENS1_30default_config_static_selectorELNS0_4arch9wavefront6targetE1EEEvT1_,comdat
.Lfunc_end231:
	.size	_ZN7rocprim17ROCPRIM_400000_NS6detail17trampoline_kernelINS0_14default_configENS1_29reduce_by_key_config_selectorIffN6thrust23THRUST_200600_302600_NS4plusIfEEEEZZNS1_33reduce_by_key_impl_wrapped_configILNS1_25lookback_scan_determinismE0ES3_S9_NS6_6detail15normal_iteratorINS6_10device_ptrIfEEEESG_SG_SG_PmS8_22is_equal_div_10_reduceIfEEE10hipError_tPvRmT2_T3_mT4_T5_T6_T7_T8_P12ihipStream_tbENKUlT_T0_E_clISt17integral_constantIbLb0EES10_IbLb1EEEEDaSW_SX_EUlSW_E_NS1_11comp_targetILNS1_3genE2ELNS1_11target_archE906ELNS1_3gpuE6ELNS1_3repE0EEENS1_30default_config_static_selectorELNS0_4arch9wavefront6targetE1EEEvT1_, .Lfunc_end231-_ZN7rocprim17ROCPRIM_400000_NS6detail17trampoline_kernelINS0_14default_configENS1_29reduce_by_key_config_selectorIffN6thrust23THRUST_200600_302600_NS4plusIfEEEEZZNS1_33reduce_by_key_impl_wrapped_configILNS1_25lookback_scan_determinismE0ES3_S9_NS6_6detail15normal_iteratorINS6_10device_ptrIfEEEESG_SG_SG_PmS8_22is_equal_div_10_reduceIfEEE10hipError_tPvRmT2_T3_mT4_T5_T6_T7_T8_P12ihipStream_tbENKUlT_T0_E_clISt17integral_constantIbLb0EES10_IbLb1EEEEDaSW_SX_EUlSW_E_NS1_11comp_targetILNS1_3genE2ELNS1_11target_archE906ELNS1_3gpuE6ELNS1_3repE0EEENS1_30default_config_static_selectorELNS0_4arch9wavefront6targetE1EEEvT1_
                                        ; -- End function
	.section	.AMDGPU.csdata,"",@progbits
; Kernel info:
; codeLenInByte = 0
; NumSgprs: 4
; NumVgprs: 0
; NumAgprs: 0
; TotalNumVgprs: 0
; ScratchSize: 0
; MemoryBound: 0
; FloatMode: 240
; IeeeMode: 1
; LDSByteSize: 0 bytes/workgroup (compile time only)
; SGPRBlocks: 0
; VGPRBlocks: 0
; NumSGPRsForWavesPerEU: 4
; NumVGPRsForWavesPerEU: 1
; AccumOffset: 4
; Occupancy: 8
; WaveLimiterHint : 0
; COMPUTE_PGM_RSRC2:SCRATCH_EN: 0
; COMPUTE_PGM_RSRC2:USER_SGPR: 6
; COMPUTE_PGM_RSRC2:TRAP_HANDLER: 0
; COMPUTE_PGM_RSRC2:TGID_X_EN: 1
; COMPUTE_PGM_RSRC2:TGID_Y_EN: 0
; COMPUTE_PGM_RSRC2:TGID_Z_EN: 0
; COMPUTE_PGM_RSRC2:TIDIG_COMP_CNT: 0
; COMPUTE_PGM_RSRC3_GFX90A:ACCUM_OFFSET: 0
; COMPUTE_PGM_RSRC3_GFX90A:TG_SPLIT: 0
	.section	.text._ZN7rocprim17ROCPRIM_400000_NS6detail17trampoline_kernelINS0_14default_configENS1_29reduce_by_key_config_selectorIffN6thrust23THRUST_200600_302600_NS4plusIfEEEEZZNS1_33reduce_by_key_impl_wrapped_configILNS1_25lookback_scan_determinismE0ES3_S9_NS6_6detail15normal_iteratorINS6_10device_ptrIfEEEESG_SG_SG_PmS8_22is_equal_div_10_reduceIfEEE10hipError_tPvRmT2_T3_mT4_T5_T6_T7_T8_P12ihipStream_tbENKUlT_T0_E_clISt17integral_constantIbLb0EES10_IbLb1EEEEDaSW_SX_EUlSW_E_NS1_11comp_targetILNS1_3genE10ELNS1_11target_archE1201ELNS1_3gpuE5ELNS1_3repE0EEENS1_30default_config_static_selectorELNS0_4arch9wavefront6targetE1EEEvT1_,"axG",@progbits,_ZN7rocprim17ROCPRIM_400000_NS6detail17trampoline_kernelINS0_14default_configENS1_29reduce_by_key_config_selectorIffN6thrust23THRUST_200600_302600_NS4plusIfEEEEZZNS1_33reduce_by_key_impl_wrapped_configILNS1_25lookback_scan_determinismE0ES3_S9_NS6_6detail15normal_iteratorINS6_10device_ptrIfEEEESG_SG_SG_PmS8_22is_equal_div_10_reduceIfEEE10hipError_tPvRmT2_T3_mT4_T5_T6_T7_T8_P12ihipStream_tbENKUlT_T0_E_clISt17integral_constantIbLb0EES10_IbLb1EEEEDaSW_SX_EUlSW_E_NS1_11comp_targetILNS1_3genE10ELNS1_11target_archE1201ELNS1_3gpuE5ELNS1_3repE0EEENS1_30default_config_static_selectorELNS0_4arch9wavefront6targetE1EEEvT1_,comdat
	.protected	_ZN7rocprim17ROCPRIM_400000_NS6detail17trampoline_kernelINS0_14default_configENS1_29reduce_by_key_config_selectorIffN6thrust23THRUST_200600_302600_NS4plusIfEEEEZZNS1_33reduce_by_key_impl_wrapped_configILNS1_25lookback_scan_determinismE0ES3_S9_NS6_6detail15normal_iteratorINS6_10device_ptrIfEEEESG_SG_SG_PmS8_22is_equal_div_10_reduceIfEEE10hipError_tPvRmT2_T3_mT4_T5_T6_T7_T8_P12ihipStream_tbENKUlT_T0_E_clISt17integral_constantIbLb0EES10_IbLb1EEEEDaSW_SX_EUlSW_E_NS1_11comp_targetILNS1_3genE10ELNS1_11target_archE1201ELNS1_3gpuE5ELNS1_3repE0EEENS1_30default_config_static_selectorELNS0_4arch9wavefront6targetE1EEEvT1_ ; -- Begin function _ZN7rocprim17ROCPRIM_400000_NS6detail17trampoline_kernelINS0_14default_configENS1_29reduce_by_key_config_selectorIffN6thrust23THRUST_200600_302600_NS4plusIfEEEEZZNS1_33reduce_by_key_impl_wrapped_configILNS1_25lookback_scan_determinismE0ES3_S9_NS6_6detail15normal_iteratorINS6_10device_ptrIfEEEESG_SG_SG_PmS8_22is_equal_div_10_reduceIfEEE10hipError_tPvRmT2_T3_mT4_T5_T6_T7_T8_P12ihipStream_tbENKUlT_T0_E_clISt17integral_constantIbLb0EES10_IbLb1EEEEDaSW_SX_EUlSW_E_NS1_11comp_targetILNS1_3genE10ELNS1_11target_archE1201ELNS1_3gpuE5ELNS1_3repE0EEENS1_30default_config_static_selectorELNS0_4arch9wavefront6targetE1EEEvT1_
	.globl	_ZN7rocprim17ROCPRIM_400000_NS6detail17trampoline_kernelINS0_14default_configENS1_29reduce_by_key_config_selectorIffN6thrust23THRUST_200600_302600_NS4plusIfEEEEZZNS1_33reduce_by_key_impl_wrapped_configILNS1_25lookback_scan_determinismE0ES3_S9_NS6_6detail15normal_iteratorINS6_10device_ptrIfEEEESG_SG_SG_PmS8_22is_equal_div_10_reduceIfEEE10hipError_tPvRmT2_T3_mT4_T5_T6_T7_T8_P12ihipStream_tbENKUlT_T0_E_clISt17integral_constantIbLb0EES10_IbLb1EEEEDaSW_SX_EUlSW_E_NS1_11comp_targetILNS1_3genE10ELNS1_11target_archE1201ELNS1_3gpuE5ELNS1_3repE0EEENS1_30default_config_static_selectorELNS0_4arch9wavefront6targetE1EEEvT1_
	.p2align	8
	.type	_ZN7rocprim17ROCPRIM_400000_NS6detail17trampoline_kernelINS0_14default_configENS1_29reduce_by_key_config_selectorIffN6thrust23THRUST_200600_302600_NS4plusIfEEEEZZNS1_33reduce_by_key_impl_wrapped_configILNS1_25lookback_scan_determinismE0ES3_S9_NS6_6detail15normal_iteratorINS6_10device_ptrIfEEEESG_SG_SG_PmS8_22is_equal_div_10_reduceIfEEE10hipError_tPvRmT2_T3_mT4_T5_T6_T7_T8_P12ihipStream_tbENKUlT_T0_E_clISt17integral_constantIbLb0EES10_IbLb1EEEEDaSW_SX_EUlSW_E_NS1_11comp_targetILNS1_3genE10ELNS1_11target_archE1201ELNS1_3gpuE5ELNS1_3repE0EEENS1_30default_config_static_selectorELNS0_4arch9wavefront6targetE1EEEvT1_,@function
_ZN7rocprim17ROCPRIM_400000_NS6detail17trampoline_kernelINS0_14default_configENS1_29reduce_by_key_config_selectorIffN6thrust23THRUST_200600_302600_NS4plusIfEEEEZZNS1_33reduce_by_key_impl_wrapped_configILNS1_25lookback_scan_determinismE0ES3_S9_NS6_6detail15normal_iteratorINS6_10device_ptrIfEEEESG_SG_SG_PmS8_22is_equal_div_10_reduceIfEEE10hipError_tPvRmT2_T3_mT4_T5_T6_T7_T8_P12ihipStream_tbENKUlT_T0_E_clISt17integral_constantIbLb0EES10_IbLb1EEEEDaSW_SX_EUlSW_E_NS1_11comp_targetILNS1_3genE10ELNS1_11target_archE1201ELNS1_3gpuE5ELNS1_3repE0EEENS1_30default_config_static_selectorELNS0_4arch9wavefront6targetE1EEEvT1_: ; @_ZN7rocprim17ROCPRIM_400000_NS6detail17trampoline_kernelINS0_14default_configENS1_29reduce_by_key_config_selectorIffN6thrust23THRUST_200600_302600_NS4plusIfEEEEZZNS1_33reduce_by_key_impl_wrapped_configILNS1_25lookback_scan_determinismE0ES3_S9_NS6_6detail15normal_iteratorINS6_10device_ptrIfEEEESG_SG_SG_PmS8_22is_equal_div_10_reduceIfEEE10hipError_tPvRmT2_T3_mT4_T5_T6_T7_T8_P12ihipStream_tbENKUlT_T0_E_clISt17integral_constantIbLb0EES10_IbLb1EEEEDaSW_SX_EUlSW_E_NS1_11comp_targetILNS1_3genE10ELNS1_11target_archE1201ELNS1_3gpuE5ELNS1_3repE0EEENS1_30default_config_static_selectorELNS0_4arch9wavefront6targetE1EEEvT1_
; %bb.0:
	.section	.rodata,"a",@progbits
	.p2align	6, 0x0
	.amdhsa_kernel _ZN7rocprim17ROCPRIM_400000_NS6detail17trampoline_kernelINS0_14default_configENS1_29reduce_by_key_config_selectorIffN6thrust23THRUST_200600_302600_NS4plusIfEEEEZZNS1_33reduce_by_key_impl_wrapped_configILNS1_25lookback_scan_determinismE0ES3_S9_NS6_6detail15normal_iteratorINS6_10device_ptrIfEEEESG_SG_SG_PmS8_22is_equal_div_10_reduceIfEEE10hipError_tPvRmT2_T3_mT4_T5_T6_T7_T8_P12ihipStream_tbENKUlT_T0_E_clISt17integral_constantIbLb0EES10_IbLb1EEEEDaSW_SX_EUlSW_E_NS1_11comp_targetILNS1_3genE10ELNS1_11target_archE1201ELNS1_3gpuE5ELNS1_3repE0EEENS1_30default_config_static_selectorELNS0_4arch9wavefront6targetE1EEEvT1_
		.amdhsa_group_segment_fixed_size 0
		.amdhsa_private_segment_fixed_size 0
		.amdhsa_kernarg_size 120
		.amdhsa_user_sgpr_count 6
		.amdhsa_user_sgpr_private_segment_buffer 1
		.amdhsa_user_sgpr_dispatch_ptr 0
		.amdhsa_user_sgpr_queue_ptr 0
		.amdhsa_user_sgpr_kernarg_segment_ptr 1
		.amdhsa_user_sgpr_dispatch_id 0
		.amdhsa_user_sgpr_flat_scratch_init 0
		.amdhsa_user_sgpr_kernarg_preload_length 0
		.amdhsa_user_sgpr_kernarg_preload_offset 0
		.amdhsa_user_sgpr_private_segment_size 0
		.amdhsa_uses_dynamic_stack 0
		.amdhsa_system_sgpr_private_segment_wavefront_offset 0
		.amdhsa_system_sgpr_workgroup_id_x 1
		.amdhsa_system_sgpr_workgroup_id_y 0
		.amdhsa_system_sgpr_workgroup_id_z 0
		.amdhsa_system_sgpr_workgroup_info 0
		.amdhsa_system_vgpr_workitem_id 0
		.amdhsa_next_free_vgpr 1
		.amdhsa_next_free_sgpr 0
		.amdhsa_accum_offset 4
		.amdhsa_reserve_vcc 0
		.amdhsa_reserve_flat_scratch 0
		.amdhsa_float_round_mode_32 0
		.amdhsa_float_round_mode_16_64 0
		.amdhsa_float_denorm_mode_32 3
		.amdhsa_float_denorm_mode_16_64 3
		.amdhsa_dx10_clamp 1
		.amdhsa_ieee_mode 1
		.amdhsa_fp16_overflow 0
		.amdhsa_tg_split 0
		.amdhsa_exception_fp_ieee_invalid_op 0
		.amdhsa_exception_fp_denorm_src 0
		.amdhsa_exception_fp_ieee_div_zero 0
		.amdhsa_exception_fp_ieee_overflow 0
		.amdhsa_exception_fp_ieee_underflow 0
		.amdhsa_exception_fp_ieee_inexact 0
		.amdhsa_exception_int_div_zero 0
	.end_amdhsa_kernel
	.section	.text._ZN7rocprim17ROCPRIM_400000_NS6detail17trampoline_kernelINS0_14default_configENS1_29reduce_by_key_config_selectorIffN6thrust23THRUST_200600_302600_NS4plusIfEEEEZZNS1_33reduce_by_key_impl_wrapped_configILNS1_25lookback_scan_determinismE0ES3_S9_NS6_6detail15normal_iteratorINS6_10device_ptrIfEEEESG_SG_SG_PmS8_22is_equal_div_10_reduceIfEEE10hipError_tPvRmT2_T3_mT4_T5_T6_T7_T8_P12ihipStream_tbENKUlT_T0_E_clISt17integral_constantIbLb0EES10_IbLb1EEEEDaSW_SX_EUlSW_E_NS1_11comp_targetILNS1_3genE10ELNS1_11target_archE1201ELNS1_3gpuE5ELNS1_3repE0EEENS1_30default_config_static_selectorELNS0_4arch9wavefront6targetE1EEEvT1_,"axG",@progbits,_ZN7rocprim17ROCPRIM_400000_NS6detail17trampoline_kernelINS0_14default_configENS1_29reduce_by_key_config_selectorIffN6thrust23THRUST_200600_302600_NS4plusIfEEEEZZNS1_33reduce_by_key_impl_wrapped_configILNS1_25lookback_scan_determinismE0ES3_S9_NS6_6detail15normal_iteratorINS6_10device_ptrIfEEEESG_SG_SG_PmS8_22is_equal_div_10_reduceIfEEE10hipError_tPvRmT2_T3_mT4_T5_T6_T7_T8_P12ihipStream_tbENKUlT_T0_E_clISt17integral_constantIbLb0EES10_IbLb1EEEEDaSW_SX_EUlSW_E_NS1_11comp_targetILNS1_3genE10ELNS1_11target_archE1201ELNS1_3gpuE5ELNS1_3repE0EEENS1_30default_config_static_selectorELNS0_4arch9wavefront6targetE1EEEvT1_,comdat
.Lfunc_end232:
	.size	_ZN7rocprim17ROCPRIM_400000_NS6detail17trampoline_kernelINS0_14default_configENS1_29reduce_by_key_config_selectorIffN6thrust23THRUST_200600_302600_NS4plusIfEEEEZZNS1_33reduce_by_key_impl_wrapped_configILNS1_25lookback_scan_determinismE0ES3_S9_NS6_6detail15normal_iteratorINS6_10device_ptrIfEEEESG_SG_SG_PmS8_22is_equal_div_10_reduceIfEEE10hipError_tPvRmT2_T3_mT4_T5_T6_T7_T8_P12ihipStream_tbENKUlT_T0_E_clISt17integral_constantIbLb0EES10_IbLb1EEEEDaSW_SX_EUlSW_E_NS1_11comp_targetILNS1_3genE10ELNS1_11target_archE1201ELNS1_3gpuE5ELNS1_3repE0EEENS1_30default_config_static_selectorELNS0_4arch9wavefront6targetE1EEEvT1_, .Lfunc_end232-_ZN7rocprim17ROCPRIM_400000_NS6detail17trampoline_kernelINS0_14default_configENS1_29reduce_by_key_config_selectorIffN6thrust23THRUST_200600_302600_NS4plusIfEEEEZZNS1_33reduce_by_key_impl_wrapped_configILNS1_25lookback_scan_determinismE0ES3_S9_NS6_6detail15normal_iteratorINS6_10device_ptrIfEEEESG_SG_SG_PmS8_22is_equal_div_10_reduceIfEEE10hipError_tPvRmT2_T3_mT4_T5_T6_T7_T8_P12ihipStream_tbENKUlT_T0_E_clISt17integral_constantIbLb0EES10_IbLb1EEEEDaSW_SX_EUlSW_E_NS1_11comp_targetILNS1_3genE10ELNS1_11target_archE1201ELNS1_3gpuE5ELNS1_3repE0EEENS1_30default_config_static_selectorELNS0_4arch9wavefront6targetE1EEEvT1_
                                        ; -- End function
	.section	.AMDGPU.csdata,"",@progbits
; Kernel info:
; codeLenInByte = 0
; NumSgprs: 4
; NumVgprs: 0
; NumAgprs: 0
; TotalNumVgprs: 0
; ScratchSize: 0
; MemoryBound: 0
; FloatMode: 240
; IeeeMode: 1
; LDSByteSize: 0 bytes/workgroup (compile time only)
; SGPRBlocks: 0
; VGPRBlocks: 0
; NumSGPRsForWavesPerEU: 4
; NumVGPRsForWavesPerEU: 1
; AccumOffset: 4
; Occupancy: 8
; WaveLimiterHint : 0
; COMPUTE_PGM_RSRC2:SCRATCH_EN: 0
; COMPUTE_PGM_RSRC2:USER_SGPR: 6
; COMPUTE_PGM_RSRC2:TRAP_HANDLER: 0
; COMPUTE_PGM_RSRC2:TGID_X_EN: 1
; COMPUTE_PGM_RSRC2:TGID_Y_EN: 0
; COMPUTE_PGM_RSRC2:TGID_Z_EN: 0
; COMPUTE_PGM_RSRC2:TIDIG_COMP_CNT: 0
; COMPUTE_PGM_RSRC3_GFX90A:ACCUM_OFFSET: 0
; COMPUTE_PGM_RSRC3_GFX90A:TG_SPLIT: 0
	.section	.text._ZN7rocprim17ROCPRIM_400000_NS6detail17trampoline_kernelINS0_14default_configENS1_29reduce_by_key_config_selectorIffN6thrust23THRUST_200600_302600_NS4plusIfEEEEZZNS1_33reduce_by_key_impl_wrapped_configILNS1_25lookback_scan_determinismE0ES3_S9_NS6_6detail15normal_iteratorINS6_10device_ptrIfEEEESG_SG_SG_PmS8_22is_equal_div_10_reduceIfEEE10hipError_tPvRmT2_T3_mT4_T5_T6_T7_T8_P12ihipStream_tbENKUlT_T0_E_clISt17integral_constantIbLb0EES10_IbLb1EEEEDaSW_SX_EUlSW_E_NS1_11comp_targetILNS1_3genE10ELNS1_11target_archE1200ELNS1_3gpuE4ELNS1_3repE0EEENS1_30default_config_static_selectorELNS0_4arch9wavefront6targetE1EEEvT1_,"axG",@progbits,_ZN7rocprim17ROCPRIM_400000_NS6detail17trampoline_kernelINS0_14default_configENS1_29reduce_by_key_config_selectorIffN6thrust23THRUST_200600_302600_NS4plusIfEEEEZZNS1_33reduce_by_key_impl_wrapped_configILNS1_25lookback_scan_determinismE0ES3_S9_NS6_6detail15normal_iteratorINS6_10device_ptrIfEEEESG_SG_SG_PmS8_22is_equal_div_10_reduceIfEEE10hipError_tPvRmT2_T3_mT4_T5_T6_T7_T8_P12ihipStream_tbENKUlT_T0_E_clISt17integral_constantIbLb0EES10_IbLb1EEEEDaSW_SX_EUlSW_E_NS1_11comp_targetILNS1_3genE10ELNS1_11target_archE1200ELNS1_3gpuE4ELNS1_3repE0EEENS1_30default_config_static_selectorELNS0_4arch9wavefront6targetE1EEEvT1_,comdat
	.protected	_ZN7rocprim17ROCPRIM_400000_NS6detail17trampoline_kernelINS0_14default_configENS1_29reduce_by_key_config_selectorIffN6thrust23THRUST_200600_302600_NS4plusIfEEEEZZNS1_33reduce_by_key_impl_wrapped_configILNS1_25lookback_scan_determinismE0ES3_S9_NS6_6detail15normal_iteratorINS6_10device_ptrIfEEEESG_SG_SG_PmS8_22is_equal_div_10_reduceIfEEE10hipError_tPvRmT2_T3_mT4_T5_T6_T7_T8_P12ihipStream_tbENKUlT_T0_E_clISt17integral_constantIbLb0EES10_IbLb1EEEEDaSW_SX_EUlSW_E_NS1_11comp_targetILNS1_3genE10ELNS1_11target_archE1200ELNS1_3gpuE4ELNS1_3repE0EEENS1_30default_config_static_selectorELNS0_4arch9wavefront6targetE1EEEvT1_ ; -- Begin function _ZN7rocprim17ROCPRIM_400000_NS6detail17trampoline_kernelINS0_14default_configENS1_29reduce_by_key_config_selectorIffN6thrust23THRUST_200600_302600_NS4plusIfEEEEZZNS1_33reduce_by_key_impl_wrapped_configILNS1_25lookback_scan_determinismE0ES3_S9_NS6_6detail15normal_iteratorINS6_10device_ptrIfEEEESG_SG_SG_PmS8_22is_equal_div_10_reduceIfEEE10hipError_tPvRmT2_T3_mT4_T5_T6_T7_T8_P12ihipStream_tbENKUlT_T0_E_clISt17integral_constantIbLb0EES10_IbLb1EEEEDaSW_SX_EUlSW_E_NS1_11comp_targetILNS1_3genE10ELNS1_11target_archE1200ELNS1_3gpuE4ELNS1_3repE0EEENS1_30default_config_static_selectorELNS0_4arch9wavefront6targetE1EEEvT1_
	.globl	_ZN7rocprim17ROCPRIM_400000_NS6detail17trampoline_kernelINS0_14default_configENS1_29reduce_by_key_config_selectorIffN6thrust23THRUST_200600_302600_NS4plusIfEEEEZZNS1_33reduce_by_key_impl_wrapped_configILNS1_25lookback_scan_determinismE0ES3_S9_NS6_6detail15normal_iteratorINS6_10device_ptrIfEEEESG_SG_SG_PmS8_22is_equal_div_10_reduceIfEEE10hipError_tPvRmT2_T3_mT4_T5_T6_T7_T8_P12ihipStream_tbENKUlT_T0_E_clISt17integral_constantIbLb0EES10_IbLb1EEEEDaSW_SX_EUlSW_E_NS1_11comp_targetILNS1_3genE10ELNS1_11target_archE1200ELNS1_3gpuE4ELNS1_3repE0EEENS1_30default_config_static_selectorELNS0_4arch9wavefront6targetE1EEEvT1_
	.p2align	8
	.type	_ZN7rocprim17ROCPRIM_400000_NS6detail17trampoline_kernelINS0_14default_configENS1_29reduce_by_key_config_selectorIffN6thrust23THRUST_200600_302600_NS4plusIfEEEEZZNS1_33reduce_by_key_impl_wrapped_configILNS1_25lookback_scan_determinismE0ES3_S9_NS6_6detail15normal_iteratorINS6_10device_ptrIfEEEESG_SG_SG_PmS8_22is_equal_div_10_reduceIfEEE10hipError_tPvRmT2_T3_mT4_T5_T6_T7_T8_P12ihipStream_tbENKUlT_T0_E_clISt17integral_constantIbLb0EES10_IbLb1EEEEDaSW_SX_EUlSW_E_NS1_11comp_targetILNS1_3genE10ELNS1_11target_archE1200ELNS1_3gpuE4ELNS1_3repE0EEENS1_30default_config_static_selectorELNS0_4arch9wavefront6targetE1EEEvT1_,@function
_ZN7rocprim17ROCPRIM_400000_NS6detail17trampoline_kernelINS0_14default_configENS1_29reduce_by_key_config_selectorIffN6thrust23THRUST_200600_302600_NS4plusIfEEEEZZNS1_33reduce_by_key_impl_wrapped_configILNS1_25lookback_scan_determinismE0ES3_S9_NS6_6detail15normal_iteratorINS6_10device_ptrIfEEEESG_SG_SG_PmS8_22is_equal_div_10_reduceIfEEE10hipError_tPvRmT2_T3_mT4_T5_T6_T7_T8_P12ihipStream_tbENKUlT_T0_E_clISt17integral_constantIbLb0EES10_IbLb1EEEEDaSW_SX_EUlSW_E_NS1_11comp_targetILNS1_3genE10ELNS1_11target_archE1200ELNS1_3gpuE4ELNS1_3repE0EEENS1_30default_config_static_selectorELNS0_4arch9wavefront6targetE1EEEvT1_: ; @_ZN7rocprim17ROCPRIM_400000_NS6detail17trampoline_kernelINS0_14default_configENS1_29reduce_by_key_config_selectorIffN6thrust23THRUST_200600_302600_NS4plusIfEEEEZZNS1_33reduce_by_key_impl_wrapped_configILNS1_25lookback_scan_determinismE0ES3_S9_NS6_6detail15normal_iteratorINS6_10device_ptrIfEEEESG_SG_SG_PmS8_22is_equal_div_10_reduceIfEEE10hipError_tPvRmT2_T3_mT4_T5_T6_T7_T8_P12ihipStream_tbENKUlT_T0_E_clISt17integral_constantIbLb0EES10_IbLb1EEEEDaSW_SX_EUlSW_E_NS1_11comp_targetILNS1_3genE10ELNS1_11target_archE1200ELNS1_3gpuE4ELNS1_3repE0EEENS1_30default_config_static_selectorELNS0_4arch9wavefront6targetE1EEEvT1_
; %bb.0:
	.section	.rodata,"a",@progbits
	.p2align	6, 0x0
	.amdhsa_kernel _ZN7rocprim17ROCPRIM_400000_NS6detail17trampoline_kernelINS0_14default_configENS1_29reduce_by_key_config_selectorIffN6thrust23THRUST_200600_302600_NS4plusIfEEEEZZNS1_33reduce_by_key_impl_wrapped_configILNS1_25lookback_scan_determinismE0ES3_S9_NS6_6detail15normal_iteratorINS6_10device_ptrIfEEEESG_SG_SG_PmS8_22is_equal_div_10_reduceIfEEE10hipError_tPvRmT2_T3_mT4_T5_T6_T7_T8_P12ihipStream_tbENKUlT_T0_E_clISt17integral_constantIbLb0EES10_IbLb1EEEEDaSW_SX_EUlSW_E_NS1_11comp_targetILNS1_3genE10ELNS1_11target_archE1200ELNS1_3gpuE4ELNS1_3repE0EEENS1_30default_config_static_selectorELNS0_4arch9wavefront6targetE1EEEvT1_
		.amdhsa_group_segment_fixed_size 0
		.amdhsa_private_segment_fixed_size 0
		.amdhsa_kernarg_size 120
		.amdhsa_user_sgpr_count 6
		.amdhsa_user_sgpr_private_segment_buffer 1
		.amdhsa_user_sgpr_dispatch_ptr 0
		.amdhsa_user_sgpr_queue_ptr 0
		.amdhsa_user_sgpr_kernarg_segment_ptr 1
		.amdhsa_user_sgpr_dispatch_id 0
		.amdhsa_user_sgpr_flat_scratch_init 0
		.amdhsa_user_sgpr_kernarg_preload_length 0
		.amdhsa_user_sgpr_kernarg_preload_offset 0
		.amdhsa_user_sgpr_private_segment_size 0
		.amdhsa_uses_dynamic_stack 0
		.amdhsa_system_sgpr_private_segment_wavefront_offset 0
		.amdhsa_system_sgpr_workgroup_id_x 1
		.amdhsa_system_sgpr_workgroup_id_y 0
		.amdhsa_system_sgpr_workgroup_id_z 0
		.amdhsa_system_sgpr_workgroup_info 0
		.amdhsa_system_vgpr_workitem_id 0
		.amdhsa_next_free_vgpr 1
		.amdhsa_next_free_sgpr 0
		.amdhsa_accum_offset 4
		.amdhsa_reserve_vcc 0
		.amdhsa_reserve_flat_scratch 0
		.amdhsa_float_round_mode_32 0
		.amdhsa_float_round_mode_16_64 0
		.amdhsa_float_denorm_mode_32 3
		.amdhsa_float_denorm_mode_16_64 3
		.amdhsa_dx10_clamp 1
		.amdhsa_ieee_mode 1
		.amdhsa_fp16_overflow 0
		.amdhsa_tg_split 0
		.amdhsa_exception_fp_ieee_invalid_op 0
		.amdhsa_exception_fp_denorm_src 0
		.amdhsa_exception_fp_ieee_div_zero 0
		.amdhsa_exception_fp_ieee_overflow 0
		.amdhsa_exception_fp_ieee_underflow 0
		.amdhsa_exception_fp_ieee_inexact 0
		.amdhsa_exception_int_div_zero 0
	.end_amdhsa_kernel
	.section	.text._ZN7rocprim17ROCPRIM_400000_NS6detail17trampoline_kernelINS0_14default_configENS1_29reduce_by_key_config_selectorIffN6thrust23THRUST_200600_302600_NS4plusIfEEEEZZNS1_33reduce_by_key_impl_wrapped_configILNS1_25lookback_scan_determinismE0ES3_S9_NS6_6detail15normal_iteratorINS6_10device_ptrIfEEEESG_SG_SG_PmS8_22is_equal_div_10_reduceIfEEE10hipError_tPvRmT2_T3_mT4_T5_T6_T7_T8_P12ihipStream_tbENKUlT_T0_E_clISt17integral_constantIbLb0EES10_IbLb1EEEEDaSW_SX_EUlSW_E_NS1_11comp_targetILNS1_3genE10ELNS1_11target_archE1200ELNS1_3gpuE4ELNS1_3repE0EEENS1_30default_config_static_selectorELNS0_4arch9wavefront6targetE1EEEvT1_,"axG",@progbits,_ZN7rocprim17ROCPRIM_400000_NS6detail17trampoline_kernelINS0_14default_configENS1_29reduce_by_key_config_selectorIffN6thrust23THRUST_200600_302600_NS4plusIfEEEEZZNS1_33reduce_by_key_impl_wrapped_configILNS1_25lookback_scan_determinismE0ES3_S9_NS6_6detail15normal_iteratorINS6_10device_ptrIfEEEESG_SG_SG_PmS8_22is_equal_div_10_reduceIfEEE10hipError_tPvRmT2_T3_mT4_T5_T6_T7_T8_P12ihipStream_tbENKUlT_T0_E_clISt17integral_constantIbLb0EES10_IbLb1EEEEDaSW_SX_EUlSW_E_NS1_11comp_targetILNS1_3genE10ELNS1_11target_archE1200ELNS1_3gpuE4ELNS1_3repE0EEENS1_30default_config_static_selectorELNS0_4arch9wavefront6targetE1EEEvT1_,comdat
.Lfunc_end233:
	.size	_ZN7rocprim17ROCPRIM_400000_NS6detail17trampoline_kernelINS0_14default_configENS1_29reduce_by_key_config_selectorIffN6thrust23THRUST_200600_302600_NS4plusIfEEEEZZNS1_33reduce_by_key_impl_wrapped_configILNS1_25lookback_scan_determinismE0ES3_S9_NS6_6detail15normal_iteratorINS6_10device_ptrIfEEEESG_SG_SG_PmS8_22is_equal_div_10_reduceIfEEE10hipError_tPvRmT2_T3_mT4_T5_T6_T7_T8_P12ihipStream_tbENKUlT_T0_E_clISt17integral_constantIbLb0EES10_IbLb1EEEEDaSW_SX_EUlSW_E_NS1_11comp_targetILNS1_3genE10ELNS1_11target_archE1200ELNS1_3gpuE4ELNS1_3repE0EEENS1_30default_config_static_selectorELNS0_4arch9wavefront6targetE1EEEvT1_, .Lfunc_end233-_ZN7rocprim17ROCPRIM_400000_NS6detail17trampoline_kernelINS0_14default_configENS1_29reduce_by_key_config_selectorIffN6thrust23THRUST_200600_302600_NS4plusIfEEEEZZNS1_33reduce_by_key_impl_wrapped_configILNS1_25lookback_scan_determinismE0ES3_S9_NS6_6detail15normal_iteratorINS6_10device_ptrIfEEEESG_SG_SG_PmS8_22is_equal_div_10_reduceIfEEE10hipError_tPvRmT2_T3_mT4_T5_T6_T7_T8_P12ihipStream_tbENKUlT_T0_E_clISt17integral_constantIbLb0EES10_IbLb1EEEEDaSW_SX_EUlSW_E_NS1_11comp_targetILNS1_3genE10ELNS1_11target_archE1200ELNS1_3gpuE4ELNS1_3repE0EEENS1_30default_config_static_selectorELNS0_4arch9wavefront6targetE1EEEvT1_
                                        ; -- End function
	.section	.AMDGPU.csdata,"",@progbits
; Kernel info:
; codeLenInByte = 0
; NumSgprs: 4
; NumVgprs: 0
; NumAgprs: 0
; TotalNumVgprs: 0
; ScratchSize: 0
; MemoryBound: 0
; FloatMode: 240
; IeeeMode: 1
; LDSByteSize: 0 bytes/workgroup (compile time only)
; SGPRBlocks: 0
; VGPRBlocks: 0
; NumSGPRsForWavesPerEU: 4
; NumVGPRsForWavesPerEU: 1
; AccumOffset: 4
; Occupancy: 8
; WaveLimiterHint : 0
; COMPUTE_PGM_RSRC2:SCRATCH_EN: 0
; COMPUTE_PGM_RSRC2:USER_SGPR: 6
; COMPUTE_PGM_RSRC2:TRAP_HANDLER: 0
; COMPUTE_PGM_RSRC2:TGID_X_EN: 1
; COMPUTE_PGM_RSRC2:TGID_Y_EN: 0
; COMPUTE_PGM_RSRC2:TGID_Z_EN: 0
; COMPUTE_PGM_RSRC2:TIDIG_COMP_CNT: 0
; COMPUTE_PGM_RSRC3_GFX90A:ACCUM_OFFSET: 0
; COMPUTE_PGM_RSRC3_GFX90A:TG_SPLIT: 0
	.section	.text._ZN7rocprim17ROCPRIM_400000_NS6detail17trampoline_kernelINS0_14default_configENS1_29reduce_by_key_config_selectorIffN6thrust23THRUST_200600_302600_NS4plusIfEEEEZZNS1_33reduce_by_key_impl_wrapped_configILNS1_25lookback_scan_determinismE0ES3_S9_NS6_6detail15normal_iteratorINS6_10device_ptrIfEEEESG_SG_SG_PmS8_22is_equal_div_10_reduceIfEEE10hipError_tPvRmT2_T3_mT4_T5_T6_T7_T8_P12ihipStream_tbENKUlT_T0_E_clISt17integral_constantIbLb0EES10_IbLb1EEEEDaSW_SX_EUlSW_E_NS1_11comp_targetILNS1_3genE9ELNS1_11target_archE1100ELNS1_3gpuE3ELNS1_3repE0EEENS1_30default_config_static_selectorELNS0_4arch9wavefront6targetE1EEEvT1_,"axG",@progbits,_ZN7rocprim17ROCPRIM_400000_NS6detail17trampoline_kernelINS0_14default_configENS1_29reduce_by_key_config_selectorIffN6thrust23THRUST_200600_302600_NS4plusIfEEEEZZNS1_33reduce_by_key_impl_wrapped_configILNS1_25lookback_scan_determinismE0ES3_S9_NS6_6detail15normal_iteratorINS6_10device_ptrIfEEEESG_SG_SG_PmS8_22is_equal_div_10_reduceIfEEE10hipError_tPvRmT2_T3_mT4_T5_T6_T7_T8_P12ihipStream_tbENKUlT_T0_E_clISt17integral_constantIbLb0EES10_IbLb1EEEEDaSW_SX_EUlSW_E_NS1_11comp_targetILNS1_3genE9ELNS1_11target_archE1100ELNS1_3gpuE3ELNS1_3repE0EEENS1_30default_config_static_selectorELNS0_4arch9wavefront6targetE1EEEvT1_,comdat
	.protected	_ZN7rocprim17ROCPRIM_400000_NS6detail17trampoline_kernelINS0_14default_configENS1_29reduce_by_key_config_selectorIffN6thrust23THRUST_200600_302600_NS4plusIfEEEEZZNS1_33reduce_by_key_impl_wrapped_configILNS1_25lookback_scan_determinismE0ES3_S9_NS6_6detail15normal_iteratorINS6_10device_ptrIfEEEESG_SG_SG_PmS8_22is_equal_div_10_reduceIfEEE10hipError_tPvRmT2_T3_mT4_T5_T6_T7_T8_P12ihipStream_tbENKUlT_T0_E_clISt17integral_constantIbLb0EES10_IbLb1EEEEDaSW_SX_EUlSW_E_NS1_11comp_targetILNS1_3genE9ELNS1_11target_archE1100ELNS1_3gpuE3ELNS1_3repE0EEENS1_30default_config_static_selectorELNS0_4arch9wavefront6targetE1EEEvT1_ ; -- Begin function _ZN7rocprim17ROCPRIM_400000_NS6detail17trampoline_kernelINS0_14default_configENS1_29reduce_by_key_config_selectorIffN6thrust23THRUST_200600_302600_NS4plusIfEEEEZZNS1_33reduce_by_key_impl_wrapped_configILNS1_25lookback_scan_determinismE0ES3_S9_NS6_6detail15normal_iteratorINS6_10device_ptrIfEEEESG_SG_SG_PmS8_22is_equal_div_10_reduceIfEEE10hipError_tPvRmT2_T3_mT4_T5_T6_T7_T8_P12ihipStream_tbENKUlT_T0_E_clISt17integral_constantIbLb0EES10_IbLb1EEEEDaSW_SX_EUlSW_E_NS1_11comp_targetILNS1_3genE9ELNS1_11target_archE1100ELNS1_3gpuE3ELNS1_3repE0EEENS1_30default_config_static_selectorELNS0_4arch9wavefront6targetE1EEEvT1_
	.globl	_ZN7rocprim17ROCPRIM_400000_NS6detail17trampoline_kernelINS0_14default_configENS1_29reduce_by_key_config_selectorIffN6thrust23THRUST_200600_302600_NS4plusIfEEEEZZNS1_33reduce_by_key_impl_wrapped_configILNS1_25lookback_scan_determinismE0ES3_S9_NS6_6detail15normal_iteratorINS6_10device_ptrIfEEEESG_SG_SG_PmS8_22is_equal_div_10_reduceIfEEE10hipError_tPvRmT2_T3_mT4_T5_T6_T7_T8_P12ihipStream_tbENKUlT_T0_E_clISt17integral_constantIbLb0EES10_IbLb1EEEEDaSW_SX_EUlSW_E_NS1_11comp_targetILNS1_3genE9ELNS1_11target_archE1100ELNS1_3gpuE3ELNS1_3repE0EEENS1_30default_config_static_selectorELNS0_4arch9wavefront6targetE1EEEvT1_
	.p2align	8
	.type	_ZN7rocprim17ROCPRIM_400000_NS6detail17trampoline_kernelINS0_14default_configENS1_29reduce_by_key_config_selectorIffN6thrust23THRUST_200600_302600_NS4plusIfEEEEZZNS1_33reduce_by_key_impl_wrapped_configILNS1_25lookback_scan_determinismE0ES3_S9_NS6_6detail15normal_iteratorINS6_10device_ptrIfEEEESG_SG_SG_PmS8_22is_equal_div_10_reduceIfEEE10hipError_tPvRmT2_T3_mT4_T5_T6_T7_T8_P12ihipStream_tbENKUlT_T0_E_clISt17integral_constantIbLb0EES10_IbLb1EEEEDaSW_SX_EUlSW_E_NS1_11comp_targetILNS1_3genE9ELNS1_11target_archE1100ELNS1_3gpuE3ELNS1_3repE0EEENS1_30default_config_static_selectorELNS0_4arch9wavefront6targetE1EEEvT1_,@function
_ZN7rocprim17ROCPRIM_400000_NS6detail17trampoline_kernelINS0_14default_configENS1_29reduce_by_key_config_selectorIffN6thrust23THRUST_200600_302600_NS4plusIfEEEEZZNS1_33reduce_by_key_impl_wrapped_configILNS1_25lookback_scan_determinismE0ES3_S9_NS6_6detail15normal_iteratorINS6_10device_ptrIfEEEESG_SG_SG_PmS8_22is_equal_div_10_reduceIfEEE10hipError_tPvRmT2_T3_mT4_T5_T6_T7_T8_P12ihipStream_tbENKUlT_T0_E_clISt17integral_constantIbLb0EES10_IbLb1EEEEDaSW_SX_EUlSW_E_NS1_11comp_targetILNS1_3genE9ELNS1_11target_archE1100ELNS1_3gpuE3ELNS1_3repE0EEENS1_30default_config_static_selectorELNS0_4arch9wavefront6targetE1EEEvT1_: ; @_ZN7rocprim17ROCPRIM_400000_NS6detail17trampoline_kernelINS0_14default_configENS1_29reduce_by_key_config_selectorIffN6thrust23THRUST_200600_302600_NS4plusIfEEEEZZNS1_33reduce_by_key_impl_wrapped_configILNS1_25lookback_scan_determinismE0ES3_S9_NS6_6detail15normal_iteratorINS6_10device_ptrIfEEEESG_SG_SG_PmS8_22is_equal_div_10_reduceIfEEE10hipError_tPvRmT2_T3_mT4_T5_T6_T7_T8_P12ihipStream_tbENKUlT_T0_E_clISt17integral_constantIbLb0EES10_IbLb1EEEEDaSW_SX_EUlSW_E_NS1_11comp_targetILNS1_3genE9ELNS1_11target_archE1100ELNS1_3gpuE3ELNS1_3repE0EEENS1_30default_config_static_selectorELNS0_4arch9wavefront6targetE1EEEvT1_
; %bb.0:
	.section	.rodata,"a",@progbits
	.p2align	6, 0x0
	.amdhsa_kernel _ZN7rocprim17ROCPRIM_400000_NS6detail17trampoline_kernelINS0_14default_configENS1_29reduce_by_key_config_selectorIffN6thrust23THRUST_200600_302600_NS4plusIfEEEEZZNS1_33reduce_by_key_impl_wrapped_configILNS1_25lookback_scan_determinismE0ES3_S9_NS6_6detail15normal_iteratorINS6_10device_ptrIfEEEESG_SG_SG_PmS8_22is_equal_div_10_reduceIfEEE10hipError_tPvRmT2_T3_mT4_T5_T6_T7_T8_P12ihipStream_tbENKUlT_T0_E_clISt17integral_constantIbLb0EES10_IbLb1EEEEDaSW_SX_EUlSW_E_NS1_11comp_targetILNS1_3genE9ELNS1_11target_archE1100ELNS1_3gpuE3ELNS1_3repE0EEENS1_30default_config_static_selectorELNS0_4arch9wavefront6targetE1EEEvT1_
		.amdhsa_group_segment_fixed_size 0
		.amdhsa_private_segment_fixed_size 0
		.amdhsa_kernarg_size 120
		.amdhsa_user_sgpr_count 6
		.amdhsa_user_sgpr_private_segment_buffer 1
		.amdhsa_user_sgpr_dispatch_ptr 0
		.amdhsa_user_sgpr_queue_ptr 0
		.amdhsa_user_sgpr_kernarg_segment_ptr 1
		.amdhsa_user_sgpr_dispatch_id 0
		.amdhsa_user_sgpr_flat_scratch_init 0
		.amdhsa_user_sgpr_kernarg_preload_length 0
		.amdhsa_user_sgpr_kernarg_preload_offset 0
		.amdhsa_user_sgpr_private_segment_size 0
		.amdhsa_uses_dynamic_stack 0
		.amdhsa_system_sgpr_private_segment_wavefront_offset 0
		.amdhsa_system_sgpr_workgroup_id_x 1
		.amdhsa_system_sgpr_workgroup_id_y 0
		.amdhsa_system_sgpr_workgroup_id_z 0
		.amdhsa_system_sgpr_workgroup_info 0
		.amdhsa_system_vgpr_workitem_id 0
		.amdhsa_next_free_vgpr 1
		.amdhsa_next_free_sgpr 0
		.amdhsa_accum_offset 4
		.amdhsa_reserve_vcc 0
		.amdhsa_reserve_flat_scratch 0
		.amdhsa_float_round_mode_32 0
		.amdhsa_float_round_mode_16_64 0
		.amdhsa_float_denorm_mode_32 3
		.amdhsa_float_denorm_mode_16_64 3
		.amdhsa_dx10_clamp 1
		.amdhsa_ieee_mode 1
		.amdhsa_fp16_overflow 0
		.amdhsa_tg_split 0
		.amdhsa_exception_fp_ieee_invalid_op 0
		.amdhsa_exception_fp_denorm_src 0
		.amdhsa_exception_fp_ieee_div_zero 0
		.amdhsa_exception_fp_ieee_overflow 0
		.amdhsa_exception_fp_ieee_underflow 0
		.amdhsa_exception_fp_ieee_inexact 0
		.amdhsa_exception_int_div_zero 0
	.end_amdhsa_kernel
	.section	.text._ZN7rocprim17ROCPRIM_400000_NS6detail17trampoline_kernelINS0_14default_configENS1_29reduce_by_key_config_selectorIffN6thrust23THRUST_200600_302600_NS4plusIfEEEEZZNS1_33reduce_by_key_impl_wrapped_configILNS1_25lookback_scan_determinismE0ES3_S9_NS6_6detail15normal_iteratorINS6_10device_ptrIfEEEESG_SG_SG_PmS8_22is_equal_div_10_reduceIfEEE10hipError_tPvRmT2_T3_mT4_T5_T6_T7_T8_P12ihipStream_tbENKUlT_T0_E_clISt17integral_constantIbLb0EES10_IbLb1EEEEDaSW_SX_EUlSW_E_NS1_11comp_targetILNS1_3genE9ELNS1_11target_archE1100ELNS1_3gpuE3ELNS1_3repE0EEENS1_30default_config_static_selectorELNS0_4arch9wavefront6targetE1EEEvT1_,"axG",@progbits,_ZN7rocprim17ROCPRIM_400000_NS6detail17trampoline_kernelINS0_14default_configENS1_29reduce_by_key_config_selectorIffN6thrust23THRUST_200600_302600_NS4plusIfEEEEZZNS1_33reduce_by_key_impl_wrapped_configILNS1_25lookback_scan_determinismE0ES3_S9_NS6_6detail15normal_iteratorINS6_10device_ptrIfEEEESG_SG_SG_PmS8_22is_equal_div_10_reduceIfEEE10hipError_tPvRmT2_T3_mT4_T5_T6_T7_T8_P12ihipStream_tbENKUlT_T0_E_clISt17integral_constantIbLb0EES10_IbLb1EEEEDaSW_SX_EUlSW_E_NS1_11comp_targetILNS1_3genE9ELNS1_11target_archE1100ELNS1_3gpuE3ELNS1_3repE0EEENS1_30default_config_static_selectorELNS0_4arch9wavefront6targetE1EEEvT1_,comdat
.Lfunc_end234:
	.size	_ZN7rocprim17ROCPRIM_400000_NS6detail17trampoline_kernelINS0_14default_configENS1_29reduce_by_key_config_selectorIffN6thrust23THRUST_200600_302600_NS4plusIfEEEEZZNS1_33reduce_by_key_impl_wrapped_configILNS1_25lookback_scan_determinismE0ES3_S9_NS6_6detail15normal_iteratorINS6_10device_ptrIfEEEESG_SG_SG_PmS8_22is_equal_div_10_reduceIfEEE10hipError_tPvRmT2_T3_mT4_T5_T6_T7_T8_P12ihipStream_tbENKUlT_T0_E_clISt17integral_constantIbLb0EES10_IbLb1EEEEDaSW_SX_EUlSW_E_NS1_11comp_targetILNS1_3genE9ELNS1_11target_archE1100ELNS1_3gpuE3ELNS1_3repE0EEENS1_30default_config_static_selectorELNS0_4arch9wavefront6targetE1EEEvT1_, .Lfunc_end234-_ZN7rocprim17ROCPRIM_400000_NS6detail17trampoline_kernelINS0_14default_configENS1_29reduce_by_key_config_selectorIffN6thrust23THRUST_200600_302600_NS4plusIfEEEEZZNS1_33reduce_by_key_impl_wrapped_configILNS1_25lookback_scan_determinismE0ES3_S9_NS6_6detail15normal_iteratorINS6_10device_ptrIfEEEESG_SG_SG_PmS8_22is_equal_div_10_reduceIfEEE10hipError_tPvRmT2_T3_mT4_T5_T6_T7_T8_P12ihipStream_tbENKUlT_T0_E_clISt17integral_constantIbLb0EES10_IbLb1EEEEDaSW_SX_EUlSW_E_NS1_11comp_targetILNS1_3genE9ELNS1_11target_archE1100ELNS1_3gpuE3ELNS1_3repE0EEENS1_30default_config_static_selectorELNS0_4arch9wavefront6targetE1EEEvT1_
                                        ; -- End function
	.section	.AMDGPU.csdata,"",@progbits
; Kernel info:
; codeLenInByte = 0
; NumSgprs: 4
; NumVgprs: 0
; NumAgprs: 0
; TotalNumVgprs: 0
; ScratchSize: 0
; MemoryBound: 0
; FloatMode: 240
; IeeeMode: 1
; LDSByteSize: 0 bytes/workgroup (compile time only)
; SGPRBlocks: 0
; VGPRBlocks: 0
; NumSGPRsForWavesPerEU: 4
; NumVGPRsForWavesPerEU: 1
; AccumOffset: 4
; Occupancy: 8
; WaveLimiterHint : 0
; COMPUTE_PGM_RSRC2:SCRATCH_EN: 0
; COMPUTE_PGM_RSRC2:USER_SGPR: 6
; COMPUTE_PGM_RSRC2:TRAP_HANDLER: 0
; COMPUTE_PGM_RSRC2:TGID_X_EN: 1
; COMPUTE_PGM_RSRC2:TGID_Y_EN: 0
; COMPUTE_PGM_RSRC2:TGID_Z_EN: 0
; COMPUTE_PGM_RSRC2:TIDIG_COMP_CNT: 0
; COMPUTE_PGM_RSRC3_GFX90A:ACCUM_OFFSET: 0
; COMPUTE_PGM_RSRC3_GFX90A:TG_SPLIT: 0
	.section	.text._ZN7rocprim17ROCPRIM_400000_NS6detail17trampoline_kernelINS0_14default_configENS1_29reduce_by_key_config_selectorIffN6thrust23THRUST_200600_302600_NS4plusIfEEEEZZNS1_33reduce_by_key_impl_wrapped_configILNS1_25lookback_scan_determinismE0ES3_S9_NS6_6detail15normal_iteratorINS6_10device_ptrIfEEEESG_SG_SG_PmS8_22is_equal_div_10_reduceIfEEE10hipError_tPvRmT2_T3_mT4_T5_T6_T7_T8_P12ihipStream_tbENKUlT_T0_E_clISt17integral_constantIbLb0EES10_IbLb1EEEEDaSW_SX_EUlSW_E_NS1_11comp_targetILNS1_3genE8ELNS1_11target_archE1030ELNS1_3gpuE2ELNS1_3repE0EEENS1_30default_config_static_selectorELNS0_4arch9wavefront6targetE1EEEvT1_,"axG",@progbits,_ZN7rocprim17ROCPRIM_400000_NS6detail17trampoline_kernelINS0_14default_configENS1_29reduce_by_key_config_selectorIffN6thrust23THRUST_200600_302600_NS4plusIfEEEEZZNS1_33reduce_by_key_impl_wrapped_configILNS1_25lookback_scan_determinismE0ES3_S9_NS6_6detail15normal_iteratorINS6_10device_ptrIfEEEESG_SG_SG_PmS8_22is_equal_div_10_reduceIfEEE10hipError_tPvRmT2_T3_mT4_T5_T6_T7_T8_P12ihipStream_tbENKUlT_T0_E_clISt17integral_constantIbLb0EES10_IbLb1EEEEDaSW_SX_EUlSW_E_NS1_11comp_targetILNS1_3genE8ELNS1_11target_archE1030ELNS1_3gpuE2ELNS1_3repE0EEENS1_30default_config_static_selectorELNS0_4arch9wavefront6targetE1EEEvT1_,comdat
	.protected	_ZN7rocprim17ROCPRIM_400000_NS6detail17trampoline_kernelINS0_14default_configENS1_29reduce_by_key_config_selectorIffN6thrust23THRUST_200600_302600_NS4plusIfEEEEZZNS1_33reduce_by_key_impl_wrapped_configILNS1_25lookback_scan_determinismE0ES3_S9_NS6_6detail15normal_iteratorINS6_10device_ptrIfEEEESG_SG_SG_PmS8_22is_equal_div_10_reduceIfEEE10hipError_tPvRmT2_T3_mT4_T5_T6_T7_T8_P12ihipStream_tbENKUlT_T0_E_clISt17integral_constantIbLb0EES10_IbLb1EEEEDaSW_SX_EUlSW_E_NS1_11comp_targetILNS1_3genE8ELNS1_11target_archE1030ELNS1_3gpuE2ELNS1_3repE0EEENS1_30default_config_static_selectorELNS0_4arch9wavefront6targetE1EEEvT1_ ; -- Begin function _ZN7rocprim17ROCPRIM_400000_NS6detail17trampoline_kernelINS0_14default_configENS1_29reduce_by_key_config_selectorIffN6thrust23THRUST_200600_302600_NS4plusIfEEEEZZNS1_33reduce_by_key_impl_wrapped_configILNS1_25lookback_scan_determinismE0ES3_S9_NS6_6detail15normal_iteratorINS6_10device_ptrIfEEEESG_SG_SG_PmS8_22is_equal_div_10_reduceIfEEE10hipError_tPvRmT2_T3_mT4_T5_T6_T7_T8_P12ihipStream_tbENKUlT_T0_E_clISt17integral_constantIbLb0EES10_IbLb1EEEEDaSW_SX_EUlSW_E_NS1_11comp_targetILNS1_3genE8ELNS1_11target_archE1030ELNS1_3gpuE2ELNS1_3repE0EEENS1_30default_config_static_selectorELNS0_4arch9wavefront6targetE1EEEvT1_
	.globl	_ZN7rocprim17ROCPRIM_400000_NS6detail17trampoline_kernelINS0_14default_configENS1_29reduce_by_key_config_selectorIffN6thrust23THRUST_200600_302600_NS4plusIfEEEEZZNS1_33reduce_by_key_impl_wrapped_configILNS1_25lookback_scan_determinismE0ES3_S9_NS6_6detail15normal_iteratorINS6_10device_ptrIfEEEESG_SG_SG_PmS8_22is_equal_div_10_reduceIfEEE10hipError_tPvRmT2_T3_mT4_T5_T6_T7_T8_P12ihipStream_tbENKUlT_T0_E_clISt17integral_constantIbLb0EES10_IbLb1EEEEDaSW_SX_EUlSW_E_NS1_11comp_targetILNS1_3genE8ELNS1_11target_archE1030ELNS1_3gpuE2ELNS1_3repE0EEENS1_30default_config_static_selectorELNS0_4arch9wavefront6targetE1EEEvT1_
	.p2align	8
	.type	_ZN7rocprim17ROCPRIM_400000_NS6detail17trampoline_kernelINS0_14default_configENS1_29reduce_by_key_config_selectorIffN6thrust23THRUST_200600_302600_NS4plusIfEEEEZZNS1_33reduce_by_key_impl_wrapped_configILNS1_25lookback_scan_determinismE0ES3_S9_NS6_6detail15normal_iteratorINS6_10device_ptrIfEEEESG_SG_SG_PmS8_22is_equal_div_10_reduceIfEEE10hipError_tPvRmT2_T3_mT4_T5_T6_T7_T8_P12ihipStream_tbENKUlT_T0_E_clISt17integral_constantIbLb0EES10_IbLb1EEEEDaSW_SX_EUlSW_E_NS1_11comp_targetILNS1_3genE8ELNS1_11target_archE1030ELNS1_3gpuE2ELNS1_3repE0EEENS1_30default_config_static_selectorELNS0_4arch9wavefront6targetE1EEEvT1_,@function
_ZN7rocprim17ROCPRIM_400000_NS6detail17trampoline_kernelINS0_14default_configENS1_29reduce_by_key_config_selectorIffN6thrust23THRUST_200600_302600_NS4plusIfEEEEZZNS1_33reduce_by_key_impl_wrapped_configILNS1_25lookback_scan_determinismE0ES3_S9_NS6_6detail15normal_iteratorINS6_10device_ptrIfEEEESG_SG_SG_PmS8_22is_equal_div_10_reduceIfEEE10hipError_tPvRmT2_T3_mT4_T5_T6_T7_T8_P12ihipStream_tbENKUlT_T0_E_clISt17integral_constantIbLb0EES10_IbLb1EEEEDaSW_SX_EUlSW_E_NS1_11comp_targetILNS1_3genE8ELNS1_11target_archE1030ELNS1_3gpuE2ELNS1_3repE0EEENS1_30default_config_static_selectorELNS0_4arch9wavefront6targetE1EEEvT1_: ; @_ZN7rocprim17ROCPRIM_400000_NS6detail17trampoline_kernelINS0_14default_configENS1_29reduce_by_key_config_selectorIffN6thrust23THRUST_200600_302600_NS4plusIfEEEEZZNS1_33reduce_by_key_impl_wrapped_configILNS1_25lookback_scan_determinismE0ES3_S9_NS6_6detail15normal_iteratorINS6_10device_ptrIfEEEESG_SG_SG_PmS8_22is_equal_div_10_reduceIfEEE10hipError_tPvRmT2_T3_mT4_T5_T6_T7_T8_P12ihipStream_tbENKUlT_T0_E_clISt17integral_constantIbLb0EES10_IbLb1EEEEDaSW_SX_EUlSW_E_NS1_11comp_targetILNS1_3genE8ELNS1_11target_archE1030ELNS1_3gpuE2ELNS1_3repE0EEENS1_30default_config_static_selectorELNS0_4arch9wavefront6targetE1EEEvT1_
; %bb.0:
	.section	.rodata,"a",@progbits
	.p2align	6, 0x0
	.amdhsa_kernel _ZN7rocprim17ROCPRIM_400000_NS6detail17trampoline_kernelINS0_14default_configENS1_29reduce_by_key_config_selectorIffN6thrust23THRUST_200600_302600_NS4plusIfEEEEZZNS1_33reduce_by_key_impl_wrapped_configILNS1_25lookback_scan_determinismE0ES3_S9_NS6_6detail15normal_iteratorINS6_10device_ptrIfEEEESG_SG_SG_PmS8_22is_equal_div_10_reduceIfEEE10hipError_tPvRmT2_T3_mT4_T5_T6_T7_T8_P12ihipStream_tbENKUlT_T0_E_clISt17integral_constantIbLb0EES10_IbLb1EEEEDaSW_SX_EUlSW_E_NS1_11comp_targetILNS1_3genE8ELNS1_11target_archE1030ELNS1_3gpuE2ELNS1_3repE0EEENS1_30default_config_static_selectorELNS0_4arch9wavefront6targetE1EEEvT1_
		.amdhsa_group_segment_fixed_size 0
		.amdhsa_private_segment_fixed_size 0
		.amdhsa_kernarg_size 120
		.amdhsa_user_sgpr_count 6
		.amdhsa_user_sgpr_private_segment_buffer 1
		.amdhsa_user_sgpr_dispatch_ptr 0
		.amdhsa_user_sgpr_queue_ptr 0
		.amdhsa_user_sgpr_kernarg_segment_ptr 1
		.amdhsa_user_sgpr_dispatch_id 0
		.amdhsa_user_sgpr_flat_scratch_init 0
		.amdhsa_user_sgpr_kernarg_preload_length 0
		.amdhsa_user_sgpr_kernarg_preload_offset 0
		.amdhsa_user_sgpr_private_segment_size 0
		.amdhsa_uses_dynamic_stack 0
		.amdhsa_system_sgpr_private_segment_wavefront_offset 0
		.amdhsa_system_sgpr_workgroup_id_x 1
		.amdhsa_system_sgpr_workgroup_id_y 0
		.amdhsa_system_sgpr_workgroup_id_z 0
		.amdhsa_system_sgpr_workgroup_info 0
		.amdhsa_system_vgpr_workitem_id 0
		.amdhsa_next_free_vgpr 1
		.amdhsa_next_free_sgpr 0
		.amdhsa_accum_offset 4
		.amdhsa_reserve_vcc 0
		.amdhsa_reserve_flat_scratch 0
		.amdhsa_float_round_mode_32 0
		.amdhsa_float_round_mode_16_64 0
		.amdhsa_float_denorm_mode_32 3
		.amdhsa_float_denorm_mode_16_64 3
		.amdhsa_dx10_clamp 1
		.amdhsa_ieee_mode 1
		.amdhsa_fp16_overflow 0
		.amdhsa_tg_split 0
		.amdhsa_exception_fp_ieee_invalid_op 0
		.amdhsa_exception_fp_denorm_src 0
		.amdhsa_exception_fp_ieee_div_zero 0
		.amdhsa_exception_fp_ieee_overflow 0
		.amdhsa_exception_fp_ieee_underflow 0
		.amdhsa_exception_fp_ieee_inexact 0
		.amdhsa_exception_int_div_zero 0
	.end_amdhsa_kernel
	.section	.text._ZN7rocprim17ROCPRIM_400000_NS6detail17trampoline_kernelINS0_14default_configENS1_29reduce_by_key_config_selectorIffN6thrust23THRUST_200600_302600_NS4plusIfEEEEZZNS1_33reduce_by_key_impl_wrapped_configILNS1_25lookback_scan_determinismE0ES3_S9_NS6_6detail15normal_iteratorINS6_10device_ptrIfEEEESG_SG_SG_PmS8_22is_equal_div_10_reduceIfEEE10hipError_tPvRmT2_T3_mT4_T5_T6_T7_T8_P12ihipStream_tbENKUlT_T0_E_clISt17integral_constantIbLb0EES10_IbLb1EEEEDaSW_SX_EUlSW_E_NS1_11comp_targetILNS1_3genE8ELNS1_11target_archE1030ELNS1_3gpuE2ELNS1_3repE0EEENS1_30default_config_static_selectorELNS0_4arch9wavefront6targetE1EEEvT1_,"axG",@progbits,_ZN7rocprim17ROCPRIM_400000_NS6detail17trampoline_kernelINS0_14default_configENS1_29reduce_by_key_config_selectorIffN6thrust23THRUST_200600_302600_NS4plusIfEEEEZZNS1_33reduce_by_key_impl_wrapped_configILNS1_25lookback_scan_determinismE0ES3_S9_NS6_6detail15normal_iteratorINS6_10device_ptrIfEEEESG_SG_SG_PmS8_22is_equal_div_10_reduceIfEEE10hipError_tPvRmT2_T3_mT4_T5_T6_T7_T8_P12ihipStream_tbENKUlT_T0_E_clISt17integral_constantIbLb0EES10_IbLb1EEEEDaSW_SX_EUlSW_E_NS1_11comp_targetILNS1_3genE8ELNS1_11target_archE1030ELNS1_3gpuE2ELNS1_3repE0EEENS1_30default_config_static_selectorELNS0_4arch9wavefront6targetE1EEEvT1_,comdat
.Lfunc_end235:
	.size	_ZN7rocprim17ROCPRIM_400000_NS6detail17trampoline_kernelINS0_14default_configENS1_29reduce_by_key_config_selectorIffN6thrust23THRUST_200600_302600_NS4plusIfEEEEZZNS1_33reduce_by_key_impl_wrapped_configILNS1_25lookback_scan_determinismE0ES3_S9_NS6_6detail15normal_iteratorINS6_10device_ptrIfEEEESG_SG_SG_PmS8_22is_equal_div_10_reduceIfEEE10hipError_tPvRmT2_T3_mT4_T5_T6_T7_T8_P12ihipStream_tbENKUlT_T0_E_clISt17integral_constantIbLb0EES10_IbLb1EEEEDaSW_SX_EUlSW_E_NS1_11comp_targetILNS1_3genE8ELNS1_11target_archE1030ELNS1_3gpuE2ELNS1_3repE0EEENS1_30default_config_static_selectorELNS0_4arch9wavefront6targetE1EEEvT1_, .Lfunc_end235-_ZN7rocprim17ROCPRIM_400000_NS6detail17trampoline_kernelINS0_14default_configENS1_29reduce_by_key_config_selectorIffN6thrust23THRUST_200600_302600_NS4plusIfEEEEZZNS1_33reduce_by_key_impl_wrapped_configILNS1_25lookback_scan_determinismE0ES3_S9_NS6_6detail15normal_iteratorINS6_10device_ptrIfEEEESG_SG_SG_PmS8_22is_equal_div_10_reduceIfEEE10hipError_tPvRmT2_T3_mT4_T5_T6_T7_T8_P12ihipStream_tbENKUlT_T0_E_clISt17integral_constantIbLb0EES10_IbLb1EEEEDaSW_SX_EUlSW_E_NS1_11comp_targetILNS1_3genE8ELNS1_11target_archE1030ELNS1_3gpuE2ELNS1_3repE0EEENS1_30default_config_static_selectorELNS0_4arch9wavefront6targetE1EEEvT1_
                                        ; -- End function
	.section	.AMDGPU.csdata,"",@progbits
; Kernel info:
; codeLenInByte = 0
; NumSgprs: 4
; NumVgprs: 0
; NumAgprs: 0
; TotalNumVgprs: 0
; ScratchSize: 0
; MemoryBound: 0
; FloatMode: 240
; IeeeMode: 1
; LDSByteSize: 0 bytes/workgroup (compile time only)
; SGPRBlocks: 0
; VGPRBlocks: 0
; NumSGPRsForWavesPerEU: 4
; NumVGPRsForWavesPerEU: 1
; AccumOffset: 4
; Occupancy: 8
; WaveLimiterHint : 0
; COMPUTE_PGM_RSRC2:SCRATCH_EN: 0
; COMPUTE_PGM_RSRC2:USER_SGPR: 6
; COMPUTE_PGM_RSRC2:TRAP_HANDLER: 0
; COMPUTE_PGM_RSRC2:TGID_X_EN: 1
; COMPUTE_PGM_RSRC2:TGID_Y_EN: 0
; COMPUTE_PGM_RSRC2:TGID_Z_EN: 0
; COMPUTE_PGM_RSRC2:TIDIG_COMP_CNT: 0
; COMPUTE_PGM_RSRC3_GFX90A:ACCUM_OFFSET: 0
; COMPUTE_PGM_RSRC3_GFX90A:TG_SPLIT: 0
	.section	.text._ZN6thrust23THRUST_200600_302600_NS11hip_rocprim14__parallel_for6kernelILj256ENS1_20__uninitialized_fill7functorINS0_10device_ptrIyEEyEEmLj1EEEvT0_T1_SA_,"axG",@progbits,_ZN6thrust23THRUST_200600_302600_NS11hip_rocprim14__parallel_for6kernelILj256ENS1_20__uninitialized_fill7functorINS0_10device_ptrIyEEyEEmLj1EEEvT0_T1_SA_,comdat
	.protected	_ZN6thrust23THRUST_200600_302600_NS11hip_rocprim14__parallel_for6kernelILj256ENS1_20__uninitialized_fill7functorINS0_10device_ptrIyEEyEEmLj1EEEvT0_T1_SA_ ; -- Begin function _ZN6thrust23THRUST_200600_302600_NS11hip_rocprim14__parallel_for6kernelILj256ENS1_20__uninitialized_fill7functorINS0_10device_ptrIyEEyEEmLj1EEEvT0_T1_SA_
	.globl	_ZN6thrust23THRUST_200600_302600_NS11hip_rocprim14__parallel_for6kernelILj256ENS1_20__uninitialized_fill7functorINS0_10device_ptrIyEEyEEmLj1EEEvT0_T1_SA_
	.p2align	8
	.type	_ZN6thrust23THRUST_200600_302600_NS11hip_rocprim14__parallel_for6kernelILj256ENS1_20__uninitialized_fill7functorINS0_10device_ptrIyEEyEEmLj1EEEvT0_T1_SA_,@function
_ZN6thrust23THRUST_200600_302600_NS11hip_rocprim14__parallel_for6kernelILj256ENS1_20__uninitialized_fill7functorINS0_10device_ptrIyEEyEEmLj1EEEvT0_T1_SA_: ; @_ZN6thrust23THRUST_200600_302600_NS11hip_rocprim14__parallel_for6kernelILj256ENS1_20__uninitialized_fill7functorINS0_10device_ptrIyEEyEEmLj1EEEvT0_T1_SA_
; %bb.0:
	s_load_dwordx8 s[8:15], s[4:5], 0x0
	s_lshl_b32 s0, s6, 8
	v_mov_b32_e32 v2, 0x100
	v_mov_b32_e32 v3, 0
	s_waitcnt lgkmcnt(0)
	s_add_u32 s0, s0, s14
	s_addc_u32 s1, 0, s15
	s_sub_u32 s2, s12, s0
	s_subb_u32 s3, s13, s1
	v_cmp_lt_u64_e32 vcc, s[2:3], v[2:3]
	s_cbranch_vccz .LBB236_2
; %bb.1:
	v_cmp_gt_u32_e32 vcc, s2, v0
	s_and_b64 s[2:3], vcc, exec
	s_cbranch_execz .LBB236_3
	s_branch .LBB236_4
.LBB236_2:
	s_mov_b64 s[2:3], 0
.LBB236_3:
	s_or_b64 s[2:3], s[2:3], exec
.LBB236_4:
	s_and_saveexec_b64 s[4:5], s[2:3]
	s_cbranch_execnz .LBB236_6
; %bb.5:
	s_endpgm
.LBB236_6:
	s_lshl_b64 s[0:1], s[0:1], 3
	v_mov_b32_e32 v1, 0
	s_add_u32 s0, s8, s0
	s_addc_u32 s1, s9, s1
	v_lshlrev_b64 v[0:1], 3, v[0:1]
	v_mov_b32_e32 v4, s1
	v_add_co_u32_e32 v0, vcc, s0, v0
	v_mov_b32_e32 v2, s10
	v_mov_b32_e32 v3, s11
	v_addc_co_u32_e32 v1, vcc, v4, v1, vcc
	flat_store_dwordx2 v[0:1], v[2:3]
	s_endpgm
	.section	.rodata,"a",@progbits
	.p2align	6, 0x0
	.amdhsa_kernel _ZN6thrust23THRUST_200600_302600_NS11hip_rocprim14__parallel_for6kernelILj256ENS1_20__uninitialized_fill7functorINS0_10device_ptrIyEEyEEmLj1EEEvT0_T1_SA_
		.amdhsa_group_segment_fixed_size 0
		.amdhsa_private_segment_fixed_size 0
		.amdhsa_kernarg_size 32
		.amdhsa_user_sgpr_count 6
		.amdhsa_user_sgpr_private_segment_buffer 1
		.amdhsa_user_sgpr_dispatch_ptr 0
		.amdhsa_user_sgpr_queue_ptr 0
		.amdhsa_user_sgpr_kernarg_segment_ptr 1
		.amdhsa_user_sgpr_dispatch_id 0
		.amdhsa_user_sgpr_flat_scratch_init 0
		.amdhsa_user_sgpr_kernarg_preload_length 0
		.amdhsa_user_sgpr_kernarg_preload_offset 0
		.amdhsa_user_sgpr_private_segment_size 0
		.amdhsa_uses_dynamic_stack 0
		.amdhsa_system_sgpr_private_segment_wavefront_offset 0
		.amdhsa_system_sgpr_workgroup_id_x 1
		.amdhsa_system_sgpr_workgroup_id_y 0
		.amdhsa_system_sgpr_workgroup_id_z 0
		.amdhsa_system_sgpr_workgroup_info 0
		.amdhsa_system_vgpr_workitem_id 0
		.amdhsa_next_free_vgpr 5
		.amdhsa_next_free_sgpr 16
		.amdhsa_accum_offset 8
		.amdhsa_reserve_vcc 1
		.amdhsa_reserve_flat_scratch 0
		.amdhsa_float_round_mode_32 0
		.amdhsa_float_round_mode_16_64 0
		.amdhsa_float_denorm_mode_32 3
		.amdhsa_float_denorm_mode_16_64 3
		.amdhsa_dx10_clamp 1
		.amdhsa_ieee_mode 1
		.amdhsa_fp16_overflow 0
		.amdhsa_tg_split 0
		.amdhsa_exception_fp_ieee_invalid_op 0
		.amdhsa_exception_fp_denorm_src 0
		.amdhsa_exception_fp_ieee_div_zero 0
		.amdhsa_exception_fp_ieee_overflow 0
		.amdhsa_exception_fp_ieee_underflow 0
		.amdhsa_exception_fp_ieee_inexact 0
		.amdhsa_exception_int_div_zero 0
	.end_amdhsa_kernel
	.section	.text._ZN6thrust23THRUST_200600_302600_NS11hip_rocprim14__parallel_for6kernelILj256ENS1_20__uninitialized_fill7functorINS0_10device_ptrIyEEyEEmLj1EEEvT0_T1_SA_,"axG",@progbits,_ZN6thrust23THRUST_200600_302600_NS11hip_rocprim14__parallel_for6kernelILj256ENS1_20__uninitialized_fill7functorINS0_10device_ptrIyEEyEEmLj1EEEvT0_T1_SA_,comdat
.Lfunc_end236:
	.size	_ZN6thrust23THRUST_200600_302600_NS11hip_rocprim14__parallel_for6kernelILj256ENS1_20__uninitialized_fill7functorINS0_10device_ptrIyEEyEEmLj1EEEvT0_T1_SA_, .Lfunc_end236-_ZN6thrust23THRUST_200600_302600_NS11hip_rocprim14__parallel_for6kernelILj256ENS1_20__uninitialized_fill7functorINS0_10device_ptrIyEEyEEmLj1EEEvT0_T1_SA_
                                        ; -- End function
	.section	.AMDGPU.csdata,"",@progbits
; Kernel info:
; codeLenInByte = 144
; NumSgprs: 20
; NumVgprs: 5
; NumAgprs: 0
; TotalNumVgprs: 5
; ScratchSize: 0
; MemoryBound: 0
; FloatMode: 240
; IeeeMode: 1
; LDSByteSize: 0 bytes/workgroup (compile time only)
; SGPRBlocks: 2
; VGPRBlocks: 0
; NumSGPRsForWavesPerEU: 20
; NumVGPRsForWavesPerEU: 5
; AccumOffset: 8
; Occupancy: 8
; WaveLimiterHint : 0
; COMPUTE_PGM_RSRC2:SCRATCH_EN: 0
; COMPUTE_PGM_RSRC2:USER_SGPR: 6
; COMPUTE_PGM_RSRC2:TRAP_HANDLER: 0
; COMPUTE_PGM_RSRC2:TGID_X_EN: 1
; COMPUTE_PGM_RSRC2:TGID_Y_EN: 0
; COMPUTE_PGM_RSRC2:TGID_Z_EN: 0
; COMPUTE_PGM_RSRC2:TIDIG_COMP_CNT: 0
; COMPUTE_PGM_RSRC3_GFX90A:ACCUM_OFFSET: 1
; COMPUTE_PGM_RSRC3_GFX90A:TG_SPLIT: 0
	.section	.text._ZN7rocprim17ROCPRIM_400000_NS6detail25reduce_by_key_init_kernelINS1_19lookback_scan_stateINS0_5tupleIJjyEEELb0ELb0EEEyNS1_16block_id_wrapperIjLb0EEEEEvT_jbjPmPT0_T1_,"axG",@progbits,_ZN7rocprim17ROCPRIM_400000_NS6detail25reduce_by_key_init_kernelINS1_19lookback_scan_stateINS0_5tupleIJjyEEELb0ELb0EEEyNS1_16block_id_wrapperIjLb0EEEEEvT_jbjPmPT0_T1_,comdat
	.protected	_ZN7rocprim17ROCPRIM_400000_NS6detail25reduce_by_key_init_kernelINS1_19lookback_scan_stateINS0_5tupleIJjyEEELb0ELb0EEEyNS1_16block_id_wrapperIjLb0EEEEEvT_jbjPmPT0_T1_ ; -- Begin function _ZN7rocprim17ROCPRIM_400000_NS6detail25reduce_by_key_init_kernelINS1_19lookback_scan_stateINS0_5tupleIJjyEEELb0ELb0EEEyNS1_16block_id_wrapperIjLb0EEEEEvT_jbjPmPT0_T1_
	.globl	_ZN7rocprim17ROCPRIM_400000_NS6detail25reduce_by_key_init_kernelINS1_19lookback_scan_stateINS0_5tupleIJjyEEELb0ELb0EEEyNS1_16block_id_wrapperIjLb0EEEEEvT_jbjPmPT0_T1_
	.p2align	8
	.type	_ZN7rocprim17ROCPRIM_400000_NS6detail25reduce_by_key_init_kernelINS1_19lookback_scan_stateINS0_5tupleIJjyEEELb0ELb0EEEyNS1_16block_id_wrapperIjLb0EEEEEvT_jbjPmPT0_T1_,@function
_ZN7rocprim17ROCPRIM_400000_NS6detail25reduce_by_key_init_kernelINS1_19lookback_scan_stateINS0_5tupleIJjyEEELb0ELb0EEEyNS1_16block_id_wrapperIjLb0EEEEEvT_jbjPmPT0_T1_: ; @_ZN7rocprim17ROCPRIM_400000_NS6detail25reduce_by_key_init_kernelINS1_19lookback_scan_stateINS0_5tupleIJjyEEELb0ELb0EEEyNS1_16block_id_wrapperIjLb0EEEEEvT_jbjPmPT0_T1_
; %bb.0:
	s_load_dwordx8 s[8:15], s[4:5], 0x18
	s_load_dword s0, s[4:5], 0x4c
	s_load_dwordx2 s[16:17], s[4:5], 0x10
	s_waitcnt lgkmcnt(0)
	s_and_b32 s1, s9, 1
	s_and_b32 s0, s0, 0xffff
	s_mul_i32 s6, s6, s0
	s_cmp_eq_u32 s1, 0
	v_add_u32_e32 v0, s6, v0
	s_mov_b64 s[0:1], -1
	s_cbranch_scc1 .LBB237_5
; %bb.1:
	s_andn2_b64 vcc, exec, s[0:1]
	s_cbranch_vccz .LBB237_11
.LBB237_2:
	v_cmp_gt_u32_e32 vcc, s8, v0
	s_and_saveexec_b64 s[0:1], vcc
	s_cbranch_execnz .LBB237_14
.LBB237_3:
	s_or_b64 exec, exec, s[0:1]
	v_cmp_gt_u32_e32 vcc, 64, v0
	s_and_saveexec_b64 s[0:1], vcc
	s_cbranch_execnz .LBB237_15
.LBB237_4:
	s_endpgm
.LBB237_5:
	s_cmp_lt_u32 s10, s8
	s_cselect_b32 s0, s10, 0
	v_cmp_eq_u32_e32 vcc, s0, v0
	s_and_saveexec_b64 s[6:7], vcc
	s_cbranch_execz .LBB237_10
; %bb.6:
	s_add_i32 s10, s10, 64
	v_mov_b32_e32 v1, s10
	global_load_ubyte v1, v1, s[16:17] glc
	s_load_dwordx4 s[0:3], s[4:5], 0x0
	s_add_u32 s4, s16, s10
	s_mov_b32 s11, 0
	s_addc_u32 s5, s17, 0
	s_waitcnt vmcnt(0)
	v_cmp_ne_u16_e32 vcc, 0, v1
	v_readfirstlane_b32 s9, v1
	s_cbranch_vccnz .LBB237_9
; %bb.7:
	v_mov_b32_e32 v1, 0
.LBB237_8:                              ; =>This Inner Loop Header: Depth=1
	global_load_ubyte v2, v1, s[4:5] glc
	s_waitcnt vmcnt(0)
	v_cmp_eq_u16_e32 vcc, 0, v2
	v_readfirstlane_b32 s9, v2
	s_cbranch_vccnz .LBB237_8
.LBB237_9:
	s_and_b32 s4, 0xffff, s9
	s_cmp_eq_u32 s4, 1
	s_waitcnt lgkmcnt(0)
	s_cselect_b32 s3, s1, s3
	s_cselect_b32 s2, s0, s2
	s_lshl_b64 s[0:1], s[10:11], 4
	v_mov_b32_e32 v1, 0
	s_add_u32 s0, s2, s0
	buffer_wbinvl1_vol
	s_addc_u32 s1, s3, s1
	global_load_dwordx2 v[2:3], v1, s[12:13]
	global_load_dword v6, v1, s[0:1]
	global_load_dwordx2 v[4:5], v1, s[0:1] offset:8
	s_waitcnt vmcnt(1)
	v_add_co_u32_e32 v2, vcc, v2, v6
	v_addc_co_u32_e32 v3, vcc, 0, v3, vcc
	global_store_dwordx2 v1, v[2:3], s[12:13]
	s_waitcnt vmcnt(1)
	global_store_dwordx2 v1, v[4:5], s[14:15]
.LBB237_10:
	s_or_b64 exec, exec, s[6:7]
	s_cbranch_execnz .LBB237_2
.LBB237_11:
	s_cmp_lg_u64 s[12:13], 0
	s_cselect_b64 s[0:1], -1, 0
	v_cmp_eq_u32_e32 vcc, 0, v0
	s_and_b64 s[2:3], s[0:1], vcc
	s_and_saveexec_b64 s[0:1], s[2:3]
	s_cbranch_execz .LBB237_13
; %bb.12:
	v_mov_b32_e32 v2, 0
	v_mov_b32_e32 v3, v2
	global_store_dwordx2 v2, v[2:3], s[12:13]
.LBB237_13:
	s_or_b64 exec, exec, s[0:1]
	v_cmp_gt_u32_e32 vcc, s8, v0
	s_and_saveexec_b64 s[0:1], vcc
	s_cbranch_execz .LBB237_3
.LBB237_14:
	v_add_u32_e32 v1, 64, v0
	v_mov_b32_e32 v2, 0
	global_store_byte v1, v2, s[16:17]
	s_or_b64 exec, exec, s[0:1]
	v_cmp_gt_u32_e32 vcc, 64, v0
	s_and_saveexec_b64 s[0:1], vcc
	s_cbranch_execz .LBB237_4
.LBB237_15:
	v_mov_b32_e32 v1, 0xff
	global_store_byte v0, v1, s[16:17]
	s_endpgm
	.section	.rodata,"a",@progbits
	.p2align	6, 0x0
	.amdhsa_kernel _ZN7rocprim17ROCPRIM_400000_NS6detail25reduce_by_key_init_kernelINS1_19lookback_scan_stateINS0_5tupleIJjyEEELb0ELb0EEEyNS1_16block_id_wrapperIjLb0EEEEEvT_jbjPmPT0_T1_
		.amdhsa_group_segment_fixed_size 0
		.amdhsa_private_segment_fixed_size 0
		.amdhsa_kernarg_size 320
		.amdhsa_user_sgpr_count 6
		.amdhsa_user_sgpr_private_segment_buffer 1
		.amdhsa_user_sgpr_dispatch_ptr 0
		.amdhsa_user_sgpr_queue_ptr 0
		.amdhsa_user_sgpr_kernarg_segment_ptr 1
		.amdhsa_user_sgpr_dispatch_id 0
		.amdhsa_user_sgpr_flat_scratch_init 0
		.amdhsa_user_sgpr_kernarg_preload_length 0
		.amdhsa_user_sgpr_kernarg_preload_offset 0
		.amdhsa_user_sgpr_private_segment_size 0
		.amdhsa_uses_dynamic_stack 0
		.amdhsa_system_sgpr_private_segment_wavefront_offset 0
		.amdhsa_system_sgpr_workgroup_id_x 1
		.amdhsa_system_sgpr_workgroup_id_y 0
		.amdhsa_system_sgpr_workgroup_id_z 0
		.amdhsa_system_sgpr_workgroup_info 0
		.amdhsa_system_vgpr_workitem_id 0
		.amdhsa_next_free_vgpr 7
		.amdhsa_next_free_sgpr 18
		.amdhsa_accum_offset 8
		.amdhsa_reserve_vcc 1
		.amdhsa_reserve_flat_scratch 0
		.amdhsa_float_round_mode_32 0
		.amdhsa_float_round_mode_16_64 0
		.amdhsa_float_denorm_mode_32 3
		.amdhsa_float_denorm_mode_16_64 3
		.amdhsa_dx10_clamp 1
		.amdhsa_ieee_mode 1
		.amdhsa_fp16_overflow 0
		.amdhsa_tg_split 0
		.amdhsa_exception_fp_ieee_invalid_op 0
		.amdhsa_exception_fp_denorm_src 0
		.amdhsa_exception_fp_ieee_div_zero 0
		.amdhsa_exception_fp_ieee_overflow 0
		.amdhsa_exception_fp_ieee_underflow 0
		.amdhsa_exception_fp_ieee_inexact 0
		.amdhsa_exception_int_div_zero 0
	.end_amdhsa_kernel
	.section	.text._ZN7rocprim17ROCPRIM_400000_NS6detail25reduce_by_key_init_kernelINS1_19lookback_scan_stateINS0_5tupleIJjyEEELb0ELb0EEEyNS1_16block_id_wrapperIjLb0EEEEEvT_jbjPmPT0_T1_,"axG",@progbits,_ZN7rocprim17ROCPRIM_400000_NS6detail25reduce_by_key_init_kernelINS1_19lookback_scan_stateINS0_5tupleIJjyEEELb0ELb0EEEyNS1_16block_id_wrapperIjLb0EEEEEvT_jbjPmPT0_T1_,comdat
.Lfunc_end237:
	.size	_ZN7rocprim17ROCPRIM_400000_NS6detail25reduce_by_key_init_kernelINS1_19lookback_scan_stateINS0_5tupleIJjyEEELb0ELb0EEEyNS1_16block_id_wrapperIjLb0EEEEEvT_jbjPmPT0_T1_, .Lfunc_end237-_ZN7rocprim17ROCPRIM_400000_NS6detail25reduce_by_key_init_kernelINS1_19lookback_scan_stateINS0_5tupleIJjyEEELb0ELb0EEEyNS1_16block_id_wrapperIjLb0EEEEEvT_jbjPmPT0_T1_
                                        ; -- End function
	.section	.AMDGPU.csdata,"",@progbits
; Kernel info:
; codeLenInByte = 420
; NumSgprs: 22
; NumVgprs: 7
; NumAgprs: 0
; TotalNumVgprs: 7
; ScratchSize: 0
; MemoryBound: 0
; FloatMode: 240
; IeeeMode: 1
; LDSByteSize: 0 bytes/workgroup (compile time only)
; SGPRBlocks: 2
; VGPRBlocks: 0
; NumSGPRsForWavesPerEU: 22
; NumVGPRsForWavesPerEU: 7
; AccumOffset: 8
; Occupancy: 8
; WaveLimiterHint : 0
; COMPUTE_PGM_RSRC2:SCRATCH_EN: 0
; COMPUTE_PGM_RSRC2:USER_SGPR: 6
; COMPUTE_PGM_RSRC2:TRAP_HANDLER: 0
; COMPUTE_PGM_RSRC2:TGID_X_EN: 1
; COMPUTE_PGM_RSRC2:TGID_Y_EN: 0
; COMPUTE_PGM_RSRC2:TGID_Z_EN: 0
; COMPUTE_PGM_RSRC2:TIDIG_COMP_CNT: 0
; COMPUTE_PGM_RSRC3_GFX90A:ACCUM_OFFSET: 1
; COMPUTE_PGM_RSRC3_GFX90A:TG_SPLIT: 0
	.section	.text._ZN7rocprim17ROCPRIM_400000_NS6detail17trampoline_kernelINS0_14default_configENS1_29reduce_by_key_config_selectorIyyN6thrust23THRUST_200600_302600_NS4plusIyEEEEZZNS1_33reduce_by_key_impl_wrapped_configILNS1_25lookback_scan_determinismE0ES3_S9_NS6_6detail15normal_iteratorINS6_10device_ptrIyEEEESG_SG_SG_PmS8_NS6_8equal_toIyEEEE10hipError_tPvRmT2_T3_mT4_T5_T6_T7_T8_P12ihipStream_tbENKUlT_T0_E_clISt17integral_constantIbLb0EES11_EEDaSW_SX_EUlSW_E_NS1_11comp_targetILNS1_3genE0ELNS1_11target_archE4294967295ELNS1_3gpuE0ELNS1_3repE0EEENS1_30default_config_static_selectorELNS0_4arch9wavefront6targetE1EEEvT1_,"axG",@progbits,_ZN7rocprim17ROCPRIM_400000_NS6detail17trampoline_kernelINS0_14default_configENS1_29reduce_by_key_config_selectorIyyN6thrust23THRUST_200600_302600_NS4plusIyEEEEZZNS1_33reduce_by_key_impl_wrapped_configILNS1_25lookback_scan_determinismE0ES3_S9_NS6_6detail15normal_iteratorINS6_10device_ptrIyEEEESG_SG_SG_PmS8_NS6_8equal_toIyEEEE10hipError_tPvRmT2_T3_mT4_T5_T6_T7_T8_P12ihipStream_tbENKUlT_T0_E_clISt17integral_constantIbLb0EES11_EEDaSW_SX_EUlSW_E_NS1_11comp_targetILNS1_3genE0ELNS1_11target_archE4294967295ELNS1_3gpuE0ELNS1_3repE0EEENS1_30default_config_static_selectorELNS0_4arch9wavefront6targetE1EEEvT1_,comdat
	.protected	_ZN7rocprim17ROCPRIM_400000_NS6detail17trampoline_kernelINS0_14default_configENS1_29reduce_by_key_config_selectorIyyN6thrust23THRUST_200600_302600_NS4plusIyEEEEZZNS1_33reduce_by_key_impl_wrapped_configILNS1_25lookback_scan_determinismE0ES3_S9_NS6_6detail15normal_iteratorINS6_10device_ptrIyEEEESG_SG_SG_PmS8_NS6_8equal_toIyEEEE10hipError_tPvRmT2_T3_mT4_T5_T6_T7_T8_P12ihipStream_tbENKUlT_T0_E_clISt17integral_constantIbLb0EES11_EEDaSW_SX_EUlSW_E_NS1_11comp_targetILNS1_3genE0ELNS1_11target_archE4294967295ELNS1_3gpuE0ELNS1_3repE0EEENS1_30default_config_static_selectorELNS0_4arch9wavefront6targetE1EEEvT1_ ; -- Begin function _ZN7rocprim17ROCPRIM_400000_NS6detail17trampoline_kernelINS0_14default_configENS1_29reduce_by_key_config_selectorIyyN6thrust23THRUST_200600_302600_NS4plusIyEEEEZZNS1_33reduce_by_key_impl_wrapped_configILNS1_25lookback_scan_determinismE0ES3_S9_NS6_6detail15normal_iteratorINS6_10device_ptrIyEEEESG_SG_SG_PmS8_NS6_8equal_toIyEEEE10hipError_tPvRmT2_T3_mT4_T5_T6_T7_T8_P12ihipStream_tbENKUlT_T0_E_clISt17integral_constantIbLb0EES11_EEDaSW_SX_EUlSW_E_NS1_11comp_targetILNS1_3genE0ELNS1_11target_archE4294967295ELNS1_3gpuE0ELNS1_3repE0EEENS1_30default_config_static_selectorELNS0_4arch9wavefront6targetE1EEEvT1_
	.globl	_ZN7rocprim17ROCPRIM_400000_NS6detail17trampoline_kernelINS0_14default_configENS1_29reduce_by_key_config_selectorIyyN6thrust23THRUST_200600_302600_NS4plusIyEEEEZZNS1_33reduce_by_key_impl_wrapped_configILNS1_25lookback_scan_determinismE0ES3_S9_NS6_6detail15normal_iteratorINS6_10device_ptrIyEEEESG_SG_SG_PmS8_NS6_8equal_toIyEEEE10hipError_tPvRmT2_T3_mT4_T5_T6_T7_T8_P12ihipStream_tbENKUlT_T0_E_clISt17integral_constantIbLb0EES11_EEDaSW_SX_EUlSW_E_NS1_11comp_targetILNS1_3genE0ELNS1_11target_archE4294967295ELNS1_3gpuE0ELNS1_3repE0EEENS1_30default_config_static_selectorELNS0_4arch9wavefront6targetE1EEEvT1_
	.p2align	8
	.type	_ZN7rocprim17ROCPRIM_400000_NS6detail17trampoline_kernelINS0_14default_configENS1_29reduce_by_key_config_selectorIyyN6thrust23THRUST_200600_302600_NS4plusIyEEEEZZNS1_33reduce_by_key_impl_wrapped_configILNS1_25lookback_scan_determinismE0ES3_S9_NS6_6detail15normal_iteratorINS6_10device_ptrIyEEEESG_SG_SG_PmS8_NS6_8equal_toIyEEEE10hipError_tPvRmT2_T3_mT4_T5_T6_T7_T8_P12ihipStream_tbENKUlT_T0_E_clISt17integral_constantIbLb0EES11_EEDaSW_SX_EUlSW_E_NS1_11comp_targetILNS1_3genE0ELNS1_11target_archE4294967295ELNS1_3gpuE0ELNS1_3repE0EEENS1_30default_config_static_selectorELNS0_4arch9wavefront6targetE1EEEvT1_,@function
_ZN7rocprim17ROCPRIM_400000_NS6detail17trampoline_kernelINS0_14default_configENS1_29reduce_by_key_config_selectorIyyN6thrust23THRUST_200600_302600_NS4plusIyEEEEZZNS1_33reduce_by_key_impl_wrapped_configILNS1_25lookback_scan_determinismE0ES3_S9_NS6_6detail15normal_iteratorINS6_10device_ptrIyEEEESG_SG_SG_PmS8_NS6_8equal_toIyEEEE10hipError_tPvRmT2_T3_mT4_T5_T6_T7_T8_P12ihipStream_tbENKUlT_T0_E_clISt17integral_constantIbLb0EES11_EEDaSW_SX_EUlSW_E_NS1_11comp_targetILNS1_3genE0ELNS1_11target_archE4294967295ELNS1_3gpuE0ELNS1_3repE0EEENS1_30default_config_static_selectorELNS0_4arch9wavefront6targetE1EEEvT1_: ; @_ZN7rocprim17ROCPRIM_400000_NS6detail17trampoline_kernelINS0_14default_configENS1_29reduce_by_key_config_selectorIyyN6thrust23THRUST_200600_302600_NS4plusIyEEEEZZNS1_33reduce_by_key_impl_wrapped_configILNS1_25lookback_scan_determinismE0ES3_S9_NS6_6detail15normal_iteratorINS6_10device_ptrIyEEEESG_SG_SG_PmS8_NS6_8equal_toIyEEEE10hipError_tPvRmT2_T3_mT4_T5_T6_T7_T8_P12ihipStream_tbENKUlT_T0_E_clISt17integral_constantIbLb0EES11_EEDaSW_SX_EUlSW_E_NS1_11comp_targetILNS1_3genE0ELNS1_11target_archE4294967295ELNS1_3gpuE0ELNS1_3repE0EEENS1_30default_config_static_selectorELNS0_4arch9wavefront6targetE1EEEvT1_
; %bb.0:
	.section	.rodata,"a",@progbits
	.p2align	6, 0x0
	.amdhsa_kernel _ZN7rocprim17ROCPRIM_400000_NS6detail17trampoline_kernelINS0_14default_configENS1_29reduce_by_key_config_selectorIyyN6thrust23THRUST_200600_302600_NS4plusIyEEEEZZNS1_33reduce_by_key_impl_wrapped_configILNS1_25lookback_scan_determinismE0ES3_S9_NS6_6detail15normal_iteratorINS6_10device_ptrIyEEEESG_SG_SG_PmS8_NS6_8equal_toIyEEEE10hipError_tPvRmT2_T3_mT4_T5_T6_T7_T8_P12ihipStream_tbENKUlT_T0_E_clISt17integral_constantIbLb0EES11_EEDaSW_SX_EUlSW_E_NS1_11comp_targetILNS1_3genE0ELNS1_11target_archE4294967295ELNS1_3gpuE0ELNS1_3repE0EEENS1_30default_config_static_selectorELNS0_4arch9wavefront6targetE1EEEvT1_
		.amdhsa_group_segment_fixed_size 0
		.amdhsa_private_segment_fixed_size 0
		.amdhsa_kernarg_size 136
		.amdhsa_user_sgpr_count 6
		.amdhsa_user_sgpr_private_segment_buffer 1
		.amdhsa_user_sgpr_dispatch_ptr 0
		.amdhsa_user_sgpr_queue_ptr 0
		.amdhsa_user_sgpr_kernarg_segment_ptr 1
		.amdhsa_user_sgpr_dispatch_id 0
		.amdhsa_user_sgpr_flat_scratch_init 0
		.amdhsa_user_sgpr_kernarg_preload_length 0
		.amdhsa_user_sgpr_kernarg_preload_offset 0
		.amdhsa_user_sgpr_private_segment_size 0
		.amdhsa_uses_dynamic_stack 0
		.amdhsa_system_sgpr_private_segment_wavefront_offset 0
		.amdhsa_system_sgpr_workgroup_id_x 1
		.amdhsa_system_sgpr_workgroup_id_y 0
		.amdhsa_system_sgpr_workgroup_id_z 0
		.amdhsa_system_sgpr_workgroup_info 0
		.amdhsa_system_vgpr_workitem_id 0
		.amdhsa_next_free_vgpr 1
		.amdhsa_next_free_sgpr 0
		.amdhsa_accum_offset 4
		.amdhsa_reserve_vcc 0
		.amdhsa_reserve_flat_scratch 0
		.amdhsa_float_round_mode_32 0
		.amdhsa_float_round_mode_16_64 0
		.amdhsa_float_denorm_mode_32 3
		.amdhsa_float_denorm_mode_16_64 3
		.amdhsa_dx10_clamp 1
		.amdhsa_ieee_mode 1
		.amdhsa_fp16_overflow 0
		.amdhsa_tg_split 0
		.amdhsa_exception_fp_ieee_invalid_op 0
		.amdhsa_exception_fp_denorm_src 0
		.amdhsa_exception_fp_ieee_div_zero 0
		.amdhsa_exception_fp_ieee_overflow 0
		.amdhsa_exception_fp_ieee_underflow 0
		.amdhsa_exception_fp_ieee_inexact 0
		.amdhsa_exception_int_div_zero 0
	.end_amdhsa_kernel
	.section	.text._ZN7rocprim17ROCPRIM_400000_NS6detail17trampoline_kernelINS0_14default_configENS1_29reduce_by_key_config_selectorIyyN6thrust23THRUST_200600_302600_NS4plusIyEEEEZZNS1_33reduce_by_key_impl_wrapped_configILNS1_25lookback_scan_determinismE0ES3_S9_NS6_6detail15normal_iteratorINS6_10device_ptrIyEEEESG_SG_SG_PmS8_NS6_8equal_toIyEEEE10hipError_tPvRmT2_T3_mT4_T5_T6_T7_T8_P12ihipStream_tbENKUlT_T0_E_clISt17integral_constantIbLb0EES11_EEDaSW_SX_EUlSW_E_NS1_11comp_targetILNS1_3genE0ELNS1_11target_archE4294967295ELNS1_3gpuE0ELNS1_3repE0EEENS1_30default_config_static_selectorELNS0_4arch9wavefront6targetE1EEEvT1_,"axG",@progbits,_ZN7rocprim17ROCPRIM_400000_NS6detail17trampoline_kernelINS0_14default_configENS1_29reduce_by_key_config_selectorIyyN6thrust23THRUST_200600_302600_NS4plusIyEEEEZZNS1_33reduce_by_key_impl_wrapped_configILNS1_25lookback_scan_determinismE0ES3_S9_NS6_6detail15normal_iteratorINS6_10device_ptrIyEEEESG_SG_SG_PmS8_NS6_8equal_toIyEEEE10hipError_tPvRmT2_T3_mT4_T5_T6_T7_T8_P12ihipStream_tbENKUlT_T0_E_clISt17integral_constantIbLb0EES11_EEDaSW_SX_EUlSW_E_NS1_11comp_targetILNS1_3genE0ELNS1_11target_archE4294967295ELNS1_3gpuE0ELNS1_3repE0EEENS1_30default_config_static_selectorELNS0_4arch9wavefront6targetE1EEEvT1_,comdat
.Lfunc_end238:
	.size	_ZN7rocprim17ROCPRIM_400000_NS6detail17trampoline_kernelINS0_14default_configENS1_29reduce_by_key_config_selectorIyyN6thrust23THRUST_200600_302600_NS4plusIyEEEEZZNS1_33reduce_by_key_impl_wrapped_configILNS1_25lookback_scan_determinismE0ES3_S9_NS6_6detail15normal_iteratorINS6_10device_ptrIyEEEESG_SG_SG_PmS8_NS6_8equal_toIyEEEE10hipError_tPvRmT2_T3_mT4_T5_T6_T7_T8_P12ihipStream_tbENKUlT_T0_E_clISt17integral_constantIbLb0EES11_EEDaSW_SX_EUlSW_E_NS1_11comp_targetILNS1_3genE0ELNS1_11target_archE4294967295ELNS1_3gpuE0ELNS1_3repE0EEENS1_30default_config_static_selectorELNS0_4arch9wavefront6targetE1EEEvT1_, .Lfunc_end238-_ZN7rocprim17ROCPRIM_400000_NS6detail17trampoline_kernelINS0_14default_configENS1_29reduce_by_key_config_selectorIyyN6thrust23THRUST_200600_302600_NS4plusIyEEEEZZNS1_33reduce_by_key_impl_wrapped_configILNS1_25lookback_scan_determinismE0ES3_S9_NS6_6detail15normal_iteratorINS6_10device_ptrIyEEEESG_SG_SG_PmS8_NS6_8equal_toIyEEEE10hipError_tPvRmT2_T3_mT4_T5_T6_T7_T8_P12ihipStream_tbENKUlT_T0_E_clISt17integral_constantIbLb0EES11_EEDaSW_SX_EUlSW_E_NS1_11comp_targetILNS1_3genE0ELNS1_11target_archE4294967295ELNS1_3gpuE0ELNS1_3repE0EEENS1_30default_config_static_selectorELNS0_4arch9wavefront6targetE1EEEvT1_
                                        ; -- End function
	.section	.AMDGPU.csdata,"",@progbits
; Kernel info:
; codeLenInByte = 0
; NumSgprs: 4
; NumVgprs: 0
; NumAgprs: 0
; TotalNumVgprs: 0
; ScratchSize: 0
; MemoryBound: 0
; FloatMode: 240
; IeeeMode: 1
; LDSByteSize: 0 bytes/workgroup (compile time only)
; SGPRBlocks: 0
; VGPRBlocks: 0
; NumSGPRsForWavesPerEU: 4
; NumVGPRsForWavesPerEU: 1
; AccumOffset: 4
; Occupancy: 8
; WaveLimiterHint : 0
; COMPUTE_PGM_RSRC2:SCRATCH_EN: 0
; COMPUTE_PGM_RSRC2:USER_SGPR: 6
; COMPUTE_PGM_RSRC2:TRAP_HANDLER: 0
; COMPUTE_PGM_RSRC2:TGID_X_EN: 1
; COMPUTE_PGM_RSRC2:TGID_Y_EN: 0
; COMPUTE_PGM_RSRC2:TGID_Z_EN: 0
; COMPUTE_PGM_RSRC2:TIDIG_COMP_CNT: 0
; COMPUTE_PGM_RSRC3_GFX90A:ACCUM_OFFSET: 0
; COMPUTE_PGM_RSRC3_GFX90A:TG_SPLIT: 0
	.section	.text._ZN7rocprim17ROCPRIM_400000_NS6detail17trampoline_kernelINS0_14default_configENS1_29reduce_by_key_config_selectorIyyN6thrust23THRUST_200600_302600_NS4plusIyEEEEZZNS1_33reduce_by_key_impl_wrapped_configILNS1_25lookback_scan_determinismE0ES3_S9_NS6_6detail15normal_iteratorINS6_10device_ptrIyEEEESG_SG_SG_PmS8_NS6_8equal_toIyEEEE10hipError_tPvRmT2_T3_mT4_T5_T6_T7_T8_P12ihipStream_tbENKUlT_T0_E_clISt17integral_constantIbLb0EES11_EEDaSW_SX_EUlSW_E_NS1_11comp_targetILNS1_3genE5ELNS1_11target_archE942ELNS1_3gpuE9ELNS1_3repE0EEENS1_30default_config_static_selectorELNS0_4arch9wavefront6targetE1EEEvT1_,"axG",@progbits,_ZN7rocprim17ROCPRIM_400000_NS6detail17trampoline_kernelINS0_14default_configENS1_29reduce_by_key_config_selectorIyyN6thrust23THRUST_200600_302600_NS4plusIyEEEEZZNS1_33reduce_by_key_impl_wrapped_configILNS1_25lookback_scan_determinismE0ES3_S9_NS6_6detail15normal_iteratorINS6_10device_ptrIyEEEESG_SG_SG_PmS8_NS6_8equal_toIyEEEE10hipError_tPvRmT2_T3_mT4_T5_T6_T7_T8_P12ihipStream_tbENKUlT_T0_E_clISt17integral_constantIbLb0EES11_EEDaSW_SX_EUlSW_E_NS1_11comp_targetILNS1_3genE5ELNS1_11target_archE942ELNS1_3gpuE9ELNS1_3repE0EEENS1_30default_config_static_selectorELNS0_4arch9wavefront6targetE1EEEvT1_,comdat
	.protected	_ZN7rocprim17ROCPRIM_400000_NS6detail17trampoline_kernelINS0_14default_configENS1_29reduce_by_key_config_selectorIyyN6thrust23THRUST_200600_302600_NS4plusIyEEEEZZNS1_33reduce_by_key_impl_wrapped_configILNS1_25lookback_scan_determinismE0ES3_S9_NS6_6detail15normal_iteratorINS6_10device_ptrIyEEEESG_SG_SG_PmS8_NS6_8equal_toIyEEEE10hipError_tPvRmT2_T3_mT4_T5_T6_T7_T8_P12ihipStream_tbENKUlT_T0_E_clISt17integral_constantIbLb0EES11_EEDaSW_SX_EUlSW_E_NS1_11comp_targetILNS1_3genE5ELNS1_11target_archE942ELNS1_3gpuE9ELNS1_3repE0EEENS1_30default_config_static_selectorELNS0_4arch9wavefront6targetE1EEEvT1_ ; -- Begin function _ZN7rocprim17ROCPRIM_400000_NS6detail17trampoline_kernelINS0_14default_configENS1_29reduce_by_key_config_selectorIyyN6thrust23THRUST_200600_302600_NS4plusIyEEEEZZNS1_33reduce_by_key_impl_wrapped_configILNS1_25lookback_scan_determinismE0ES3_S9_NS6_6detail15normal_iteratorINS6_10device_ptrIyEEEESG_SG_SG_PmS8_NS6_8equal_toIyEEEE10hipError_tPvRmT2_T3_mT4_T5_T6_T7_T8_P12ihipStream_tbENKUlT_T0_E_clISt17integral_constantIbLb0EES11_EEDaSW_SX_EUlSW_E_NS1_11comp_targetILNS1_3genE5ELNS1_11target_archE942ELNS1_3gpuE9ELNS1_3repE0EEENS1_30default_config_static_selectorELNS0_4arch9wavefront6targetE1EEEvT1_
	.globl	_ZN7rocprim17ROCPRIM_400000_NS6detail17trampoline_kernelINS0_14default_configENS1_29reduce_by_key_config_selectorIyyN6thrust23THRUST_200600_302600_NS4plusIyEEEEZZNS1_33reduce_by_key_impl_wrapped_configILNS1_25lookback_scan_determinismE0ES3_S9_NS6_6detail15normal_iteratorINS6_10device_ptrIyEEEESG_SG_SG_PmS8_NS6_8equal_toIyEEEE10hipError_tPvRmT2_T3_mT4_T5_T6_T7_T8_P12ihipStream_tbENKUlT_T0_E_clISt17integral_constantIbLb0EES11_EEDaSW_SX_EUlSW_E_NS1_11comp_targetILNS1_3genE5ELNS1_11target_archE942ELNS1_3gpuE9ELNS1_3repE0EEENS1_30default_config_static_selectorELNS0_4arch9wavefront6targetE1EEEvT1_
	.p2align	8
	.type	_ZN7rocprim17ROCPRIM_400000_NS6detail17trampoline_kernelINS0_14default_configENS1_29reduce_by_key_config_selectorIyyN6thrust23THRUST_200600_302600_NS4plusIyEEEEZZNS1_33reduce_by_key_impl_wrapped_configILNS1_25lookback_scan_determinismE0ES3_S9_NS6_6detail15normal_iteratorINS6_10device_ptrIyEEEESG_SG_SG_PmS8_NS6_8equal_toIyEEEE10hipError_tPvRmT2_T3_mT4_T5_T6_T7_T8_P12ihipStream_tbENKUlT_T0_E_clISt17integral_constantIbLb0EES11_EEDaSW_SX_EUlSW_E_NS1_11comp_targetILNS1_3genE5ELNS1_11target_archE942ELNS1_3gpuE9ELNS1_3repE0EEENS1_30default_config_static_selectorELNS0_4arch9wavefront6targetE1EEEvT1_,@function
_ZN7rocprim17ROCPRIM_400000_NS6detail17trampoline_kernelINS0_14default_configENS1_29reduce_by_key_config_selectorIyyN6thrust23THRUST_200600_302600_NS4plusIyEEEEZZNS1_33reduce_by_key_impl_wrapped_configILNS1_25lookback_scan_determinismE0ES3_S9_NS6_6detail15normal_iteratorINS6_10device_ptrIyEEEESG_SG_SG_PmS8_NS6_8equal_toIyEEEE10hipError_tPvRmT2_T3_mT4_T5_T6_T7_T8_P12ihipStream_tbENKUlT_T0_E_clISt17integral_constantIbLb0EES11_EEDaSW_SX_EUlSW_E_NS1_11comp_targetILNS1_3genE5ELNS1_11target_archE942ELNS1_3gpuE9ELNS1_3repE0EEENS1_30default_config_static_selectorELNS0_4arch9wavefront6targetE1EEEvT1_: ; @_ZN7rocprim17ROCPRIM_400000_NS6detail17trampoline_kernelINS0_14default_configENS1_29reduce_by_key_config_selectorIyyN6thrust23THRUST_200600_302600_NS4plusIyEEEEZZNS1_33reduce_by_key_impl_wrapped_configILNS1_25lookback_scan_determinismE0ES3_S9_NS6_6detail15normal_iteratorINS6_10device_ptrIyEEEESG_SG_SG_PmS8_NS6_8equal_toIyEEEE10hipError_tPvRmT2_T3_mT4_T5_T6_T7_T8_P12ihipStream_tbENKUlT_T0_E_clISt17integral_constantIbLb0EES11_EEDaSW_SX_EUlSW_E_NS1_11comp_targetILNS1_3genE5ELNS1_11target_archE942ELNS1_3gpuE9ELNS1_3repE0EEENS1_30default_config_static_selectorELNS0_4arch9wavefront6targetE1EEEvT1_
; %bb.0:
	.section	.rodata,"a",@progbits
	.p2align	6, 0x0
	.amdhsa_kernel _ZN7rocprim17ROCPRIM_400000_NS6detail17trampoline_kernelINS0_14default_configENS1_29reduce_by_key_config_selectorIyyN6thrust23THRUST_200600_302600_NS4plusIyEEEEZZNS1_33reduce_by_key_impl_wrapped_configILNS1_25lookback_scan_determinismE0ES3_S9_NS6_6detail15normal_iteratorINS6_10device_ptrIyEEEESG_SG_SG_PmS8_NS6_8equal_toIyEEEE10hipError_tPvRmT2_T3_mT4_T5_T6_T7_T8_P12ihipStream_tbENKUlT_T0_E_clISt17integral_constantIbLb0EES11_EEDaSW_SX_EUlSW_E_NS1_11comp_targetILNS1_3genE5ELNS1_11target_archE942ELNS1_3gpuE9ELNS1_3repE0EEENS1_30default_config_static_selectorELNS0_4arch9wavefront6targetE1EEEvT1_
		.amdhsa_group_segment_fixed_size 0
		.amdhsa_private_segment_fixed_size 0
		.amdhsa_kernarg_size 136
		.amdhsa_user_sgpr_count 6
		.amdhsa_user_sgpr_private_segment_buffer 1
		.amdhsa_user_sgpr_dispatch_ptr 0
		.amdhsa_user_sgpr_queue_ptr 0
		.amdhsa_user_sgpr_kernarg_segment_ptr 1
		.amdhsa_user_sgpr_dispatch_id 0
		.amdhsa_user_sgpr_flat_scratch_init 0
		.amdhsa_user_sgpr_kernarg_preload_length 0
		.amdhsa_user_sgpr_kernarg_preload_offset 0
		.amdhsa_user_sgpr_private_segment_size 0
		.amdhsa_uses_dynamic_stack 0
		.amdhsa_system_sgpr_private_segment_wavefront_offset 0
		.amdhsa_system_sgpr_workgroup_id_x 1
		.amdhsa_system_sgpr_workgroup_id_y 0
		.amdhsa_system_sgpr_workgroup_id_z 0
		.amdhsa_system_sgpr_workgroup_info 0
		.amdhsa_system_vgpr_workitem_id 0
		.amdhsa_next_free_vgpr 1
		.amdhsa_next_free_sgpr 0
		.amdhsa_accum_offset 4
		.amdhsa_reserve_vcc 0
		.amdhsa_reserve_flat_scratch 0
		.amdhsa_float_round_mode_32 0
		.amdhsa_float_round_mode_16_64 0
		.amdhsa_float_denorm_mode_32 3
		.amdhsa_float_denorm_mode_16_64 3
		.amdhsa_dx10_clamp 1
		.amdhsa_ieee_mode 1
		.amdhsa_fp16_overflow 0
		.amdhsa_tg_split 0
		.amdhsa_exception_fp_ieee_invalid_op 0
		.amdhsa_exception_fp_denorm_src 0
		.amdhsa_exception_fp_ieee_div_zero 0
		.amdhsa_exception_fp_ieee_overflow 0
		.amdhsa_exception_fp_ieee_underflow 0
		.amdhsa_exception_fp_ieee_inexact 0
		.amdhsa_exception_int_div_zero 0
	.end_amdhsa_kernel
	.section	.text._ZN7rocprim17ROCPRIM_400000_NS6detail17trampoline_kernelINS0_14default_configENS1_29reduce_by_key_config_selectorIyyN6thrust23THRUST_200600_302600_NS4plusIyEEEEZZNS1_33reduce_by_key_impl_wrapped_configILNS1_25lookback_scan_determinismE0ES3_S9_NS6_6detail15normal_iteratorINS6_10device_ptrIyEEEESG_SG_SG_PmS8_NS6_8equal_toIyEEEE10hipError_tPvRmT2_T3_mT4_T5_T6_T7_T8_P12ihipStream_tbENKUlT_T0_E_clISt17integral_constantIbLb0EES11_EEDaSW_SX_EUlSW_E_NS1_11comp_targetILNS1_3genE5ELNS1_11target_archE942ELNS1_3gpuE9ELNS1_3repE0EEENS1_30default_config_static_selectorELNS0_4arch9wavefront6targetE1EEEvT1_,"axG",@progbits,_ZN7rocprim17ROCPRIM_400000_NS6detail17trampoline_kernelINS0_14default_configENS1_29reduce_by_key_config_selectorIyyN6thrust23THRUST_200600_302600_NS4plusIyEEEEZZNS1_33reduce_by_key_impl_wrapped_configILNS1_25lookback_scan_determinismE0ES3_S9_NS6_6detail15normal_iteratorINS6_10device_ptrIyEEEESG_SG_SG_PmS8_NS6_8equal_toIyEEEE10hipError_tPvRmT2_T3_mT4_T5_T6_T7_T8_P12ihipStream_tbENKUlT_T0_E_clISt17integral_constantIbLb0EES11_EEDaSW_SX_EUlSW_E_NS1_11comp_targetILNS1_3genE5ELNS1_11target_archE942ELNS1_3gpuE9ELNS1_3repE0EEENS1_30default_config_static_selectorELNS0_4arch9wavefront6targetE1EEEvT1_,comdat
.Lfunc_end239:
	.size	_ZN7rocprim17ROCPRIM_400000_NS6detail17trampoline_kernelINS0_14default_configENS1_29reduce_by_key_config_selectorIyyN6thrust23THRUST_200600_302600_NS4plusIyEEEEZZNS1_33reduce_by_key_impl_wrapped_configILNS1_25lookback_scan_determinismE0ES3_S9_NS6_6detail15normal_iteratorINS6_10device_ptrIyEEEESG_SG_SG_PmS8_NS6_8equal_toIyEEEE10hipError_tPvRmT2_T3_mT4_T5_T6_T7_T8_P12ihipStream_tbENKUlT_T0_E_clISt17integral_constantIbLb0EES11_EEDaSW_SX_EUlSW_E_NS1_11comp_targetILNS1_3genE5ELNS1_11target_archE942ELNS1_3gpuE9ELNS1_3repE0EEENS1_30default_config_static_selectorELNS0_4arch9wavefront6targetE1EEEvT1_, .Lfunc_end239-_ZN7rocprim17ROCPRIM_400000_NS6detail17trampoline_kernelINS0_14default_configENS1_29reduce_by_key_config_selectorIyyN6thrust23THRUST_200600_302600_NS4plusIyEEEEZZNS1_33reduce_by_key_impl_wrapped_configILNS1_25lookback_scan_determinismE0ES3_S9_NS6_6detail15normal_iteratorINS6_10device_ptrIyEEEESG_SG_SG_PmS8_NS6_8equal_toIyEEEE10hipError_tPvRmT2_T3_mT4_T5_T6_T7_T8_P12ihipStream_tbENKUlT_T0_E_clISt17integral_constantIbLb0EES11_EEDaSW_SX_EUlSW_E_NS1_11comp_targetILNS1_3genE5ELNS1_11target_archE942ELNS1_3gpuE9ELNS1_3repE0EEENS1_30default_config_static_selectorELNS0_4arch9wavefront6targetE1EEEvT1_
                                        ; -- End function
	.section	.AMDGPU.csdata,"",@progbits
; Kernel info:
; codeLenInByte = 0
; NumSgprs: 4
; NumVgprs: 0
; NumAgprs: 0
; TotalNumVgprs: 0
; ScratchSize: 0
; MemoryBound: 0
; FloatMode: 240
; IeeeMode: 1
; LDSByteSize: 0 bytes/workgroup (compile time only)
; SGPRBlocks: 0
; VGPRBlocks: 0
; NumSGPRsForWavesPerEU: 4
; NumVGPRsForWavesPerEU: 1
; AccumOffset: 4
; Occupancy: 8
; WaveLimiterHint : 0
; COMPUTE_PGM_RSRC2:SCRATCH_EN: 0
; COMPUTE_PGM_RSRC2:USER_SGPR: 6
; COMPUTE_PGM_RSRC2:TRAP_HANDLER: 0
; COMPUTE_PGM_RSRC2:TGID_X_EN: 1
; COMPUTE_PGM_RSRC2:TGID_Y_EN: 0
; COMPUTE_PGM_RSRC2:TGID_Z_EN: 0
; COMPUTE_PGM_RSRC2:TIDIG_COMP_CNT: 0
; COMPUTE_PGM_RSRC3_GFX90A:ACCUM_OFFSET: 0
; COMPUTE_PGM_RSRC3_GFX90A:TG_SPLIT: 0
	.section	.text._ZN7rocprim17ROCPRIM_400000_NS6detail17trampoline_kernelINS0_14default_configENS1_29reduce_by_key_config_selectorIyyN6thrust23THRUST_200600_302600_NS4plusIyEEEEZZNS1_33reduce_by_key_impl_wrapped_configILNS1_25lookback_scan_determinismE0ES3_S9_NS6_6detail15normal_iteratorINS6_10device_ptrIyEEEESG_SG_SG_PmS8_NS6_8equal_toIyEEEE10hipError_tPvRmT2_T3_mT4_T5_T6_T7_T8_P12ihipStream_tbENKUlT_T0_E_clISt17integral_constantIbLb0EES11_EEDaSW_SX_EUlSW_E_NS1_11comp_targetILNS1_3genE4ELNS1_11target_archE910ELNS1_3gpuE8ELNS1_3repE0EEENS1_30default_config_static_selectorELNS0_4arch9wavefront6targetE1EEEvT1_,"axG",@progbits,_ZN7rocprim17ROCPRIM_400000_NS6detail17trampoline_kernelINS0_14default_configENS1_29reduce_by_key_config_selectorIyyN6thrust23THRUST_200600_302600_NS4plusIyEEEEZZNS1_33reduce_by_key_impl_wrapped_configILNS1_25lookback_scan_determinismE0ES3_S9_NS6_6detail15normal_iteratorINS6_10device_ptrIyEEEESG_SG_SG_PmS8_NS6_8equal_toIyEEEE10hipError_tPvRmT2_T3_mT4_T5_T6_T7_T8_P12ihipStream_tbENKUlT_T0_E_clISt17integral_constantIbLb0EES11_EEDaSW_SX_EUlSW_E_NS1_11comp_targetILNS1_3genE4ELNS1_11target_archE910ELNS1_3gpuE8ELNS1_3repE0EEENS1_30default_config_static_selectorELNS0_4arch9wavefront6targetE1EEEvT1_,comdat
	.protected	_ZN7rocprim17ROCPRIM_400000_NS6detail17trampoline_kernelINS0_14default_configENS1_29reduce_by_key_config_selectorIyyN6thrust23THRUST_200600_302600_NS4plusIyEEEEZZNS1_33reduce_by_key_impl_wrapped_configILNS1_25lookback_scan_determinismE0ES3_S9_NS6_6detail15normal_iteratorINS6_10device_ptrIyEEEESG_SG_SG_PmS8_NS6_8equal_toIyEEEE10hipError_tPvRmT2_T3_mT4_T5_T6_T7_T8_P12ihipStream_tbENKUlT_T0_E_clISt17integral_constantIbLb0EES11_EEDaSW_SX_EUlSW_E_NS1_11comp_targetILNS1_3genE4ELNS1_11target_archE910ELNS1_3gpuE8ELNS1_3repE0EEENS1_30default_config_static_selectorELNS0_4arch9wavefront6targetE1EEEvT1_ ; -- Begin function _ZN7rocprim17ROCPRIM_400000_NS6detail17trampoline_kernelINS0_14default_configENS1_29reduce_by_key_config_selectorIyyN6thrust23THRUST_200600_302600_NS4plusIyEEEEZZNS1_33reduce_by_key_impl_wrapped_configILNS1_25lookback_scan_determinismE0ES3_S9_NS6_6detail15normal_iteratorINS6_10device_ptrIyEEEESG_SG_SG_PmS8_NS6_8equal_toIyEEEE10hipError_tPvRmT2_T3_mT4_T5_T6_T7_T8_P12ihipStream_tbENKUlT_T0_E_clISt17integral_constantIbLb0EES11_EEDaSW_SX_EUlSW_E_NS1_11comp_targetILNS1_3genE4ELNS1_11target_archE910ELNS1_3gpuE8ELNS1_3repE0EEENS1_30default_config_static_selectorELNS0_4arch9wavefront6targetE1EEEvT1_
	.globl	_ZN7rocprim17ROCPRIM_400000_NS6detail17trampoline_kernelINS0_14default_configENS1_29reduce_by_key_config_selectorIyyN6thrust23THRUST_200600_302600_NS4plusIyEEEEZZNS1_33reduce_by_key_impl_wrapped_configILNS1_25lookback_scan_determinismE0ES3_S9_NS6_6detail15normal_iteratorINS6_10device_ptrIyEEEESG_SG_SG_PmS8_NS6_8equal_toIyEEEE10hipError_tPvRmT2_T3_mT4_T5_T6_T7_T8_P12ihipStream_tbENKUlT_T0_E_clISt17integral_constantIbLb0EES11_EEDaSW_SX_EUlSW_E_NS1_11comp_targetILNS1_3genE4ELNS1_11target_archE910ELNS1_3gpuE8ELNS1_3repE0EEENS1_30default_config_static_selectorELNS0_4arch9wavefront6targetE1EEEvT1_
	.p2align	8
	.type	_ZN7rocprim17ROCPRIM_400000_NS6detail17trampoline_kernelINS0_14default_configENS1_29reduce_by_key_config_selectorIyyN6thrust23THRUST_200600_302600_NS4plusIyEEEEZZNS1_33reduce_by_key_impl_wrapped_configILNS1_25lookback_scan_determinismE0ES3_S9_NS6_6detail15normal_iteratorINS6_10device_ptrIyEEEESG_SG_SG_PmS8_NS6_8equal_toIyEEEE10hipError_tPvRmT2_T3_mT4_T5_T6_T7_T8_P12ihipStream_tbENKUlT_T0_E_clISt17integral_constantIbLb0EES11_EEDaSW_SX_EUlSW_E_NS1_11comp_targetILNS1_3genE4ELNS1_11target_archE910ELNS1_3gpuE8ELNS1_3repE0EEENS1_30default_config_static_selectorELNS0_4arch9wavefront6targetE1EEEvT1_,@function
_ZN7rocprim17ROCPRIM_400000_NS6detail17trampoline_kernelINS0_14default_configENS1_29reduce_by_key_config_selectorIyyN6thrust23THRUST_200600_302600_NS4plusIyEEEEZZNS1_33reduce_by_key_impl_wrapped_configILNS1_25lookback_scan_determinismE0ES3_S9_NS6_6detail15normal_iteratorINS6_10device_ptrIyEEEESG_SG_SG_PmS8_NS6_8equal_toIyEEEE10hipError_tPvRmT2_T3_mT4_T5_T6_T7_T8_P12ihipStream_tbENKUlT_T0_E_clISt17integral_constantIbLb0EES11_EEDaSW_SX_EUlSW_E_NS1_11comp_targetILNS1_3genE4ELNS1_11target_archE910ELNS1_3gpuE8ELNS1_3repE0EEENS1_30default_config_static_selectorELNS0_4arch9wavefront6targetE1EEEvT1_: ; @_ZN7rocprim17ROCPRIM_400000_NS6detail17trampoline_kernelINS0_14default_configENS1_29reduce_by_key_config_selectorIyyN6thrust23THRUST_200600_302600_NS4plusIyEEEEZZNS1_33reduce_by_key_impl_wrapped_configILNS1_25lookback_scan_determinismE0ES3_S9_NS6_6detail15normal_iteratorINS6_10device_ptrIyEEEESG_SG_SG_PmS8_NS6_8equal_toIyEEEE10hipError_tPvRmT2_T3_mT4_T5_T6_T7_T8_P12ihipStream_tbENKUlT_T0_E_clISt17integral_constantIbLb0EES11_EEDaSW_SX_EUlSW_E_NS1_11comp_targetILNS1_3genE4ELNS1_11target_archE910ELNS1_3gpuE8ELNS1_3repE0EEENS1_30default_config_static_selectorELNS0_4arch9wavefront6targetE1EEEvT1_
; %bb.0:
	s_load_dwordx8 s[52:59], s[4:5], 0x0
	s_load_dwordx4 s[60:63], s[4:5], 0x20
	s_load_dwordx16 s[36:51], s[4:5], 0x38
	s_waitcnt lgkmcnt(0)
	s_lshl_b64 s[0:1], s[54:55], 3
	s_add_u32 s2, s52, s0
	s_addc_u32 s3, s53, s1
	s_add_u32 s8, s56, s0
	s_addc_u32 s9, s57, s1
	s_mul_i32 s0, s44, s43
	s_mul_hi_u32 s1, s44, s42
	s_add_i32 s0, s1, s0
	s_mul_i32 s1, s45, s42
	s_add_i32 s10, s0, s1
	s_mul_i32 s0, s6, 0xf00
	s_mov_b32 s1, 0
	s_lshl_b64 s[0:1], s[0:1], 3
	s_add_u32 s7, s2, s0
	s_addc_u32 s64, s3, s1
	s_add_u32 s56, s8, s0
	s_mul_i32 s11, s44, s42
	s_addc_u32 s57, s9, s1
	s_add_u32 s52, s11, s6
	s_addc_u32 s53, s10, 0
	s_add_u32 s2, s46, -1
	s_addc_u32 s3, s47, -1
	s_cmp_eq_u64 s[52:53], s[2:3]
	s_cselect_b64 s[34:35], -1, 0
	s_cmp_lg_u64 s[52:53], s[2:3]
	s_mov_b64 s[0:1], -1
	s_cselect_b64 s[54:55], -1, 0
	s_mul_i32 s33, s2, 0xfffff100
	s_and_b64 vcc, exec, s[34:35]
	s_cbranch_vccnz .LBB240_2
; %bb.1:
	v_lshlrev_b32_e32 v80, 3, v0
	v_mov_b32_e32 v1, s64
	v_add_co_u32_e32 v2, vcc, s7, v80
	v_addc_co_u32_e32 v3, vcc, 0, v1, vcc
	v_add_co_u32_e32 v4, vcc, 0x1000, v2
	v_addc_co_u32_e32 v5, vcc, 0, v3, vcc
	flat_load_dwordx2 v[6:7], v[2:3]
	flat_load_dwordx2 v[8:9], v[2:3] offset:2048
	flat_load_dwordx2 v[10:11], v[4:5]
	flat_load_dwordx2 v[12:13], v[4:5] offset:2048
	v_add_co_u32_e32 v4, vcc, 0x2000, v2
	v_addc_co_u32_e32 v5, vcc, 0, v3, vcc
	v_add_co_u32_e32 v14, vcc, 0x3000, v2
	v_addc_co_u32_e32 v15, vcc, 0, v3, vcc
	flat_load_dwordx2 v[16:17], v[4:5]
	flat_load_dwordx2 v[18:19], v[4:5] offset:2048
	flat_load_dwordx2 v[20:21], v[14:15]
	flat_load_dwordx2 v[22:23], v[14:15] offset:2048
	v_add_co_u32_e32 v4, vcc, 0x4000, v2
	v_addc_co_u32_e32 v5, vcc, 0, v3, vcc
	v_add_co_u32_e32 v14, vcc, 0x5000, v2
	v_addc_co_u32_e32 v15, vcc, 0, v3, vcc
	flat_load_dwordx2 v[24:25], v[4:5]
	flat_load_dwordx2 v[26:27], v[4:5] offset:2048
	flat_load_dwordx2 v[28:29], v[14:15]
	flat_load_dwordx2 v[30:31], v[14:15] offset:2048
	v_add_co_u32_e32 v4, vcc, 0x6000, v2
	v_addc_co_u32_e32 v5, vcc, 0, v3, vcc
	v_add_co_u32_e32 v2, vcc, 0x7000, v2
	v_addc_co_u32_e32 v3, vcc, 0, v3, vcc
	flat_load_dwordx2 v[14:15], v[4:5]
	flat_load_dwordx2 v[32:33], v[4:5] offset:2048
	flat_load_dwordx2 v[34:35], v[2:3]
	v_mov_b32_e32 v36, s57
	s_movk_i32 s0, 0x1000
	s_movk_i32 s11, 0x70
	;; [unrolled: 1-line block ×3, first 2 shown]
	v_mad_u32_u24 v1, v0, s11, v80
	s_movk_i32 s2, 0x3000
	s_movk_i32 s3, 0x4000
	s_movk_i32 s8, 0x5000
	s_movk_i32 s9, 0x6000
	s_movk_i32 s10, 0x7000
	s_waitcnt vmcnt(0) lgkmcnt(0)
	ds_write2st64_b64 v80, v[6:7], v[8:9] offset1:4
	ds_write2st64_b64 v80, v[10:11], v[12:13] offset0:8 offset1:12
	ds_write2st64_b64 v80, v[16:17], v[18:19] offset0:16 offset1:20
	;; [unrolled: 1-line block ×6, first 2 shown]
	ds_write_b64 v80, v[34:35] offset:28672
	v_add_co_u32_e32 v30, vcc, s56, v80
	v_addc_co_u32_e32 v31, vcc, 0, v36, vcc
	v_add_co_u32_e32 v32, vcc, s0, v30
	v_addc_co_u32_e32 v33, vcc, 0, v31, vcc
	s_waitcnt lgkmcnt(0)
	s_barrier
	ds_read2_b64 v[26:29], v1 offset1:1
	ds_read2_b64 v[22:25], v1 offset0:2 offset1:3
	ds_read2_b64 v[18:21], v1 offset0:4 offset1:5
	;; [unrolled: 1-line block ×6, first 2 shown]
	ds_read_b64 v[74:75], v1 offset:112
	s_waitcnt lgkmcnt(0)
	s_barrier
	flat_load_dwordx2 v[34:35], v[30:31]
	flat_load_dwordx2 v[36:37], v[30:31] offset:2048
	flat_load_dwordx2 v[38:39], v[32:33]
	flat_load_dwordx2 v[40:41], v[32:33] offset:2048
	v_add_co_u32_e32 v32, vcc, s1, v30
	v_addc_co_u32_e32 v33, vcc, 0, v31, vcc
	v_add_co_u32_e32 v42, vcc, s2, v30
	v_addc_co_u32_e32 v43, vcc, 0, v31, vcc
	flat_load_dwordx2 v[44:45], v[32:33]
	flat_load_dwordx2 v[46:47], v[32:33] offset:2048
	flat_load_dwordx2 v[48:49], v[42:43]
	flat_load_dwordx2 v[50:51], v[42:43] offset:2048
	v_add_co_u32_e32 v32, vcc, s3, v30
	v_addc_co_u32_e32 v33, vcc, 0, v31, vcc
	v_add_co_u32_e32 v42, vcc, s8, v30
	v_addc_co_u32_e32 v43, vcc, 0, v31, vcc
	;; [unrolled: 8-line block ×3, first 2 shown]
	flat_load_dwordx2 v[42:43], v[32:33]
	flat_load_dwordx2 v[76:77], v[32:33] offset:2048
	flat_load_dwordx2 v[78:79], v[30:31]
	v_mov_b32_e32 v58, v26
	v_mov_b32_e32 v59, v27
	;; [unrolled: 1-line block ×14, first 2 shown]
	s_waitcnt vmcnt(0) lgkmcnt(0)
	ds_write2st64_b64 v80, v[34:35], v[36:37] offset1:4
	ds_write2st64_b64 v80, v[38:39], v[40:41] offset0:8 offset1:12
	ds_write2st64_b64 v80, v[44:45], v[46:47] offset0:16 offset1:20
	ds_write2st64_b64 v80, v[48:49], v[50:51] offset0:24 offset1:28
	ds_write2st64_b64 v80, v[52:53], v[54:55] offset0:32 offset1:36
	ds_write2st64_b64 v80, v[56:57], v[72:73] offset0:40 offset1:44
	ds_write2st64_b64 v80, v[42:43], v[76:77] offset0:48 offset1:52
	ds_write_b64 v80, v[78:79] offset:28672
	s_waitcnt lgkmcnt(0)
	s_barrier
	s_load_dwordx2 s[46:47], s[4:5], 0x78
	s_add_i32 s33, s33, s48
	s_cbranch_execz .LBB240_3
	s_branch .LBB240_50
.LBB240_2:
                                        ; implicit-def: $vgpr74_vgpr75
                                        ; implicit-def: $vgpr2_vgpr3
                                        ; implicit-def: $vgpr6_vgpr7
                                        ; implicit-def: $vgpr10_vgpr11
                                        ; implicit-def: $vgpr14_vgpr15
                                        ; implicit-def: $vgpr18_vgpr19
                                        ; implicit-def: $vgpr22_vgpr23
                                        ; implicit-def: $vgpr26_vgpr27
                                        ; implicit-def: $vgpr1
                                        ; implicit-def: $vgpr66_vgpr67_vgpr68_vgpr69
                                        ; implicit-def: $vgpr62_vgpr63_vgpr64_vgpr65
                                        ; implicit-def: $vgpr58_vgpr59_vgpr60_vgpr61
                                        ; implicit-def: $vgpr70_vgpr71_vgpr72_vgpr73
	s_load_dwordx2 s[46:47], s[4:5], 0x78
	s_andn2_b64 vcc, exec, s[0:1]
	s_add_i32 s33, s33, s48
	s_cbranch_vccnz .LBB240_50
.LBB240_3:
	v_cmp_gt_u32_e32 vcc, s33, v0
                                        ; implicit-def: $vgpr2_vgpr3
	s_and_saveexec_b64 s[2:3], vcc
	s_cbranch_execz .LBB240_5
; %bb.4:
	v_lshlrev_b32_e32 v1, 3, v0
	v_mov_b32_e32 v3, s64
	v_add_co_u32_e64 v2, s[0:1], s7, v1
	v_addc_co_u32_e64 v3, s[0:1], 0, v3, s[0:1]
	flat_load_dwordx2 v[2:3], v[2:3]
.LBB240_5:
	s_or_b64 exec, exec, s[2:3]
	v_or_b32_e32 v1, 0x100, v0
	v_cmp_gt_u32_e64 s[0:1], s33, v1
                                        ; implicit-def: $vgpr4_vgpr5
	s_and_saveexec_b64 s[4:5], s[0:1]
	s_cbranch_execz .LBB240_7
; %bb.6:
	v_lshlrev_b32_e32 v1, 3, v0
	v_mov_b32_e32 v5, s64
	v_add_co_u32_e64 v4, s[2:3], s7, v1
	v_addc_co_u32_e64 v5, s[2:3], 0, v5, s[2:3]
	flat_load_dwordx2 v[4:5], v[4:5] offset:2048
.LBB240_7:
	s_or_b64 exec, exec, s[4:5]
	v_or_b32_e32 v1, 0x200, v0
	v_cmp_gt_u32_e64 s[2:3], s33, v1
	v_lshlrev_b32_e32 v36, 3, v1
                                        ; implicit-def: $vgpr6_vgpr7
	s_and_saveexec_b64 s[8:9], s[2:3]
	s_cbranch_execz .LBB240_9
; %bb.8:
	v_mov_b32_e32 v1, s64
	v_add_co_u32_e64 v6, s[4:5], s7, v36
	v_addc_co_u32_e64 v7, s[4:5], 0, v1, s[4:5]
	flat_load_dwordx2 v[6:7], v[6:7]
.LBB240_9:
	s_or_b64 exec, exec, s[8:9]
	v_or_b32_e32 v1, 0x300, v0
	v_cmp_gt_u32_e64 s[4:5], s33, v1
	v_lshlrev_b32_e32 v38, 3, v1
                                        ; implicit-def: $vgpr8_vgpr9
	s_and_saveexec_b64 s[10:11], s[4:5]
	s_cbranch_execz .LBB240_11
; %bb.10:
	v_mov_b32_e32 v1, s64
	v_add_co_u32_e64 v8, s[8:9], s7, v38
	v_addc_co_u32_e64 v9, s[8:9], 0, v1, s[8:9]
	flat_load_dwordx2 v[8:9], v[8:9]
.LBB240_11:
	s_or_b64 exec, exec, s[10:11]
	v_or_b32_e32 v1, 0x400, v0
	v_cmp_gt_u32_e64 s[28:29], s33, v1
	v_lshlrev_b32_e32 v40, 3, v1
                                        ; implicit-def: $vgpr10_vgpr11
	s_and_saveexec_b64 s[10:11], s[28:29]
	s_cbranch_execz .LBB240_13
; %bb.12:
	v_mov_b32_e32 v1, s64
	v_add_co_u32_e64 v10, s[8:9], s7, v40
	v_addc_co_u32_e64 v11, s[8:9], 0, v1, s[8:9]
	flat_load_dwordx2 v[10:11], v[10:11]
.LBB240_13:
	s_or_b64 exec, exec, s[10:11]
	v_or_b32_e32 v1, 0x500, v0
	v_cmp_gt_u32_e64 s[8:9], s33, v1
	v_lshlrev_b32_e32 v42, 3, v1
                                        ; implicit-def: $vgpr12_vgpr13
	s_and_saveexec_b64 s[12:13], s[8:9]
	s_cbranch_execz .LBB240_15
; %bb.14:
	v_mov_b32_e32 v1, s64
	v_add_co_u32_e64 v12, s[10:11], s7, v42
	v_addc_co_u32_e64 v13, s[10:11], 0, v1, s[10:11]
	flat_load_dwordx2 v[12:13], v[12:13]
.LBB240_15:
	s_or_b64 exec, exec, s[12:13]
	v_or_b32_e32 v1, 0x600, v0
	v_cmp_gt_u32_e64 s[10:11], s33, v1
	v_lshlrev_b32_e32 v44, 3, v1
                                        ; implicit-def: $vgpr14_vgpr15
	s_and_saveexec_b64 s[14:15], s[10:11]
	s_cbranch_execz .LBB240_17
; %bb.16:
	v_mov_b32_e32 v1, s64
	v_add_co_u32_e64 v14, s[12:13], s7, v44
	v_addc_co_u32_e64 v15, s[12:13], 0, v1, s[12:13]
	flat_load_dwordx2 v[14:15], v[14:15]
.LBB240_17:
	s_or_b64 exec, exec, s[14:15]
	v_or_b32_e32 v1, 0x700, v0
	v_cmp_gt_u32_e64 s[12:13], s33, v1
	v_lshlrev_b32_e32 v46, 3, v1
                                        ; implicit-def: $vgpr16_vgpr17
	s_and_saveexec_b64 s[16:17], s[12:13]
	s_cbranch_execz .LBB240_19
; %bb.18:
	v_mov_b32_e32 v1, s64
	v_add_co_u32_e64 v16, s[14:15], s7, v46
	v_addc_co_u32_e64 v17, s[14:15], 0, v1, s[14:15]
	flat_load_dwordx2 v[16:17], v[16:17]
.LBB240_19:
	s_or_b64 exec, exec, s[16:17]
	v_or_b32_e32 v1, 0x800, v0
	v_cmp_gt_u32_e64 s[14:15], s33, v1
	v_lshlrev_b32_e32 v48, 3, v1
                                        ; implicit-def: $vgpr18_vgpr19
	s_and_saveexec_b64 s[18:19], s[14:15]
	s_cbranch_execz .LBB240_21
; %bb.20:
	v_mov_b32_e32 v1, s64
	v_add_co_u32_e64 v18, s[16:17], s7, v48
	v_addc_co_u32_e64 v19, s[16:17], 0, v1, s[16:17]
	flat_load_dwordx2 v[18:19], v[18:19]
.LBB240_21:
	s_or_b64 exec, exec, s[18:19]
	v_or_b32_e32 v1, 0x900, v0
	v_cmp_gt_u32_e64 s[16:17], s33, v1
	v_lshlrev_b32_e32 v50, 3, v1
                                        ; implicit-def: $vgpr20_vgpr21
	s_and_saveexec_b64 s[20:21], s[16:17]
	s_cbranch_execz .LBB240_23
; %bb.22:
	v_mov_b32_e32 v1, s64
	v_add_co_u32_e64 v20, s[18:19], s7, v50
	v_addc_co_u32_e64 v21, s[18:19], 0, v1, s[18:19]
	flat_load_dwordx2 v[20:21], v[20:21]
.LBB240_23:
	s_or_b64 exec, exec, s[20:21]
	v_or_b32_e32 v1, 0xa00, v0
	v_cmp_gt_u32_e64 s[18:19], s33, v1
	v_lshlrev_b32_e32 v52, 3, v1
                                        ; implicit-def: $vgpr22_vgpr23
	s_and_saveexec_b64 s[22:23], s[18:19]
	s_cbranch_execz .LBB240_25
; %bb.24:
	v_mov_b32_e32 v1, s64
	v_add_co_u32_e64 v22, s[20:21], s7, v52
	v_addc_co_u32_e64 v23, s[20:21], 0, v1, s[20:21]
	flat_load_dwordx2 v[22:23], v[22:23]
.LBB240_25:
	s_or_b64 exec, exec, s[22:23]
	v_or_b32_e32 v1, 0xb00, v0
	v_cmp_gt_u32_e64 s[20:21], s33, v1
	v_lshlrev_b32_e32 v54, 3, v1
                                        ; implicit-def: $vgpr24_vgpr25
	s_and_saveexec_b64 s[24:25], s[20:21]
	s_cbranch_execz .LBB240_27
; %bb.26:
	v_mov_b32_e32 v1, s64
	v_add_co_u32_e64 v24, s[22:23], s7, v54
	v_addc_co_u32_e64 v25, s[22:23], 0, v1, s[22:23]
	flat_load_dwordx2 v[24:25], v[24:25]
.LBB240_27:
	s_or_b64 exec, exec, s[24:25]
	v_or_b32_e32 v1, 0xc00, v0
	v_cmp_gt_u32_e64 s[22:23], s33, v1
	v_lshlrev_b32_e32 v56, 3, v1
                                        ; implicit-def: $vgpr26_vgpr27
	s_and_saveexec_b64 s[26:27], s[22:23]
	s_cbranch_execz .LBB240_29
; %bb.28:
	v_mov_b32_e32 v1, s64
	v_add_co_u32_e64 v26, s[24:25], s7, v56
	v_addc_co_u32_e64 v27, s[24:25], 0, v1, s[24:25]
	flat_load_dwordx2 v[26:27], v[26:27]
.LBB240_29:
	s_or_b64 exec, exec, s[26:27]
	v_or_b32_e32 v1, 0xd00, v0
	v_cmp_gt_u32_e64 s[24:25], s33, v1
	v_lshlrev_b32_e32 v58, 3, v1
                                        ; implicit-def: $vgpr28_vgpr29
	s_and_saveexec_b64 s[30:31], s[24:25]
	s_cbranch_execz .LBB240_31
; %bb.30:
	v_mov_b32_e32 v1, s64
	v_add_co_u32_e64 v28, s[26:27], s7, v58
	v_addc_co_u32_e64 v29, s[26:27], 0, v1, s[26:27]
	flat_load_dwordx2 v[28:29], v[28:29]
.LBB240_31:
	s_or_b64 exec, exec, s[30:31]
	v_or_b32_e32 v1, 0xe00, v0
	v_cmp_gt_u32_e64 s[26:27], s33, v1
	v_lshlrev_b32_e32 v61, 3, v1
                                        ; implicit-def: $vgpr30_vgpr31
	s_and_saveexec_b64 s[44:45], s[26:27]
	s_cbranch_execz .LBB240_33
; %bb.32:
	v_mov_b32_e32 v1, s64
	v_add_co_u32_e64 v30, s[30:31], s7, v61
	v_addc_co_u32_e64 v31, s[30:31], 0, v1, s[30:31]
	flat_load_dwordx2 v[30:31], v[30:31]
.LBB240_33:
	s_or_b64 exec, exec, s[44:45]
	v_lshlrev_b32_e32 v60, 3, v0
	s_movk_i32 s30, 0x70
	v_mad_u32_u24 v1, v0, s30, v60
	s_waitcnt vmcnt(0) lgkmcnt(0)
	ds_write2st64_b64 v60, v[2:3], v[4:5] offset1:4
	ds_write2st64_b64 v60, v[6:7], v[8:9] offset0:8 offset1:12
	ds_write2st64_b64 v60, v[10:11], v[12:13] offset0:16 offset1:20
	;; [unrolled: 1-line block ×6, first 2 shown]
	ds_write_b64 v60, v[30:31] offset:28672
	s_waitcnt lgkmcnt(0)
	s_barrier
	ds_read2_b64 v[26:29], v1 offset1:1
	ds_read2_b64 v[22:25], v1 offset0:2 offset1:3
	ds_read2_b64 v[18:21], v1 offset0:4 offset1:5
	;; [unrolled: 1-line block ×6, first 2 shown]
	ds_read_b64 v[74:75], v1 offset:112
	s_waitcnt lgkmcnt(0)
	s_barrier
	s_waitcnt lgkmcnt(0)
                                        ; implicit-def: $vgpr30_vgpr31
	s_and_saveexec_b64 s[30:31], vcc
	s_cbranch_execnz .LBB240_57
; %bb.34:
	s_or_b64 exec, exec, s[30:31]
                                        ; implicit-def: $vgpr32_vgpr33
	s_and_saveexec_b64 s[30:31], s[0:1]
	s_cbranch_execnz .LBB240_58
.LBB240_35:
	s_or_b64 exec, exec, s[30:31]
                                        ; implicit-def: $vgpr34_vgpr35
	s_and_saveexec_b64 s[0:1], s[2:3]
	s_cbranch_execnz .LBB240_59
.LBB240_36:
	s_or_b64 exec, exec, s[0:1]
                                        ; implicit-def: $vgpr36_vgpr37
	s_and_saveexec_b64 s[0:1], s[4:5]
	s_cbranch_execnz .LBB240_60
.LBB240_37:
	s_or_b64 exec, exec, s[0:1]
                                        ; implicit-def: $vgpr38_vgpr39
	s_and_saveexec_b64 s[0:1], s[28:29]
	s_cbranch_execnz .LBB240_61
.LBB240_38:
	s_or_b64 exec, exec, s[0:1]
                                        ; implicit-def: $vgpr40_vgpr41
	s_and_saveexec_b64 s[0:1], s[8:9]
	s_cbranch_execnz .LBB240_62
.LBB240_39:
	s_or_b64 exec, exec, s[0:1]
                                        ; implicit-def: $vgpr42_vgpr43
	s_and_saveexec_b64 s[0:1], s[10:11]
	s_cbranch_execnz .LBB240_63
.LBB240_40:
	s_or_b64 exec, exec, s[0:1]
                                        ; implicit-def: $vgpr44_vgpr45
	s_and_saveexec_b64 s[0:1], s[12:13]
	s_cbranch_execnz .LBB240_64
.LBB240_41:
	s_or_b64 exec, exec, s[0:1]
                                        ; implicit-def: $vgpr46_vgpr47
	s_and_saveexec_b64 s[0:1], s[14:15]
	s_cbranch_execnz .LBB240_65
.LBB240_42:
	s_or_b64 exec, exec, s[0:1]
                                        ; implicit-def: $vgpr48_vgpr49
	s_and_saveexec_b64 s[0:1], s[16:17]
	s_cbranch_execnz .LBB240_66
.LBB240_43:
	s_or_b64 exec, exec, s[0:1]
                                        ; implicit-def: $vgpr50_vgpr51
	s_and_saveexec_b64 s[0:1], s[18:19]
	s_cbranch_execnz .LBB240_67
.LBB240_44:
	s_or_b64 exec, exec, s[0:1]
                                        ; implicit-def: $vgpr52_vgpr53
	s_and_saveexec_b64 s[0:1], s[20:21]
	s_cbranch_execnz .LBB240_68
.LBB240_45:
	s_or_b64 exec, exec, s[0:1]
                                        ; implicit-def: $vgpr54_vgpr55
	s_and_saveexec_b64 s[0:1], s[22:23]
	s_cbranch_execnz .LBB240_69
.LBB240_46:
	s_or_b64 exec, exec, s[0:1]
                                        ; implicit-def: $vgpr56_vgpr57
	s_and_saveexec_b64 s[0:1], s[24:25]
	s_cbranch_execnz .LBB240_70
.LBB240_47:
	s_or_b64 exec, exec, s[0:1]
                                        ; implicit-def: $vgpr58_vgpr59
	s_and_saveexec_b64 s[0:1], s[26:27]
	s_cbranch_execz .LBB240_49
.LBB240_48:
	v_mov_b32_e32 v59, s57
	v_add_co_u32_e32 v58, vcc, s56, v61
	v_addc_co_u32_e32 v59, vcc, 0, v59, vcc
	flat_load_dwordx2 v[58:59], v[58:59]
.LBB240_49:
	s_or_b64 exec, exec, s[0:1]
	s_waitcnt vmcnt(0) lgkmcnt(0)
	ds_write2st64_b64 v60, v[30:31], v[32:33] offset1:4
	ds_write2st64_b64 v60, v[34:35], v[36:37] offset0:8 offset1:12
	ds_write2st64_b64 v60, v[38:39], v[40:41] offset0:16 offset1:20
	;; [unrolled: 1-line block ×6, first 2 shown]
	ds_write_b64 v60, v[58:59] offset:28672
	v_mov_b32_e32 v58, v26
	v_mov_b32_e32 v59, v27
	;; [unrolled: 1-line block ×14, first 2 shown]
	s_waitcnt lgkmcnt(0)
	s_barrier
.LBB240_50:
	s_waitcnt lgkmcnt(0)
	ds_read2_b64 v[54:57], v1 offset1:1
	ds_read2_b64 v[50:53], v1 offset0:2 offset1:3
	ds_read2_b64 v[46:49], v1 offset0:4 offset1:5
	;; [unrolled: 1-line block ×6, first 2 shown]
	ds_read_b64 v[72:73], v1 offset:112
	s_cmp_eq_u64 s[52:53], 0
	s_cselect_b64 s[44:45], -1, 0
	s_cmp_lg_u64 s[52:53], 0
	s_mov_b64 s[56:57], 0
	s_cselect_b64 s[30:31], -1, 0
	s_and_b64 vcc, exec, s[54:55]
	s_waitcnt lgkmcnt(0)
	s_barrier
	s_cbranch_vccz .LBB240_56
; %bb.51:
	s_and_b64 vcc, exec, s[30:31]
	s_cbranch_vccz .LBB240_71
; %bb.52:
	v_mov_b32_e32 v1, s64
	v_add_co_u32_e64 v76, vcc, -8, s7
	v_addc_co_u32_e32 v77, vcc, -1, v1, vcc
	flat_load_dwordx2 v[76:77], v[76:77]
	v_lshlrev_b32_e32 v1, 3, v0
	v_cmp_ne_u64_e32 vcc, v[4:5], v[74:75]
	v_cmp_ne_u64_e64 s[0:1], v[2:3], v[4:5]
	v_cmp_ne_u64_e64 s[2:3], v[8:9], v[2:3]
	;; [unrolled: 1-line block ×13, first 2 shown]
	v_cmp_ne_u32_e64 s[28:29], 0, v0
	ds_write_b64 v1, v[74:75]
	s_waitcnt lgkmcnt(0)
	s_barrier
	s_and_saveexec_b64 s[54:55], s[28:29]
	s_cbranch_execz .LBB240_54
; %bb.53:
	v_add_u32_e32 v1, -8, v1
	s_waitcnt vmcnt(0)
	ds_read_b64 v[76:77], v1
.LBB240_54:
	s_or_b64 exec, exec, s[54:55]
	v_cndmask_b32_e64 v1, 0, 1, vcc
	v_cndmask_b32_e64 v100, 0, 1, s[0:1]
	v_cndmask_b32_e64 v101, 0, 1, s[2:3]
	;; [unrolled: 1-line block ×13, first 2 shown]
	s_waitcnt vmcnt(0) lgkmcnt(0)
	v_cmp_ne_u64_e64 s[0:1], v[76:77], v[26:27]
	s_mov_b64 s[56:57], -1
.LBB240_55:
                                        ; implicit-def: $sgpr4
	s_branch .LBB240_83
.LBB240_56:
                                        ; implicit-def: $sgpr0_sgpr1
                                        ; implicit-def: $vgpr1
                                        ; implicit-def: $vgpr100
                                        ; implicit-def: $vgpr101
                                        ; implicit-def: $vgpr102
                                        ; implicit-def: $vgpr103
                                        ; implicit-def: $vgpr104
                                        ; implicit-def: $vgpr105
                                        ; implicit-def: $vgpr106
                                        ; implicit-def: $vgpr107
                                        ; implicit-def: $vgpr108
                                        ; implicit-def: $vgpr109
                                        ; implicit-def: $vgpr110
                                        ; implicit-def: $vgpr111
                                        ; implicit-def: $vgpr112
                                        ; implicit-def: $sgpr4
	s_cbranch_execnz .LBB240_75
	s_branch .LBB240_83
.LBB240_57:
	v_mov_b32_e32 v31, s57
	v_add_co_u32_e32 v30, vcc, s56, v60
	v_addc_co_u32_e32 v31, vcc, 0, v31, vcc
	flat_load_dwordx2 v[30:31], v[30:31]
	s_or_b64 exec, exec, s[30:31]
                                        ; implicit-def: $vgpr32_vgpr33
	s_and_saveexec_b64 s[30:31], s[0:1]
	s_cbranch_execz .LBB240_35
.LBB240_58:
	v_mov_b32_e32 v33, s57
	v_add_co_u32_e32 v32, vcc, s56, v60
	v_addc_co_u32_e32 v33, vcc, 0, v33, vcc
	flat_load_dwordx2 v[32:33], v[32:33] offset:2048
	s_or_b64 exec, exec, s[30:31]
                                        ; implicit-def: $vgpr34_vgpr35
	s_and_saveexec_b64 s[0:1], s[2:3]
	s_cbranch_execz .LBB240_36
.LBB240_59:
	v_mov_b32_e32 v35, s57
	v_add_co_u32_e32 v34, vcc, s56, v36
	v_addc_co_u32_e32 v35, vcc, 0, v35, vcc
	flat_load_dwordx2 v[34:35], v[34:35]
	s_or_b64 exec, exec, s[0:1]
                                        ; implicit-def: $vgpr36_vgpr37
	s_and_saveexec_b64 s[0:1], s[4:5]
	s_cbranch_execz .LBB240_37
.LBB240_60:
	v_mov_b32_e32 v37, s57
	v_add_co_u32_e32 v36, vcc, s56, v38
	v_addc_co_u32_e32 v37, vcc, 0, v37, vcc
	flat_load_dwordx2 v[36:37], v[36:37]
	s_or_b64 exec, exec, s[0:1]
                                        ; implicit-def: $vgpr38_vgpr39
	s_and_saveexec_b64 s[0:1], s[28:29]
	s_cbranch_execz .LBB240_38
.LBB240_61:
	v_mov_b32_e32 v39, s57
	v_add_co_u32_e32 v38, vcc, s56, v40
	v_addc_co_u32_e32 v39, vcc, 0, v39, vcc
	flat_load_dwordx2 v[38:39], v[38:39]
	s_or_b64 exec, exec, s[0:1]
                                        ; implicit-def: $vgpr40_vgpr41
	s_and_saveexec_b64 s[0:1], s[8:9]
	s_cbranch_execz .LBB240_39
.LBB240_62:
	v_mov_b32_e32 v41, s57
	v_add_co_u32_e32 v40, vcc, s56, v42
	v_addc_co_u32_e32 v41, vcc, 0, v41, vcc
	flat_load_dwordx2 v[40:41], v[40:41]
	s_or_b64 exec, exec, s[0:1]
                                        ; implicit-def: $vgpr42_vgpr43
	s_and_saveexec_b64 s[0:1], s[10:11]
	s_cbranch_execz .LBB240_40
.LBB240_63:
	v_mov_b32_e32 v43, s57
	v_add_co_u32_e32 v42, vcc, s56, v44
	v_addc_co_u32_e32 v43, vcc, 0, v43, vcc
	flat_load_dwordx2 v[42:43], v[42:43]
	s_or_b64 exec, exec, s[0:1]
                                        ; implicit-def: $vgpr44_vgpr45
	s_and_saveexec_b64 s[0:1], s[12:13]
	s_cbranch_execz .LBB240_41
.LBB240_64:
	v_mov_b32_e32 v45, s57
	v_add_co_u32_e32 v44, vcc, s56, v46
	v_addc_co_u32_e32 v45, vcc, 0, v45, vcc
	flat_load_dwordx2 v[44:45], v[44:45]
	s_or_b64 exec, exec, s[0:1]
                                        ; implicit-def: $vgpr46_vgpr47
	s_and_saveexec_b64 s[0:1], s[14:15]
	s_cbranch_execz .LBB240_42
.LBB240_65:
	v_mov_b32_e32 v47, s57
	v_add_co_u32_e32 v46, vcc, s56, v48
	v_addc_co_u32_e32 v47, vcc, 0, v47, vcc
	flat_load_dwordx2 v[46:47], v[46:47]
	s_or_b64 exec, exec, s[0:1]
                                        ; implicit-def: $vgpr48_vgpr49
	s_and_saveexec_b64 s[0:1], s[16:17]
	s_cbranch_execz .LBB240_43
.LBB240_66:
	v_mov_b32_e32 v49, s57
	v_add_co_u32_e32 v48, vcc, s56, v50
	v_addc_co_u32_e32 v49, vcc, 0, v49, vcc
	flat_load_dwordx2 v[48:49], v[48:49]
	s_or_b64 exec, exec, s[0:1]
                                        ; implicit-def: $vgpr50_vgpr51
	s_and_saveexec_b64 s[0:1], s[18:19]
	s_cbranch_execz .LBB240_44
.LBB240_67:
	v_mov_b32_e32 v51, s57
	v_add_co_u32_e32 v50, vcc, s56, v52
	v_addc_co_u32_e32 v51, vcc, 0, v51, vcc
	flat_load_dwordx2 v[50:51], v[50:51]
	s_or_b64 exec, exec, s[0:1]
                                        ; implicit-def: $vgpr52_vgpr53
	s_and_saveexec_b64 s[0:1], s[20:21]
	s_cbranch_execz .LBB240_45
.LBB240_68:
	v_mov_b32_e32 v53, s57
	v_add_co_u32_e32 v52, vcc, s56, v54
	v_addc_co_u32_e32 v53, vcc, 0, v53, vcc
	flat_load_dwordx2 v[52:53], v[52:53]
	s_or_b64 exec, exec, s[0:1]
                                        ; implicit-def: $vgpr54_vgpr55
	s_and_saveexec_b64 s[0:1], s[22:23]
	s_cbranch_execz .LBB240_46
.LBB240_69:
	v_mov_b32_e32 v55, s57
	v_add_co_u32_e32 v54, vcc, s56, v56
	v_addc_co_u32_e32 v55, vcc, 0, v55, vcc
	flat_load_dwordx2 v[54:55], v[54:55]
	s_or_b64 exec, exec, s[0:1]
                                        ; implicit-def: $vgpr56_vgpr57
	s_and_saveexec_b64 s[0:1], s[24:25]
	s_cbranch_execz .LBB240_47
.LBB240_70:
	v_mov_b32_e32 v57, s57
	v_add_co_u32_e32 v56, vcc, s56, v58
	v_addc_co_u32_e32 v57, vcc, 0, v57, vcc
	flat_load_dwordx2 v[56:57], v[56:57]
	s_or_b64 exec, exec, s[0:1]
                                        ; implicit-def: $vgpr58_vgpr59
	s_and_saveexec_b64 s[0:1], s[26:27]
	s_cbranch_execnz .LBB240_48
	s_branch .LBB240_49
.LBB240_71:
                                        ; implicit-def: $sgpr0_sgpr1
                                        ; implicit-def: $vgpr1
                                        ; implicit-def: $vgpr100
                                        ; implicit-def: $vgpr101
                                        ; implicit-def: $vgpr102
                                        ; implicit-def: $vgpr103
                                        ; implicit-def: $vgpr104
                                        ; implicit-def: $vgpr105
                                        ; implicit-def: $vgpr106
                                        ; implicit-def: $vgpr107
                                        ; implicit-def: $vgpr108
                                        ; implicit-def: $vgpr109
                                        ; implicit-def: $vgpr110
                                        ; implicit-def: $vgpr111
                                        ; implicit-def: $vgpr112
	s_cbranch_execz .LBB240_55
; %bb.72:
	v_cmp_ne_u64_e32 vcc, v[28:29], v[58:59]
	v_cndmask_b32_e64 v112, 0, 1, vcc
	v_cmp_ne_u64_e32 vcc, v[28:29], v[60:61]
	v_cndmask_b32_e64 v111, 0, 1, vcc
	;; [unrolled: 2-line block ×13, first 2 shown]
	v_cmp_ne_u64_e32 vcc, v[4:5], v[74:75]
	v_lshlrev_b32_e32 v76, 3, v0
	v_cndmask_b32_e64 v1, 0, 1, vcc
	v_cmp_ne_u32_e32 vcc, 0, v0
	ds_write_b64 v76, v[74:75]
	s_waitcnt lgkmcnt(0)
	s_barrier
	s_waitcnt lgkmcnt(0)
                                        ; implicit-def: $sgpr0_sgpr1
	s_and_saveexec_b64 s[2:3], vcc
	s_xor_b64 s[2:3], exec, s[2:3]
	s_cbranch_execz .LBB240_74
; %bb.73:
	v_add_u32_e32 v58, -8, v76
	ds_read_b64 v[58:59], v58
	s_or_b64 s[56:57], s[56:57], exec
	s_waitcnt lgkmcnt(0)
	v_cmp_ne_u64_e32 vcc, v[58:59], v[26:27]
	s_and_b64 s[0:1], vcc, exec
.LBB240_74:
	s_or_b64 exec, exec, s[2:3]
	s_mov_b32 s4, 1
	s_branch .LBB240_83
.LBB240_75:
	s_mul_hi_u32 s1, s52, 0xfffff100
	s_mul_i32 s0, s53, 0xfffff100
	s_sub_i32 s1, s1, s52
	s_add_i32 s1, s1, s0
	s_mul_i32 s0, s52, 0xfffff100
	s_add_u32 s48, s0, s48
	s_addc_u32 s49, s1, s49
	s_and_b64 vcc, exec, s[30:31]
	v_cmp_ne_u64_e64 s[28:29], v[4:5], v[74:75]
	v_cmp_ne_u64_e64 s[26:27], v[2:3], v[4:5]
	;; [unrolled: 1-line block ×14, first 2 shown]
	v_mad_u32_u24 v58, v0, 15, 14
	v_mad_u32_u24 v88, v0, 15, 13
	;; [unrolled: 1-line block ×14, first 2 shown]
	v_cmp_ne_u32_e64 s[8:9], 0, v0
	s_cbranch_vccz .LBB240_80
; %bb.76:
	v_mov_b32_e32 v1, s64
	v_add_co_u32_e64 v90, vcc, -8, s7
	v_addc_co_u32_e32 v91, vcc, -1, v1, vcc
	flat_load_dwordx2 v[90:91], v[90:91]
	v_mov_b32_e32 v59, 0
	v_cmp_gt_u64_e32 vcc, s[48:49], v[58:59]
	v_mov_b32_e32 v89, v59
	s_and_b64 s[28:29], vcc, s[28:29]
	v_cmp_gt_u64_e32 vcc, s[48:49], v[88:89]
	v_mov_b32_e32 v87, v59
	s_and_b64 s[26:27], vcc, s[26:27]
	;; [unrolled: 3-line block ×13, first 2 shown]
	v_cmp_gt_u64_e32 vcc, s[48:49], v[60:61]
	v_lshlrev_b32_e32 v1, 3, v0
	v_mul_u32_u24_e32 v92, 15, v0
	s_and_b64 s[0:1], vcc, s[0:1]
	ds_write_b64 v1, v[74:75]
	s_waitcnt lgkmcnt(0)
	s_barrier
	s_and_saveexec_b64 s[52:53], s[8:9]
	s_cbranch_execz .LBB240_78
; %bb.77:
	v_add_u32_e32 v1, -8, v1
	s_waitcnt vmcnt(0)
	ds_read_b64 v[90:91], v1
.LBB240_78:
	s_or_b64 exec, exec, s[52:53]
	v_mov_b32_e32 v93, v59
	v_cndmask_b32_e64 v112, 0, 1, s[0:1]
	v_cmp_gt_u64_e32 vcc, s[48:49], v[92:93]
	s_waitcnt vmcnt(0) lgkmcnt(0)
	v_cmp_ne_u64_e64 s[0:1], v[90:91], v[26:27]
	v_cndmask_b32_e64 v1, 0, 1, s[28:29]
	v_cndmask_b32_e64 v100, 0, 1, s[26:27]
	;; [unrolled: 1-line block ×13, first 2 shown]
	s_and_b64 s[0:1], vcc, s[0:1]
	s_mov_b64 s[56:57], -1
.LBB240_79:
                                        ; implicit-def: $sgpr4
	v_mov_b32_e32 v113, s4
	s_and_saveexec_b64 s[2:3], s[56:57]
	s_cbranch_execnz .LBB240_84
	s_branch .LBB240_85
.LBB240_80:
                                        ; implicit-def: $sgpr0_sgpr1
                                        ; implicit-def: $vgpr1
                                        ; implicit-def: $vgpr100
                                        ; implicit-def: $vgpr101
                                        ; implicit-def: $vgpr102
                                        ; implicit-def: $vgpr103
                                        ; implicit-def: $vgpr104
                                        ; implicit-def: $vgpr105
                                        ; implicit-def: $vgpr106
                                        ; implicit-def: $vgpr107
                                        ; implicit-def: $vgpr108
                                        ; implicit-def: $vgpr109
                                        ; implicit-def: $vgpr110
                                        ; implicit-def: $vgpr111
                                        ; implicit-def: $vgpr112
	s_cbranch_execz .LBB240_79
; %bb.81:
	v_mov_b32_e32 v59, 0
	v_cmp_gt_u64_e32 vcc, s[48:49], v[58:59]
	v_cmp_ne_u64_e64 s[0:1], v[4:5], v[74:75]
	s_and_b64 s[0:1], vcc, s[0:1]
	v_mov_b32_e32 v89, v59
	v_cndmask_b32_e64 v1, 0, 1, s[0:1]
	v_cmp_gt_u64_e32 vcc, s[48:49], v[88:89]
	v_cmp_ne_u64_e64 s[0:1], v[2:3], v[4:5]
	s_and_b64 s[0:1], vcc, s[0:1]
	v_mov_b32_e32 v87, v59
	v_cndmask_b32_e64 v100, 0, 1, s[0:1]
	;; [unrolled: 5-line block ×13, first 2 shown]
	v_cmp_gt_u64_e32 vcc, s[48:49], v[60:61]
	v_cmp_ne_u64_e64 s[0:1], v[26:27], v[28:29]
	s_and_b64 s[0:1], vcc, s[0:1]
	v_lshlrev_b32_e32 v90, 3, v0
	s_mov_b32 s4, 1
	v_cndmask_b32_e64 v112, 0, 1, s[0:1]
	v_cmp_ne_u32_e32 vcc, 0, v0
	ds_write_b64 v90, v[74:75]
	s_waitcnt lgkmcnt(0)
	s_barrier
	s_waitcnt lgkmcnt(0)
                                        ; implicit-def: $sgpr0_sgpr1
	s_and_saveexec_b64 s[2:3], vcc
	s_cbranch_execz .LBB240_220
; %bb.82:
	v_add_u32_e32 v58, -8, v90
	ds_read_b64 v[60:61], v58
	v_mul_u32_u24_e32 v58, 15, v0
	v_cmp_gt_u64_e32 vcc, s[48:49], v[58:59]
	s_or_b64 s[56:57], s[56:57], exec
	s_waitcnt lgkmcnt(0)
	v_cmp_ne_u64_e64 s[0:1], v[60:61], v[26:27]
	s_and_b64 s[0:1], vcc, s[0:1]
	s_and_b64 s[0:1], s[0:1], exec
	s_or_b64 exec, exec, s[2:3]
.LBB240_83:
	v_mov_b32_e32 v113, s4
	s_and_saveexec_b64 s[2:3], s[56:57]
.LBB240_84:
	v_cndmask_b32_e64 v113, 0, 1, s[0:1]
.LBB240_85:
	s_or_b64 exec, exec, s[2:3]
	s_cmp_eq_u64 s[42:43], 0
	v_add3_u32 v58, v112, v113, v111
	v_mov_b32_e32 v96, v54
	v_mov_b32_e32 v97, v55
	s_cselect_b64 s[30:31], -1, 0
	s_cmp_lg_u32 s6, 0
	v_cmp_eq_u32_e64 s[24:25], 0, v112
	v_cmp_eq_u32_e64 s[22:23], 0, v111
	;; [unrolled: 1-line block ×3, first 2 shown]
	v_add3_u32 v115, v58, v110, v109
	v_cmp_eq_u32_e64 s[18:19], 0, v109
	v_cmp_eq_u32_e64 s[16:17], 0, v108
	;; [unrolled: 1-line block ×10, first 2 shown]
	v_cmp_eq_u32_e32 vcc, 0, v1
	v_mbcnt_lo_u32_b32 v114, -1, 0
	s_cbranch_scc0 .LBB240_152
; %bb.86:
	v_cndmask_b32_e64 v59, 0, v54, s[24:25]
	v_cndmask_b32_e64 v58, 0, v55, s[24:25]
	v_add_co_u32_e64 v59, s[26:27], v59, v56
	v_addc_co_u32_e64 v58, s[26:27], v58, v57, s[26:27]
	v_cndmask_b32_e64 v59, 0, v59, s[22:23]
	v_cndmask_b32_e64 v58, 0, v58, s[22:23]
	v_add_co_u32_e64 v59, s[26:27], v59, v50
	v_addc_co_u32_e64 v58, s[26:27], v58, v51, s[26:27]
	;; [unrolled: 4-line block ×11, first 2 shown]
	v_cndmask_b32_e64 v59, 0, v59, s[2:3]
	v_add3_u32 v60, v115, v108, v107
	v_cndmask_b32_e64 v58, 0, v58, s[2:3]
	v_add_co_u32_e64 v59, s[26:27], v59, v30
	v_add3_u32 v60, v60, v106, v105
	v_addc_co_u32_e64 v58, s[26:27], v58, v31, s[26:27]
	v_cndmask_b32_e64 v59, 0, v59, s[0:1]
	v_add3_u32 v60, v60, v104, v103
	v_cndmask_b32_e64 v58, 0, v58, s[0:1]
	v_add_co_u32_e64 v59, s[26:27], v59, v32
	v_add3_u32 v60, v60, v102, v101
	v_addc_co_u32_e64 v58, s[26:27], v58, v33, s[26:27]
	v_cndmask_b32_e32 v59, 0, v59, vcc
	v_add3_u32 v62, v60, v100, v1
	v_cndmask_b32_e32 v58, 0, v58, vcc
	v_add_co_u32_e32 v60, vcc, v59, v72
	v_mbcnt_hi_u32_b32 v63, -1, v114
	v_addc_co_u32_e32 v61, vcc, v58, v73, vcc
	v_and_b32_e32 v58, 15, v63
	v_mov_b32_dpp v64, v62 row_shr:1 row_mask:0xf bank_mask:0xf
	v_mov_b32_dpp v59, v60 row_shr:1 row_mask:0xf bank_mask:0xf
	;; [unrolled: 1-line block ×3, first 2 shown]
	v_cmp_ne_u32_e32 vcc, 0, v58
	s_and_saveexec_b64 s[26:27], vcc
; %bb.87:
	v_cmp_eq_u32_e32 vcc, 0, v62
	v_cndmask_b32_e32 v59, 0, v59, vcc
	v_add_u32_e32 v64, v64, v62
	v_cndmask_b32_e32 v62, 0, v65, vcc
	v_add_co_u32_e32 v60, vcc, v59, v60
	v_addc_co_u32_e32 v61, vcc, v62, v61, vcc
	v_mov_b32_e32 v62, v64
; %bb.88:
	s_or_b64 exec, exec, s[26:27]
	s_nop 0
	v_mov_b32_dpp v64, v62 row_shr:2 row_mask:0xf bank_mask:0xf
	v_mov_b32_dpp v59, v60 row_shr:2 row_mask:0xf bank_mask:0xf
	v_mov_b32_dpp v65, v61 row_shr:2 row_mask:0xf bank_mask:0xf
	v_cmp_lt_u32_e32 vcc, 1, v58
	s_and_saveexec_b64 s[26:27], vcc
; %bb.89:
	v_cmp_eq_u32_e32 vcc, 0, v62
	v_cndmask_b32_e32 v59, 0, v59, vcc
	v_add_u32_e32 v64, v64, v62
	v_cndmask_b32_e32 v62, 0, v65, vcc
	v_add_co_u32_e32 v60, vcc, v59, v60
	v_addc_co_u32_e32 v61, vcc, v62, v61, vcc
	v_mov_b32_e32 v62, v64
; %bb.90:
	s_or_b64 exec, exec, s[26:27]
	s_nop 0
	v_mov_b32_dpp v64, v62 row_shr:4 row_mask:0xf bank_mask:0xf
	v_mov_b32_dpp v59, v60 row_shr:4 row_mask:0xf bank_mask:0xf
	v_mov_b32_dpp v65, v61 row_shr:4 row_mask:0xf bank_mask:0xf
	v_cmp_lt_u32_e32 vcc, 3, v58
	;; [unrolled: 16-line block ×3, first 2 shown]
	s_and_saveexec_b64 s[26:27], vcc
; %bb.93:
	v_cmp_eq_u32_e32 vcc, 0, v62
	v_cndmask_b32_e32 v59, 0, v59, vcc
	v_add_u32_e32 v58, v64, v62
	v_cndmask_b32_e32 v62, 0, v65, vcc
	v_add_co_u32_e32 v60, vcc, v59, v60
	v_addc_co_u32_e32 v61, vcc, v62, v61, vcc
	v_mov_b32_e32 v62, v58
; %bb.94:
	s_or_b64 exec, exec, s[26:27]
	v_and_b32_e32 v65, 16, v63
	v_mov_b32_dpp v59, v62 row_bcast:15 row_mask:0xf bank_mask:0xf
	v_mov_b32_dpp v58, v60 row_bcast:15 row_mask:0xf bank_mask:0xf
	v_mov_b32_dpp v64, v61 row_bcast:15 row_mask:0xf bank_mask:0xf
	v_cmp_ne_u32_e32 vcc, 0, v65
	s_and_saveexec_b64 s[26:27], vcc
; %bb.95:
	v_cmp_eq_u32_e32 vcc, 0, v62
	v_cndmask_b32_e32 v58, 0, v58, vcc
	v_add_u32_e32 v59, v59, v62
	v_cndmask_b32_e32 v62, 0, v64, vcc
	v_add_co_u32_e32 v60, vcc, v58, v60
	v_addc_co_u32_e32 v61, vcc, v62, v61, vcc
	v_mov_b32_e32 v62, v59
; %bb.96:
	s_or_b64 exec, exec, s[26:27]
	s_nop 0
	v_mov_b32_dpp v59, v62 row_bcast:31 row_mask:0xf bank_mask:0xf
	v_mov_b32_dpp v58, v60 row_bcast:31 row_mask:0xf bank_mask:0xf
	;; [unrolled: 1-line block ×3, first 2 shown]
	v_cmp_lt_u32_e32 vcc, 31, v63
	s_and_saveexec_b64 s[26:27], vcc
; %bb.97:
	v_cmp_eq_u32_e32 vcc, 0, v62
	v_cndmask_b32_e32 v58, 0, v58, vcc
	v_add_u32_e32 v59, v59, v62
	v_cndmask_b32_e32 v62, 0, v64, vcc
	v_add_co_u32_e32 v60, vcc, v58, v60
	v_addc_co_u32_e32 v61, vcc, v62, v61, vcc
	v_mov_b32_e32 v62, v59
; %bb.98:
	s_or_b64 exec, exec, s[26:27]
	v_lshrrev_b32_e32 v58, 6, v0
	v_or_b32_e32 v59, 63, v0
	v_cmp_eq_u32_e32 vcc, v59, v0
	v_lshlrev_b32_e32 v64, 4, v58
	s_and_saveexec_b64 s[26:27], vcc
	s_cbranch_execz .LBB240_100
; %bb.99:
	ds_write_b32 v64, v62 offset:4128
	ds_write_b64 v64, v[60:61] offset:4136
.LBB240_100:
	s_or_b64 exec, exec, s[26:27]
	v_cmp_gt_u32_e32 vcc, 4, v0
	s_waitcnt lgkmcnt(0)
	s_barrier
	s_and_saveexec_b64 s[26:27], vcc
	s_cbranch_execz .LBB240_106
; %bb.101:
	v_lshlrev_b32_e32 v65, 4, v0
	ds_read_b32 v66, v65 offset:4128
	ds_read_b64 v[58:59], v65 offset:4136
	v_and_b32_e32 v67, 3, v63
	v_cmp_ne_u32_e32 vcc, 0, v67
	s_waitcnt lgkmcnt(1)
	v_mov_b32_dpp v69, v66 row_shr:1 row_mask:0xf bank_mask:0xf
	s_waitcnt lgkmcnt(0)
	v_mov_b32_dpp v68, v58 row_shr:1 row_mask:0xf bank_mask:0xf
	v_mov_b32_dpp v70, v59 row_shr:1 row_mask:0xf bank_mask:0xf
	s_and_saveexec_b64 s[42:43], vcc
; %bb.102:
	v_cmp_eq_u32_e32 vcc, 0, v66
	v_cndmask_b32_e32 v68, 0, v68, vcc
	v_add_u32_e32 v69, v69, v66
	v_cndmask_b32_e32 v66, 0, v70, vcc
	v_add_co_u32_e32 v58, vcc, v68, v58
	v_addc_co_u32_e32 v59, vcc, v66, v59, vcc
	v_mov_b32_e32 v66, v69
; %bb.103:
	s_or_b64 exec, exec, s[42:43]
	s_nop 0
	v_mov_b32_dpp v69, v66 row_shr:2 row_mask:0xf bank_mask:0xf
	v_mov_b32_dpp v68, v58 row_shr:2 row_mask:0xf bank_mask:0xf
	;; [unrolled: 1-line block ×3, first 2 shown]
	v_cmp_lt_u32_e32 vcc, 1, v67
	s_and_saveexec_b64 s[42:43], vcc
; %bb.104:
	v_cmp_eq_u32_e32 vcc, 0, v66
	v_cndmask_b32_e32 v68, 0, v68, vcc
	v_add_u32_e32 v67, v69, v66
	v_cndmask_b32_e32 v66, 0, v70, vcc
	v_add_co_u32_e32 v58, vcc, v68, v58
	v_addc_co_u32_e32 v59, vcc, v66, v59, vcc
	v_mov_b32_e32 v66, v67
; %bb.105:
	s_or_b64 exec, exec, s[42:43]
	ds_write_b32 v65, v66 offset:4128
	ds_write_b64 v65, v[58:59] offset:4136
.LBB240_106:
	s_or_b64 exec, exec, s[26:27]
	v_cmp_gt_u32_e32 vcc, 64, v0
	v_cmp_lt_u32_e64 s[26:27], 63, v0
	v_pk_mov_b32 v[58:59], 0, 0
	v_mov_b32_e32 v70, 0
	s_waitcnt lgkmcnt(0)
	s_barrier
	s_and_saveexec_b64 s[42:43], s[26:27]
	s_cbranch_execz .LBB240_108
; %bb.107:
	ds_read_b32 v70, v64 offset:4112
	ds_read_b64 v[58:59], v64 offset:4120
	v_cmp_eq_u32_e64 s[26:27], 0, v62
	s_waitcnt lgkmcnt(1)
	v_add_u32_e32 v64, v70, v62
	s_waitcnt lgkmcnt(0)
	v_cndmask_b32_e64 v65, 0, v58, s[26:27]
	v_cndmask_b32_e64 v62, 0, v59, s[26:27]
	v_add_co_u32_e64 v60, s[26:27], v65, v60
	v_addc_co_u32_e64 v61, s[26:27], v62, v61, s[26:27]
	v_mov_b32_e32 v62, v64
.LBB240_108:
	s_or_b64 exec, exec, s[42:43]
	v_add_u32_e32 v64, -1, v63
	v_and_b32_e32 v65, 64, v63
	v_cmp_lt_i32_e64 s[26:27], v64, v65
	v_cndmask_b32_e64 v64, v64, v63, s[26:27]
	v_lshlrev_b32_e32 v64, 2, v64
	ds_bpermute_b32 v71, v64, v62
	ds_bpermute_b32 v76, v64, v60
	;; [unrolled: 1-line block ×3, first 2 shown]
	v_cmp_eq_u32_e64 s[26:27], 0, v63
	s_and_saveexec_b64 s[42:43], vcc
	s_cbranch_execz .LBB240_151
; %bb.109:
	v_mov_b32_e32 v65, 0
	ds_read_b32 v78, v65 offset:4176
	ds_read_b64 v[60:61], v65 offset:4184
	s_and_saveexec_b64 s[48:49], s[26:27]
	s_cbranch_execz .LBB240_111
; %bb.110:
	s_add_i32 s52, s6, 64
	s_mov_b32 s53, 0
	s_lshl_b64 s[54:55], s[52:53], 4
	s_add_u32 s54, s36, s54
	s_addc_u32 s55, s37, s55
	v_mov_b32_e32 v62, s52
	v_mov_b32_e32 v64, 1
	s_waitcnt lgkmcnt(1)
	global_store_dword v65, v78, s[54:55]
	s_waitcnt lgkmcnt(0)
	global_store_dwordx2 v65, v[60:61], s[54:55] offset:8
	s_waitcnt vmcnt(0)
	buffer_wbinvl1_vol
	global_store_byte v62, v64, s[40:41]
.LBB240_111:
	s_or_b64 exec, exec, s[48:49]
	v_xad_u32 v62, v63, -1, s6
	v_add_u32_e32 v64, 64, v62
	global_load_ubyte v79, v64, s[40:41] glc
	s_waitcnt vmcnt(0)
	v_cmp_eq_u16_e32 vcc, 0, v79
	s_and_saveexec_b64 s[48:49], vcc
	s_cbranch_execz .LBB240_115
; %bb.112:
	v_mov_b32_e32 v67, s41
	v_add_co_u32_e32 v66, vcc, s40, v64
	v_addc_co_u32_e32 v67, vcc, 0, v67, vcc
	s_mov_b64 s[52:53], 0
.LBB240_113:                            ; =>This Inner Loop Header: Depth=1
	global_load_ubyte v79, v[66:67], off glc
	s_waitcnt vmcnt(0)
	v_cmp_ne_u16_e32 vcc, 0, v79
	s_or_b64 s[52:53], vcc, s[52:53]
	s_andn2_b64 exec, exec, s[52:53]
	s_cbranch_execnz .LBB240_113
; %bb.114:
	s_or_b64 exec, exec, s[52:53]
.LBB240_115:
	s_or_b64 exec, exec, s[48:49]
	v_mov_b32_e32 v66, s39
	v_mov_b32_e32 v67, s37
	v_cmp_eq_u16_e32 vcc, 1, v79
	v_cndmask_b32_e32 v66, v66, v67, vcc
	v_mov_b32_e32 v67, s38
	v_mov_b32_e32 v68, s36
	v_cndmask_b32_e32 v67, v67, v68, vcc
	v_lshlrev_b64 v[64:65], 4, v[64:65]
	v_add_co_u32_e32 v64, vcc, v67, v64
	v_addc_co_u32_e32 v65, vcc, v66, v65, vcc
	s_waitcnt lgkmcnt(0)
	buffer_wbinvl1_vol
	global_load_dword v94, v[64:65], off
	global_load_dwordx2 v[68:69], v[64:65], off offset:8
	v_cmp_eq_u16_e32 vcc, 2, v79
	v_lshlrev_b64 v[64:65], v63, -1
	v_and_b32_e32 v80, 63, v63
	v_and_b32_e32 v66, vcc_hi, v65
	v_and_b32_e32 v84, vcc_lo, v64
	v_cmp_ne_u32_e32 vcc, 63, v80
	v_addc_co_u32_e32 v67, vcc, 0, v63, vcc
	v_lshlrev_b32_e32 v81, 2, v67
	v_or_b32_e32 v66, 0x80000000, v66
	v_ffbl_b32_e32 v66, v66
	v_add_u32_e32 v66, 32, v66
	v_ffbl_b32_e32 v84, v84
	v_min_u32_e32 v66, v84, v66
	v_cmp_lt_u32_e32 vcc, v80, v66
	s_waitcnt vmcnt(1)
	ds_bpermute_b32 v82, v81, v94
	s_waitcnt vmcnt(0)
	ds_bpermute_b32 v67, v81, v68
	ds_bpermute_b32 v83, v81, v69
	s_and_saveexec_b64 s[48:49], vcc
	s_cbranch_execz .LBB240_117
; %bb.116:
	v_cmp_eq_u32_e32 vcc, 0, v94
	s_waitcnt lgkmcnt(1)
	v_cndmask_b32_e32 v67, 0, v67, vcc
	v_add_u32_e32 v82, v82, v94
	s_waitcnt lgkmcnt(0)
	v_cndmask_b32_e32 v83, 0, v83, vcc
	v_add_co_u32_e32 v68, vcc, v67, v68
	v_addc_co_u32_e32 v69, vcc, v83, v69, vcc
	v_mov_b32_e32 v94, v82
.LBB240_117:
	s_or_b64 exec, exec, s[48:49]
	v_cmp_gt_u32_e32 vcc, 62, v80
	s_waitcnt lgkmcnt(1)
	v_cndmask_b32_e64 v67, 0, 1, vcc
	v_lshlrev_b32_e32 v67, 1, v67
	v_add_lshl_u32 v82, v67, v63, 2
	ds_bpermute_b32 v84, v82, v94
	ds_bpermute_b32 v67, v82, v68
	ds_bpermute_b32 v85, v82, v69
	s_waitcnt lgkmcnt(3)
	v_add_u32_e32 v83, 2, v80
	v_cmp_le_u32_e32 vcc, v83, v66
	s_and_saveexec_b64 s[48:49], vcc
	s_cbranch_execz .LBB240_119
; %bb.118:
	v_cmp_eq_u32_e32 vcc, 0, v94
	s_waitcnt lgkmcnt(1)
	v_cndmask_b32_e32 v67, 0, v67, vcc
	v_add_u32_e32 v84, v84, v94
	s_waitcnt lgkmcnt(0)
	v_cndmask_b32_e32 v85, 0, v85, vcc
	v_add_co_u32_e32 v68, vcc, v67, v68
	v_addc_co_u32_e32 v69, vcc, v85, v69, vcc
	v_mov_b32_e32 v94, v84
.LBB240_119:
	s_or_b64 exec, exec, s[48:49]
	v_cmp_gt_u32_e32 vcc, 60, v80
	s_waitcnt lgkmcnt(1)
	v_cndmask_b32_e64 v67, 0, 1, vcc
	v_lshlrev_b32_e32 v67, 2, v67
	v_add_lshl_u32 v84, v67, v63, 2
	ds_bpermute_b32 v86, v84, v94
	ds_bpermute_b32 v67, v84, v68
	ds_bpermute_b32 v87, v84, v69
	s_waitcnt lgkmcnt(3)
	v_add_u32_e32 v85, 4, v80
	v_cmp_le_u32_e32 vcc, v85, v66
	;; [unrolled: 25-line block ×4, first 2 shown]
	s_and_saveexec_b64 s[48:49], vcc
	s_cbranch_execz .LBB240_125
; %bb.124:
	v_cmp_eq_u32_e32 vcc, 0, v94
	s_waitcnt lgkmcnt(1)
	v_cndmask_b32_e32 v67, 0, v67, vcc
	v_add_u32_e32 v90, v90, v94
	s_waitcnt lgkmcnt(0)
	v_cndmask_b32_e32 v91, 0, v91, vcc
	v_add_co_u32_e32 v68, vcc, v67, v68
	v_addc_co_u32_e32 v69, vcc, v91, v69, vcc
	v_mov_b32_e32 v94, v90
.LBB240_125:
	s_or_b64 exec, exec, s[48:49]
	v_cmp_gt_u32_e32 vcc, 32, v80
	s_waitcnt lgkmcnt(1)
	v_cndmask_b32_e64 v67, 0, 1, vcc
	v_lshlrev_b32_e32 v67, 5, v67
	v_add_lshl_u32 v90, v67, v63, 2
	ds_bpermute_b32 v67, v90, v94
	ds_bpermute_b32 v63, v90, v68
	s_waitcnt lgkmcnt(2)
	ds_bpermute_b32 v91, v90, v69
	v_add_u32_e32 v92, 32, v80
	v_cmp_le_u32_e32 vcc, v92, v66
	s_and_saveexec_b64 s[48:49], vcc
	s_cbranch_execz .LBB240_127
; %bb.126:
	v_cmp_eq_u32_e32 vcc, 0, v94
	s_waitcnt lgkmcnt(1)
	v_cndmask_b32_e32 v63, 0, v63, vcc
	v_add_u32_e32 v66, v67, v94
	s_waitcnt lgkmcnt(0)
	v_cndmask_b32_e32 v67, 0, v91, vcc
	v_add_co_u32_e32 v68, vcc, v63, v68
	v_addc_co_u32_e32 v69, vcc, v67, v69, vcc
	v_mov_b32_e32 v94, v66
.LBB240_127:
	s_or_b64 exec, exec, s[48:49]
	s_waitcnt lgkmcnt(1)
	v_mov_b32_e32 v63, 0
	v_mov_b32_e32 v93, 2
	s_branch .LBB240_129
.LBB240_128:                            ;   in Loop: Header=BB240_129 Depth=1
	s_or_b64 exec, exec, s[48:49]
	v_cmp_eq_u32_e32 vcc, 0, v91
	v_cndmask_b32_e32 v68, 0, v68, vcc
	v_cndmask_b32_e32 v69, 0, v69, vcc
	v_add_co_u32_e32 v68, vcc, v68, v66
	v_subrev_u32_e32 v62, 64, v62
	v_add_u32_e32 v94, v95, v91
	v_addc_co_u32_e32 v69, vcc, v69, v67, vcc
.LBB240_129:                            ; =>This Loop Header: Depth=1
                                        ;     Child Loop BB240_132 Depth 2
	v_cmp_ne_u16_sdwa s[48:49], v79, v93 src0_sel:BYTE_0 src1_sel:DWORD
	v_pk_mov_b32 v[66:67], v[68:69], v[68:69] op_sel:[0,1]
	v_cndmask_b32_e64 v68, 0, 1, s[48:49]
	;;#ASMSTART
	;;#ASMEND
	v_cmp_ne_u32_e32 vcc, 0, v68
	s_cmp_lg_u64 vcc, exec
	s_waitcnt lgkmcnt(0)
	v_mov_b32_e32 v91, v94
	s_cbranch_scc1 .LBB240_146
; %bb.130:                              ;   in Loop: Header=BB240_129 Depth=1
	global_load_ubyte v79, v62, s[40:41] glc
	s_waitcnt vmcnt(0)
	v_cmp_eq_u16_e32 vcc, 0, v79
	s_and_saveexec_b64 s[48:49], vcc
	s_cbranch_execz .LBB240_134
; %bb.131:                              ;   in Loop: Header=BB240_129 Depth=1
	v_mov_b32_e32 v69, s41
	v_add_co_u32_e32 v68, vcc, s40, v62
	v_addc_co_u32_e32 v69, vcc, 0, v69, vcc
	s_mov_b64 s[52:53], 0
.LBB240_132:                            ;   Parent Loop BB240_129 Depth=1
                                        ; =>  This Inner Loop Header: Depth=2
	global_load_ubyte v79, v[68:69], off glc
	s_waitcnt vmcnt(0)
	v_cmp_ne_u16_e32 vcc, 0, v79
	s_or_b64 s[52:53], vcc, s[52:53]
	s_andn2_b64 exec, exec, s[52:53]
	s_cbranch_execnz .LBB240_132
; %bb.133:                              ;   in Loop: Header=BB240_129 Depth=1
	s_or_b64 exec, exec, s[52:53]
.LBB240_134:                            ;   in Loop: Header=BB240_129 Depth=1
	s_or_b64 exec, exec, s[48:49]
	v_mov_b32_e32 v68, s39
	v_mov_b32_e32 v69, s37
	v_cmp_eq_u16_e32 vcc, 1, v79
	v_cndmask_b32_e32 v94, v68, v69, vcc
	v_mov_b32_e32 v68, s38
	v_mov_b32_e32 v69, s36
	v_cndmask_b32_e32 v95, v68, v69, vcc
	v_lshlrev_b64 v[68:69], 4, v[62:63]
	v_add_co_u32_e32 v68, vcc, v95, v68
	v_addc_co_u32_e32 v69, vcc, v94, v69, vcc
	buffer_wbinvl1_vol
	global_load_dword v95, v[68:69], off
	s_nop 0
	global_load_dwordx2 v[68:69], v[68:69], off offset:8
	v_cmp_eq_u16_e32 vcc, 2, v79
	v_and_b32_e32 v94, vcc_hi, v65
	v_or_b32_e32 v94, 0x80000000, v94
	v_and_b32_e32 v117, vcc_lo, v64
	v_ffbl_b32_e32 v94, v94
	v_add_u32_e32 v94, 32, v94
	v_ffbl_b32_e32 v117, v117
	v_min_u32_e32 v94, v117, v94
	v_cmp_lt_u32_e32 vcc, v80, v94
	s_waitcnt vmcnt(1)
	ds_bpermute_b32 v99, v81, v95
	s_waitcnt vmcnt(0)
	ds_bpermute_b32 v98, v81, v68
	ds_bpermute_b32 v116, v81, v69
	s_and_saveexec_b64 s[48:49], vcc
	s_cbranch_execz .LBB240_136
; %bb.135:                              ;   in Loop: Header=BB240_129 Depth=1
	v_cmp_eq_u32_e32 vcc, 0, v95
	s_waitcnt lgkmcnt(1)
	v_cndmask_b32_e32 v98, 0, v98, vcc
	v_add_u32_e32 v99, v99, v95
	s_waitcnt lgkmcnt(0)
	v_cndmask_b32_e32 v95, 0, v116, vcc
	v_add_co_u32_e32 v68, vcc, v98, v68
	v_addc_co_u32_e32 v69, vcc, v95, v69, vcc
	v_mov_b32_e32 v95, v99
.LBB240_136:                            ;   in Loop: Header=BB240_129 Depth=1
	s_or_b64 exec, exec, s[48:49]
	s_waitcnt lgkmcnt(2)
	ds_bpermute_b32 v99, v82, v95
	s_waitcnt lgkmcnt(2)
	ds_bpermute_b32 v98, v82, v68
	s_waitcnt lgkmcnt(2)
	ds_bpermute_b32 v116, v82, v69
	v_cmp_le_u32_e32 vcc, v83, v94
	s_and_saveexec_b64 s[48:49], vcc
	s_cbranch_execz .LBB240_138
; %bb.137:                              ;   in Loop: Header=BB240_129 Depth=1
	v_cmp_eq_u32_e32 vcc, 0, v95
	s_waitcnt lgkmcnt(1)
	v_cndmask_b32_e32 v98, 0, v98, vcc
	v_add_u32_e32 v99, v99, v95
	s_waitcnt lgkmcnt(0)
	v_cndmask_b32_e32 v95, 0, v116, vcc
	v_add_co_u32_e32 v68, vcc, v98, v68
	v_addc_co_u32_e32 v69, vcc, v95, v69, vcc
	v_mov_b32_e32 v95, v99
.LBB240_138:                            ;   in Loop: Header=BB240_129 Depth=1
	s_or_b64 exec, exec, s[48:49]
	s_waitcnt lgkmcnt(2)
	ds_bpermute_b32 v99, v84, v95
	s_waitcnt lgkmcnt(2)
	ds_bpermute_b32 v98, v84, v68
	s_waitcnt lgkmcnt(2)
	ds_bpermute_b32 v116, v84, v69
	v_cmp_le_u32_e32 vcc, v85, v94
	;; [unrolled: 21-line block ×5, first 2 shown]
	s_and_saveexec_b64 s[48:49], vcc
	s_cbranch_execz .LBB240_128
; %bb.145:                              ;   in Loop: Header=BB240_129 Depth=1
	v_cmp_eq_u32_e32 vcc, 0, v95
	s_waitcnt lgkmcnt(1)
	v_cndmask_b32_e32 v98, 0, v98, vcc
	v_add_u32_e32 v94, v99, v95
	s_waitcnt lgkmcnt(0)
	v_cndmask_b32_e32 v95, 0, v116, vcc
	v_add_co_u32_e32 v68, vcc, v98, v68
	v_addc_co_u32_e32 v69, vcc, v95, v69, vcc
	v_mov_b32_e32 v95, v94
	s_branch .LBB240_128
.LBB240_146:                            ;   in Loop: Header=BB240_129 Depth=1
                                        ; implicit-def: $vgpr68_vgpr69
                                        ; implicit-def: $vgpr94
                                        ; implicit-def: $vgpr79
	s_cbranch_execz .LBB240_129
; %bb.147:
	s_and_saveexec_b64 s[36:37], s[26:27]
	s_cbranch_execz .LBB240_149
; %bb.148:
	s_mov_b32 s7, 0
	v_cmp_eq_u32_e32 vcc, 0, v78
	s_add_i32 s6, s6, 64
	v_cndmask_b32_e32 v62, 0, v66, vcc
	s_lshl_b64 s[48:49], s[6:7], 4
	v_cndmask_b32_e32 v63, 0, v67, vcc
	v_add_co_u32_e32 v62, vcc, v62, v60
	s_add_u32 s48, s38, s48
	v_add_u32_e32 v64, v91, v78
	v_addc_co_u32_e32 v63, vcc, v63, v61, vcc
	s_addc_u32 s49, s39, s49
	v_mov_b32_e32 v65, 0
	global_store_dword v65, v64, s[48:49]
	global_store_dwordx2 v65, v[62:63], s[48:49] offset:8
	v_mov_b32_e32 v62, s6
	v_mov_b32_e32 v63, 2
	s_waitcnt vmcnt(0) lgkmcnt(0)
	buffer_wbinvl1_vol
	global_store_byte v62, v63, s[40:41]
	ds_write_b32 v65, v78 offset:4096
	ds_write_b64 v65, v[60:61] offset:4104
	ds_write_b32 v65, v91 offset:4112
	ds_write_b64 v65, v[66:67] offset:4120
.LBB240_149:
	s_or_b64 exec, exec, s[36:37]
	v_cmp_eq_u32_e32 vcc, 0, v0
	s_and_b64 exec, exec, vcc
	s_cbranch_execz .LBB240_151
; %bb.150:
	v_mov_b32_e32 v60, 0
	ds_write_b32 v60, v91 offset:4176
	ds_write_b64 v60, v[66:67] offset:4184
.LBB240_151:
	s_or_b64 exec, exec, s[42:43]
	v_mov_b32_e32 v63, 0
	s_waitcnt lgkmcnt(0)
	s_barrier
	ds_read_b32 v62, v63 offset:4176
	ds_read_b64 v[60:61], v63 offset:4184
	v_cndmask_b32_e64 v64, v71, v70, s[26:27]
	v_cmp_eq_u32_e32 vcc, 0, v64
	v_cndmask_b32_e64 v58, v76, v58, s[26:27]
	v_cndmask_b32_e64 v59, v77, v59, s[26:27]
	s_waitcnt lgkmcnt(0)
	v_cndmask_b32_e32 v66, 0, v60, vcc
	v_cndmask_b32_e32 v65, 0, v61, vcc
	v_add_co_u32_e32 v58, vcc, v66, v58
	v_addc_co_u32_e32 v65, vcc, v65, v59, vcc
	v_cmp_eq_u32_e32 vcc, 0, v0
	v_cndmask_b32_e64 v59, v64, 0, vcc
	v_cndmask_b32_e32 v93, v65, v61, vcc
	v_cndmask_b32_e32 v92, v58, v60, vcc
	v_cmp_eq_u32_e32 vcc, 0, v113
	v_cndmask_b32_e32 v60, 0, v92, vcc
	v_cndmask_b32_e32 v58, 0, v93, vcc
	v_add_co_u32_e32 v64, vcc, v60, v54
	v_addc_co_u32_e32 v65, vcc, v58, v55, vcc
	v_cndmask_b32_e64 v60, 0, v64, s[24:25]
	v_cndmask_b32_e64 v58, 0, v65, s[24:25]
	v_add_co_u32_e32 v66, vcc, v60, v56
	v_addc_co_u32_e32 v67, vcc, v58, v57, vcc
	v_cndmask_b32_e64 v60, 0, v66, s[22:23]
	v_cndmask_b32_e64 v58, 0, v67, s[22:23]
	;; [unrolled: 4-line block ×11, first 2 shown]
	v_add_co_u32_e32 v90, vcc, v60, v36
	v_add_u32_e32 v59, v62, v59
	v_addc_co_u32_e32 v91, vcc, v58, v37, vcc
	s_barrier
	ds_read_b32 v58, v63 offset:4096
	ds_read_b64 v[60:61], v63 offset:4104
	ds_read_b32 v62, v63 offset:4112
	ds_read_b64 v[116:117], v63 offset:4120
	v_cndmask_b32_e64 v94, 0, v90, s[2:3]
	v_cndmask_b32_e64 v95, 0, v91, s[2:3]
	v_add_co_u32_e32 v94, vcc, v94, v30
	v_addc_co_u32_e32 v95, vcc, v95, v31, vcc
	s_waitcnt lgkmcnt(3)
	v_cmp_eq_u32_e32 vcc, 0, v58
	s_waitcnt lgkmcnt(0)
	v_cndmask_b32_e32 v116, 0, v116, vcc
	v_cndmask_b32_e32 v63, 0, v117, vcc
	v_add_co_u32_e32 v60, vcc, v116, v60
	v_cndmask_b32_e64 v99, 0, v95, s[0:1]
	v_cndmask_b32_e64 v98, 0, v94, s[0:1]
	v_addc_co_u32_e32 v61, vcc, v63, v61, vcc
	s_branch .LBB240_180
.LBB240_152:
                                        ; implicit-def: $vgpr58
                                        ; implicit-def: $vgpr60_vgpr61
                                        ; implicit-def: $vgpr62
                                        ; implicit-def: $vgpr92_vgpr93
                                        ; implicit-def: $vgpr64_vgpr65
                                        ; implicit-def: $vgpr66_vgpr67
                                        ; implicit-def: $vgpr68_vgpr69
                                        ; implicit-def: $vgpr70_vgpr71
                                        ; implicit-def: $vgpr76_vgpr77
                                        ; implicit-def: $vgpr78_vgpr79
                                        ; implicit-def: $vgpr80_vgpr81
                                        ; implicit-def: $vgpr82_vgpr83
                                        ; implicit-def: $vgpr84_vgpr85
                                        ; implicit-def: $vgpr86_vgpr87
                                        ; implicit-def: $vgpr88_vgpr89
                                        ; implicit-def: $vgpr90_vgpr91
                                        ; implicit-def: $vgpr94_vgpr95
                                        ; implicit-def: $vgpr98_vgpr99
                                        ; implicit-def: $vgpr59
	s_cbranch_execz .LBB240_180
; %bb.153:
	s_and_b64 s[0:1], s[30:31], exec
	s_cselect_b32 s1, 0, s47
	s_cselect_b32 s0, 0, s46
	s_cmp_eq_u64 s[0:1], 0
	s_cbranch_scc1 .LBB240_155
; %bb.154:
	v_mov_b32_e32 v58, 0
	global_load_dwordx2 v[96:97], v58, s[0:1]
.LBB240_155:
	v_cmp_eq_u32_e64 s[22:23], 0, v112
	v_cndmask_b32_e64 v59, 0, v54, s[22:23]
	v_cndmask_b32_e64 v58, 0, v55, s[22:23]
	v_add_co_u32_e32 v59, vcc, v59, v56
	v_cmp_eq_u32_e64 s[20:21], 0, v111
	v_addc_co_u32_e32 v58, vcc, v58, v57, vcc
	v_cndmask_b32_e64 v59, 0, v59, s[20:21]
	v_cndmask_b32_e64 v58, 0, v58, s[20:21]
	v_add_co_u32_e32 v59, vcc, v59, v50
	v_cmp_eq_u32_e64 s[18:19], 0, v110
	v_addc_co_u32_e32 v58, vcc, v58, v51, vcc
	;; [unrolled: 5-line block ×11, first 2 shown]
	v_cndmask_b32_e64 v59, 0, v59, s[2:3]
	v_cndmask_b32_e64 v58, 0, v58, s[2:3]
	v_add_co_u32_e32 v59, vcc, v59, v30
	v_addc_co_u32_e32 v58, vcc, v58, v31, vcc
	v_cmp_eq_u32_e32 vcc, 0, v100
	v_add3_u32 v60, v115, v108, v107
	v_cndmask_b32_e32 v59, 0, v59, vcc
	v_add3_u32 v60, v60, v106, v105
	v_cndmask_b32_e32 v58, 0, v58, vcc
	v_add_co_u32_e64 v59, s[24:25], v59, v32
	v_add3_u32 v60, v60, v104, v103
	v_addc_co_u32_e64 v58, s[24:25], v58, v33, s[24:25]
	v_add3_u32 v60, v60, v102, v101
	v_cmp_eq_u32_e64 s[24:25], 0, v1
	v_add3_u32 v63, v60, v100, v1
	v_cndmask_b32_e64 v60, 0, v58, s[24:25]
	v_cndmask_b32_e64 v58, 0, v59, s[24:25]
	v_add_co_u32_e64 v58, s[24:25], v58, v72
	v_mbcnt_hi_u32_b32 v62, -1, v114
	v_addc_co_u32_e64 v59, s[24:25], v60, v73, s[24:25]
	v_and_b32_e32 v60, 15, v62
	v_mov_b32_dpp v64, v63 row_shr:1 row_mask:0xf bank_mask:0xf
	v_mov_b32_dpp v61, v58 row_shr:1 row_mask:0xf bank_mask:0xf
	;; [unrolled: 1-line block ×3, first 2 shown]
	v_cmp_ne_u32_e64 s[24:25], 0, v60
	s_and_saveexec_b64 s[26:27], s[24:25]
; %bb.156:
	v_cmp_eq_u32_e64 s[24:25], 0, v63
	v_cndmask_b32_e64 v61, 0, v61, s[24:25]
	v_add_u32_e32 v64, v64, v63
	v_cndmask_b32_e64 v63, 0, v65, s[24:25]
	v_add_co_u32_e64 v58, s[24:25], v61, v58
	v_addc_co_u32_e64 v59, s[24:25], v63, v59, s[24:25]
	v_mov_b32_e32 v63, v64
; %bb.157:
	s_or_b64 exec, exec, s[26:27]
	s_nop 0
	v_mov_b32_dpp v64, v63 row_shr:2 row_mask:0xf bank_mask:0xf
	v_mov_b32_dpp v61, v58 row_shr:2 row_mask:0xf bank_mask:0xf
	v_mov_b32_dpp v65, v59 row_shr:2 row_mask:0xf bank_mask:0xf
	v_cmp_lt_u32_e64 s[24:25], 1, v60
	s_and_saveexec_b64 s[26:27], s[24:25]
; %bb.158:
	v_cmp_eq_u32_e64 s[24:25], 0, v63
	v_cndmask_b32_e64 v61, 0, v61, s[24:25]
	v_add_u32_e32 v64, v64, v63
	v_cndmask_b32_e64 v63, 0, v65, s[24:25]
	v_add_co_u32_e64 v58, s[24:25], v61, v58
	v_addc_co_u32_e64 v59, s[24:25], v63, v59, s[24:25]
	v_mov_b32_e32 v63, v64
; %bb.159:
	s_or_b64 exec, exec, s[26:27]
	s_nop 0
	v_mov_b32_dpp v64, v63 row_shr:4 row_mask:0xf bank_mask:0xf
	v_mov_b32_dpp v61, v58 row_shr:4 row_mask:0xf bank_mask:0xf
	v_mov_b32_dpp v65, v59 row_shr:4 row_mask:0xf bank_mask:0xf
	v_cmp_lt_u32_e64 s[24:25], 3, v60
	;; [unrolled: 16-line block ×3, first 2 shown]
	s_and_saveexec_b64 s[26:27], s[24:25]
; %bb.162:
	v_cmp_eq_u32_e64 s[24:25], 0, v63
	v_cndmask_b32_e64 v61, 0, v61, s[24:25]
	v_add_u32_e32 v60, v64, v63
	v_cndmask_b32_e64 v63, 0, v65, s[24:25]
	v_add_co_u32_e64 v58, s[24:25], v61, v58
	v_addc_co_u32_e64 v59, s[24:25], v63, v59, s[24:25]
	v_mov_b32_e32 v63, v60
; %bb.163:
	s_or_b64 exec, exec, s[26:27]
	v_and_b32_e32 v65, 16, v62
	v_mov_b32_dpp v61, v63 row_bcast:15 row_mask:0xf bank_mask:0xf
	v_mov_b32_dpp v60, v58 row_bcast:15 row_mask:0xf bank_mask:0xf
	;; [unrolled: 1-line block ×3, first 2 shown]
	v_cmp_ne_u32_e64 s[24:25], 0, v65
	s_and_saveexec_b64 s[26:27], s[24:25]
; %bb.164:
	v_cmp_eq_u32_e64 s[24:25], 0, v63
	v_cndmask_b32_e64 v60, 0, v60, s[24:25]
	v_add_u32_e32 v61, v61, v63
	v_cndmask_b32_e64 v63, 0, v64, s[24:25]
	v_add_co_u32_e64 v58, s[24:25], v60, v58
	v_addc_co_u32_e64 v59, s[24:25], v63, v59, s[24:25]
	v_mov_b32_e32 v63, v61
; %bb.165:
	s_or_b64 exec, exec, s[26:27]
	s_nop 0
	v_mov_b32_dpp v61, v63 row_bcast:31 row_mask:0xf bank_mask:0xf
	v_mov_b32_dpp v60, v58 row_bcast:31 row_mask:0xf bank_mask:0xf
	;; [unrolled: 1-line block ×3, first 2 shown]
	v_cmp_lt_u32_e64 s[24:25], 31, v62
	s_and_saveexec_b64 s[26:27], s[24:25]
; %bb.166:
	v_cmp_eq_u32_e64 s[24:25], 0, v63
	v_cndmask_b32_e64 v60, 0, v60, s[24:25]
	v_add_u32_e32 v61, v61, v63
	v_cndmask_b32_e64 v63, 0, v64, s[24:25]
	v_add_co_u32_e64 v58, s[24:25], v60, v58
	v_addc_co_u32_e64 v59, s[24:25], v63, v59, s[24:25]
	v_mov_b32_e32 v63, v61
; %bb.167:
	s_or_b64 exec, exec, s[26:27]
	v_lshrrev_b32_e32 v60, 6, v0
	v_or_b32_e32 v61, 63, v0
	v_cmp_eq_u32_e64 s[24:25], v61, v0
	v_lshlrev_b32_e32 v64, 4, v60
	s_and_saveexec_b64 s[26:27], s[24:25]
	s_cbranch_execz .LBB240_169
; %bb.168:
	ds_write_b32 v64, v63 offset:4128
	ds_write_b64 v64, v[58:59] offset:4136
.LBB240_169:
	s_or_b64 exec, exec, s[26:27]
	v_cmp_gt_u32_e64 s[24:25], 4, v0
	s_waitcnt lgkmcnt(0)
	s_barrier
	s_and_saveexec_b64 s[26:27], s[24:25]
	s_cbranch_execz .LBB240_175
; %bb.170:
	v_lshlrev_b32_e32 v65, 4, v0
	ds_read_b32 v66, v65 offset:4128
	ds_read_b64 v[60:61], v65 offset:4136
	v_and_b32_e32 v67, 3, v62
	v_cmp_ne_u32_e64 s[24:25], 0, v67
	s_waitcnt lgkmcnt(1)
	v_mov_b32_dpp v69, v66 row_shr:1 row_mask:0xf bank_mask:0xf
	s_waitcnt lgkmcnt(0)
	v_mov_b32_dpp v68, v60 row_shr:1 row_mask:0xf bank_mask:0xf
	v_mov_b32_dpp v70, v61 row_shr:1 row_mask:0xf bank_mask:0xf
	s_and_saveexec_b64 s[28:29], s[24:25]
; %bb.171:
	v_cmp_eq_u32_e64 s[24:25], 0, v66
	v_cndmask_b32_e64 v68, 0, v68, s[24:25]
	v_add_u32_e32 v69, v69, v66
	v_cndmask_b32_e64 v66, 0, v70, s[24:25]
	v_add_co_u32_e64 v60, s[24:25], v68, v60
	v_addc_co_u32_e64 v61, s[24:25], v66, v61, s[24:25]
	v_mov_b32_e32 v66, v69
; %bb.172:
	s_or_b64 exec, exec, s[28:29]
	s_nop 0
	v_mov_b32_dpp v69, v66 row_shr:2 row_mask:0xf bank_mask:0xf
	v_mov_b32_dpp v68, v60 row_shr:2 row_mask:0xf bank_mask:0xf
	;; [unrolled: 1-line block ×3, first 2 shown]
	v_cmp_lt_u32_e64 s[24:25], 1, v67
	s_and_saveexec_b64 s[28:29], s[24:25]
; %bb.173:
	v_cmp_eq_u32_e64 s[24:25], 0, v66
	v_cndmask_b32_e64 v68, 0, v68, s[24:25]
	v_add_u32_e32 v67, v69, v66
	v_cndmask_b32_e64 v66, 0, v70, s[24:25]
	v_add_co_u32_e64 v60, s[24:25], v68, v60
	v_addc_co_u32_e64 v61, s[24:25], v66, v61, s[24:25]
	v_mov_b32_e32 v66, v67
; %bb.174:
	s_or_b64 exec, exec, s[28:29]
	ds_write_b32 v65, v66 offset:4128
	ds_write_b64 v65, v[60:61] offset:4136
.LBB240_175:
	s_or_b64 exec, exec, s[26:27]
	v_cmp_lt_u32_e64 s[24:25], 63, v0
	v_mov_b32_e32 v72, 0
	v_mov_b32_e32 v65, 0
	s_waitcnt vmcnt(0)
	v_pk_mov_b32 v[60:61], v[96:97], v[96:97] op_sel:[0,1]
	s_waitcnt lgkmcnt(0)
	s_barrier
	s_and_saveexec_b64 s[26:27], s[24:25]
	s_cbranch_execz .LBB240_177
; %bb.176:
	ds_read_b32 v65, v64 offset:4112
	ds_read_b64 v[60:61], v64 offset:4120
	s_waitcnt lgkmcnt(1)
	v_cmp_eq_u32_e64 s[24:25], 0, v65
	v_cndmask_b32_e64 v66, 0, v96, s[24:25]
	v_cndmask_b32_e64 v64, 0, v97, s[24:25]
	s_waitcnt lgkmcnt(0)
	v_add_co_u32_e64 v60, s[24:25], v66, v60
	v_addc_co_u32_e64 v61, s[24:25], v64, v61, s[24:25]
.LBB240_177:
	s_or_b64 exec, exec, s[26:27]
	v_cmp_eq_u32_e64 s[24:25], 0, v63
	v_cndmask_b32_e64 v66, 0, v60, s[24:25]
	v_add_u32_e32 v64, v65, v63
	v_cndmask_b32_e64 v63, 0, v61, s[24:25]
	v_add_co_u32_e64 v58, s[24:25], v66, v58
	v_addc_co_u32_e64 v59, s[24:25], v63, v59, s[24:25]
	v_add_u32_e32 v63, -1, v62
	v_and_b32_e32 v66, 64, v62
	v_cmp_lt_i32_e64 s[24:25], v63, v66
	v_cndmask_b32_e64 v63, v63, v62, s[24:25]
	v_lshlrev_b32_e32 v63, 2, v63
	ds_bpermute_b32 v64, v63, v64
	ds_bpermute_b32 v66, v63, v59
	;; [unrolled: 1-line block ×3, first 2 shown]
	v_cmp_eq_u32_e64 s[24:25], 0, v62
	v_cmp_eq_u32_e64 s[26:27], 0, v113
	s_waitcnt lgkmcnt(2)
	v_cndmask_b32_e64 v59, v64, v65, s[24:25]
	s_waitcnt lgkmcnt(1)
	v_cndmask_b32_e64 v93, v66, v61, s[24:25]
	;; [unrolled: 2-line block ×3, first 2 shown]
	v_cmp_eq_u32_e64 s[24:25], 0, v0
	v_cndmask_b32_e64 v58, v92, v96, s[24:25]
	v_cndmask_b32_e64 v60, v93, v97, s[24:25]
	;; [unrolled: 1-line block ×4, first 2 shown]
	v_add_co_u32_e64 v64, s[26:27], v58, v54
	v_addc_co_u32_e64 v65, s[26:27], v60, v55, s[26:27]
	v_cndmask_b32_e64 v55, 0, v64, s[22:23]
	v_cndmask_b32_e64 v54, 0, v65, s[22:23]
	v_add_co_u32_e64 v66, s[22:23], v55, v56
	v_addc_co_u32_e64 v67, s[22:23], v54, v57, s[22:23]
	v_cndmask_b32_e64 v55, 0, v66, s[20:21]
	v_cndmask_b32_e64 v54, 0, v67, s[20:21]
	;; [unrolled: 4-line block ×11, first 2 shown]
	v_add_co_u32_e64 v90, s[0:1], v35, v36
	v_addc_co_u32_e64 v91, s[0:1], v34, v37, s[0:1]
	v_cndmask_b32_e64 v35, 0, v90, s[2:3]
	ds_read_b32 v58, v72 offset:4176
	v_cndmask_b32_e64 v34, 0, v91, s[2:3]
	v_add_co_u32_e64 v94, s[0:1], v35, v30
	v_addc_co_u32_e64 v95, s[0:1], v34, v31, s[0:1]
	ds_read_b64 v[30:31], v72 offset:4184
	v_cndmask_b32_e32 v99, 0, v95, vcc
	v_cndmask_b32_e32 v98, 0, v94, vcc
	s_waitcnt lgkmcnt(1)
	v_cmp_eq_u32_e32 vcc, 0, v58
	v_cndmask_b32_e32 v35, 0, v96, vcc
	v_cndmask_b32_e32 v34, 0, v97, vcc
	s_waitcnt lgkmcnt(0)
	v_add_co_u32_e32 v60, vcc, v35, v30
	v_addc_co_u32_e32 v61, vcc, v34, v31, vcc
	s_and_saveexec_b64 s[0:1], s[24:25]
	s_cbranch_execz .LBB240_179
; %bb.178:
	v_mov_b32_e32 v59, 0
	v_mov_b32_e32 v30, 2
	v_pk_mov_b32 v[92:93], v[96:97], v[96:97] op_sel:[0,1]
	global_store_dword v59, v58, s[38:39] offset:1024
	global_store_dwordx2 v59, v[60:61], s[38:39] offset:1032
	s_waitcnt vmcnt(0)
	buffer_wbinvl1_vol
	global_store_byte v59, v30, s[40:41] offset:64
.LBB240_179:
	s_or_b64 exec, exec, s[0:1]
	v_mov_b32_e32 v62, 0
.LBB240_180:
	s_and_b64 s[0:1], s[30:31], exec
	s_cselect_b32 s1, 0, s51
	s_cselect_b32 s0, 0, s50
	s_cmp_eq_u64 s[0:1], 0
	v_pk_mov_b32 v[30:31], 0, 0
	s_barrier
	s_cbranch_scc1 .LBB240_182
; %bb.181:
	v_mov_b32_e32 v30, 0
	global_load_dwordx2 v[30:31], v30, s[0:1]
.LBB240_182:
	s_waitcnt vmcnt(0)
	v_lshlrev_b64 v[34:35], 3, v[30:31]
	v_mov_b32_e32 v36, s59
	v_add_co_u32_e32 v52, vcc, s58, v34
	v_mov_b32_e32 v63, 0
	v_addc_co_u32_e32 v53, vcc, v36, v35, vcc
	v_lshlrev_b64 v[36:37], 3, v[62:63]
	v_add_co_u32_e32 v52, vcc, v52, v36
	v_addc_co_u32_e32 v53, vcc, v53, v37, vcc
	v_cmp_eq_u32_e32 vcc, 0, v113
	v_cndmask_b32_e64 v54, 1, 2, vcc
	v_cmp_eq_u32_e32 vcc, 0, v112
	v_cndmask_b32_e64 v55, 1, 2, vcc
	v_cmp_eq_u32_e32 vcc, 0, v111
	v_and_b32_e32 v54, v55, v54
	v_cndmask_b32_e64 v55, 1, 2, vcc
	v_cmp_eq_u32_e32 vcc, 0, v110
	v_add_u32_e32 v51, v59, v113
	v_and_b32_e32 v54, v54, v55
	v_cndmask_b32_e64 v55, 1, 2, vcc
	v_cmp_eq_u32_e32 vcc, 0, v109
	v_add_u32_e32 v50, v51, v112
	;; [unrolled: 4-line block ×12, first 2 shown]
	v_and_b32_e32 v54, v54, v55
	v_cndmask_b32_e64 v55, 1, 2, vcc
	s_movk_i32 s30, 0x100
	v_add_u32_e32 v39, v40, v101
	v_and_b32_e32 v54, v54, v55
	v_cmp_gt_u32_e32 vcc, s30, v58
	v_add_u32_e32 v38, v39, v100
	v_cmp_ne_u32_e64 s[28:29], 0, v113
	v_cmp_ne_u32_e64 s[26:27], 0, v112
	;; [unrolled: 1-line block ×15, first 2 shown]
	s_mov_b64 s[36:37], -1
	v_cmp_gt_i16_e64 s[30:31], 2, v54
	s_cbranch_vccz .LBB240_189
; %bb.183:
	s_and_saveexec_b64 s[36:37], s[30:31]
	s_cbranch_execz .LBB240_188
; %bb.184:
	v_cmp_ne_u16_e32 vcc, 1, v54
	s_mov_b64 s[38:39], 0
	s_and_saveexec_b64 s[30:31], vcc
	s_xor_b64 s[30:31], exec, s[30:31]
	s_cbranch_execnz .LBB240_221
; %bb.185:
	s_andn2_saveexec_b64 s[30:31], s[30:31]
	s_cbranch_execnz .LBB240_237
.LBB240_186:
	s_or_b64 exec, exec, s[30:31]
	s_and_b64 exec, exec, s[38:39]
	s_cbranch_execz .LBB240_188
.LBB240_187:
	v_sub_u32_e32 v56, v38, v62
	v_mov_b32_e32 v57, 0
	v_lshlrev_b64 v[56:57], 3, v[56:57]
	v_add_co_u32_e32 v56, vcc, v52, v56
	v_addc_co_u32_e32 v57, vcc, v53, v57, vcc
	global_store_dwordx2 v[56:57], v[74:75], off
.LBB240_188:
	s_or_b64 exec, exec, s[36:37]
	s_mov_b64 s[36:37], 0
.LBB240_189:
	s_and_b64 vcc, exec, s[36:37]
	s_cbranch_vccz .LBB240_199
; %bb.190:
	v_cmp_gt_i16_e32 vcc, 2, v54
	s_and_saveexec_b64 s[30:31], vcc
	s_cbranch_execz .LBB240_195
; %bb.191:
	v_cmp_ne_u16_e32 vcc, 1, v54
	s_mov_b64 s[38:39], 0
	s_and_saveexec_b64 s[36:37], vcc
	s_xor_b64 s[36:37], exec, s[36:37]
	s_cbranch_execnz .LBB240_238
; %bb.192:
	s_andn2_saveexec_b64 s[0:1], s[36:37]
	s_cbranch_execnz .LBB240_254
.LBB240_193:
	s_or_b64 exec, exec, s[0:1]
	s_and_b64 exec, exec, s[38:39]
	s_cbranch_execz .LBB240_195
.LBB240_194:
	v_sub_u32_e32 v2, v38, v62
	v_lshlrev_b32_e32 v2, 3, v2
	ds_write_b64 v2, v[74:75]
.LBB240_195:
	s_or_b64 exec, exec, s[30:31]
	v_cmp_lt_u32_e32 vcc, v0, v58
	s_waitcnt lgkmcnt(0)
	s_barrier
	s_and_saveexec_b64 s[0:1], vcc
	s_cbranch_execz .LBB240_198
; %bb.196:
	v_lshlrev_b32_e32 v4, 3, v0
	s_mov_b64 s[2:3], 0
	v_mov_b32_e32 v3, 0
	v_mov_b32_e32 v2, v0
.LBB240_197:                            ; =>This Inner Loop Header: Depth=1
	v_lshlrev_b64 v[6:7], 3, v[2:3]
	ds_read_b64 v[8:9], v4
	v_add_co_u32_e32 v6, vcc, v52, v6
	v_add_u32_e32 v2, 0x100, v2
	v_addc_co_u32_e32 v7, vcc, v53, v7, vcc
	v_cmp_ge_u32_e32 vcc, v2, v58
	v_add_u32_e32 v4, 0x800, v4
	s_or_b64 s[2:3], vcc, s[2:3]
	s_waitcnt lgkmcnt(0)
	global_store_dwordx2 v[6:7], v[8:9], off
	s_andn2_b64 exec, exec, s[2:3]
	s_cbranch_execnz .LBB240_197
.LBB240_198:
	s_or_b64 exec, exec, s[0:1]
.LBB240_199:
	v_add_co_u32_e32 v2, vcc, v98, v32
	s_cmpk_lg_i32 s33, 0xf00
	v_addc_co_u32_e32 v3, vcc, v99, v33, vcc
	s_cselect_b64 s[0:1], -1, 0
	v_cndmask_b32_e64 v8, 0, 1, s[44:45]
	s_and_b64 s[0:1], s[34:35], s[0:1]
	v_cmp_eq_u32_e32 vcc, 0, v0
	v_sub_u32_e32 v4, v58, v8
	v_cndmask_b32_e64 v5, 0, 1, s[0:1]
	s_and_b64 s[0:1], vcc, s[44:45]
	v_add_u32_e32 v4, v4, v5
	v_cndmask_b32_e64 v5, v113, 0, s[0:1]
	s_mul_hi_u32 s0, s33, 0x88888889
	s_lshr_b32 s0, s0, 3
	v_mad_i32_i24 v6, v0, -15, s33
	v_cmp_eq_u32_e32 vcc, s0, v0
	v_cmp_ne_u32_e64 s[0:1], 0, v6
	v_cndmask_b32_e64 v7, 1, v5, s[0:1]
	v_cmp_ne_u32_e64 s[0:1], 1, v6
	v_cndmask_b32_e64 v9, 1, v112, s[0:1]
	;; [unrolled: 2-line block ×15, first 2 shown]
	s_and_b64 vcc, s[34:35], vcc
	v_cndmask_b32_e32 v22, v1, v6, vcc
	v_cndmask_b32_e32 v21, v100, v21, vcc
	;; [unrolled: 1-line block ×15, first 2 shown]
	v_mov_b32_e32 v1, s61
	v_add_co_u32_e32 v5, vcc, s60, v34
	v_addc_co_u32_e32 v6, vcc, v1, v35, vcc
	v_add_co_u32_e32 v1, vcc, v5, v36
	v_addc_co_u32_e32 v5, vcc, v6, v37, vcc
	v_lshlrev_b32_e32 v6, 3, v8
	v_add_co_u32_e32 v6, vcc, v6, v1
	v_addc_co_u32_e32 v7, vcc, 0, v5, vcc
	v_add_co_u32_e32 v6, vcc, -8, v6
	v_addc_co_u32_e32 v7, vcc, -1, v7, vcc
	v_cmp_eq_u32_e32 vcc, 0, v23
	v_cmp_ne_u32_e64 s[28:29], 0, v23
	v_cndmask_b32_e64 v23, 1, 2, vcc
	v_cmp_eq_u32_e32 vcc, 0, v9
	v_cmp_ne_u32_e64 s[26:27], 0, v9
	v_cndmask_b32_e64 v9, 1, 2, vcc
	v_cmp_eq_u32_e32 vcc, 0, v10
	v_and_b32_e32 v9, v9, v23
	v_cmp_ne_u32_e64 s[24:25], 0, v10
	v_cndmask_b32_e64 v10, 1, 2, vcc
	v_cmp_eq_u32_e32 vcc, 0, v11
	v_and_b32_e32 v9, v9, v10
	v_cndmask_b32_e64 v10, 1, 2, vcc
	v_cmp_eq_u32_e32 vcc, 0, v12
	v_and_b32_e32 v9, v9, v10
	;; [unrolled: 3-line block ×12, first 2 shown]
	v_cndmask_b32_e64 v10, 1, 2, vcc
	s_movk_i32 s30, 0x100
	v_and_b32_e32 v9, v9, v10
	v_cmp_gt_u32_e32 vcc, s30, v4
	v_add_u32_e32 v8, v62, v8
	v_cmp_ne_u32_e64 s[22:23], 0, v11
	v_cmp_ne_u32_e64 s[20:21], 0, v12
	;; [unrolled: 1-line block ×12, first 2 shown]
	s_mov_b64 s[36:37], -1
	v_cmp_gt_i16_e64 s[30:31], 2, v9
	s_barrier
	s_cbranch_vccz .LBB240_206
; %bb.200:
	s_and_saveexec_b64 s[36:37], s[30:31]
	s_cbranch_execz .LBB240_205
; %bb.201:
	v_cmp_ne_u16_e32 vcc, 1, v9
	s_mov_b64 s[38:39], 0
	s_and_saveexec_b64 s[30:31], vcc
	s_xor_b64 s[30:31], exec, s[30:31]
	s_cbranch_execnz .LBB240_255
; %bb.202:
	s_andn2_saveexec_b64 s[30:31], s[30:31]
	s_cbranch_execnz .LBB240_271
.LBB240_203:
	s_or_b64 exec, exec, s[30:31]
	s_and_b64 exec, exec, s[38:39]
	s_cbranch_execz .LBB240_205
.LBB240_204:
	v_sub_u32_e32 v10, v38, v8
	v_mov_b32_e32 v11, 0
	v_lshlrev_b64 v[10:11], 3, v[10:11]
	v_add_co_u32_e32 v10, vcc, v6, v10
	v_addc_co_u32_e32 v11, vcc, v7, v11, vcc
	global_store_dwordx2 v[10:11], v[2:3], off
.LBB240_205:
	s_or_b64 exec, exec, s[36:37]
	s_mov_b64 s[36:37], 0
.LBB240_206:
	s_and_b64 vcc, exec, s[36:37]
	s_cbranch_vccz .LBB240_216
; %bb.207:
	v_cmp_gt_i16_e32 vcc, 2, v9
	s_and_saveexec_b64 s[30:31], vcc
	s_cbranch_execz .LBB240_212
; %bb.208:
	v_cmp_ne_u16_e32 vcc, 1, v9
	s_mov_b64 s[38:39], 0
	s_and_saveexec_b64 s[36:37], vcc
	s_xor_b64 s[36:37], exec, s[36:37]
	s_cbranch_execnz .LBB240_272
; %bb.209:
	s_andn2_saveexec_b64 s[0:1], s[36:37]
	s_cbranch_execnz .LBB240_288
.LBB240_210:
	s_or_b64 exec, exec, s[0:1]
	s_and_b64 exec, exec, s[38:39]
	s_cbranch_execz .LBB240_212
.LBB240_211:
	v_sub_u32_e32 v8, v38, v8
	v_lshlrev_b32_e32 v8, 3, v8
	ds_write_b64 v8, v[2:3]
.LBB240_212:
	s_or_b64 exec, exec, s[30:31]
	v_cmp_lt_u32_e32 vcc, v0, v4
	s_waitcnt lgkmcnt(0)
	s_barrier
	s_and_saveexec_b64 s[0:1], vcc
	s_cbranch_execz .LBB240_215
; %bb.213:
	v_lshlrev_b32_e32 v8, 3, v0
	s_mov_b64 s[2:3], 0
	v_mov_b32_e32 v3, 0
	v_mov_b32_e32 v2, v0
.LBB240_214:                            ; =>This Inner Loop Header: Depth=1
	v_lshlrev_b64 v[10:11], 3, v[2:3]
	ds_read_b64 v[12:13], v8
	v_add_co_u32_e32 v10, vcc, v6, v10
	v_add_u32_e32 v2, 0x100, v2
	v_addc_co_u32_e32 v11, vcc, v7, v11, vcc
	v_cmp_ge_u32_e32 vcc, v2, v4
	v_add_u32_e32 v8, 0x800, v8
	s_or_b64 s[2:3], vcc, s[2:3]
	s_waitcnt lgkmcnt(0)
	global_store_dwordx2 v[10:11], v[12:13], off
	s_andn2_b64 exec, exec, s[2:3]
	s_cbranch_execnz .LBB240_214
.LBB240_215:
	s_or_b64 exec, exec, s[0:1]
.LBB240_216:
	s_movk_i32 s0, 0xff
	v_cmp_eq_u32_e32 vcc, s0, v0
	s_and_b64 s[0:1], vcc, s[34:35]
	s_and_saveexec_b64 s[2:3], s[0:1]
	s_cbranch_execz .LBB240_219
; %bb.217:
	v_add_co_u32_e32 v0, vcc, v58, v62
	v_addc_co_u32_e64 v3, s[0:1], 0, 0, vcc
	v_add_co_u32_e32 v2, vcc, v0, v30
	v_mov_b32_e32 v59, 0
	v_addc_co_u32_e32 v3, vcc, v3, v31, vcc
	s_cmpk_lg_i32 s33, 0xf00
	global_store_dwordx2 v59, v[2:3], s[62:63]
	s_cbranch_scc1 .LBB240_219
; %bb.218:
	v_lshlrev_b64 v[2:3], 3, v[58:59]
	v_add_co_u32_e32 v0, vcc, v1, v2
	v_addc_co_u32_e32 v1, vcc, v5, v3, vcc
	global_store_dwordx2 v[0:1], v[60:61], off offset:-8
.LBB240_219:
	s_endpgm
.LBB240_220:
	s_or_b64 exec, exec, s[2:3]
	v_mov_b32_e32 v113, s4
	s_and_saveexec_b64 s[2:3], s[56:57]
	s_cbranch_execnz .LBB240_84
	s_branch .LBB240_85
.LBB240_221:
	s_and_saveexec_b64 s[38:39], s[28:29]
	s_cbranch_execnz .LBB240_289
; %bb.222:
	s_or_b64 exec, exec, s[38:39]
	s_and_saveexec_b64 s[38:39], s[26:27]
	s_cbranch_execnz .LBB240_290
.LBB240_223:
	s_or_b64 exec, exec, s[38:39]
	s_and_saveexec_b64 s[38:39], s[24:25]
	s_cbranch_execnz .LBB240_291
.LBB240_224:
	s_or_b64 exec, exec, s[38:39]
	s_and_saveexec_b64 s[38:39], s[22:23]
	s_cbranch_execnz .LBB240_292
.LBB240_225:
	s_or_b64 exec, exec, s[38:39]
	s_and_saveexec_b64 s[38:39], s[20:21]
	s_cbranch_execnz .LBB240_293
.LBB240_226:
	s_or_b64 exec, exec, s[38:39]
	s_and_saveexec_b64 s[38:39], s[18:19]
	s_cbranch_execnz .LBB240_294
.LBB240_227:
	s_or_b64 exec, exec, s[38:39]
	s_and_saveexec_b64 s[38:39], s[16:17]
	s_cbranch_execnz .LBB240_295
.LBB240_228:
	s_or_b64 exec, exec, s[38:39]
	s_and_saveexec_b64 s[38:39], s[14:15]
	s_cbranch_execnz .LBB240_296
.LBB240_229:
	s_or_b64 exec, exec, s[38:39]
	s_and_saveexec_b64 s[38:39], s[12:13]
	s_cbranch_execnz .LBB240_297
.LBB240_230:
	s_or_b64 exec, exec, s[38:39]
	s_and_saveexec_b64 s[38:39], s[10:11]
	s_cbranch_execnz .LBB240_298
.LBB240_231:
	s_or_b64 exec, exec, s[38:39]
	s_and_saveexec_b64 s[38:39], s[8:9]
	s_cbranch_execnz .LBB240_299
.LBB240_232:
	s_or_b64 exec, exec, s[38:39]
	s_and_saveexec_b64 s[38:39], s[6:7]
	s_cbranch_execnz .LBB240_300
.LBB240_233:
	s_or_b64 exec, exec, s[38:39]
	s_and_saveexec_b64 s[38:39], s[4:5]
	s_cbranch_execnz .LBB240_301
.LBB240_234:
	s_or_b64 exec, exec, s[38:39]
	s_and_saveexec_b64 s[38:39], s[2:3]
	s_cbranch_execz .LBB240_236
.LBB240_235:
	v_sub_u32_e32 v56, v39, v62
	v_mov_b32_e32 v57, 0
	v_lshlrev_b64 v[56:57], 3, v[56:57]
	v_add_co_u32_e32 v56, vcc, v52, v56
	v_addc_co_u32_e32 v57, vcc, v53, v57, vcc
	global_store_dwordx2 v[56:57], v[4:5], off
.LBB240_236:
	s_or_b64 exec, exec, s[38:39]
	s_and_b64 s[38:39], s[0:1], exec
	s_andn2_saveexec_b64 s[30:31], s[30:31]
	s_cbranch_execz .LBB240_186
.LBB240_237:
	v_sub_u32_e32 v56, v59, v62
	v_mov_b32_e32 v57, 0
	v_lshlrev_b64 v[72:73], 3, v[56:57]
	v_add_co_u32_e32 v72, vcc, v52, v72
	v_addc_co_u32_e32 v73, vcc, v53, v73, vcc
	v_sub_u32_e32 v56, v51, v62
	global_store_dwordx2 v[72:73], v[26:27], off
	v_lshlrev_b64 v[72:73], 3, v[56:57]
	v_add_co_u32_e32 v72, vcc, v52, v72
	v_addc_co_u32_e32 v73, vcc, v53, v73, vcc
	v_sub_u32_e32 v56, v50, v62
	global_store_dwordx2 v[72:73], v[28:29], off
	v_lshlrev_b64 v[72:73], 3, v[56:57]
	v_add_co_u32_e32 v72, vcc, v52, v72
	v_addc_co_u32_e32 v73, vcc, v53, v73, vcc
	v_sub_u32_e32 v56, v49, v62
	global_store_dwordx2 v[72:73], v[22:23], off
	v_lshlrev_b64 v[72:73], 3, v[56:57]
	v_add_co_u32_e32 v72, vcc, v52, v72
	v_addc_co_u32_e32 v73, vcc, v53, v73, vcc
	v_sub_u32_e32 v56, v48, v62
	global_store_dwordx2 v[72:73], v[24:25], off
	v_lshlrev_b64 v[72:73], 3, v[56:57]
	v_add_co_u32_e32 v72, vcc, v52, v72
	v_addc_co_u32_e32 v73, vcc, v53, v73, vcc
	v_sub_u32_e32 v56, v47, v62
	global_store_dwordx2 v[72:73], v[18:19], off
	v_lshlrev_b64 v[72:73], 3, v[56:57]
	v_add_co_u32_e32 v72, vcc, v52, v72
	v_addc_co_u32_e32 v73, vcc, v53, v73, vcc
	v_sub_u32_e32 v56, v46, v62
	global_store_dwordx2 v[72:73], v[20:21], off
	v_lshlrev_b64 v[72:73], 3, v[56:57]
	v_add_co_u32_e32 v72, vcc, v52, v72
	v_addc_co_u32_e32 v73, vcc, v53, v73, vcc
	v_sub_u32_e32 v56, v45, v62
	global_store_dwordx2 v[72:73], v[14:15], off
	v_lshlrev_b64 v[72:73], 3, v[56:57]
	v_add_co_u32_e32 v72, vcc, v52, v72
	v_addc_co_u32_e32 v73, vcc, v53, v73, vcc
	v_sub_u32_e32 v56, v44, v62
	global_store_dwordx2 v[72:73], v[16:17], off
	v_lshlrev_b64 v[72:73], 3, v[56:57]
	v_add_co_u32_e32 v72, vcc, v52, v72
	v_addc_co_u32_e32 v73, vcc, v53, v73, vcc
	v_sub_u32_e32 v56, v43, v62
	global_store_dwordx2 v[72:73], v[10:11], off
	v_lshlrev_b64 v[72:73], 3, v[56:57]
	v_add_co_u32_e32 v72, vcc, v52, v72
	v_addc_co_u32_e32 v73, vcc, v53, v73, vcc
	v_sub_u32_e32 v56, v42, v62
	global_store_dwordx2 v[72:73], v[12:13], off
	v_lshlrev_b64 v[72:73], 3, v[56:57]
	v_add_co_u32_e32 v72, vcc, v52, v72
	v_addc_co_u32_e32 v73, vcc, v53, v73, vcc
	v_sub_u32_e32 v56, v41, v62
	global_store_dwordx2 v[72:73], v[6:7], off
	v_lshlrev_b64 v[72:73], 3, v[56:57]
	v_add_co_u32_e32 v72, vcc, v52, v72
	v_addc_co_u32_e32 v73, vcc, v53, v73, vcc
	v_sub_u32_e32 v56, v40, v62
	global_store_dwordx2 v[72:73], v[8:9], off
	v_lshlrev_b64 v[72:73], 3, v[56:57]
	v_add_co_u32_e32 v72, vcc, v52, v72
	v_sub_u32_e32 v56, v39, v62
	v_addc_co_u32_e32 v73, vcc, v53, v73, vcc
	v_lshlrev_b64 v[56:57], 3, v[56:57]
	v_add_co_u32_e32 v56, vcc, v52, v56
	v_addc_co_u32_e32 v57, vcc, v53, v57, vcc
	s_or_b64 s[38:39], s[38:39], exec
	global_store_dwordx2 v[72:73], v[2:3], off
	global_store_dwordx2 v[56:57], v[4:5], off
	s_or_b64 exec, exec, s[30:31]
	s_and_b64 exec, exec, s[38:39]
	s_cbranch_execnz .LBB240_187
	s_branch .LBB240_188
.LBB240_238:
	s_and_saveexec_b64 s[38:39], s[28:29]
	s_cbranch_execnz .LBB240_302
; %bb.239:
	s_or_b64 exec, exec, s[38:39]
	s_and_saveexec_b64 s[28:29], s[26:27]
	s_cbranch_execnz .LBB240_303
.LBB240_240:
	s_or_b64 exec, exec, s[28:29]
	s_and_saveexec_b64 s[26:27], s[24:25]
	s_cbranch_execnz .LBB240_304
.LBB240_241:
	s_or_b64 exec, exec, s[26:27]
	s_and_saveexec_b64 s[24:25], s[22:23]
	s_cbranch_execnz .LBB240_305
.LBB240_242:
	s_or_b64 exec, exec, s[24:25]
	s_and_saveexec_b64 s[22:23], s[20:21]
	s_cbranch_execnz .LBB240_306
.LBB240_243:
	s_or_b64 exec, exec, s[22:23]
	s_and_saveexec_b64 s[20:21], s[18:19]
	s_cbranch_execnz .LBB240_307
.LBB240_244:
	s_or_b64 exec, exec, s[20:21]
	s_and_saveexec_b64 s[18:19], s[16:17]
	s_cbranch_execnz .LBB240_308
.LBB240_245:
	s_or_b64 exec, exec, s[18:19]
	s_and_saveexec_b64 s[16:17], s[14:15]
	s_cbranch_execnz .LBB240_309
.LBB240_246:
	s_or_b64 exec, exec, s[16:17]
	s_and_saveexec_b64 s[14:15], s[12:13]
	s_cbranch_execnz .LBB240_310
.LBB240_247:
	s_or_b64 exec, exec, s[14:15]
	s_and_saveexec_b64 s[12:13], s[10:11]
	s_cbranch_execnz .LBB240_311
.LBB240_248:
	s_or_b64 exec, exec, s[12:13]
	s_and_saveexec_b64 s[10:11], s[8:9]
	s_cbranch_execnz .LBB240_312
.LBB240_249:
	s_or_b64 exec, exec, s[10:11]
	s_and_saveexec_b64 s[8:9], s[6:7]
	s_cbranch_execnz .LBB240_313
.LBB240_250:
	s_or_b64 exec, exec, s[8:9]
	s_and_saveexec_b64 s[6:7], s[4:5]
	s_cbranch_execnz .LBB240_314
.LBB240_251:
	s_or_b64 exec, exec, s[6:7]
	s_and_saveexec_b64 s[4:5], s[2:3]
	s_cbranch_execz .LBB240_253
.LBB240_252:
	v_sub_u32_e32 v2, v39, v62
	v_lshlrev_b32_e32 v2, 3, v2
	ds_write_b64 v2, v[4:5]
.LBB240_253:
	s_or_b64 exec, exec, s[4:5]
	s_and_b64 s[38:39], s[0:1], exec
                                        ; implicit-def: $vgpr2_vgpr3
                                        ; implicit-def: $vgpr6_vgpr7
                                        ; implicit-def: $vgpr10_vgpr11
                                        ; implicit-def: $vgpr14_vgpr15
                                        ; implicit-def: $vgpr18_vgpr19
                                        ; implicit-def: $vgpr22_vgpr23
                                        ; implicit-def: $vgpr26_vgpr27
	s_andn2_saveexec_b64 s[0:1], s[36:37]
	s_cbranch_execz .LBB240_193
.LBB240_254:
	v_sub_u32_e32 v54, v59, v62
	v_lshlrev_b32_e32 v54, 3, v54
	ds_write_b64 v54, v[26:27]
	v_sub_u32_e32 v26, v51, v62
	v_lshlrev_b32_e32 v26, 3, v26
	ds_write_b64 v26, v[28:29]
	;; [unrolled: 3-line block ×13, first 2 shown]
	v_sub_u32_e32 v2, v39, v62
	v_lshlrev_b32_e32 v2, 3, v2
	s_or_b64 s[38:39], s[38:39], exec
	ds_write_b64 v2, v[4:5]
	s_or_b64 exec, exec, s[0:1]
	s_and_b64 exec, exec, s[38:39]
	s_cbranch_execnz .LBB240_194
	s_branch .LBB240_195
.LBB240_255:
	s_and_saveexec_b64 s[38:39], s[28:29]
	s_cbranch_execnz .LBB240_315
; %bb.256:
	s_or_b64 exec, exec, s[38:39]
	s_and_saveexec_b64 s[38:39], s[26:27]
	s_cbranch_execnz .LBB240_316
.LBB240_257:
	s_or_b64 exec, exec, s[38:39]
	s_and_saveexec_b64 s[38:39], s[24:25]
	s_cbranch_execnz .LBB240_317
.LBB240_258:
	s_or_b64 exec, exec, s[38:39]
	s_and_saveexec_b64 s[38:39], s[22:23]
	s_cbranch_execnz .LBB240_318
.LBB240_259:
	s_or_b64 exec, exec, s[38:39]
	s_and_saveexec_b64 s[38:39], s[20:21]
	s_cbranch_execnz .LBB240_319
.LBB240_260:
	s_or_b64 exec, exec, s[38:39]
	s_and_saveexec_b64 s[38:39], s[18:19]
	s_cbranch_execnz .LBB240_320
.LBB240_261:
	s_or_b64 exec, exec, s[38:39]
	s_and_saveexec_b64 s[38:39], s[16:17]
	s_cbranch_execnz .LBB240_321
.LBB240_262:
	s_or_b64 exec, exec, s[38:39]
	s_and_saveexec_b64 s[38:39], s[14:15]
	s_cbranch_execnz .LBB240_322
.LBB240_263:
	s_or_b64 exec, exec, s[38:39]
	s_and_saveexec_b64 s[38:39], s[12:13]
	s_cbranch_execnz .LBB240_323
.LBB240_264:
	s_or_b64 exec, exec, s[38:39]
	s_and_saveexec_b64 s[38:39], s[10:11]
	s_cbranch_execnz .LBB240_324
.LBB240_265:
	s_or_b64 exec, exec, s[38:39]
	s_and_saveexec_b64 s[38:39], s[8:9]
	s_cbranch_execnz .LBB240_325
.LBB240_266:
	s_or_b64 exec, exec, s[38:39]
	s_and_saveexec_b64 s[38:39], s[6:7]
	s_cbranch_execnz .LBB240_326
.LBB240_267:
	s_or_b64 exec, exec, s[38:39]
	s_and_saveexec_b64 s[38:39], s[4:5]
	s_cbranch_execnz .LBB240_327
.LBB240_268:
	s_or_b64 exec, exec, s[38:39]
	s_and_saveexec_b64 s[38:39], s[2:3]
	s_cbranch_execz .LBB240_270
.LBB240_269:
	v_sub_u32_e32 v10, v39, v8
	v_mov_b32_e32 v11, 0
	v_lshlrev_b64 v[10:11], 3, v[10:11]
	v_add_co_u32_e32 v10, vcc, v6, v10
	v_addc_co_u32_e32 v11, vcc, v7, v11, vcc
	global_store_dwordx2 v[10:11], v[94:95], off
.LBB240_270:
	s_or_b64 exec, exec, s[38:39]
	s_and_b64 s[38:39], s[0:1], exec
	s_andn2_saveexec_b64 s[30:31], s[30:31]
	s_cbranch_execz .LBB240_203
.LBB240_271:
	v_sub_u32_e32 v10, v59, v8
	v_mov_b32_e32 v11, 0
	v_lshlrev_b64 v[12:13], 3, v[10:11]
	v_add_co_u32_e32 v12, vcc, v6, v12
	v_addc_co_u32_e32 v13, vcc, v7, v13, vcc
	v_sub_u32_e32 v10, v51, v8
	global_store_dwordx2 v[12:13], v[92:93], off
	v_lshlrev_b64 v[12:13], 3, v[10:11]
	v_add_co_u32_e32 v12, vcc, v6, v12
	v_addc_co_u32_e32 v13, vcc, v7, v13, vcc
	v_sub_u32_e32 v10, v50, v8
	global_store_dwordx2 v[12:13], v[64:65], off
	;; [unrolled: 5-line block ×12, first 2 shown]
	v_lshlrev_b64 v[12:13], 3, v[10:11]
	v_add_co_u32_e32 v12, vcc, v6, v12
	v_sub_u32_e32 v10, v39, v8
	v_addc_co_u32_e32 v13, vcc, v7, v13, vcc
	v_lshlrev_b64 v[10:11], 3, v[10:11]
	v_add_co_u32_e32 v10, vcc, v6, v10
	v_addc_co_u32_e32 v11, vcc, v7, v11, vcc
	s_or_b64 s[38:39], s[38:39], exec
	global_store_dwordx2 v[12:13], v[90:91], off
	global_store_dwordx2 v[10:11], v[94:95], off
	s_or_b64 exec, exec, s[30:31]
	s_and_b64 exec, exec, s[38:39]
	s_cbranch_execnz .LBB240_204
	s_branch .LBB240_205
.LBB240_272:
	s_and_saveexec_b64 s[38:39], s[28:29]
	s_cbranch_execnz .LBB240_328
; %bb.273:
	s_or_b64 exec, exec, s[38:39]
	s_and_saveexec_b64 s[28:29], s[26:27]
	s_cbranch_execnz .LBB240_329
.LBB240_274:
	s_or_b64 exec, exec, s[28:29]
	s_and_saveexec_b64 s[26:27], s[24:25]
	s_cbranch_execnz .LBB240_330
.LBB240_275:
	s_or_b64 exec, exec, s[26:27]
	s_and_saveexec_b64 s[24:25], s[22:23]
	s_cbranch_execnz .LBB240_331
.LBB240_276:
	s_or_b64 exec, exec, s[24:25]
	s_and_saveexec_b64 s[22:23], s[20:21]
	s_cbranch_execnz .LBB240_332
.LBB240_277:
	s_or_b64 exec, exec, s[22:23]
	s_and_saveexec_b64 s[20:21], s[18:19]
	s_cbranch_execnz .LBB240_333
.LBB240_278:
	s_or_b64 exec, exec, s[20:21]
	s_and_saveexec_b64 s[18:19], s[16:17]
	s_cbranch_execnz .LBB240_334
.LBB240_279:
	s_or_b64 exec, exec, s[18:19]
	s_and_saveexec_b64 s[16:17], s[14:15]
	s_cbranch_execnz .LBB240_335
.LBB240_280:
	s_or_b64 exec, exec, s[16:17]
	s_and_saveexec_b64 s[14:15], s[12:13]
	s_cbranch_execnz .LBB240_336
.LBB240_281:
	s_or_b64 exec, exec, s[14:15]
	s_and_saveexec_b64 s[12:13], s[10:11]
	s_cbranch_execnz .LBB240_337
.LBB240_282:
	s_or_b64 exec, exec, s[12:13]
	s_and_saveexec_b64 s[10:11], s[8:9]
	s_cbranch_execnz .LBB240_338
.LBB240_283:
	s_or_b64 exec, exec, s[10:11]
	s_and_saveexec_b64 s[8:9], s[6:7]
	s_cbranch_execnz .LBB240_339
.LBB240_284:
	s_or_b64 exec, exec, s[8:9]
	s_and_saveexec_b64 s[6:7], s[4:5]
	s_cbranch_execnz .LBB240_340
.LBB240_285:
	s_or_b64 exec, exec, s[6:7]
	s_and_saveexec_b64 s[4:5], s[2:3]
	s_cbranch_execz .LBB240_287
.LBB240_286:
	v_sub_u32_e32 v9, v39, v8
	v_lshlrev_b32_e32 v9, 3, v9
	ds_write_b64 v9, v[94:95]
.LBB240_287:
	s_or_b64 exec, exec, s[4:5]
	s_and_b64 s[38:39], s[0:1], exec
                                        ; implicit-def: $vgpr92_vgpr93
                                        ; implicit-def: $vgpr64_vgpr65
                                        ; implicit-def: $vgpr66_vgpr67
                                        ; implicit-def: $vgpr68_vgpr69
                                        ; implicit-def: $vgpr70_vgpr71
                                        ; implicit-def: $vgpr76_vgpr77
                                        ; implicit-def: $vgpr78_vgpr79
                                        ; implicit-def: $vgpr80_vgpr81
                                        ; implicit-def: $vgpr82_vgpr83
                                        ; implicit-def: $vgpr84_vgpr85
                                        ; implicit-def: $vgpr86_vgpr87
                                        ; implicit-def: $vgpr88_vgpr89
                                        ; implicit-def: $vgpr90_vgpr91
                                        ; implicit-def: $vgpr94_vgpr95
                                        ; implicit-def: $vgpr59
                                        ; implicit-def: $vgpr51
                                        ; implicit-def: $vgpr50
                                        ; implicit-def: $vgpr49
                                        ; implicit-def: $vgpr48
                                        ; implicit-def: $vgpr47
                                        ; implicit-def: $vgpr46
                                        ; implicit-def: $vgpr45
                                        ; implicit-def: $vgpr44
                                        ; implicit-def: $vgpr43
                                        ; implicit-def: $vgpr42
                                        ; implicit-def: $vgpr41
                                        ; implicit-def: $vgpr40
                                        ; implicit-def: $vgpr39
	s_andn2_saveexec_b64 s[0:1], s[36:37]
	s_cbranch_execz .LBB240_210
.LBB240_288:
	v_sub_u32_e32 v9, v59, v8
	v_lshlrev_b32_e32 v9, 3, v9
	ds_write_b64 v9, v[92:93]
	v_sub_u32_e32 v9, v51, v8
	v_lshlrev_b32_e32 v9, 3, v9
	ds_write_b64 v9, v[64:65]
	;; [unrolled: 3-line block ×13, first 2 shown]
	v_sub_u32_e32 v9, v39, v8
	v_lshlrev_b32_e32 v9, 3, v9
	s_or_b64 s[38:39], s[38:39], exec
	ds_write_b64 v9, v[94:95]
	s_or_b64 exec, exec, s[0:1]
	s_and_b64 exec, exec, s[38:39]
	s_cbranch_execnz .LBB240_211
	s_branch .LBB240_212
.LBB240_289:
	v_sub_u32_e32 v56, v59, v62
	v_mov_b32_e32 v57, 0
	v_lshlrev_b64 v[56:57], 3, v[56:57]
	v_add_co_u32_e32 v56, vcc, v52, v56
	v_addc_co_u32_e32 v57, vcc, v53, v57, vcc
	global_store_dwordx2 v[56:57], v[26:27], off
	s_or_b64 exec, exec, s[38:39]
	s_and_saveexec_b64 s[38:39], s[26:27]
	s_cbranch_execz .LBB240_223
.LBB240_290:
	v_sub_u32_e32 v56, v51, v62
	v_mov_b32_e32 v57, 0
	v_lshlrev_b64 v[56:57], 3, v[56:57]
	v_add_co_u32_e32 v56, vcc, v52, v56
	v_addc_co_u32_e32 v57, vcc, v53, v57, vcc
	global_store_dwordx2 v[56:57], v[28:29], off
	s_or_b64 exec, exec, s[38:39]
	s_and_saveexec_b64 s[38:39], s[24:25]
	s_cbranch_execz .LBB240_224
.LBB240_291:
	v_sub_u32_e32 v56, v50, v62
	v_mov_b32_e32 v57, 0
	v_lshlrev_b64 v[56:57], 3, v[56:57]
	v_add_co_u32_e32 v56, vcc, v52, v56
	v_addc_co_u32_e32 v57, vcc, v53, v57, vcc
	global_store_dwordx2 v[56:57], v[22:23], off
	s_or_b64 exec, exec, s[38:39]
	s_and_saveexec_b64 s[38:39], s[22:23]
	s_cbranch_execz .LBB240_225
.LBB240_292:
	v_sub_u32_e32 v56, v49, v62
	v_mov_b32_e32 v57, 0
	v_lshlrev_b64 v[56:57], 3, v[56:57]
	v_add_co_u32_e32 v56, vcc, v52, v56
	v_addc_co_u32_e32 v57, vcc, v53, v57, vcc
	global_store_dwordx2 v[56:57], v[24:25], off
	s_or_b64 exec, exec, s[38:39]
	s_and_saveexec_b64 s[38:39], s[20:21]
	s_cbranch_execz .LBB240_226
.LBB240_293:
	v_sub_u32_e32 v56, v48, v62
	v_mov_b32_e32 v57, 0
	v_lshlrev_b64 v[56:57], 3, v[56:57]
	v_add_co_u32_e32 v56, vcc, v52, v56
	v_addc_co_u32_e32 v57, vcc, v53, v57, vcc
	global_store_dwordx2 v[56:57], v[18:19], off
	s_or_b64 exec, exec, s[38:39]
	s_and_saveexec_b64 s[38:39], s[18:19]
	s_cbranch_execz .LBB240_227
.LBB240_294:
	v_sub_u32_e32 v56, v47, v62
	v_mov_b32_e32 v57, 0
	v_lshlrev_b64 v[56:57], 3, v[56:57]
	v_add_co_u32_e32 v56, vcc, v52, v56
	v_addc_co_u32_e32 v57, vcc, v53, v57, vcc
	global_store_dwordx2 v[56:57], v[20:21], off
	s_or_b64 exec, exec, s[38:39]
	s_and_saveexec_b64 s[38:39], s[16:17]
	s_cbranch_execz .LBB240_228
.LBB240_295:
	v_sub_u32_e32 v56, v46, v62
	v_mov_b32_e32 v57, 0
	v_lshlrev_b64 v[56:57], 3, v[56:57]
	v_add_co_u32_e32 v56, vcc, v52, v56
	v_addc_co_u32_e32 v57, vcc, v53, v57, vcc
	global_store_dwordx2 v[56:57], v[14:15], off
	s_or_b64 exec, exec, s[38:39]
	s_and_saveexec_b64 s[38:39], s[14:15]
	s_cbranch_execz .LBB240_229
.LBB240_296:
	v_sub_u32_e32 v56, v45, v62
	v_mov_b32_e32 v57, 0
	v_lshlrev_b64 v[56:57], 3, v[56:57]
	v_add_co_u32_e32 v56, vcc, v52, v56
	v_addc_co_u32_e32 v57, vcc, v53, v57, vcc
	global_store_dwordx2 v[56:57], v[16:17], off
	s_or_b64 exec, exec, s[38:39]
	s_and_saveexec_b64 s[38:39], s[12:13]
	s_cbranch_execz .LBB240_230
.LBB240_297:
	v_sub_u32_e32 v56, v44, v62
	v_mov_b32_e32 v57, 0
	v_lshlrev_b64 v[56:57], 3, v[56:57]
	v_add_co_u32_e32 v56, vcc, v52, v56
	v_addc_co_u32_e32 v57, vcc, v53, v57, vcc
	global_store_dwordx2 v[56:57], v[10:11], off
	s_or_b64 exec, exec, s[38:39]
	s_and_saveexec_b64 s[38:39], s[10:11]
	s_cbranch_execz .LBB240_231
.LBB240_298:
	v_sub_u32_e32 v56, v43, v62
	v_mov_b32_e32 v57, 0
	v_lshlrev_b64 v[56:57], 3, v[56:57]
	v_add_co_u32_e32 v56, vcc, v52, v56
	v_addc_co_u32_e32 v57, vcc, v53, v57, vcc
	global_store_dwordx2 v[56:57], v[12:13], off
	s_or_b64 exec, exec, s[38:39]
	s_and_saveexec_b64 s[38:39], s[8:9]
	s_cbranch_execz .LBB240_232
.LBB240_299:
	v_sub_u32_e32 v56, v42, v62
	v_mov_b32_e32 v57, 0
	v_lshlrev_b64 v[56:57], 3, v[56:57]
	v_add_co_u32_e32 v56, vcc, v52, v56
	v_addc_co_u32_e32 v57, vcc, v53, v57, vcc
	global_store_dwordx2 v[56:57], v[6:7], off
	s_or_b64 exec, exec, s[38:39]
	s_and_saveexec_b64 s[38:39], s[6:7]
	s_cbranch_execz .LBB240_233
.LBB240_300:
	v_sub_u32_e32 v56, v41, v62
	v_mov_b32_e32 v57, 0
	v_lshlrev_b64 v[56:57], 3, v[56:57]
	v_add_co_u32_e32 v56, vcc, v52, v56
	v_addc_co_u32_e32 v57, vcc, v53, v57, vcc
	global_store_dwordx2 v[56:57], v[8:9], off
	s_or_b64 exec, exec, s[38:39]
	s_and_saveexec_b64 s[38:39], s[4:5]
	s_cbranch_execz .LBB240_234
.LBB240_301:
	v_sub_u32_e32 v56, v40, v62
	v_mov_b32_e32 v57, 0
	v_lshlrev_b64 v[56:57], 3, v[56:57]
	v_add_co_u32_e32 v56, vcc, v52, v56
	v_addc_co_u32_e32 v57, vcc, v53, v57, vcc
	global_store_dwordx2 v[56:57], v[2:3], off
	s_or_b64 exec, exec, s[38:39]
	s_and_saveexec_b64 s[38:39], s[2:3]
	s_cbranch_execnz .LBB240_235
	s_branch .LBB240_236
.LBB240_302:
	v_sub_u32_e32 v54, v59, v62
	v_lshlrev_b32_e32 v54, 3, v54
	ds_write_b64 v54, v[26:27]
	s_or_b64 exec, exec, s[38:39]
	s_and_saveexec_b64 s[28:29], s[26:27]
	s_cbranch_execz .LBB240_240
.LBB240_303:
	v_sub_u32_e32 v26, v51, v62
	v_lshlrev_b32_e32 v26, 3, v26
	ds_write_b64 v26, v[28:29]
	s_or_b64 exec, exec, s[28:29]
	s_and_saveexec_b64 s[26:27], s[24:25]
	s_cbranch_execz .LBB240_241
.LBB240_304:
	v_sub_u32_e32 v26, v50, v62
	v_lshlrev_b32_e32 v26, 3, v26
	ds_write_b64 v26, v[22:23]
	s_or_b64 exec, exec, s[26:27]
	s_and_saveexec_b64 s[24:25], s[22:23]
	s_cbranch_execz .LBB240_242
.LBB240_305:
	v_sub_u32_e32 v22, v49, v62
	v_lshlrev_b32_e32 v22, 3, v22
	ds_write_b64 v22, v[24:25]
	s_or_b64 exec, exec, s[24:25]
	s_and_saveexec_b64 s[22:23], s[20:21]
	s_cbranch_execz .LBB240_243
.LBB240_306:
	v_sub_u32_e32 v22, v48, v62
	v_lshlrev_b32_e32 v22, 3, v22
	ds_write_b64 v22, v[18:19]
	s_or_b64 exec, exec, s[22:23]
	s_and_saveexec_b64 s[20:21], s[18:19]
	s_cbranch_execz .LBB240_244
.LBB240_307:
	v_sub_u32_e32 v18, v47, v62
	v_lshlrev_b32_e32 v18, 3, v18
	ds_write_b64 v18, v[20:21]
	s_or_b64 exec, exec, s[20:21]
	s_and_saveexec_b64 s[18:19], s[16:17]
	s_cbranch_execz .LBB240_245
.LBB240_308:
	v_sub_u32_e32 v18, v46, v62
	v_lshlrev_b32_e32 v18, 3, v18
	ds_write_b64 v18, v[14:15]
	s_or_b64 exec, exec, s[18:19]
	s_and_saveexec_b64 s[16:17], s[14:15]
	s_cbranch_execz .LBB240_246
.LBB240_309:
	v_sub_u32_e32 v14, v45, v62
	v_lshlrev_b32_e32 v14, 3, v14
	ds_write_b64 v14, v[16:17]
	s_or_b64 exec, exec, s[16:17]
	s_and_saveexec_b64 s[14:15], s[12:13]
	s_cbranch_execz .LBB240_247
.LBB240_310:
	v_sub_u32_e32 v14, v44, v62
	v_lshlrev_b32_e32 v14, 3, v14
	ds_write_b64 v14, v[10:11]
	s_or_b64 exec, exec, s[14:15]
	s_and_saveexec_b64 s[12:13], s[10:11]
	s_cbranch_execz .LBB240_248
.LBB240_311:
	v_sub_u32_e32 v10, v43, v62
	v_lshlrev_b32_e32 v10, 3, v10
	ds_write_b64 v10, v[12:13]
	s_or_b64 exec, exec, s[12:13]
	s_and_saveexec_b64 s[10:11], s[8:9]
	s_cbranch_execz .LBB240_249
.LBB240_312:
	v_sub_u32_e32 v10, v42, v62
	v_lshlrev_b32_e32 v10, 3, v10
	ds_write_b64 v10, v[6:7]
	s_or_b64 exec, exec, s[10:11]
	s_and_saveexec_b64 s[8:9], s[6:7]
	s_cbranch_execz .LBB240_250
.LBB240_313:
	v_sub_u32_e32 v6, v41, v62
	v_lshlrev_b32_e32 v6, 3, v6
	ds_write_b64 v6, v[8:9]
	s_or_b64 exec, exec, s[8:9]
	s_and_saveexec_b64 s[6:7], s[4:5]
	s_cbranch_execz .LBB240_251
.LBB240_314:
	v_sub_u32_e32 v6, v40, v62
	v_lshlrev_b32_e32 v6, 3, v6
	ds_write_b64 v6, v[2:3]
	s_or_b64 exec, exec, s[6:7]
	s_and_saveexec_b64 s[4:5], s[2:3]
	s_cbranch_execnz .LBB240_252
	s_branch .LBB240_253
.LBB240_315:
	v_sub_u32_e32 v10, v59, v8
	v_mov_b32_e32 v11, 0
	v_lshlrev_b64 v[10:11], 3, v[10:11]
	v_add_co_u32_e32 v10, vcc, v6, v10
	v_addc_co_u32_e32 v11, vcc, v7, v11, vcc
	global_store_dwordx2 v[10:11], v[92:93], off
	s_or_b64 exec, exec, s[38:39]
	s_and_saveexec_b64 s[38:39], s[26:27]
	s_cbranch_execz .LBB240_257
.LBB240_316:
	v_sub_u32_e32 v10, v51, v8
	v_mov_b32_e32 v11, 0
	v_lshlrev_b64 v[10:11], 3, v[10:11]
	v_add_co_u32_e32 v10, vcc, v6, v10
	v_addc_co_u32_e32 v11, vcc, v7, v11, vcc
	global_store_dwordx2 v[10:11], v[64:65], off
	s_or_b64 exec, exec, s[38:39]
	s_and_saveexec_b64 s[38:39], s[24:25]
	s_cbranch_execz .LBB240_258
.LBB240_317:
	v_sub_u32_e32 v10, v50, v8
	v_mov_b32_e32 v11, 0
	v_lshlrev_b64 v[10:11], 3, v[10:11]
	v_add_co_u32_e32 v10, vcc, v6, v10
	v_addc_co_u32_e32 v11, vcc, v7, v11, vcc
	global_store_dwordx2 v[10:11], v[66:67], off
	s_or_b64 exec, exec, s[38:39]
	s_and_saveexec_b64 s[38:39], s[22:23]
	s_cbranch_execz .LBB240_259
.LBB240_318:
	v_sub_u32_e32 v10, v49, v8
	v_mov_b32_e32 v11, 0
	v_lshlrev_b64 v[10:11], 3, v[10:11]
	v_add_co_u32_e32 v10, vcc, v6, v10
	v_addc_co_u32_e32 v11, vcc, v7, v11, vcc
	global_store_dwordx2 v[10:11], v[68:69], off
	s_or_b64 exec, exec, s[38:39]
	s_and_saveexec_b64 s[38:39], s[20:21]
	s_cbranch_execz .LBB240_260
.LBB240_319:
	v_sub_u32_e32 v10, v48, v8
	v_mov_b32_e32 v11, 0
	v_lshlrev_b64 v[10:11], 3, v[10:11]
	v_add_co_u32_e32 v10, vcc, v6, v10
	v_addc_co_u32_e32 v11, vcc, v7, v11, vcc
	global_store_dwordx2 v[10:11], v[70:71], off
	s_or_b64 exec, exec, s[38:39]
	s_and_saveexec_b64 s[38:39], s[18:19]
	s_cbranch_execz .LBB240_261
.LBB240_320:
	v_sub_u32_e32 v10, v47, v8
	v_mov_b32_e32 v11, 0
	v_lshlrev_b64 v[10:11], 3, v[10:11]
	v_add_co_u32_e32 v10, vcc, v6, v10
	v_addc_co_u32_e32 v11, vcc, v7, v11, vcc
	global_store_dwordx2 v[10:11], v[76:77], off
	s_or_b64 exec, exec, s[38:39]
	s_and_saveexec_b64 s[38:39], s[16:17]
	s_cbranch_execz .LBB240_262
.LBB240_321:
	v_sub_u32_e32 v10, v46, v8
	v_mov_b32_e32 v11, 0
	v_lshlrev_b64 v[10:11], 3, v[10:11]
	v_add_co_u32_e32 v10, vcc, v6, v10
	v_addc_co_u32_e32 v11, vcc, v7, v11, vcc
	global_store_dwordx2 v[10:11], v[78:79], off
	s_or_b64 exec, exec, s[38:39]
	s_and_saveexec_b64 s[38:39], s[14:15]
	s_cbranch_execz .LBB240_263
.LBB240_322:
	v_sub_u32_e32 v10, v45, v8
	v_mov_b32_e32 v11, 0
	v_lshlrev_b64 v[10:11], 3, v[10:11]
	v_add_co_u32_e32 v10, vcc, v6, v10
	v_addc_co_u32_e32 v11, vcc, v7, v11, vcc
	global_store_dwordx2 v[10:11], v[80:81], off
	s_or_b64 exec, exec, s[38:39]
	s_and_saveexec_b64 s[38:39], s[12:13]
	s_cbranch_execz .LBB240_264
.LBB240_323:
	v_sub_u32_e32 v10, v44, v8
	v_mov_b32_e32 v11, 0
	v_lshlrev_b64 v[10:11], 3, v[10:11]
	v_add_co_u32_e32 v10, vcc, v6, v10
	v_addc_co_u32_e32 v11, vcc, v7, v11, vcc
	global_store_dwordx2 v[10:11], v[82:83], off
	s_or_b64 exec, exec, s[38:39]
	s_and_saveexec_b64 s[38:39], s[10:11]
	s_cbranch_execz .LBB240_265
.LBB240_324:
	v_sub_u32_e32 v10, v43, v8
	v_mov_b32_e32 v11, 0
	v_lshlrev_b64 v[10:11], 3, v[10:11]
	v_add_co_u32_e32 v10, vcc, v6, v10
	v_addc_co_u32_e32 v11, vcc, v7, v11, vcc
	global_store_dwordx2 v[10:11], v[84:85], off
	s_or_b64 exec, exec, s[38:39]
	s_and_saveexec_b64 s[38:39], s[8:9]
	s_cbranch_execz .LBB240_266
.LBB240_325:
	v_sub_u32_e32 v10, v42, v8
	v_mov_b32_e32 v11, 0
	v_lshlrev_b64 v[10:11], 3, v[10:11]
	v_add_co_u32_e32 v10, vcc, v6, v10
	v_addc_co_u32_e32 v11, vcc, v7, v11, vcc
	global_store_dwordx2 v[10:11], v[86:87], off
	s_or_b64 exec, exec, s[38:39]
	s_and_saveexec_b64 s[38:39], s[6:7]
	s_cbranch_execz .LBB240_267
.LBB240_326:
	v_sub_u32_e32 v10, v41, v8
	v_mov_b32_e32 v11, 0
	v_lshlrev_b64 v[10:11], 3, v[10:11]
	v_add_co_u32_e32 v10, vcc, v6, v10
	v_addc_co_u32_e32 v11, vcc, v7, v11, vcc
	global_store_dwordx2 v[10:11], v[88:89], off
	s_or_b64 exec, exec, s[38:39]
	s_and_saveexec_b64 s[38:39], s[4:5]
	s_cbranch_execz .LBB240_268
.LBB240_327:
	v_sub_u32_e32 v10, v40, v8
	v_mov_b32_e32 v11, 0
	v_lshlrev_b64 v[10:11], 3, v[10:11]
	v_add_co_u32_e32 v10, vcc, v6, v10
	v_addc_co_u32_e32 v11, vcc, v7, v11, vcc
	global_store_dwordx2 v[10:11], v[90:91], off
	s_or_b64 exec, exec, s[38:39]
	s_and_saveexec_b64 s[38:39], s[2:3]
	s_cbranch_execnz .LBB240_269
	s_branch .LBB240_270
.LBB240_328:
	v_sub_u32_e32 v9, v59, v8
	v_lshlrev_b32_e32 v9, 3, v9
	ds_write_b64 v9, v[92:93]
	s_or_b64 exec, exec, s[38:39]
	s_and_saveexec_b64 s[28:29], s[26:27]
	s_cbranch_execz .LBB240_274
.LBB240_329:
	v_sub_u32_e32 v9, v51, v8
	v_lshlrev_b32_e32 v9, 3, v9
	ds_write_b64 v9, v[64:65]
	s_or_b64 exec, exec, s[28:29]
	s_and_saveexec_b64 s[26:27], s[24:25]
	s_cbranch_execz .LBB240_275
.LBB240_330:
	v_sub_u32_e32 v9, v50, v8
	v_lshlrev_b32_e32 v9, 3, v9
	ds_write_b64 v9, v[66:67]
	s_or_b64 exec, exec, s[26:27]
	s_and_saveexec_b64 s[24:25], s[22:23]
	s_cbranch_execz .LBB240_276
.LBB240_331:
	v_sub_u32_e32 v9, v49, v8
	v_lshlrev_b32_e32 v9, 3, v9
	ds_write_b64 v9, v[68:69]
	s_or_b64 exec, exec, s[24:25]
	s_and_saveexec_b64 s[22:23], s[20:21]
	s_cbranch_execz .LBB240_277
.LBB240_332:
	v_sub_u32_e32 v9, v48, v8
	v_lshlrev_b32_e32 v9, 3, v9
	ds_write_b64 v9, v[70:71]
	s_or_b64 exec, exec, s[22:23]
	s_and_saveexec_b64 s[20:21], s[18:19]
	s_cbranch_execz .LBB240_278
.LBB240_333:
	v_sub_u32_e32 v9, v47, v8
	v_lshlrev_b32_e32 v9, 3, v9
	ds_write_b64 v9, v[76:77]
	s_or_b64 exec, exec, s[20:21]
	s_and_saveexec_b64 s[18:19], s[16:17]
	s_cbranch_execz .LBB240_279
.LBB240_334:
	v_sub_u32_e32 v9, v46, v8
	v_lshlrev_b32_e32 v9, 3, v9
	ds_write_b64 v9, v[78:79]
	s_or_b64 exec, exec, s[18:19]
	s_and_saveexec_b64 s[16:17], s[14:15]
	s_cbranch_execz .LBB240_280
.LBB240_335:
	v_sub_u32_e32 v9, v45, v8
	v_lshlrev_b32_e32 v9, 3, v9
	ds_write_b64 v9, v[80:81]
	s_or_b64 exec, exec, s[16:17]
	s_and_saveexec_b64 s[14:15], s[12:13]
	s_cbranch_execz .LBB240_281
.LBB240_336:
	v_sub_u32_e32 v9, v44, v8
	v_lshlrev_b32_e32 v9, 3, v9
	ds_write_b64 v9, v[82:83]
	s_or_b64 exec, exec, s[14:15]
	s_and_saveexec_b64 s[12:13], s[10:11]
	s_cbranch_execz .LBB240_282
.LBB240_337:
	v_sub_u32_e32 v9, v43, v8
	v_lshlrev_b32_e32 v9, 3, v9
	ds_write_b64 v9, v[84:85]
	s_or_b64 exec, exec, s[12:13]
	s_and_saveexec_b64 s[10:11], s[8:9]
	s_cbranch_execz .LBB240_283
.LBB240_338:
	v_sub_u32_e32 v9, v42, v8
	v_lshlrev_b32_e32 v9, 3, v9
	ds_write_b64 v9, v[86:87]
	s_or_b64 exec, exec, s[10:11]
	s_and_saveexec_b64 s[8:9], s[6:7]
	s_cbranch_execz .LBB240_284
.LBB240_339:
	v_sub_u32_e32 v9, v41, v8
	v_lshlrev_b32_e32 v9, 3, v9
	ds_write_b64 v9, v[88:89]
	s_or_b64 exec, exec, s[8:9]
	s_and_saveexec_b64 s[6:7], s[4:5]
	s_cbranch_execz .LBB240_285
.LBB240_340:
	v_sub_u32_e32 v9, v40, v8
	v_lshlrev_b32_e32 v9, 3, v9
	ds_write_b64 v9, v[90:91]
	s_or_b64 exec, exec, s[6:7]
	s_and_saveexec_b64 s[4:5], s[2:3]
	s_cbranch_execnz .LBB240_286
	s_branch .LBB240_287
	.section	.rodata,"a",@progbits
	.p2align	6, 0x0
	.amdhsa_kernel _ZN7rocprim17ROCPRIM_400000_NS6detail17trampoline_kernelINS0_14default_configENS1_29reduce_by_key_config_selectorIyyN6thrust23THRUST_200600_302600_NS4plusIyEEEEZZNS1_33reduce_by_key_impl_wrapped_configILNS1_25lookback_scan_determinismE0ES3_S9_NS6_6detail15normal_iteratorINS6_10device_ptrIyEEEESG_SG_SG_PmS8_NS6_8equal_toIyEEEE10hipError_tPvRmT2_T3_mT4_T5_T6_T7_T8_P12ihipStream_tbENKUlT_T0_E_clISt17integral_constantIbLb0EES11_EEDaSW_SX_EUlSW_E_NS1_11comp_targetILNS1_3genE4ELNS1_11target_archE910ELNS1_3gpuE8ELNS1_3repE0EEENS1_30default_config_static_selectorELNS0_4arch9wavefront6targetE1EEEvT1_
		.amdhsa_group_segment_fixed_size 30720
		.amdhsa_private_segment_fixed_size 0
		.amdhsa_kernarg_size 136
		.amdhsa_user_sgpr_count 6
		.amdhsa_user_sgpr_private_segment_buffer 1
		.amdhsa_user_sgpr_dispatch_ptr 0
		.amdhsa_user_sgpr_queue_ptr 0
		.amdhsa_user_sgpr_kernarg_segment_ptr 1
		.amdhsa_user_sgpr_dispatch_id 0
		.amdhsa_user_sgpr_flat_scratch_init 0
		.amdhsa_user_sgpr_kernarg_preload_length 0
		.amdhsa_user_sgpr_kernarg_preload_offset 0
		.amdhsa_user_sgpr_private_segment_size 0
		.amdhsa_uses_dynamic_stack 0
		.amdhsa_system_sgpr_private_segment_wavefront_offset 0
		.amdhsa_system_sgpr_workgroup_id_x 1
		.amdhsa_system_sgpr_workgroup_id_y 0
		.amdhsa_system_sgpr_workgroup_id_z 0
		.amdhsa_system_sgpr_workgroup_info 0
		.amdhsa_system_vgpr_workitem_id 0
		.amdhsa_next_free_vgpr 118
		.amdhsa_next_free_sgpr 65
		.amdhsa_accum_offset 120
		.amdhsa_reserve_vcc 1
		.amdhsa_reserve_flat_scratch 0
		.amdhsa_float_round_mode_32 0
		.amdhsa_float_round_mode_16_64 0
		.amdhsa_float_denorm_mode_32 3
		.amdhsa_float_denorm_mode_16_64 3
		.amdhsa_dx10_clamp 1
		.amdhsa_ieee_mode 1
		.amdhsa_fp16_overflow 0
		.amdhsa_tg_split 0
		.amdhsa_exception_fp_ieee_invalid_op 0
		.amdhsa_exception_fp_denorm_src 0
		.amdhsa_exception_fp_ieee_div_zero 0
		.amdhsa_exception_fp_ieee_overflow 0
		.amdhsa_exception_fp_ieee_underflow 0
		.amdhsa_exception_fp_ieee_inexact 0
		.amdhsa_exception_int_div_zero 0
	.end_amdhsa_kernel
	.section	.text._ZN7rocprim17ROCPRIM_400000_NS6detail17trampoline_kernelINS0_14default_configENS1_29reduce_by_key_config_selectorIyyN6thrust23THRUST_200600_302600_NS4plusIyEEEEZZNS1_33reduce_by_key_impl_wrapped_configILNS1_25lookback_scan_determinismE0ES3_S9_NS6_6detail15normal_iteratorINS6_10device_ptrIyEEEESG_SG_SG_PmS8_NS6_8equal_toIyEEEE10hipError_tPvRmT2_T3_mT4_T5_T6_T7_T8_P12ihipStream_tbENKUlT_T0_E_clISt17integral_constantIbLb0EES11_EEDaSW_SX_EUlSW_E_NS1_11comp_targetILNS1_3genE4ELNS1_11target_archE910ELNS1_3gpuE8ELNS1_3repE0EEENS1_30default_config_static_selectorELNS0_4arch9wavefront6targetE1EEEvT1_,"axG",@progbits,_ZN7rocprim17ROCPRIM_400000_NS6detail17trampoline_kernelINS0_14default_configENS1_29reduce_by_key_config_selectorIyyN6thrust23THRUST_200600_302600_NS4plusIyEEEEZZNS1_33reduce_by_key_impl_wrapped_configILNS1_25lookback_scan_determinismE0ES3_S9_NS6_6detail15normal_iteratorINS6_10device_ptrIyEEEESG_SG_SG_PmS8_NS6_8equal_toIyEEEE10hipError_tPvRmT2_T3_mT4_T5_T6_T7_T8_P12ihipStream_tbENKUlT_T0_E_clISt17integral_constantIbLb0EES11_EEDaSW_SX_EUlSW_E_NS1_11comp_targetILNS1_3genE4ELNS1_11target_archE910ELNS1_3gpuE8ELNS1_3repE0EEENS1_30default_config_static_selectorELNS0_4arch9wavefront6targetE1EEEvT1_,comdat
.Lfunc_end240:
	.size	_ZN7rocprim17ROCPRIM_400000_NS6detail17trampoline_kernelINS0_14default_configENS1_29reduce_by_key_config_selectorIyyN6thrust23THRUST_200600_302600_NS4plusIyEEEEZZNS1_33reduce_by_key_impl_wrapped_configILNS1_25lookback_scan_determinismE0ES3_S9_NS6_6detail15normal_iteratorINS6_10device_ptrIyEEEESG_SG_SG_PmS8_NS6_8equal_toIyEEEE10hipError_tPvRmT2_T3_mT4_T5_T6_T7_T8_P12ihipStream_tbENKUlT_T0_E_clISt17integral_constantIbLb0EES11_EEDaSW_SX_EUlSW_E_NS1_11comp_targetILNS1_3genE4ELNS1_11target_archE910ELNS1_3gpuE8ELNS1_3repE0EEENS1_30default_config_static_selectorELNS0_4arch9wavefront6targetE1EEEvT1_, .Lfunc_end240-_ZN7rocprim17ROCPRIM_400000_NS6detail17trampoline_kernelINS0_14default_configENS1_29reduce_by_key_config_selectorIyyN6thrust23THRUST_200600_302600_NS4plusIyEEEEZZNS1_33reduce_by_key_impl_wrapped_configILNS1_25lookback_scan_determinismE0ES3_S9_NS6_6detail15normal_iteratorINS6_10device_ptrIyEEEESG_SG_SG_PmS8_NS6_8equal_toIyEEEE10hipError_tPvRmT2_T3_mT4_T5_T6_T7_T8_P12ihipStream_tbENKUlT_T0_E_clISt17integral_constantIbLb0EES11_EEDaSW_SX_EUlSW_E_NS1_11comp_targetILNS1_3genE4ELNS1_11target_archE910ELNS1_3gpuE8ELNS1_3repE0EEENS1_30default_config_static_selectorELNS0_4arch9wavefront6targetE1EEEvT1_
                                        ; -- End function
	.section	.AMDGPU.csdata,"",@progbits
; Kernel info:
; codeLenInByte = 16788
; NumSgprs: 69
; NumVgprs: 118
; NumAgprs: 0
; TotalNumVgprs: 118
; ScratchSize: 0
; MemoryBound: 0
; FloatMode: 240
; IeeeMode: 1
; LDSByteSize: 30720 bytes/workgroup (compile time only)
; SGPRBlocks: 8
; VGPRBlocks: 14
; NumSGPRsForWavesPerEU: 69
; NumVGPRsForWavesPerEU: 118
; AccumOffset: 120
; Occupancy: 2
; WaveLimiterHint : 1
; COMPUTE_PGM_RSRC2:SCRATCH_EN: 0
; COMPUTE_PGM_RSRC2:USER_SGPR: 6
; COMPUTE_PGM_RSRC2:TRAP_HANDLER: 0
; COMPUTE_PGM_RSRC2:TGID_X_EN: 1
; COMPUTE_PGM_RSRC2:TGID_Y_EN: 0
; COMPUTE_PGM_RSRC2:TGID_Z_EN: 0
; COMPUTE_PGM_RSRC2:TIDIG_COMP_CNT: 0
; COMPUTE_PGM_RSRC3_GFX90A:ACCUM_OFFSET: 29
; COMPUTE_PGM_RSRC3_GFX90A:TG_SPLIT: 0
	.section	.text._ZN7rocprim17ROCPRIM_400000_NS6detail17trampoline_kernelINS0_14default_configENS1_29reduce_by_key_config_selectorIyyN6thrust23THRUST_200600_302600_NS4plusIyEEEEZZNS1_33reduce_by_key_impl_wrapped_configILNS1_25lookback_scan_determinismE0ES3_S9_NS6_6detail15normal_iteratorINS6_10device_ptrIyEEEESG_SG_SG_PmS8_NS6_8equal_toIyEEEE10hipError_tPvRmT2_T3_mT4_T5_T6_T7_T8_P12ihipStream_tbENKUlT_T0_E_clISt17integral_constantIbLb0EES11_EEDaSW_SX_EUlSW_E_NS1_11comp_targetILNS1_3genE3ELNS1_11target_archE908ELNS1_3gpuE7ELNS1_3repE0EEENS1_30default_config_static_selectorELNS0_4arch9wavefront6targetE1EEEvT1_,"axG",@progbits,_ZN7rocprim17ROCPRIM_400000_NS6detail17trampoline_kernelINS0_14default_configENS1_29reduce_by_key_config_selectorIyyN6thrust23THRUST_200600_302600_NS4plusIyEEEEZZNS1_33reduce_by_key_impl_wrapped_configILNS1_25lookback_scan_determinismE0ES3_S9_NS6_6detail15normal_iteratorINS6_10device_ptrIyEEEESG_SG_SG_PmS8_NS6_8equal_toIyEEEE10hipError_tPvRmT2_T3_mT4_T5_T6_T7_T8_P12ihipStream_tbENKUlT_T0_E_clISt17integral_constantIbLb0EES11_EEDaSW_SX_EUlSW_E_NS1_11comp_targetILNS1_3genE3ELNS1_11target_archE908ELNS1_3gpuE7ELNS1_3repE0EEENS1_30default_config_static_selectorELNS0_4arch9wavefront6targetE1EEEvT1_,comdat
	.protected	_ZN7rocprim17ROCPRIM_400000_NS6detail17trampoline_kernelINS0_14default_configENS1_29reduce_by_key_config_selectorIyyN6thrust23THRUST_200600_302600_NS4plusIyEEEEZZNS1_33reduce_by_key_impl_wrapped_configILNS1_25lookback_scan_determinismE0ES3_S9_NS6_6detail15normal_iteratorINS6_10device_ptrIyEEEESG_SG_SG_PmS8_NS6_8equal_toIyEEEE10hipError_tPvRmT2_T3_mT4_T5_T6_T7_T8_P12ihipStream_tbENKUlT_T0_E_clISt17integral_constantIbLb0EES11_EEDaSW_SX_EUlSW_E_NS1_11comp_targetILNS1_3genE3ELNS1_11target_archE908ELNS1_3gpuE7ELNS1_3repE0EEENS1_30default_config_static_selectorELNS0_4arch9wavefront6targetE1EEEvT1_ ; -- Begin function _ZN7rocprim17ROCPRIM_400000_NS6detail17trampoline_kernelINS0_14default_configENS1_29reduce_by_key_config_selectorIyyN6thrust23THRUST_200600_302600_NS4plusIyEEEEZZNS1_33reduce_by_key_impl_wrapped_configILNS1_25lookback_scan_determinismE0ES3_S9_NS6_6detail15normal_iteratorINS6_10device_ptrIyEEEESG_SG_SG_PmS8_NS6_8equal_toIyEEEE10hipError_tPvRmT2_T3_mT4_T5_T6_T7_T8_P12ihipStream_tbENKUlT_T0_E_clISt17integral_constantIbLb0EES11_EEDaSW_SX_EUlSW_E_NS1_11comp_targetILNS1_3genE3ELNS1_11target_archE908ELNS1_3gpuE7ELNS1_3repE0EEENS1_30default_config_static_selectorELNS0_4arch9wavefront6targetE1EEEvT1_
	.globl	_ZN7rocprim17ROCPRIM_400000_NS6detail17trampoline_kernelINS0_14default_configENS1_29reduce_by_key_config_selectorIyyN6thrust23THRUST_200600_302600_NS4plusIyEEEEZZNS1_33reduce_by_key_impl_wrapped_configILNS1_25lookback_scan_determinismE0ES3_S9_NS6_6detail15normal_iteratorINS6_10device_ptrIyEEEESG_SG_SG_PmS8_NS6_8equal_toIyEEEE10hipError_tPvRmT2_T3_mT4_T5_T6_T7_T8_P12ihipStream_tbENKUlT_T0_E_clISt17integral_constantIbLb0EES11_EEDaSW_SX_EUlSW_E_NS1_11comp_targetILNS1_3genE3ELNS1_11target_archE908ELNS1_3gpuE7ELNS1_3repE0EEENS1_30default_config_static_selectorELNS0_4arch9wavefront6targetE1EEEvT1_
	.p2align	8
	.type	_ZN7rocprim17ROCPRIM_400000_NS6detail17trampoline_kernelINS0_14default_configENS1_29reduce_by_key_config_selectorIyyN6thrust23THRUST_200600_302600_NS4plusIyEEEEZZNS1_33reduce_by_key_impl_wrapped_configILNS1_25lookback_scan_determinismE0ES3_S9_NS6_6detail15normal_iteratorINS6_10device_ptrIyEEEESG_SG_SG_PmS8_NS6_8equal_toIyEEEE10hipError_tPvRmT2_T3_mT4_T5_T6_T7_T8_P12ihipStream_tbENKUlT_T0_E_clISt17integral_constantIbLb0EES11_EEDaSW_SX_EUlSW_E_NS1_11comp_targetILNS1_3genE3ELNS1_11target_archE908ELNS1_3gpuE7ELNS1_3repE0EEENS1_30default_config_static_selectorELNS0_4arch9wavefront6targetE1EEEvT1_,@function
_ZN7rocprim17ROCPRIM_400000_NS6detail17trampoline_kernelINS0_14default_configENS1_29reduce_by_key_config_selectorIyyN6thrust23THRUST_200600_302600_NS4plusIyEEEEZZNS1_33reduce_by_key_impl_wrapped_configILNS1_25lookback_scan_determinismE0ES3_S9_NS6_6detail15normal_iteratorINS6_10device_ptrIyEEEESG_SG_SG_PmS8_NS6_8equal_toIyEEEE10hipError_tPvRmT2_T3_mT4_T5_T6_T7_T8_P12ihipStream_tbENKUlT_T0_E_clISt17integral_constantIbLb0EES11_EEDaSW_SX_EUlSW_E_NS1_11comp_targetILNS1_3genE3ELNS1_11target_archE908ELNS1_3gpuE7ELNS1_3repE0EEENS1_30default_config_static_selectorELNS0_4arch9wavefront6targetE1EEEvT1_: ; @_ZN7rocprim17ROCPRIM_400000_NS6detail17trampoline_kernelINS0_14default_configENS1_29reduce_by_key_config_selectorIyyN6thrust23THRUST_200600_302600_NS4plusIyEEEEZZNS1_33reduce_by_key_impl_wrapped_configILNS1_25lookback_scan_determinismE0ES3_S9_NS6_6detail15normal_iteratorINS6_10device_ptrIyEEEESG_SG_SG_PmS8_NS6_8equal_toIyEEEE10hipError_tPvRmT2_T3_mT4_T5_T6_T7_T8_P12ihipStream_tbENKUlT_T0_E_clISt17integral_constantIbLb0EES11_EEDaSW_SX_EUlSW_E_NS1_11comp_targetILNS1_3genE3ELNS1_11target_archE908ELNS1_3gpuE7ELNS1_3repE0EEENS1_30default_config_static_selectorELNS0_4arch9wavefront6targetE1EEEvT1_
; %bb.0:
	.section	.rodata,"a",@progbits
	.p2align	6, 0x0
	.amdhsa_kernel _ZN7rocprim17ROCPRIM_400000_NS6detail17trampoline_kernelINS0_14default_configENS1_29reduce_by_key_config_selectorIyyN6thrust23THRUST_200600_302600_NS4plusIyEEEEZZNS1_33reduce_by_key_impl_wrapped_configILNS1_25lookback_scan_determinismE0ES3_S9_NS6_6detail15normal_iteratorINS6_10device_ptrIyEEEESG_SG_SG_PmS8_NS6_8equal_toIyEEEE10hipError_tPvRmT2_T3_mT4_T5_T6_T7_T8_P12ihipStream_tbENKUlT_T0_E_clISt17integral_constantIbLb0EES11_EEDaSW_SX_EUlSW_E_NS1_11comp_targetILNS1_3genE3ELNS1_11target_archE908ELNS1_3gpuE7ELNS1_3repE0EEENS1_30default_config_static_selectorELNS0_4arch9wavefront6targetE1EEEvT1_
		.amdhsa_group_segment_fixed_size 0
		.amdhsa_private_segment_fixed_size 0
		.amdhsa_kernarg_size 136
		.amdhsa_user_sgpr_count 6
		.amdhsa_user_sgpr_private_segment_buffer 1
		.amdhsa_user_sgpr_dispatch_ptr 0
		.amdhsa_user_sgpr_queue_ptr 0
		.amdhsa_user_sgpr_kernarg_segment_ptr 1
		.amdhsa_user_sgpr_dispatch_id 0
		.amdhsa_user_sgpr_flat_scratch_init 0
		.amdhsa_user_sgpr_kernarg_preload_length 0
		.amdhsa_user_sgpr_kernarg_preload_offset 0
		.amdhsa_user_sgpr_private_segment_size 0
		.amdhsa_uses_dynamic_stack 0
		.amdhsa_system_sgpr_private_segment_wavefront_offset 0
		.amdhsa_system_sgpr_workgroup_id_x 1
		.amdhsa_system_sgpr_workgroup_id_y 0
		.amdhsa_system_sgpr_workgroup_id_z 0
		.amdhsa_system_sgpr_workgroup_info 0
		.amdhsa_system_vgpr_workitem_id 0
		.amdhsa_next_free_vgpr 1
		.amdhsa_next_free_sgpr 0
		.amdhsa_accum_offset 4
		.amdhsa_reserve_vcc 0
		.amdhsa_reserve_flat_scratch 0
		.amdhsa_float_round_mode_32 0
		.amdhsa_float_round_mode_16_64 0
		.amdhsa_float_denorm_mode_32 3
		.amdhsa_float_denorm_mode_16_64 3
		.amdhsa_dx10_clamp 1
		.amdhsa_ieee_mode 1
		.amdhsa_fp16_overflow 0
		.amdhsa_tg_split 0
		.amdhsa_exception_fp_ieee_invalid_op 0
		.amdhsa_exception_fp_denorm_src 0
		.amdhsa_exception_fp_ieee_div_zero 0
		.amdhsa_exception_fp_ieee_overflow 0
		.amdhsa_exception_fp_ieee_underflow 0
		.amdhsa_exception_fp_ieee_inexact 0
		.amdhsa_exception_int_div_zero 0
	.end_amdhsa_kernel
	.section	.text._ZN7rocprim17ROCPRIM_400000_NS6detail17trampoline_kernelINS0_14default_configENS1_29reduce_by_key_config_selectorIyyN6thrust23THRUST_200600_302600_NS4plusIyEEEEZZNS1_33reduce_by_key_impl_wrapped_configILNS1_25lookback_scan_determinismE0ES3_S9_NS6_6detail15normal_iteratorINS6_10device_ptrIyEEEESG_SG_SG_PmS8_NS6_8equal_toIyEEEE10hipError_tPvRmT2_T3_mT4_T5_T6_T7_T8_P12ihipStream_tbENKUlT_T0_E_clISt17integral_constantIbLb0EES11_EEDaSW_SX_EUlSW_E_NS1_11comp_targetILNS1_3genE3ELNS1_11target_archE908ELNS1_3gpuE7ELNS1_3repE0EEENS1_30default_config_static_selectorELNS0_4arch9wavefront6targetE1EEEvT1_,"axG",@progbits,_ZN7rocprim17ROCPRIM_400000_NS6detail17trampoline_kernelINS0_14default_configENS1_29reduce_by_key_config_selectorIyyN6thrust23THRUST_200600_302600_NS4plusIyEEEEZZNS1_33reduce_by_key_impl_wrapped_configILNS1_25lookback_scan_determinismE0ES3_S9_NS6_6detail15normal_iteratorINS6_10device_ptrIyEEEESG_SG_SG_PmS8_NS6_8equal_toIyEEEE10hipError_tPvRmT2_T3_mT4_T5_T6_T7_T8_P12ihipStream_tbENKUlT_T0_E_clISt17integral_constantIbLb0EES11_EEDaSW_SX_EUlSW_E_NS1_11comp_targetILNS1_3genE3ELNS1_11target_archE908ELNS1_3gpuE7ELNS1_3repE0EEENS1_30default_config_static_selectorELNS0_4arch9wavefront6targetE1EEEvT1_,comdat
.Lfunc_end241:
	.size	_ZN7rocprim17ROCPRIM_400000_NS6detail17trampoline_kernelINS0_14default_configENS1_29reduce_by_key_config_selectorIyyN6thrust23THRUST_200600_302600_NS4plusIyEEEEZZNS1_33reduce_by_key_impl_wrapped_configILNS1_25lookback_scan_determinismE0ES3_S9_NS6_6detail15normal_iteratorINS6_10device_ptrIyEEEESG_SG_SG_PmS8_NS6_8equal_toIyEEEE10hipError_tPvRmT2_T3_mT4_T5_T6_T7_T8_P12ihipStream_tbENKUlT_T0_E_clISt17integral_constantIbLb0EES11_EEDaSW_SX_EUlSW_E_NS1_11comp_targetILNS1_3genE3ELNS1_11target_archE908ELNS1_3gpuE7ELNS1_3repE0EEENS1_30default_config_static_selectorELNS0_4arch9wavefront6targetE1EEEvT1_, .Lfunc_end241-_ZN7rocprim17ROCPRIM_400000_NS6detail17trampoline_kernelINS0_14default_configENS1_29reduce_by_key_config_selectorIyyN6thrust23THRUST_200600_302600_NS4plusIyEEEEZZNS1_33reduce_by_key_impl_wrapped_configILNS1_25lookback_scan_determinismE0ES3_S9_NS6_6detail15normal_iteratorINS6_10device_ptrIyEEEESG_SG_SG_PmS8_NS6_8equal_toIyEEEE10hipError_tPvRmT2_T3_mT4_T5_T6_T7_T8_P12ihipStream_tbENKUlT_T0_E_clISt17integral_constantIbLb0EES11_EEDaSW_SX_EUlSW_E_NS1_11comp_targetILNS1_3genE3ELNS1_11target_archE908ELNS1_3gpuE7ELNS1_3repE0EEENS1_30default_config_static_selectorELNS0_4arch9wavefront6targetE1EEEvT1_
                                        ; -- End function
	.section	.AMDGPU.csdata,"",@progbits
; Kernel info:
; codeLenInByte = 0
; NumSgprs: 4
; NumVgprs: 0
; NumAgprs: 0
; TotalNumVgprs: 0
; ScratchSize: 0
; MemoryBound: 0
; FloatMode: 240
; IeeeMode: 1
; LDSByteSize: 0 bytes/workgroup (compile time only)
; SGPRBlocks: 0
; VGPRBlocks: 0
; NumSGPRsForWavesPerEU: 4
; NumVGPRsForWavesPerEU: 1
; AccumOffset: 4
; Occupancy: 8
; WaveLimiterHint : 0
; COMPUTE_PGM_RSRC2:SCRATCH_EN: 0
; COMPUTE_PGM_RSRC2:USER_SGPR: 6
; COMPUTE_PGM_RSRC2:TRAP_HANDLER: 0
; COMPUTE_PGM_RSRC2:TGID_X_EN: 1
; COMPUTE_PGM_RSRC2:TGID_Y_EN: 0
; COMPUTE_PGM_RSRC2:TGID_Z_EN: 0
; COMPUTE_PGM_RSRC2:TIDIG_COMP_CNT: 0
; COMPUTE_PGM_RSRC3_GFX90A:ACCUM_OFFSET: 0
; COMPUTE_PGM_RSRC3_GFX90A:TG_SPLIT: 0
	.section	.text._ZN7rocprim17ROCPRIM_400000_NS6detail17trampoline_kernelINS0_14default_configENS1_29reduce_by_key_config_selectorIyyN6thrust23THRUST_200600_302600_NS4plusIyEEEEZZNS1_33reduce_by_key_impl_wrapped_configILNS1_25lookback_scan_determinismE0ES3_S9_NS6_6detail15normal_iteratorINS6_10device_ptrIyEEEESG_SG_SG_PmS8_NS6_8equal_toIyEEEE10hipError_tPvRmT2_T3_mT4_T5_T6_T7_T8_P12ihipStream_tbENKUlT_T0_E_clISt17integral_constantIbLb0EES11_EEDaSW_SX_EUlSW_E_NS1_11comp_targetILNS1_3genE2ELNS1_11target_archE906ELNS1_3gpuE6ELNS1_3repE0EEENS1_30default_config_static_selectorELNS0_4arch9wavefront6targetE1EEEvT1_,"axG",@progbits,_ZN7rocprim17ROCPRIM_400000_NS6detail17trampoline_kernelINS0_14default_configENS1_29reduce_by_key_config_selectorIyyN6thrust23THRUST_200600_302600_NS4plusIyEEEEZZNS1_33reduce_by_key_impl_wrapped_configILNS1_25lookback_scan_determinismE0ES3_S9_NS6_6detail15normal_iteratorINS6_10device_ptrIyEEEESG_SG_SG_PmS8_NS6_8equal_toIyEEEE10hipError_tPvRmT2_T3_mT4_T5_T6_T7_T8_P12ihipStream_tbENKUlT_T0_E_clISt17integral_constantIbLb0EES11_EEDaSW_SX_EUlSW_E_NS1_11comp_targetILNS1_3genE2ELNS1_11target_archE906ELNS1_3gpuE6ELNS1_3repE0EEENS1_30default_config_static_selectorELNS0_4arch9wavefront6targetE1EEEvT1_,comdat
	.protected	_ZN7rocprim17ROCPRIM_400000_NS6detail17trampoline_kernelINS0_14default_configENS1_29reduce_by_key_config_selectorIyyN6thrust23THRUST_200600_302600_NS4plusIyEEEEZZNS1_33reduce_by_key_impl_wrapped_configILNS1_25lookback_scan_determinismE0ES3_S9_NS6_6detail15normal_iteratorINS6_10device_ptrIyEEEESG_SG_SG_PmS8_NS6_8equal_toIyEEEE10hipError_tPvRmT2_T3_mT4_T5_T6_T7_T8_P12ihipStream_tbENKUlT_T0_E_clISt17integral_constantIbLb0EES11_EEDaSW_SX_EUlSW_E_NS1_11comp_targetILNS1_3genE2ELNS1_11target_archE906ELNS1_3gpuE6ELNS1_3repE0EEENS1_30default_config_static_selectorELNS0_4arch9wavefront6targetE1EEEvT1_ ; -- Begin function _ZN7rocprim17ROCPRIM_400000_NS6detail17trampoline_kernelINS0_14default_configENS1_29reduce_by_key_config_selectorIyyN6thrust23THRUST_200600_302600_NS4plusIyEEEEZZNS1_33reduce_by_key_impl_wrapped_configILNS1_25lookback_scan_determinismE0ES3_S9_NS6_6detail15normal_iteratorINS6_10device_ptrIyEEEESG_SG_SG_PmS8_NS6_8equal_toIyEEEE10hipError_tPvRmT2_T3_mT4_T5_T6_T7_T8_P12ihipStream_tbENKUlT_T0_E_clISt17integral_constantIbLb0EES11_EEDaSW_SX_EUlSW_E_NS1_11comp_targetILNS1_3genE2ELNS1_11target_archE906ELNS1_3gpuE6ELNS1_3repE0EEENS1_30default_config_static_selectorELNS0_4arch9wavefront6targetE1EEEvT1_
	.globl	_ZN7rocprim17ROCPRIM_400000_NS6detail17trampoline_kernelINS0_14default_configENS1_29reduce_by_key_config_selectorIyyN6thrust23THRUST_200600_302600_NS4plusIyEEEEZZNS1_33reduce_by_key_impl_wrapped_configILNS1_25lookback_scan_determinismE0ES3_S9_NS6_6detail15normal_iteratorINS6_10device_ptrIyEEEESG_SG_SG_PmS8_NS6_8equal_toIyEEEE10hipError_tPvRmT2_T3_mT4_T5_T6_T7_T8_P12ihipStream_tbENKUlT_T0_E_clISt17integral_constantIbLb0EES11_EEDaSW_SX_EUlSW_E_NS1_11comp_targetILNS1_3genE2ELNS1_11target_archE906ELNS1_3gpuE6ELNS1_3repE0EEENS1_30default_config_static_selectorELNS0_4arch9wavefront6targetE1EEEvT1_
	.p2align	8
	.type	_ZN7rocprim17ROCPRIM_400000_NS6detail17trampoline_kernelINS0_14default_configENS1_29reduce_by_key_config_selectorIyyN6thrust23THRUST_200600_302600_NS4plusIyEEEEZZNS1_33reduce_by_key_impl_wrapped_configILNS1_25lookback_scan_determinismE0ES3_S9_NS6_6detail15normal_iteratorINS6_10device_ptrIyEEEESG_SG_SG_PmS8_NS6_8equal_toIyEEEE10hipError_tPvRmT2_T3_mT4_T5_T6_T7_T8_P12ihipStream_tbENKUlT_T0_E_clISt17integral_constantIbLb0EES11_EEDaSW_SX_EUlSW_E_NS1_11comp_targetILNS1_3genE2ELNS1_11target_archE906ELNS1_3gpuE6ELNS1_3repE0EEENS1_30default_config_static_selectorELNS0_4arch9wavefront6targetE1EEEvT1_,@function
_ZN7rocprim17ROCPRIM_400000_NS6detail17trampoline_kernelINS0_14default_configENS1_29reduce_by_key_config_selectorIyyN6thrust23THRUST_200600_302600_NS4plusIyEEEEZZNS1_33reduce_by_key_impl_wrapped_configILNS1_25lookback_scan_determinismE0ES3_S9_NS6_6detail15normal_iteratorINS6_10device_ptrIyEEEESG_SG_SG_PmS8_NS6_8equal_toIyEEEE10hipError_tPvRmT2_T3_mT4_T5_T6_T7_T8_P12ihipStream_tbENKUlT_T0_E_clISt17integral_constantIbLb0EES11_EEDaSW_SX_EUlSW_E_NS1_11comp_targetILNS1_3genE2ELNS1_11target_archE906ELNS1_3gpuE6ELNS1_3repE0EEENS1_30default_config_static_selectorELNS0_4arch9wavefront6targetE1EEEvT1_: ; @_ZN7rocprim17ROCPRIM_400000_NS6detail17trampoline_kernelINS0_14default_configENS1_29reduce_by_key_config_selectorIyyN6thrust23THRUST_200600_302600_NS4plusIyEEEEZZNS1_33reduce_by_key_impl_wrapped_configILNS1_25lookback_scan_determinismE0ES3_S9_NS6_6detail15normal_iteratorINS6_10device_ptrIyEEEESG_SG_SG_PmS8_NS6_8equal_toIyEEEE10hipError_tPvRmT2_T3_mT4_T5_T6_T7_T8_P12ihipStream_tbENKUlT_T0_E_clISt17integral_constantIbLb0EES11_EEDaSW_SX_EUlSW_E_NS1_11comp_targetILNS1_3genE2ELNS1_11target_archE906ELNS1_3gpuE6ELNS1_3repE0EEENS1_30default_config_static_selectorELNS0_4arch9wavefront6targetE1EEEvT1_
; %bb.0:
	.section	.rodata,"a",@progbits
	.p2align	6, 0x0
	.amdhsa_kernel _ZN7rocprim17ROCPRIM_400000_NS6detail17trampoline_kernelINS0_14default_configENS1_29reduce_by_key_config_selectorIyyN6thrust23THRUST_200600_302600_NS4plusIyEEEEZZNS1_33reduce_by_key_impl_wrapped_configILNS1_25lookback_scan_determinismE0ES3_S9_NS6_6detail15normal_iteratorINS6_10device_ptrIyEEEESG_SG_SG_PmS8_NS6_8equal_toIyEEEE10hipError_tPvRmT2_T3_mT4_T5_T6_T7_T8_P12ihipStream_tbENKUlT_T0_E_clISt17integral_constantIbLb0EES11_EEDaSW_SX_EUlSW_E_NS1_11comp_targetILNS1_3genE2ELNS1_11target_archE906ELNS1_3gpuE6ELNS1_3repE0EEENS1_30default_config_static_selectorELNS0_4arch9wavefront6targetE1EEEvT1_
		.amdhsa_group_segment_fixed_size 0
		.amdhsa_private_segment_fixed_size 0
		.amdhsa_kernarg_size 136
		.amdhsa_user_sgpr_count 6
		.amdhsa_user_sgpr_private_segment_buffer 1
		.amdhsa_user_sgpr_dispatch_ptr 0
		.amdhsa_user_sgpr_queue_ptr 0
		.amdhsa_user_sgpr_kernarg_segment_ptr 1
		.amdhsa_user_sgpr_dispatch_id 0
		.amdhsa_user_sgpr_flat_scratch_init 0
		.amdhsa_user_sgpr_kernarg_preload_length 0
		.amdhsa_user_sgpr_kernarg_preload_offset 0
		.amdhsa_user_sgpr_private_segment_size 0
		.amdhsa_uses_dynamic_stack 0
		.amdhsa_system_sgpr_private_segment_wavefront_offset 0
		.amdhsa_system_sgpr_workgroup_id_x 1
		.amdhsa_system_sgpr_workgroup_id_y 0
		.amdhsa_system_sgpr_workgroup_id_z 0
		.amdhsa_system_sgpr_workgroup_info 0
		.amdhsa_system_vgpr_workitem_id 0
		.amdhsa_next_free_vgpr 1
		.amdhsa_next_free_sgpr 0
		.amdhsa_accum_offset 4
		.amdhsa_reserve_vcc 0
		.amdhsa_reserve_flat_scratch 0
		.amdhsa_float_round_mode_32 0
		.amdhsa_float_round_mode_16_64 0
		.amdhsa_float_denorm_mode_32 3
		.amdhsa_float_denorm_mode_16_64 3
		.amdhsa_dx10_clamp 1
		.amdhsa_ieee_mode 1
		.amdhsa_fp16_overflow 0
		.amdhsa_tg_split 0
		.amdhsa_exception_fp_ieee_invalid_op 0
		.amdhsa_exception_fp_denorm_src 0
		.amdhsa_exception_fp_ieee_div_zero 0
		.amdhsa_exception_fp_ieee_overflow 0
		.amdhsa_exception_fp_ieee_underflow 0
		.amdhsa_exception_fp_ieee_inexact 0
		.amdhsa_exception_int_div_zero 0
	.end_amdhsa_kernel
	.section	.text._ZN7rocprim17ROCPRIM_400000_NS6detail17trampoline_kernelINS0_14default_configENS1_29reduce_by_key_config_selectorIyyN6thrust23THRUST_200600_302600_NS4plusIyEEEEZZNS1_33reduce_by_key_impl_wrapped_configILNS1_25lookback_scan_determinismE0ES3_S9_NS6_6detail15normal_iteratorINS6_10device_ptrIyEEEESG_SG_SG_PmS8_NS6_8equal_toIyEEEE10hipError_tPvRmT2_T3_mT4_T5_T6_T7_T8_P12ihipStream_tbENKUlT_T0_E_clISt17integral_constantIbLb0EES11_EEDaSW_SX_EUlSW_E_NS1_11comp_targetILNS1_3genE2ELNS1_11target_archE906ELNS1_3gpuE6ELNS1_3repE0EEENS1_30default_config_static_selectorELNS0_4arch9wavefront6targetE1EEEvT1_,"axG",@progbits,_ZN7rocprim17ROCPRIM_400000_NS6detail17trampoline_kernelINS0_14default_configENS1_29reduce_by_key_config_selectorIyyN6thrust23THRUST_200600_302600_NS4plusIyEEEEZZNS1_33reduce_by_key_impl_wrapped_configILNS1_25lookback_scan_determinismE0ES3_S9_NS6_6detail15normal_iteratorINS6_10device_ptrIyEEEESG_SG_SG_PmS8_NS6_8equal_toIyEEEE10hipError_tPvRmT2_T3_mT4_T5_T6_T7_T8_P12ihipStream_tbENKUlT_T0_E_clISt17integral_constantIbLb0EES11_EEDaSW_SX_EUlSW_E_NS1_11comp_targetILNS1_3genE2ELNS1_11target_archE906ELNS1_3gpuE6ELNS1_3repE0EEENS1_30default_config_static_selectorELNS0_4arch9wavefront6targetE1EEEvT1_,comdat
.Lfunc_end242:
	.size	_ZN7rocprim17ROCPRIM_400000_NS6detail17trampoline_kernelINS0_14default_configENS1_29reduce_by_key_config_selectorIyyN6thrust23THRUST_200600_302600_NS4plusIyEEEEZZNS1_33reduce_by_key_impl_wrapped_configILNS1_25lookback_scan_determinismE0ES3_S9_NS6_6detail15normal_iteratorINS6_10device_ptrIyEEEESG_SG_SG_PmS8_NS6_8equal_toIyEEEE10hipError_tPvRmT2_T3_mT4_T5_T6_T7_T8_P12ihipStream_tbENKUlT_T0_E_clISt17integral_constantIbLb0EES11_EEDaSW_SX_EUlSW_E_NS1_11comp_targetILNS1_3genE2ELNS1_11target_archE906ELNS1_3gpuE6ELNS1_3repE0EEENS1_30default_config_static_selectorELNS0_4arch9wavefront6targetE1EEEvT1_, .Lfunc_end242-_ZN7rocprim17ROCPRIM_400000_NS6detail17trampoline_kernelINS0_14default_configENS1_29reduce_by_key_config_selectorIyyN6thrust23THRUST_200600_302600_NS4plusIyEEEEZZNS1_33reduce_by_key_impl_wrapped_configILNS1_25lookback_scan_determinismE0ES3_S9_NS6_6detail15normal_iteratorINS6_10device_ptrIyEEEESG_SG_SG_PmS8_NS6_8equal_toIyEEEE10hipError_tPvRmT2_T3_mT4_T5_T6_T7_T8_P12ihipStream_tbENKUlT_T0_E_clISt17integral_constantIbLb0EES11_EEDaSW_SX_EUlSW_E_NS1_11comp_targetILNS1_3genE2ELNS1_11target_archE906ELNS1_3gpuE6ELNS1_3repE0EEENS1_30default_config_static_selectorELNS0_4arch9wavefront6targetE1EEEvT1_
                                        ; -- End function
	.section	.AMDGPU.csdata,"",@progbits
; Kernel info:
; codeLenInByte = 0
; NumSgprs: 4
; NumVgprs: 0
; NumAgprs: 0
; TotalNumVgprs: 0
; ScratchSize: 0
; MemoryBound: 0
; FloatMode: 240
; IeeeMode: 1
; LDSByteSize: 0 bytes/workgroup (compile time only)
; SGPRBlocks: 0
; VGPRBlocks: 0
; NumSGPRsForWavesPerEU: 4
; NumVGPRsForWavesPerEU: 1
; AccumOffset: 4
; Occupancy: 8
; WaveLimiterHint : 0
; COMPUTE_PGM_RSRC2:SCRATCH_EN: 0
; COMPUTE_PGM_RSRC2:USER_SGPR: 6
; COMPUTE_PGM_RSRC2:TRAP_HANDLER: 0
; COMPUTE_PGM_RSRC2:TGID_X_EN: 1
; COMPUTE_PGM_RSRC2:TGID_Y_EN: 0
; COMPUTE_PGM_RSRC2:TGID_Z_EN: 0
; COMPUTE_PGM_RSRC2:TIDIG_COMP_CNT: 0
; COMPUTE_PGM_RSRC3_GFX90A:ACCUM_OFFSET: 0
; COMPUTE_PGM_RSRC3_GFX90A:TG_SPLIT: 0
	.section	.text._ZN7rocprim17ROCPRIM_400000_NS6detail17trampoline_kernelINS0_14default_configENS1_29reduce_by_key_config_selectorIyyN6thrust23THRUST_200600_302600_NS4plusIyEEEEZZNS1_33reduce_by_key_impl_wrapped_configILNS1_25lookback_scan_determinismE0ES3_S9_NS6_6detail15normal_iteratorINS6_10device_ptrIyEEEESG_SG_SG_PmS8_NS6_8equal_toIyEEEE10hipError_tPvRmT2_T3_mT4_T5_T6_T7_T8_P12ihipStream_tbENKUlT_T0_E_clISt17integral_constantIbLb0EES11_EEDaSW_SX_EUlSW_E_NS1_11comp_targetILNS1_3genE10ELNS1_11target_archE1201ELNS1_3gpuE5ELNS1_3repE0EEENS1_30default_config_static_selectorELNS0_4arch9wavefront6targetE1EEEvT1_,"axG",@progbits,_ZN7rocprim17ROCPRIM_400000_NS6detail17trampoline_kernelINS0_14default_configENS1_29reduce_by_key_config_selectorIyyN6thrust23THRUST_200600_302600_NS4plusIyEEEEZZNS1_33reduce_by_key_impl_wrapped_configILNS1_25lookback_scan_determinismE0ES3_S9_NS6_6detail15normal_iteratorINS6_10device_ptrIyEEEESG_SG_SG_PmS8_NS6_8equal_toIyEEEE10hipError_tPvRmT2_T3_mT4_T5_T6_T7_T8_P12ihipStream_tbENKUlT_T0_E_clISt17integral_constantIbLb0EES11_EEDaSW_SX_EUlSW_E_NS1_11comp_targetILNS1_3genE10ELNS1_11target_archE1201ELNS1_3gpuE5ELNS1_3repE0EEENS1_30default_config_static_selectorELNS0_4arch9wavefront6targetE1EEEvT1_,comdat
	.protected	_ZN7rocprim17ROCPRIM_400000_NS6detail17trampoline_kernelINS0_14default_configENS1_29reduce_by_key_config_selectorIyyN6thrust23THRUST_200600_302600_NS4plusIyEEEEZZNS1_33reduce_by_key_impl_wrapped_configILNS1_25lookback_scan_determinismE0ES3_S9_NS6_6detail15normal_iteratorINS6_10device_ptrIyEEEESG_SG_SG_PmS8_NS6_8equal_toIyEEEE10hipError_tPvRmT2_T3_mT4_T5_T6_T7_T8_P12ihipStream_tbENKUlT_T0_E_clISt17integral_constantIbLb0EES11_EEDaSW_SX_EUlSW_E_NS1_11comp_targetILNS1_3genE10ELNS1_11target_archE1201ELNS1_3gpuE5ELNS1_3repE0EEENS1_30default_config_static_selectorELNS0_4arch9wavefront6targetE1EEEvT1_ ; -- Begin function _ZN7rocprim17ROCPRIM_400000_NS6detail17trampoline_kernelINS0_14default_configENS1_29reduce_by_key_config_selectorIyyN6thrust23THRUST_200600_302600_NS4plusIyEEEEZZNS1_33reduce_by_key_impl_wrapped_configILNS1_25lookback_scan_determinismE0ES3_S9_NS6_6detail15normal_iteratorINS6_10device_ptrIyEEEESG_SG_SG_PmS8_NS6_8equal_toIyEEEE10hipError_tPvRmT2_T3_mT4_T5_T6_T7_T8_P12ihipStream_tbENKUlT_T0_E_clISt17integral_constantIbLb0EES11_EEDaSW_SX_EUlSW_E_NS1_11comp_targetILNS1_3genE10ELNS1_11target_archE1201ELNS1_3gpuE5ELNS1_3repE0EEENS1_30default_config_static_selectorELNS0_4arch9wavefront6targetE1EEEvT1_
	.globl	_ZN7rocprim17ROCPRIM_400000_NS6detail17trampoline_kernelINS0_14default_configENS1_29reduce_by_key_config_selectorIyyN6thrust23THRUST_200600_302600_NS4plusIyEEEEZZNS1_33reduce_by_key_impl_wrapped_configILNS1_25lookback_scan_determinismE0ES3_S9_NS6_6detail15normal_iteratorINS6_10device_ptrIyEEEESG_SG_SG_PmS8_NS6_8equal_toIyEEEE10hipError_tPvRmT2_T3_mT4_T5_T6_T7_T8_P12ihipStream_tbENKUlT_T0_E_clISt17integral_constantIbLb0EES11_EEDaSW_SX_EUlSW_E_NS1_11comp_targetILNS1_3genE10ELNS1_11target_archE1201ELNS1_3gpuE5ELNS1_3repE0EEENS1_30default_config_static_selectorELNS0_4arch9wavefront6targetE1EEEvT1_
	.p2align	8
	.type	_ZN7rocprim17ROCPRIM_400000_NS6detail17trampoline_kernelINS0_14default_configENS1_29reduce_by_key_config_selectorIyyN6thrust23THRUST_200600_302600_NS4plusIyEEEEZZNS1_33reduce_by_key_impl_wrapped_configILNS1_25lookback_scan_determinismE0ES3_S9_NS6_6detail15normal_iteratorINS6_10device_ptrIyEEEESG_SG_SG_PmS8_NS6_8equal_toIyEEEE10hipError_tPvRmT2_T3_mT4_T5_T6_T7_T8_P12ihipStream_tbENKUlT_T0_E_clISt17integral_constantIbLb0EES11_EEDaSW_SX_EUlSW_E_NS1_11comp_targetILNS1_3genE10ELNS1_11target_archE1201ELNS1_3gpuE5ELNS1_3repE0EEENS1_30default_config_static_selectorELNS0_4arch9wavefront6targetE1EEEvT1_,@function
_ZN7rocprim17ROCPRIM_400000_NS6detail17trampoline_kernelINS0_14default_configENS1_29reduce_by_key_config_selectorIyyN6thrust23THRUST_200600_302600_NS4plusIyEEEEZZNS1_33reduce_by_key_impl_wrapped_configILNS1_25lookback_scan_determinismE0ES3_S9_NS6_6detail15normal_iteratorINS6_10device_ptrIyEEEESG_SG_SG_PmS8_NS6_8equal_toIyEEEE10hipError_tPvRmT2_T3_mT4_T5_T6_T7_T8_P12ihipStream_tbENKUlT_T0_E_clISt17integral_constantIbLb0EES11_EEDaSW_SX_EUlSW_E_NS1_11comp_targetILNS1_3genE10ELNS1_11target_archE1201ELNS1_3gpuE5ELNS1_3repE0EEENS1_30default_config_static_selectorELNS0_4arch9wavefront6targetE1EEEvT1_: ; @_ZN7rocprim17ROCPRIM_400000_NS6detail17trampoline_kernelINS0_14default_configENS1_29reduce_by_key_config_selectorIyyN6thrust23THRUST_200600_302600_NS4plusIyEEEEZZNS1_33reduce_by_key_impl_wrapped_configILNS1_25lookback_scan_determinismE0ES3_S9_NS6_6detail15normal_iteratorINS6_10device_ptrIyEEEESG_SG_SG_PmS8_NS6_8equal_toIyEEEE10hipError_tPvRmT2_T3_mT4_T5_T6_T7_T8_P12ihipStream_tbENKUlT_T0_E_clISt17integral_constantIbLb0EES11_EEDaSW_SX_EUlSW_E_NS1_11comp_targetILNS1_3genE10ELNS1_11target_archE1201ELNS1_3gpuE5ELNS1_3repE0EEENS1_30default_config_static_selectorELNS0_4arch9wavefront6targetE1EEEvT1_
; %bb.0:
	.section	.rodata,"a",@progbits
	.p2align	6, 0x0
	.amdhsa_kernel _ZN7rocprim17ROCPRIM_400000_NS6detail17trampoline_kernelINS0_14default_configENS1_29reduce_by_key_config_selectorIyyN6thrust23THRUST_200600_302600_NS4plusIyEEEEZZNS1_33reduce_by_key_impl_wrapped_configILNS1_25lookback_scan_determinismE0ES3_S9_NS6_6detail15normal_iteratorINS6_10device_ptrIyEEEESG_SG_SG_PmS8_NS6_8equal_toIyEEEE10hipError_tPvRmT2_T3_mT4_T5_T6_T7_T8_P12ihipStream_tbENKUlT_T0_E_clISt17integral_constantIbLb0EES11_EEDaSW_SX_EUlSW_E_NS1_11comp_targetILNS1_3genE10ELNS1_11target_archE1201ELNS1_3gpuE5ELNS1_3repE0EEENS1_30default_config_static_selectorELNS0_4arch9wavefront6targetE1EEEvT1_
		.amdhsa_group_segment_fixed_size 0
		.amdhsa_private_segment_fixed_size 0
		.amdhsa_kernarg_size 136
		.amdhsa_user_sgpr_count 6
		.amdhsa_user_sgpr_private_segment_buffer 1
		.amdhsa_user_sgpr_dispatch_ptr 0
		.amdhsa_user_sgpr_queue_ptr 0
		.amdhsa_user_sgpr_kernarg_segment_ptr 1
		.amdhsa_user_sgpr_dispatch_id 0
		.amdhsa_user_sgpr_flat_scratch_init 0
		.amdhsa_user_sgpr_kernarg_preload_length 0
		.amdhsa_user_sgpr_kernarg_preload_offset 0
		.amdhsa_user_sgpr_private_segment_size 0
		.amdhsa_uses_dynamic_stack 0
		.amdhsa_system_sgpr_private_segment_wavefront_offset 0
		.amdhsa_system_sgpr_workgroup_id_x 1
		.amdhsa_system_sgpr_workgroup_id_y 0
		.amdhsa_system_sgpr_workgroup_id_z 0
		.amdhsa_system_sgpr_workgroup_info 0
		.amdhsa_system_vgpr_workitem_id 0
		.amdhsa_next_free_vgpr 1
		.amdhsa_next_free_sgpr 0
		.amdhsa_accum_offset 4
		.amdhsa_reserve_vcc 0
		.amdhsa_reserve_flat_scratch 0
		.amdhsa_float_round_mode_32 0
		.amdhsa_float_round_mode_16_64 0
		.amdhsa_float_denorm_mode_32 3
		.amdhsa_float_denorm_mode_16_64 3
		.amdhsa_dx10_clamp 1
		.amdhsa_ieee_mode 1
		.amdhsa_fp16_overflow 0
		.amdhsa_tg_split 0
		.amdhsa_exception_fp_ieee_invalid_op 0
		.amdhsa_exception_fp_denorm_src 0
		.amdhsa_exception_fp_ieee_div_zero 0
		.amdhsa_exception_fp_ieee_overflow 0
		.amdhsa_exception_fp_ieee_underflow 0
		.amdhsa_exception_fp_ieee_inexact 0
		.amdhsa_exception_int_div_zero 0
	.end_amdhsa_kernel
	.section	.text._ZN7rocprim17ROCPRIM_400000_NS6detail17trampoline_kernelINS0_14default_configENS1_29reduce_by_key_config_selectorIyyN6thrust23THRUST_200600_302600_NS4plusIyEEEEZZNS1_33reduce_by_key_impl_wrapped_configILNS1_25lookback_scan_determinismE0ES3_S9_NS6_6detail15normal_iteratorINS6_10device_ptrIyEEEESG_SG_SG_PmS8_NS6_8equal_toIyEEEE10hipError_tPvRmT2_T3_mT4_T5_T6_T7_T8_P12ihipStream_tbENKUlT_T0_E_clISt17integral_constantIbLb0EES11_EEDaSW_SX_EUlSW_E_NS1_11comp_targetILNS1_3genE10ELNS1_11target_archE1201ELNS1_3gpuE5ELNS1_3repE0EEENS1_30default_config_static_selectorELNS0_4arch9wavefront6targetE1EEEvT1_,"axG",@progbits,_ZN7rocprim17ROCPRIM_400000_NS6detail17trampoline_kernelINS0_14default_configENS1_29reduce_by_key_config_selectorIyyN6thrust23THRUST_200600_302600_NS4plusIyEEEEZZNS1_33reduce_by_key_impl_wrapped_configILNS1_25lookback_scan_determinismE0ES3_S9_NS6_6detail15normal_iteratorINS6_10device_ptrIyEEEESG_SG_SG_PmS8_NS6_8equal_toIyEEEE10hipError_tPvRmT2_T3_mT4_T5_T6_T7_T8_P12ihipStream_tbENKUlT_T0_E_clISt17integral_constantIbLb0EES11_EEDaSW_SX_EUlSW_E_NS1_11comp_targetILNS1_3genE10ELNS1_11target_archE1201ELNS1_3gpuE5ELNS1_3repE0EEENS1_30default_config_static_selectorELNS0_4arch9wavefront6targetE1EEEvT1_,comdat
.Lfunc_end243:
	.size	_ZN7rocprim17ROCPRIM_400000_NS6detail17trampoline_kernelINS0_14default_configENS1_29reduce_by_key_config_selectorIyyN6thrust23THRUST_200600_302600_NS4plusIyEEEEZZNS1_33reduce_by_key_impl_wrapped_configILNS1_25lookback_scan_determinismE0ES3_S9_NS6_6detail15normal_iteratorINS6_10device_ptrIyEEEESG_SG_SG_PmS8_NS6_8equal_toIyEEEE10hipError_tPvRmT2_T3_mT4_T5_T6_T7_T8_P12ihipStream_tbENKUlT_T0_E_clISt17integral_constantIbLb0EES11_EEDaSW_SX_EUlSW_E_NS1_11comp_targetILNS1_3genE10ELNS1_11target_archE1201ELNS1_3gpuE5ELNS1_3repE0EEENS1_30default_config_static_selectorELNS0_4arch9wavefront6targetE1EEEvT1_, .Lfunc_end243-_ZN7rocprim17ROCPRIM_400000_NS6detail17trampoline_kernelINS0_14default_configENS1_29reduce_by_key_config_selectorIyyN6thrust23THRUST_200600_302600_NS4plusIyEEEEZZNS1_33reduce_by_key_impl_wrapped_configILNS1_25lookback_scan_determinismE0ES3_S9_NS6_6detail15normal_iteratorINS6_10device_ptrIyEEEESG_SG_SG_PmS8_NS6_8equal_toIyEEEE10hipError_tPvRmT2_T3_mT4_T5_T6_T7_T8_P12ihipStream_tbENKUlT_T0_E_clISt17integral_constantIbLb0EES11_EEDaSW_SX_EUlSW_E_NS1_11comp_targetILNS1_3genE10ELNS1_11target_archE1201ELNS1_3gpuE5ELNS1_3repE0EEENS1_30default_config_static_selectorELNS0_4arch9wavefront6targetE1EEEvT1_
                                        ; -- End function
	.section	.AMDGPU.csdata,"",@progbits
; Kernel info:
; codeLenInByte = 0
; NumSgprs: 4
; NumVgprs: 0
; NumAgprs: 0
; TotalNumVgprs: 0
; ScratchSize: 0
; MemoryBound: 0
; FloatMode: 240
; IeeeMode: 1
; LDSByteSize: 0 bytes/workgroup (compile time only)
; SGPRBlocks: 0
; VGPRBlocks: 0
; NumSGPRsForWavesPerEU: 4
; NumVGPRsForWavesPerEU: 1
; AccumOffset: 4
; Occupancy: 8
; WaveLimiterHint : 0
; COMPUTE_PGM_RSRC2:SCRATCH_EN: 0
; COMPUTE_PGM_RSRC2:USER_SGPR: 6
; COMPUTE_PGM_RSRC2:TRAP_HANDLER: 0
; COMPUTE_PGM_RSRC2:TGID_X_EN: 1
; COMPUTE_PGM_RSRC2:TGID_Y_EN: 0
; COMPUTE_PGM_RSRC2:TGID_Z_EN: 0
; COMPUTE_PGM_RSRC2:TIDIG_COMP_CNT: 0
; COMPUTE_PGM_RSRC3_GFX90A:ACCUM_OFFSET: 0
; COMPUTE_PGM_RSRC3_GFX90A:TG_SPLIT: 0
	.section	.text._ZN7rocprim17ROCPRIM_400000_NS6detail17trampoline_kernelINS0_14default_configENS1_29reduce_by_key_config_selectorIyyN6thrust23THRUST_200600_302600_NS4plusIyEEEEZZNS1_33reduce_by_key_impl_wrapped_configILNS1_25lookback_scan_determinismE0ES3_S9_NS6_6detail15normal_iteratorINS6_10device_ptrIyEEEESG_SG_SG_PmS8_NS6_8equal_toIyEEEE10hipError_tPvRmT2_T3_mT4_T5_T6_T7_T8_P12ihipStream_tbENKUlT_T0_E_clISt17integral_constantIbLb0EES11_EEDaSW_SX_EUlSW_E_NS1_11comp_targetILNS1_3genE10ELNS1_11target_archE1200ELNS1_3gpuE4ELNS1_3repE0EEENS1_30default_config_static_selectorELNS0_4arch9wavefront6targetE1EEEvT1_,"axG",@progbits,_ZN7rocprim17ROCPRIM_400000_NS6detail17trampoline_kernelINS0_14default_configENS1_29reduce_by_key_config_selectorIyyN6thrust23THRUST_200600_302600_NS4plusIyEEEEZZNS1_33reduce_by_key_impl_wrapped_configILNS1_25lookback_scan_determinismE0ES3_S9_NS6_6detail15normal_iteratorINS6_10device_ptrIyEEEESG_SG_SG_PmS8_NS6_8equal_toIyEEEE10hipError_tPvRmT2_T3_mT4_T5_T6_T7_T8_P12ihipStream_tbENKUlT_T0_E_clISt17integral_constantIbLb0EES11_EEDaSW_SX_EUlSW_E_NS1_11comp_targetILNS1_3genE10ELNS1_11target_archE1200ELNS1_3gpuE4ELNS1_3repE0EEENS1_30default_config_static_selectorELNS0_4arch9wavefront6targetE1EEEvT1_,comdat
	.protected	_ZN7rocprim17ROCPRIM_400000_NS6detail17trampoline_kernelINS0_14default_configENS1_29reduce_by_key_config_selectorIyyN6thrust23THRUST_200600_302600_NS4plusIyEEEEZZNS1_33reduce_by_key_impl_wrapped_configILNS1_25lookback_scan_determinismE0ES3_S9_NS6_6detail15normal_iteratorINS6_10device_ptrIyEEEESG_SG_SG_PmS8_NS6_8equal_toIyEEEE10hipError_tPvRmT2_T3_mT4_T5_T6_T7_T8_P12ihipStream_tbENKUlT_T0_E_clISt17integral_constantIbLb0EES11_EEDaSW_SX_EUlSW_E_NS1_11comp_targetILNS1_3genE10ELNS1_11target_archE1200ELNS1_3gpuE4ELNS1_3repE0EEENS1_30default_config_static_selectorELNS0_4arch9wavefront6targetE1EEEvT1_ ; -- Begin function _ZN7rocprim17ROCPRIM_400000_NS6detail17trampoline_kernelINS0_14default_configENS1_29reduce_by_key_config_selectorIyyN6thrust23THRUST_200600_302600_NS4plusIyEEEEZZNS1_33reduce_by_key_impl_wrapped_configILNS1_25lookback_scan_determinismE0ES3_S9_NS6_6detail15normal_iteratorINS6_10device_ptrIyEEEESG_SG_SG_PmS8_NS6_8equal_toIyEEEE10hipError_tPvRmT2_T3_mT4_T5_T6_T7_T8_P12ihipStream_tbENKUlT_T0_E_clISt17integral_constantIbLb0EES11_EEDaSW_SX_EUlSW_E_NS1_11comp_targetILNS1_3genE10ELNS1_11target_archE1200ELNS1_3gpuE4ELNS1_3repE0EEENS1_30default_config_static_selectorELNS0_4arch9wavefront6targetE1EEEvT1_
	.globl	_ZN7rocprim17ROCPRIM_400000_NS6detail17trampoline_kernelINS0_14default_configENS1_29reduce_by_key_config_selectorIyyN6thrust23THRUST_200600_302600_NS4plusIyEEEEZZNS1_33reduce_by_key_impl_wrapped_configILNS1_25lookback_scan_determinismE0ES3_S9_NS6_6detail15normal_iteratorINS6_10device_ptrIyEEEESG_SG_SG_PmS8_NS6_8equal_toIyEEEE10hipError_tPvRmT2_T3_mT4_T5_T6_T7_T8_P12ihipStream_tbENKUlT_T0_E_clISt17integral_constantIbLb0EES11_EEDaSW_SX_EUlSW_E_NS1_11comp_targetILNS1_3genE10ELNS1_11target_archE1200ELNS1_3gpuE4ELNS1_3repE0EEENS1_30default_config_static_selectorELNS0_4arch9wavefront6targetE1EEEvT1_
	.p2align	8
	.type	_ZN7rocprim17ROCPRIM_400000_NS6detail17trampoline_kernelINS0_14default_configENS1_29reduce_by_key_config_selectorIyyN6thrust23THRUST_200600_302600_NS4plusIyEEEEZZNS1_33reduce_by_key_impl_wrapped_configILNS1_25lookback_scan_determinismE0ES3_S9_NS6_6detail15normal_iteratorINS6_10device_ptrIyEEEESG_SG_SG_PmS8_NS6_8equal_toIyEEEE10hipError_tPvRmT2_T3_mT4_T5_T6_T7_T8_P12ihipStream_tbENKUlT_T0_E_clISt17integral_constantIbLb0EES11_EEDaSW_SX_EUlSW_E_NS1_11comp_targetILNS1_3genE10ELNS1_11target_archE1200ELNS1_3gpuE4ELNS1_3repE0EEENS1_30default_config_static_selectorELNS0_4arch9wavefront6targetE1EEEvT1_,@function
_ZN7rocprim17ROCPRIM_400000_NS6detail17trampoline_kernelINS0_14default_configENS1_29reduce_by_key_config_selectorIyyN6thrust23THRUST_200600_302600_NS4plusIyEEEEZZNS1_33reduce_by_key_impl_wrapped_configILNS1_25lookback_scan_determinismE0ES3_S9_NS6_6detail15normal_iteratorINS6_10device_ptrIyEEEESG_SG_SG_PmS8_NS6_8equal_toIyEEEE10hipError_tPvRmT2_T3_mT4_T5_T6_T7_T8_P12ihipStream_tbENKUlT_T0_E_clISt17integral_constantIbLb0EES11_EEDaSW_SX_EUlSW_E_NS1_11comp_targetILNS1_3genE10ELNS1_11target_archE1200ELNS1_3gpuE4ELNS1_3repE0EEENS1_30default_config_static_selectorELNS0_4arch9wavefront6targetE1EEEvT1_: ; @_ZN7rocprim17ROCPRIM_400000_NS6detail17trampoline_kernelINS0_14default_configENS1_29reduce_by_key_config_selectorIyyN6thrust23THRUST_200600_302600_NS4plusIyEEEEZZNS1_33reduce_by_key_impl_wrapped_configILNS1_25lookback_scan_determinismE0ES3_S9_NS6_6detail15normal_iteratorINS6_10device_ptrIyEEEESG_SG_SG_PmS8_NS6_8equal_toIyEEEE10hipError_tPvRmT2_T3_mT4_T5_T6_T7_T8_P12ihipStream_tbENKUlT_T0_E_clISt17integral_constantIbLb0EES11_EEDaSW_SX_EUlSW_E_NS1_11comp_targetILNS1_3genE10ELNS1_11target_archE1200ELNS1_3gpuE4ELNS1_3repE0EEENS1_30default_config_static_selectorELNS0_4arch9wavefront6targetE1EEEvT1_
; %bb.0:
	.section	.rodata,"a",@progbits
	.p2align	6, 0x0
	.amdhsa_kernel _ZN7rocprim17ROCPRIM_400000_NS6detail17trampoline_kernelINS0_14default_configENS1_29reduce_by_key_config_selectorIyyN6thrust23THRUST_200600_302600_NS4plusIyEEEEZZNS1_33reduce_by_key_impl_wrapped_configILNS1_25lookback_scan_determinismE0ES3_S9_NS6_6detail15normal_iteratorINS6_10device_ptrIyEEEESG_SG_SG_PmS8_NS6_8equal_toIyEEEE10hipError_tPvRmT2_T3_mT4_T5_T6_T7_T8_P12ihipStream_tbENKUlT_T0_E_clISt17integral_constantIbLb0EES11_EEDaSW_SX_EUlSW_E_NS1_11comp_targetILNS1_3genE10ELNS1_11target_archE1200ELNS1_3gpuE4ELNS1_3repE0EEENS1_30default_config_static_selectorELNS0_4arch9wavefront6targetE1EEEvT1_
		.amdhsa_group_segment_fixed_size 0
		.amdhsa_private_segment_fixed_size 0
		.amdhsa_kernarg_size 136
		.amdhsa_user_sgpr_count 6
		.amdhsa_user_sgpr_private_segment_buffer 1
		.amdhsa_user_sgpr_dispatch_ptr 0
		.amdhsa_user_sgpr_queue_ptr 0
		.amdhsa_user_sgpr_kernarg_segment_ptr 1
		.amdhsa_user_sgpr_dispatch_id 0
		.amdhsa_user_sgpr_flat_scratch_init 0
		.amdhsa_user_sgpr_kernarg_preload_length 0
		.amdhsa_user_sgpr_kernarg_preload_offset 0
		.amdhsa_user_sgpr_private_segment_size 0
		.amdhsa_uses_dynamic_stack 0
		.amdhsa_system_sgpr_private_segment_wavefront_offset 0
		.amdhsa_system_sgpr_workgroup_id_x 1
		.amdhsa_system_sgpr_workgroup_id_y 0
		.amdhsa_system_sgpr_workgroup_id_z 0
		.amdhsa_system_sgpr_workgroup_info 0
		.amdhsa_system_vgpr_workitem_id 0
		.amdhsa_next_free_vgpr 1
		.amdhsa_next_free_sgpr 0
		.amdhsa_accum_offset 4
		.amdhsa_reserve_vcc 0
		.amdhsa_reserve_flat_scratch 0
		.amdhsa_float_round_mode_32 0
		.amdhsa_float_round_mode_16_64 0
		.amdhsa_float_denorm_mode_32 3
		.amdhsa_float_denorm_mode_16_64 3
		.amdhsa_dx10_clamp 1
		.amdhsa_ieee_mode 1
		.amdhsa_fp16_overflow 0
		.amdhsa_tg_split 0
		.amdhsa_exception_fp_ieee_invalid_op 0
		.amdhsa_exception_fp_denorm_src 0
		.amdhsa_exception_fp_ieee_div_zero 0
		.amdhsa_exception_fp_ieee_overflow 0
		.amdhsa_exception_fp_ieee_underflow 0
		.amdhsa_exception_fp_ieee_inexact 0
		.amdhsa_exception_int_div_zero 0
	.end_amdhsa_kernel
	.section	.text._ZN7rocprim17ROCPRIM_400000_NS6detail17trampoline_kernelINS0_14default_configENS1_29reduce_by_key_config_selectorIyyN6thrust23THRUST_200600_302600_NS4plusIyEEEEZZNS1_33reduce_by_key_impl_wrapped_configILNS1_25lookback_scan_determinismE0ES3_S9_NS6_6detail15normal_iteratorINS6_10device_ptrIyEEEESG_SG_SG_PmS8_NS6_8equal_toIyEEEE10hipError_tPvRmT2_T3_mT4_T5_T6_T7_T8_P12ihipStream_tbENKUlT_T0_E_clISt17integral_constantIbLb0EES11_EEDaSW_SX_EUlSW_E_NS1_11comp_targetILNS1_3genE10ELNS1_11target_archE1200ELNS1_3gpuE4ELNS1_3repE0EEENS1_30default_config_static_selectorELNS0_4arch9wavefront6targetE1EEEvT1_,"axG",@progbits,_ZN7rocprim17ROCPRIM_400000_NS6detail17trampoline_kernelINS0_14default_configENS1_29reduce_by_key_config_selectorIyyN6thrust23THRUST_200600_302600_NS4plusIyEEEEZZNS1_33reduce_by_key_impl_wrapped_configILNS1_25lookback_scan_determinismE0ES3_S9_NS6_6detail15normal_iteratorINS6_10device_ptrIyEEEESG_SG_SG_PmS8_NS6_8equal_toIyEEEE10hipError_tPvRmT2_T3_mT4_T5_T6_T7_T8_P12ihipStream_tbENKUlT_T0_E_clISt17integral_constantIbLb0EES11_EEDaSW_SX_EUlSW_E_NS1_11comp_targetILNS1_3genE10ELNS1_11target_archE1200ELNS1_3gpuE4ELNS1_3repE0EEENS1_30default_config_static_selectorELNS0_4arch9wavefront6targetE1EEEvT1_,comdat
.Lfunc_end244:
	.size	_ZN7rocprim17ROCPRIM_400000_NS6detail17trampoline_kernelINS0_14default_configENS1_29reduce_by_key_config_selectorIyyN6thrust23THRUST_200600_302600_NS4plusIyEEEEZZNS1_33reduce_by_key_impl_wrapped_configILNS1_25lookback_scan_determinismE0ES3_S9_NS6_6detail15normal_iteratorINS6_10device_ptrIyEEEESG_SG_SG_PmS8_NS6_8equal_toIyEEEE10hipError_tPvRmT2_T3_mT4_T5_T6_T7_T8_P12ihipStream_tbENKUlT_T0_E_clISt17integral_constantIbLb0EES11_EEDaSW_SX_EUlSW_E_NS1_11comp_targetILNS1_3genE10ELNS1_11target_archE1200ELNS1_3gpuE4ELNS1_3repE0EEENS1_30default_config_static_selectorELNS0_4arch9wavefront6targetE1EEEvT1_, .Lfunc_end244-_ZN7rocprim17ROCPRIM_400000_NS6detail17trampoline_kernelINS0_14default_configENS1_29reduce_by_key_config_selectorIyyN6thrust23THRUST_200600_302600_NS4plusIyEEEEZZNS1_33reduce_by_key_impl_wrapped_configILNS1_25lookback_scan_determinismE0ES3_S9_NS6_6detail15normal_iteratorINS6_10device_ptrIyEEEESG_SG_SG_PmS8_NS6_8equal_toIyEEEE10hipError_tPvRmT2_T3_mT4_T5_T6_T7_T8_P12ihipStream_tbENKUlT_T0_E_clISt17integral_constantIbLb0EES11_EEDaSW_SX_EUlSW_E_NS1_11comp_targetILNS1_3genE10ELNS1_11target_archE1200ELNS1_3gpuE4ELNS1_3repE0EEENS1_30default_config_static_selectorELNS0_4arch9wavefront6targetE1EEEvT1_
                                        ; -- End function
	.section	.AMDGPU.csdata,"",@progbits
; Kernel info:
; codeLenInByte = 0
; NumSgprs: 4
; NumVgprs: 0
; NumAgprs: 0
; TotalNumVgprs: 0
; ScratchSize: 0
; MemoryBound: 0
; FloatMode: 240
; IeeeMode: 1
; LDSByteSize: 0 bytes/workgroup (compile time only)
; SGPRBlocks: 0
; VGPRBlocks: 0
; NumSGPRsForWavesPerEU: 4
; NumVGPRsForWavesPerEU: 1
; AccumOffset: 4
; Occupancy: 8
; WaveLimiterHint : 0
; COMPUTE_PGM_RSRC2:SCRATCH_EN: 0
; COMPUTE_PGM_RSRC2:USER_SGPR: 6
; COMPUTE_PGM_RSRC2:TRAP_HANDLER: 0
; COMPUTE_PGM_RSRC2:TGID_X_EN: 1
; COMPUTE_PGM_RSRC2:TGID_Y_EN: 0
; COMPUTE_PGM_RSRC2:TGID_Z_EN: 0
; COMPUTE_PGM_RSRC2:TIDIG_COMP_CNT: 0
; COMPUTE_PGM_RSRC3_GFX90A:ACCUM_OFFSET: 0
; COMPUTE_PGM_RSRC3_GFX90A:TG_SPLIT: 0
	.section	.text._ZN7rocprim17ROCPRIM_400000_NS6detail17trampoline_kernelINS0_14default_configENS1_29reduce_by_key_config_selectorIyyN6thrust23THRUST_200600_302600_NS4plusIyEEEEZZNS1_33reduce_by_key_impl_wrapped_configILNS1_25lookback_scan_determinismE0ES3_S9_NS6_6detail15normal_iteratorINS6_10device_ptrIyEEEESG_SG_SG_PmS8_NS6_8equal_toIyEEEE10hipError_tPvRmT2_T3_mT4_T5_T6_T7_T8_P12ihipStream_tbENKUlT_T0_E_clISt17integral_constantIbLb0EES11_EEDaSW_SX_EUlSW_E_NS1_11comp_targetILNS1_3genE9ELNS1_11target_archE1100ELNS1_3gpuE3ELNS1_3repE0EEENS1_30default_config_static_selectorELNS0_4arch9wavefront6targetE1EEEvT1_,"axG",@progbits,_ZN7rocprim17ROCPRIM_400000_NS6detail17trampoline_kernelINS0_14default_configENS1_29reduce_by_key_config_selectorIyyN6thrust23THRUST_200600_302600_NS4plusIyEEEEZZNS1_33reduce_by_key_impl_wrapped_configILNS1_25lookback_scan_determinismE0ES3_S9_NS6_6detail15normal_iteratorINS6_10device_ptrIyEEEESG_SG_SG_PmS8_NS6_8equal_toIyEEEE10hipError_tPvRmT2_T3_mT4_T5_T6_T7_T8_P12ihipStream_tbENKUlT_T0_E_clISt17integral_constantIbLb0EES11_EEDaSW_SX_EUlSW_E_NS1_11comp_targetILNS1_3genE9ELNS1_11target_archE1100ELNS1_3gpuE3ELNS1_3repE0EEENS1_30default_config_static_selectorELNS0_4arch9wavefront6targetE1EEEvT1_,comdat
	.protected	_ZN7rocprim17ROCPRIM_400000_NS6detail17trampoline_kernelINS0_14default_configENS1_29reduce_by_key_config_selectorIyyN6thrust23THRUST_200600_302600_NS4plusIyEEEEZZNS1_33reduce_by_key_impl_wrapped_configILNS1_25lookback_scan_determinismE0ES3_S9_NS6_6detail15normal_iteratorINS6_10device_ptrIyEEEESG_SG_SG_PmS8_NS6_8equal_toIyEEEE10hipError_tPvRmT2_T3_mT4_T5_T6_T7_T8_P12ihipStream_tbENKUlT_T0_E_clISt17integral_constantIbLb0EES11_EEDaSW_SX_EUlSW_E_NS1_11comp_targetILNS1_3genE9ELNS1_11target_archE1100ELNS1_3gpuE3ELNS1_3repE0EEENS1_30default_config_static_selectorELNS0_4arch9wavefront6targetE1EEEvT1_ ; -- Begin function _ZN7rocprim17ROCPRIM_400000_NS6detail17trampoline_kernelINS0_14default_configENS1_29reduce_by_key_config_selectorIyyN6thrust23THRUST_200600_302600_NS4plusIyEEEEZZNS1_33reduce_by_key_impl_wrapped_configILNS1_25lookback_scan_determinismE0ES3_S9_NS6_6detail15normal_iteratorINS6_10device_ptrIyEEEESG_SG_SG_PmS8_NS6_8equal_toIyEEEE10hipError_tPvRmT2_T3_mT4_T5_T6_T7_T8_P12ihipStream_tbENKUlT_T0_E_clISt17integral_constantIbLb0EES11_EEDaSW_SX_EUlSW_E_NS1_11comp_targetILNS1_3genE9ELNS1_11target_archE1100ELNS1_3gpuE3ELNS1_3repE0EEENS1_30default_config_static_selectorELNS0_4arch9wavefront6targetE1EEEvT1_
	.globl	_ZN7rocprim17ROCPRIM_400000_NS6detail17trampoline_kernelINS0_14default_configENS1_29reduce_by_key_config_selectorIyyN6thrust23THRUST_200600_302600_NS4plusIyEEEEZZNS1_33reduce_by_key_impl_wrapped_configILNS1_25lookback_scan_determinismE0ES3_S9_NS6_6detail15normal_iteratorINS6_10device_ptrIyEEEESG_SG_SG_PmS8_NS6_8equal_toIyEEEE10hipError_tPvRmT2_T3_mT4_T5_T6_T7_T8_P12ihipStream_tbENKUlT_T0_E_clISt17integral_constantIbLb0EES11_EEDaSW_SX_EUlSW_E_NS1_11comp_targetILNS1_3genE9ELNS1_11target_archE1100ELNS1_3gpuE3ELNS1_3repE0EEENS1_30default_config_static_selectorELNS0_4arch9wavefront6targetE1EEEvT1_
	.p2align	8
	.type	_ZN7rocprim17ROCPRIM_400000_NS6detail17trampoline_kernelINS0_14default_configENS1_29reduce_by_key_config_selectorIyyN6thrust23THRUST_200600_302600_NS4plusIyEEEEZZNS1_33reduce_by_key_impl_wrapped_configILNS1_25lookback_scan_determinismE0ES3_S9_NS6_6detail15normal_iteratorINS6_10device_ptrIyEEEESG_SG_SG_PmS8_NS6_8equal_toIyEEEE10hipError_tPvRmT2_T3_mT4_T5_T6_T7_T8_P12ihipStream_tbENKUlT_T0_E_clISt17integral_constantIbLb0EES11_EEDaSW_SX_EUlSW_E_NS1_11comp_targetILNS1_3genE9ELNS1_11target_archE1100ELNS1_3gpuE3ELNS1_3repE0EEENS1_30default_config_static_selectorELNS0_4arch9wavefront6targetE1EEEvT1_,@function
_ZN7rocprim17ROCPRIM_400000_NS6detail17trampoline_kernelINS0_14default_configENS1_29reduce_by_key_config_selectorIyyN6thrust23THRUST_200600_302600_NS4plusIyEEEEZZNS1_33reduce_by_key_impl_wrapped_configILNS1_25lookback_scan_determinismE0ES3_S9_NS6_6detail15normal_iteratorINS6_10device_ptrIyEEEESG_SG_SG_PmS8_NS6_8equal_toIyEEEE10hipError_tPvRmT2_T3_mT4_T5_T6_T7_T8_P12ihipStream_tbENKUlT_T0_E_clISt17integral_constantIbLb0EES11_EEDaSW_SX_EUlSW_E_NS1_11comp_targetILNS1_3genE9ELNS1_11target_archE1100ELNS1_3gpuE3ELNS1_3repE0EEENS1_30default_config_static_selectorELNS0_4arch9wavefront6targetE1EEEvT1_: ; @_ZN7rocprim17ROCPRIM_400000_NS6detail17trampoline_kernelINS0_14default_configENS1_29reduce_by_key_config_selectorIyyN6thrust23THRUST_200600_302600_NS4plusIyEEEEZZNS1_33reduce_by_key_impl_wrapped_configILNS1_25lookback_scan_determinismE0ES3_S9_NS6_6detail15normal_iteratorINS6_10device_ptrIyEEEESG_SG_SG_PmS8_NS6_8equal_toIyEEEE10hipError_tPvRmT2_T3_mT4_T5_T6_T7_T8_P12ihipStream_tbENKUlT_T0_E_clISt17integral_constantIbLb0EES11_EEDaSW_SX_EUlSW_E_NS1_11comp_targetILNS1_3genE9ELNS1_11target_archE1100ELNS1_3gpuE3ELNS1_3repE0EEENS1_30default_config_static_selectorELNS0_4arch9wavefront6targetE1EEEvT1_
; %bb.0:
	.section	.rodata,"a",@progbits
	.p2align	6, 0x0
	.amdhsa_kernel _ZN7rocprim17ROCPRIM_400000_NS6detail17trampoline_kernelINS0_14default_configENS1_29reduce_by_key_config_selectorIyyN6thrust23THRUST_200600_302600_NS4plusIyEEEEZZNS1_33reduce_by_key_impl_wrapped_configILNS1_25lookback_scan_determinismE0ES3_S9_NS6_6detail15normal_iteratorINS6_10device_ptrIyEEEESG_SG_SG_PmS8_NS6_8equal_toIyEEEE10hipError_tPvRmT2_T3_mT4_T5_T6_T7_T8_P12ihipStream_tbENKUlT_T0_E_clISt17integral_constantIbLb0EES11_EEDaSW_SX_EUlSW_E_NS1_11comp_targetILNS1_3genE9ELNS1_11target_archE1100ELNS1_3gpuE3ELNS1_3repE0EEENS1_30default_config_static_selectorELNS0_4arch9wavefront6targetE1EEEvT1_
		.amdhsa_group_segment_fixed_size 0
		.amdhsa_private_segment_fixed_size 0
		.amdhsa_kernarg_size 136
		.amdhsa_user_sgpr_count 6
		.amdhsa_user_sgpr_private_segment_buffer 1
		.amdhsa_user_sgpr_dispatch_ptr 0
		.amdhsa_user_sgpr_queue_ptr 0
		.amdhsa_user_sgpr_kernarg_segment_ptr 1
		.amdhsa_user_sgpr_dispatch_id 0
		.amdhsa_user_sgpr_flat_scratch_init 0
		.amdhsa_user_sgpr_kernarg_preload_length 0
		.amdhsa_user_sgpr_kernarg_preload_offset 0
		.amdhsa_user_sgpr_private_segment_size 0
		.amdhsa_uses_dynamic_stack 0
		.amdhsa_system_sgpr_private_segment_wavefront_offset 0
		.amdhsa_system_sgpr_workgroup_id_x 1
		.amdhsa_system_sgpr_workgroup_id_y 0
		.amdhsa_system_sgpr_workgroup_id_z 0
		.amdhsa_system_sgpr_workgroup_info 0
		.amdhsa_system_vgpr_workitem_id 0
		.amdhsa_next_free_vgpr 1
		.amdhsa_next_free_sgpr 0
		.amdhsa_accum_offset 4
		.amdhsa_reserve_vcc 0
		.amdhsa_reserve_flat_scratch 0
		.amdhsa_float_round_mode_32 0
		.amdhsa_float_round_mode_16_64 0
		.amdhsa_float_denorm_mode_32 3
		.amdhsa_float_denorm_mode_16_64 3
		.amdhsa_dx10_clamp 1
		.amdhsa_ieee_mode 1
		.amdhsa_fp16_overflow 0
		.amdhsa_tg_split 0
		.amdhsa_exception_fp_ieee_invalid_op 0
		.amdhsa_exception_fp_denorm_src 0
		.amdhsa_exception_fp_ieee_div_zero 0
		.amdhsa_exception_fp_ieee_overflow 0
		.amdhsa_exception_fp_ieee_underflow 0
		.amdhsa_exception_fp_ieee_inexact 0
		.amdhsa_exception_int_div_zero 0
	.end_amdhsa_kernel
	.section	.text._ZN7rocprim17ROCPRIM_400000_NS6detail17trampoline_kernelINS0_14default_configENS1_29reduce_by_key_config_selectorIyyN6thrust23THRUST_200600_302600_NS4plusIyEEEEZZNS1_33reduce_by_key_impl_wrapped_configILNS1_25lookback_scan_determinismE0ES3_S9_NS6_6detail15normal_iteratorINS6_10device_ptrIyEEEESG_SG_SG_PmS8_NS6_8equal_toIyEEEE10hipError_tPvRmT2_T3_mT4_T5_T6_T7_T8_P12ihipStream_tbENKUlT_T0_E_clISt17integral_constantIbLb0EES11_EEDaSW_SX_EUlSW_E_NS1_11comp_targetILNS1_3genE9ELNS1_11target_archE1100ELNS1_3gpuE3ELNS1_3repE0EEENS1_30default_config_static_selectorELNS0_4arch9wavefront6targetE1EEEvT1_,"axG",@progbits,_ZN7rocprim17ROCPRIM_400000_NS6detail17trampoline_kernelINS0_14default_configENS1_29reduce_by_key_config_selectorIyyN6thrust23THRUST_200600_302600_NS4plusIyEEEEZZNS1_33reduce_by_key_impl_wrapped_configILNS1_25lookback_scan_determinismE0ES3_S9_NS6_6detail15normal_iteratorINS6_10device_ptrIyEEEESG_SG_SG_PmS8_NS6_8equal_toIyEEEE10hipError_tPvRmT2_T3_mT4_T5_T6_T7_T8_P12ihipStream_tbENKUlT_T0_E_clISt17integral_constantIbLb0EES11_EEDaSW_SX_EUlSW_E_NS1_11comp_targetILNS1_3genE9ELNS1_11target_archE1100ELNS1_3gpuE3ELNS1_3repE0EEENS1_30default_config_static_selectorELNS0_4arch9wavefront6targetE1EEEvT1_,comdat
.Lfunc_end245:
	.size	_ZN7rocprim17ROCPRIM_400000_NS6detail17trampoline_kernelINS0_14default_configENS1_29reduce_by_key_config_selectorIyyN6thrust23THRUST_200600_302600_NS4plusIyEEEEZZNS1_33reduce_by_key_impl_wrapped_configILNS1_25lookback_scan_determinismE0ES3_S9_NS6_6detail15normal_iteratorINS6_10device_ptrIyEEEESG_SG_SG_PmS8_NS6_8equal_toIyEEEE10hipError_tPvRmT2_T3_mT4_T5_T6_T7_T8_P12ihipStream_tbENKUlT_T0_E_clISt17integral_constantIbLb0EES11_EEDaSW_SX_EUlSW_E_NS1_11comp_targetILNS1_3genE9ELNS1_11target_archE1100ELNS1_3gpuE3ELNS1_3repE0EEENS1_30default_config_static_selectorELNS0_4arch9wavefront6targetE1EEEvT1_, .Lfunc_end245-_ZN7rocprim17ROCPRIM_400000_NS6detail17trampoline_kernelINS0_14default_configENS1_29reduce_by_key_config_selectorIyyN6thrust23THRUST_200600_302600_NS4plusIyEEEEZZNS1_33reduce_by_key_impl_wrapped_configILNS1_25lookback_scan_determinismE0ES3_S9_NS6_6detail15normal_iteratorINS6_10device_ptrIyEEEESG_SG_SG_PmS8_NS6_8equal_toIyEEEE10hipError_tPvRmT2_T3_mT4_T5_T6_T7_T8_P12ihipStream_tbENKUlT_T0_E_clISt17integral_constantIbLb0EES11_EEDaSW_SX_EUlSW_E_NS1_11comp_targetILNS1_3genE9ELNS1_11target_archE1100ELNS1_3gpuE3ELNS1_3repE0EEENS1_30default_config_static_selectorELNS0_4arch9wavefront6targetE1EEEvT1_
                                        ; -- End function
	.section	.AMDGPU.csdata,"",@progbits
; Kernel info:
; codeLenInByte = 0
; NumSgprs: 4
; NumVgprs: 0
; NumAgprs: 0
; TotalNumVgprs: 0
; ScratchSize: 0
; MemoryBound: 0
; FloatMode: 240
; IeeeMode: 1
; LDSByteSize: 0 bytes/workgroup (compile time only)
; SGPRBlocks: 0
; VGPRBlocks: 0
; NumSGPRsForWavesPerEU: 4
; NumVGPRsForWavesPerEU: 1
; AccumOffset: 4
; Occupancy: 8
; WaveLimiterHint : 0
; COMPUTE_PGM_RSRC2:SCRATCH_EN: 0
; COMPUTE_PGM_RSRC2:USER_SGPR: 6
; COMPUTE_PGM_RSRC2:TRAP_HANDLER: 0
; COMPUTE_PGM_RSRC2:TGID_X_EN: 1
; COMPUTE_PGM_RSRC2:TGID_Y_EN: 0
; COMPUTE_PGM_RSRC2:TGID_Z_EN: 0
; COMPUTE_PGM_RSRC2:TIDIG_COMP_CNT: 0
; COMPUTE_PGM_RSRC3_GFX90A:ACCUM_OFFSET: 0
; COMPUTE_PGM_RSRC3_GFX90A:TG_SPLIT: 0
	.section	.text._ZN7rocprim17ROCPRIM_400000_NS6detail17trampoline_kernelINS0_14default_configENS1_29reduce_by_key_config_selectorIyyN6thrust23THRUST_200600_302600_NS4plusIyEEEEZZNS1_33reduce_by_key_impl_wrapped_configILNS1_25lookback_scan_determinismE0ES3_S9_NS6_6detail15normal_iteratorINS6_10device_ptrIyEEEESG_SG_SG_PmS8_NS6_8equal_toIyEEEE10hipError_tPvRmT2_T3_mT4_T5_T6_T7_T8_P12ihipStream_tbENKUlT_T0_E_clISt17integral_constantIbLb0EES11_EEDaSW_SX_EUlSW_E_NS1_11comp_targetILNS1_3genE8ELNS1_11target_archE1030ELNS1_3gpuE2ELNS1_3repE0EEENS1_30default_config_static_selectorELNS0_4arch9wavefront6targetE1EEEvT1_,"axG",@progbits,_ZN7rocprim17ROCPRIM_400000_NS6detail17trampoline_kernelINS0_14default_configENS1_29reduce_by_key_config_selectorIyyN6thrust23THRUST_200600_302600_NS4plusIyEEEEZZNS1_33reduce_by_key_impl_wrapped_configILNS1_25lookback_scan_determinismE0ES3_S9_NS6_6detail15normal_iteratorINS6_10device_ptrIyEEEESG_SG_SG_PmS8_NS6_8equal_toIyEEEE10hipError_tPvRmT2_T3_mT4_T5_T6_T7_T8_P12ihipStream_tbENKUlT_T0_E_clISt17integral_constantIbLb0EES11_EEDaSW_SX_EUlSW_E_NS1_11comp_targetILNS1_3genE8ELNS1_11target_archE1030ELNS1_3gpuE2ELNS1_3repE0EEENS1_30default_config_static_selectorELNS0_4arch9wavefront6targetE1EEEvT1_,comdat
	.protected	_ZN7rocprim17ROCPRIM_400000_NS6detail17trampoline_kernelINS0_14default_configENS1_29reduce_by_key_config_selectorIyyN6thrust23THRUST_200600_302600_NS4plusIyEEEEZZNS1_33reduce_by_key_impl_wrapped_configILNS1_25lookback_scan_determinismE0ES3_S9_NS6_6detail15normal_iteratorINS6_10device_ptrIyEEEESG_SG_SG_PmS8_NS6_8equal_toIyEEEE10hipError_tPvRmT2_T3_mT4_T5_T6_T7_T8_P12ihipStream_tbENKUlT_T0_E_clISt17integral_constantIbLb0EES11_EEDaSW_SX_EUlSW_E_NS1_11comp_targetILNS1_3genE8ELNS1_11target_archE1030ELNS1_3gpuE2ELNS1_3repE0EEENS1_30default_config_static_selectorELNS0_4arch9wavefront6targetE1EEEvT1_ ; -- Begin function _ZN7rocprim17ROCPRIM_400000_NS6detail17trampoline_kernelINS0_14default_configENS1_29reduce_by_key_config_selectorIyyN6thrust23THRUST_200600_302600_NS4plusIyEEEEZZNS1_33reduce_by_key_impl_wrapped_configILNS1_25lookback_scan_determinismE0ES3_S9_NS6_6detail15normal_iteratorINS6_10device_ptrIyEEEESG_SG_SG_PmS8_NS6_8equal_toIyEEEE10hipError_tPvRmT2_T3_mT4_T5_T6_T7_T8_P12ihipStream_tbENKUlT_T0_E_clISt17integral_constantIbLb0EES11_EEDaSW_SX_EUlSW_E_NS1_11comp_targetILNS1_3genE8ELNS1_11target_archE1030ELNS1_3gpuE2ELNS1_3repE0EEENS1_30default_config_static_selectorELNS0_4arch9wavefront6targetE1EEEvT1_
	.globl	_ZN7rocprim17ROCPRIM_400000_NS6detail17trampoline_kernelINS0_14default_configENS1_29reduce_by_key_config_selectorIyyN6thrust23THRUST_200600_302600_NS4plusIyEEEEZZNS1_33reduce_by_key_impl_wrapped_configILNS1_25lookback_scan_determinismE0ES3_S9_NS6_6detail15normal_iteratorINS6_10device_ptrIyEEEESG_SG_SG_PmS8_NS6_8equal_toIyEEEE10hipError_tPvRmT2_T3_mT4_T5_T6_T7_T8_P12ihipStream_tbENKUlT_T0_E_clISt17integral_constantIbLb0EES11_EEDaSW_SX_EUlSW_E_NS1_11comp_targetILNS1_3genE8ELNS1_11target_archE1030ELNS1_3gpuE2ELNS1_3repE0EEENS1_30default_config_static_selectorELNS0_4arch9wavefront6targetE1EEEvT1_
	.p2align	8
	.type	_ZN7rocprim17ROCPRIM_400000_NS6detail17trampoline_kernelINS0_14default_configENS1_29reduce_by_key_config_selectorIyyN6thrust23THRUST_200600_302600_NS4plusIyEEEEZZNS1_33reduce_by_key_impl_wrapped_configILNS1_25lookback_scan_determinismE0ES3_S9_NS6_6detail15normal_iteratorINS6_10device_ptrIyEEEESG_SG_SG_PmS8_NS6_8equal_toIyEEEE10hipError_tPvRmT2_T3_mT4_T5_T6_T7_T8_P12ihipStream_tbENKUlT_T0_E_clISt17integral_constantIbLb0EES11_EEDaSW_SX_EUlSW_E_NS1_11comp_targetILNS1_3genE8ELNS1_11target_archE1030ELNS1_3gpuE2ELNS1_3repE0EEENS1_30default_config_static_selectorELNS0_4arch9wavefront6targetE1EEEvT1_,@function
_ZN7rocprim17ROCPRIM_400000_NS6detail17trampoline_kernelINS0_14default_configENS1_29reduce_by_key_config_selectorIyyN6thrust23THRUST_200600_302600_NS4plusIyEEEEZZNS1_33reduce_by_key_impl_wrapped_configILNS1_25lookback_scan_determinismE0ES3_S9_NS6_6detail15normal_iteratorINS6_10device_ptrIyEEEESG_SG_SG_PmS8_NS6_8equal_toIyEEEE10hipError_tPvRmT2_T3_mT4_T5_T6_T7_T8_P12ihipStream_tbENKUlT_T0_E_clISt17integral_constantIbLb0EES11_EEDaSW_SX_EUlSW_E_NS1_11comp_targetILNS1_3genE8ELNS1_11target_archE1030ELNS1_3gpuE2ELNS1_3repE0EEENS1_30default_config_static_selectorELNS0_4arch9wavefront6targetE1EEEvT1_: ; @_ZN7rocprim17ROCPRIM_400000_NS6detail17trampoline_kernelINS0_14default_configENS1_29reduce_by_key_config_selectorIyyN6thrust23THRUST_200600_302600_NS4plusIyEEEEZZNS1_33reduce_by_key_impl_wrapped_configILNS1_25lookback_scan_determinismE0ES3_S9_NS6_6detail15normal_iteratorINS6_10device_ptrIyEEEESG_SG_SG_PmS8_NS6_8equal_toIyEEEE10hipError_tPvRmT2_T3_mT4_T5_T6_T7_T8_P12ihipStream_tbENKUlT_T0_E_clISt17integral_constantIbLb0EES11_EEDaSW_SX_EUlSW_E_NS1_11comp_targetILNS1_3genE8ELNS1_11target_archE1030ELNS1_3gpuE2ELNS1_3repE0EEENS1_30default_config_static_selectorELNS0_4arch9wavefront6targetE1EEEvT1_
; %bb.0:
	.section	.rodata,"a",@progbits
	.p2align	6, 0x0
	.amdhsa_kernel _ZN7rocprim17ROCPRIM_400000_NS6detail17trampoline_kernelINS0_14default_configENS1_29reduce_by_key_config_selectorIyyN6thrust23THRUST_200600_302600_NS4plusIyEEEEZZNS1_33reduce_by_key_impl_wrapped_configILNS1_25lookback_scan_determinismE0ES3_S9_NS6_6detail15normal_iteratorINS6_10device_ptrIyEEEESG_SG_SG_PmS8_NS6_8equal_toIyEEEE10hipError_tPvRmT2_T3_mT4_T5_T6_T7_T8_P12ihipStream_tbENKUlT_T0_E_clISt17integral_constantIbLb0EES11_EEDaSW_SX_EUlSW_E_NS1_11comp_targetILNS1_3genE8ELNS1_11target_archE1030ELNS1_3gpuE2ELNS1_3repE0EEENS1_30default_config_static_selectorELNS0_4arch9wavefront6targetE1EEEvT1_
		.amdhsa_group_segment_fixed_size 0
		.amdhsa_private_segment_fixed_size 0
		.amdhsa_kernarg_size 136
		.amdhsa_user_sgpr_count 6
		.amdhsa_user_sgpr_private_segment_buffer 1
		.amdhsa_user_sgpr_dispatch_ptr 0
		.amdhsa_user_sgpr_queue_ptr 0
		.amdhsa_user_sgpr_kernarg_segment_ptr 1
		.amdhsa_user_sgpr_dispatch_id 0
		.amdhsa_user_sgpr_flat_scratch_init 0
		.amdhsa_user_sgpr_kernarg_preload_length 0
		.amdhsa_user_sgpr_kernarg_preload_offset 0
		.amdhsa_user_sgpr_private_segment_size 0
		.amdhsa_uses_dynamic_stack 0
		.amdhsa_system_sgpr_private_segment_wavefront_offset 0
		.amdhsa_system_sgpr_workgroup_id_x 1
		.amdhsa_system_sgpr_workgroup_id_y 0
		.amdhsa_system_sgpr_workgroup_id_z 0
		.amdhsa_system_sgpr_workgroup_info 0
		.amdhsa_system_vgpr_workitem_id 0
		.amdhsa_next_free_vgpr 1
		.amdhsa_next_free_sgpr 0
		.amdhsa_accum_offset 4
		.amdhsa_reserve_vcc 0
		.amdhsa_reserve_flat_scratch 0
		.amdhsa_float_round_mode_32 0
		.amdhsa_float_round_mode_16_64 0
		.amdhsa_float_denorm_mode_32 3
		.amdhsa_float_denorm_mode_16_64 3
		.amdhsa_dx10_clamp 1
		.amdhsa_ieee_mode 1
		.amdhsa_fp16_overflow 0
		.amdhsa_tg_split 0
		.amdhsa_exception_fp_ieee_invalid_op 0
		.amdhsa_exception_fp_denorm_src 0
		.amdhsa_exception_fp_ieee_div_zero 0
		.amdhsa_exception_fp_ieee_overflow 0
		.amdhsa_exception_fp_ieee_underflow 0
		.amdhsa_exception_fp_ieee_inexact 0
		.amdhsa_exception_int_div_zero 0
	.end_amdhsa_kernel
	.section	.text._ZN7rocprim17ROCPRIM_400000_NS6detail17trampoline_kernelINS0_14default_configENS1_29reduce_by_key_config_selectorIyyN6thrust23THRUST_200600_302600_NS4plusIyEEEEZZNS1_33reduce_by_key_impl_wrapped_configILNS1_25lookback_scan_determinismE0ES3_S9_NS6_6detail15normal_iteratorINS6_10device_ptrIyEEEESG_SG_SG_PmS8_NS6_8equal_toIyEEEE10hipError_tPvRmT2_T3_mT4_T5_T6_T7_T8_P12ihipStream_tbENKUlT_T0_E_clISt17integral_constantIbLb0EES11_EEDaSW_SX_EUlSW_E_NS1_11comp_targetILNS1_3genE8ELNS1_11target_archE1030ELNS1_3gpuE2ELNS1_3repE0EEENS1_30default_config_static_selectorELNS0_4arch9wavefront6targetE1EEEvT1_,"axG",@progbits,_ZN7rocprim17ROCPRIM_400000_NS6detail17trampoline_kernelINS0_14default_configENS1_29reduce_by_key_config_selectorIyyN6thrust23THRUST_200600_302600_NS4plusIyEEEEZZNS1_33reduce_by_key_impl_wrapped_configILNS1_25lookback_scan_determinismE0ES3_S9_NS6_6detail15normal_iteratorINS6_10device_ptrIyEEEESG_SG_SG_PmS8_NS6_8equal_toIyEEEE10hipError_tPvRmT2_T3_mT4_T5_T6_T7_T8_P12ihipStream_tbENKUlT_T0_E_clISt17integral_constantIbLb0EES11_EEDaSW_SX_EUlSW_E_NS1_11comp_targetILNS1_3genE8ELNS1_11target_archE1030ELNS1_3gpuE2ELNS1_3repE0EEENS1_30default_config_static_selectorELNS0_4arch9wavefront6targetE1EEEvT1_,comdat
.Lfunc_end246:
	.size	_ZN7rocprim17ROCPRIM_400000_NS6detail17trampoline_kernelINS0_14default_configENS1_29reduce_by_key_config_selectorIyyN6thrust23THRUST_200600_302600_NS4plusIyEEEEZZNS1_33reduce_by_key_impl_wrapped_configILNS1_25lookback_scan_determinismE0ES3_S9_NS6_6detail15normal_iteratorINS6_10device_ptrIyEEEESG_SG_SG_PmS8_NS6_8equal_toIyEEEE10hipError_tPvRmT2_T3_mT4_T5_T6_T7_T8_P12ihipStream_tbENKUlT_T0_E_clISt17integral_constantIbLb0EES11_EEDaSW_SX_EUlSW_E_NS1_11comp_targetILNS1_3genE8ELNS1_11target_archE1030ELNS1_3gpuE2ELNS1_3repE0EEENS1_30default_config_static_selectorELNS0_4arch9wavefront6targetE1EEEvT1_, .Lfunc_end246-_ZN7rocprim17ROCPRIM_400000_NS6detail17trampoline_kernelINS0_14default_configENS1_29reduce_by_key_config_selectorIyyN6thrust23THRUST_200600_302600_NS4plusIyEEEEZZNS1_33reduce_by_key_impl_wrapped_configILNS1_25lookback_scan_determinismE0ES3_S9_NS6_6detail15normal_iteratorINS6_10device_ptrIyEEEESG_SG_SG_PmS8_NS6_8equal_toIyEEEE10hipError_tPvRmT2_T3_mT4_T5_T6_T7_T8_P12ihipStream_tbENKUlT_T0_E_clISt17integral_constantIbLb0EES11_EEDaSW_SX_EUlSW_E_NS1_11comp_targetILNS1_3genE8ELNS1_11target_archE1030ELNS1_3gpuE2ELNS1_3repE0EEENS1_30default_config_static_selectorELNS0_4arch9wavefront6targetE1EEEvT1_
                                        ; -- End function
	.section	.AMDGPU.csdata,"",@progbits
; Kernel info:
; codeLenInByte = 0
; NumSgprs: 4
; NumVgprs: 0
; NumAgprs: 0
; TotalNumVgprs: 0
; ScratchSize: 0
; MemoryBound: 0
; FloatMode: 240
; IeeeMode: 1
; LDSByteSize: 0 bytes/workgroup (compile time only)
; SGPRBlocks: 0
; VGPRBlocks: 0
; NumSGPRsForWavesPerEU: 4
; NumVGPRsForWavesPerEU: 1
; AccumOffset: 4
; Occupancy: 8
; WaveLimiterHint : 0
; COMPUTE_PGM_RSRC2:SCRATCH_EN: 0
; COMPUTE_PGM_RSRC2:USER_SGPR: 6
; COMPUTE_PGM_RSRC2:TRAP_HANDLER: 0
; COMPUTE_PGM_RSRC2:TGID_X_EN: 1
; COMPUTE_PGM_RSRC2:TGID_Y_EN: 0
; COMPUTE_PGM_RSRC2:TGID_Z_EN: 0
; COMPUTE_PGM_RSRC2:TIDIG_COMP_CNT: 0
; COMPUTE_PGM_RSRC3_GFX90A:ACCUM_OFFSET: 0
; COMPUTE_PGM_RSRC3_GFX90A:TG_SPLIT: 0
	.section	.text._ZN7rocprim17ROCPRIM_400000_NS6detail25reduce_by_key_init_kernelINS1_19lookback_scan_stateINS0_5tupleIJjyEEELb1ELb0EEEyNS1_16block_id_wrapperIjLb1EEEEEvT_jbjPmPT0_T1_,"axG",@progbits,_ZN7rocprim17ROCPRIM_400000_NS6detail25reduce_by_key_init_kernelINS1_19lookback_scan_stateINS0_5tupleIJjyEEELb1ELb0EEEyNS1_16block_id_wrapperIjLb1EEEEEvT_jbjPmPT0_T1_,comdat
	.protected	_ZN7rocprim17ROCPRIM_400000_NS6detail25reduce_by_key_init_kernelINS1_19lookback_scan_stateINS0_5tupleIJjyEEELb1ELb0EEEyNS1_16block_id_wrapperIjLb1EEEEEvT_jbjPmPT0_T1_ ; -- Begin function _ZN7rocprim17ROCPRIM_400000_NS6detail25reduce_by_key_init_kernelINS1_19lookback_scan_stateINS0_5tupleIJjyEEELb1ELb0EEEyNS1_16block_id_wrapperIjLb1EEEEEvT_jbjPmPT0_T1_
	.globl	_ZN7rocprim17ROCPRIM_400000_NS6detail25reduce_by_key_init_kernelINS1_19lookback_scan_stateINS0_5tupleIJjyEEELb1ELb0EEEyNS1_16block_id_wrapperIjLb1EEEEEvT_jbjPmPT0_T1_
	.p2align	8
	.type	_ZN7rocprim17ROCPRIM_400000_NS6detail25reduce_by_key_init_kernelINS1_19lookback_scan_stateINS0_5tupleIJjyEEELb1ELb0EEEyNS1_16block_id_wrapperIjLb1EEEEEvT_jbjPmPT0_T1_,@function
_ZN7rocprim17ROCPRIM_400000_NS6detail25reduce_by_key_init_kernelINS1_19lookback_scan_stateINS0_5tupleIJjyEEELb1ELb0EEEyNS1_16block_id_wrapperIjLb1EEEEEvT_jbjPmPT0_T1_: ; @_ZN7rocprim17ROCPRIM_400000_NS6detail25reduce_by_key_init_kernelINS1_19lookback_scan_stateINS0_5tupleIJjyEEELb1ELb0EEEyNS1_16block_id_wrapperIjLb1EEEEEvT_jbjPmPT0_T1_
; %bb.0:
	s_load_dwordx8 s[8:15], s[4:5], 0x18
	s_load_dword s0, s[4:5], 0x4c
	s_load_dwordx2 s[18:19], s[4:5], 0x38
	s_load_dwordx2 s[16:17], s[4:5], 0x10
	s_waitcnt lgkmcnt(0)
	s_and_b32 s1, s9, 1
	s_and_b32 s0, s0, 0xffff
	s_mul_i32 s6, s6, s0
	s_cmp_eq_u32 s1, 0
	v_add_u32_e32 v0, s6, v0
	s_mov_b64 s[0:1], -1
	s_cbranch_scc1 .LBB247_6
; %bb.1:
	s_andn2_b64 vcc, exec, s[0:1]
	v_cmp_eq_u32_e64 s[0:1], 0, v0
	s_cbranch_vccz .LBB247_16
.LBB247_2:
	v_cmp_eq_u32_e32 vcc, 0, v0
	s_and_saveexec_b64 s[0:1], vcc
	s_cbranch_execnz .LBB247_19
.LBB247_3:
	s_or_b64 exec, exec, s[0:1]
	v_cmp_gt_u32_e32 vcc, s8, v0
	s_and_saveexec_b64 s[0:1], vcc
	s_cbranch_execnz .LBB247_20
.LBB247_4:
	s_or_b64 exec, exec, s[0:1]
	v_cmp_gt_u32_e32 vcc, 64, v0
	s_and_saveexec_b64 s[0:1], vcc
	s_cbranch_execnz .LBB247_21
.LBB247_5:
	s_endpgm
.LBB247_6:
	s_cmp_lt_u32 s10, s8
	s_cselect_b32 s0, s10, 0
	v_cmp_eq_u32_e32 vcc, s0, v0
	s_and_saveexec_b64 s[6:7], vcc
	s_cbranch_execz .LBB247_15
; %bb.7:
	s_add_i32 s10, s10, 64
	v_mov_b32_e32 v1, s10
	global_load_ubyte v1, v1, s[16:17] glc
	s_load_dwordx4 s[0:3], s[4:5], 0x0
	s_add_u32 s4, s16, s10
	s_mov_b32 s11, 0
	s_addc_u32 s5, s17, 0
	s_waitcnt vmcnt(0)
	v_cmp_ne_u16_e32 vcc, 0, v1
	v_readfirstlane_b32 s9, v1
	s_cbranch_vccz .LBB247_9
; %bb.8:
	s_and_b32 s4, 0xffff, s9
	s_branch .LBB247_14
.LBB247_9:
	s_mov_b32 s9, 1
	v_mov_b32_e32 v1, 0
.LBB247_10:                             ; =>This Loop Header: Depth=1
                                        ;     Child Loop BB247_11 Depth 2
	s_max_u32 s20, s9, 1
.LBB247_11:                             ;   Parent Loop BB247_10 Depth=1
                                        ; =>  This Inner Loop Header: Depth=2
	s_add_i32 s20, s20, -1
	s_cmp_eq_u32 s20, 0
	s_sleep 1
	s_cbranch_scc0 .LBB247_11
; %bb.12:                               ;   in Loop: Header=BB247_10 Depth=1
	global_load_ubyte v2, v1, s[4:5] glc
	s_cmp_lt_u32 s9, 32
	s_cselect_b64 s[20:21], -1, 0
	s_cmp_lg_u64 s[20:21], 0
	s_addc_u32 s9, s9, 0
	s_waitcnt vmcnt(0)
	v_cmp_ne_u16_e32 vcc, 0, v2
	v_readfirstlane_b32 s20, v2
	s_cbranch_vccz .LBB247_10
; %bb.13:
	s_and_b32 s4, 0xffff, s20
.LBB247_14:
	s_cmp_eq_u32 s4, 1
	s_waitcnt lgkmcnt(0)
	s_cselect_b32 s3, s1, s3
	s_cselect_b32 s2, s0, s2
	s_lshl_b64 s[0:1], s[10:11], 4
	v_mov_b32_e32 v1, 0
	s_add_u32 s0, s2, s0
	buffer_wbinvl1_vol
	s_addc_u32 s1, s3, s1
	global_load_dwordx2 v[2:3], v1, s[12:13]
	global_load_dword v6, v1, s[0:1]
	global_load_dwordx2 v[4:5], v1, s[0:1] offset:8
	s_waitcnt vmcnt(1)
	v_add_co_u32_e32 v2, vcc, v2, v6
	v_addc_co_u32_e32 v3, vcc, 0, v3, vcc
	global_store_dwordx2 v1, v[2:3], s[12:13]
	s_waitcnt vmcnt(1)
	global_store_dwordx2 v1, v[4:5], s[14:15]
.LBB247_15:
	s_or_b64 exec, exec, s[6:7]
	v_cmp_eq_u32_e64 s[0:1], 0, v0
	s_cbranch_execnz .LBB247_2
.LBB247_16:
	s_cmp_lg_u64 s[12:13], 0
	s_cselect_b64 s[2:3], -1, 0
	s_and_b64 s[2:3], s[2:3], s[0:1]
	s_and_saveexec_b64 s[0:1], s[2:3]
	s_cbranch_execz .LBB247_18
; %bb.17:
	v_mov_b32_e32 v2, 0
	v_mov_b32_e32 v3, v2
	global_store_dwordx2 v2, v[2:3], s[12:13]
.LBB247_18:
	s_or_b64 exec, exec, s[0:1]
	v_cmp_eq_u32_e32 vcc, 0, v0
	s_and_saveexec_b64 s[0:1], vcc
	s_cbranch_execz .LBB247_3
.LBB247_19:
	v_mov_b32_e32 v1, 0
	global_store_dword v1, v1, s[18:19]
	s_or_b64 exec, exec, s[0:1]
	v_cmp_gt_u32_e32 vcc, s8, v0
	s_and_saveexec_b64 s[0:1], vcc
	s_cbranch_execz .LBB247_4
.LBB247_20:
	v_add_u32_e32 v1, 64, v0
	v_mov_b32_e32 v2, 0
	global_store_byte v1, v2, s[16:17]
	s_or_b64 exec, exec, s[0:1]
	v_cmp_gt_u32_e32 vcc, 64, v0
	s_and_saveexec_b64 s[0:1], vcc
	s_cbranch_execz .LBB247_5
.LBB247_21:
	v_mov_b32_e32 v1, 0xff
	global_store_byte v0, v1, s[16:17]
	s_endpgm
	.section	.rodata,"a",@progbits
	.p2align	6, 0x0
	.amdhsa_kernel _ZN7rocprim17ROCPRIM_400000_NS6detail25reduce_by_key_init_kernelINS1_19lookback_scan_stateINS0_5tupleIJjyEEELb1ELb0EEEyNS1_16block_id_wrapperIjLb1EEEEEvT_jbjPmPT0_T1_
		.amdhsa_group_segment_fixed_size 0
		.amdhsa_private_segment_fixed_size 0
		.amdhsa_kernarg_size 320
		.amdhsa_user_sgpr_count 6
		.amdhsa_user_sgpr_private_segment_buffer 1
		.amdhsa_user_sgpr_dispatch_ptr 0
		.amdhsa_user_sgpr_queue_ptr 0
		.amdhsa_user_sgpr_kernarg_segment_ptr 1
		.amdhsa_user_sgpr_dispatch_id 0
		.amdhsa_user_sgpr_flat_scratch_init 0
		.amdhsa_user_sgpr_kernarg_preload_length 0
		.amdhsa_user_sgpr_kernarg_preload_offset 0
		.amdhsa_user_sgpr_private_segment_size 0
		.amdhsa_uses_dynamic_stack 0
		.amdhsa_system_sgpr_private_segment_wavefront_offset 0
		.amdhsa_system_sgpr_workgroup_id_x 1
		.amdhsa_system_sgpr_workgroup_id_y 0
		.amdhsa_system_sgpr_workgroup_id_z 0
		.amdhsa_system_sgpr_workgroup_info 0
		.amdhsa_system_vgpr_workitem_id 0
		.amdhsa_next_free_vgpr 7
		.amdhsa_next_free_sgpr 22
		.amdhsa_accum_offset 8
		.amdhsa_reserve_vcc 1
		.amdhsa_reserve_flat_scratch 0
		.amdhsa_float_round_mode_32 0
		.amdhsa_float_round_mode_16_64 0
		.amdhsa_float_denorm_mode_32 3
		.amdhsa_float_denorm_mode_16_64 3
		.amdhsa_dx10_clamp 1
		.amdhsa_ieee_mode 1
		.amdhsa_fp16_overflow 0
		.amdhsa_tg_split 0
		.amdhsa_exception_fp_ieee_invalid_op 0
		.amdhsa_exception_fp_denorm_src 0
		.amdhsa_exception_fp_ieee_div_zero 0
		.amdhsa_exception_fp_ieee_overflow 0
		.amdhsa_exception_fp_ieee_underflow 0
		.amdhsa_exception_fp_ieee_inexact 0
		.amdhsa_exception_int_div_zero 0
	.end_amdhsa_kernel
	.section	.text._ZN7rocprim17ROCPRIM_400000_NS6detail25reduce_by_key_init_kernelINS1_19lookback_scan_stateINS0_5tupleIJjyEEELb1ELb0EEEyNS1_16block_id_wrapperIjLb1EEEEEvT_jbjPmPT0_T1_,"axG",@progbits,_ZN7rocprim17ROCPRIM_400000_NS6detail25reduce_by_key_init_kernelINS1_19lookback_scan_stateINS0_5tupleIJjyEEELb1ELb0EEEyNS1_16block_id_wrapperIjLb1EEEEEvT_jbjPmPT0_T1_,comdat
.Lfunc_end247:
	.size	_ZN7rocprim17ROCPRIM_400000_NS6detail25reduce_by_key_init_kernelINS1_19lookback_scan_stateINS0_5tupleIJjyEEELb1ELb0EEEyNS1_16block_id_wrapperIjLb1EEEEEvT_jbjPmPT0_T1_, .Lfunc_end247-_ZN7rocprim17ROCPRIM_400000_NS6detail25reduce_by_key_init_kernelINS1_19lookback_scan_stateINS0_5tupleIJjyEEELb1ELb0EEEyNS1_16block_id_wrapperIjLb1EEEEEvT_jbjPmPT0_T1_
                                        ; -- End function
	.section	.AMDGPU.csdata,"",@progbits
; Kernel info:
; codeLenInByte = 536
; NumSgprs: 26
; NumVgprs: 7
; NumAgprs: 0
; TotalNumVgprs: 7
; ScratchSize: 0
; MemoryBound: 0
; FloatMode: 240
; IeeeMode: 1
; LDSByteSize: 0 bytes/workgroup (compile time only)
; SGPRBlocks: 3
; VGPRBlocks: 0
; NumSGPRsForWavesPerEU: 26
; NumVGPRsForWavesPerEU: 7
; AccumOffset: 8
; Occupancy: 8
; WaveLimiterHint : 0
; COMPUTE_PGM_RSRC2:SCRATCH_EN: 0
; COMPUTE_PGM_RSRC2:USER_SGPR: 6
; COMPUTE_PGM_RSRC2:TRAP_HANDLER: 0
; COMPUTE_PGM_RSRC2:TGID_X_EN: 1
; COMPUTE_PGM_RSRC2:TGID_Y_EN: 0
; COMPUTE_PGM_RSRC2:TGID_Z_EN: 0
; COMPUTE_PGM_RSRC2:TIDIG_COMP_CNT: 0
; COMPUTE_PGM_RSRC3_GFX90A:ACCUM_OFFSET: 1
; COMPUTE_PGM_RSRC3_GFX90A:TG_SPLIT: 0
	.section	.text._ZN7rocprim17ROCPRIM_400000_NS6detail17trampoline_kernelINS0_14default_configENS1_29reduce_by_key_config_selectorIyyN6thrust23THRUST_200600_302600_NS4plusIyEEEEZZNS1_33reduce_by_key_impl_wrapped_configILNS1_25lookback_scan_determinismE0ES3_S9_NS6_6detail15normal_iteratorINS6_10device_ptrIyEEEESG_SG_SG_PmS8_NS6_8equal_toIyEEEE10hipError_tPvRmT2_T3_mT4_T5_T6_T7_T8_P12ihipStream_tbENKUlT_T0_E_clISt17integral_constantIbLb1EES11_EEDaSW_SX_EUlSW_E_NS1_11comp_targetILNS1_3genE0ELNS1_11target_archE4294967295ELNS1_3gpuE0ELNS1_3repE0EEENS1_30default_config_static_selectorELNS0_4arch9wavefront6targetE1EEEvT1_,"axG",@progbits,_ZN7rocprim17ROCPRIM_400000_NS6detail17trampoline_kernelINS0_14default_configENS1_29reduce_by_key_config_selectorIyyN6thrust23THRUST_200600_302600_NS4plusIyEEEEZZNS1_33reduce_by_key_impl_wrapped_configILNS1_25lookback_scan_determinismE0ES3_S9_NS6_6detail15normal_iteratorINS6_10device_ptrIyEEEESG_SG_SG_PmS8_NS6_8equal_toIyEEEE10hipError_tPvRmT2_T3_mT4_T5_T6_T7_T8_P12ihipStream_tbENKUlT_T0_E_clISt17integral_constantIbLb1EES11_EEDaSW_SX_EUlSW_E_NS1_11comp_targetILNS1_3genE0ELNS1_11target_archE4294967295ELNS1_3gpuE0ELNS1_3repE0EEENS1_30default_config_static_selectorELNS0_4arch9wavefront6targetE1EEEvT1_,comdat
	.protected	_ZN7rocprim17ROCPRIM_400000_NS6detail17trampoline_kernelINS0_14default_configENS1_29reduce_by_key_config_selectorIyyN6thrust23THRUST_200600_302600_NS4plusIyEEEEZZNS1_33reduce_by_key_impl_wrapped_configILNS1_25lookback_scan_determinismE0ES3_S9_NS6_6detail15normal_iteratorINS6_10device_ptrIyEEEESG_SG_SG_PmS8_NS6_8equal_toIyEEEE10hipError_tPvRmT2_T3_mT4_T5_T6_T7_T8_P12ihipStream_tbENKUlT_T0_E_clISt17integral_constantIbLb1EES11_EEDaSW_SX_EUlSW_E_NS1_11comp_targetILNS1_3genE0ELNS1_11target_archE4294967295ELNS1_3gpuE0ELNS1_3repE0EEENS1_30default_config_static_selectorELNS0_4arch9wavefront6targetE1EEEvT1_ ; -- Begin function _ZN7rocprim17ROCPRIM_400000_NS6detail17trampoline_kernelINS0_14default_configENS1_29reduce_by_key_config_selectorIyyN6thrust23THRUST_200600_302600_NS4plusIyEEEEZZNS1_33reduce_by_key_impl_wrapped_configILNS1_25lookback_scan_determinismE0ES3_S9_NS6_6detail15normal_iteratorINS6_10device_ptrIyEEEESG_SG_SG_PmS8_NS6_8equal_toIyEEEE10hipError_tPvRmT2_T3_mT4_T5_T6_T7_T8_P12ihipStream_tbENKUlT_T0_E_clISt17integral_constantIbLb1EES11_EEDaSW_SX_EUlSW_E_NS1_11comp_targetILNS1_3genE0ELNS1_11target_archE4294967295ELNS1_3gpuE0ELNS1_3repE0EEENS1_30default_config_static_selectorELNS0_4arch9wavefront6targetE1EEEvT1_
	.globl	_ZN7rocprim17ROCPRIM_400000_NS6detail17trampoline_kernelINS0_14default_configENS1_29reduce_by_key_config_selectorIyyN6thrust23THRUST_200600_302600_NS4plusIyEEEEZZNS1_33reduce_by_key_impl_wrapped_configILNS1_25lookback_scan_determinismE0ES3_S9_NS6_6detail15normal_iteratorINS6_10device_ptrIyEEEESG_SG_SG_PmS8_NS6_8equal_toIyEEEE10hipError_tPvRmT2_T3_mT4_T5_T6_T7_T8_P12ihipStream_tbENKUlT_T0_E_clISt17integral_constantIbLb1EES11_EEDaSW_SX_EUlSW_E_NS1_11comp_targetILNS1_3genE0ELNS1_11target_archE4294967295ELNS1_3gpuE0ELNS1_3repE0EEENS1_30default_config_static_selectorELNS0_4arch9wavefront6targetE1EEEvT1_
	.p2align	8
	.type	_ZN7rocprim17ROCPRIM_400000_NS6detail17trampoline_kernelINS0_14default_configENS1_29reduce_by_key_config_selectorIyyN6thrust23THRUST_200600_302600_NS4plusIyEEEEZZNS1_33reduce_by_key_impl_wrapped_configILNS1_25lookback_scan_determinismE0ES3_S9_NS6_6detail15normal_iteratorINS6_10device_ptrIyEEEESG_SG_SG_PmS8_NS6_8equal_toIyEEEE10hipError_tPvRmT2_T3_mT4_T5_T6_T7_T8_P12ihipStream_tbENKUlT_T0_E_clISt17integral_constantIbLb1EES11_EEDaSW_SX_EUlSW_E_NS1_11comp_targetILNS1_3genE0ELNS1_11target_archE4294967295ELNS1_3gpuE0ELNS1_3repE0EEENS1_30default_config_static_selectorELNS0_4arch9wavefront6targetE1EEEvT1_,@function
_ZN7rocprim17ROCPRIM_400000_NS6detail17trampoline_kernelINS0_14default_configENS1_29reduce_by_key_config_selectorIyyN6thrust23THRUST_200600_302600_NS4plusIyEEEEZZNS1_33reduce_by_key_impl_wrapped_configILNS1_25lookback_scan_determinismE0ES3_S9_NS6_6detail15normal_iteratorINS6_10device_ptrIyEEEESG_SG_SG_PmS8_NS6_8equal_toIyEEEE10hipError_tPvRmT2_T3_mT4_T5_T6_T7_T8_P12ihipStream_tbENKUlT_T0_E_clISt17integral_constantIbLb1EES11_EEDaSW_SX_EUlSW_E_NS1_11comp_targetILNS1_3genE0ELNS1_11target_archE4294967295ELNS1_3gpuE0ELNS1_3repE0EEENS1_30default_config_static_selectorELNS0_4arch9wavefront6targetE1EEEvT1_: ; @_ZN7rocprim17ROCPRIM_400000_NS6detail17trampoline_kernelINS0_14default_configENS1_29reduce_by_key_config_selectorIyyN6thrust23THRUST_200600_302600_NS4plusIyEEEEZZNS1_33reduce_by_key_impl_wrapped_configILNS1_25lookback_scan_determinismE0ES3_S9_NS6_6detail15normal_iteratorINS6_10device_ptrIyEEEESG_SG_SG_PmS8_NS6_8equal_toIyEEEE10hipError_tPvRmT2_T3_mT4_T5_T6_T7_T8_P12ihipStream_tbENKUlT_T0_E_clISt17integral_constantIbLb1EES11_EEDaSW_SX_EUlSW_E_NS1_11comp_targetILNS1_3genE0ELNS1_11target_archE4294967295ELNS1_3gpuE0ELNS1_3repE0EEENS1_30default_config_static_selectorELNS0_4arch9wavefront6targetE1EEEvT1_
; %bb.0:
	.section	.rodata,"a",@progbits
	.p2align	6, 0x0
	.amdhsa_kernel _ZN7rocprim17ROCPRIM_400000_NS6detail17trampoline_kernelINS0_14default_configENS1_29reduce_by_key_config_selectorIyyN6thrust23THRUST_200600_302600_NS4plusIyEEEEZZNS1_33reduce_by_key_impl_wrapped_configILNS1_25lookback_scan_determinismE0ES3_S9_NS6_6detail15normal_iteratorINS6_10device_ptrIyEEEESG_SG_SG_PmS8_NS6_8equal_toIyEEEE10hipError_tPvRmT2_T3_mT4_T5_T6_T7_T8_P12ihipStream_tbENKUlT_T0_E_clISt17integral_constantIbLb1EES11_EEDaSW_SX_EUlSW_E_NS1_11comp_targetILNS1_3genE0ELNS1_11target_archE4294967295ELNS1_3gpuE0ELNS1_3repE0EEENS1_30default_config_static_selectorELNS0_4arch9wavefront6targetE1EEEvT1_
		.amdhsa_group_segment_fixed_size 0
		.amdhsa_private_segment_fixed_size 0
		.amdhsa_kernarg_size 136
		.amdhsa_user_sgpr_count 6
		.amdhsa_user_sgpr_private_segment_buffer 1
		.amdhsa_user_sgpr_dispatch_ptr 0
		.amdhsa_user_sgpr_queue_ptr 0
		.amdhsa_user_sgpr_kernarg_segment_ptr 1
		.amdhsa_user_sgpr_dispatch_id 0
		.amdhsa_user_sgpr_flat_scratch_init 0
		.amdhsa_user_sgpr_kernarg_preload_length 0
		.amdhsa_user_sgpr_kernarg_preload_offset 0
		.amdhsa_user_sgpr_private_segment_size 0
		.amdhsa_uses_dynamic_stack 0
		.amdhsa_system_sgpr_private_segment_wavefront_offset 0
		.amdhsa_system_sgpr_workgroup_id_x 1
		.amdhsa_system_sgpr_workgroup_id_y 0
		.amdhsa_system_sgpr_workgroup_id_z 0
		.amdhsa_system_sgpr_workgroup_info 0
		.amdhsa_system_vgpr_workitem_id 0
		.amdhsa_next_free_vgpr 1
		.amdhsa_next_free_sgpr 0
		.amdhsa_accum_offset 4
		.amdhsa_reserve_vcc 0
		.amdhsa_reserve_flat_scratch 0
		.amdhsa_float_round_mode_32 0
		.amdhsa_float_round_mode_16_64 0
		.amdhsa_float_denorm_mode_32 3
		.amdhsa_float_denorm_mode_16_64 3
		.amdhsa_dx10_clamp 1
		.amdhsa_ieee_mode 1
		.amdhsa_fp16_overflow 0
		.amdhsa_tg_split 0
		.amdhsa_exception_fp_ieee_invalid_op 0
		.amdhsa_exception_fp_denorm_src 0
		.amdhsa_exception_fp_ieee_div_zero 0
		.amdhsa_exception_fp_ieee_overflow 0
		.amdhsa_exception_fp_ieee_underflow 0
		.amdhsa_exception_fp_ieee_inexact 0
		.amdhsa_exception_int_div_zero 0
	.end_amdhsa_kernel
	.section	.text._ZN7rocprim17ROCPRIM_400000_NS6detail17trampoline_kernelINS0_14default_configENS1_29reduce_by_key_config_selectorIyyN6thrust23THRUST_200600_302600_NS4plusIyEEEEZZNS1_33reduce_by_key_impl_wrapped_configILNS1_25lookback_scan_determinismE0ES3_S9_NS6_6detail15normal_iteratorINS6_10device_ptrIyEEEESG_SG_SG_PmS8_NS6_8equal_toIyEEEE10hipError_tPvRmT2_T3_mT4_T5_T6_T7_T8_P12ihipStream_tbENKUlT_T0_E_clISt17integral_constantIbLb1EES11_EEDaSW_SX_EUlSW_E_NS1_11comp_targetILNS1_3genE0ELNS1_11target_archE4294967295ELNS1_3gpuE0ELNS1_3repE0EEENS1_30default_config_static_selectorELNS0_4arch9wavefront6targetE1EEEvT1_,"axG",@progbits,_ZN7rocprim17ROCPRIM_400000_NS6detail17trampoline_kernelINS0_14default_configENS1_29reduce_by_key_config_selectorIyyN6thrust23THRUST_200600_302600_NS4plusIyEEEEZZNS1_33reduce_by_key_impl_wrapped_configILNS1_25lookback_scan_determinismE0ES3_S9_NS6_6detail15normal_iteratorINS6_10device_ptrIyEEEESG_SG_SG_PmS8_NS6_8equal_toIyEEEE10hipError_tPvRmT2_T3_mT4_T5_T6_T7_T8_P12ihipStream_tbENKUlT_T0_E_clISt17integral_constantIbLb1EES11_EEDaSW_SX_EUlSW_E_NS1_11comp_targetILNS1_3genE0ELNS1_11target_archE4294967295ELNS1_3gpuE0ELNS1_3repE0EEENS1_30default_config_static_selectorELNS0_4arch9wavefront6targetE1EEEvT1_,comdat
.Lfunc_end248:
	.size	_ZN7rocprim17ROCPRIM_400000_NS6detail17trampoline_kernelINS0_14default_configENS1_29reduce_by_key_config_selectorIyyN6thrust23THRUST_200600_302600_NS4plusIyEEEEZZNS1_33reduce_by_key_impl_wrapped_configILNS1_25lookback_scan_determinismE0ES3_S9_NS6_6detail15normal_iteratorINS6_10device_ptrIyEEEESG_SG_SG_PmS8_NS6_8equal_toIyEEEE10hipError_tPvRmT2_T3_mT4_T5_T6_T7_T8_P12ihipStream_tbENKUlT_T0_E_clISt17integral_constantIbLb1EES11_EEDaSW_SX_EUlSW_E_NS1_11comp_targetILNS1_3genE0ELNS1_11target_archE4294967295ELNS1_3gpuE0ELNS1_3repE0EEENS1_30default_config_static_selectorELNS0_4arch9wavefront6targetE1EEEvT1_, .Lfunc_end248-_ZN7rocprim17ROCPRIM_400000_NS6detail17trampoline_kernelINS0_14default_configENS1_29reduce_by_key_config_selectorIyyN6thrust23THRUST_200600_302600_NS4plusIyEEEEZZNS1_33reduce_by_key_impl_wrapped_configILNS1_25lookback_scan_determinismE0ES3_S9_NS6_6detail15normal_iteratorINS6_10device_ptrIyEEEESG_SG_SG_PmS8_NS6_8equal_toIyEEEE10hipError_tPvRmT2_T3_mT4_T5_T6_T7_T8_P12ihipStream_tbENKUlT_T0_E_clISt17integral_constantIbLb1EES11_EEDaSW_SX_EUlSW_E_NS1_11comp_targetILNS1_3genE0ELNS1_11target_archE4294967295ELNS1_3gpuE0ELNS1_3repE0EEENS1_30default_config_static_selectorELNS0_4arch9wavefront6targetE1EEEvT1_
                                        ; -- End function
	.section	.AMDGPU.csdata,"",@progbits
; Kernel info:
; codeLenInByte = 0
; NumSgprs: 4
; NumVgprs: 0
; NumAgprs: 0
; TotalNumVgprs: 0
; ScratchSize: 0
; MemoryBound: 0
; FloatMode: 240
; IeeeMode: 1
; LDSByteSize: 0 bytes/workgroup (compile time only)
; SGPRBlocks: 0
; VGPRBlocks: 0
; NumSGPRsForWavesPerEU: 4
; NumVGPRsForWavesPerEU: 1
; AccumOffset: 4
; Occupancy: 8
; WaveLimiterHint : 0
; COMPUTE_PGM_RSRC2:SCRATCH_EN: 0
; COMPUTE_PGM_RSRC2:USER_SGPR: 6
; COMPUTE_PGM_RSRC2:TRAP_HANDLER: 0
; COMPUTE_PGM_RSRC2:TGID_X_EN: 1
; COMPUTE_PGM_RSRC2:TGID_Y_EN: 0
; COMPUTE_PGM_RSRC2:TGID_Z_EN: 0
; COMPUTE_PGM_RSRC2:TIDIG_COMP_CNT: 0
; COMPUTE_PGM_RSRC3_GFX90A:ACCUM_OFFSET: 0
; COMPUTE_PGM_RSRC3_GFX90A:TG_SPLIT: 0
	.section	.text._ZN7rocprim17ROCPRIM_400000_NS6detail17trampoline_kernelINS0_14default_configENS1_29reduce_by_key_config_selectorIyyN6thrust23THRUST_200600_302600_NS4plusIyEEEEZZNS1_33reduce_by_key_impl_wrapped_configILNS1_25lookback_scan_determinismE0ES3_S9_NS6_6detail15normal_iteratorINS6_10device_ptrIyEEEESG_SG_SG_PmS8_NS6_8equal_toIyEEEE10hipError_tPvRmT2_T3_mT4_T5_T6_T7_T8_P12ihipStream_tbENKUlT_T0_E_clISt17integral_constantIbLb1EES11_EEDaSW_SX_EUlSW_E_NS1_11comp_targetILNS1_3genE5ELNS1_11target_archE942ELNS1_3gpuE9ELNS1_3repE0EEENS1_30default_config_static_selectorELNS0_4arch9wavefront6targetE1EEEvT1_,"axG",@progbits,_ZN7rocprim17ROCPRIM_400000_NS6detail17trampoline_kernelINS0_14default_configENS1_29reduce_by_key_config_selectorIyyN6thrust23THRUST_200600_302600_NS4plusIyEEEEZZNS1_33reduce_by_key_impl_wrapped_configILNS1_25lookback_scan_determinismE0ES3_S9_NS6_6detail15normal_iteratorINS6_10device_ptrIyEEEESG_SG_SG_PmS8_NS6_8equal_toIyEEEE10hipError_tPvRmT2_T3_mT4_T5_T6_T7_T8_P12ihipStream_tbENKUlT_T0_E_clISt17integral_constantIbLb1EES11_EEDaSW_SX_EUlSW_E_NS1_11comp_targetILNS1_3genE5ELNS1_11target_archE942ELNS1_3gpuE9ELNS1_3repE0EEENS1_30default_config_static_selectorELNS0_4arch9wavefront6targetE1EEEvT1_,comdat
	.protected	_ZN7rocprim17ROCPRIM_400000_NS6detail17trampoline_kernelINS0_14default_configENS1_29reduce_by_key_config_selectorIyyN6thrust23THRUST_200600_302600_NS4plusIyEEEEZZNS1_33reduce_by_key_impl_wrapped_configILNS1_25lookback_scan_determinismE0ES3_S9_NS6_6detail15normal_iteratorINS6_10device_ptrIyEEEESG_SG_SG_PmS8_NS6_8equal_toIyEEEE10hipError_tPvRmT2_T3_mT4_T5_T6_T7_T8_P12ihipStream_tbENKUlT_T0_E_clISt17integral_constantIbLb1EES11_EEDaSW_SX_EUlSW_E_NS1_11comp_targetILNS1_3genE5ELNS1_11target_archE942ELNS1_3gpuE9ELNS1_3repE0EEENS1_30default_config_static_selectorELNS0_4arch9wavefront6targetE1EEEvT1_ ; -- Begin function _ZN7rocprim17ROCPRIM_400000_NS6detail17trampoline_kernelINS0_14default_configENS1_29reduce_by_key_config_selectorIyyN6thrust23THRUST_200600_302600_NS4plusIyEEEEZZNS1_33reduce_by_key_impl_wrapped_configILNS1_25lookback_scan_determinismE0ES3_S9_NS6_6detail15normal_iteratorINS6_10device_ptrIyEEEESG_SG_SG_PmS8_NS6_8equal_toIyEEEE10hipError_tPvRmT2_T3_mT4_T5_T6_T7_T8_P12ihipStream_tbENKUlT_T0_E_clISt17integral_constantIbLb1EES11_EEDaSW_SX_EUlSW_E_NS1_11comp_targetILNS1_3genE5ELNS1_11target_archE942ELNS1_3gpuE9ELNS1_3repE0EEENS1_30default_config_static_selectorELNS0_4arch9wavefront6targetE1EEEvT1_
	.globl	_ZN7rocprim17ROCPRIM_400000_NS6detail17trampoline_kernelINS0_14default_configENS1_29reduce_by_key_config_selectorIyyN6thrust23THRUST_200600_302600_NS4plusIyEEEEZZNS1_33reduce_by_key_impl_wrapped_configILNS1_25lookback_scan_determinismE0ES3_S9_NS6_6detail15normal_iteratorINS6_10device_ptrIyEEEESG_SG_SG_PmS8_NS6_8equal_toIyEEEE10hipError_tPvRmT2_T3_mT4_T5_T6_T7_T8_P12ihipStream_tbENKUlT_T0_E_clISt17integral_constantIbLb1EES11_EEDaSW_SX_EUlSW_E_NS1_11comp_targetILNS1_3genE5ELNS1_11target_archE942ELNS1_3gpuE9ELNS1_3repE0EEENS1_30default_config_static_selectorELNS0_4arch9wavefront6targetE1EEEvT1_
	.p2align	8
	.type	_ZN7rocprim17ROCPRIM_400000_NS6detail17trampoline_kernelINS0_14default_configENS1_29reduce_by_key_config_selectorIyyN6thrust23THRUST_200600_302600_NS4plusIyEEEEZZNS1_33reduce_by_key_impl_wrapped_configILNS1_25lookback_scan_determinismE0ES3_S9_NS6_6detail15normal_iteratorINS6_10device_ptrIyEEEESG_SG_SG_PmS8_NS6_8equal_toIyEEEE10hipError_tPvRmT2_T3_mT4_T5_T6_T7_T8_P12ihipStream_tbENKUlT_T0_E_clISt17integral_constantIbLb1EES11_EEDaSW_SX_EUlSW_E_NS1_11comp_targetILNS1_3genE5ELNS1_11target_archE942ELNS1_3gpuE9ELNS1_3repE0EEENS1_30default_config_static_selectorELNS0_4arch9wavefront6targetE1EEEvT1_,@function
_ZN7rocprim17ROCPRIM_400000_NS6detail17trampoline_kernelINS0_14default_configENS1_29reduce_by_key_config_selectorIyyN6thrust23THRUST_200600_302600_NS4plusIyEEEEZZNS1_33reduce_by_key_impl_wrapped_configILNS1_25lookback_scan_determinismE0ES3_S9_NS6_6detail15normal_iteratorINS6_10device_ptrIyEEEESG_SG_SG_PmS8_NS6_8equal_toIyEEEE10hipError_tPvRmT2_T3_mT4_T5_T6_T7_T8_P12ihipStream_tbENKUlT_T0_E_clISt17integral_constantIbLb1EES11_EEDaSW_SX_EUlSW_E_NS1_11comp_targetILNS1_3genE5ELNS1_11target_archE942ELNS1_3gpuE9ELNS1_3repE0EEENS1_30default_config_static_selectorELNS0_4arch9wavefront6targetE1EEEvT1_: ; @_ZN7rocprim17ROCPRIM_400000_NS6detail17trampoline_kernelINS0_14default_configENS1_29reduce_by_key_config_selectorIyyN6thrust23THRUST_200600_302600_NS4plusIyEEEEZZNS1_33reduce_by_key_impl_wrapped_configILNS1_25lookback_scan_determinismE0ES3_S9_NS6_6detail15normal_iteratorINS6_10device_ptrIyEEEESG_SG_SG_PmS8_NS6_8equal_toIyEEEE10hipError_tPvRmT2_T3_mT4_T5_T6_T7_T8_P12ihipStream_tbENKUlT_T0_E_clISt17integral_constantIbLb1EES11_EEDaSW_SX_EUlSW_E_NS1_11comp_targetILNS1_3genE5ELNS1_11target_archE942ELNS1_3gpuE9ELNS1_3repE0EEENS1_30default_config_static_selectorELNS0_4arch9wavefront6targetE1EEEvT1_
; %bb.0:
	.section	.rodata,"a",@progbits
	.p2align	6, 0x0
	.amdhsa_kernel _ZN7rocprim17ROCPRIM_400000_NS6detail17trampoline_kernelINS0_14default_configENS1_29reduce_by_key_config_selectorIyyN6thrust23THRUST_200600_302600_NS4plusIyEEEEZZNS1_33reduce_by_key_impl_wrapped_configILNS1_25lookback_scan_determinismE0ES3_S9_NS6_6detail15normal_iteratorINS6_10device_ptrIyEEEESG_SG_SG_PmS8_NS6_8equal_toIyEEEE10hipError_tPvRmT2_T3_mT4_T5_T6_T7_T8_P12ihipStream_tbENKUlT_T0_E_clISt17integral_constantIbLb1EES11_EEDaSW_SX_EUlSW_E_NS1_11comp_targetILNS1_3genE5ELNS1_11target_archE942ELNS1_3gpuE9ELNS1_3repE0EEENS1_30default_config_static_selectorELNS0_4arch9wavefront6targetE1EEEvT1_
		.amdhsa_group_segment_fixed_size 0
		.amdhsa_private_segment_fixed_size 0
		.amdhsa_kernarg_size 136
		.amdhsa_user_sgpr_count 6
		.amdhsa_user_sgpr_private_segment_buffer 1
		.amdhsa_user_sgpr_dispatch_ptr 0
		.amdhsa_user_sgpr_queue_ptr 0
		.amdhsa_user_sgpr_kernarg_segment_ptr 1
		.amdhsa_user_sgpr_dispatch_id 0
		.amdhsa_user_sgpr_flat_scratch_init 0
		.amdhsa_user_sgpr_kernarg_preload_length 0
		.amdhsa_user_sgpr_kernarg_preload_offset 0
		.amdhsa_user_sgpr_private_segment_size 0
		.amdhsa_uses_dynamic_stack 0
		.amdhsa_system_sgpr_private_segment_wavefront_offset 0
		.amdhsa_system_sgpr_workgroup_id_x 1
		.amdhsa_system_sgpr_workgroup_id_y 0
		.amdhsa_system_sgpr_workgroup_id_z 0
		.amdhsa_system_sgpr_workgroup_info 0
		.amdhsa_system_vgpr_workitem_id 0
		.amdhsa_next_free_vgpr 1
		.amdhsa_next_free_sgpr 0
		.amdhsa_accum_offset 4
		.amdhsa_reserve_vcc 0
		.amdhsa_reserve_flat_scratch 0
		.amdhsa_float_round_mode_32 0
		.amdhsa_float_round_mode_16_64 0
		.amdhsa_float_denorm_mode_32 3
		.amdhsa_float_denorm_mode_16_64 3
		.amdhsa_dx10_clamp 1
		.amdhsa_ieee_mode 1
		.amdhsa_fp16_overflow 0
		.amdhsa_tg_split 0
		.amdhsa_exception_fp_ieee_invalid_op 0
		.amdhsa_exception_fp_denorm_src 0
		.amdhsa_exception_fp_ieee_div_zero 0
		.amdhsa_exception_fp_ieee_overflow 0
		.amdhsa_exception_fp_ieee_underflow 0
		.amdhsa_exception_fp_ieee_inexact 0
		.amdhsa_exception_int_div_zero 0
	.end_amdhsa_kernel
	.section	.text._ZN7rocprim17ROCPRIM_400000_NS6detail17trampoline_kernelINS0_14default_configENS1_29reduce_by_key_config_selectorIyyN6thrust23THRUST_200600_302600_NS4plusIyEEEEZZNS1_33reduce_by_key_impl_wrapped_configILNS1_25lookback_scan_determinismE0ES3_S9_NS6_6detail15normal_iteratorINS6_10device_ptrIyEEEESG_SG_SG_PmS8_NS6_8equal_toIyEEEE10hipError_tPvRmT2_T3_mT4_T5_T6_T7_T8_P12ihipStream_tbENKUlT_T0_E_clISt17integral_constantIbLb1EES11_EEDaSW_SX_EUlSW_E_NS1_11comp_targetILNS1_3genE5ELNS1_11target_archE942ELNS1_3gpuE9ELNS1_3repE0EEENS1_30default_config_static_selectorELNS0_4arch9wavefront6targetE1EEEvT1_,"axG",@progbits,_ZN7rocprim17ROCPRIM_400000_NS6detail17trampoline_kernelINS0_14default_configENS1_29reduce_by_key_config_selectorIyyN6thrust23THRUST_200600_302600_NS4plusIyEEEEZZNS1_33reduce_by_key_impl_wrapped_configILNS1_25lookback_scan_determinismE0ES3_S9_NS6_6detail15normal_iteratorINS6_10device_ptrIyEEEESG_SG_SG_PmS8_NS6_8equal_toIyEEEE10hipError_tPvRmT2_T3_mT4_T5_T6_T7_T8_P12ihipStream_tbENKUlT_T0_E_clISt17integral_constantIbLb1EES11_EEDaSW_SX_EUlSW_E_NS1_11comp_targetILNS1_3genE5ELNS1_11target_archE942ELNS1_3gpuE9ELNS1_3repE0EEENS1_30default_config_static_selectorELNS0_4arch9wavefront6targetE1EEEvT1_,comdat
.Lfunc_end249:
	.size	_ZN7rocprim17ROCPRIM_400000_NS6detail17trampoline_kernelINS0_14default_configENS1_29reduce_by_key_config_selectorIyyN6thrust23THRUST_200600_302600_NS4plusIyEEEEZZNS1_33reduce_by_key_impl_wrapped_configILNS1_25lookback_scan_determinismE0ES3_S9_NS6_6detail15normal_iteratorINS6_10device_ptrIyEEEESG_SG_SG_PmS8_NS6_8equal_toIyEEEE10hipError_tPvRmT2_T3_mT4_T5_T6_T7_T8_P12ihipStream_tbENKUlT_T0_E_clISt17integral_constantIbLb1EES11_EEDaSW_SX_EUlSW_E_NS1_11comp_targetILNS1_3genE5ELNS1_11target_archE942ELNS1_3gpuE9ELNS1_3repE0EEENS1_30default_config_static_selectorELNS0_4arch9wavefront6targetE1EEEvT1_, .Lfunc_end249-_ZN7rocprim17ROCPRIM_400000_NS6detail17trampoline_kernelINS0_14default_configENS1_29reduce_by_key_config_selectorIyyN6thrust23THRUST_200600_302600_NS4plusIyEEEEZZNS1_33reduce_by_key_impl_wrapped_configILNS1_25lookback_scan_determinismE0ES3_S9_NS6_6detail15normal_iteratorINS6_10device_ptrIyEEEESG_SG_SG_PmS8_NS6_8equal_toIyEEEE10hipError_tPvRmT2_T3_mT4_T5_T6_T7_T8_P12ihipStream_tbENKUlT_T0_E_clISt17integral_constantIbLb1EES11_EEDaSW_SX_EUlSW_E_NS1_11comp_targetILNS1_3genE5ELNS1_11target_archE942ELNS1_3gpuE9ELNS1_3repE0EEENS1_30default_config_static_selectorELNS0_4arch9wavefront6targetE1EEEvT1_
                                        ; -- End function
	.section	.AMDGPU.csdata,"",@progbits
; Kernel info:
; codeLenInByte = 0
; NumSgprs: 4
; NumVgprs: 0
; NumAgprs: 0
; TotalNumVgprs: 0
; ScratchSize: 0
; MemoryBound: 0
; FloatMode: 240
; IeeeMode: 1
; LDSByteSize: 0 bytes/workgroup (compile time only)
; SGPRBlocks: 0
; VGPRBlocks: 0
; NumSGPRsForWavesPerEU: 4
; NumVGPRsForWavesPerEU: 1
; AccumOffset: 4
; Occupancy: 8
; WaveLimiterHint : 0
; COMPUTE_PGM_RSRC2:SCRATCH_EN: 0
; COMPUTE_PGM_RSRC2:USER_SGPR: 6
; COMPUTE_PGM_RSRC2:TRAP_HANDLER: 0
; COMPUTE_PGM_RSRC2:TGID_X_EN: 1
; COMPUTE_PGM_RSRC2:TGID_Y_EN: 0
; COMPUTE_PGM_RSRC2:TGID_Z_EN: 0
; COMPUTE_PGM_RSRC2:TIDIG_COMP_CNT: 0
; COMPUTE_PGM_RSRC3_GFX90A:ACCUM_OFFSET: 0
; COMPUTE_PGM_RSRC3_GFX90A:TG_SPLIT: 0
	.section	.text._ZN7rocprim17ROCPRIM_400000_NS6detail17trampoline_kernelINS0_14default_configENS1_29reduce_by_key_config_selectorIyyN6thrust23THRUST_200600_302600_NS4plusIyEEEEZZNS1_33reduce_by_key_impl_wrapped_configILNS1_25lookback_scan_determinismE0ES3_S9_NS6_6detail15normal_iteratorINS6_10device_ptrIyEEEESG_SG_SG_PmS8_NS6_8equal_toIyEEEE10hipError_tPvRmT2_T3_mT4_T5_T6_T7_T8_P12ihipStream_tbENKUlT_T0_E_clISt17integral_constantIbLb1EES11_EEDaSW_SX_EUlSW_E_NS1_11comp_targetILNS1_3genE4ELNS1_11target_archE910ELNS1_3gpuE8ELNS1_3repE0EEENS1_30default_config_static_selectorELNS0_4arch9wavefront6targetE1EEEvT1_,"axG",@progbits,_ZN7rocprim17ROCPRIM_400000_NS6detail17trampoline_kernelINS0_14default_configENS1_29reduce_by_key_config_selectorIyyN6thrust23THRUST_200600_302600_NS4plusIyEEEEZZNS1_33reduce_by_key_impl_wrapped_configILNS1_25lookback_scan_determinismE0ES3_S9_NS6_6detail15normal_iteratorINS6_10device_ptrIyEEEESG_SG_SG_PmS8_NS6_8equal_toIyEEEE10hipError_tPvRmT2_T3_mT4_T5_T6_T7_T8_P12ihipStream_tbENKUlT_T0_E_clISt17integral_constantIbLb1EES11_EEDaSW_SX_EUlSW_E_NS1_11comp_targetILNS1_3genE4ELNS1_11target_archE910ELNS1_3gpuE8ELNS1_3repE0EEENS1_30default_config_static_selectorELNS0_4arch9wavefront6targetE1EEEvT1_,comdat
	.protected	_ZN7rocprim17ROCPRIM_400000_NS6detail17trampoline_kernelINS0_14default_configENS1_29reduce_by_key_config_selectorIyyN6thrust23THRUST_200600_302600_NS4plusIyEEEEZZNS1_33reduce_by_key_impl_wrapped_configILNS1_25lookback_scan_determinismE0ES3_S9_NS6_6detail15normal_iteratorINS6_10device_ptrIyEEEESG_SG_SG_PmS8_NS6_8equal_toIyEEEE10hipError_tPvRmT2_T3_mT4_T5_T6_T7_T8_P12ihipStream_tbENKUlT_T0_E_clISt17integral_constantIbLb1EES11_EEDaSW_SX_EUlSW_E_NS1_11comp_targetILNS1_3genE4ELNS1_11target_archE910ELNS1_3gpuE8ELNS1_3repE0EEENS1_30default_config_static_selectorELNS0_4arch9wavefront6targetE1EEEvT1_ ; -- Begin function _ZN7rocprim17ROCPRIM_400000_NS6detail17trampoline_kernelINS0_14default_configENS1_29reduce_by_key_config_selectorIyyN6thrust23THRUST_200600_302600_NS4plusIyEEEEZZNS1_33reduce_by_key_impl_wrapped_configILNS1_25lookback_scan_determinismE0ES3_S9_NS6_6detail15normal_iteratorINS6_10device_ptrIyEEEESG_SG_SG_PmS8_NS6_8equal_toIyEEEE10hipError_tPvRmT2_T3_mT4_T5_T6_T7_T8_P12ihipStream_tbENKUlT_T0_E_clISt17integral_constantIbLb1EES11_EEDaSW_SX_EUlSW_E_NS1_11comp_targetILNS1_3genE4ELNS1_11target_archE910ELNS1_3gpuE8ELNS1_3repE0EEENS1_30default_config_static_selectorELNS0_4arch9wavefront6targetE1EEEvT1_
	.globl	_ZN7rocprim17ROCPRIM_400000_NS6detail17trampoline_kernelINS0_14default_configENS1_29reduce_by_key_config_selectorIyyN6thrust23THRUST_200600_302600_NS4plusIyEEEEZZNS1_33reduce_by_key_impl_wrapped_configILNS1_25lookback_scan_determinismE0ES3_S9_NS6_6detail15normal_iteratorINS6_10device_ptrIyEEEESG_SG_SG_PmS8_NS6_8equal_toIyEEEE10hipError_tPvRmT2_T3_mT4_T5_T6_T7_T8_P12ihipStream_tbENKUlT_T0_E_clISt17integral_constantIbLb1EES11_EEDaSW_SX_EUlSW_E_NS1_11comp_targetILNS1_3genE4ELNS1_11target_archE910ELNS1_3gpuE8ELNS1_3repE0EEENS1_30default_config_static_selectorELNS0_4arch9wavefront6targetE1EEEvT1_
	.p2align	8
	.type	_ZN7rocprim17ROCPRIM_400000_NS6detail17trampoline_kernelINS0_14default_configENS1_29reduce_by_key_config_selectorIyyN6thrust23THRUST_200600_302600_NS4plusIyEEEEZZNS1_33reduce_by_key_impl_wrapped_configILNS1_25lookback_scan_determinismE0ES3_S9_NS6_6detail15normal_iteratorINS6_10device_ptrIyEEEESG_SG_SG_PmS8_NS6_8equal_toIyEEEE10hipError_tPvRmT2_T3_mT4_T5_T6_T7_T8_P12ihipStream_tbENKUlT_T0_E_clISt17integral_constantIbLb1EES11_EEDaSW_SX_EUlSW_E_NS1_11comp_targetILNS1_3genE4ELNS1_11target_archE910ELNS1_3gpuE8ELNS1_3repE0EEENS1_30default_config_static_selectorELNS0_4arch9wavefront6targetE1EEEvT1_,@function
_ZN7rocprim17ROCPRIM_400000_NS6detail17trampoline_kernelINS0_14default_configENS1_29reduce_by_key_config_selectorIyyN6thrust23THRUST_200600_302600_NS4plusIyEEEEZZNS1_33reduce_by_key_impl_wrapped_configILNS1_25lookback_scan_determinismE0ES3_S9_NS6_6detail15normal_iteratorINS6_10device_ptrIyEEEESG_SG_SG_PmS8_NS6_8equal_toIyEEEE10hipError_tPvRmT2_T3_mT4_T5_T6_T7_T8_P12ihipStream_tbENKUlT_T0_E_clISt17integral_constantIbLb1EES11_EEDaSW_SX_EUlSW_E_NS1_11comp_targetILNS1_3genE4ELNS1_11target_archE910ELNS1_3gpuE8ELNS1_3repE0EEENS1_30default_config_static_selectorELNS0_4arch9wavefront6targetE1EEEvT1_: ; @_ZN7rocprim17ROCPRIM_400000_NS6detail17trampoline_kernelINS0_14default_configENS1_29reduce_by_key_config_selectorIyyN6thrust23THRUST_200600_302600_NS4plusIyEEEEZZNS1_33reduce_by_key_impl_wrapped_configILNS1_25lookback_scan_determinismE0ES3_S9_NS6_6detail15normal_iteratorINS6_10device_ptrIyEEEESG_SG_SG_PmS8_NS6_8equal_toIyEEEE10hipError_tPvRmT2_T3_mT4_T5_T6_T7_T8_P12ihipStream_tbENKUlT_T0_E_clISt17integral_constantIbLb1EES11_EEDaSW_SX_EUlSW_E_NS1_11comp_targetILNS1_3genE4ELNS1_11target_archE910ELNS1_3gpuE8ELNS1_3repE0EEENS1_30default_config_static_selectorELNS0_4arch9wavefront6targetE1EEEvT1_
; %bb.0:
	s_load_dwordx8 s[52:59], s[4:5], 0x0
	s_load_dwordx4 s[60:63], s[4:5], 0x20
	s_load_dwordx2 s[64:65], s[4:5], 0x78
	v_cmp_ne_u32_e64 s[2:3], 0, v0
	v_cmp_eq_u32_e64 s[0:1], 0, v0
	s_and_saveexec_b64 s[6:7], s[0:1]
	s_cbranch_execz .LBB250_4
; %bb.1:
	s_mov_b64 s[10:11], exec
	v_mbcnt_lo_u32_b32 v1, s10, 0
	v_mbcnt_hi_u32_b32 v1, s11, v1
	v_cmp_eq_u32_e32 vcc, 0, v1
                                        ; implicit-def: $vgpr2
	s_and_saveexec_b64 s[8:9], vcc
	s_cbranch_execz .LBB250_3
; %bb.2:
	s_load_dwordx2 s[12:13], s[4:5], 0x80
	s_bcnt1_i32_b64 s10, s[10:11]
	v_mov_b32_e32 v2, 0
	v_mov_b32_e32 v3, s10
	s_waitcnt lgkmcnt(0)
	global_atomic_add v2, v2, v3, s[12:13] glc
.LBB250_3:
	s_or_b64 exec, exec, s[8:9]
	s_waitcnt vmcnt(0)
	v_readfirstlane_b32 s8, v2
	v_add_u32_e32 v1, s8, v1
	v_mov_b32_e32 v2, 0
	ds_write_b32 v2, v1
.LBB250_4:
	s_or_b64 exec, exec, s[6:7]
	s_load_dwordx16 s[36:51], s[4:5], 0x38
	v_mov_b32_e32 v3, 0
	s_waitcnt lgkmcnt(0)
	s_lshl_b64 s[4:5], s[54:55], 3
	s_barrier
	ds_read_b32 v1, v3
	s_add_u32 s6, s52, s4
	s_addc_u32 s7, s53, s5
	s_add_u32 s4, s56, s4
	s_mul_i32 s8, s44, s43
	s_mul_hi_u32 s9, s44, s42
	s_addc_u32 s5, s57, s5
	s_add_i32 s8, s9, s8
	s_mul_i32 s9, s45, s42
	s_add_i32 s8, s8, s9
	s_mul_i32 s9, s44, s42
	s_waitcnt lgkmcnt(0)
	v_readfirstlane_b32 s56, v1
	s_movk_i32 s10, 0xf00
	v_mul_lo_u32 v2, v1, s10
	s_add_u32 s52, s9, s56
	v_lshlrev_b64 v[2:3], 3, v[2:3]
	s_addc_u32 s53, s8, 0
	v_mov_b32_e32 v1, s7
	v_add_co_u32_e32 v78, vcc, s6, v2
	s_add_u32 s6, s46, -1
	v_addc_co_u32_e32 v79, vcc, v1, v3, vcc
	s_addc_u32 s7, s47, -1
	v_mov_b32_e32 v4, s5
	v_add_co_u32_e32 v1, vcc, s4, v2
	s_cmp_eq_u64 s[52:53], s[6:7]
	v_addc_co_u32_e32 v76, vcc, v4, v3, vcc
	s_cselect_b64 s[44:45], -1, 0
	s_cmp_lg_u64 s[52:53], s[6:7]
	s_mov_b64 s[4:5], -1
	s_cselect_b64 s[54:55], -1, 0
	s_mul_i32 s33, s6, 0xfffff100
	s_and_b64 vcc, exec, s[44:45]
	s_barrier
	s_cbranch_vccnz .LBB250_6
; %bb.5:
	v_lshlrev_b32_e32 v84, 3, v0
	v_add_co_u32_e32 v2, vcc, v78, v84
	v_addc_co_u32_e32 v3, vcc, 0, v79, vcc
	v_add_co_u32_e32 v4, vcc, 0x1000, v2
	v_addc_co_u32_e32 v5, vcc, 0, v3, vcc
	flat_load_dwordx2 v[6:7], v[2:3]
	flat_load_dwordx2 v[8:9], v[2:3] offset:2048
	flat_load_dwordx2 v[10:11], v[4:5]
	flat_load_dwordx2 v[12:13], v[4:5] offset:2048
	v_add_co_u32_e32 v4, vcc, 0x2000, v2
	v_addc_co_u32_e32 v5, vcc, 0, v3, vcc
	v_add_co_u32_e32 v14, vcc, 0x3000, v2
	v_addc_co_u32_e32 v15, vcc, 0, v3, vcc
	flat_load_dwordx2 v[16:17], v[4:5]
	flat_load_dwordx2 v[18:19], v[4:5] offset:2048
	flat_load_dwordx2 v[20:21], v[14:15]
	flat_load_dwordx2 v[22:23], v[14:15] offset:2048
	;; [unrolled: 8-line block ×3, first 2 shown]
	v_add_co_u32_e32 v4, vcc, 0x6000, v2
	v_addc_co_u32_e32 v5, vcc, 0, v3, vcc
	v_add_co_u32_e32 v2, vcc, 0x7000, v2
	v_addc_co_u32_e32 v3, vcc, 0, v3, vcc
	flat_load_dwordx2 v[14:15], v[4:5]
	flat_load_dwordx2 v[32:33], v[4:5] offset:2048
	flat_load_dwordx2 v[34:35], v[2:3]
	v_add_co_u32_e32 v36, vcc, v1, v84
	s_movk_i32 s4, 0x1000
	v_addc_co_u32_e32 v37, vcc, 0, v76, vcc
	s_movk_i32 s11, 0x70
	s_movk_i32 s5, 0x2000
	v_mad_u32_u24 v77, v0, s11, v84
	s_movk_i32 s6, 0x3000
	s_movk_i32 s7, 0x4000
	;; [unrolled: 1-line block ×5, first 2 shown]
	s_waitcnt vmcnt(0) lgkmcnt(0)
	ds_write2st64_b64 v84, v[6:7], v[8:9] offset1:4
	ds_write2st64_b64 v84, v[10:11], v[12:13] offset0:8 offset1:12
	ds_write2st64_b64 v84, v[16:17], v[18:19] offset0:16 offset1:20
	ds_write2st64_b64 v84, v[20:21], v[22:23] offset0:24 offset1:28
	ds_write2st64_b64 v84, v[24:25], v[26:27] offset0:32 offset1:36
	ds_write2st64_b64 v84, v[28:29], v[30:31] offset0:40 offset1:44
	ds_write2st64_b64 v84, v[14:15], v[32:33] offset0:48 offset1:52
	ds_write_b64 v84, v[34:35] offset:28672
	v_add_co_u32_e32 v30, vcc, s4, v36
	v_addc_co_u32_e32 v31, vcc, 0, v37, vcc
	s_waitcnt lgkmcnt(0)
	s_barrier
	ds_read2_b64 v[26:29], v77 offset1:1
	ds_read2_b64 v[22:25], v77 offset0:2 offset1:3
	ds_read2_b64 v[18:21], v77 offset0:4 offset1:5
	;; [unrolled: 1-line block ×6, first 2 shown]
	ds_read_b64 v[74:75], v77 offset:112
	s_waitcnt lgkmcnt(0)
	s_barrier
	flat_load_dwordx2 v[32:33], v[36:37]
	flat_load_dwordx2 v[34:35], v[36:37] offset:2048
	flat_load_dwordx2 v[38:39], v[30:31]
	flat_load_dwordx2 v[40:41], v[30:31] offset:2048
	v_add_co_u32_e32 v30, vcc, s5, v36
	v_addc_co_u32_e32 v31, vcc, 0, v37, vcc
	v_add_co_u32_e32 v42, vcc, s6, v36
	v_addc_co_u32_e32 v43, vcc, 0, v37, vcc
	flat_load_dwordx2 v[44:45], v[30:31]
	flat_load_dwordx2 v[46:47], v[30:31] offset:2048
	flat_load_dwordx2 v[48:49], v[42:43]
	flat_load_dwordx2 v[50:51], v[42:43] offset:2048
	v_add_co_u32_e32 v30, vcc, s7, v36
	v_addc_co_u32_e32 v31, vcc, 0, v37, vcc
	v_add_co_u32_e32 v42, vcc, s8, v36
	v_addc_co_u32_e32 v43, vcc, 0, v37, vcc
	;; [unrolled: 8-line block ×3, first 2 shown]
	flat_load_dwordx2 v[42:43], v[30:31]
	flat_load_dwordx2 v[80:81], v[30:31] offset:2048
	flat_load_dwordx2 v[82:83], v[36:37]
	v_mov_b32_e32 v58, v26
	v_mov_b32_e32 v59, v27
	;; [unrolled: 1-line block ×14, first 2 shown]
	s_waitcnt vmcnt(0) lgkmcnt(0)
	ds_write2st64_b64 v84, v[32:33], v[34:35] offset1:4
	ds_write2st64_b64 v84, v[38:39], v[40:41] offset0:8 offset1:12
	ds_write2st64_b64 v84, v[44:45], v[46:47] offset0:16 offset1:20
	;; [unrolled: 1-line block ×6, first 2 shown]
	ds_write_b64 v84, v[82:83] offset:28672
	s_waitcnt lgkmcnt(0)
	s_barrier
	s_add_i32 s33, s33, s48
	s_cbranch_execz .LBB250_7
	s_branch .LBB250_54
.LBB250_6:
                                        ; implicit-def: $vgpr74_vgpr75
                                        ; implicit-def: $vgpr2_vgpr3
                                        ; implicit-def: $vgpr6_vgpr7
                                        ; implicit-def: $vgpr10_vgpr11
                                        ; implicit-def: $vgpr14_vgpr15
                                        ; implicit-def: $vgpr18_vgpr19
                                        ; implicit-def: $vgpr22_vgpr23
                                        ; implicit-def: $vgpr26_vgpr27
                                        ; implicit-def: $vgpr77
                                        ; implicit-def: $vgpr66_vgpr67_vgpr68_vgpr69
                                        ; implicit-def: $vgpr62_vgpr63_vgpr64_vgpr65
                                        ; implicit-def: $vgpr58_vgpr59_vgpr60_vgpr61
                                        ; implicit-def: $vgpr70_vgpr71_vgpr72_vgpr73
	s_andn2_b64 vcc, exec, s[4:5]
	s_add_i32 s33, s33, s48
	s_cbranch_vccnz .LBB250_54
.LBB250_7:
	v_cmp_gt_u32_e32 vcc, s33, v0
                                        ; implicit-def: $vgpr2_vgpr3
	s_and_saveexec_b64 s[6:7], vcc
	s_cbranch_execz .LBB250_9
; %bb.8:
	v_lshlrev_b32_e32 v2, 3, v0
	v_add_co_u32_e64 v2, s[4:5], v78, v2
	v_addc_co_u32_e64 v3, s[4:5], 0, v79, s[4:5]
	flat_load_dwordx2 v[2:3], v[2:3]
.LBB250_9:
	s_or_b64 exec, exec, s[6:7]
	v_or_b32_e32 v4, 0x100, v0
	v_cmp_gt_u32_e64 s[4:5], s33, v4
                                        ; implicit-def: $vgpr4_vgpr5
	s_and_saveexec_b64 s[8:9], s[4:5]
	s_cbranch_execz .LBB250_11
; %bb.10:
	v_lshlrev_b32_e32 v4, 3, v0
	v_add_co_u32_e64 v4, s[6:7], v78, v4
	v_addc_co_u32_e64 v5, s[6:7], 0, v79, s[6:7]
	flat_load_dwordx2 v[4:5], v[4:5] offset:2048
.LBB250_11:
	s_or_b64 exec, exec, s[8:9]
	v_or_b32_e32 v36, 0x200, v0
	v_cmp_gt_u32_e64 s[6:7], s33, v36
                                        ; implicit-def: $vgpr6_vgpr7
	s_and_saveexec_b64 s[10:11], s[6:7]
	s_cbranch_execz .LBB250_13
; %bb.12:
	v_lshlrev_b32_e32 v6, 3, v36
	v_add_co_u32_e64 v6, s[8:9], v78, v6
	v_addc_co_u32_e64 v7, s[8:9], 0, v79, s[8:9]
	flat_load_dwordx2 v[6:7], v[6:7]
.LBB250_13:
	s_or_b64 exec, exec, s[10:11]
	v_or_b32_e32 v38, 0x300, v0
	v_cmp_gt_u32_e64 s[8:9], s33, v38
                                        ; implicit-def: $vgpr8_vgpr9
	s_and_saveexec_b64 s[12:13], s[8:9]
	s_cbranch_execz .LBB250_15
; %bb.14:
	v_lshlrev_b32_e32 v8, 3, v38
	v_add_co_u32_e64 v8, s[10:11], v78, v8
	v_addc_co_u32_e64 v9, s[10:11], 0, v79, s[10:11]
	flat_load_dwordx2 v[8:9], v[8:9]
.LBB250_15:
	s_or_b64 exec, exec, s[12:13]
	v_or_b32_e32 v40, 0x400, v0
	v_cmp_gt_u32_e64 s[10:11], s33, v40
                                        ; implicit-def: $vgpr10_vgpr11
	s_and_saveexec_b64 s[14:15], s[10:11]
	s_cbranch_execz .LBB250_17
; %bb.16:
	v_lshlrev_b32_e32 v10, 3, v40
	v_add_co_u32_e64 v10, s[12:13], v78, v10
	v_addc_co_u32_e64 v11, s[12:13], 0, v79, s[12:13]
	flat_load_dwordx2 v[10:11], v[10:11]
.LBB250_17:
	s_or_b64 exec, exec, s[14:15]
	v_or_b32_e32 v42, 0x500, v0
	v_cmp_gt_u32_e64 s[12:13], s33, v42
                                        ; implicit-def: $vgpr12_vgpr13
	s_and_saveexec_b64 s[16:17], s[12:13]
	s_cbranch_execz .LBB250_19
; %bb.18:
	v_lshlrev_b32_e32 v12, 3, v42
	v_add_co_u32_e64 v12, s[14:15], v78, v12
	v_addc_co_u32_e64 v13, s[14:15], 0, v79, s[14:15]
	flat_load_dwordx2 v[12:13], v[12:13]
.LBB250_19:
	s_or_b64 exec, exec, s[16:17]
	v_or_b32_e32 v44, 0x600, v0
	v_cmp_gt_u32_e64 s[14:15], s33, v44
                                        ; implicit-def: $vgpr14_vgpr15
	s_and_saveexec_b64 s[18:19], s[14:15]
	s_cbranch_execz .LBB250_21
; %bb.20:
	v_lshlrev_b32_e32 v14, 3, v44
	v_add_co_u32_e64 v14, s[16:17], v78, v14
	v_addc_co_u32_e64 v15, s[16:17], 0, v79, s[16:17]
	flat_load_dwordx2 v[14:15], v[14:15]
.LBB250_21:
	s_or_b64 exec, exec, s[18:19]
	v_or_b32_e32 v46, 0x700, v0
	v_cmp_gt_u32_e64 s[16:17], s33, v46
                                        ; implicit-def: $vgpr16_vgpr17
	s_and_saveexec_b64 s[20:21], s[16:17]
	s_cbranch_execz .LBB250_23
; %bb.22:
	v_lshlrev_b32_e32 v16, 3, v46
	v_add_co_u32_e64 v16, s[18:19], v78, v16
	v_addc_co_u32_e64 v17, s[18:19], 0, v79, s[18:19]
	flat_load_dwordx2 v[16:17], v[16:17]
.LBB250_23:
	s_or_b64 exec, exec, s[20:21]
	v_or_b32_e32 v48, 0x800, v0
	v_cmp_gt_u32_e64 s[18:19], s33, v48
                                        ; implicit-def: $vgpr18_vgpr19
	s_and_saveexec_b64 s[22:23], s[18:19]
	s_cbranch_execz .LBB250_25
; %bb.24:
	v_lshlrev_b32_e32 v18, 3, v48
	v_add_co_u32_e64 v18, s[20:21], v78, v18
	v_addc_co_u32_e64 v19, s[20:21], 0, v79, s[20:21]
	flat_load_dwordx2 v[18:19], v[18:19]
.LBB250_25:
	s_or_b64 exec, exec, s[22:23]
	v_or_b32_e32 v50, 0x900, v0
	v_cmp_gt_u32_e64 s[20:21], s33, v50
                                        ; implicit-def: $vgpr20_vgpr21
	s_and_saveexec_b64 s[24:25], s[20:21]
	s_cbranch_execz .LBB250_27
; %bb.26:
	v_lshlrev_b32_e32 v20, 3, v50
	v_add_co_u32_e64 v20, s[22:23], v78, v20
	v_addc_co_u32_e64 v21, s[22:23], 0, v79, s[22:23]
	flat_load_dwordx2 v[20:21], v[20:21]
.LBB250_27:
	s_or_b64 exec, exec, s[24:25]
	v_or_b32_e32 v52, 0xa00, v0
	v_cmp_gt_u32_e64 s[22:23], s33, v52
                                        ; implicit-def: $vgpr22_vgpr23
	s_and_saveexec_b64 s[26:27], s[22:23]
	s_cbranch_execz .LBB250_29
; %bb.28:
	v_lshlrev_b32_e32 v22, 3, v52
	v_add_co_u32_e64 v22, s[24:25], v78, v22
	v_addc_co_u32_e64 v23, s[24:25], 0, v79, s[24:25]
	flat_load_dwordx2 v[22:23], v[22:23]
.LBB250_29:
	s_or_b64 exec, exec, s[26:27]
	v_or_b32_e32 v54, 0xb00, v0
	v_cmp_gt_u32_e64 s[24:25], s33, v54
                                        ; implicit-def: $vgpr24_vgpr25
	s_and_saveexec_b64 s[28:29], s[24:25]
	s_cbranch_execz .LBB250_31
; %bb.30:
	v_lshlrev_b32_e32 v24, 3, v54
	v_add_co_u32_e64 v24, s[26:27], v78, v24
	v_addc_co_u32_e64 v25, s[26:27], 0, v79, s[26:27]
	flat_load_dwordx2 v[24:25], v[24:25]
.LBB250_31:
	s_or_b64 exec, exec, s[28:29]
	v_or_b32_e32 v56, 0xc00, v0
	v_cmp_gt_u32_e64 s[26:27], s33, v56
                                        ; implicit-def: $vgpr26_vgpr27
	s_and_saveexec_b64 s[30:31], s[26:27]
	s_cbranch_execz .LBB250_33
; %bb.32:
	v_lshlrev_b32_e32 v26, 3, v56
	v_add_co_u32_e64 v26, s[28:29], v78, v26
	v_addc_co_u32_e64 v27, s[28:29], 0, v79, s[28:29]
	flat_load_dwordx2 v[26:27], v[26:27]
.LBB250_33:
	s_or_b64 exec, exec, s[30:31]
	v_or_b32_e32 v58, 0xd00, v0
	v_cmp_gt_u32_e64 s[28:29], s33, v58
                                        ; implicit-def: $vgpr28_vgpr29
	s_and_saveexec_b64 s[34:35], s[28:29]
	s_cbranch_execz .LBB250_35
; %bb.34:
	v_lshlrev_b32_e32 v28, 3, v58
	v_add_co_u32_e64 v28, s[30:31], v78, v28
	v_addc_co_u32_e64 v29, s[30:31], 0, v79, s[30:31]
	flat_load_dwordx2 v[28:29], v[28:29]
.LBB250_35:
	s_or_b64 exec, exec, s[34:35]
	v_or_b32_e32 v61, 0xe00, v0
	v_cmp_gt_u32_e64 s[30:31], s33, v61
                                        ; implicit-def: $vgpr30_vgpr31
	s_and_saveexec_b64 s[46:47], s[30:31]
	s_cbranch_execz .LBB250_37
; %bb.36:
	v_lshlrev_b32_e32 v30, 3, v61
	v_add_co_u32_e64 v30, s[34:35], v78, v30
	v_addc_co_u32_e64 v31, s[34:35], 0, v79, s[34:35]
	flat_load_dwordx2 v[30:31], v[30:31]
.LBB250_37:
	s_or_b64 exec, exec, s[46:47]
	v_lshlrev_b32_e32 v60, 3, v0
	s_movk_i32 s34, 0x70
	v_mad_u32_u24 v77, v0, s34, v60
	s_waitcnt vmcnt(0) lgkmcnt(0)
	ds_write2st64_b64 v60, v[2:3], v[4:5] offset1:4
	ds_write2st64_b64 v60, v[6:7], v[8:9] offset0:8 offset1:12
	ds_write2st64_b64 v60, v[10:11], v[12:13] offset0:16 offset1:20
	;; [unrolled: 1-line block ×6, first 2 shown]
	ds_write_b64 v60, v[30:31] offset:28672
	s_waitcnt lgkmcnt(0)
	s_barrier
	ds_read2_b64 v[26:29], v77 offset1:1
	ds_read2_b64 v[22:25], v77 offset0:2 offset1:3
	ds_read2_b64 v[18:21], v77 offset0:4 offset1:5
	;; [unrolled: 1-line block ×6, first 2 shown]
	ds_read_b64 v[74:75], v77 offset:112
	s_waitcnt lgkmcnt(0)
	s_barrier
	s_waitcnt lgkmcnt(0)
                                        ; implicit-def: $vgpr30_vgpr31
	s_and_saveexec_b64 s[34:35], vcc
	s_cbranch_execnz .LBB250_61
; %bb.38:
	s_or_b64 exec, exec, s[34:35]
                                        ; implicit-def: $vgpr32_vgpr33
	s_and_saveexec_b64 s[34:35], s[4:5]
	s_cbranch_execnz .LBB250_62
.LBB250_39:
	s_or_b64 exec, exec, s[34:35]
                                        ; implicit-def: $vgpr34_vgpr35
	s_and_saveexec_b64 s[4:5], s[6:7]
	s_cbranch_execnz .LBB250_63
.LBB250_40:
	s_or_b64 exec, exec, s[4:5]
                                        ; implicit-def: $vgpr36_vgpr37
	s_and_saveexec_b64 s[4:5], s[8:9]
	s_cbranch_execnz .LBB250_64
.LBB250_41:
	s_or_b64 exec, exec, s[4:5]
                                        ; implicit-def: $vgpr38_vgpr39
	s_and_saveexec_b64 s[4:5], s[10:11]
	s_cbranch_execnz .LBB250_65
.LBB250_42:
	s_or_b64 exec, exec, s[4:5]
                                        ; implicit-def: $vgpr40_vgpr41
	s_and_saveexec_b64 s[4:5], s[12:13]
	s_cbranch_execnz .LBB250_66
.LBB250_43:
	s_or_b64 exec, exec, s[4:5]
                                        ; implicit-def: $vgpr42_vgpr43
	s_and_saveexec_b64 s[4:5], s[14:15]
	s_cbranch_execnz .LBB250_67
.LBB250_44:
	s_or_b64 exec, exec, s[4:5]
                                        ; implicit-def: $vgpr44_vgpr45
	s_and_saveexec_b64 s[4:5], s[16:17]
	s_cbranch_execnz .LBB250_68
.LBB250_45:
	s_or_b64 exec, exec, s[4:5]
                                        ; implicit-def: $vgpr46_vgpr47
	s_and_saveexec_b64 s[4:5], s[18:19]
	s_cbranch_execnz .LBB250_69
.LBB250_46:
	s_or_b64 exec, exec, s[4:5]
                                        ; implicit-def: $vgpr48_vgpr49
	s_and_saveexec_b64 s[4:5], s[20:21]
	s_cbranch_execnz .LBB250_70
.LBB250_47:
	s_or_b64 exec, exec, s[4:5]
                                        ; implicit-def: $vgpr50_vgpr51
	s_and_saveexec_b64 s[4:5], s[22:23]
	s_cbranch_execnz .LBB250_71
.LBB250_48:
	s_or_b64 exec, exec, s[4:5]
                                        ; implicit-def: $vgpr52_vgpr53
	s_and_saveexec_b64 s[4:5], s[24:25]
	s_cbranch_execnz .LBB250_72
.LBB250_49:
	s_or_b64 exec, exec, s[4:5]
                                        ; implicit-def: $vgpr54_vgpr55
	s_and_saveexec_b64 s[4:5], s[26:27]
	s_cbranch_execnz .LBB250_73
.LBB250_50:
	s_or_b64 exec, exec, s[4:5]
                                        ; implicit-def: $vgpr56_vgpr57
	s_and_saveexec_b64 s[4:5], s[28:29]
	s_cbranch_execnz .LBB250_74
.LBB250_51:
	s_or_b64 exec, exec, s[4:5]
                                        ; implicit-def: $vgpr58_vgpr59
	s_and_saveexec_b64 s[4:5], s[30:31]
	s_cbranch_execz .LBB250_53
.LBB250_52:
	v_lshlrev_b32_e32 v58, 3, v61
	v_add_co_u32_e32 v58, vcc, v1, v58
	v_addc_co_u32_e32 v59, vcc, 0, v76, vcc
	flat_load_dwordx2 v[58:59], v[58:59]
.LBB250_53:
	s_or_b64 exec, exec, s[4:5]
	s_waitcnt vmcnt(0) lgkmcnt(0)
	ds_write2st64_b64 v60, v[30:31], v[32:33] offset1:4
	ds_write2st64_b64 v60, v[34:35], v[36:37] offset0:8 offset1:12
	ds_write2st64_b64 v60, v[38:39], v[40:41] offset0:16 offset1:20
	;; [unrolled: 1-line block ×6, first 2 shown]
	ds_write_b64 v60, v[58:59] offset:28672
	v_mov_b32_e32 v58, v26
	v_mov_b32_e32 v59, v27
	;; [unrolled: 1-line block ×14, first 2 shown]
	s_waitcnt lgkmcnt(0)
	s_barrier
.LBB250_54:
	ds_read2_b64 v[54:57], v77 offset1:1
	ds_read2_b64 v[50:53], v77 offset0:2 offset1:3
	ds_read2_b64 v[46:49], v77 offset0:4 offset1:5
	;; [unrolled: 1-line block ×6, first 2 shown]
	ds_read_b64 v[72:73], v77 offset:112
	s_cmp_eq_u64 s[52:53], 0
	s_cselect_b64 s[46:47], -1, 0
	s_cmp_lg_u64 s[52:53], 0
	s_mov_b64 s[6:7], 0
	s_cselect_b64 s[30:31], -1, 0
	s_and_b64 vcc, exec, s[54:55]
	s_waitcnt lgkmcnt(0)
	s_barrier
	s_cbranch_vccz .LBB250_60
; %bb.55:
	s_and_b64 vcc, exec, s[30:31]
	s_cbranch_vccz .LBB250_75
; %bb.56:
	v_add_co_u32_e32 v76, vcc, -8, v78
	v_addc_co_u32_e32 v77, vcc, -1, v79, vcc
	flat_load_dwordx2 v[76:77], v[76:77]
	v_lshlrev_b32_e32 v1, 3, v0
	v_cmp_ne_u64_e32 vcc, v[4:5], v[74:75]
	v_cmp_ne_u64_e64 s[4:5], v[2:3], v[4:5]
	v_cmp_ne_u64_e64 s[6:7], v[8:9], v[2:3]
	;; [unrolled: 1-line block ×13, first 2 shown]
	ds_write_b64 v1, v[74:75]
	s_waitcnt lgkmcnt(0)
	s_barrier
	s_and_saveexec_b64 s[34:35], s[2:3]
	s_cbranch_execz .LBB250_58
; %bb.57:
	v_add_u32_e32 v1, -8, v1
	s_waitcnt vmcnt(0)
	ds_read_b64 v[76:77], v1
.LBB250_58:
	s_or_b64 exec, exec, s[34:35]
	v_cndmask_b32_e64 v1, 0, 1, vcc
	v_cndmask_b32_e64 v100, 0, 1, s[4:5]
	v_cndmask_b32_e64 v101, 0, 1, s[6:7]
	;; [unrolled: 1-line block ×13, first 2 shown]
	s_waitcnt vmcnt(0) lgkmcnt(0)
	v_cmp_ne_u64_e64 s[4:5], v[76:77], v[26:27]
	s_mov_b64 s[6:7], -1
.LBB250_59:
                                        ; implicit-def: $sgpr12
	s_branch .LBB250_87
.LBB250_60:
                                        ; implicit-def: $sgpr4_sgpr5
                                        ; implicit-def: $vgpr1
                                        ; implicit-def: $vgpr100
                                        ; implicit-def: $vgpr101
                                        ; implicit-def: $vgpr102
                                        ; implicit-def: $vgpr103
                                        ; implicit-def: $vgpr104
                                        ; implicit-def: $vgpr105
                                        ; implicit-def: $vgpr106
                                        ; implicit-def: $vgpr107
                                        ; implicit-def: $vgpr108
                                        ; implicit-def: $vgpr109
                                        ; implicit-def: $vgpr110
                                        ; implicit-def: $vgpr111
                                        ; implicit-def: $vgpr112
                                        ; implicit-def: $sgpr12
	s_cbranch_execnz .LBB250_79
	s_branch .LBB250_87
.LBB250_61:
	v_add_co_u32_e32 v30, vcc, v1, v60
	v_addc_co_u32_e32 v31, vcc, 0, v76, vcc
	flat_load_dwordx2 v[30:31], v[30:31]
	s_or_b64 exec, exec, s[34:35]
                                        ; implicit-def: $vgpr32_vgpr33
	s_and_saveexec_b64 s[34:35], s[4:5]
	s_cbranch_execz .LBB250_39
.LBB250_62:
	v_add_co_u32_e32 v32, vcc, v1, v60
	v_addc_co_u32_e32 v33, vcc, 0, v76, vcc
	flat_load_dwordx2 v[32:33], v[32:33] offset:2048
	s_or_b64 exec, exec, s[34:35]
                                        ; implicit-def: $vgpr34_vgpr35
	s_and_saveexec_b64 s[4:5], s[6:7]
	s_cbranch_execz .LBB250_40
.LBB250_63:
	v_lshlrev_b32_e32 v34, 3, v36
	v_add_co_u32_e32 v34, vcc, v1, v34
	v_addc_co_u32_e32 v35, vcc, 0, v76, vcc
	flat_load_dwordx2 v[34:35], v[34:35]
	s_or_b64 exec, exec, s[4:5]
                                        ; implicit-def: $vgpr36_vgpr37
	s_and_saveexec_b64 s[4:5], s[8:9]
	s_cbranch_execz .LBB250_41
.LBB250_64:
	v_lshlrev_b32_e32 v36, 3, v38
	v_add_co_u32_e32 v36, vcc, v1, v36
	v_addc_co_u32_e32 v37, vcc, 0, v76, vcc
	flat_load_dwordx2 v[36:37], v[36:37]
	s_or_b64 exec, exec, s[4:5]
                                        ; implicit-def: $vgpr38_vgpr39
	s_and_saveexec_b64 s[4:5], s[10:11]
	s_cbranch_execz .LBB250_42
.LBB250_65:
	v_lshlrev_b32_e32 v38, 3, v40
	v_add_co_u32_e32 v38, vcc, v1, v38
	v_addc_co_u32_e32 v39, vcc, 0, v76, vcc
	flat_load_dwordx2 v[38:39], v[38:39]
	s_or_b64 exec, exec, s[4:5]
                                        ; implicit-def: $vgpr40_vgpr41
	s_and_saveexec_b64 s[4:5], s[12:13]
	s_cbranch_execz .LBB250_43
.LBB250_66:
	v_lshlrev_b32_e32 v40, 3, v42
	v_add_co_u32_e32 v40, vcc, v1, v40
	v_addc_co_u32_e32 v41, vcc, 0, v76, vcc
	flat_load_dwordx2 v[40:41], v[40:41]
	s_or_b64 exec, exec, s[4:5]
                                        ; implicit-def: $vgpr42_vgpr43
	s_and_saveexec_b64 s[4:5], s[14:15]
	s_cbranch_execz .LBB250_44
.LBB250_67:
	v_lshlrev_b32_e32 v42, 3, v44
	v_add_co_u32_e32 v42, vcc, v1, v42
	v_addc_co_u32_e32 v43, vcc, 0, v76, vcc
	flat_load_dwordx2 v[42:43], v[42:43]
	s_or_b64 exec, exec, s[4:5]
                                        ; implicit-def: $vgpr44_vgpr45
	s_and_saveexec_b64 s[4:5], s[16:17]
	s_cbranch_execz .LBB250_45
.LBB250_68:
	v_lshlrev_b32_e32 v44, 3, v46
	v_add_co_u32_e32 v44, vcc, v1, v44
	v_addc_co_u32_e32 v45, vcc, 0, v76, vcc
	flat_load_dwordx2 v[44:45], v[44:45]
	s_or_b64 exec, exec, s[4:5]
                                        ; implicit-def: $vgpr46_vgpr47
	s_and_saveexec_b64 s[4:5], s[18:19]
	s_cbranch_execz .LBB250_46
.LBB250_69:
	v_lshlrev_b32_e32 v46, 3, v48
	v_add_co_u32_e32 v46, vcc, v1, v46
	v_addc_co_u32_e32 v47, vcc, 0, v76, vcc
	flat_load_dwordx2 v[46:47], v[46:47]
	s_or_b64 exec, exec, s[4:5]
                                        ; implicit-def: $vgpr48_vgpr49
	s_and_saveexec_b64 s[4:5], s[20:21]
	s_cbranch_execz .LBB250_47
.LBB250_70:
	v_lshlrev_b32_e32 v48, 3, v50
	v_add_co_u32_e32 v48, vcc, v1, v48
	v_addc_co_u32_e32 v49, vcc, 0, v76, vcc
	flat_load_dwordx2 v[48:49], v[48:49]
	s_or_b64 exec, exec, s[4:5]
                                        ; implicit-def: $vgpr50_vgpr51
	s_and_saveexec_b64 s[4:5], s[22:23]
	s_cbranch_execz .LBB250_48
.LBB250_71:
	v_lshlrev_b32_e32 v50, 3, v52
	v_add_co_u32_e32 v50, vcc, v1, v50
	v_addc_co_u32_e32 v51, vcc, 0, v76, vcc
	flat_load_dwordx2 v[50:51], v[50:51]
	s_or_b64 exec, exec, s[4:5]
                                        ; implicit-def: $vgpr52_vgpr53
	s_and_saveexec_b64 s[4:5], s[24:25]
	s_cbranch_execz .LBB250_49
.LBB250_72:
	v_lshlrev_b32_e32 v52, 3, v54
	v_add_co_u32_e32 v52, vcc, v1, v52
	v_addc_co_u32_e32 v53, vcc, 0, v76, vcc
	flat_load_dwordx2 v[52:53], v[52:53]
	s_or_b64 exec, exec, s[4:5]
                                        ; implicit-def: $vgpr54_vgpr55
	s_and_saveexec_b64 s[4:5], s[26:27]
	s_cbranch_execz .LBB250_50
.LBB250_73:
	v_lshlrev_b32_e32 v54, 3, v56
	v_add_co_u32_e32 v54, vcc, v1, v54
	v_addc_co_u32_e32 v55, vcc, 0, v76, vcc
	flat_load_dwordx2 v[54:55], v[54:55]
	s_or_b64 exec, exec, s[4:5]
                                        ; implicit-def: $vgpr56_vgpr57
	s_and_saveexec_b64 s[4:5], s[28:29]
	s_cbranch_execz .LBB250_51
.LBB250_74:
	v_lshlrev_b32_e32 v56, 3, v58
	v_add_co_u32_e32 v56, vcc, v1, v56
	v_addc_co_u32_e32 v57, vcc, 0, v76, vcc
	flat_load_dwordx2 v[56:57], v[56:57]
	s_or_b64 exec, exec, s[4:5]
                                        ; implicit-def: $vgpr58_vgpr59
	s_and_saveexec_b64 s[4:5], s[30:31]
	s_cbranch_execnz .LBB250_52
	s_branch .LBB250_53
.LBB250_75:
                                        ; implicit-def: $sgpr4_sgpr5
                                        ; implicit-def: $vgpr1
                                        ; implicit-def: $vgpr100
                                        ; implicit-def: $vgpr101
                                        ; implicit-def: $vgpr102
                                        ; implicit-def: $vgpr103
                                        ; implicit-def: $vgpr104
                                        ; implicit-def: $vgpr105
                                        ; implicit-def: $vgpr106
                                        ; implicit-def: $vgpr107
                                        ; implicit-def: $vgpr108
                                        ; implicit-def: $vgpr109
                                        ; implicit-def: $vgpr110
                                        ; implicit-def: $vgpr111
                                        ; implicit-def: $vgpr112
	s_cbranch_execz .LBB250_59
; %bb.76:
	v_cmp_ne_u64_e32 vcc, v[28:29], v[58:59]
	v_cndmask_b32_e64 v112, 0, 1, vcc
	v_cmp_ne_u64_e32 vcc, v[28:29], v[60:61]
	v_cndmask_b32_e64 v111, 0, 1, vcc
	v_cmp_ne_u64_e32 vcc, v[60:61], v[24:25]
	v_cndmask_b32_e64 v110, 0, 1, vcc
	v_cmp_ne_u64_e32 vcc, v[62:63], v[24:25]
	v_cndmask_b32_e64 v109, 0, 1, vcc
	v_cmp_ne_u64_e32 vcc, v[20:21], v[62:63]
	v_cndmask_b32_e64 v108, 0, 1, vcc
	v_cmp_ne_u64_e32 vcc, v[20:21], v[64:65]
	v_cndmask_b32_e64 v107, 0, 1, vcc
	v_cmp_ne_u64_e32 vcc, v[64:65], v[16:17]
	v_cndmask_b32_e64 v106, 0, 1, vcc
	v_cmp_ne_u64_e32 vcc, v[66:67], v[16:17]
	v_cndmask_b32_e64 v105, 0, 1, vcc
	v_cmp_ne_u64_e32 vcc, v[12:13], v[66:67]
	v_cndmask_b32_e64 v104, 0, 1, vcc
	v_cmp_ne_u64_e32 vcc, v[12:13], v[68:69]
	v_cndmask_b32_e64 v103, 0, 1, vcc
	v_cmp_ne_u64_e32 vcc, v[68:69], v[8:9]
	v_cndmask_b32_e64 v102, 0, 1, vcc
	v_cmp_ne_u64_e32 vcc, v[70:71], v[8:9]
	v_cndmask_b32_e64 v101, 0, 1, vcc
	v_cmp_ne_u64_e32 vcc, v[4:5], v[70:71]
	v_cndmask_b32_e64 v100, 0, 1, vcc
	v_cmp_ne_u64_e32 vcc, v[4:5], v[74:75]
	v_lshlrev_b32_e32 v76, 3, v0
	v_cndmask_b32_e64 v1, 0, 1, vcc
	ds_write_b64 v76, v[74:75]
	s_waitcnt lgkmcnt(0)
	s_barrier
	s_waitcnt lgkmcnt(0)
                                        ; implicit-def: $sgpr4_sgpr5
	s_and_saveexec_b64 s[8:9], s[2:3]
	s_xor_b64 s[8:9], exec, s[8:9]
	s_cbranch_execz .LBB250_78
; %bb.77:
	v_add_u32_e32 v58, -8, v76
	ds_read_b64 v[58:59], v58
	s_or_b64 s[6:7], s[6:7], exec
	s_waitcnt lgkmcnt(0)
	v_cmp_ne_u64_e32 vcc, v[58:59], v[26:27]
	s_and_b64 s[4:5], vcc, exec
.LBB250_78:
	s_or_b64 exec, exec, s[8:9]
	s_mov_b32 s12, 1
	s_branch .LBB250_87
.LBB250_79:
	s_mul_hi_u32 s5, s52, 0xfffff100
	s_mul_i32 s4, s53, 0xfffff100
	s_sub_i32 s5, s5, s52
	s_add_i32 s5, s5, s4
	s_mul_i32 s4, s52, 0xfffff100
	s_add_u32 s8, s4, s48
	s_addc_u32 s9, s5, s49
	s_and_b64 vcc, exec, s[30:31]
	s_cbranch_vccz .LBB250_84
; %bb.80:
	v_add_co_u32_e32 v58, vcc, -8, v78
	v_addc_co_u32_e32 v59, vcc, -1, v79, vcc
	flat_load_dwordx2 v[58:59], v[58:59]
	v_mad_u32_u24 v62, v0, 15, 14
	v_mov_b32_e32 v63, 0
	v_cmp_gt_u64_e32 vcc, s[8:9], v[62:63]
	v_cmp_ne_u64_e64 s[4:5], v[4:5], v[74:75]
	v_mad_u32_u24 v62, v0, 15, 13
	s_and_b64 s[6:7], vcc, s[4:5]
	v_cmp_gt_u64_e32 vcc, s[8:9], v[62:63]
	v_cmp_ne_u64_e64 s[4:5], v[2:3], v[4:5]
	v_mad_u32_u24 v62, v0, 15, 12
	s_and_b64 s[10:11], vcc, s[4:5]
	;; [unrolled: 4-line block ×13, first 2 shown]
	v_cmp_gt_u64_e32 vcc, s[8:9], v[62:63]
	v_cmp_ne_u64_e64 s[4:5], v[26:27], v[28:29]
	v_lshlrev_b32_e32 v1, 3, v0
	v_mul_u32_u24_e32 v60, 15, v0
	s_and_b64 s[4:5], vcc, s[4:5]
	ds_write_b64 v1, v[74:75]
	s_waitcnt lgkmcnt(0)
	s_barrier
	s_and_saveexec_b64 s[48:49], s[2:3]
	s_cbranch_execz .LBB250_82
; %bb.81:
	v_add_u32_e32 v1, -8, v1
	s_waitcnt vmcnt(0)
	ds_read_b64 v[58:59], v1
.LBB250_82:
	s_or_b64 exec, exec, s[48:49]
	v_mov_b32_e32 v61, v63
	v_cndmask_b32_e64 v112, 0, 1, s[4:5]
	v_cmp_gt_u64_e32 vcc, s[8:9], v[60:61]
	s_waitcnt vmcnt(0) lgkmcnt(0)
	v_cmp_ne_u64_e64 s[4:5], v[58:59], v[26:27]
	v_cndmask_b32_e64 v1, 0, 1, s[6:7]
	v_cndmask_b32_e64 v100, 0, 1, s[10:11]
	;; [unrolled: 1-line block ×13, first 2 shown]
	s_and_b64 s[4:5], vcc, s[4:5]
	s_mov_b64 s[6:7], -1
.LBB250_83:
                                        ; implicit-def: $sgpr12
	v_mov_b32_e32 v113, s12
	s_and_saveexec_b64 s[2:3], s[6:7]
	s_cbranch_execnz .LBB250_88
	s_branch .LBB250_89
.LBB250_84:
                                        ; implicit-def: $sgpr4_sgpr5
                                        ; implicit-def: $vgpr1
                                        ; implicit-def: $vgpr100
                                        ; implicit-def: $vgpr101
                                        ; implicit-def: $vgpr102
                                        ; implicit-def: $vgpr103
                                        ; implicit-def: $vgpr104
                                        ; implicit-def: $vgpr105
                                        ; implicit-def: $vgpr106
                                        ; implicit-def: $vgpr107
                                        ; implicit-def: $vgpr108
                                        ; implicit-def: $vgpr109
                                        ; implicit-def: $vgpr110
                                        ; implicit-def: $vgpr111
                                        ; implicit-def: $vgpr112
	s_cbranch_execz .LBB250_83
; %bb.85:
	v_mad_u32_u24 v58, v0, 15, 14
	v_mov_b32_e32 v59, 0
	v_cmp_gt_u64_e32 vcc, s[8:9], v[58:59]
	v_cmp_ne_u64_e64 s[4:5], v[4:5], v[74:75]
	s_and_b64 s[4:5], vcc, s[4:5]
	v_mad_u32_u24 v58, v0, 15, 13
	v_cndmask_b32_e64 v1, 0, 1, s[4:5]
	v_cmp_gt_u64_e32 vcc, s[8:9], v[58:59]
	v_cmp_ne_u64_e64 s[4:5], v[2:3], v[4:5]
	s_and_b64 s[4:5], vcc, s[4:5]
	v_mad_u32_u24 v58, v0, 15, 12
	v_cndmask_b32_e64 v100, 0, 1, s[4:5]
	;; [unrolled: 5-line block ×13, first 2 shown]
	v_cmp_gt_u64_e32 vcc, s[8:9], v[58:59]
	v_cmp_ne_u64_e64 s[4:5], v[26:27], v[28:29]
	s_and_b64 s[4:5], vcc, s[4:5]
	v_lshlrev_b32_e32 v60, 3, v0
	s_mov_b32 s12, 1
	v_cndmask_b32_e64 v112, 0, 1, s[4:5]
	ds_write_b64 v60, v[74:75]
	s_waitcnt lgkmcnt(0)
	s_barrier
	s_waitcnt lgkmcnt(0)
                                        ; implicit-def: $sgpr4_sgpr5
	s_and_saveexec_b64 s[10:11], s[2:3]
	s_cbranch_execz .LBB250_228
; %bb.86:
	v_add_u32_e32 v58, -8, v60
	ds_read_b64 v[60:61], v58
	v_mul_u32_u24_e32 v58, 15, v0
	v_cmp_gt_u64_e32 vcc, s[8:9], v[58:59]
	s_or_b64 s[6:7], s[6:7], exec
	s_waitcnt lgkmcnt(0)
	v_cmp_ne_u64_e64 s[2:3], v[60:61], v[26:27]
	s_and_b64 s[2:3], vcc, s[2:3]
	s_and_b64 s[4:5], s[2:3], exec
	s_or_b64 exec, exec, s[10:11]
.LBB250_87:
	v_mov_b32_e32 v113, s12
	s_and_saveexec_b64 s[2:3], s[6:7]
.LBB250_88:
	v_cndmask_b32_e64 v113, 0, 1, s[4:5]
.LBB250_89:
	s_or_b64 exec, exec, s[2:3]
	s_cmp_eq_u64 s[42:43], 0
	v_add3_u32 v58, v112, v113, v111
	v_mov_b32_e32 v64, v54
	v_mov_b32_e32 v65, v55
	s_cselect_b64 s[30:31], -1, 0
	s_cmp_lg_u32 s56, 0
	v_cmp_eq_u32_e64 s[26:27], 0, v112
	v_cmp_eq_u32_e64 s[24:25], 0, v111
	;; [unrolled: 1-line block ×3, first 2 shown]
	v_add3_u32 v115, v58, v110, v109
	v_cmp_eq_u32_e64 s[20:21], 0, v109
	v_cmp_eq_u32_e64 s[18:19], 0, v108
	;; [unrolled: 1-line block ×10, first 2 shown]
	v_cmp_eq_u32_e32 vcc, 0, v1
	v_mbcnt_lo_u32_b32 v114, -1, 0
	s_cbranch_scc0 .LBB250_160
; %bb.90:
	v_cndmask_b32_e64 v59, 0, v54, s[26:27]
	v_cndmask_b32_e64 v58, 0, v55, s[26:27]
	v_add_co_u32_e64 v59, s[28:29], v59, v56
	v_addc_co_u32_e64 v58, s[28:29], v58, v57, s[28:29]
	v_cndmask_b32_e64 v59, 0, v59, s[24:25]
	v_cndmask_b32_e64 v58, 0, v58, s[24:25]
	v_add_co_u32_e64 v59, s[28:29], v59, v50
	v_addc_co_u32_e64 v58, s[28:29], v58, v51, s[28:29]
	;; [unrolled: 4-line block ×11, first 2 shown]
	v_cndmask_b32_e64 v59, 0, v59, s[4:5]
	v_add3_u32 v60, v115, v108, v107
	v_cndmask_b32_e64 v58, 0, v58, s[4:5]
	v_add_co_u32_e64 v59, s[28:29], v59, v30
	v_add3_u32 v60, v60, v106, v105
	v_addc_co_u32_e64 v58, s[28:29], v58, v31, s[28:29]
	v_cndmask_b32_e64 v59, 0, v59, s[2:3]
	v_add3_u32 v60, v60, v104, v103
	v_cndmask_b32_e64 v58, 0, v58, s[2:3]
	v_add_co_u32_e64 v59, s[28:29], v59, v32
	v_add3_u32 v60, v60, v102, v101
	v_addc_co_u32_e64 v58, s[28:29], v58, v33, s[28:29]
	v_cndmask_b32_e32 v59, 0, v59, vcc
	v_add3_u32 v62, v60, v100, v1
	v_cndmask_b32_e32 v58, 0, v58, vcc
	v_add_co_u32_e32 v60, vcc, v59, v72
	v_mbcnt_hi_u32_b32 v63, -1, v114
	v_addc_co_u32_e32 v61, vcc, v58, v73, vcc
	v_and_b32_e32 v58, 15, v63
	v_mov_b32_dpp v66, v62 row_shr:1 row_mask:0xf bank_mask:0xf
	v_mov_b32_dpp v59, v60 row_shr:1 row_mask:0xf bank_mask:0xf
	;; [unrolled: 1-line block ×3, first 2 shown]
	v_cmp_ne_u32_e32 vcc, 0, v58
	s_and_saveexec_b64 s[28:29], vcc
; %bb.91:
	v_cmp_eq_u32_e32 vcc, 0, v62
	v_cndmask_b32_e32 v59, 0, v59, vcc
	v_add_u32_e32 v66, v66, v62
	v_cndmask_b32_e32 v62, 0, v67, vcc
	v_add_co_u32_e32 v60, vcc, v59, v60
	v_addc_co_u32_e32 v61, vcc, v62, v61, vcc
	v_mov_b32_e32 v62, v66
; %bb.92:
	s_or_b64 exec, exec, s[28:29]
	s_nop 0
	v_mov_b32_dpp v66, v62 row_shr:2 row_mask:0xf bank_mask:0xf
	v_mov_b32_dpp v59, v60 row_shr:2 row_mask:0xf bank_mask:0xf
	v_mov_b32_dpp v67, v61 row_shr:2 row_mask:0xf bank_mask:0xf
	v_cmp_lt_u32_e32 vcc, 1, v58
	s_and_saveexec_b64 s[28:29], vcc
; %bb.93:
	v_cmp_eq_u32_e32 vcc, 0, v62
	v_cndmask_b32_e32 v59, 0, v59, vcc
	v_add_u32_e32 v66, v66, v62
	v_cndmask_b32_e32 v62, 0, v67, vcc
	v_add_co_u32_e32 v60, vcc, v59, v60
	v_addc_co_u32_e32 v61, vcc, v62, v61, vcc
	v_mov_b32_e32 v62, v66
; %bb.94:
	s_or_b64 exec, exec, s[28:29]
	s_nop 0
	v_mov_b32_dpp v66, v62 row_shr:4 row_mask:0xf bank_mask:0xf
	v_mov_b32_dpp v59, v60 row_shr:4 row_mask:0xf bank_mask:0xf
	v_mov_b32_dpp v67, v61 row_shr:4 row_mask:0xf bank_mask:0xf
	v_cmp_lt_u32_e32 vcc, 3, v58
	;; [unrolled: 16-line block ×3, first 2 shown]
	s_and_saveexec_b64 s[28:29], vcc
; %bb.97:
	v_cmp_eq_u32_e32 vcc, 0, v62
	v_cndmask_b32_e32 v59, 0, v59, vcc
	v_add_u32_e32 v58, v66, v62
	v_cndmask_b32_e32 v62, 0, v67, vcc
	v_add_co_u32_e32 v60, vcc, v59, v60
	v_addc_co_u32_e32 v61, vcc, v62, v61, vcc
	v_mov_b32_e32 v62, v58
; %bb.98:
	s_or_b64 exec, exec, s[28:29]
	v_and_b32_e32 v67, 16, v63
	v_mov_b32_dpp v59, v62 row_bcast:15 row_mask:0xf bank_mask:0xf
	v_mov_b32_dpp v58, v60 row_bcast:15 row_mask:0xf bank_mask:0xf
	;; [unrolled: 1-line block ×3, first 2 shown]
	v_cmp_ne_u32_e32 vcc, 0, v67
	s_and_saveexec_b64 s[28:29], vcc
; %bb.99:
	v_cmp_eq_u32_e32 vcc, 0, v62
	v_cndmask_b32_e32 v58, 0, v58, vcc
	v_add_u32_e32 v59, v59, v62
	v_cndmask_b32_e32 v62, 0, v66, vcc
	v_add_co_u32_e32 v60, vcc, v58, v60
	v_addc_co_u32_e32 v61, vcc, v62, v61, vcc
	v_mov_b32_e32 v62, v59
; %bb.100:
	s_or_b64 exec, exec, s[28:29]
	s_nop 0
	v_mov_b32_dpp v59, v62 row_bcast:31 row_mask:0xf bank_mask:0xf
	v_mov_b32_dpp v58, v60 row_bcast:31 row_mask:0xf bank_mask:0xf
	;; [unrolled: 1-line block ×3, first 2 shown]
	v_cmp_lt_u32_e32 vcc, 31, v63
	s_and_saveexec_b64 s[28:29], vcc
; %bb.101:
	v_cmp_eq_u32_e32 vcc, 0, v62
	v_cndmask_b32_e32 v58, 0, v58, vcc
	v_add_u32_e32 v59, v59, v62
	v_cndmask_b32_e32 v62, 0, v66, vcc
	v_add_co_u32_e32 v60, vcc, v58, v60
	v_addc_co_u32_e32 v61, vcc, v62, v61, vcc
	v_mov_b32_e32 v62, v59
; %bb.102:
	s_or_b64 exec, exec, s[28:29]
	v_lshrrev_b32_e32 v58, 6, v0
	v_or_b32_e32 v59, 63, v0
	v_cmp_eq_u32_e32 vcc, v59, v0
	v_lshlrev_b32_e32 v66, 4, v58
	s_and_saveexec_b64 s[28:29], vcc
	s_cbranch_execz .LBB250_104
; %bb.103:
	ds_write_b32 v66, v62 offset:4128
	ds_write_b64 v66, v[60:61] offset:4136
.LBB250_104:
	s_or_b64 exec, exec, s[28:29]
	v_cmp_gt_u32_e32 vcc, 4, v0
	s_waitcnt lgkmcnt(0)
	s_barrier
	s_and_saveexec_b64 s[28:29], vcc
	s_cbranch_execz .LBB250_110
; %bb.105:
	v_lshlrev_b32_e32 v67, 4, v0
	ds_read_b32 v68, v67 offset:4128
	ds_read_b64 v[58:59], v67 offset:4136
	v_and_b32_e32 v69, 3, v63
	v_cmp_ne_u32_e32 vcc, 0, v69
	s_waitcnt lgkmcnt(1)
	v_mov_b32_dpp v71, v68 row_shr:1 row_mask:0xf bank_mask:0xf
	s_waitcnt lgkmcnt(0)
	v_mov_b32_dpp v70, v58 row_shr:1 row_mask:0xf bank_mask:0xf
	v_mov_b32_dpp v76, v59 row_shr:1 row_mask:0xf bank_mask:0xf
	s_and_saveexec_b64 s[34:35], vcc
; %bb.106:
	v_cmp_eq_u32_e32 vcc, 0, v68
	v_cndmask_b32_e32 v70, 0, v70, vcc
	v_add_u32_e32 v71, v71, v68
	v_cndmask_b32_e32 v68, 0, v76, vcc
	v_add_co_u32_e32 v58, vcc, v70, v58
	v_addc_co_u32_e32 v59, vcc, v68, v59, vcc
	v_mov_b32_e32 v68, v71
; %bb.107:
	s_or_b64 exec, exec, s[34:35]
	s_nop 0
	v_mov_b32_dpp v71, v68 row_shr:2 row_mask:0xf bank_mask:0xf
	v_mov_b32_dpp v70, v58 row_shr:2 row_mask:0xf bank_mask:0xf
	;; [unrolled: 1-line block ×3, first 2 shown]
	v_cmp_lt_u32_e32 vcc, 1, v69
	s_and_saveexec_b64 s[34:35], vcc
; %bb.108:
	v_cmp_eq_u32_e32 vcc, 0, v68
	v_cndmask_b32_e32 v70, 0, v70, vcc
	v_add_u32_e32 v69, v71, v68
	v_cndmask_b32_e32 v68, 0, v76, vcc
	v_add_co_u32_e32 v58, vcc, v70, v58
	v_addc_co_u32_e32 v59, vcc, v68, v59, vcc
	v_mov_b32_e32 v68, v69
; %bb.109:
	s_or_b64 exec, exec, s[34:35]
	ds_write_b32 v67, v68 offset:4128
	ds_write_b64 v67, v[58:59] offset:4136
.LBB250_110:
	s_or_b64 exec, exec, s[28:29]
	v_cmp_gt_u32_e32 vcc, 64, v0
	v_cmp_lt_u32_e64 s[28:29], 63, v0
	v_pk_mov_b32 v[58:59], 0, 0
	v_mov_b32_e32 v76, 0
	s_waitcnt lgkmcnt(0)
	s_barrier
	s_and_saveexec_b64 s[34:35], s[28:29]
	s_cbranch_execz .LBB250_112
; %bb.111:
	ds_read_b32 v76, v66 offset:4112
	ds_read_b64 v[58:59], v66 offset:4120
	v_cmp_eq_u32_e64 s[28:29], 0, v62
	s_waitcnt lgkmcnt(1)
	v_add_u32_e32 v66, v76, v62
	s_waitcnt lgkmcnt(0)
	v_cndmask_b32_e64 v67, 0, v58, s[28:29]
	v_cndmask_b32_e64 v62, 0, v59, s[28:29]
	v_add_co_u32_e64 v60, s[28:29], v67, v60
	v_addc_co_u32_e64 v61, s[28:29], v62, v61, s[28:29]
	v_mov_b32_e32 v62, v66
.LBB250_112:
	s_or_b64 exec, exec, s[34:35]
	v_add_u32_e32 v66, -1, v63
	v_and_b32_e32 v67, 64, v63
	v_cmp_lt_i32_e64 s[28:29], v66, v67
	v_cndmask_b32_e64 v66, v66, v63, s[28:29]
	v_lshlrev_b32_e32 v66, 2, v66
	ds_bpermute_b32 v77, v66, v62
	ds_bpermute_b32 v78, v66, v60
	;; [unrolled: 1-line block ×3, first 2 shown]
	v_cmp_eq_u32_e64 s[28:29], 0, v63
	s_and_saveexec_b64 s[34:35], vcc
	s_cbranch_execz .LBB250_159
; %bb.113:
	v_mov_b32_e32 v67, 0
	ds_read_b32 v80, v67 offset:4176
	ds_read_b64 v[60:61], v67 offset:4184
	s_and_saveexec_b64 s[42:43], s[28:29]
	s_cbranch_execz .LBB250_115
; %bb.114:
	s_add_i32 s48, s56, 64
	s_mov_b32 s49, 0
	s_lshl_b64 s[52:53], s[48:49], 4
	s_add_u32 s52, s36, s52
	s_addc_u32 s53, s37, s53
	v_mov_b32_e32 v62, s48
	v_mov_b32_e32 v66, 1
	s_waitcnt lgkmcnt(1)
	global_store_dword v67, v80, s[52:53]
	s_waitcnt lgkmcnt(0)
	global_store_dwordx2 v67, v[60:61], s[52:53] offset:8
	s_waitcnt vmcnt(0)
	buffer_wbinvl1_vol
	global_store_byte v62, v66, s[40:41]
.LBB250_115:
	s_or_b64 exec, exec, s[42:43]
	v_xad_u32 v62, v63, -1, s56
	v_add_u32_e32 v66, 64, v62
	global_load_ubyte v81, v66, s[40:41] glc
	s_waitcnt vmcnt(0)
	v_cmp_eq_u16_e32 vcc, 0, v81
	s_and_saveexec_b64 s[42:43], vcc
	s_cbranch_execz .LBB250_121
; %bb.116:
	v_mov_b32_e32 v69, s41
	v_add_co_u32_e32 v68, vcc, s40, v66
	v_addc_co_u32_e32 v69, vcc, 0, v69, vcc
	s_mov_b32 s52, 1
	s_mov_b64 s[48:49], 0
.LBB250_117:                            ; =>This Loop Header: Depth=1
                                        ;     Child Loop BB250_118 Depth 2
	s_max_u32 s53, s52, 1
.LBB250_118:                            ;   Parent Loop BB250_117 Depth=1
                                        ; =>  This Inner Loop Header: Depth=2
	s_add_i32 s53, s53, -1
	s_cmp_eq_u32 s53, 0
	s_sleep 1
	s_cbranch_scc0 .LBB250_118
; %bb.119:                              ;   in Loop: Header=BB250_117 Depth=1
	global_load_ubyte v81, v[68:69], off glc
	s_cmp_lt_u32 s52, 32
	s_cselect_b64 s[54:55], -1, 0
	s_cmp_lg_u64 s[54:55], 0
	s_addc_u32 s52, s52, 0
	s_waitcnt vmcnt(0)
	v_cmp_ne_u16_e32 vcc, 0, v81
	s_or_b64 s[48:49], vcc, s[48:49]
	s_andn2_b64 exec, exec, s[48:49]
	s_cbranch_execnz .LBB250_117
; %bb.120:
	s_or_b64 exec, exec, s[48:49]
.LBB250_121:
	s_or_b64 exec, exec, s[42:43]
	v_mov_b32_e32 v68, s39
	v_mov_b32_e32 v69, s37
	v_cmp_eq_u16_e32 vcc, 1, v81
	v_cndmask_b32_e32 v68, v68, v69, vcc
	v_mov_b32_e32 v69, s38
	v_mov_b32_e32 v70, s36
	v_cndmask_b32_e32 v69, v69, v70, vcc
	v_lshlrev_b64 v[66:67], 4, v[66:67]
	v_add_co_u32_e32 v66, vcc, v69, v66
	v_addc_co_u32_e32 v67, vcc, v68, v67, vcc
	s_waitcnt lgkmcnt(0)
	buffer_wbinvl1_vol
	global_load_dword v96, v[66:67], off
	global_load_dwordx2 v[70:71], v[66:67], off offset:8
	v_cmp_eq_u16_e32 vcc, 2, v81
	v_lshlrev_b64 v[66:67], v63, -1
	v_and_b32_e32 v82, 63, v63
	v_and_b32_e32 v68, vcc_hi, v67
	v_and_b32_e32 v86, vcc_lo, v66
	v_cmp_ne_u32_e32 vcc, 63, v82
	v_addc_co_u32_e32 v69, vcc, 0, v63, vcc
	v_lshlrev_b32_e32 v83, 2, v69
	v_or_b32_e32 v68, 0x80000000, v68
	v_ffbl_b32_e32 v68, v68
	v_add_u32_e32 v68, 32, v68
	v_ffbl_b32_e32 v86, v86
	v_min_u32_e32 v68, v86, v68
	v_cmp_lt_u32_e32 vcc, v82, v68
	s_waitcnt vmcnt(1)
	ds_bpermute_b32 v84, v83, v96
	s_waitcnt vmcnt(0)
	ds_bpermute_b32 v69, v83, v70
	ds_bpermute_b32 v85, v83, v71
	s_and_saveexec_b64 s[42:43], vcc
	s_cbranch_execz .LBB250_123
; %bb.122:
	v_cmp_eq_u32_e32 vcc, 0, v96
	s_waitcnt lgkmcnt(1)
	v_cndmask_b32_e32 v69, 0, v69, vcc
	v_add_u32_e32 v84, v84, v96
	s_waitcnt lgkmcnt(0)
	v_cndmask_b32_e32 v85, 0, v85, vcc
	v_add_co_u32_e32 v70, vcc, v69, v70
	v_addc_co_u32_e32 v71, vcc, v85, v71, vcc
	v_mov_b32_e32 v96, v84
.LBB250_123:
	s_or_b64 exec, exec, s[42:43]
	v_cmp_gt_u32_e32 vcc, 62, v82
	s_waitcnt lgkmcnt(1)
	v_cndmask_b32_e64 v69, 0, 1, vcc
	v_lshlrev_b32_e32 v69, 1, v69
	v_add_lshl_u32 v84, v69, v63, 2
	ds_bpermute_b32 v86, v84, v96
	ds_bpermute_b32 v69, v84, v70
	ds_bpermute_b32 v87, v84, v71
	s_waitcnt lgkmcnt(3)
	v_add_u32_e32 v85, 2, v82
	v_cmp_le_u32_e32 vcc, v85, v68
	s_and_saveexec_b64 s[42:43], vcc
	s_cbranch_execz .LBB250_125
; %bb.124:
	v_cmp_eq_u32_e32 vcc, 0, v96
	s_waitcnt lgkmcnt(1)
	v_cndmask_b32_e32 v69, 0, v69, vcc
	v_add_u32_e32 v86, v86, v96
	s_waitcnt lgkmcnt(0)
	v_cndmask_b32_e32 v87, 0, v87, vcc
	v_add_co_u32_e32 v70, vcc, v69, v70
	v_addc_co_u32_e32 v71, vcc, v87, v71, vcc
	v_mov_b32_e32 v96, v86
.LBB250_125:
	s_or_b64 exec, exec, s[42:43]
	v_cmp_gt_u32_e32 vcc, 60, v82
	s_waitcnt lgkmcnt(1)
	v_cndmask_b32_e64 v69, 0, 1, vcc
	v_lshlrev_b32_e32 v69, 2, v69
	v_add_lshl_u32 v86, v69, v63, 2
	ds_bpermute_b32 v88, v86, v96
	ds_bpermute_b32 v69, v86, v70
	ds_bpermute_b32 v89, v86, v71
	s_waitcnt lgkmcnt(3)
	v_add_u32_e32 v87, 4, v82
	v_cmp_le_u32_e32 vcc, v87, v68
	;; [unrolled: 25-line block ×4, first 2 shown]
	s_and_saveexec_b64 s[42:43], vcc
	s_cbranch_execz .LBB250_131
; %bb.130:
	v_cmp_eq_u32_e32 vcc, 0, v96
	s_waitcnt lgkmcnt(1)
	v_cndmask_b32_e32 v69, 0, v69, vcc
	v_add_u32_e32 v92, v92, v96
	s_waitcnt lgkmcnt(0)
	v_cndmask_b32_e32 v93, 0, v93, vcc
	v_add_co_u32_e32 v70, vcc, v69, v70
	v_addc_co_u32_e32 v71, vcc, v93, v71, vcc
	v_mov_b32_e32 v96, v92
.LBB250_131:
	s_or_b64 exec, exec, s[42:43]
	v_cmp_gt_u32_e32 vcc, 32, v82
	s_waitcnt lgkmcnt(1)
	v_cndmask_b32_e64 v69, 0, 1, vcc
	v_lshlrev_b32_e32 v69, 5, v69
	v_add_lshl_u32 v92, v69, v63, 2
	ds_bpermute_b32 v69, v92, v96
	ds_bpermute_b32 v63, v92, v70
	s_waitcnt lgkmcnt(2)
	ds_bpermute_b32 v93, v92, v71
	v_add_u32_e32 v94, 32, v82
	v_cmp_le_u32_e32 vcc, v94, v68
	s_and_saveexec_b64 s[42:43], vcc
	s_cbranch_execz .LBB250_133
; %bb.132:
	v_cmp_eq_u32_e32 vcc, 0, v96
	s_waitcnt lgkmcnt(1)
	v_cndmask_b32_e32 v63, 0, v63, vcc
	v_add_u32_e32 v68, v69, v96
	s_waitcnt lgkmcnt(0)
	v_cndmask_b32_e32 v69, 0, v93, vcc
	v_add_co_u32_e32 v70, vcc, v63, v70
	v_addc_co_u32_e32 v71, vcc, v69, v71, vcc
	v_mov_b32_e32 v96, v68
.LBB250_133:
	s_or_b64 exec, exec, s[42:43]
	s_waitcnt lgkmcnt(1)
	v_mov_b32_e32 v63, 0
	v_mov_b32_e32 v95, 2
	s_branch .LBB250_135
.LBB250_134:                            ;   in Loop: Header=BB250_135 Depth=1
	s_or_b64 exec, exec, s[42:43]
	v_cmp_eq_u32_e32 vcc, 0, v93
	v_cndmask_b32_e32 v70, 0, v70, vcc
	v_cndmask_b32_e32 v71, 0, v71, vcc
	v_add_co_u32_e32 v70, vcc, v70, v68
	v_subrev_u32_e32 v62, 64, v62
	v_add_u32_e32 v96, v97, v93
	v_addc_co_u32_e32 v71, vcc, v71, v69, vcc
.LBB250_135:                            ; =>This Loop Header: Depth=1
                                        ;     Child Loop BB250_138 Depth 2
                                        ;       Child Loop BB250_139 Depth 3
	v_cmp_ne_u16_sdwa s[42:43], v81, v95 src0_sel:BYTE_0 src1_sel:DWORD
	v_pk_mov_b32 v[68:69], v[70:71], v[70:71] op_sel:[0,1]
	v_cndmask_b32_e64 v70, 0, 1, s[42:43]
	;;#ASMSTART
	;;#ASMEND
	v_cmp_ne_u32_e32 vcc, 0, v70
	s_cmp_lg_u64 vcc, exec
	s_waitcnt lgkmcnt(0)
	v_mov_b32_e32 v93, v96
	s_cbranch_scc1 .LBB250_154
; %bb.136:                              ;   in Loop: Header=BB250_135 Depth=1
	global_load_ubyte v81, v62, s[40:41] glc
	s_waitcnt vmcnt(0)
	v_cmp_eq_u16_e32 vcc, 0, v81
	s_and_saveexec_b64 s[42:43], vcc
	s_cbranch_execz .LBB250_142
; %bb.137:                              ;   in Loop: Header=BB250_135 Depth=1
	v_mov_b32_e32 v71, s41
	v_add_co_u32_e32 v70, vcc, s40, v62
	v_addc_co_u32_e32 v71, vcc, 0, v71, vcc
	s_mov_b32 s52, 1
	s_mov_b64 s[48:49], 0
.LBB250_138:                            ;   Parent Loop BB250_135 Depth=1
                                        ; =>  This Loop Header: Depth=2
                                        ;       Child Loop BB250_139 Depth 3
	s_max_u32 s53, s52, 1
.LBB250_139:                            ;   Parent Loop BB250_135 Depth=1
                                        ;     Parent Loop BB250_138 Depth=2
                                        ; =>    This Inner Loop Header: Depth=3
	s_add_i32 s53, s53, -1
	s_cmp_eq_u32 s53, 0
	s_sleep 1
	s_cbranch_scc0 .LBB250_139
; %bb.140:                              ;   in Loop: Header=BB250_138 Depth=2
	global_load_ubyte v81, v[70:71], off glc
	s_cmp_lt_u32 s52, 32
	s_cselect_b64 s[54:55], -1, 0
	s_cmp_lg_u64 s[54:55], 0
	s_addc_u32 s52, s52, 0
	s_waitcnt vmcnt(0)
	v_cmp_ne_u16_e32 vcc, 0, v81
	s_or_b64 s[48:49], vcc, s[48:49]
	s_andn2_b64 exec, exec, s[48:49]
	s_cbranch_execnz .LBB250_138
; %bb.141:                              ;   in Loop: Header=BB250_135 Depth=1
	s_or_b64 exec, exec, s[48:49]
.LBB250_142:                            ;   in Loop: Header=BB250_135 Depth=1
	s_or_b64 exec, exec, s[42:43]
	v_mov_b32_e32 v70, s39
	v_mov_b32_e32 v71, s37
	v_cmp_eq_u16_e32 vcc, 1, v81
	v_cndmask_b32_e32 v96, v70, v71, vcc
	v_mov_b32_e32 v70, s38
	v_mov_b32_e32 v71, s36
	v_cndmask_b32_e32 v97, v70, v71, vcc
	v_lshlrev_b64 v[70:71], 4, v[62:63]
	v_add_co_u32_e32 v70, vcc, v97, v70
	v_addc_co_u32_e32 v71, vcc, v96, v71, vcc
	buffer_wbinvl1_vol
	global_load_dword v97, v[70:71], off
	s_nop 0
	global_load_dwordx2 v[70:71], v[70:71], off offset:8
	v_cmp_eq_u16_e32 vcc, 2, v81
	v_and_b32_e32 v96, vcc_hi, v67
	v_or_b32_e32 v96, 0x80000000, v96
	v_and_b32_e32 v117, vcc_lo, v66
	v_ffbl_b32_e32 v96, v96
	v_add_u32_e32 v96, 32, v96
	v_ffbl_b32_e32 v117, v117
	v_min_u32_e32 v96, v117, v96
	v_cmp_lt_u32_e32 vcc, v82, v96
	s_waitcnt vmcnt(1)
	ds_bpermute_b32 v99, v83, v97
	s_waitcnt vmcnt(0)
	ds_bpermute_b32 v98, v83, v70
	ds_bpermute_b32 v116, v83, v71
	s_and_saveexec_b64 s[42:43], vcc
	s_cbranch_execz .LBB250_144
; %bb.143:                              ;   in Loop: Header=BB250_135 Depth=1
	v_cmp_eq_u32_e32 vcc, 0, v97
	s_waitcnt lgkmcnt(1)
	v_cndmask_b32_e32 v98, 0, v98, vcc
	v_add_u32_e32 v99, v99, v97
	s_waitcnt lgkmcnt(0)
	v_cndmask_b32_e32 v97, 0, v116, vcc
	v_add_co_u32_e32 v70, vcc, v98, v70
	v_addc_co_u32_e32 v71, vcc, v97, v71, vcc
	v_mov_b32_e32 v97, v99
.LBB250_144:                            ;   in Loop: Header=BB250_135 Depth=1
	s_or_b64 exec, exec, s[42:43]
	s_waitcnt lgkmcnt(2)
	ds_bpermute_b32 v99, v84, v97
	s_waitcnt lgkmcnt(2)
	ds_bpermute_b32 v98, v84, v70
	s_waitcnt lgkmcnt(2)
	ds_bpermute_b32 v116, v84, v71
	v_cmp_le_u32_e32 vcc, v85, v96
	s_and_saveexec_b64 s[42:43], vcc
	s_cbranch_execz .LBB250_146
; %bb.145:                              ;   in Loop: Header=BB250_135 Depth=1
	v_cmp_eq_u32_e32 vcc, 0, v97
	s_waitcnt lgkmcnt(1)
	v_cndmask_b32_e32 v98, 0, v98, vcc
	v_add_u32_e32 v99, v99, v97
	s_waitcnt lgkmcnt(0)
	v_cndmask_b32_e32 v97, 0, v116, vcc
	v_add_co_u32_e32 v70, vcc, v98, v70
	v_addc_co_u32_e32 v71, vcc, v97, v71, vcc
	v_mov_b32_e32 v97, v99
.LBB250_146:                            ;   in Loop: Header=BB250_135 Depth=1
	s_or_b64 exec, exec, s[42:43]
	s_waitcnt lgkmcnt(2)
	ds_bpermute_b32 v99, v86, v97
	s_waitcnt lgkmcnt(2)
	ds_bpermute_b32 v98, v86, v70
	s_waitcnt lgkmcnt(2)
	ds_bpermute_b32 v116, v86, v71
	v_cmp_le_u32_e32 vcc, v87, v96
	;; [unrolled: 21-line block ×5, first 2 shown]
	s_and_saveexec_b64 s[42:43], vcc
	s_cbranch_execz .LBB250_134
; %bb.153:                              ;   in Loop: Header=BB250_135 Depth=1
	v_cmp_eq_u32_e32 vcc, 0, v97
	s_waitcnt lgkmcnt(1)
	v_cndmask_b32_e32 v98, 0, v98, vcc
	v_add_u32_e32 v96, v99, v97
	s_waitcnt lgkmcnt(0)
	v_cndmask_b32_e32 v97, 0, v116, vcc
	v_add_co_u32_e32 v70, vcc, v98, v70
	v_addc_co_u32_e32 v71, vcc, v97, v71, vcc
	v_mov_b32_e32 v97, v96
	s_branch .LBB250_134
.LBB250_154:                            ;   in Loop: Header=BB250_135 Depth=1
                                        ; implicit-def: $vgpr70_vgpr71
                                        ; implicit-def: $vgpr96
                                        ; implicit-def: $vgpr81
	s_cbranch_execz .LBB250_135
; %bb.155:
	s_and_saveexec_b64 s[36:37], s[28:29]
	s_cbranch_execz .LBB250_157
; %bb.156:
	s_mov_b32 s43, 0
	v_cmp_eq_u32_e32 vcc, 0, v80
	s_add_i32 s42, s56, 64
	v_cndmask_b32_e32 v62, 0, v68, vcc
	s_lshl_b64 s[48:49], s[42:43], 4
	v_cndmask_b32_e32 v63, 0, v69, vcc
	v_add_co_u32_e32 v62, vcc, v62, v60
	s_add_u32 s48, s38, s48
	v_add_u32_e32 v66, v93, v80
	v_addc_co_u32_e32 v63, vcc, v63, v61, vcc
	s_addc_u32 s49, s39, s49
	v_mov_b32_e32 v67, 0
	global_store_dword v67, v66, s[48:49]
	global_store_dwordx2 v67, v[62:63], s[48:49] offset:8
	v_mov_b32_e32 v62, s42
	v_mov_b32_e32 v63, 2
	s_waitcnt vmcnt(0) lgkmcnt(0)
	buffer_wbinvl1_vol
	global_store_byte v62, v63, s[40:41]
	ds_write_b32 v67, v80 offset:4096
	ds_write_b64 v67, v[60:61] offset:4104
	ds_write_b32 v67, v93 offset:4112
	ds_write_b64 v67, v[68:69] offset:4120
.LBB250_157:
	s_or_b64 exec, exec, s[36:37]
	s_and_b64 exec, exec, s[0:1]
	s_cbranch_execz .LBB250_159
; %bb.158:
	v_mov_b32_e32 v60, 0
	ds_write_b32 v60, v93 offset:4176
	ds_write_b64 v60, v[68:69] offset:4184
.LBB250_159:
	s_or_b64 exec, exec, s[34:35]
	v_mov_b32_e32 v63, 0
	s_waitcnt lgkmcnt(0)
	s_barrier
	ds_read_b32 v62, v63 offset:4176
	ds_read_b64 v[60:61], v63 offset:4184
	v_cndmask_b32_e64 v66, v77, v76, s[28:29]
	v_cmp_eq_u32_e32 vcc, 0, v66
	v_cndmask_b32_e64 v58, v78, v58, s[28:29]
	v_cndmask_b32_e64 v59, v79, v59, s[28:29]
	s_waitcnt lgkmcnt(0)
	v_cndmask_b32_e32 v68, 0, v60, vcc
	v_cndmask_b32_e32 v67, 0, v61, vcc
	v_add_co_u32_e32 v58, vcc, v68, v58
	v_addc_co_u32_e32 v67, vcc, v67, v59, vcc
	v_cndmask_b32_e64 v94, v58, v60, s[0:1]
	v_cmp_eq_u32_e32 vcc, 0, v113
	v_cndmask_b32_e64 v95, v67, v61, s[0:1]
	v_cndmask_b32_e32 v60, 0, v94, vcc
	v_cndmask_b32_e64 v59, v66, 0, s[0:1]
	v_cndmask_b32_e32 v58, 0, v95, vcc
	v_add_co_u32_e32 v66, vcc, v60, v54
	v_addc_co_u32_e32 v67, vcc, v58, v55, vcc
	v_cndmask_b32_e64 v60, 0, v66, s[26:27]
	v_cndmask_b32_e64 v58, 0, v67, s[26:27]
	v_add_co_u32_e32 v68, vcc, v60, v56
	v_addc_co_u32_e32 v69, vcc, v58, v57, vcc
	v_cndmask_b32_e64 v60, 0, v68, s[24:25]
	v_cndmask_b32_e64 v58, 0, v69, s[24:25]
	;; [unrolled: 4-line block ×11, first 2 shown]
	v_add_co_u32_e32 v92, vcc, v60, v36
	v_add_u32_e32 v59, v62, v59
	v_addc_co_u32_e32 v93, vcc, v58, v37, vcc
	s_barrier
	ds_read_b32 v58, v63 offset:4096
	ds_read_b64 v[60:61], v63 offset:4104
	ds_read_b32 v62, v63 offset:4112
	ds_read_b64 v[116:117], v63 offset:4120
	v_cndmask_b32_e64 v96, 0, v92, s[4:5]
	v_cndmask_b32_e64 v97, 0, v93, s[4:5]
	v_add_co_u32_e32 v96, vcc, v96, v30
	v_addc_co_u32_e32 v97, vcc, v97, v31, vcc
	s_waitcnt lgkmcnt(3)
	v_cmp_eq_u32_e32 vcc, 0, v58
	s_waitcnt lgkmcnt(0)
	v_cndmask_b32_e32 v116, 0, v116, vcc
	v_cndmask_b32_e32 v63, 0, v117, vcc
	v_add_co_u32_e32 v60, vcc, v116, v60
	v_cndmask_b32_e64 v99, 0, v97, s[2:3]
	v_cndmask_b32_e64 v98, 0, v96, s[2:3]
	v_addc_co_u32_e32 v61, vcc, v63, v61, vcc
	s_branch .LBB250_188
.LBB250_160:
                                        ; implicit-def: $vgpr58
                                        ; implicit-def: $vgpr60_vgpr61
                                        ; implicit-def: $vgpr62
                                        ; implicit-def: $vgpr94_vgpr95
                                        ; implicit-def: $vgpr66_vgpr67
                                        ; implicit-def: $vgpr68_vgpr69
                                        ; implicit-def: $vgpr70_vgpr71
                                        ; implicit-def: $vgpr76_vgpr77
                                        ; implicit-def: $vgpr78_vgpr79
                                        ; implicit-def: $vgpr80_vgpr81
                                        ; implicit-def: $vgpr82_vgpr83
                                        ; implicit-def: $vgpr84_vgpr85
                                        ; implicit-def: $vgpr86_vgpr87
                                        ; implicit-def: $vgpr88_vgpr89
                                        ; implicit-def: $vgpr90_vgpr91
                                        ; implicit-def: $vgpr92_vgpr93
                                        ; implicit-def: $vgpr96_vgpr97
                                        ; implicit-def: $vgpr98_vgpr99
                                        ; implicit-def: $vgpr59
	s_cbranch_execz .LBB250_188
; %bb.161:
	s_and_b64 s[2:3], s[30:31], exec
	s_cselect_b32 s3, 0, s65
	s_cselect_b32 s2, 0, s64
	s_cmp_eq_u64 s[2:3], 0
	s_cbranch_scc1 .LBB250_163
; %bb.162:
	v_mov_b32_e32 v58, 0
	global_load_dwordx2 v[64:65], v58, s[2:3]
.LBB250_163:
	v_cmp_eq_u32_e64 s[24:25], 0, v112
	v_cndmask_b32_e64 v59, 0, v54, s[24:25]
	v_cndmask_b32_e64 v58, 0, v55, s[24:25]
	v_add_co_u32_e32 v59, vcc, v59, v56
	v_cmp_eq_u32_e64 s[22:23], 0, v111
	v_addc_co_u32_e32 v58, vcc, v58, v57, vcc
	v_cndmask_b32_e64 v59, 0, v59, s[22:23]
	v_cndmask_b32_e64 v58, 0, v58, s[22:23]
	v_add_co_u32_e32 v59, vcc, v59, v50
	v_cmp_eq_u32_e64 s[20:21], 0, v110
	v_addc_co_u32_e32 v58, vcc, v58, v51, vcc
	;; [unrolled: 5-line block ×11, first 2 shown]
	v_cndmask_b32_e64 v59, 0, v59, s[4:5]
	v_cndmask_b32_e64 v58, 0, v58, s[4:5]
	v_add_co_u32_e32 v59, vcc, v59, v30
	v_addc_co_u32_e32 v58, vcc, v58, v31, vcc
	v_cmp_eq_u32_e32 vcc, 0, v100
	v_add3_u32 v60, v115, v108, v107
	v_cndmask_b32_e32 v59, 0, v59, vcc
	v_add3_u32 v60, v60, v106, v105
	v_cndmask_b32_e32 v58, 0, v58, vcc
	v_add_co_u32_e64 v59, s[26:27], v59, v32
	v_add3_u32 v60, v60, v104, v103
	v_addc_co_u32_e64 v58, s[26:27], v58, v33, s[26:27]
	v_add3_u32 v60, v60, v102, v101
	v_cmp_eq_u32_e64 s[26:27], 0, v1
	v_add3_u32 v63, v60, v100, v1
	v_cndmask_b32_e64 v60, 0, v58, s[26:27]
	v_cndmask_b32_e64 v58, 0, v59, s[26:27]
	v_add_co_u32_e64 v58, s[26:27], v58, v72
	v_mbcnt_hi_u32_b32 v62, -1, v114
	v_addc_co_u32_e64 v59, s[26:27], v60, v73, s[26:27]
	v_and_b32_e32 v60, 15, v62
	v_mov_b32_dpp v66, v63 row_shr:1 row_mask:0xf bank_mask:0xf
	v_mov_b32_dpp v61, v58 row_shr:1 row_mask:0xf bank_mask:0xf
	;; [unrolled: 1-line block ×3, first 2 shown]
	v_cmp_ne_u32_e64 s[26:27], 0, v60
	s_and_saveexec_b64 s[28:29], s[26:27]
; %bb.164:
	v_cmp_eq_u32_e64 s[26:27], 0, v63
	v_cndmask_b32_e64 v61, 0, v61, s[26:27]
	v_add_u32_e32 v66, v66, v63
	v_cndmask_b32_e64 v63, 0, v67, s[26:27]
	v_add_co_u32_e64 v58, s[26:27], v61, v58
	v_addc_co_u32_e64 v59, s[26:27], v63, v59, s[26:27]
	v_mov_b32_e32 v63, v66
; %bb.165:
	s_or_b64 exec, exec, s[28:29]
	s_nop 0
	v_mov_b32_dpp v66, v63 row_shr:2 row_mask:0xf bank_mask:0xf
	v_mov_b32_dpp v61, v58 row_shr:2 row_mask:0xf bank_mask:0xf
	v_mov_b32_dpp v67, v59 row_shr:2 row_mask:0xf bank_mask:0xf
	v_cmp_lt_u32_e64 s[26:27], 1, v60
	s_and_saveexec_b64 s[28:29], s[26:27]
; %bb.166:
	v_cmp_eq_u32_e64 s[26:27], 0, v63
	v_cndmask_b32_e64 v61, 0, v61, s[26:27]
	v_add_u32_e32 v66, v66, v63
	v_cndmask_b32_e64 v63, 0, v67, s[26:27]
	v_add_co_u32_e64 v58, s[26:27], v61, v58
	v_addc_co_u32_e64 v59, s[26:27], v63, v59, s[26:27]
	v_mov_b32_e32 v63, v66
; %bb.167:
	s_or_b64 exec, exec, s[28:29]
	s_nop 0
	v_mov_b32_dpp v66, v63 row_shr:4 row_mask:0xf bank_mask:0xf
	v_mov_b32_dpp v61, v58 row_shr:4 row_mask:0xf bank_mask:0xf
	v_mov_b32_dpp v67, v59 row_shr:4 row_mask:0xf bank_mask:0xf
	v_cmp_lt_u32_e64 s[26:27], 3, v60
	;; [unrolled: 16-line block ×3, first 2 shown]
	s_and_saveexec_b64 s[28:29], s[26:27]
; %bb.170:
	v_cmp_eq_u32_e64 s[26:27], 0, v63
	v_cndmask_b32_e64 v61, 0, v61, s[26:27]
	v_add_u32_e32 v60, v66, v63
	v_cndmask_b32_e64 v63, 0, v67, s[26:27]
	v_add_co_u32_e64 v58, s[26:27], v61, v58
	v_addc_co_u32_e64 v59, s[26:27], v63, v59, s[26:27]
	v_mov_b32_e32 v63, v60
; %bb.171:
	s_or_b64 exec, exec, s[28:29]
	v_and_b32_e32 v67, 16, v62
	v_mov_b32_dpp v61, v63 row_bcast:15 row_mask:0xf bank_mask:0xf
	v_mov_b32_dpp v60, v58 row_bcast:15 row_mask:0xf bank_mask:0xf
	;; [unrolled: 1-line block ×3, first 2 shown]
	v_cmp_ne_u32_e64 s[26:27], 0, v67
	s_and_saveexec_b64 s[28:29], s[26:27]
; %bb.172:
	v_cmp_eq_u32_e64 s[26:27], 0, v63
	v_cndmask_b32_e64 v60, 0, v60, s[26:27]
	v_add_u32_e32 v61, v61, v63
	v_cndmask_b32_e64 v63, 0, v66, s[26:27]
	v_add_co_u32_e64 v58, s[26:27], v60, v58
	v_addc_co_u32_e64 v59, s[26:27], v63, v59, s[26:27]
	v_mov_b32_e32 v63, v61
; %bb.173:
	s_or_b64 exec, exec, s[28:29]
	s_nop 0
	v_mov_b32_dpp v61, v63 row_bcast:31 row_mask:0xf bank_mask:0xf
	v_mov_b32_dpp v60, v58 row_bcast:31 row_mask:0xf bank_mask:0xf
	v_mov_b32_dpp v66, v59 row_bcast:31 row_mask:0xf bank_mask:0xf
	v_cmp_lt_u32_e64 s[26:27], 31, v62
	s_and_saveexec_b64 s[28:29], s[26:27]
; %bb.174:
	v_cmp_eq_u32_e64 s[26:27], 0, v63
	v_cndmask_b32_e64 v60, 0, v60, s[26:27]
	v_add_u32_e32 v61, v61, v63
	v_cndmask_b32_e64 v63, 0, v66, s[26:27]
	v_add_co_u32_e64 v58, s[26:27], v60, v58
	v_addc_co_u32_e64 v59, s[26:27], v63, v59, s[26:27]
	v_mov_b32_e32 v63, v61
; %bb.175:
	s_or_b64 exec, exec, s[28:29]
	v_or_b32_e32 v60, 63, v0
	v_lshrrev_b32_e32 v66, 6, v0
	v_cmp_eq_u32_e64 s[26:27], v60, v0
	s_and_saveexec_b64 s[28:29], s[26:27]
	s_cbranch_execz .LBB250_177
; %bb.176:
	v_lshlrev_b32_e32 v60, 4, v66
	ds_write_b32 v60, v63 offset:4128
	ds_write_b64 v60, v[58:59] offset:4136
.LBB250_177:
	s_or_b64 exec, exec, s[28:29]
	v_cmp_gt_u32_e64 s[26:27], 4, v0
	s_waitcnt lgkmcnt(0)
	s_barrier
	s_and_saveexec_b64 s[28:29], s[26:27]
	s_cbranch_execz .LBB250_183
; %bb.178:
	v_lshlrev_b32_e32 v67, 4, v0
	ds_read_b32 v68, v67 offset:4128
	ds_read_b64 v[60:61], v67 offset:4136
	v_and_b32_e32 v69, 3, v62
	v_cmp_ne_u32_e64 s[26:27], 0, v69
	s_waitcnt lgkmcnt(1)
	v_mov_b32_dpp v71, v68 row_shr:1 row_mask:0xf bank_mask:0xf
	s_waitcnt lgkmcnt(0)
	v_mov_b32_dpp v70, v60 row_shr:1 row_mask:0xf bank_mask:0xf
	v_mov_b32_dpp v72, v61 row_shr:1 row_mask:0xf bank_mask:0xf
	s_and_saveexec_b64 s[34:35], s[26:27]
; %bb.179:
	v_cmp_eq_u32_e64 s[26:27], 0, v68
	v_cndmask_b32_e64 v70, 0, v70, s[26:27]
	v_add_u32_e32 v71, v71, v68
	v_cndmask_b32_e64 v68, 0, v72, s[26:27]
	v_add_co_u32_e64 v60, s[26:27], v70, v60
	v_addc_co_u32_e64 v61, s[26:27], v68, v61, s[26:27]
	v_mov_b32_e32 v68, v71
; %bb.180:
	s_or_b64 exec, exec, s[34:35]
	s_nop 0
	v_mov_b32_dpp v71, v68 row_shr:2 row_mask:0xf bank_mask:0xf
	v_mov_b32_dpp v70, v60 row_shr:2 row_mask:0xf bank_mask:0xf
	;; [unrolled: 1-line block ×3, first 2 shown]
	v_cmp_lt_u32_e64 s[26:27], 1, v69
	s_and_saveexec_b64 s[34:35], s[26:27]
; %bb.181:
	v_cmp_eq_u32_e64 s[26:27], 0, v68
	v_cndmask_b32_e64 v70, 0, v70, s[26:27]
	v_add_u32_e32 v69, v71, v68
	v_cndmask_b32_e64 v68, 0, v72, s[26:27]
	v_add_co_u32_e64 v60, s[26:27], v70, v60
	v_addc_co_u32_e64 v61, s[26:27], v68, v61, s[26:27]
	v_mov_b32_e32 v68, v69
; %bb.182:
	s_or_b64 exec, exec, s[34:35]
	ds_write_b32 v67, v68 offset:4128
	ds_write_b64 v67, v[60:61] offset:4136
.LBB250_183:
	s_or_b64 exec, exec, s[28:29]
	v_cmp_lt_u32_e64 s[26:27], 63, v0
	v_mov_b32_e32 v72, 0
	v_mov_b32_e32 v67, 0
	s_waitcnt vmcnt(0)
	v_pk_mov_b32 v[60:61], v[64:65], v[64:65] op_sel:[0,1]
	s_waitcnt lgkmcnt(0)
	s_barrier
	s_and_saveexec_b64 s[28:29], s[26:27]
	s_cbranch_execz .LBB250_185
; %bb.184:
	v_lshlrev_b32_e32 v60, 4, v66
	ds_read_b32 v67, v60 offset:4112
	ds_read_b64 v[60:61], v60 offset:4120
	s_waitcnt lgkmcnt(1)
	v_cmp_eq_u32_e64 s[26:27], 0, v67
	v_cndmask_b32_e64 v68, 0, v64, s[26:27]
	v_cndmask_b32_e64 v66, 0, v65, s[26:27]
	s_waitcnt lgkmcnt(0)
	v_add_co_u32_e64 v60, s[26:27], v68, v60
	v_addc_co_u32_e64 v61, s[26:27], v66, v61, s[26:27]
.LBB250_185:
	s_or_b64 exec, exec, s[28:29]
	v_cmp_eq_u32_e64 s[26:27], 0, v63
	v_cndmask_b32_e64 v68, 0, v60, s[26:27]
	v_add_u32_e32 v66, v67, v63
	v_cndmask_b32_e64 v63, 0, v61, s[26:27]
	v_add_co_u32_e64 v58, s[26:27], v68, v58
	v_addc_co_u32_e64 v59, s[26:27], v63, v59, s[26:27]
	v_add_u32_e32 v63, -1, v62
	v_and_b32_e32 v68, 64, v62
	v_cmp_lt_i32_e64 s[26:27], v63, v68
	v_cndmask_b32_e64 v63, v63, v62, s[26:27]
	v_lshlrev_b32_e32 v63, 2, v63
	ds_bpermute_b32 v58, v63, v58
	ds_bpermute_b32 v66, v63, v66
	;; [unrolled: 1-line block ×3, first 2 shown]
	v_cmp_eq_u32_e64 s[26:27], 0, v62
	s_waitcnt lgkmcnt(2)
	v_cndmask_b32_e64 v94, v58, v60, s[26:27]
	s_waitcnt lgkmcnt(1)
	v_cndmask_b32_e64 v59, v66, v67, s[26:27]
	;; [unrolled: 2-line block ×3, first 2 shown]
	v_cndmask_b32_e64 v58, v94, v64, s[0:1]
	v_cmp_eq_u32_e64 s[26:27], 0, v113
	v_cndmask_b32_e64 v60, v95, v65, s[0:1]
	v_cndmask_b32_e64 v58, 0, v58, s[26:27]
	v_cndmask_b32_e64 v60, 0, v60, s[26:27]
	v_add_co_u32_e64 v66, s[26:27], v58, v54
	v_addc_co_u32_e64 v67, s[26:27], v60, v55, s[26:27]
	v_cndmask_b32_e64 v55, 0, v66, s[24:25]
	v_cndmask_b32_e64 v54, 0, v67, s[24:25]
	v_add_co_u32_e64 v68, s[24:25], v55, v56
	v_addc_co_u32_e64 v69, s[24:25], v54, v57, s[24:25]
	v_cndmask_b32_e64 v55, 0, v68, s[22:23]
	v_cndmask_b32_e64 v54, 0, v69, s[22:23]
	;; [unrolled: 4-line block ×11, first 2 shown]
	v_add_co_u32_e64 v92, s[2:3], v35, v36
	v_addc_co_u32_e64 v93, s[2:3], v34, v37, s[2:3]
	v_cndmask_b32_e64 v35, 0, v92, s[4:5]
	ds_read_b32 v58, v72 offset:4176
	v_cndmask_b32_e64 v34, 0, v93, s[4:5]
	v_add_co_u32_e64 v96, s[2:3], v35, v30
	v_addc_co_u32_e64 v97, s[2:3], v34, v31, s[2:3]
	ds_read_b64 v[30:31], v72 offset:4184
	v_cndmask_b32_e32 v99, 0, v97, vcc
	v_cndmask_b32_e32 v98, 0, v96, vcc
	s_waitcnt lgkmcnt(1)
	v_cmp_eq_u32_e32 vcc, 0, v58
	v_cndmask_b32_e32 v35, 0, v64, vcc
	v_cndmask_b32_e32 v34, 0, v65, vcc
	s_waitcnt lgkmcnt(0)
	v_add_co_u32_e32 v60, vcc, v35, v30
	v_addc_co_u32_e32 v61, vcc, v34, v31, vcc
	s_and_saveexec_b64 s[2:3], s[0:1]
	s_cbranch_execz .LBB250_187
; %bb.186:
	v_mov_b32_e32 v59, 0
	v_mov_b32_e32 v30, 2
	v_pk_mov_b32 v[94:95], v[64:65], v[64:65] op_sel:[0,1]
	global_store_dword v59, v58, s[38:39] offset:1024
	global_store_dwordx2 v59, v[60:61], s[38:39] offset:1032
	s_waitcnt vmcnt(0)
	buffer_wbinvl1_vol
	global_store_byte v59, v30, s[40:41] offset:64
.LBB250_187:
	s_or_b64 exec, exec, s[2:3]
	v_mov_b32_e32 v62, 0
.LBB250_188:
	s_and_b64 s[2:3], s[30:31], exec
	s_cselect_b32 s3, 0, s51
	s_cselect_b32 s2, 0, s50
	s_cmp_eq_u64 s[2:3], 0
	v_pk_mov_b32 v[30:31], 0, 0
	s_barrier
	s_cbranch_scc1 .LBB250_190
; %bb.189:
	v_mov_b32_e32 v30, 0
	global_load_dwordx2 v[30:31], v30, s[2:3]
.LBB250_190:
	s_waitcnt vmcnt(0)
	v_lshlrev_b64 v[34:35], 3, v[30:31]
	v_mov_b32_e32 v36, s59
	v_add_co_u32_e32 v52, vcc, s58, v34
	v_mov_b32_e32 v63, 0
	v_addc_co_u32_e32 v53, vcc, v36, v35, vcc
	v_lshlrev_b64 v[36:37], 3, v[62:63]
	v_add_co_u32_e32 v52, vcc, v52, v36
	v_addc_co_u32_e32 v53, vcc, v53, v37, vcc
	v_cmp_eq_u32_e32 vcc, 0, v113
	v_cndmask_b32_e64 v54, 1, 2, vcc
	v_cmp_eq_u32_e32 vcc, 0, v112
	v_cndmask_b32_e64 v55, 1, 2, vcc
	v_cmp_eq_u32_e32 vcc, 0, v111
	v_and_b32_e32 v54, v55, v54
	v_cndmask_b32_e64 v55, 1, 2, vcc
	v_cmp_eq_u32_e32 vcc, 0, v110
	v_add_u32_e32 v51, v59, v113
	v_and_b32_e32 v54, v54, v55
	v_cndmask_b32_e64 v55, 1, 2, vcc
	v_cmp_eq_u32_e32 vcc, 0, v109
	v_add_u32_e32 v50, v51, v112
	;; [unrolled: 4-line block ×12, first 2 shown]
	v_and_b32_e32 v54, v54, v55
	v_cndmask_b32_e64 v55, 1, 2, vcc
	s_movk_i32 s34, 0x100
	v_add_u32_e32 v39, v40, v101
	v_and_b32_e32 v54, v54, v55
	v_cmp_gt_u32_e32 vcc, s34, v58
	v_add_u32_e32 v38, v39, v100
	v_cmp_ne_u32_e64 s[30:31], 0, v113
	v_cmp_ne_u32_e64 s[28:29], 0, v112
	;; [unrolled: 1-line block ×15, first 2 shown]
	s_mov_b64 s[36:37], -1
	v_cmp_gt_i16_e64 s[34:35], 2, v54
	s_cbranch_vccz .LBB250_197
; %bb.191:
	s_and_saveexec_b64 s[36:37], s[34:35]
	s_cbranch_execz .LBB250_196
; %bb.192:
	v_cmp_ne_u16_e32 vcc, 1, v54
	s_mov_b64 s[38:39], 0
	s_and_saveexec_b64 s[34:35], vcc
	s_xor_b64 s[34:35], exec, s[34:35]
	s_cbranch_execnz .LBB250_229
; %bb.193:
	s_andn2_saveexec_b64 s[34:35], s[34:35]
	s_cbranch_execnz .LBB250_245
.LBB250_194:
	s_or_b64 exec, exec, s[34:35]
	s_and_b64 exec, exec, s[38:39]
	s_cbranch_execz .LBB250_196
.LBB250_195:
	v_sub_u32_e32 v56, v38, v62
	v_mov_b32_e32 v57, 0
	v_lshlrev_b64 v[56:57], 3, v[56:57]
	v_add_co_u32_e32 v56, vcc, v52, v56
	v_addc_co_u32_e32 v57, vcc, v53, v57, vcc
	global_store_dwordx2 v[56:57], v[74:75], off
.LBB250_196:
	s_or_b64 exec, exec, s[36:37]
	s_mov_b64 s[36:37], 0
.LBB250_197:
	s_and_b64 vcc, exec, s[36:37]
	s_cbranch_vccz .LBB250_207
; %bb.198:
	v_cmp_gt_i16_e32 vcc, 2, v54
	s_and_saveexec_b64 s[34:35], vcc
	s_cbranch_execz .LBB250_203
; %bb.199:
	v_cmp_ne_u16_e32 vcc, 1, v54
	s_mov_b64 s[38:39], 0
	s_and_saveexec_b64 s[36:37], vcc
	s_xor_b64 s[36:37], exec, s[36:37]
	s_cbranch_execnz .LBB250_246
; %bb.200:
	s_andn2_saveexec_b64 s[2:3], s[36:37]
	s_cbranch_execnz .LBB250_262
.LBB250_201:
	s_or_b64 exec, exec, s[2:3]
	s_and_b64 exec, exec, s[38:39]
	s_cbranch_execz .LBB250_203
.LBB250_202:
	v_sub_u32_e32 v2, v38, v62
	v_lshlrev_b32_e32 v2, 3, v2
	ds_write_b64 v2, v[74:75]
.LBB250_203:
	s_or_b64 exec, exec, s[34:35]
	v_cmp_lt_u32_e32 vcc, v0, v58
	s_waitcnt lgkmcnt(0)
	s_barrier
	s_and_saveexec_b64 s[2:3], vcc
	s_cbranch_execz .LBB250_206
; %bb.204:
	v_lshlrev_b32_e32 v4, 3, v0
	s_mov_b64 s[4:5], 0
	v_mov_b32_e32 v3, 0
	v_mov_b32_e32 v2, v0
.LBB250_205:                            ; =>This Inner Loop Header: Depth=1
	v_lshlrev_b64 v[6:7], 3, v[2:3]
	ds_read_b64 v[8:9], v4
	v_add_co_u32_e32 v6, vcc, v52, v6
	v_add_u32_e32 v2, 0x100, v2
	v_addc_co_u32_e32 v7, vcc, v53, v7, vcc
	v_cmp_ge_u32_e32 vcc, v2, v58
	v_add_u32_e32 v4, 0x800, v4
	s_or_b64 s[4:5], vcc, s[4:5]
	s_waitcnt lgkmcnt(0)
	global_store_dwordx2 v[6:7], v[8:9], off
	s_andn2_b64 exec, exec, s[4:5]
	s_cbranch_execnz .LBB250_205
.LBB250_206:
	s_or_b64 exec, exec, s[2:3]
.LBB250_207:
	s_cmpk_lg_i32 s33, 0xf00
	s_cselect_b64 s[2:3], -1, 0
	v_cndmask_b32_e64 v8, 0, 1, s[46:47]
	s_and_b64 s[2:3], s[2:3], s[44:45]
	v_sub_u32_e32 v4, v58, v8
	v_cndmask_b32_e64 v5, 0, 1, s[2:3]
	s_and_b64 s[0:1], s[0:1], s[46:47]
	v_add_co_u32_e32 v2, vcc, v98, v32
	v_add_u32_e32 v4, v4, v5
	v_cndmask_b32_e64 v5, v113, 0, s[0:1]
	s_mul_hi_u32 s0, s33, 0x88888889
	v_addc_co_u32_e32 v3, vcc, v99, v33, vcc
	s_lshr_b32 s0, s0, 3
	v_mad_i32_i24 v6, v0, -15, s33
	v_cmp_eq_u32_e32 vcc, s0, v0
	v_cmp_ne_u32_e64 s[0:1], 0, v6
	v_cndmask_b32_e64 v7, 1, v5, s[0:1]
	v_cmp_ne_u32_e64 s[0:1], 1, v6
	v_cndmask_b32_e64 v9, 1, v112, s[0:1]
	;; [unrolled: 2-line block ×15, first 2 shown]
	s_and_b64 vcc, vcc, s[44:45]
	v_cndmask_b32_e32 v22, v1, v6, vcc
	v_cndmask_b32_e32 v21, v100, v21, vcc
	;; [unrolled: 1-line block ×15, first 2 shown]
	v_mov_b32_e32 v1, s61
	v_add_co_u32_e32 v5, vcc, s60, v34
	v_addc_co_u32_e32 v6, vcc, v1, v35, vcc
	v_add_co_u32_e32 v1, vcc, v5, v36
	v_addc_co_u32_e32 v5, vcc, v6, v37, vcc
	v_lshlrev_b32_e32 v6, 3, v8
	v_add_co_u32_e32 v6, vcc, v6, v1
	v_addc_co_u32_e32 v7, vcc, 0, v5, vcc
	v_add_co_u32_e32 v6, vcc, -8, v6
	v_addc_co_u32_e32 v7, vcc, -1, v7, vcc
	v_cmp_eq_u32_e32 vcc, 0, v23
	v_cmp_ne_u32_e64 s[28:29], 0, v23
	v_cndmask_b32_e64 v23, 1, 2, vcc
	v_cmp_eq_u32_e32 vcc, 0, v9
	v_cmp_ne_u32_e64 s[26:27], 0, v9
	v_cndmask_b32_e64 v9, 1, 2, vcc
	v_cmp_eq_u32_e32 vcc, 0, v10
	v_and_b32_e32 v9, v9, v23
	v_cmp_ne_u32_e64 s[24:25], 0, v10
	v_cndmask_b32_e64 v10, 1, 2, vcc
	v_cmp_eq_u32_e32 vcc, 0, v11
	v_and_b32_e32 v9, v9, v10
	v_cndmask_b32_e64 v10, 1, 2, vcc
	v_cmp_eq_u32_e32 vcc, 0, v12
	v_and_b32_e32 v9, v9, v10
	v_cndmask_b32_e64 v10, 1, 2, vcc
	v_cmp_eq_u32_e32 vcc, 0, v13
	v_and_b32_e32 v9, v9, v10
	v_cndmask_b32_e64 v10, 1, 2, vcc
	v_cmp_eq_u32_e32 vcc, 0, v14
	v_and_b32_e32 v9, v9, v10
	v_cndmask_b32_e64 v10, 1, 2, vcc
	v_cmp_eq_u32_e32 vcc, 0, v15
	v_and_b32_e32 v9, v9, v10
	v_cndmask_b32_e64 v10, 1, 2, vcc
	v_cmp_eq_u32_e32 vcc, 0, v16
	v_and_b32_e32 v9, v9, v10
	v_cndmask_b32_e64 v10, 1, 2, vcc
	v_cmp_eq_u32_e32 vcc, 0, v17
	v_and_b32_e32 v9, v9, v10
	v_cndmask_b32_e64 v10, 1, 2, vcc
	v_cmp_eq_u32_e32 vcc, 0, v18
	v_and_b32_e32 v9, v9, v10
	v_cndmask_b32_e64 v10, 1, 2, vcc
	v_cmp_eq_u32_e32 vcc, 0, v19
	v_and_b32_e32 v9, v9, v10
	v_cndmask_b32_e64 v10, 1, 2, vcc
	v_cmp_eq_u32_e32 vcc, 0, v20
	v_and_b32_e32 v9, v9, v10
	v_cndmask_b32_e64 v10, 1, 2, vcc
	v_cmp_eq_u32_e32 vcc, 0, v21
	v_and_b32_e32 v9, v9, v10
	v_cndmask_b32_e64 v10, 1, 2, vcc
	v_cmp_eq_u32_e32 vcc, 0, v22
	v_and_b32_e32 v9, v9, v10
	v_cndmask_b32_e64 v10, 1, 2, vcc
	s_movk_i32 s30, 0x100
	v_and_b32_e32 v9, v9, v10
	v_cmp_gt_u32_e32 vcc, s30, v4
	v_add_u32_e32 v8, v62, v8
	v_cmp_ne_u32_e64 s[22:23], 0, v11
	v_cmp_ne_u32_e64 s[20:21], 0, v12
	;; [unrolled: 1-line block ×12, first 2 shown]
	s_mov_b64 s[34:35], -1
	v_cmp_gt_i16_e64 s[30:31], 2, v9
	s_barrier
	s_cbranch_vccz .LBB250_214
; %bb.208:
	s_and_saveexec_b64 s[34:35], s[30:31]
	s_cbranch_execz .LBB250_213
; %bb.209:
	v_cmp_ne_u16_e32 vcc, 1, v9
	s_mov_b64 s[36:37], 0
	s_and_saveexec_b64 s[30:31], vcc
	s_xor_b64 s[30:31], exec, s[30:31]
	s_cbranch_execnz .LBB250_263
; %bb.210:
	s_andn2_saveexec_b64 s[30:31], s[30:31]
	s_cbranch_execnz .LBB250_279
.LBB250_211:
	s_or_b64 exec, exec, s[30:31]
	s_and_b64 exec, exec, s[36:37]
	s_cbranch_execz .LBB250_213
.LBB250_212:
	v_sub_u32_e32 v10, v38, v8
	v_mov_b32_e32 v11, 0
	v_lshlrev_b64 v[10:11], 3, v[10:11]
	v_add_co_u32_e32 v10, vcc, v6, v10
	v_addc_co_u32_e32 v11, vcc, v7, v11, vcc
	global_store_dwordx2 v[10:11], v[2:3], off
.LBB250_213:
	s_or_b64 exec, exec, s[34:35]
	s_mov_b64 s[34:35], 0
.LBB250_214:
	s_and_b64 vcc, exec, s[34:35]
	s_cbranch_vccz .LBB250_224
; %bb.215:
	v_cmp_gt_i16_e32 vcc, 2, v9
	s_and_saveexec_b64 s[30:31], vcc
	s_cbranch_execz .LBB250_220
; %bb.216:
	v_cmp_ne_u16_e32 vcc, 1, v9
	s_mov_b64 s[36:37], 0
	s_and_saveexec_b64 s[34:35], vcc
	s_xor_b64 s[34:35], exec, s[34:35]
	s_cbranch_execnz .LBB250_280
; %bb.217:
	s_andn2_saveexec_b64 s[0:1], s[34:35]
	s_cbranch_execnz .LBB250_296
.LBB250_218:
	s_or_b64 exec, exec, s[0:1]
	s_and_b64 exec, exec, s[36:37]
	s_cbranch_execz .LBB250_220
.LBB250_219:
	v_sub_u32_e32 v8, v38, v8
	v_lshlrev_b32_e32 v8, 3, v8
	ds_write_b64 v8, v[2:3]
.LBB250_220:
	s_or_b64 exec, exec, s[30:31]
	v_cmp_lt_u32_e32 vcc, v0, v4
	s_waitcnt lgkmcnt(0)
	s_barrier
	s_and_saveexec_b64 s[0:1], vcc
	s_cbranch_execz .LBB250_223
; %bb.221:
	v_lshlrev_b32_e32 v8, 3, v0
	s_mov_b64 s[2:3], 0
	v_mov_b32_e32 v3, 0
	v_mov_b32_e32 v2, v0
.LBB250_222:                            ; =>This Inner Loop Header: Depth=1
	v_lshlrev_b64 v[10:11], 3, v[2:3]
	ds_read_b64 v[12:13], v8
	v_add_co_u32_e32 v10, vcc, v6, v10
	v_add_u32_e32 v2, 0x100, v2
	v_addc_co_u32_e32 v11, vcc, v7, v11, vcc
	v_cmp_ge_u32_e32 vcc, v2, v4
	v_add_u32_e32 v8, 0x800, v8
	s_or_b64 s[2:3], vcc, s[2:3]
	s_waitcnt lgkmcnt(0)
	global_store_dwordx2 v[10:11], v[12:13], off
	s_andn2_b64 exec, exec, s[2:3]
	s_cbranch_execnz .LBB250_222
.LBB250_223:
	s_or_b64 exec, exec, s[0:1]
.LBB250_224:
	s_movk_i32 s0, 0xff
	v_cmp_eq_u32_e32 vcc, s0, v0
	s_and_b64 s[0:1], vcc, s[44:45]
	s_and_saveexec_b64 s[2:3], s[0:1]
	s_cbranch_execz .LBB250_227
; %bb.225:
	v_add_co_u32_e32 v0, vcc, v58, v62
	v_addc_co_u32_e64 v3, s[0:1], 0, 0, vcc
	v_add_co_u32_e32 v2, vcc, v0, v30
	v_mov_b32_e32 v59, 0
	v_addc_co_u32_e32 v3, vcc, v3, v31, vcc
	s_cmpk_lg_i32 s33, 0xf00
	global_store_dwordx2 v59, v[2:3], s[62:63]
	s_cbranch_scc1 .LBB250_227
; %bb.226:
	v_lshlrev_b64 v[2:3], 3, v[58:59]
	v_add_co_u32_e32 v0, vcc, v1, v2
	v_addc_co_u32_e32 v1, vcc, v5, v3, vcc
	global_store_dwordx2 v[0:1], v[60:61], off offset:-8
.LBB250_227:
	s_endpgm
.LBB250_228:
	s_or_b64 exec, exec, s[10:11]
	v_mov_b32_e32 v113, s12
	s_and_saveexec_b64 s[2:3], s[6:7]
	s_cbranch_execnz .LBB250_88
	s_branch .LBB250_89
.LBB250_229:
	s_and_saveexec_b64 s[38:39], s[30:31]
	s_cbranch_execnz .LBB250_297
; %bb.230:
	s_or_b64 exec, exec, s[38:39]
	s_and_saveexec_b64 s[38:39], s[28:29]
	s_cbranch_execnz .LBB250_298
.LBB250_231:
	s_or_b64 exec, exec, s[38:39]
	s_and_saveexec_b64 s[38:39], s[26:27]
	s_cbranch_execnz .LBB250_299
.LBB250_232:
	s_or_b64 exec, exec, s[38:39]
	s_and_saveexec_b64 s[38:39], s[24:25]
	s_cbranch_execnz .LBB250_300
.LBB250_233:
	s_or_b64 exec, exec, s[38:39]
	s_and_saveexec_b64 s[38:39], s[22:23]
	s_cbranch_execnz .LBB250_301
.LBB250_234:
	s_or_b64 exec, exec, s[38:39]
	s_and_saveexec_b64 s[38:39], s[20:21]
	s_cbranch_execnz .LBB250_302
.LBB250_235:
	s_or_b64 exec, exec, s[38:39]
	s_and_saveexec_b64 s[38:39], s[18:19]
	s_cbranch_execnz .LBB250_303
.LBB250_236:
	s_or_b64 exec, exec, s[38:39]
	s_and_saveexec_b64 s[38:39], s[16:17]
	s_cbranch_execnz .LBB250_304
.LBB250_237:
	s_or_b64 exec, exec, s[38:39]
	s_and_saveexec_b64 s[38:39], s[14:15]
	s_cbranch_execnz .LBB250_305
.LBB250_238:
	s_or_b64 exec, exec, s[38:39]
	s_and_saveexec_b64 s[38:39], s[12:13]
	s_cbranch_execnz .LBB250_306
.LBB250_239:
	s_or_b64 exec, exec, s[38:39]
	s_and_saveexec_b64 s[38:39], s[10:11]
	s_cbranch_execnz .LBB250_307
.LBB250_240:
	s_or_b64 exec, exec, s[38:39]
	s_and_saveexec_b64 s[38:39], s[8:9]
	s_cbranch_execnz .LBB250_308
.LBB250_241:
	s_or_b64 exec, exec, s[38:39]
	s_and_saveexec_b64 s[38:39], s[6:7]
	s_cbranch_execnz .LBB250_309
.LBB250_242:
	s_or_b64 exec, exec, s[38:39]
	s_and_saveexec_b64 s[38:39], s[4:5]
	s_cbranch_execz .LBB250_244
.LBB250_243:
	v_sub_u32_e32 v56, v39, v62
	v_mov_b32_e32 v57, 0
	v_lshlrev_b64 v[56:57], 3, v[56:57]
	v_add_co_u32_e32 v56, vcc, v52, v56
	v_addc_co_u32_e32 v57, vcc, v53, v57, vcc
	global_store_dwordx2 v[56:57], v[4:5], off
.LBB250_244:
	s_or_b64 exec, exec, s[38:39]
	s_and_b64 s[38:39], s[2:3], exec
	s_andn2_saveexec_b64 s[34:35], s[34:35]
	s_cbranch_execz .LBB250_194
.LBB250_245:
	v_sub_u32_e32 v56, v59, v62
	v_mov_b32_e32 v57, 0
	v_lshlrev_b64 v[64:65], 3, v[56:57]
	v_add_co_u32_e32 v64, vcc, v52, v64
	v_addc_co_u32_e32 v65, vcc, v53, v65, vcc
	v_sub_u32_e32 v56, v51, v62
	global_store_dwordx2 v[64:65], v[26:27], off
	v_lshlrev_b64 v[64:65], 3, v[56:57]
	v_add_co_u32_e32 v64, vcc, v52, v64
	v_addc_co_u32_e32 v65, vcc, v53, v65, vcc
	v_sub_u32_e32 v56, v50, v62
	global_store_dwordx2 v[64:65], v[28:29], off
	;; [unrolled: 5-line block ×12, first 2 shown]
	v_lshlrev_b64 v[64:65], 3, v[56:57]
	v_add_co_u32_e32 v64, vcc, v52, v64
	v_sub_u32_e32 v56, v39, v62
	v_addc_co_u32_e32 v65, vcc, v53, v65, vcc
	v_lshlrev_b64 v[56:57], 3, v[56:57]
	v_add_co_u32_e32 v56, vcc, v52, v56
	v_addc_co_u32_e32 v57, vcc, v53, v57, vcc
	s_or_b64 s[38:39], s[38:39], exec
	global_store_dwordx2 v[64:65], v[2:3], off
	global_store_dwordx2 v[56:57], v[4:5], off
	s_or_b64 exec, exec, s[34:35]
	s_and_b64 exec, exec, s[38:39]
	s_cbranch_execnz .LBB250_195
	s_branch .LBB250_196
.LBB250_246:
	s_and_saveexec_b64 s[38:39], s[30:31]
	s_cbranch_execnz .LBB250_310
; %bb.247:
	s_or_b64 exec, exec, s[38:39]
	s_and_saveexec_b64 s[30:31], s[28:29]
	s_cbranch_execnz .LBB250_311
.LBB250_248:
	s_or_b64 exec, exec, s[30:31]
	s_and_saveexec_b64 s[28:29], s[26:27]
	s_cbranch_execnz .LBB250_312
.LBB250_249:
	s_or_b64 exec, exec, s[28:29]
	s_and_saveexec_b64 s[26:27], s[24:25]
	s_cbranch_execnz .LBB250_313
.LBB250_250:
	s_or_b64 exec, exec, s[26:27]
	s_and_saveexec_b64 s[24:25], s[22:23]
	s_cbranch_execnz .LBB250_314
.LBB250_251:
	s_or_b64 exec, exec, s[24:25]
	s_and_saveexec_b64 s[22:23], s[20:21]
	s_cbranch_execnz .LBB250_315
.LBB250_252:
	s_or_b64 exec, exec, s[22:23]
	s_and_saveexec_b64 s[20:21], s[18:19]
	s_cbranch_execnz .LBB250_316
.LBB250_253:
	s_or_b64 exec, exec, s[20:21]
	s_and_saveexec_b64 s[18:19], s[16:17]
	s_cbranch_execnz .LBB250_317
.LBB250_254:
	s_or_b64 exec, exec, s[18:19]
	s_and_saveexec_b64 s[16:17], s[14:15]
	s_cbranch_execnz .LBB250_318
.LBB250_255:
	s_or_b64 exec, exec, s[16:17]
	s_and_saveexec_b64 s[14:15], s[12:13]
	s_cbranch_execnz .LBB250_319
.LBB250_256:
	s_or_b64 exec, exec, s[14:15]
	s_and_saveexec_b64 s[12:13], s[10:11]
	s_cbranch_execnz .LBB250_320
.LBB250_257:
	s_or_b64 exec, exec, s[12:13]
	s_and_saveexec_b64 s[10:11], s[8:9]
	s_cbranch_execnz .LBB250_321
.LBB250_258:
	s_or_b64 exec, exec, s[10:11]
	s_and_saveexec_b64 s[8:9], s[6:7]
	s_cbranch_execnz .LBB250_322
.LBB250_259:
	s_or_b64 exec, exec, s[8:9]
	s_and_saveexec_b64 s[6:7], s[4:5]
	s_cbranch_execz .LBB250_261
.LBB250_260:
	v_sub_u32_e32 v2, v39, v62
	v_lshlrev_b32_e32 v2, 3, v2
	ds_write_b64 v2, v[4:5]
.LBB250_261:
	s_or_b64 exec, exec, s[6:7]
	s_and_b64 s[38:39], s[2:3], exec
                                        ; implicit-def: $vgpr2_vgpr3
                                        ; implicit-def: $vgpr6_vgpr7
                                        ; implicit-def: $vgpr10_vgpr11
                                        ; implicit-def: $vgpr14_vgpr15
                                        ; implicit-def: $vgpr18_vgpr19
                                        ; implicit-def: $vgpr22_vgpr23
                                        ; implicit-def: $vgpr26_vgpr27
	s_andn2_saveexec_b64 s[2:3], s[36:37]
	s_cbranch_execz .LBB250_201
.LBB250_262:
	v_sub_u32_e32 v54, v59, v62
	v_lshlrev_b32_e32 v54, 3, v54
	ds_write_b64 v54, v[26:27]
	v_sub_u32_e32 v26, v51, v62
	v_lshlrev_b32_e32 v26, 3, v26
	ds_write_b64 v26, v[28:29]
	;; [unrolled: 3-line block ×13, first 2 shown]
	v_sub_u32_e32 v2, v39, v62
	v_lshlrev_b32_e32 v2, 3, v2
	s_or_b64 s[38:39], s[38:39], exec
	ds_write_b64 v2, v[4:5]
	s_or_b64 exec, exec, s[2:3]
	s_and_b64 exec, exec, s[38:39]
	s_cbranch_execnz .LBB250_202
	s_branch .LBB250_203
.LBB250_263:
	s_and_saveexec_b64 s[36:37], s[28:29]
	s_cbranch_execnz .LBB250_323
; %bb.264:
	s_or_b64 exec, exec, s[36:37]
	s_and_saveexec_b64 s[36:37], s[26:27]
	s_cbranch_execnz .LBB250_324
.LBB250_265:
	s_or_b64 exec, exec, s[36:37]
	s_and_saveexec_b64 s[36:37], s[24:25]
	s_cbranch_execnz .LBB250_325
.LBB250_266:
	s_or_b64 exec, exec, s[36:37]
	s_and_saveexec_b64 s[36:37], s[22:23]
	s_cbranch_execnz .LBB250_326
.LBB250_267:
	s_or_b64 exec, exec, s[36:37]
	s_and_saveexec_b64 s[36:37], s[20:21]
	s_cbranch_execnz .LBB250_327
.LBB250_268:
	s_or_b64 exec, exec, s[36:37]
	s_and_saveexec_b64 s[36:37], s[18:19]
	s_cbranch_execnz .LBB250_328
.LBB250_269:
	s_or_b64 exec, exec, s[36:37]
	s_and_saveexec_b64 s[36:37], s[16:17]
	s_cbranch_execnz .LBB250_329
.LBB250_270:
	s_or_b64 exec, exec, s[36:37]
	s_and_saveexec_b64 s[36:37], s[14:15]
	s_cbranch_execnz .LBB250_330
.LBB250_271:
	s_or_b64 exec, exec, s[36:37]
	s_and_saveexec_b64 s[36:37], s[12:13]
	s_cbranch_execnz .LBB250_331
.LBB250_272:
	s_or_b64 exec, exec, s[36:37]
	s_and_saveexec_b64 s[36:37], s[10:11]
	s_cbranch_execnz .LBB250_332
.LBB250_273:
	s_or_b64 exec, exec, s[36:37]
	s_and_saveexec_b64 s[36:37], s[8:9]
	s_cbranch_execnz .LBB250_333
.LBB250_274:
	s_or_b64 exec, exec, s[36:37]
	s_and_saveexec_b64 s[36:37], s[6:7]
	s_cbranch_execnz .LBB250_334
.LBB250_275:
	s_or_b64 exec, exec, s[36:37]
	s_and_saveexec_b64 s[36:37], s[4:5]
	s_cbranch_execnz .LBB250_335
.LBB250_276:
	s_or_b64 exec, exec, s[36:37]
	s_and_saveexec_b64 s[36:37], s[2:3]
	s_cbranch_execz .LBB250_278
.LBB250_277:
	v_sub_u32_e32 v10, v39, v8
	v_mov_b32_e32 v11, 0
	v_lshlrev_b64 v[10:11], 3, v[10:11]
	v_add_co_u32_e32 v10, vcc, v6, v10
	v_addc_co_u32_e32 v11, vcc, v7, v11, vcc
	global_store_dwordx2 v[10:11], v[96:97], off
.LBB250_278:
	s_or_b64 exec, exec, s[36:37]
	s_and_b64 s[36:37], s[0:1], exec
	s_andn2_saveexec_b64 s[30:31], s[30:31]
	s_cbranch_execz .LBB250_211
.LBB250_279:
	v_sub_u32_e32 v10, v59, v8
	v_mov_b32_e32 v11, 0
	v_lshlrev_b64 v[12:13], 3, v[10:11]
	v_add_co_u32_e32 v12, vcc, v6, v12
	v_addc_co_u32_e32 v13, vcc, v7, v13, vcc
	v_sub_u32_e32 v10, v51, v8
	global_store_dwordx2 v[12:13], v[94:95], off
	v_lshlrev_b64 v[12:13], 3, v[10:11]
	v_add_co_u32_e32 v12, vcc, v6, v12
	v_addc_co_u32_e32 v13, vcc, v7, v13, vcc
	v_sub_u32_e32 v10, v50, v8
	global_store_dwordx2 v[12:13], v[66:67], off
	;; [unrolled: 5-line block ×12, first 2 shown]
	v_lshlrev_b64 v[12:13], 3, v[10:11]
	v_add_co_u32_e32 v12, vcc, v6, v12
	v_sub_u32_e32 v10, v39, v8
	v_addc_co_u32_e32 v13, vcc, v7, v13, vcc
	v_lshlrev_b64 v[10:11], 3, v[10:11]
	v_add_co_u32_e32 v10, vcc, v6, v10
	v_addc_co_u32_e32 v11, vcc, v7, v11, vcc
	s_or_b64 s[36:37], s[36:37], exec
	global_store_dwordx2 v[12:13], v[92:93], off
	global_store_dwordx2 v[10:11], v[96:97], off
	s_or_b64 exec, exec, s[30:31]
	s_and_b64 exec, exec, s[36:37]
	s_cbranch_execnz .LBB250_212
	s_branch .LBB250_213
.LBB250_280:
	s_and_saveexec_b64 s[36:37], s[28:29]
	s_cbranch_execnz .LBB250_336
; %bb.281:
	s_or_b64 exec, exec, s[36:37]
	s_and_saveexec_b64 s[28:29], s[26:27]
	s_cbranch_execnz .LBB250_337
.LBB250_282:
	s_or_b64 exec, exec, s[28:29]
	s_and_saveexec_b64 s[26:27], s[24:25]
	s_cbranch_execnz .LBB250_338
.LBB250_283:
	s_or_b64 exec, exec, s[26:27]
	s_and_saveexec_b64 s[24:25], s[22:23]
	s_cbranch_execnz .LBB250_339
.LBB250_284:
	s_or_b64 exec, exec, s[24:25]
	s_and_saveexec_b64 s[22:23], s[20:21]
	s_cbranch_execnz .LBB250_340
.LBB250_285:
	s_or_b64 exec, exec, s[22:23]
	s_and_saveexec_b64 s[20:21], s[18:19]
	s_cbranch_execnz .LBB250_341
.LBB250_286:
	s_or_b64 exec, exec, s[20:21]
	s_and_saveexec_b64 s[18:19], s[16:17]
	s_cbranch_execnz .LBB250_342
.LBB250_287:
	s_or_b64 exec, exec, s[18:19]
	s_and_saveexec_b64 s[16:17], s[14:15]
	s_cbranch_execnz .LBB250_343
.LBB250_288:
	s_or_b64 exec, exec, s[16:17]
	s_and_saveexec_b64 s[14:15], s[12:13]
	s_cbranch_execnz .LBB250_344
.LBB250_289:
	s_or_b64 exec, exec, s[14:15]
	s_and_saveexec_b64 s[12:13], s[10:11]
	s_cbranch_execnz .LBB250_345
.LBB250_290:
	s_or_b64 exec, exec, s[12:13]
	s_and_saveexec_b64 s[10:11], s[8:9]
	s_cbranch_execnz .LBB250_346
.LBB250_291:
	s_or_b64 exec, exec, s[10:11]
	s_and_saveexec_b64 s[8:9], s[6:7]
	s_cbranch_execnz .LBB250_347
.LBB250_292:
	s_or_b64 exec, exec, s[8:9]
	s_and_saveexec_b64 s[6:7], s[4:5]
	s_cbranch_execnz .LBB250_348
.LBB250_293:
	s_or_b64 exec, exec, s[6:7]
	s_and_saveexec_b64 s[4:5], s[2:3]
	s_cbranch_execz .LBB250_295
.LBB250_294:
	v_sub_u32_e32 v9, v39, v8
	v_lshlrev_b32_e32 v9, 3, v9
	ds_write_b64 v9, v[96:97]
.LBB250_295:
	s_or_b64 exec, exec, s[4:5]
	s_and_b64 s[36:37], s[0:1], exec
                                        ; implicit-def: $vgpr94_vgpr95
                                        ; implicit-def: $vgpr66_vgpr67
                                        ; implicit-def: $vgpr68_vgpr69
                                        ; implicit-def: $vgpr70_vgpr71
                                        ; implicit-def: $vgpr76_vgpr77
                                        ; implicit-def: $vgpr78_vgpr79
                                        ; implicit-def: $vgpr80_vgpr81
                                        ; implicit-def: $vgpr82_vgpr83
                                        ; implicit-def: $vgpr84_vgpr85
                                        ; implicit-def: $vgpr86_vgpr87
                                        ; implicit-def: $vgpr88_vgpr89
                                        ; implicit-def: $vgpr90_vgpr91
                                        ; implicit-def: $vgpr92_vgpr93
                                        ; implicit-def: $vgpr96_vgpr97
                                        ; implicit-def: $vgpr59
                                        ; implicit-def: $vgpr51
                                        ; implicit-def: $vgpr50
                                        ; implicit-def: $vgpr49
                                        ; implicit-def: $vgpr48
                                        ; implicit-def: $vgpr47
                                        ; implicit-def: $vgpr46
                                        ; implicit-def: $vgpr45
                                        ; implicit-def: $vgpr44
                                        ; implicit-def: $vgpr43
                                        ; implicit-def: $vgpr42
                                        ; implicit-def: $vgpr41
                                        ; implicit-def: $vgpr40
                                        ; implicit-def: $vgpr39
	s_andn2_saveexec_b64 s[0:1], s[34:35]
	s_cbranch_execz .LBB250_218
.LBB250_296:
	v_sub_u32_e32 v9, v59, v8
	v_lshlrev_b32_e32 v9, 3, v9
	ds_write_b64 v9, v[94:95]
	v_sub_u32_e32 v9, v51, v8
	v_lshlrev_b32_e32 v9, 3, v9
	ds_write_b64 v9, v[66:67]
	;; [unrolled: 3-line block ×13, first 2 shown]
	v_sub_u32_e32 v9, v39, v8
	v_lshlrev_b32_e32 v9, 3, v9
	s_or_b64 s[36:37], s[36:37], exec
	ds_write_b64 v9, v[96:97]
	s_or_b64 exec, exec, s[0:1]
	s_and_b64 exec, exec, s[36:37]
	s_cbranch_execnz .LBB250_219
	s_branch .LBB250_220
.LBB250_297:
	v_sub_u32_e32 v56, v59, v62
	v_mov_b32_e32 v57, 0
	v_lshlrev_b64 v[56:57], 3, v[56:57]
	v_add_co_u32_e32 v56, vcc, v52, v56
	v_addc_co_u32_e32 v57, vcc, v53, v57, vcc
	global_store_dwordx2 v[56:57], v[26:27], off
	s_or_b64 exec, exec, s[38:39]
	s_and_saveexec_b64 s[38:39], s[28:29]
	s_cbranch_execz .LBB250_231
.LBB250_298:
	v_sub_u32_e32 v56, v51, v62
	v_mov_b32_e32 v57, 0
	v_lshlrev_b64 v[56:57], 3, v[56:57]
	v_add_co_u32_e32 v56, vcc, v52, v56
	v_addc_co_u32_e32 v57, vcc, v53, v57, vcc
	global_store_dwordx2 v[56:57], v[28:29], off
	s_or_b64 exec, exec, s[38:39]
	s_and_saveexec_b64 s[38:39], s[26:27]
	s_cbranch_execz .LBB250_232
.LBB250_299:
	v_sub_u32_e32 v56, v50, v62
	v_mov_b32_e32 v57, 0
	v_lshlrev_b64 v[56:57], 3, v[56:57]
	v_add_co_u32_e32 v56, vcc, v52, v56
	v_addc_co_u32_e32 v57, vcc, v53, v57, vcc
	global_store_dwordx2 v[56:57], v[22:23], off
	s_or_b64 exec, exec, s[38:39]
	s_and_saveexec_b64 s[38:39], s[24:25]
	s_cbranch_execz .LBB250_233
.LBB250_300:
	v_sub_u32_e32 v56, v49, v62
	v_mov_b32_e32 v57, 0
	v_lshlrev_b64 v[56:57], 3, v[56:57]
	v_add_co_u32_e32 v56, vcc, v52, v56
	v_addc_co_u32_e32 v57, vcc, v53, v57, vcc
	global_store_dwordx2 v[56:57], v[24:25], off
	s_or_b64 exec, exec, s[38:39]
	s_and_saveexec_b64 s[38:39], s[22:23]
	s_cbranch_execz .LBB250_234
.LBB250_301:
	v_sub_u32_e32 v56, v48, v62
	v_mov_b32_e32 v57, 0
	v_lshlrev_b64 v[56:57], 3, v[56:57]
	v_add_co_u32_e32 v56, vcc, v52, v56
	v_addc_co_u32_e32 v57, vcc, v53, v57, vcc
	global_store_dwordx2 v[56:57], v[18:19], off
	s_or_b64 exec, exec, s[38:39]
	s_and_saveexec_b64 s[38:39], s[20:21]
	s_cbranch_execz .LBB250_235
.LBB250_302:
	v_sub_u32_e32 v56, v47, v62
	v_mov_b32_e32 v57, 0
	v_lshlrev_b64 v[56:57], 3, v[56:57]
	v_add_co_u32_e32 v56, vcc, v52, v56
	v_addc_co_u32_e32 v57, vcc, v53, v57, vcc
	global_store_dwordx2 v[56:57], v[20:21], off
	s_or_b64 exec, exec, s[38:39]
	s_and_saveexec_b64 s[38:39], s[18:19]
	s_cbranch_execz .LBB250_236
.LBB250_303:
	v_sub_u32_e32 v56, v46, v62
	v_mov_b32_e32 v57, 0
	v_lshlrev_b64 v[56:57], 3, v[56:57]
	v_add_co_u32_e32 v56, vcc, v52, v56
	v_addc_co_u32_e32 v57, vcc, v53, v57, vcc
	global_store_dwordx2 v[56:57], v[14:15], off
	s_or_b64 exec, exec, s[38:39]
	s_and_saveexec_b64 s[38:39], s[16:17]
	s_cbranch_execz .LBB250_237
.LBB250_304:
	v_sub_u32_e32 v56, v45, v62
	v_mov_b32_e32 v57, 0
	v_lshlrev_b64 v[56:57], 3, v[56:57]
	v_add_co_u32_e32 v56, vcc, v52, v56
	v_addc_co_u32_e32 v57, vcc, v53, v57, vcc
	global_store_dwordx2 v[56:57], v[16:17], off
	s_or_b64 exec, exec, s[38:39]
	s_and_saveexec_b64 s[38:39], s[14:15]
	s_cbranch_execz .LBB250_238
.LBB250_305:
	v_sub_u32_e32 v56, v44, v62
	v_mov_b32_e32 v57, 0
	v_lshlrev_b64 v[56:57], 3, v[56:57]
	v_add_co_u32_e32 v56, vcc, v52, v56
	v_addc_co_u32_e32 v57, vcc, v53, v57, vcc
	global_store_dwordx2 v[56:57], v[10:11], off
	s_or_b64 exec, exec, s[38:39]
	s_and_saveexec_b64 s[38:39], s[12:13]
	s_cbranch_execz .LBB250_239
.LBB250_306:
	v_sub_u32_e32 v56, v43, v62
	v_mov_b32_e32 v57, 0
	v_lshlrev_b64 v[56:57], 3, v[56:57]
	v_add_co_u32_e32 v56, vcc, v52, v56
	v_addc_co_u32_e32 v57, vcc, v53, v57, vcc
	global_store_dwordx2 v[56:57], v[12:13], off
	s_or_b64 exec, exec, s[38:39]
	s_and_saveexec_b64 s[38:39], s[10:11]
	s_cbranch_execz .LBB250_240
.LBB250_307:
	v_sub_u32_e32 v56, v42, v62
	v_mov_b32_e32 v57, 0
	v_lshlrev_b64 v[56:57], 3, v[56:57]
	v_add_co_u32_e32 v56, vcc, v52, v56
	v_addc_co_u32_e32 v57, vcc, v53, v57, vcc
	global_store_dwordx2 v[56:57], v[6:7], off
	s_or_b64 exec, exec, s[38:39]
	s_and_saveexec_b64 s[38:39], s[8:9]
	s_cbranch_execz .LBB250_241
.LBB250_308:
	v_sub_u32_e32 v56, v41, v62
	v_mov_b32_e32 v57, 0
	v_lshlrev_b64 v[56:57], 3, v[56:57]
	v_add_co_u32_e32 v56, vcc, v52, v56
	v_addc_co_u32_e32 v57, vcc, v53, v57, vcc
	global_store_dwordx2 v[56:57], v[8:9], off
	s_or_b64 exec, exec, s[38:39]
	s_and_saveexec_b64 s[38:39], s[6:7]
	s_cbranch_execz .LBB250_242
.LBB250_309:
	v_sub_u32_e32 v56, v40, v62
	v_mov_b32_e32 v57, 0
	v_lshlrev_b64 v[56:57], 3, v[56:57]
	v_add_co_u32_e32 v56, vcc, v52, v56
	v_addc_co_u32_e32 v57, vcc, v53, v57, vcc
	global_store_dwordx2 v[56:57], v[2:3], off
	s_or_b64 exec, exec, s[38:39]
	s_and_saveexec_b64 s[38:39], s[4:5]
	s_cbranch_execnz .LBB250_243
	s_branch .LBB250_244
.LBB250_310:
	v_sub_u32_e32 v54, v59, v62
	v_lshlrev_b32_e32 v54, 3, v54
	ds_write_b64 v54, v[26:27]
	s_or_b64 exec, exec, s[38:39]
	s_and_saveexec_b64 s[30:31], s[28:29]
	s_cbranch_execz .LBB250_248
.LBB250_311:
	v_sub_u32_e32 v26, v51, v62
	v_lshlrev_b32_e32 v26, 3, v26
	ds_write_b64 v26, v[28:29]
	s_or_b64 exec, exec, s[30:31]
	s_and_saveexec_b64 s[28:29], s[26:27]
	s_cbranch_execz .LBB250_249
.LBB250_312:
	v_sub_u32_e32 v26, v50, v62
	v_lshlrev_b32_e32 v26, 3, v26
	ds_write_b64 v26, v[22:23]
	s_or_b64 exec, exec, s[28:29]
	s_and_saveexec_b64 s[26:27], s[24:25]
	s_cbranch_execz .LBB250_250
.LBB250_313:
	v_sub_u32_e32 v22, v49, v62
	v_lshlrev_b32_e32 v22, 3, v22
	ds_write_b64 v22, v[24:25]
	s_or_b64 exec, exec, s[26:27]
	s_and_saveexec_b64 s[24:25], s[22:23]
	s_cbranch_execz .LBB250_251
.LBB250_314:
	v_sub_u32_e32 v22, v48, v62
	v_lshlrev_b32_e32 v22, 3, v22
	ds_write_b64 v22, v[18:19]
	s_or_b64 exec, exec, s[24:25]
	s_and_saveexec_b64 s[22:23], s[20:21]
	s_cbranch_execz .LBB250_252
.LBB250_315:
	v_sub_u32_e32 v18, v47, v62
	v_lshlrev_b32_e32 v18, 3, v18
	ds_write_b64 v18, v[20:21]
	s_or_b64 exec, exec, s[22:23]
	s_and_saveexec_b64 s[20:21], s[18:19]
	s_cbranch_execz .LBB250_253
.LBB250_316:
	v_sub_u32_e32 v18, v46, v62
	v_lshlrev_b32_e32 v18, 3, v18
	ds_write_b64 v18, v[14:15]
	s_or_b64 exec, exec, s[20:21]
	s_and_saveexec_b64 s[18:19], s[16:17]
	s_cbranch_execz .LBB250_254
.LBB250_317:
	v_sub_u32_e32 v14, v45, v62
	v_lshlrev_b32_e32 v14, 3, v14
	ds_write_b64 v14, v[16:17]
	s_or_b64 exec, exec, s[18:19]
	s_and_saveexec_b64 s[16:17], s[14:15]
	s_cbranch_execz .LBB250_255
.LBB250_318:
	v_sub_u32_e32 v14, v44, v62
	v_lshlrev_b32_e32 v14, 3, v14
	ds_write_b64 v14, v[10:11]
	s_or_b64 exec, exec, s[16:17]
	s_and_saveexec_b64 s[14:15], s[12:13]
	s_cbranch_execz .LBB250_256
.LBB250_319:
	v_sub_u32_e32 v10, v43, v62
	v_lshlrev_b32_e32 v10, 3, v10
	ds_write_b64 v10, v[12:13]
	s_or_b64 exec, exec, s[14:15]
	s_and_saveexec_b64 s[12:13], s[10:11]
	s_cbranch_execz .LBB250_257
.LBB250_320:
	v_sub_u32_e32 v10, v42, v62
	v_lshlrev_b32_e32 v10, 3, v10
	ds_write_b64 v10, v[6:7]
	s_or_b64 exec, exec, s[12:13]
	s_and_saveexec_b64 s[10:11], s[8:9]
	s_cbranch_execz .LBB250_258
.LBB250_321:
	v_sub_u32_e32 v6, v41, v62
	v_lshlrev_b32_e32 v6, 3, v6
	ds_write_b64 v6, v[8:9]
	s_or_b64 exec, exec, s[10:11]
	s_and_saveexec_b64 s[8:9], s[6:7]
	s_cbranch_execz .LBB250_259
.LBB250_322:
	v_sub_u32_e32 v6, v40, v62
	v_lshlrev_b32_e32 v6, 3, v6
	ds_write_b64 v6, v[2:3]
	s_or_b64 exec, exec, s[8:9]
	s_and_saveexec_b64 s[6:7], s[4:5]
	s_cbranch_execnz .LBB250_260
	s_branch .LBB250_261
.LBB250_323:
	v_sub_u32_e32 v10, v59, v8
	v_mov_b32_e32 v11, 0
	v_lshlrev_b64 v[10:11], 3, v[10:11]
	v_add_co_u32_e32 v10, vcc, v6, v10
	v_addc_co_u32_e32 v11, vcc, v7, v11, vcc
	global_store_dwordx2 v[10:11], v[94:95], off
	s_or_b64 exec, exec, s[36:37]
	s_and_saveexec_b64 s[36:37], s[26:27]
	s_cbranch_execz .LBB250_265
.LBB250_324:
	v_sub_u32_e32 v10, v51, v8
	v_mov_b32_e32 v11, 0
	v_lshlrev_b64 v[10:11], 3, v[10:11]
	v_add_co_u32_e32 v10, vcc, v6, v10
	v_addc_co_u32_e32 v11, vcc, v7, v11, vcc
	global_store_dwordx2 v[10:11], v[66:67], off
	s_or_b64 exec, exec, s[36:37]
	s_and_saveexec_b64 s[36:37], s[24:25]
	s_cbranch_execz .LBB250_266
.LBB250_325:
	v_sub_u32_e32 v10, v50, v8
	v_mov_b32_e32 v11, 0
	v_lshlrev_b64 v[10:11], 3, v[10:11]
	v_add_co_u32_e32 v10, vcc, v6, v10
	v_addc_co_u32_e32 v11, vcc, v7, v11, vcc
	global_store_dwordx2 v[10:11], v[68:69], off
	s_or_b64 exec, exec, s[36:37]
	s_and_saveexec_b64 s[36:37], s[22:23]
	s_cbranch_execz .LBB250_267
.LBB250_326:
	v_sub_u32_e32 v10, v49, v8
	v_mov_b32_e32 v11, 0
	v_lshlrev_b64 v[10:11], 3, v[10:11]
	v_add_co_u32_e32 v10, vcc, v6, v10
	v_addc_co_u32_e32 v11, vcc, v7, v11, vcc
	global_store_dwordx2 v[10:11], v[70:71], off
	s_or_b64 exec, exec, s[36:37]
	s_and_saveexec_b64 s[36:37], s[20:21]
	s_cbranch_execz .LBB250_268
.LBB250_327:
	v_sub_u32_e32 v10, v48, v8
	v_mov_b32_e32 v11, 0
	v_lshlrev_b64 v[10:11], 3, v[10:11]
	v_add_co_u32_e32 v10, vcc, v6, v10
	v_addc_co_u32_e32 v11, vcc, v7, v11, vcc
	global_store_dwordx2 v[10:11], v[76:77], off
	s_or_b64 exec, exec, s[36:37]
	s_and_saveexec_b64 s[36:37], s[18:19]
	s_cbranch_execz .LBB250_269
.LBB250_328:
	v_sub_u32_e32 v10, v47, v8
	v_mov_b32_e32 v11, 0
	v_lshlrev_b64 v[10:11], 3, v[10:11]
	v_add_co_u32_e32 v10, vcc, v6, v10
	v_addc_co_u32_e32 v11, vcc, v7, v11, vcc
	global_store_dwordx2 v[10:11], v[78:79], off
	s_or_b64 exec, exec, s[36:37]
	s_and_saveexec_b64 s[36:37], s[16:17]
	s_cbranch_execz .LBB250_270
.LBB250_329:
	v_sub_u32_e32 v10, v46, v8
	v_mov_b32_e32 v11, 0
	v_lshlrev_b64 v[10:11], 3, v[10:11]
	v_add_co_u32_e32 v10, vcc, v6, v10
	v_addc_co_u32_e32 v11, vcc, v7, v11, vcc
	global_store_dwordx2 v[10:11], v[80:81], off
	s_or_b64 exec, exec, s[36:37]
	s_and_saveexec_b64 s[36:37], s[14:15]
	s_cbranch_execz .LBB250_271
.LBB250_330:
	v_sub_u32_e32 v10, v45, v8
	v_mov_b32_e32 v11, 0
	v_lshlrev_b64 v[10:11], 3, v[10:11]
	v_add_co_u32_e32 v10, vcc, v6, v10
	v_addc_co_u32_e32 v11, vcc, v7, v11, vcc
	global_store_dwordx2 v[10:11], v[82:83], off
	s_or_b64 exec, exec, s[36:37]
	s_and_saveexec_b64 s[36:37], s[12:13]
	s_cbranch_execz .LBB250_272
.LBB250_331:
	v_sub_u32_e32 v10, v44, v8
	v_mov_b32_e32 v11, 0
	v_lshlrev_b64 v[10:11], 3, v[10:11]
	v_add_co_u32_e32 v10, vcc, v6, v10
	v_addc_co_u32_e32 v11, vcc, v7, v11, vcc
	global_store_dwordx2 v[10:11], v[84:85], off
	s_or_b64 exec, exec, s[36:37]
	s_and_saveexec_b64 s[36:37], s[10:11]
	s_cbranch_execz .LBB250_273
.LBB250_332:
	v_sub_u32_e32 v10, v43, v8
	v_mov_b32_e32 v11, 0
	v_lshlrev_b64 v[10:11], 3, v[10:11]
	v_add_co_u32_e32 v10, vcc, v6, v10
	v_addc_co_u32_e32 v11, vcc, v7, v11, vcc
	global_store_dwordx2 v[10:11], v[86:87], off
	s_or_b64 exec, exec, s[36:37]
	s_and_saveexec_b64 s[36:37], s[8:9]
	s_cbranch_execz .LBB250_274
.LBB250_333:
	v_sub_u32_e32 v10, v42, v8
	v_mov_b32_e32 v11, 0
	v_lshlrev_b64 v[10:11], 3, v[10:11]
	v_add_co_u32_e32 v10, vcc, v6, v10
	v_addc_co_u32_e32 v11, vcc, v7, v11, vcc
	global_store_dwordx2 v[10:11], v[88:89], off
	s_or_b64 exec, exec, s[36:37]
	s_and_saveexec_b64 s[36:37], s[6:7]
	s_cbranch_execz .LBB250_275
.LBB250_334:
	v_sub_u32_e32 v10, v41, v8
	v_mov_b32_e32 v11, 0
	v_lshlrev_b64 v[10:11], 3, v[10:11]
	v_add_co_u32_e32 v10, vcc, v6, v10
	v_addc_co_u32_e32 v11, vcc, v7, v11, vcc
	global_store_dwordx2 v[10:11], v[90:91], off
	s_or_b64 exec, exec, s[36:37]
	s_and_saveexec_b64 s[36:37], s[4:5]
	s_cbranch_execz .LBB250_276
.LBB250_335:
	v_sub_u32_e32 v10, v40, v8
	v_mov_b32_e32 v11, 0
	v_lshlrev_b64 v[10:11], 3, v[10:11]
	v_add_co_u32_e32 v10, vcc, v6, v10
	v_addc_co_u32_e32 v11, vcc, v7, v11, vcc
	global_store_dwordx2 v[10:11], v[92:93], off
	s_or_b64 exec, exec, s[36:37]
	s_and_saveexec_b64 s[36:37], s[2:3]
	s_cbranch_execnz .LBB250_277
	s_branch .LBB250_278
.LBB250_336:
	v_sub_u32_e32 v9, v59, v8
	v_lshlrev_b32_e32 v9, 3, v9
	ds_write_b64 v9, v[94:95]
	s_or_b64 exec, exec, s[36:37]
	s_and_saveexec_b64 s[28:29], s[26:27]
	s_cbranch_execz .LBB250_282
.LBB250_337:
	v_sub_u32_e32 v9, v51, v8
	v_lshlrev_b32_e32 v9, 3, v9
	ds_write_b64 v9, v[66:67]
	s_or_b64 exec, exec, s[28:29]
	s_and_saveexec_b64 s[26:27], s[24:25]
	s_cbranch_execz .LBB250_283
.LBB250_338:
	v_sub_u32_e32 v9, v50, v8
	v_lshlrev_b32_e32 v9, 3, v9
	ds_write_b64 v9, v[68:69]
	s_or_b64 exec, exec, s[26:27]
	s_and_saveexec_b64 s[24:25], s[22:23]
	s_cbranch_execz .LBB250_284
.LBB250_339:
	v_sub_u32_e32 v9, v49, v8
	v_lshlrev_b32_e32 v9, 3, v9
	ds_write_b64 v9, v[70:71]
	s_or_b64 exec, exec, s[24:25]
	s_and_saveexec_b64 s[22:23], s[20:21]
	s_cbranch_execz .LBB250_285
.LBB250_340:
	v_sub_u32_e32 v9, v48, v8
	v_lshlrev_b32_e32 v9, 3, v9
	ds_write_b64 v9, v[76:77]
	s_or_b64 exec, exec, s[22:23]
	s_and_saveexec_b64 s[20:21], s[18:19]
	s_cbranch_execz .LBB250_286
.LBB250_341:
	v_sub_u32_e32 v9, v47, v8
	v_lshlrev_b32_e32 v9, 3, v9
	ds_write_b64 v9, v[78:79]
	s_or_b64 exec, exec, s[20:21]
	s_and_saveexec_b64 s[18:19], s[16:17]
	s_cbranch_execz .LBB250_287
.LBB250_342:
	v_sub_u32_e32 v9, v46, v8
	v_lshlrev_b32_e32 v9, 3, v9
	ds_write_b64 v9, v[80:81]
	s_or_b64 exec, exec, s[18:19]
	s_and_saveexec_b64 s[16:17], s[14:15]
	s_cbranch_execz .LBB250_288
.LBB250_343:
	v_sub_u32_e32 v9, v45, v8
	v_lshlrev_b32_e32 v9, 3, v9
	ds_write_b64 v9, v[82:83]
	s_or_b64 exec, exec, s[16:17]
	s_and_saveexec_b64 s[14:15], s[12:13]
	s_cbranch_execz .LBB250_289
.LBB250_344:
	v_sub_u32_e32 v9, v44, v8
	v_lshlrev_b32_e32 v9, 3, v9
	ds_write_b64 v9, v[84:85]
	s_or_b64 exec, exec, s[14:15]
	s_and_saveexec_b64 s[12:13], s[10:11]
	s_cbranch_execz .LBB250_290
.LBB250_345:
	v_sub_u32_e32 v9, v43, v8
	v_lshlrev_b32_e32 v9, 3, v9
	ds_write_b64 v9, v[86:87]
	s_or_b64 exec, exec, s[12:13]
	s_and_saveexec_b64 s[10:11], s[8:9]
	s_cbranch_execz .LBB250_291
.LBB250_346:
	v_sub_u32_e32 v9, v42, v8
	v_lshlrev_b32_e32 v9, 3, v9
	ds_write_b64 v9, v[88:89]
	s_or_b64 exec, exec, s[10:11]
	s_and_saveexec_b64 s[8:9], s[6:7]
	s_cbranch_execz .LBB250_292
.LBB250_347:
	v_sub_u32_e32 v9, v41, v8
	v_lshlrev_b32_e32 v9, 3, v9
	ds_write_b64 v9, v[90:91]
	s_or_b64 exec, exec, s[8:9]
	s_and_saveexec_b64 s[6:7], s[4:5]
	s_cbranch_execz .LBB250_293
.LBB250_348:
	v_sub_u32_e32 v9, v40, v8
	v_lshlrev_b32_e32 v9, 3, v9
	ds_write_b64 v9, v[92:93]
	s_or_b64 exec, exec, s[6:7]
	s_and_saveexec_b64 s[4:5], s[2:3]
	s_cbranch_execnz .LBB250_294
	s_branch .LBB250_295
	.section	.rodata,"a",@progbits
	.p2align	6, 0x0
	.amdhsa_kernel _ZN7rocprim17ROCPRIM_400000_NS6detail17trampoline_kernelINS0_14default_configENS1_29reduce_by_key_config_selectorIyyN6thrust23THRUST_200600_302600_NS4plusIyEEEEZZNS1_33reduce_by_key_impl_wrapped_configILNS1_25lookback_scan_determinismE0ES3_S9_NS6_6detail15normal_iteratorINS6_10device_ptrIyEEEESG_SG_SG_PmS8_NS6_8equal_toIyEEEE10hipError_tPvRmT2_T3_mT4_T5_T6_T7_T8_P12ihipStream_tbENKUlT_T0_E_clISt17integral_constantIbLb1EES11_EEDaSW_SX_EUlSW_E_NS1_11comp_targetILNS1_3genE4ELNS1_11target_archE910ELNS1_3gpuE8ELNS1_3repE0EEENS1_30default_config_static_selectorELNS0_4arch9wavefront6targetE1EEEvT1_
		.amdhsa_group_segment_fixed_size 30720
		.amdhsa_private_segment_fixed_size 0
		.amdhsa_kernarg_size 136
		.amdhsa_user_sgpr_count 6
		.amdhsa_user_sgpr_private_segment_buffer 1
		.amdhsa_user_sgpr_dispatch_ptr 0
		.amdhsa_user_sgpr_queue_ptr 0
		.amdhsa_user_sgpr_kernarg_segment_ptr 1
		.amdhsa_user_sgpr_dispatch_id 0
		.amdhsa_user_sgpr_flat_scratch_init 0
		.amdhsa_user_sgpr_kernarg_preload_length 0
		.amdhsa_user_sgpr_kernarg_preload_offset 0
		.amdhsa_user_sgpr_private_segment_size 0
		.amdhsa_uses_dynamic_stack 0
		.amdhsa_system_sgpr_private_segment_wavefront_offset 0
		.amdhsa_system_sgpr_workgroup_id_x 1
		.amdhsa_system_sgpr_workgroup_id_y 0
		.amdhsa_system_sgpr_workgroup_id_z 0
		.amdhsa_system_sgpr_workgroup_info 0
		.amdhsa_system_vgpr_workitem_id 0
		.amdhsa_next_free_vgpr 118
		.amdhsa_next_free_sgpr 66
		.amdhsa_accum_offset 120
		.amdhsa_reserve_vcc 1
		.amdhsa_reserve_flat_scratch 0
		.amdhsa_float_round_mode_32 0
		.amdhsa_float_round_mode_16_64 0
		.amdhsa_float_denorm_mode_32 3
		.amdhsa_float_denorm_mode_16_64 3
		.amdhsa_dx10_clamp 1
		.amdhsa_ieee_mode 1
		.amdhsa_fp16_overflow 0
		.amdhsa_tg_split 0
		.amdhsa_exception_fp_ieee_invalid_op 0
		.amdhsa_exception_fp_denorm_src 0
		.amdhsa_exception_fp_ieee_div_zero 0
		.amdhsa_exception_fp_ieee_overflow 0
		.amdhsa_exception_fp_ieee_underflow 0
		.amdhsa_exception_fp_ieee_inexact 0
		.amdhsa_exception_int_div_zero 0
	.end_amdhsa_kernel
	.section	.text._ZN7rocprim17ROCPRIM_400000_NS6detail17trampoline_kernelINS0_14default_configENS1_29reduce_by_key_config_selectorIyyN6thrust23THRUST_200600_302600_NS4plusIyEEEEZZNS1_33reduce_by_key_impl_wrapped_configILNS1_25lookback_scan_determinismE0ES3_S9_NS6_6detail15normal_iteratorINS6_10device_ptrIyEEEESG_SG_SG_PmS8_NS6_8equal_toIyEEEE10hipError_tPvRmT2_T3_mT4_T5_T6_T7_T8_P12ihipStream_tbENKUlT_T0_E_clISt17integral_constantIbLb1EES11_EEDaSW_SX_EUlSW_E_NS1_11comp_targetILNS1_3genE4ELNS1_11target_archE910ELNS1_3gpuE8ELNS1_3repE0EEENS1_30default_config_static_selectorELNS0_4arch9wavefront6targetE1EEEvT1_,"axG",@progbits,_ZN7rocprim17ROCPRIM_400000_NS6detail17trampoline_kernelINS0_14default_configENS1_29reduce_by_key_config_selectorIyyN6thrust23THRUST_200600_302600_NS4plusIyEEEEZZNS1_33reduce_by_key_impl_wrapped_configILNS1_25lookback_scan_determinismE0ES3_S9_NS6_6detail15normal_iteratorINS6_10device_ptrIyEEEESG_SG_SG_PmS8_NS6_8equal_toIyEEEE10hipError_tPvRmT2_T3_mT4_T5_T6_T7_T8_P12ihipStream_tbENKUlT_T0_E_clISt17integral_constantIbLb1EES11_EEDaSW_SX_EUlSW_E_NS1_11comp_targetILNS1_3genE4ELNS1_11target_archE910ELNS1_3gpuE8ELNS1_3repE0EEENS1_30default_config_static_selectorELNS0_4arch9wavefront6targetE1EEEvT1_,comdat
.Lfunc_end250:
	.size	_ZN7rocprim17ROCPRIM_400000_NS6detail17trampoline_kernelINS0_14default_configENS1_29reduce_by_key_config_selectorIyyN6thrust23THRUST_200600_302600_NS4plusIyEEEEZZNS1_33reduce_by_key_impl_wrapped_configILNS1_25lookback_scan_determinismE0ES3_S9_NS6_6detail15normal_iteratorINS6_10device_ptrIyEEEESG_SG_SG_PmS8_NS6_8equal_toIyEEEE10hipError_tPvRmT2_T3_mT4_T5_T6_T7_T8_P12ihipStream_tbENKUlT_T0_E_clISt17integral_constantIbLb1EES11_EEDaSW_SX_EUlSW_E_NS1_11comp_targetILNS1_3genE4ELNS1_11target_archE910ELNS1_3gpuE8ELNS1_3repE0EEENS1_30default_config_static_selectorELNS0_4arch9wavefront6targetE1EEEvT1_, .Lfunc_end250-_ZN7rocprim17ROCPRIM_400000_NS6detail17trampoline_kernelINS0_14default_configENS1_29reduce_by_key_config_selectorIyyN6thrust23THRUST_200600_302600_NS4plusIyEEEEZZNS1_33reduce_by_key_impl_wrapped_configILNS1_25lookback_scan_determinismE0ES3_S9_NS6_6detail15normal_iteratorINS6_10device_ptrIyEEEESG_SG_SG_PmS8_NS6_8equal_toIyEEEE10hipError_tPvRmT2_T3_mT4_T5_T6_T7_T8_P12ihipStream_tbENKUlT_T0_E_clISt17integral_constantIbLb1EES11_EEDaSW_SX_EUlSW_E_NS1_11comp_targetILNS1_3genE4ELNS1_11target_archE910ELNS1_3gpuE8ELNS1_3repE0EEENS1_30default_config_static_selectorELNS0_4arch9wavefront6targetE1EEEvT1_
                                        ; -- End function
	.section	.AMDGPU.csdata,"",@progbits
; Kernel info:
; codeLenInByte = 16900
; NumSgprs: 70
; NumVgprs: 118
; NumAgprs: 0
; TotalNumVgprs: 118
; ScratchSize: 0
; MemoryBound: 0
; FloatMode: 240
; IeeeMode: 1
; LDSByteSize: 30720 bytes/workgroup (compile time only)
; SGPRBlocks: 8
; VGPRBlocks: 14
; NumSGPRsForWavesPerEU: 70
; NumVGPRsForWavesPerEU: 118
; AccumOffset: 120
; Occupancy: 2
; WaveLimiterHint : 1
; COMPUTE_PGM_RSRC2:SCRATCH_EN: 0
; COMPUTE_PGM_RSRC2:USER_SGPR: 6
; COMPUTE_PGM_RSRC2:TRAP_HANDLER: 0
; COMPUTE_PGM_RSRC2:TGID_X_EN: 1
; COMPUTE_PGM_RSRC2:TGID_Y_EN: 0
; COMPUTE_PGM_RSRC2:TGID_Z_EN: 0
; COMPUTE_PGM_RSRC2:TIDIG_COMP_CNT: 0
; COMPUTE_PGM_RSRC3_GFX90A:ACCUM_OFFSET: 29
; COMPUTE_PGM_RSRC3_GFX90A:TG_SPLIT: 0
	.section	.text._ZN7rocprim17ROCPRIM_400000_NS6detail17trampoline_kernelINS0_14default_configENS1_29reduce_by_key_config_selectorIyyN6thrust23THRUST_200600_302600_NS4plusIyEEEEZZNS1_33reduce_by_key_impl_wrapped_configILNS1_25lookback_scan_determinismE0ES3_S9_NS6_6detail15normal_iteratorINS6_10device_ptrIyEEEESG_SG_SG_PmS8_NS6_8equal_toIyEEEE10hipError_tPvRmT2_T3_mT4_T5_T6_T7_T8_P12ihipStream_tbENKUlT_T0_E_clISt17integral_constantIbLb1EES11_EEDaSW_SX_EUlSW_E_NS1_11comp_targetILNS1_3genE3ELNS1_11target_archE908ELNS1_3gpuE7ELNS1_3repE0EEENS1_30default_config_static_selectorELNS0_4arch9wavefront6targetE1EEEvT1_,"axG",@progbits,_ZN7rocprim17ROCPRIM_400000_NS6detail17trampoline_kernelINS0_14default_configENS1_29reduce_by_key_config_selectorIyyN6thrust23THRUST_200600_302600_NS4plusIyEEEEZZNS1_33reduce_by_key_impl_wrapped_configILNS1_25lookback_scan_determinismE0ES3_S9_NS6_6detail15normal_iteratorINS6_10device_ptrIyEEEESG_SG_SG_PmS8_NS6_8equal_toIyEEEE10hipError_tPvRmT2_T3_mT4_T5_T6_T7_T8_P12ihipStream_tbENKUlT_T0_E_clISt17integral_constantIbLb1EES11_EEDaSW_SX_EUlSW_E_NS1_11comp_targetILNS1_3genE3ELNS1_11target_archE908ELNS1_3gpuE7ELNS1_3repE0EEENS1_30default_config_static_selectorELNS0_4arch9wavefront6targetE1EEEvT1_,comdat
	.protected	_ZN7rocprim17ROCPRIM_400000_NS6detail17trampoline_kernelINS0_14default_configENS1_29reduce_by_key_config_selectorIyyN6thrust23THRUST_200600_302600_NS4plusIyEEEEZZNS1_33reduce_by_key_impl_wrapped_configILNS1_25lookback_scan_determinismE0ES3_S9_NS6_6detail15normal_iteratorINS6_10device_ptrIyEEEESG_SG_SG_PmS8_NS6_8equal_toIyEEEE10hipError_tPvRmT2_T3_mT4_T5_T6_T7_T8_P12ihipStream_tbENKUlT_T0_E_clISt17integral_constantIbLb1EES11_EEDaSW_SX_EUlSW_E_NS1_11comp_targetILNS1_3genE3ELNS1_11target_archE908ELNS1_3gpuE7ELNS1_3repE0EEENS1_30default_config_static_selectorELNS0_4arch9wavefront6targetE1EEEvT1_ ; -- Begin function _ZN7rocprim17ROCPRIM_400000_NS6detail17trampoline_kernelINS0_14default_configENS1_29reduce_by_key_config_selectorIyyN6thrust23THRUST_200600_302600_NS4plusIyEEEEZZNS1_33reduce_by_key_impl_wrapped_configILNS1_25lookback_scan_determinismE0ES3_S9_NS6_6detail15normal_iteratorINS6_10device_ptrIyEEEESG_SG_SG_PmS8_NS6_8equal_toIyEEEE10hipError_tPvRmT2_T3_mT4_T5_T6_T7_T8_P12ihipStream_tbENKUlT_T0_E_clISt17integral_constantIbLb1EES11_EEDaSW_SX_EUlSW_E_NS1_11comp_targetILNS1_3genE3ELNS1_11target_archE908ELNS1_3gpuE7ELNS1_3repE0EEENS1_30default_config_static_selectorELNS0_4arch9wavefront6targetE1EEEvT1_
	.globl	_ZN7rocprim17ROCPRIM_400000_NS6detail17trampoline_kernelINS0_14default_configENS1_29reduce_by_key_config_selectorIyyN6thrust23THRUST_200600_302600_NS4plusIyEEEEZZNS1_33reduce_by_key_impl_wrapped_configILNS1_25lookback_scan_determinismE0ES3_S9_NS6_6detail15normal_iteratorINS6_10device_ptrIyEEEESG_SG_SG_PmS8_NS6_8equal_toIyEEEE10hipError_tPvRmT2_T3_mT4_T5_T6_T7_T8_P12ihipStream_tbENKUlT_T0_E_clISt17integral_constantIbLb1EES11_EEDaSW_SX_EUlSW_E_NS1_11comp_targetILNS1_3genE3ELNS1_11target_archE908ELNS1_3gpuE7ELNS1_3repE0EEENS1_30default_config_static_selectorELNS0_4arch9wavefront6targetE1EEEvT1_
	.p2align	8
	.type	_ZN7rocprim17ROCPRIM_400000_NS6detail17trampoline_kernelINS0_14default_configENS1_29reduce_by_key_config_selectorIyyN6thrust23THRUST_200600_302600_NS4plusIyEEEEZZNS1_33reduce_by_key_impl_wrapped_configILNS1_25lookback_scan_determinismE0ES3_S9_NS6_6detail15normal_iteratorINS6_10device_ptrIyEEEESG_SG_SG_PmS8_NS6_8equal_toIyEEEE10hipError_tPvRmT2_T3_mT4_T5_T6_T7_T8_P12ihipStream_tbENKUlT_T0_E_clISt17integral_constantIbLb1EES11_EEDaSW_SX_EUlSW_E_NS1_11comp_targetILNS1_3genE3ELNS1_11target_archE908ELNS1_3gpuE7ELNS1_3repE0EEENS1_30default_config_static_selectorELNS0_4arch9wavefront6targetE1EEEvT1_,@function
_ZN7rocprim17ROCPRIM_400000_NS6detail17trampoline_kernelINS0_14default_configENS1_29reduce_by_key_config_selectorIyyN6thrust23THRUST_200600_302600_NS4plusIyEEEEZZNS1_33reduce_by_key_impl_wrapped_configILNS1_25lookback_scan_determinismE0ES3_S9_NS6_6detail15normal_iteratorINS6_10device_ptrIyEEEESG_SG_SG_PmS8_NS6_8equal_toIyEEEE10hipError_tPvRmT2_T3_mT4_T5_T6_T7_T8_P12ihipStream_tbENKUlT_T0_E_clISt17integral_constantIbLb1EES11_EEDaSW_SX_EUlSW_E_NS1_11comp_targetILNS1_3genE3ELNS1_11target_archE908ELNS1_3gpuE7ELNS1_3repE0EEENS1_30default_config_static_selectorELNS0_4arch9wavefront6targetE1EEEvT1_: ; @_ZN7rocprim17ROCPRIM_400000_NS6detail17trampoline_kernelINS0_14default_configENS1_29reduce_by_key_config_selectorIyyN6thrust23THRUST_200600_302600_NS4plusIyEEEEZZNS1_33reduce_by_key_impl_wrapped_configILNS1_25lookback_scan_determinismE0ES3_S9_NS6_6detail15normal_iteratorINS6_10device_ptrIyEEEESG_SG_SG_PmS8_NS6_8equal_toIyEEEE10hipError_tPvRmT2_T3_mT4_T5_T6_T7_T8_P12ihipStream_tbENKUlT_T0_E_clISt17integral_constantIbLb1EES11_EEDaSW_SX_EUlSW_E_NS1_11comp_targetILNS1_3genE3ELNS1_11target_archE908ELNS1_3gpuE7ELNS1_3repE0EEENS1_30default_config_static_selectorELNS0_4arch9wavefront6targetE1EEEvT1_
; %bb.0:
	.section	.rodata,"a",@progbits
	.p2align	6, 0x0
	.amdhsa_kernel _ZN7rocprim17ROCPRIM_400000_NS6detail17trampoline_kernelINS0_14default_configENS1_29reduce_by_key_config_selectorIyyN6thrust23THRUST_200600_302600_NS4plusIyEEEEZZNS1_33reduce_by_key_impl_wrapped_configILNS1_25lookback_scan_determinismE0ES3_S9_NS6_6detail15normal_iteratorINS6_10device_ptrIyEEEESG_SG_SG_PmS8_NS6_8equal_toIyEEEE10hipError_tPvRmT2_T3_mT4_T5_T6_T7_T8_P12ihipStream_tbENKUlT_T0_E_clISt17integral_constantIbLb1EES11_EEDaSW_SX_EUlSW_E_NS1_11comp_targetILNS1_3genE3ELNS1_11target_archE908ELNS1_3gpuE7ELNS1_3repE0EEENS1_30default_config_static_selectorELNS0_4arch9wavefront6targetE1EEEvT1_
		.amdhsa_group_segment_fixed_size 0
		.amdhsa_private_segment_fixed_size 0
		.amdhsa_kernarg_size 136
		.amdhsa_user_sgpr_count 6
		.amdhsa_user_sgpr_private_segment_buffer 1
		.amdhsa_user_sgpr_dispatch_ptr 0
		.amdhsa_user_sgpr_queue_ptr 0
		.amdhsa_user_sgpr_kernarg_segment_ptr 1
		.amdhsa_user_sgpr_dispatch_id 0
		.amdhsa_user_sgpr_flat_scratch_init 0
		.amdhsa_user_sgpr_kernarg_preload_length 0
		.amdhsa_user_sgpr_kernarg_preload_offset 0
		.amdhsa_user_sgpr_private_segment_size 0
		.amdhsa_uses_dynamic_stack 0
		.amdhsa_system_sgpr_private_segment_wavefront_offset 0
		.amdhsa_system_sgpr_workgroup_id_x 1
		.amdhsa_system_sgpr_workgroup_id_y 0
		.amdhsa_system_sgpr_workgroup_id_z 0
		.amdhsa_system_sgpr_workgroup_info 0
		.amdhsa_system_vgpr_workitem_id 0
		.amdhsa_next_free_vgpr 1
		.amdhsa_next_free_sgpr 0
		.amdhsa_accum_offset 4
		.amdhsa_reserve_vcc 0
		.amdhsa_reserve_flat_scratch 0
		.amdhsa_float_round_mode_32 0
		.amdhsa_float_round_mode_16_64 0
		.amdhsa_float_denorm_mode_32 3
		.amdhsa_float_denorm_mode_16_64 3
		.amdhsa_dx10_clamp 1
		.amdhsa_ieee_mode 1
		.amdhsa_fp16_overflow 0
		.amdhsa_tg_split 0
		.amdhsa_exception_fp_ieee_invalid_op 0
		.amdhsa_exception_fp_denorm_src 0
		.amdhsa_exception_fp_ieee_div_zero 0
		.amdhsa_exception_fp_ieee_overflow 0
		.amdhsa_exception_fp_ieee_underflow 0
		.amdhsa_exception_fp_ieee_inexact 0
		.amdhsa_exception_int_div_zero 0
	.end_amdhsa_kernel
	.section	.text._ZN7rocprim17ROCPRIM_400000_NS6detail17trampoline_kernelINS0_14default_configENS1_29reduce_by_key_config_selectorIyyN6thrust23THRUST_200600_302600_NS4plusIyEEEEZZNS1_33reduce_by_key_impl_wrapped_configILNS1_25lookback_scan_determinismE0ES3_S9_NS6_6detail15normal_iteratorINS6_10device_ptrIyEEEESG_SG_SG_PmS8_NS6_8equal_toIyEEEE10hipError_tPvRmT2_T3_mT4_T5_T6_T7_T8_P12ihipStream_tbENKUlT_T0_E_clISt17integral_constantIbLb1EES11_EEDaSW_SX_EUlSW_E_NS1_11comp_targetILNS1_3genE3ELNS1_11target_archE908ELNS1_3gpuE7ELNS1_3repE0EEENS1_30default_config_static_selectorELNS0_4arch9wavefront6targetE1EEEvT1_,"axG",@progbits,_ZN7rocprim17ROCPRIM_400000_NS6detail17trampoline_kernelINS0_14default_configENS1_29reduce_by_key_config_selectorIyyN6thrust23THRUST_200600_302600_NS4plusIyEEEEZZNS1_33reduce_by_key_impl_wrapped_configILNS1_25lookback_scan_determinismE0ES3_S9_NS6_6detail15normal_iteratorINS6_10device_ptrIyEEEESG_SG_SG_PmS8_NS6_8equal_toIyEEEE10hipError_tPvRmT2_T3_mT4_T5_T6_T7_T8_P12ihipStream_tbENKUlT_T0_E_clISt17integral_constantIbLb1EES11_EEDaSW_SX_EUlSW_E_NS1_11comp_targetILNS1_3genE3ELNS1_11target_archE908ELNS1_3gpuE7ELNS1_3repE0EEENS1_30default_config_static_selectorELNS0_4arch9wavefront6targetE1EEEvT1_,comdat
.Lfunc_end251:
	.size	_ZN7rocprim17ROCPRIM_400000_NS6detail17trampoline_kernelINS0_14default_configENS1_29reduce_by_key_config_selectorIyyN6thrust23THRUST_200600_302600_NS4plusIyEEEEZZNS1_33reduce_by_key_impl_wrapped_configILNS1_25lookback_scan_determinismE0ES3_S9_NS6_6detail15normal_iteratorINS6_10device_ptrIyEEEESG_SG_SG_PmS8_NS6_8equal_toIyEEEE10hipError_tPvRmT2_T3_mT4_T5_T6_T7_T8_P12ihipStream_tbENKUlT_T0_E_clISt17integral_constantIbLb1EES11_EEDaSW_SX_EUlSW_E_NS1_11comp_targetILNS1_3genE3ELNS1_11target_archE908ELNS1_3gpuE7ELNS1_3repE0EEENS1_30default_config_static_selectorELNS0_4arch9wavefront6targetE1EEEvT1_, .Lfunc_end251-_ZN7rocprim17ROCPRIM_400000_NS6detail17trampoline_kernelINS0_14default_configENS1_29reduce_by_key_config_selectorIyyN6thrust23THRUST_200600_302600_NS4plusIyEEEEZZNS1_33reduce_by_key_impl_wrapped_configILNS1_25lookback_scan_determinismE0ES3_S9_NS6_6detail15normal_iteratorINS6_10device_ptrIyEEEESG_SG_SG_PmS8_NS6_8equal_toIyEEEE10hipError_tPvRmT2_T3_mT4_T5_T6_T7_T8_P12ihipStream_tbENKUlT_T0_E_clISt17integral_constantIbLb1EES11_EEDaSW_SX_EUlSW_E_NS1_11comp_targetILNS1_3genE3ELNS1_11target_archE908ELNS1_3gpuE7ELNS1_3repE0EEENS1_30default_config_static_selectorELNS0_4arch9wavefront6targetE1EEEvT1_
                                        ; -- End function
	.section	.AMDGPU.csdata,"",@progbits
; Kernel info:
; codeLenInByte = 0
; NumSgprs: 4
; NumVgprs: 0
; NumAgprs: 0
; TotalNumVgprs: 0
; ScratchSize: 0
; MemoryBound: 0
; FloatMode: 240
; IeeeMode: 1
; LDSByteSize: 0 bytes/workgroup (compile time only)
; SGPRBlocks: 0
; VGPRBlocks: 0
; NumSGPRsForWavesPerEU: 4
; NumVGPRsForWavesPerEU: 1
; AccumOffset: 4
; Occupancy: 8
; WaveLimiterHint : 0
; COMPUTE_PGM_RSRC2:SCRATCH_EN: 0
; COMPUTE_PGM_RSRC2:USER_SGPR: 6
; COMPUTE_PGM_RSRC2:TRAP_HANDLER: 0
; COMPUTE_PGM_RSRC2:TGID_X_EN: 1
; COMPUTE_PGM_RSRC2:TGID_Y_EN: 0
; COMPUTE_PGM_RSRC2:TGID_Z_EN: 0
; COMPUTE_PGM_RSRC2:TIDIG_COMP_CNT: 0
; COMPUTE_PGM_RSRC3_GFX90A:ACCUM_OFFSET: 0
; COMPUTE_PGM_RSRC3_GFX90A:TG_SPLIT: 0
	.section	.text._ZN7rocprim17ROCPRIM_400000_NS6detail17trampoline_kernelINS0_14default_configENS1_29reduce_by_key_config_selectorIyyN6thrust23THRUST_200600_302600_NS4plusIyEEEEZZNS1_33reduce_by_key_impl_wrapped_configILNS1_25lookback_scan_determinismE0ES3_S9_NS6_6detail15normal_iteratorINS6_10device_ptrIyEEEESG_SG_SG_PmS8_NS6_8equal_toIyEEEE10hipError_tPvRmT2_T3_mT4_T5_T6_T7_T8_P12ihipStream_tbENKUlT_T0_E_clISt17integral_constantIbLb1EES11_EEDaSW_SX_EUlSW_E_NS1_11comp_targetILNS1_3genE2ELNS1_11target_archE906ELNS1_3gpuE6ELNS1_3repE0EEENS1_30default_config_static_selectorELNS0_4arch9wavefront6targetE1EEEvT1_,"axG",@progbits,_ZN7rocprim17ROCPRIM_400000_NS6detail17trampoline_kernelINS0_14default_configENS1_29reduce_by_key_config_selectorIyyN6thrust23THRUST_200600_302600_NS4plusIyEEEEZZNS1_33reduce_by_key_impl_wrapped_configILNS1_25lookback_scan_determinismE0ES3_S9_NS6_6detail15normal_iteratorINS6_10device_ptrIyEEEESG_SG_SG_PmS8_NS6_8equal_toIyEEEE10hipError_tPvRmT2_T3_mT4_T5_T6_T7_T8_P12ihipStream_tbENKUlT_T0_E_clISt17integral_constantIbLb1EES11_EEDaSW_SX_EUlSW_E_NS1_11comp_targetILNS1_3genE2ELNS1_11target_archE906ELNS1_3gpuE6ELNS1_3repE0EEENS1_30default_config_static_selectorELNS0_4arch9wavefront6targetE1EEEvT1_,comdat
	.protected	_ZN7rocprim17ROCPRIM_400000_NS6detail17trampoline_kernelINS0_14default_configENS1_29reduce_by_key_config_selectorIyyN6thrust23THRUST_200600_302600_NS4plusIyEEEEZZNS1_33reduce_by_key_impl_wrapped_configILNS1_25lookback_scan_determinismE0ES3_S9_NS6_6detail15normal_iteratorINS6_10device_ptrIyEEEESG_SG_SG_PmS8_NS6_8equal_toIyEEEE10hipError_tPvRmT2_T3_mT4_T5_T6_T7_T8_P12ihipStream_tbENKUlT_T0_E_clISt17integral_constantIbLb1EES11_EEDaSW_SX_EUlSW_E_NS1_11comp_targetILNS1_3genE2ELNS1_11target_archE906ELNS1_3gpuE6ELNS1_3repE0EEENS1_30default_config_static_selectorELNS0_4arch9wavefront6targetE1EEEvT1_ ; -- Begin function _ZN7rocprim17ROCPRIM_400000_NS6detail17trampoline_kernelINS0_14default_configENS1_29reduce_by_key_config_selectorIyyN6thrust23THRUST_200600_302600_NS4plusIyEEEEZZNS1_33reduce_by_key_impl_wrapped_configILNS1_25lookback_scan_determinismE0ES3_S9_NS6_6detail15normal_iteratorINS6_10device_ptrIyEEEESG_SG_SG_PmS8_NS6_8equal_toIyEEEE10hipError_tPvRmT2_T3_mT4_T5_T6_T7_T8_P12ihipStream_tbENKUlT_T0_E_clISt17integral_constantIbLb1EES11_EEDaSW_SX_EUlSW_E_NS1_11comp_targetILNS1_3genE2ELNS1_11target_archE906ELNS1_3gpuE6ELNS1_3repE0EEENS1_30default_config_static_selectorELNS0_4arch9wavefront6targetE1EEEvT1_
	.globl	_ZN7rocprim17ROCPRIM_400000_NS6detail17trampoline_kernelINS0_14default_configENS1_29reduce_by_key_config_selectorIyyN6thrust23THRUST_200600_302600_NS4plusIyEEEEZZNS1_33reduce_by_key_impl_wrapped_configILNS1_25lookback_scan_determinismE0ES3_S9_NS6_6detail15normal_iteratorINS6_10device_ptrIyEEEESG_SG_SG_PmS8_NS6_8equal_toIyEEEE10hipError_tPvRmT2_T3_mT4_T5_T6_T7_T8_P12ihipStream_tbENKUlT_T0_E_clISt17integral_constantIbLb1EES11_EEDaSW_SX_EUlSW_E_NS1_11comp_targetILNS1_3genE2ELNS1_11target_archE906ELNS1_3gpuE6ELNS1_3repE0EEENS1_30default_config_static_selectorELNS0_4arch9wavefront6targetE1EEEvT1_
	.p2align	8
	.type	_ZN7rocprim17ROCPRIM_400000_NS6detail17trampoline_kernelINS0_14default_configENS1_29reduce_by_key_config_selectorIyyN6thrust23THRUST_200600_302600_NS4plusIyEEEEZZNS1_33reduce_by_key_impl_wrapped_configILNS1_25lookback_scan_determinismE0ES3_S9_NS6_6detail15normal_iteratorINS6_10device_ptrIyEEEESG_SG_SG_PmS8_NS6_8equal_toIyEEEE10hipError_tPvRmT2_T3_mT4_T5_T6_T7_T8_P12ihipStream_tbENKUlT_T0_E_clISt17integral_constantIbLb1EES11_EEDaSW_SX_EUlSW_E_NS1_11comp_targetILNS1_3genE2ELNS1_11target_archE906ELNS1_3gpuE6ELNS1_3repE0EEENS1_30default_config_static_selectorELNS0_4arch9wavefront6targetE1EEEvT1_,@function
_ZN7rocprim17ROCPRIM_400000_NS6detail17trampoline_kernelINS0_14default_configENS1_29reduce_by_key_config_selectorIyyN6thrust23THRUST_200600_302600_NS4plusIyEEEEZZNS1_33reduce_by_key_impl_wrapped_configILNS1_25lookback_scan_determinismE0ES3_S9_NS6_6detail15normal_iteratorINS6_10device_ptrIyEEEESG_SG_SG_PmS8_NS6_8equal_toIyEEEE10hipError_tPvRmT2_T3_mT4_T5_T6_T7_T8_P12ihipStream_tbENKUlT_T0_E_clISt17integral_constantIbLb1EES11_EEDaSW_SX_EUlSW_E_NS1_11comp_targetILNS1_3genE2ELNS1_11target_archE906ELNS1_3gpuE6ELNS1_3repE0EEENS1_30default_config_static_selectorELNS0_4arch9wavefront6targetE1EEEvT1_: ; @_ZN7rocprim17ROCPRIM_400000_NS6detail17trampoline_kernelINS0_14default_configENS1_29reduce_by_key_config_selectorIyyN6thrust23THRUST_200600_302600_NS4plusIyEEEEZZNS1_33reduce_by_key_impl_wrapped_configILNS1_25lookback_scan_determinismE0ES3_S9_NS6_6detail15normal_iteratorINS6_10device_ptrIyEEEESG_SG_SG_PmS8_NS6_8equal_toIyEEEE10hipError_tPvRmT2_T3_mT4_T5_T6_T7_T8_P12ihipStream_tbENKUlT_T0_E_clISt17integral_constantIbLb1EES11_EEDaSW_SX_EUlSW_E_NS1_11comp_targetILNS1_3genE2ELNS1_11target_archE906ELNS1_3gpuE6ELNS1_3repE0EEENS1_30default_config_static_selectorELNS0_4arch9wavefront6targetE1EEEvT1_
; %bb.0:
	.section	.rodata,"a",@progbits
	.p2align	6, 0x0
	.amdhsa_kernel _ZN7rocprim17ROCPRIM_400000_NS6detail17trampoline_kernelINS0_14default_configENS1_29reduce_by_key_config_selectorIyyN6thrust23THRUST_200600_302600_NS4plusIyEEEEZZNS1_33reduce_by_key_impl_wrapped_configILNS1_25lookback_scan_determinismE0ES3_S9_NS6_6detail15normal_iteratorINS6_10device_ptrIyEEEESG_SG_SG_PmS8_NS6_8equal_toIyEEEE10hipError_tPvRmT2_T3_mT4_T5_T6_T7_T8_P12ihipStream_tbENKUlT_T0_E_clISt17integral_constantIbLb1EES11_EEDaSW_SX_EUlSW_E_NS1_11comp_targetILNS1_3genE2ELNS1_11target_archE906ELNS1_3gpuE6ELNS1_3repE0EEENS1_30default_config_static_selectorELNS0_4arch9wavefront6targetE1EEEvT1_
		.amdhsa_group_segment_fixed_size 0
		.amdhsa_private_segment_fixed_size 0
		.amdhsa_kernarg_size 136
		.amdhsa_user_sgpr_count 6
		.amdhsa_user_sgpr_private_segment_buffer 1
		.amdhsa_user_sgpr_dispatch_ptr 0
		.amdhsa_user_sgpr_queue_ptr 0
		.amdhsa_user_sgpr_kernarg_segment_ptr 1
		.amdhsa_user_sgpr_dispatch_id 0
		.amdhsa_user_sgpr_flat_scratch_init 0
		.amdhsa_user_sgpr_kernarg_preload_length 0
		.amdhsa_user_sgpr_kernarg_preload_offset 0
		.amdhsa_user_sgpr_private_segment_size 0
		.amdhsa_uses_dynamic_stack 0
		.amdhsa_system_sgpr_private_segment_wavefront_offset 0
		.amdhsa_system_sgpr_workgroup_id_x 1
		.amdhsa_system_sgpr_workgroup_id_y 0
		.amdhsa_system_sgpr_workgroup_id_z 0
		.amdhsa_system_sgpr_workgroup_info 0
		.amdhsa_system_vgpr_workitem_id 0
		.amdhsa_next_free_vgpr 1
		.amdhsa_next_free_sgpr 0
		.amdhsa_accum_offset 4
		.amdhsa_reserve_vcc 0
		.amdhsa_reserve_flat_scratch 0
		.amdhsa_float_round_mode_32 0
		.amdhsa_float_round_mode_16_64 0
		.amdhsa_float_denorm_mode_32 3
		.amdhsa_float_denorm_mode_16_64 3
		.amdhsa_dx10_clamp 1
		.amdhsa_ieee_mode 1
		.amdhsa_fp16_overflow 0
		.amdhsa_tg_split 0
		.amdhsa_exception_fp_ieee_invalid_op 0
		.amdhsa_exception_fp_denorm_src 0
		.amdhsa_exception_fp_ieee_div_zero 0
		.amdhsa_exception_fp_ieee_overflow 0
		.amdhsa_exception_fp_ieee_underflow 0
		.amdhsa_exception_fp_ieee_inexact 0
		.amdhsa_exception_int_div_zero 0
	.end_amdhsa_kernel
	.section	.text._ZN7rocprim17ROCPRIM_400000_NS6detail17trampoline_kernelINS0_14default_configENS1_29reduce_by_key_config_selectorIyyN6thrust23THRUST_200600_302600_NS4plusIyEEEEZZNS1_33reduce_by_key_impl_wrapped_configILNS1_25lookback_scan_determinismE0ES3_S9_NS6_6detail15normal_iteratorINS6_10device_ptrIyEEEESG_SG_SG_PmS8_NS6_8equal_toIyEEEE10hipError_tPvRmT2_T3_mT4_T5_T6_T7_T8_P12ihipStream_tbENKUlT_T0_E_clISt17integral_constantIbLb1EES11_EEDaSW_SX_EUlSW_E_NS1_11comp_targetILNS1_3genE2ELNS1_11target_archE906ELNS1_3gpuE6ELNS1_3repE0EEENS1_30default_config_static_selectorELNS0_4arch9wavefront6targetE1EEEvT1_,"axG",@progbits,_ZN7rocprim17ROCPRIM_400000_NS6detail17trampoline_kernelINS0_14default_configENS1_29reduce_by_key_config_selectorIyyN6thrust23THRUST_200600_302600_NS4plusIyEEEEZZNS1_33reduce_by_key_impl_wrapped_configILNS1_25lookback_scan_determinismE0ES3_S9_NS6_6detail15normal_iteratorINS6_10device_ptrIyEEEESG_SG_SG_PmS8_NS6_8equal_toIyEEEE10hipError_tPvRmT2_T3_mT4_T5_T6_T7_T8_P12ihipStream_tbENKUlT_T0_E_clISt17integral_constantIbLb1EES11_EEDaSW_SX_EUlSW_E_NS1_11comp_targetILNS1_3genE2ELNS1_11target_archE906ELNS1_3gpuE6ELNS1_3repE0EEENS1_30default_config_static_selectorELNS0_4arch9wavefront6targetE1EEEvT1_,comdat
.Lfunc_end252:
	.size	_ZN7rocprim17ROCPRIM_400000_NS6detail17trampoline_kernelINS0_14default_configENS1_29reduce_by_key_config_selectorIyyN6thrust23THRUST_200600_302600_NS4plusIyEEEEZZNS1_33reduce_by_key_impl_wrapped_configILNS1_25lookback_scan_determinismE0ES3_S9_NS6_6detail15normal_iteratorINS6_10device_ptrIyEEEESG_SG_SG_PmS8_NS6_8equal_toIyEEEE10hipError_tPvRmT2_T3_mT4_T5_T6_T7_T8_P12ihipStream_tbENKUlT_T0_E_clISt17integral_constantIbLb1EES11_EEDaSW_SX_EUlSW_E_NS1_11comp_targetILNS1_3genE2ELNS1_11target_archE906ELNS1_3gpuE6ELNS1_3repE0EEENS1_30default_config_static_selectorELNS0_4arch9wavefront6targetE1EEEvT1_, .Lfunc_end252-_ZN7rocprim17ROCPRIM_400000_NS6detail17trampoline_kernelINS0_14default_configENS1_29reduce_by_key_config_selectorIyyN6thrust23THRUST_200600_302600_NS4plusIyEEEEZZNS1_33reduce_by_key_impl_wrapped_configILNS1_25lookback_scan_determinismE0ES3_S9_NS6_6detail15normal_iteratorINS6_10device_ptrIyEEEESG_SG_SG_PmS8_NS6_8equal_toIyEEEE10hipError_tPvRmT2_T3_mT4_T5_T6_T7_T8_P12ihipStream_tbENKUlT_T0_E_clISt17integral_constantIbLb1EES11_EEDaSW_SX_EUlSW_E_NS1_11comp_targetILNS1_3genE2ELNS1_11target_archE906ELNS1_3gpuE6ELNS1_3repE0EEENS1_30default_config_static_selectorELNS0_4arch9wavefront6targetE1EEEvT1_
                                        ; -- End function
	.section	.AMDGPU.csdata,"",@progbits
; Kernel info:
; codeLenInByte = 0
; NumSgprs: 4
; NumVgprs: 0
; NumAgprs: 0
; TotalNumVgprs: 0
; ScratchSize: 0
; MemoryBound: 0
; FloatMode: 240
; IeeeMode: 1
; LDSByteSize: 0 bytes/workgroup (compile time only)
; SGPRBlocks: 0
; VGPRBlocks: 0
; NumSGPRsForWavesPerEU: 4
; NumVGPRsForWavesPerEU: 1
; AccumOffset: 4
; Occupancy: 8
; WaveLimiterHint : 0
; COMPUTE_PGM_RSRC2:SCRATCH_EN: 0
; COMPUTE_PGM_RSRC2:USER_SGPR: 6
; COMPUTE_PGM_RSRC2:TRAP_HANDLER: 0
; COMPUTE_PGM_RSRC2:TGID_X_EN: 1
; COMPUTE_PGM_RSRC2:TGID_Y_EN: 0
; COMPUTE_PGM_RSRC2:TGID_Z_EN: 0
; COMPUTE_PGM_RSRC2:TIDIG_COMP_CNT: 0
; COMPUTE_PGM_RSRC3_GFX90A:ACCUM_OFFSET: 0
; COMPUTE_PGM_RSRC3_GFX90A:TG_SPLIT: 0
	.section	.text._ZN7rocprim17ROCPRIM_400000_NS6detail17trampoline_kernelINS0_14default_configENS1_29reduce_by_key_config_selectorIyyN6thrust23THRUST_200600_302600_NS4plusIyEEEEZZNS1_33reduce_by_key_impl_wrapped_configILNS1_25lookback_scan_determinismE0ES3_S9_NS6_6detail15normal_iteratorINS6_10device_ptrIyEEEESG_SG_SG_PmS8_NS6_8equal_toIyEEEE10hipError_tPvRmT2_T3_mT4_T5_T6_T7_T8_P12ihipStream_tbENKUlT_T0_E_clISt17integral_constantIbLb1EES11_EEDaSW_SX_EUlSW_E_NS1_11comp_targetILNS1_3genE10ELNS1_11target_archE1201ELNS1_3gpuE5ELNS1_3repE0EEENS1_30default_config_static_selectorELNS0_4arch9wavefront6targetE1EEEvT1_,"axG",@progbits,_ZN7rocprim17ROCPRIM_400000_NS6detail17trampoline_kernelINS0_14default_configENS1_29reduce_by_key_config_selectorIyyN6thrust23THRUST_200600_302600_NS4plusIyEEEEZZNS1_33reduce_by_key_impl_wrapped_configILNS1_25lookback_scan_determinismE0ES3_S9_NS6_6detail15normal_iteratorINS6_10device_ptrIyEEEESG_SG_SG_PmS8_NS6_8equal_toIyEEEE10hipError_tPvRmT2_T3_mT4_T5_T6_T7_T8_P12ihipStream_tbENKUlT_T0_E_clISt17integral_constantIbLb1EES11_EEDaSW_SX_EUlSW_E_NS1_11comp_targetILNS1_3genE10ELNS1_11target_archE1201ELNS1_3gpuE5ELNS1_3repE0EEENS1_30default_config_static_selectorELNS0_4arch9wavefront6targetE1EEEvT1_,comdat
	.protected	_ZN7rocprim17ROCPRIM_400000_NS6detail17trampoline_kernelINS0_14default_configENS1_29reduce_by_key_config_selectorIyyN6thrust23THRUST_200600_302600_NS4plusIyEEEEZZNS1_33reduce_by_key_impl_wrapped_configILNS1_25lookback_scan_determinismE0ES3_S9_NS6_6detail15normal_iteratorINS6_10device_ptrIyEEEESG_SG_SG_PmS8_NS6_8equal_toIyEEEE10hipError_tPvRmT2_T3_mT4_T5_T6_T7_T8_P12ihipStream_tbENKUlT_T0_E_clISt17integral_constantIbLb1EES11_EEDaSW_SX_EUlSW_E_NS1_11comp_targetILNS1_3genE10ELNS1_11target_archE1201ELNS1_3gpuE5ELNS1_3repE0EEENS1_30default_config_static_selectorELNS0_4arch9wavefront6targetE1EEEvT1_ ; -- Begin function _ZN7rocprim17ROCPRIM_400000_NS6detail17trampoline_kernelINS0_14default_configENS1_29reduce_by_key_config_selectorIyyN6thrust23THRUST_200600_302600_NS4plusIyEEEEZZNS1_33reduce_by_key_impl_wrapped_configILNS1_25lookback_scan_determinismE0ES3_S9_NS6_6detail15normal_iteratorINS6_10device_ptrIyEEEESG_SG_SG_PmS8_NS6_8equal_toIyEEEE10hipError_tPvRmT2_T3_mT4_T5_T6_T7_T8_P12ihipStream_tbENKUlT_T0_E_clISt17integral_constantIbLb1EES11_EEDaSW_SX_EUlSW_E_NS1_11comp_targetILNS1_3genE10ELNS1_11target_archE1201ELNS1_3gpuE5ELNS1_3repE0EEENS1_30default_config_static_selectorELNS0_4arch9wavefront6targetE1EEEvT1_
	.globl	_ZN7rocprim17ROCPRIM_400000_NS6detail17trampoline_kernelINS0_14default_configENS1_29reduce_by_key_config_selectorIyyN6thrust23THRUST_200600_302600_NS4plusIyEEEEZZNS1_33reduce_by_key_impl_wrapped_configILNS1_25lookback_scan_determinismE0ES3_S9_NS6_6detail15normal_iteratorINS6_10device_ptrIyEEEESG_SG_SG_PmS8_NS6_8equal_toIyEEEE10hipError_tPvRmT2_T3_mT4_T5_T6_T7_T8_P12ihipStream_tbENKUlT_T0_E_clISt17integral_constantIbLb1EES11_EEDaSW_SX_EUlSW_E_NS1_11comp_targetILNS1_3genE10ELNS1_11target_archE1201ELNS1_3gpuE5ELNS1_3repE0EEENS1_30default_config_static_selectorELNS0_4arch9wavefront6targetE1EEEvT1_
	.p2align	8
	.type	_ZN7rocprim17ROCPRIM_400000_NS6detail17trampoline_kernelINS0_14default_configENS1_29reduce_by_key_config_selectorIyyN6thrust23THRUST_200600_302600_NS4plusIyEEEEZZNS1_33reduce_by_key_impl_wrapped_configILNS1_25lookback_scan_determinismE0ES3_S9_NS6_6detail15normal_iteratorINS6_10device_ptrIyEEEESG_SG_SG_PmS8_NS6_8equal_toIyEEEE10hipError_tPvRmT2_T3_mT4_T5_T6_T7_T8_P12ihipStream_tbENKUlT_T0_E_clISt17integral_constantIbLb1EES11_EEDaSW_SX_EUlSW_E_NS1_11comp_targetILNS1_3genE10ELNS1_11target_archE1201ELNS1_3gpuE5ELNS1_3repE0EEENS1_30default_config_static_selectorELNS0_4arch9wavefront6targetE1EEEvT1_,@function
_ZN7rocprim17ROCPRIM_400000_NS6detail17trampoline_kernelINS0_14default_configENS1_29reduce_by_key_config_selectorIyyN6thrust23THRUST_200600_302600_NS4plusIyEEEEZZNS1_33reduce_by_key_impl_wrapped_configILNS1_25lookback_scan_determinismE0ES3_S9_NS6_6detail15normal_iteratorINS6_10device_ptrIyEEEESG_SG_SG_PmS8_NS6_8equal_toIyEEEE10hipError_tPvRmT2_T3_mT4_T5_T6_T7_T8_P12ihipStream_tbENKUlT_T0_E_clISt17integral_constantIbLb1EES11_EEDaSW_SX_EUlSW_E_NS1_11comp_targetILNS1_3genE10ELNS1_11target_archE1201ELNS1_3gpuE5ELNS1_3repE0EEENS1_30default_config_static_selectorELNS0_4arch9wavefront6targetE1EEEvT1_: ; @_ZN7rocprim17ROCPRIM_400000_NS6detail17trampoline_kernelINS0_14default_configENS1_29reduce_by_key_config_selectorIyyN6thrust23THRUST_200600_302600_NS4plusIyEEEEZZNS1_33reduce_by_key_impl_wrapped_configILNS1_25lookback_scan_determinismE0ES3_S9_NS6_6detail15normal_iteratorINS6_10device_ptrIyEEEESG_SG_SG_PmS8_NS6_8equal_toIyEEEE10hipError_tPvRmT2_T3_mT4_T5_T6_T7_T8_P12ihipStream_tbENKUlT_T0_E_clISt17integral_constantIbLb1EES11_EEDaSW_SX_EUlSW_E_NS1_11comp_targetILNS1_3genE10ELNS1_11target_archE1201ELNS1_3gpuE5ELNS1_3repE0EEENS1_30default_config_static_selectorELNS0_4arch9wavefront6targetE1EEEvT1_
; %bb.0:
	.section	.rodata,"a",@progbits
	.p2align	6, 0x0
	.amdhsa_kernel _ZN7rocprim17ROCPRIM_400000_NS6detail17trampoline_kernelINS0_14default_configENS1_29reduce_by_key_config_selectorIyyN6thrust23THRUST_200600_302600_NS4plusIyEEEEZZNS1_33reduce_by_key_impl_wrapped_configILNS1_25lookback_scan_determinismE0ES3_S9_NS6_6detail15normal_iteratorINS6_10device_ptrIyEEEESG_SG_SG_PmS8_NS6_8equal_toIyEEEE10hipError_tPvRmT2_T3_mT4_T5_T6_T7_T8_P12ihipStream_tbENKUlT_T0_E_clISt17integral_constantIbLb1EES11_EEDaSW_SX_EUlSW_E_NS1_11comp_targetILNS1_3genE10ELNS1_11target_archE1201ELNS1_3gpuE5ELNS1_3repE0EEENS1_30default_config_static_selectorELNS0_4arch9wavefront6targetE1EEEvT1_
		.amdhsa_group_segment_fixed_size 0
		.amdhsa_private_segment_fixed_size 0
		.amdhsa_kernarg_size 136
		.amdhsa_user_sgpr_count 6
		.amdhsa_user_sgpr_private_segment_buffer 1
		.amdhsa_user_sgpr_dispatch_ptr 0
		.amdhsa_user_sgpr_queue_ptr 0
		.amdhsa_user_sgpr_kernarg_segment_ptr 1
		.amdhsa_user_sgpr_dispatch_id 0
		.amdhsa_user_sgpr_flat_scratch_init 0
		.amdhsa_user_sgpr_kernarg_preload_length 0
		.amdhsa_user_sgpr_kernarg_preload_offset 0
		.amdhsa_user_sgpr_private_segment_size 0
		.amdhsa_uses_dynamic_stack 0
		.amdhsa_system_sgpr_private_segment_wavefront_offset 0
		.amdhsa_system_sgpr_workgroup_id_x 1
		.amdhsa_system_sgpr_workgroup_id_y 0
		.amdhsa_system_sgpr_workgroup_id_z 0
		.amdhsa_system_sgpr_workgroup_info 0
		.amdhsa_system_vgpr_workitem_id 0
		.amdhsa_next_free_vgpr 1
		.amdhsa_next_free_sgpr 0
		.amdhsa_accum_offset 4
		.amdhsa_reserve_vcc 0
		.amdhsa_reserve_flat_scratch 0
		.amdhsa_float_round_mode_32 0
		.amdhsa_float_round_mode_16_64 0
		.amdhsa_float_denorm_mode_32 3
		.amdhsa_float_denorm_mode_16_64 3
		.amdhsa_dx10_clamp 1
		.amdhsa_ieee_mode 1
		.amdhsa_fp16_overflow 0
		.amdhsa_tg_split 0
		.amdhsa_exception_fp_ieee_invalid_op 0
		.amdhsa_exception_fp_denorm_src 0
		.amdhsa_exception_fp_ieee_div_zero 0
		.amdhsa_exception_fp_ieee_overflow 0
		.amdhsa_exception_fp_ieee_underflow 0
		.amdhsa_exception_fp_ieee_inexact 0
		.amdhsa_exception_int_div_zero 0
	.end_amdhsa_kernel
	.section	.text._ZN7rocprim17ROCPRIM_400000_NS6detail17trampoline_kernelINS0_14default_configENS1_29reduce_by_key_config_selectorIyyN6thrust23THRUST_200600_302600_NS4plusIyEEEEZZNS1_33reduce_by_key_impl_wrapped_configILNS1_25lookback_scan_determinismE0ES3_S9_NS6_6detail15normal_iteratorINS6_10device_ptrIyEEEESG_SG_SG_PmS8_NS6_8equal_toIyEEEE10hipError_tPvRmT2_T3_mT4_T5_T6_T7_T8_P12ihipStream_tbENKUlT_T0_E_clISt17integral_constantIbLb1EES11_EEDaSW_SX_EUlSW_E_NS1_11comp_targetILNS1_3genE10ELNS1_11target_archE1201ELNS1_3gpuE5ELNS1_3repE0EEENS1_30default_config_static_selectorELNS0_4arch9wavefront6targetE1EEEvT1_,"axG",@progbits,_ZN7rocprim17ROCPRIM_400000_NS6detail17trampoline_kernelINS0_14default_configENS1_29reduce_by_key_config_selectorIyyN6thrust23THRUST_200600_302600_NS4plusIyEEEEZZNS1_33reduce_by_key_impl_wrapped_configILNS1_25lookback_scan_determinismE0ES3_S9_NS6_6detail15normal_iteratorINS6_10device_ptrIyEEEESG_SG_SG_PmS8_NS6_8equal_toIyEEEE10hipError_tPvRmT2_T3_mT4_T5_T6_T7_T8_P12ihipStream_tbENKUlT_T0_E_clISt17integral_constantIbLb1EES11_EEDaSW_SX_EUlSW_E_NS1_11comp_targetILNS1_3genE10ELNS1_11target_archE1201ELNS1_3gpuE5ELNS1_3repE0EEENS1_30default_config_static_selectorELNS0_4arch9wavefront6targetE1EEEvT1_,comdat
.Lfunc_end253:
	.size	_ZN7rocprim17ROCPRIM_400000_NS6detail17trampoline_kernelINS0_14default_configENS1_29reduce_by_key_config_selectorIyyN6thrust23THRUST_200600_302600_NS4plusIyEEEEZZNS1_33reduce_by_key_impl_wrapped_configILNS1_25lookback_scan_determinismE0ES3_S9_NS6_6detail15normal_iteratorINS6_10device_ptrIyEEEESG_SG_SG_PmS8_NS6_8equal_toIyEEEE10hipError_tPvRmT2_T3_mT4_T5_T6_T7_T8_P12ihipStream_tbENKUlT_T0_E_clISt17integral_constantIbLb1EES11_EEDaSW_SX_EUlSW_E_NS1_11comp_targetILNS1_3genE10ELNS1_11target_archE1201ELNS1_3gpuE5ELNS1_3repE0EEENS1_30default_config_static_selectorELNS0_4arch9wavefront6targetE1EEEvT1_, .Lfunc_end253-_ZN7rocprim17ROCPRIM_400000_NS6detail17trampoline_kernelINS0_14default_configENS1_29reduce_by_key_config_selectorIyyN6thrust23THRUST_200600_302600_NS4plusIyEEEEZZNS1_33reduce_by_key_impl_wrapped_configILNS1_25lookback_scan_determinismE0ES3_S9_NS6_6detail15normal_iteratorINS6_10device_ptrIyEEEESG_SG_SG_PmS8_NS6_8equal_toIyEEEE10hipError_tPvRmT2_T3_mT4_T5_T6_T7_T8_P12ihipStream_tbENKUlT_T0_E_clISt17integral_constantIbLb1EES11_EEDaSW_SX_EUlSW_E_NS1_11comp_targetILNS1_3genE10ELNS1_11target_archE1201ELNS1_3gpuE5ELNS1_3repE0EEENS1_30default_config_static_selectorELNS0_4arch9wavefront6targetE1EEEvT1_
                                        ; -- End function
	.section	.AMDGPU.csdata,"",@progbits
; Kernel info:
; codeLenInByte = 0
; NumSgprs: 4
; NumVgprs: 0
; NumAgprs: 0
; TotalNumVgprs: 0
; ScratchSize: 0
; MemoryBound: 0
; FloatMode: 240
; IeeeMode: 1
; LDSByteSize: 0 bytes/workgroup (compile time only)
; SGPRBlocks: 0
; VGPRBlocks: 0
; NumSGPRsForWavesPerEU: 4
; NumVGPRsForWavesPerEU: 1
; AccumOffset: 4
; Occupancy: 8
; WaveLimiterHint : 0
; COMPUTE_PGM_RSRC2:SCRATCH_EN: 0
; COMPUTE_PGM_RSRC2:USER_SGPR: 6
; COMPUTE_PGM_RSRC2:TRAP_HANDLER: 0
; COMPUTE_PGM_RSRC2:TGID_X_EN: 1
; COMPUTE_PGM_RSRC2:TGID_Y_EN: 0
; COMPUTE_PGM_RSRC2:TGID_Z_EN: 0
; COMPUTE_PGM_RSRC2:TIDIG_COMP_CNT: 0
; COMPUTE_PGM_RSRC3_GFX90A:ACCUM_OFFSET: 0
; COMPUTE_PGM_RSRC3_GFX90A:TG_SPLIT: 0
	.section	.text._ZN7rocprim17ROCPRIM_400000_NS6detail17trampoline_kernelINS0_14default_configENS1_29reduce_by_key_config_selectorIyyN6thrust23THRUST_200600_302600_NS4plusIyEEEEZZNS1_33reduce_by_key_impl_wrapped_configILNS1_25lookback_scan_determinismE0ES3_S9_NS6_6detail15normal_iteratorINS6_10device_ptrIyEEEESG_SG_SG_PmS8_NS6_8equal_toIyEEEE10hipError_tPvRmT2_T3_mT4_T5_T6_T7_T8_P12ihipStream_tbENKUlT_T0_E_clISt17integral_constantIbLb1EES11_EEDaSW_SX_EUlSW_E_NS1_11comp_targetILNS1_3genE10ELNS1_11target_archE1200ELNS1_3gpuE4ELNS1_3repE0EEENS1_30default_config_static_selectorELNS0_4arch9wavefront6targetE1EEEvT1_,"axG",@progbits,_ZN7rocprim17ROCPRIM_400000_NS6detail17trampoline_kernelINS0_14default_configENS1_29reduce_by_key_config_selectorIyyN6thrust23THRUST_200600_302600_NS4plusIyEEEEZZNS1_33reduce_by_key_impl_wrapped_configILNS1_25lookback_scan_determinismE0ES3_S9_NS6_6detail15normal_iteratorINS6_10device_ptrIyEEEESG_SG_SG_PmS8_NS6_8equal_toIyEEEE10hipError_tPvRmT2_T3_mT4_T5_T6_T7_T8_P12ihipStream_tbENKUlT_T0_E_clISt17integral_constantIbLb1EES11_EEDaSW_SX_EUlSW_E_NS1_11comp_targetILNS1_3genE10ELNS1_11target_archE1200ELNS1_3gpuE4ELNS1_3repE0EEENS1_30default_config_static_selectorELNS0_4arch9wavefront6targetE1EEEvT1_,comdat
	.protected	_ZN7rocprim17ROCPRIM_400000_NS6detail17trampoline_kernelINS0_14default_configENS1_29reduce_by_key_config_selectorIyyN6thrust23THRUST_200600_302600_NS4plusIyEEEEZZNS1_33reduce_by_key_impl_wrapped_configILNS1_25lookback_scan_determinismE0ES3_S9_NS6_6detail15normal_iteratorINS6_10device_ptrIyEEEESG_SG_SG_PmS8_NS6_8equal_toIyEEEE10hipError_tPvRmT2_T3_mT4_T5_T6_T7_T8_P12ihipStream_tbENKUlT_T0_E_clISt17integral_constantIbLb1EES11_EEDaSW_SX_EUlSW_E_NS1_11comp_targetILNS1_3genE10ELNS1_11target_archE1200ELNS1_3gpuE4ELNS1_3repE0EEENS1_30default_config_static_selectorELNS0_4arch9wavefront6targetE1EEEvT1_ ; -- Begin function _ZN7rocprim17ROCPRIM_400000_NS6detail17trampoline_kernelINS0_14default_configENS1_29reduce_by_key_config_selectorIyyN6thrust23THRUST_200600_302600_NS4plusIyEEEEZZNS1_33reduce_by_key_impl_wrapped_configILNS1_25lookback_scan_determinismE0ES3_S9_NS6_6detail15normal_iteratorINS6_10device_ptrIyEEEESG_SG_SG_PmS8_NS6_8equal_toIyEEEE10hipError_tPvRmT2_T3_mT4_T5_T6_T7_T8_P12ihipStream_tbENKUlT_T0_E_clISt17integral_constantIbLb1EES11_EEDaSW_SX_EUlSW_E_NS1_11comp_targetILNS1_3genE10ELNS1_11target_archE1200ELNS1_3gpuE4ELNS1_3repE0EEENS1_30default_config_static_selectorELNS0_4arch9wavefront6targetE1EEEvT1_
	.globl	_ZN7rocprim17ROCPRIM_400000_NS6detail17trampoline_kernelINS0_14default_configENS1_29reduce_by_key_config_selectorIyyN6thrust23THRUST_200600_302600_NS4plusIyEEEEZZNS1_33reduce_by_key_impl_wrapped_configILNS1_25lookback_scan_determinismE0ES3_S9_NS6_6detail15normal_iteratorINS6_10device_ptrIyEEEESG_SG_SG_PmS8_NS6_8equal_toIyEEEE10hipError_tPvRmT2_T3_mT4_T5_T6_T7_T8_P12ihipStream_tbENKUlT_T0_E_clISt17integral_constantIbLb1EES11_EEDaSW_SX_EUlSW_E_NS1_11comp_targetILNS1_3genE10ELNS1_11target_archE1200ELNS1_3gpuE4ELNS1_3repE0EEENS1_30default_config_static_selectorELNS0_4arch9wavefront6targetE1EEEvT1_
	.p2align	8
	.type	_ZN7rocprim17ROCPRIM_400000_NS6detail17trampoline_kernelINS0_14default_configENS1_29reduce_by_key_config_selectorIyyN6thrust23THRUST_200600_302600_NS4plusIyEEEEZZNS1_33reduce_by_key_impl_wrapped_configILNS1_25lookback_scan_determinismE0ES3_S9_NS6_6detail15normal_iteratorINS6_10device_ptrIyEEEESG_SG_SG_PmS8_NS6_8equal_toIyEEEE10hipError_tPvRmT2_T3_mT4_T5_T6_T7_T8_P12ihipStream_tbENKUlT_T0_E_clISt17integral_constantIbLb1EES11_EEDaSW_SX_EUlSW_E_NS1_11comp_targetILNS1_3genE10ELNS1_11target_archE1200ELNS1_3gpuE4ELNS1_3repE0EEENS1_30default_config_static_selectorELNS0_4arch9wavefront6targetE1EEEvT1_,@function
_ZN7rocprim17ROCPRIM_400000_NS6detail17trampoline_kernelINS0_14default_configENS1_29reduce_by_key_config_selectorIyyN6thrust23THRUST_200600_302600_NS4plusIyEEEEZZNS1_33reduce_by_key_impl_wrapped_configILNS1_25lookback_scan_determinismE0ES3_S9_NS6_6detail15normal_iteratorINS6_10device_ptrIyEEEESG_SG_SG_PmS8_NS6_8equal_toIyEEEE10hipError_tPvRmT2_T3_mT4_T5_T6_T7_T8_P12ihipStream_tbENKUlT_T0_E_clISt17integral_constantIbLb1EES11_EEDaSW_SX_EUlSW_E_NS1_11comp_targetILNS1_3genE10ELNS1_11target_archE1200ELNS1_3gpuE4ELNS1_3repE0EEENS1_30default_config_static_selectorELNS0_4arch9wavefront6targetE1EEEvT1_: ; @_ZN7rocprim17ROCPRIM_400000_NS6detail17trampoline_kernelINS0_14default_configENS1_29reduce_by_key_config_selectorIyyN6thrust23THRUST_200600_302600_NS4plusIyEEEEZZNS1_33reduce_by_key_impl_wrapped_configILNS1_25lookback_scan_determinismE0ES3_S9_NS6_6detail15normal_iteratorINS6_10device_ptrIyEEEESG_SG_SG_PmS8_NS6_8equal_toIyEEEE10hipError_tPvRmT2_T3_mT4_T5_T6_T7_T8_P12ihipStream_tbENKUlT_T0_E_clISt17integral_constantIbLb1EES11_EEDaSW_SX_EUlSW_E_NS1_11comp_targetILNS1_3genE10ELNS1_11target_archE1200ELNS1_3gpuE4ELNS1_3repE0EEENS1_30default_config_static_selectorELNS0_4arch9wavefront6targetE1EEEvT1_
; %bb.0:
	.section	.rodata,"a",@progbits
	.p2align	6, 0x0
	.amdhsa_kernel _ZN7rocprim17ROCPRIM_400000_NS6detail17trampoline_kernelINS0_14default_configENS1_29reduce_by_key_config_selectorIyyN6thrust23THRUST_200600_302600_NS4plusIyEEEEZZNS1_33reduce_by_key_impl_wrapped_configILNS1_25lookback_scan_determinismE0ES3_S9_NS6_6detail15normal_iteratorINS6_10device_ptrIyEEEESG_SG_SG_PmS8_NS6_8equal_toIyEEEE10hipError_tPvRmT2_T3_mT4_T5_T6_T7_T8_P12ihipStream_tbENKUlT_T0_E_clISt17integral_constantIbLb1EES11_EEDaSW_SX_EUlSW_E_NS1_11comp_targetILNS1_3genE10ELNS1_11target_archE1200ELNS1_3gpuE4ELNS1_3repE0EEENS1_30default_config_static_selectorELNS0_4arch9wavefront6targetE1EEEvT1_
		.amdhsa_group_segment_fixed_size 0
		.amdhsa_private_segment_fixed_size 0
		.amdhsa_kernarg_size 136
		.amdhsa_user_sgpr_count 6
		.amdhsa_user_sgpr_private_segment_buffer 1
		.amdhsa_user_sgpr_dispatch_ptr 0
		.amdhsa_user_sgpr_queue_ptr 0
		.amdhsa_user_sgpr_kernarg_segment_ptr 1
		.amdhsa_user_sgpr_dispatch_id 0
		.amdhsa_user_sgpr_flat_scratch_init 0
		.amdhsa_user_sgpr_kernarg_preload_length 0
		.amdhsa_user_sgpr_kernarg_preload_offset 0
		.amdhsa_user_sgpr_private_segment_size 0
		.amdhsa_uses_dynamic_stack 0
		.amdhsa_system_sgpr_private_segment_wavefront_offset 0
		.amdhsa_system_sgpr_workgroup_id_x 1
		.amdhsa_system_sgpr_workgroup_id_y 0
		.amdhsa_system_sgpr_workgroup_id_z 0
		.amdhsa_system_sgpr_workgroup_info 0
		.amdhsa_system_vgpr_workitem_id 0
		.amdhsa_next_free_vgpr 1
		.amdhsa_next_free_sgpr 0
		.amdhsa_accum_offset 4
		.amdhsa_reserve_vcc 0
		.amdhsa_reserve_flat_scratch 0
		.amdhsa_float_round_mode_32 0
		.amdhsa_float_round_mode_16_64 0
		.amdhsa_float_denorm_mode_32 3
		.amdhsa_float_denorm_mode_16_64 3
		.amdhsa_dx10_clamp 1
		.amdhsa_ieee_mode 1
		.amdhsa_fp16_overflow 0
		.amdhsa_tg_split 0
		.amdhsa_exception_fp_ieee_invalid_op 0
		.amdhsa_exception_fp_denorm_src 0
		.amdhsa_exception_fp_ieee_div_zero 0
		.amdhsa_exception_fp_ieee_overflow 0
		.amdhsa_exception_fp_ieee_underflow 0
		.amdhsa_exception_fp_ieee_inexact 0
		.amdhsa_exception_int_div_zero 0
	.end_amdhsa_kernel
	.section	.text._ZN7rocprim17ROCPRIM_400000_NS6detail17trampoline_kernelINS0_14default_configENS1_29reduce_by_key_config_selectorIyyN6thrust23THRUST_200600_302600_NS4plusIyEEEEZZNS1_33reduce_by_key_impl_wrapped_configILNS1_25lookback_scan_determinismE0ES3_S9_NS6_6detail15normal_iteratorINS6_10device_ptrIyEEEESG_SG_SG_PmS8_NS6_8equal_toIyEEEE10hipError_tPvRmT2_T3_mT4_T5_T6_T7_T8_P12ihipStream_tbENKUlT_T0_E_clISt17integral_constantIbLb1EES11_EEDaSW_SX_EUlSW_E_NS1_11comp_targetILNS1_3genE10ELNS1_11target_archE1200ELNS1_3gpuE4ELNS1_3repE0EEENS1_30default_config_static_selectorELNS0_4arch9wavefront6targetE1EEEvT1_,"axG",@progbits,_ZN7rocprim17ROCPRIM_400000_NS6detail17trampoline_kernelINS0_14default_configENS1_29reduce_by_key_config_selectorIyyN6thrust23THRUST_200600_302600_NS4plusIyEEEEZZNS1_33reduce_by_key_impl_wrapped_configILNS1_25lookback_scan_determinismE0ES3_S9_NS6_6detail15normal_iteratorINS6_10device_ptrIyEEEESG_SG_SG_PmS8_NS6_8equal_toIyEEEE10hipError_tPvRmT2_T3_mT4_T5_T6_T7_T8_P12ihipStream_tbENKUlT_T0_E_clISt17integral_constantIbLb1EES11_EEDaSW_SX_EUlSW_E_NS1_11comp_targetILNS1_3genE10ELNS1_11target_archE1200ELNS1_3gpuE4ELNS1_3repE0EEENS1_30default_config_static_selectorELNS0_4arch9wavefront6targetE1EEEvT1_,comdat
.Lfunc_end254:
	.size	_ZN7rocprim17ROCPRIM_400000_NS6detail17trampoline_kernelINS0_14default_configENS1_29reduce_by_key_config_selectorIyyN6thrust23THRUST_200600_302600_NS4plusIyEEEEZZNS1_33reduce_by_key_impl_wrapped_configILNS1_25lookback_scan_determinismE0ES3_S9_NS6_6detail15normal_iteratorINS6_10device_ptrIyEEEESG_SG_SG_PmS8_NS6_8equal_toIyEEEE10hipError_tPvRmT2_T3_mT4_T5_T6_T7_T8_P12ihipStream_tbENKUlT_T0_E_clISt17integral_constantIbLb1EES11_EEDaSW_SX_EUlSW_E_NS1_11comp_targetILNS1_3genE10ELNS1_11target_archE1200ELNS1_3gpuE4ELNS1_3repE0EEENS1_30default_config_static_selectorELNS0_4arch9wavefront6targetE1EEEvT1_, .Lfunc_end254-_ZN7rocprim17ROCPRIM_400000_NS6detail17trampoline_kernelINS0_14default_configENS1_29reduce_by_key_config_selectorIyyN6thrust23THRUST_200600_302600_NS4plusIyEEEEZZNS1_33reduce_by_key_impl_wrapped_configILNS1_25lookback_scan_determinismE0ES3_S9_NS6_6detail15normal_iteratorINS6_10device_ptrIyEEEESG_SG_SG_PmS8_NS6_8equal_toIyEEEE10hipError_tPvRmT2_T3_mT4_T5_T6_T7_T8_P12ihipStream_tbENKUlT_T0_E_clISt17integral_constantIbLb1EES11_EEDaSW_SX_EUlSW_E_NS1_11comp_targetILNS1_3genE10ELNS1_11target_archE1200ELNS1_3gpuE4ELNS1_3repE0EEENS1_30default_config_static_selectorELNS0_4arch9wavefront6targetE1EEEvT1_
                                        ; -- End function
	.section	.AMDGPU.csdata,"",@progbits
; Kernel info:
; codeLenInByte = 0
; NumSgprs: 4
; NumVgprs: 0
; NumAgprs: 0
; TotalNumVgprs: 0
; ScratchSize: 0
; MemoryBound: 0
; FloatMode: 240
; IeeeMode: 1
; LDSByteSize: 0 bytes/workgroup (compile time only)
; SGPRBlocks: 0
; VGPRBlocks: 0
; NumSGPRsForWavesPerEU: 4
; NumVGPRsForWavesPerEU: 1
; AccumOffset: 4
; Occupancy: 8
; WaveLimiterHint : 0
; COMPUTE_PGM_RSRC2:SCRATCH_EN: 0
; COMPUTE_PGM_RSRC2:USER_SGPR: 6
; COMPUTE_PGM_RSRC2:TRAP_HANDLER: 0
; COMPUTE_PGM_RSRC2:TGID_X_EN: 1
; COMPUTE_PGM_RSRC2:TGID_Y_EN: 0
; COMPUTE_PGM_RSRC2:TGID_Z_EN: 0
; COMPUTE_PGM_RSRC2:TIDIG_COMP_CNT: 0
; COMPUTE_PGM_RSRC3_GFX90A:ACCUM_OFFSET: 0
; COMPUTE_PGM_RSRC3_GFX90A:TG_SPLIT: 0
	.section	.text._ZN7rocprim17ROCPRIM_400000_NS6detail17trampoline_kernelINS0_14default_configENS1_29reduce_by_key_config_selectorIyyN6thrust23THRUST_200600_302600_NS4plusIyEEEEZZNS1_33reduce_by_key_impl_wrapped_configILNS1_25lookback_scan_determinismE0ES3_S9_NS6_6detail15normal_iteratorINS6_10device_ptrIyEEEESG_SG_SG_PmS8_NS6_8equal_toIyEEEE10hipError_tPvRmT2_T3_mT4_T5_T6_T7_T8_P12ihipStream_tbENKUlT_T0_E_clISt17integral_constantIbLb1EES11_EEDaSW_SX_EUlSW_E_NS1_11comp_targetILNS1_3genE9ELNS1_11target_archE1100ELNS1_3gpuE3ELNS1_3repE0EEENS1_30default_config_static_selectorELNS0_4arch9wavefront6targetE1EEEvT1_,"axG",@progbits,_ZN7rocprim17ROCPRIM_400000_NS6detail17trampoline_kernelINS0_14default_configENS1_29reduce_by_key_config_selectorIyyN6thrust23THRUST_200600_302600_NS4plusIyEEEEZZNS1_33reduce_by_key_impl_wrapped_configILNS1_25lookback_scan_determinismE0ES3_S9_NS6_6detail15normal_iteratorINS6_10device_ptrIyEEEESG_SG_SG_PmS8_NS6_8equal_toIyEEEE10hipError_tPvRmT2_T3_mT4_T5_T6_T7_T8_P12ihipStream_tbENKUlT_T0_E_clISt17integral_constantIbLb1EES11_EEDaSW_SX_EUlSW_E_NS1_11comp_targetILNS1_3genE9ELNS1_11target_archE1100ELNS1_3gpuE3ELNS1_3repE0EEENS1_30default_config_static_selectorELNS0_4arch9wavefront6targetE1EEEvT1_,comdat
	.protected	_ZN7rocprim17ROCPRIM_400000_NS6detail17trampoline_kernelINS0_14default_configENS1_29reduce_by_key_config_selectorIyyN6thrust23THRUST_200600_302600_NS4plusIyEEEEZZNS1_33reduce_by_key_impl_wrapped_configILNS1_25lookback_scan_determinismE0ES3_S9_NS6_6detail15normal_iteratorINS6_10device_ptrIyEEEESG_SG_SG_PmS8_NS6_8equal_toIyEEEE10hipError_tPvRmT2_T3_mT4_T5_T6_T7_T8_P12ihipStream_tbENKUlT_T0_E_clISt17integral_constantIbLb1EES11_EEDaSW_SX_EUlSW_E_NS1_11comp_targetILNS1_3genE9ELNS1_11target_archE1100ELNS1_3gpuE3ELNS1_3repE0EEENS1_30default_config_static_selectorELNS0_4arch9wavefront6targetE1EEEvT1_ ; -- Begin function _ZN7rocprim17ROCPRIM_400000_NS6detail17trampoline_kernelINS0_14default_configENS1_29reduce_by_key_config_selectorIyyN6thrust23THRUST_200600_302600_NS4plusIyEEEEZZNS1_33reduce_by_key_impl_wrapped_configILNS1_25lookback_scan_determinismE0ES3_S9_NS6_6detail15normal_iteratorINS6_10device_ptrIyEEEESG_SG_SG_PmS8_NS6_8equal_toIyEEEE10hipError_tPvRmT2_T3_mT4_T5_T6_T7_T8_P12ihipStream_tbENKUlT_T0_E_clISt17integral_constantIbLb1EES11_EEDaSW_SX_EUlSW_E_NS1_11comp_targetILNS1_3genE9ELNS1_11target_archE1100ELNS1_3gpuE3ELNS1_3repE0EEENS1_30default_config_static_selectorELNS0_4arch9wavefront6targetE1EEEvT1_
	.globl	_ZN7rocprim17ROCPRIM_400000_NS6detail17trampoline_kernelINS0_14default_configENS1_29reduce_by_key_config_selectorIyyN6thrust23THRUST_200600_302600_NS4plusIyEEEEZZNS1_33reduce_by_key_impl_wrapped_configILNS1_25lookback_scan_determinismE0ES3_S9_NS6_6detail15normal_iteratorINS6_10device_ptrIyEEEESG_SG_SG_PmS8_NS6_8equal_toIyEEEE10hipError_tPvRmT2_T3_mT4_T5_T6_T7_T8_P12ihipStream_tbENKUlT_T0_E_clISt17integral_constantIbLb1EES11_EEDaSW_SX_EUlSW_E_NS1_11comp_targetILNS1_3genE9ELNS1_11target_archE1100ELNS1_3gpuE3ELNS1_3repE0EEENS1_30default_config_static_selectorELNS0_4arch9wavefront6targetE1EEEvT1_
	.p2align	8
	.type	_ZN7rocprim17ROCPRIM_400000_NS6detail17trampoline_kernelINS0_14default_configENS1_29reduce_by_key_config_selectorIyyN6thrust23THRUST_200600_302600_NS4plusIyEEEEZZNS1_33reduce_by_key_impl_wrapped_configILNS1_25lookback_scan_determinismE0ES3_S9_NS6_6detail15normal_iteratorINS6_10device_ptrIyEEEESG_SG_SG_PmS8_NS6_8equal_toIyEEEE10hipError_tPvRmT2_T3_mT4_T5_T6_T7_T8_P12ihipStream_tbENKUlT_T0_E_clISt17integral_constantIbLb1EES11_EEDaSW_SX_EUlSW_E_NS1_11comp_targetILNS1_3genE9ELNS1_11target_archE1100ELNS1_3gpuE3ELNS1_3repE0EEENS1_30default_config_static_selectorELNS0_4arch9wavefront6targetE1EEEvT1_,@function
_ZN7rocprim17ROCPRIM_400000_NS6detail17trampoline_kernelINS0_14default_configENS1_29reduce_by_key_config_selectorIyyN6thrust23THRUST_200600_302600_NS4plusIyEEEEZZNS1_33reduce_by_key_impl_wrapped_configILNS1_25lookback_scan_determinismE0ES3_S9_NS6_6detail15normal_iteratorINS6_10device_ptrIyEEEESG_SG_SG_PmS8_NS6_8equal_toIyEEEE10hipError_tPvRmT2_T3_mT4_T5_T6_T7_T8_P12ihipStream_tbENKUlT_T0_E_clISt17integral_constantIbLb1EES11_EEDaSW_SX_EUlSW_E_NS1_11comp_targetILNS1_3genE9ELNS1_11target_archE1100ELNS1_3gpuE3ELNS1_3repE0EEENS1_30default_config_static_selectorELNS0_4arch9wavefront6targetE1EEEvT1_: ; @_ZN7rocprim17ROCPRIM_400000_NS6detail17trampoline_kernelINS0_14default_configENS1_29reduce_by_key_config_selectorIyyN6thrust23THRUST_200600_302600_NS4plusIyEEEEZZNS1_33reduce_by_key_impl_wrapped_configILNS1_25lookback_scan_determinismE0ES3_S9_NS6_6detail15normal_iteratorINS6_10device_ptrIyEEEESG_SG_SG_PmS8_NS6_8equal_toIyEEEE10hipError_tPvRmT2_T3_mT4_T5_T6_T7_T8_P12ihipStream_tbENKUlT_T0_E_clISt17integral_constantIbLb1EES11_EEDaSW_SX_EUlSW_E_NS1_11comp_targetILNS1_3genE9ELNS1_11target_archE1100ELNS1_3gpuE3ELNS1_3repE0EEENS1_30default_config_static_selectorELNS0_4arch9wavefront6targetE1EEEvT1_
; %bb.0:
	.section	.rodata,"a",@progbits
	.p2align	6, 0x0
	.amdhsa_kernel _ZN7rocprim17ROCPRIM_400000_NS6detail17trampoline_kernelINS0_14default_configENS1_29reduce_by_key_config_selectorIyyN6thrust23THRUST_200600_302600_NS4plusIyEEEEZZNS1_33reduce_by_key_impl_wrapped_configILNS1_25lookback_scan_determinismE0ES3_S9_NS6_6detail15normal_iteratorINS6_10device_ptrIyEEEESG_SG_SG_PmS8_NS6_8equal_toIyEEEE10hipError_tPvRmT2_T3_mT4_T5_T6_T7_T8_P12ihipStream_tbENKUlT_T0_E_clISt17integral_constantIbLb1EES11_EEDaSW_SX_EUlSW_E_NS1_11comp_targetILNS1_3genE9ELNS1_11target_archE1100ELNS1_3gpuE3ELNS1_3repE0EEENS1_30default_config_static_selectorELNS0_4arch9wavefront6targetE1EEEvT1_
		.amdhsa_group_segment_fixed_size 0
		.amdhsa_private_segment_fixed_size 0
		.amdhsa_kernarg_size 136
		.amdhsa_user_sgpr_count 6
		.amdhsa_user_sgpr_private_segment_buffer 1
		.amdhsa_user_sgpr_dispatch_ptr 0
		.amdhsa_user_sgpr_queue_ptr 0
		.amdhsa_user_sgpr_kernarg_segment_ptr 1
		.amdhsa_user_sgpr_dispatch_id 0
		.amdhsa_user_sgpr_flat_scratch_init 0
		.amdhsa_user_sgpr_kernarg_preload_length 0
		.amdhsa_user_sgpr_kernarg_preload_offset 0
		.amdhsa_user_sgpr_private_segment_size 0
		.amdhsa_uses_dynamic_stack 0
		.amdhsa_system_sgpr_private_segment_wavefront_offset 0
		.amdhsa_system_sgpr_workgroup_id_x 1
		.amdhsa_system_sgpr_workgroup_id_y 0
		.amdhsa_system_sgpr_workgroup_id_z 0
		.amdhsa_system_sgpr_workgroup_info 0
		.amdhsa_system_vgpr_workitem_id 0
		.amdhsa_next_free_vgpr 1
		.amdhsa_next_free_sgpr 0
		.amdhsa_accum_offset 4
		.amdhsa_reserve_vcc 0
		.amdhsa_reserve_flat_scratch 0
		.amdhsa_float_round_mode_32 0
		.amdhsa_float_round_mode_16_64 0
		.amdhsa_float_denorm_mode_32 3
		.amdhsa_float_denorm_mode_16_64 3
		.amdhsa_dx10_clamp 1
		.amdhsa_ieee_mode 1
		.amdhsa_fp16_overflow 0
		.amdhsa_tg_split 0
		.amdhsa_exception_fp_ieee_invalid_op 0
		.amdhsa_exception_fp_denorm_src 0
		.amdhsa_exception_fp_ieee_div_zero 0
		.amdhsa_exception_fp_ieee_overflow 0
		.amdhsa_exception_fp_ieee_underflow 0
		.amdhsa_exception_fp_ieee_inexact 0
		.amdhsa_exception_int_div_zero 0
	.end_amdhsa_kernel
	.section	.text._ZN7rocprim17ROCPRIM_400000_NS6detail17trampoline_kernelINS0_14default_configENS1_29reduce_by_key_config_selectorIyyN6thrust23THRUST_200600_302600_NS4plusIyEEEEZZNS1_33reduce_by_key_impl_wrapped_configILNS1_25lookback_scan_determinismE0ES3_S9_NS6_6detail15normal_iteratorINS6_10device_ptrIyEEEESG_SG_SG_PmS8_NS6_8equal_toIyEEEE10hipError_tPvRmT2_T3_mT4_T5_T6_T7_T8_P12ihipStream_tbENKUlT_T0_E_clISt17integral_constantIbLb1EES11_EEDaSW_SX_EUlSW_E_NS1_11comp_targetILNS1_3genE9ELNS1_11target_archE1100ELNS1_3gpuE3ELNS1_3repE0EEENS1_30default_config_static_selectorELNS0_4arch9wavefront6targetE1EEEvT1_,"axG",@progbits,_ZN7rocprim17ROCPRIM_400000_NS6detail17trampoline_kernelINS0_14default_configENS1_29reduce_by_key_config_selectorIyyN6thrust23THRUST_200600_302600_NS4plusIyEEEEZZNS1_33reduce_by_key_impl_wrapped_configILNS1_25lookback_scan_determinismE0ES3_S9_NS6_6detail15normal_iteratorINS6_10device_ptrIyEEEESG_SG_SG_PmS8_NS6_8equal_toIyEEEE10hipError_tPvRmT2_T3_mT4_T5_T6_T7_T8_P12ihipStream_tbENKUlT_T0_E_clISt17integral_constantIbLb1EES11_EEDaSW_SX_EUlSW_E_NS1_11comp_targetILNS1_3genE9ELNS1_11target_archE1100ELNS1_3gpuE3ELNS1_3repE0EEENS1_30default_config_static_selectorELNS0_4arch9wavefront6targetE1EEEvT1_,comdat
.Lfunc_end255:
	.size	_ZN7rocprim17ROCPRIM_400000_NS6detail17trampoline_kernelINS0_14default_configENS1_29reduce_by_key_config_selectorIyyN6thrust23THRUST_200600_302600_NS4plusIyEEEEZZNS1_33reduce_by_key_impl_wrapped_configILNS1_25lookback_scan_determinismE0ES3_S9_NS6_6detail15normal_iteratorINS6_10device_ptrIyEEEESG_SG_SG_PmS8_NS6_8equal_toIyEEEE10hipError_tPvRmT2_T3_mT4_T5_T6_T7_T8_P12ihipStream_tbENKUlT_T0_E_clISt17integral_constantIbLb1EES11_EEDaSW_SX_EUlSW_E_NS1_11comp_targetILNS1_3genE9ELNS1_11target_archE1100ELNS1_3gpuE3ELNS1_3repE0EEENS1_30default_config_static_selectorELNS0_4arch9wavefront6targetE1EEEvT1_, .Lfunc_end255-_ZN7rocprim17ROCPRIM_400000_NS6detail17trampoline_kernelINS0_14default_configENS1_29reduce_by_key_config_selectorIyyN6thrust23THRUST_200600_302600_NS4plusIyEEEEZZNS1_33reduce_by_key_impl_wrapped_configILNS1_25lookback_scan_determinismE0ES3_S9_NS6_6detail15normal_iteratorINS6_10device_ptrIyEEEESG_SG_SG_PmS8_NS6_8equal_toIyEEEE10hipError_tPvRmT2_T3_mT4_T5_T6_T7_T8_P12ihipStream_tbENKUlT_T0_E_clISt17integral_constantIbLb1EES11_EEDaSW_SX_EUlSW_E_NS1_11comp_targetILNS1_3genE9ELNS1_11target_archE1100ELNS1_3gpuE3ELNS1_3repE0EEENS1_30default_config_static_selectorELNS0_4arch9wavefront6targetE1EEEvT1_
                                        ; -- End function
	.section	.AMDGPU.csdata,"",@progbits
; Kernel info:
; codeLenInByte = 0
; NumSgprs: 4
; NumVgprs: 0
; NumAgprs: 0
; TotalNumVgprs: 0
; ScratchSize: 0
; MemoryBound: 0
; FloatMode: 240
; IeeeMode: 1
; LDSByteSize: 0 bytes/workgroup (compile time only)
; SGPRBlocks: 0
; VGPRBlocks: 0
; NumSGPRsForWavesPerEU: 4
; NumVGPRsForWavesPerEU: 1
; AccumOffset: 4
; Occupancy: 8
; WaveLimiterHint : 0
; COMPUTE_PGM_RSRC2:SCRATCH_EN: 0
; COMPUTE_PGM_RSRC2:USER_SGPR: 6
; COMPUTE_PGM_RSRC2:TRAP_HANDLER: 0
; COMPUTE_PGM_RSRC2:TGID_X_EN: 1
; COMPUTE_PGM_RSRC2:TGID_Y_EN: 0
; COMPUTE_PGM_RSRC2:TGID_Z_EN: 0
; COMPUTE_PGM_RSRC2:TIDIG_COMP_CNT: 0
; COMPUTE_PGM_RSRC3_GFX90A:ACCUM_OFFSET: 0
; COMPUTE_PGM_RSRC3_GFX90A:TG_SPLIT: 0
	.section	.text._ZN7rocprim17ROCPRIM_400000_NS6detail17trampoline_kernelINS0_14default_configENS1_29reduce_by_key_config_selectorIyyN6thrust23THRUST_200600_302600_NS4plusIyEEEEZZNS1_33reduce_by_key_impl_wrapped_configILNS1_25lookback_scan_determinismE0ES3_S9_NS6_6detail15normal_iteratorINS6_10device_ptrIyEEEESG_SG_SG_PmS8_NS6_8equal_toIyEEEE10hipError_tPvRmT2_T3_mT4_T5_T6_T7_T8_P12ihipStream_tbENKUlT_T0_E_clISt17integral_constantIbLb1EES11_EEDaSW_SX_EUlSW_E_NS1_11comp_targetILNS1_3genE8ELNS1_11target_archE1030ELNS1_3gpuE2ELNS1_3repE0EEENS1_30default_config_static_selectorELNS0_4arch9wavefront6targetE1EEEvT1_,"axG",@progbits,_ZN7rocprim17ROCPRIM_400000_NS6detail17trampoline_kernelINS0_14default_configENS1_29reduce_by_key_config_selectorIyyN6thrust23THRUST_200600_302600_NS4plusIyEEEEZZNS1_33reduce_by_key_impl_wrapped_configILNS1_25lookback_scan_determinismE0ES3_S9_NS6_6detail15normal_iteratorINS6_10device_ptrIyEEEESG_SG_SG_PmS8_NS6_8equal_toIyEEEE10hipError_tPvRmT2_T3_mT4_T5_T6_T7_T8_P12ihipStream_tbENKUlT_T0_E_clISt17integral_constantIbLb1EES11_EEDaSW_SX_EUlSW_E_NS1_11comp_targetILNS1_3genE8ELNS1_11target_archE1030ELNS1_3gpuE2ELNS1_3repE0EEENS1_30default_config_static_selectorELNS0_4arch9wavefront6targetE1EEEvT1_,comdat
	.protected	_ZN7rocprim17ROCPRIM_400000_NS6detail17trampoline_kernelINS0_14default_configENS1_29reduce_by_key_config_selectorIyyN6thrust23THRUST_200600_302600_NS4plusIyEEEEZZNS1_33reduce_by_key_impl_wrapped_configILNS1_25lookback_scan_determinismE0ES3_S9_NS6_6detail15normal_iteratorINS6_10device_ptrIyEEEESG_SG_SG_PmS8_NS6_8equal_toIyEEEE10hipError_tPvRmT2_T3_mT4_T5_T6_T7_T8_P12ihipStream_tbENKUlT_T0_E_clISt17integral_constantIbLb1EES11_EEDaSW_SX_EUlSW_E_NS1_11comp_targetILNS1_3genE8ELNS1_11target_archE1030ELNS1_3gpuE2ELNS1_3repE0EEENS1_30default_config_static_selectorELNS0_4arch9wavefront6targetE1EEEvT1_ ; -- Begin function _ZN7rocprim17ROCPRIM_400000_NS6detail17trampoline_kernelINS0_14default_configENS1_29reduce_by_key_config_selectorIyyN6thrust23THRUST_200600_302600_NS4plusIyEEEEZZNS1_33reduce_by_key_impl_wrapped_configILNS1_25lookback_scan_determinismE0ES3_S9_NS6_6detail15normal_iteratorINS6_10device_ptrIyEEEESG_SG_SG_PmS8_NS6_8equal_toIyEEEE10hipError_tPvRmT2_T3_mT4_T5_T6_T7_T8_P12ihipStream_tbENKUlT_T0_E_clISt17integral_constantIbLb1EES11_EEDaSW_SX_EUlSW_E_NS1_11comp_targetILNS1_3genE8ELNS1_11target_archE1030ELNS1_3gpuE2ELNS1_3repE0EEENS1_30default_config_static_selectorELNS0_4arch9wavefront6targetE1EEEvT1_
	.globl	_ZN7rocprim17ROCPRIM_400000_NS6detail17trampoline_kernelINS0_14default_configENS1_29reduce_by_key_config_selectorIyyN6thrust23THRUST_200600_302600_NS4plusIyEEEEZZNS1_33reduce_by_key_impl_wrapped_configILNS1_25lookback_scan_determinismE0ES3_S9_NS6_6detail15normal_iteratorINS6_10device_ptrIyEEEESG_SG_SG_PmS8_NS6_8equal_toIyEEEE10hipError_tPvRmT2_T3_mT4_T5_T6_T7_T8_P12ihipStream_tbENKUlT_T0_E_clISt17integral_constantIbLb1EES11_EEDaSW_SX_EUlSW_E_NS1_11comp_targetILNS1_3genE8ELNS1_11target_archE1030ELNS1_3gpuE2ELNS1_3repE0EEENS1_30default_config_static_selectorELNS0_4arch9wavefront6targetE1EEEvT1_
	.p2align	8
	.type	_ZN7rocprim17ROCPRIM_400000_NS6detail17trampoline_kernelINS0_14default_configENS1_29reduce_by_key_config_selectorIyyN6thrust23THRUST_200600_302600_NS4plusIyEEEEZZNS1_33reduce_by_key_impl_wrapped_configILNS1_25lookback_scan_determinismE0ES3_S9_NS6_6detail15normal_iteratorINS6_10device_ptrIyEEEESG_SG_SG_PmS8_NS6_8equal_toIyEEEE10hipError_tPvRmT2_T3_mT4_T5_T6_T7_T8_P12ihipStream_tbENKUlT_T0_E_clISt17integral_constantIbLb1EES11_EEDaSW_SX_EUlSW_E_NS1_11comp_targetILNS1_3genE8ELNS1_11target_archE1030ELNS1_3gpuE2ELNS1_3repE0EEENS1_30default_config_static_selectorELNS0_4arch9wavefront6targetE1EEEvT1_,@function
_ZN7rocprim17ROCPRIM_400000_NS6detail17trampoline_kernelINS0_14default_configENS1_29reduce_by_key_config_selectorIyyN6thrust23THRUST_200600_302600_NS4plusIyEEEEZZNS1_33reduce_by_key_impl_wrapped_configILNS1_25lookback_scan_determinismE0ES3_S9_NS6_6detail15normal_iteratorINS6_10device_ptrIyEEEESG_SG_SG_PmS8_NS6_8equal_toIyEEEE10hipError_tPvRmT2_T3_mT4_T5_T6_T7_T8_P12ihipStream_tbENKUlT_T0_E_clISt17integral_constantIbLb1EES11_EEDaSW_SX_EUlSW_E_NS1_11comp_targetILNS1_3genE8ELNS1_11target_archE1030ELNS1_3gpuE2ELNS1_3repE0EEENS1_30default_config_static_selectorELNS0_4arch9wavefront6targetE1EEEvT1_: ; @_ZN7rocprim17ROCPRIM_400000_NS6detail17trampoline_kernelINS0_14default_configENS1_29reduce_by_key_config_selectorIyyN6thrust23THRUST_200600_302600_NS4plusIyEEEEZZNS1_33reduce_by_key_impl_wrapped_configILNS1_25lookback_scan_determinismE0ES3_S9_NS6_6detail15normal_iteratorINS6_10device_ptrIyEEEESG_SG_SG_PmS8_NS6_8equal_toIyEEEE10hipError_tPvRmT2_T3_mT4_T5_T6_T7_T8_P12ihipStream_tbENKUlT_T0_E_clISt17integral_constantIbLb1EES11_EEDaSW_SX_EUlSW_E_NS1_11comp_targetILNS1_3genE8ELNS1_11target_archE1030ELNS1_3gpuE2ELNS1_3repE0EEENS1_30default_config_static_selectorELNS0_4arch9wavefront6targetE1EEEvT1_
; %bb.0:
	.section	.rodata,"a",@progbits
	.p2align	6, 0x0
	.amdhsa_kernel _ZN7rocprim17ROCPRIM_400000_NS6detail17trampoline_kernelINS0_14default_configENS1_29reduce_by_key_config_selectorIyyN6thrust23THRUST_200600_302600_NS4plusIyEEEEZZNS1_33reduce_by_key_impl_wrapped_configILNS1_25lookback_scan_determinismE0ES3_S9_NS6_6detail15normal_iteratorINS6_10device_ptrIyEEEESG_SG_SG_PmS8_NS6_8equal_toIyEEEE10hipError_tPvRmT2_T3_mT4_T5_T6_T7_T8_P12ihipStream_tbENKUlT_T0_E_clISt17integral_constantIbLb1EES11_EEDaSW_SX_EUlSW_E_NS1_11comp_targetILNS1_3genE8ELNS1_11target_archE1030ELNS1_3gpuE2ELNS1_3repE0EEENS1_30default_config_static_selectorELNS0_4arch9wavefront6targetE1EEEvT1_
		.amdhsa_group_segment_fixed_size 0
		.amdhsa_private_segment_fixed_size 0
		.amdhsa_kernarg_size 136
		.amdhsa_user_sgpr_count 6
		.amdhsa_user_sgpr_private_segment_buffer 1
		.amdhsa_user_sgpr_dispatch_ptr 0
		.amdhsa_user_sgpr_queue_ptr 0
		.amdhsa_user_sgpr_kernarg_segment_ptr 1
		.amdhsa_user_sgpr_dispatch_id 0
		.amdhsa_user_sgpr_flat_scratch_init 0
		.amdhsa_user_sgpr_kernarg_preload_length 0
		.amdhsa_user_sgpr_kernarg_preload_offset 0
		.amdhsa_user_sgpr_private_segment_size 0
		.amdhsa_uses_dynamic_stack 0
		.amdhsa_system_sgpr_private_segment_wavefront_offset 0
		.amdhsa_system_sgpr_workgroup_id_x 1
		.amdhsa_system_sgpr_workgroup_id_y 0
		.amdhsa_system_sgpr_workgroup_id_z 0
		.amdhsa_system_sgpr_workgroup_info 0
		.amdhsa_system_vgpr_workitem_id 0
		.amdhsa_next_free_vgpr 1
		.amdhsa_next_free_sgpr 0
		.amdhsa_accum_offset 4
		.amdhsa_reserve_vcc 0
		.amdhsa_reserve_flat_scratch 0
		.amdhsa_float_round_mode_32 0
		.amdhsa_float_round_mode_16_64 0
		.amdhsa_float_denorm_mode_32 3
		.amdhsa_float_denorm_mode_16_64 3
		.amdhsa_dx10_clamp 1
		.amdhsa_ieee_mode 1
		.amdhsa_fp16_overflow 0
		.amdhsa_tg_split 0
		.amdhsa_exception_fp_ieee_invalid_op 0
		.amdhsa_exception_fp_denorm_src 0
		.amdhsa_exception_fp_ieee_div_zero 0
		.amdhsa_exception_fp_ieee_overflow 0
		.amdhsa_exception_fp_ieee_underflow 0
		.amdhsa_exception_fp_ieee_inexact 0
		.amdhsa_exception_int_div_zero 0
	.end_amdhsa_kernel
	.section	.text._ZN7rocprim17ROCPRIM_400000_NS6detail17trampoline_kernelINS0_14default_configENS1_29reduce_by_key_config_selectorIyyN6thrust23THRUST_200600_302600_NS4plusIyEEEEZZNS1_33reduce_by_key_impl_wrapped_configILNS1_25lookback_scan_determinismE0ES3_S9_NS6_6detail15normal_iteratorINS6_10device_ptrIyEEEESG_SG_SG_PmS8_NS6_8equal_toIyEEEE10hipError_tPvRmT2_T3_mT4_T5_T6_T7_T8_P12ihipStream_tbENKUlT_T0_E_clISt17integral_constantIbLb1EES11_EEDaSW_SX_EUlSW_E_NS1_11comp_targetILNS1_3genE8ELNS1_11target_archE1030ELNS1_3gpuE2ELNS1_3repE0EEENS1_30default_config_static_selectorELNS0_4arch9wavefront6targetE1EEEvT1_,"axG",@progbits,_ZN7rocprim17ROCPRIM_400000_NS6detail17trampoline_kernelINS0_14default_configENS1_29reduce_by_key_config_selectorIyyN6thrust23THRUST_200600_302600_NS4plusIyEEEEZZNS1_33reduce_by_key_impl_wrapped_configILNS1_25lookback_scan_determinismE0ES3_S9_NS6_6detail15normal_iteratorINS6_10device_ptrIyEEEESG_SG_SG_PmS8_NS6_8equal_toIyEEEE10hipError_tPvRmT2_T3_mT4_T5_T6_T7_T8_P12ihipStream_tbENKUlT_T0_E_clISt17integral_constantIbLb1EES11_EEDaSW_SX_EUlSW_E_NS1_11comp_targetILNS1_3genE8ELNS1_11target_archE1030ELNS1_3gpuE2ELNS1_3repE0EEENS1_30default_config_static_selectorELNS0_4arch9wavefront6targetE1EEEvT1_,comdat
.Lfunc_end256:
	.size	_ZN7rocprim17ROCPRIM_400000_NS6detail17trampoline_kernelINS0_14default_configENS1_29reduce_by_key_config_selectorIyyN6thrust23THRUST_200600_302600_NS4plusIyEEEEZZNS1_33reduce_by_key_impl_wrapped_configILNS1_25lookback_scan_determinismE0ES3_S9_NS6_6detail15normal_iteratorINS6_10device_ptrIyEEEESG_SG_SG_PmS8_NS6_8equal_toIyEEEE10hipError_tPvRmT2_T3_mT4_T5_T6_T7_T8_P12ihipStream_tbENKUlT_T0_E_clISt17integral_constantIbLb1EES11_EEDaSW_SX_EUlSW_E_NS1_11comp_targetILNS1_3genE8ELNS1_11target_archE1030ELNS1_3gpuE2ELNS1_3repE0EEENS1_30default_config_static_selectorELNS0_4arch9wavefront6targetE1EEEvT1_, .Lfunc_end256-_ZN7rocprim17ROCPRIM_400000_NS6detail17trampoline_kernelINS0_14default_configENS1_29reduce_by_key_config_selectorIyyN6thrust23THRUST_200600_302600_NS4plusIyEEEEZZNS1_33reduce_by_key_impl_wrapped_configILNS1_25lookback_scan_determinismE0ES3_S9_NS6_6detail15normal_iteratorINS6_10device_ptrIyEEEESG_SG_SG_PmS8_NS6_8equal_toIyEEEE10hipError_tPvRmT2_T3_mT4_T5_T6_T7_T8_P12ihipStream_tbENKUlT_T0_E_clISt17integral_constantIbLb1EES11_EEDaSW_SX_EUlSW_E_NS1_11comp_targetILNS1_3genE8ELNS1_11target_archE1030ELNS1_3gpuE2ELNS1_3repE0EEENS1_30default_config_static_selectorELNS0_4arch9wavefront6targetE1EEEvT1_
                                        ; -- End function
	.section	.AMDGPU.csdata,"",@progbits
; Kernel info:
; codeLenInByte = 0
; NumSgprs: 4
; NumVgprs: 0
; NumAgprs: 0
; TotalNumVgprs: 0
; ScratchSize: 0
; MemoryBound: 0
; FloatMode: 240
; IeeeMode: 1
; LDSByteSize: 0 bytes/workgroup (compile time only)
; SGPRBlocks: 0
; VGPRBlocks: 0
; NumSGPRsForWavesPerEU: 4
; NumVGPRsForWavesPerEU: 1
; AccumOffset: 4
; Occupancy: 8
; WaveLimiterHint : 0
; COMPUTE_PGM_RSRC2:SCRATCH_EN: 0
; COMPUTE_PGM_RSRC2:USER_SGPR: 6
; COMPUTE_PGM_RSRC2:TRAP_HANDLER: 0
; COMPUTE_PGM_RSRC2:TGID_X_EN: 1
; COMPUTE_PGM_RSRC2:TGID_Y_EN: 0
; COMPUTE_PGM_RSRC2:TGID_Z_EN: 0
; COMPUTE_PGM_RSRC2:TIDIG_COMP_CNT: 0
; COMPUTE_PGM_RSRC3_GFX90A:ACCUM_OFFSET: 0
; COMPUTE_PGM_RSRC3_GFX90A:TG_SPLIT: 0
	.section	.text._ZN7rocprim17ROCPRIM_400000_NS6detail25reduce_by_key_init_kernelINS1_19lookback_scan_stateINS0_5tupleIJjyEEELb1ELb0EEEyNS1_16block_id_wrapperIjLb0EEEEEvT_jbjPmPT0_T1_,"axG",@progbits,_ZN7rocprim17ROCPRIM_400000_NS6detail25reduce_by_key_init_kernelINS1_19lookback_scan_stateINS0_5tupleIJjyEEELb1ELb0EEEyNS1_16block_id_wrapperIjLb0EEEEEvT_jbjPmPT0_T1_,comdat
	.protected	_ZN7rocprim17ROCPRIM_400000_NS6detail25reduce_by_key_init_kernelINS1_19lookback_scan_stateINS0_5tupleIJjyEEELb1ELb0EEEyNS1_16block_id_wrapperIjLb0EEEEEvT_jbjPmPT0_T1_ ; -- Begin function _ZN7rocprim17ROCPRIM_400000_NS6detail25reduce_by_key_init_kernelINS1_19lookback_scan_stateINS0_5tupleIJjyEEELb1ELb0EEEyNS1_16block_id_wrapperIjLb0EEEEEvT_jbjPmPT0_T1_
	.globl	_ZN7rocprim17ROCPRIM_400000_NS6detail25reduce_by_key_init_kernelINS1_19lookback_scan_stateINS0_5tupleIJjyEEELb1ELb0EEEyNS1_16block_id_wrapperIjLb0EEEEEvT_jbjPmPT0_T1_
	.p2align	8
	.type	_ZN7rocprim17ROCPRIM_400000_NS6detail25reduce_by_key_init_kernelINS1_19lookback_scan_stateINS0_5tupleIJjyEEELb1ELb0EEEyNS1_16block_id_wrapperIjLb0EEEEEvT_jbjPmPT0_T1_,@function
_ZN7rocprim17ROCPRIM_400000_NS6detail25reduce_by_key_init_kernelINS1_19lookback_scan_stateINS0_5tupleIJjyEEELb1ELb0EEEyNS1_16block_id_wrapperIjLb0EEEEEvT_jbjPmPT0_T1_: ; @_ZN7rocprim17ROCPRIM_400000_NS6detail25reduce_by_key_init_kernelINS1_19lookback_scan_stateINS0_5tupleIJjyEEELb1ELb0EEEyNS1_16block_id_wrapperIjLb0EEEEEvT_jbjPmPT0_T1_
; %bb.0:
	s_load_dwordx8 s[8:15], s[4:5], 0x18
	s_load_dword s0, s[4:5], 0x4c
	s_load_dwordx2 s[16:17], s[4:5], 0x10
	s_waitcnt lgkmcnt(0)
	s_and_b32 s1, s9, 1
	s_and_b32 s0, s0, 0xffff
	s_mul_i32 s6, s6, s0
	s_cmp_eq_u32 s1, 0
	v_add_u32_e32 v0, s6, v0
	s_mov_b64 s[0:1], -1
	s_cbranch_scc1 .LBB257_5
; %bb.1:
	s_andn2_b64 vcc, exec, s[0:1]
	s_cbranch_vccz .LBB257_15
.LBB257_2:
	v_cmp_gt_u32_e32 vcc, s8, v0
	s_and_saveexec_b64 s[0:1], vcc
	s_cbranch_execnz .LBB257_18
.LBB257_3:
	s_or_b64 exec, exec, s[0:1]
	v_cmp_gt_u32_e32 vcc, 64, v0
	s_and_saveexec_b64 s[0:1], vcc
	s_cbranch_execnz .LBB257_19
.LBB257_4:
	s_endpgm
.LBB257_5:
	s_cmp_lt_u32 s10, s8
	s_cselect_b32 s0, s10, 0
	v_cmp_eq_u32_e32 vcc, s0, v0
	s_and_saveexec_b64 s[6:7], vcc
	s_cbranch_execz .LBB257_14
; %bb.6:
	s_add_i32 s10, s10, 64
	v_mov_b32_e32 v1, s10
	global_load_ubyte v1, v1, s[16:17] glc
	s_load_dwordx4 s[0:3], s[4:5], 0x0
	s_add_u32 s4, s16, s10
	s_mov_b32 s11, 0
	s_addc_u32 s5, s17, 0
	s_waitcnt vmcnt(0)
	v_cmp_ne_u16_e32 vcc, 0, v1
	v_readfirstlane_b32 s9, v1
	s_cbranch_vccz .LBB257_8
; %bb.7:
	s_and_b32 s4, 0xffff, s9
	s_branch .LBB257_13
.LBB257_8:
	s_mov_b32 s9, 1
	v_mov_b32_e32 v1, 0
.LBB257_9:                              ; =>This Loop Header: Depth=1
                                        ;     Child Loop BB257_10 Depth 2
	s_max_u32 s18, s9, 1
.LBB257_10:                             ;   Parent Loop BB257_9 Depth=1
                                        ; =>  This Inner Loop Header: Depth=2
	s_add_i32 s18, s18, -1
	s_cmp_eq_u32 s18, 0
	s_sleep 1
	s_cbranch_scc0 .LBB257_10
; %bb.11:                               ;   in Loop: Header=BB257_9 Depth=1
	global_load_ubyte v2, v1, s[4:5] glc
	s_cmp_lt_u32 s9, 32
	s_cselect_b64 s[18:19], -1, 0
	s_cmp_lg_u64 s[18:19], 0
	s_addc_u32 s9, s9, 0
	s_waitcnt vmcnt(0)
	v_cmp_ne_u16_e32 vcc, 0, v2
	v_readfirstlane_b32 s18, v2
	s_cbranch_vccz .LBB257_9
; %bb.12:
	s_and_b32 s4, 0xffff, s18
.LBB257_13:
	s_cmp_eq_u32 s4, 1
	s_waitcnt lgkmcnt(0)
	s_cselect_b32 s3, s1, s3
	s_cselect_b32 s2, s0, s2
	s_lshl_b64 s[0:1], s[10:11], 4
	v_mov_b32_e32 v1, 0
	s_add_u32 s0, s2, s0
	buffer_wbinvl1_vol
	s_addc_u32 s1, s3, s1
	global_load_dwordx2 v[2:3], v1, s[12:13]
	global_load_dword v6, v1, s[0:1]
	global_load_dwordx2 v[4:5], v1, s[0:1] offset:8
	s_waitcnt vmcnt(1)
	v_add_co_u32_e32 v2, vcc, v2, v6
	v_addc_co_u32_e32 v3, vcc, 0, v3, vcc
	global_store_dwordx2 v1, v[2:3], s[12:13]
	s_waitcnt vmcnt(1)
	global_store_dwordx2 v1, v[4:5], s[14:15]
.LBB257_14:
	s_or_b64 exec, exec, s[6:7]
	s_cbranch_execnz .LBB257_2
.LBB257_15:
	s_cmp_lg_u64 s[12:13], 0
	s_cselect_b64 s[0:1], -1, 0
	v_cmp_eq_u32_e32 vcc, 0, v0
	s_and_b64 s[2:3], s[0:1], vcc
	s_and_saveexec_b64 s[0:1], s[2:3]
	s_cbranch_execz .LBB257_17
; %bb.16:
	v_mov_b32_e32 v2, 0
	v_mov_b32_e32 v3, v2
	global_store_dwordx2 v2, v[2:3], s[12:13]
.LBB257_17:
	s_or_b64 exec, exec, s[0:1]
	v_cmp_gt_u32_e32 vcc, s8, v0
	s_and_saveexec_b64 s[0:1], vcc
	s_cbranch_execz .LBB257_3
.LBB257_18:
	v_add_u32_e32 v1, 64, v0
	v_mov_b32_e32 v2, 0
	global_store_byte v1, v2, s[16:17]
	s_or_b64 exec, exec, s[0:1]
	v_cmp_gt_u32_e32 vcc, 64, v0
	s_and_saveexec_b64 s[0:1], vcc
	s_cbranch_execz .LBB257_4
.LBB257_19:
	v_mov_b32_e32 v1, 0xff
	global_store_byte v0, v1, s[16:17]
	s_endpgm
	.section	.rodata,"a",@progbits
	.p2align	6, 0x0
	.amdhsa_kernel _ZN7rocprim17ROCPRIM_400000_NS6detail25reduce_by_key_init_kernelINS1_19lookback_scan_stateINS0_5tupleIJjyEEELb1ELb0EEEyNS1_16block_id_wrapperIjLb0EEEEEvT_jbjPmPT0_T1_
		.amdhsa_group_segment_fixed_size 0
		.amdhsa_private_segment_fixed_size 0
		.amdhsa_kernarg_size 320
		.amdhsa_user_sgpr_count 6
		.amdhsa_user_sgpr_private_segment_buffer 1
		.amdhsa_user_sgpr_dispatch_ptr 0
		.amdhsa_user_sgpr_queue_ptr 0
		.amdhsa_user_sgpr_kernarg_segment_ptr 1
		.amdhsa_user_sgpr_dispatch_id 0
		.amdhsa_user_sgpr_flat_scratch_init 0
		.amdhsa_user_sgpr_kernarg_preload_length 0
		.amdhsa_user_sgpr_kernarg_preload_offset 0
		.amdhsa_user_sgpr_private_segment_size 0
		.amdhsa_uses_dynamic_stack 0
		.amdhsa_system_sgpr_private_segment_wavefront_offset 0
		.amdhsa_system_sgpr_workgroup_id_x 1
		.amdhsa_system_sgpr_workgroup_id_y 0
		.amdhsa_system_sgpr_workgroup_id_z 0
		.amdhsa_system_sgpr_workgroup_info 0
		.amdhsa_system_vgpr_workitem_id 0
		.amdhsa_next_free_vgpr 7
		.amdhsa_next_free_sgpr 20
		.amdhsa_accum_offset 8
		.amdhsa_reserve_vcc 1
		.amdhsa_reserve_flat_scratch 0
		.amdhsa_float_round_mode_32 0
		.amdhsa_float_round_mode_16_64 0
		.amdhsa_float_denorm_mode_32 3
		.amdhsa_float_denorm_mode_16_64 3
		.amdhsa_dx10_clamp 1
		.amdhsa_ieee_mode 1
		.amdhsa_fp16_overflow 0
		.amdhsa_tg_split 0
		.amdhsa_exception_fp_ieee_invalid_op 0
		.amdhsa_exception_fp_denorm_src 0
		.amdhsa_exception_fp_ieee_div_zero 0
		.amdhsa_exception_fp_ieee_overflow 0
		.amdhsa_exception_fp_ieee_underflow 0
		.amdhsa_exception_fp_ieee_inexact 0
		.amdhsa_exception_int_div_zero 0
	.end_amdhsa_kernel
	.section	.text._ZN7rocprim17ROCPRIM_400000_NS6detail25reduce_by_key_init_kernelINS1_19lookback_scan_stateINS0_5tupleIJjyEEELb1ELb0EEEyNS1_16block_id_wrapperIjLb0EEEEEvT_jbjPmPT0_T1_,"axG",@progbits,_ZN7rocprim17ROCPRIM_400000_NS6detail25reduce_by_key_init_kernelINS1_19lookback_scan_stateINS0_5tupleIJjyEEELb1ELb0EEEyNS1_16block_id_wrapperIjLb0EEEEEvT_jbjPmPT0_T1_,comdat
.Lfunc_end257:
	.size	_ZN7rocprim17ROCPRIM_400000_NS6detail25reduce_by_key_init_kernelINS1_19lookback_scan_stateINS0_5tupleIJjyEEELb1ELb0EEEyNS1_16block_id_wrapperIjLb0EEEEEvT_jbjPmPT0_T1_, .Lfunc_end257-_ZN7rocprim17ROCPRIM_400000_NS6detail25reduce_by_key_init_kernelINS1_19lookback_scan_stateINS0_5tupleIJjyEEELb1ELb0EEEyNS1_16block_id_wrapperIjLb0EEEEEvT_jbjPmPT0_T1_
                                        ; -- End function
	.section	.AMDGPU.csdata,"",@progbits
; Kernel info:
; codeLenInByte = 472
; NumSgprs: 24
; NumVgprs: 7
; NumAgprs: 0
; TotalNumVgprs: 7
; ScratchSize: 0
; MemoryBound: 0
; FloatMode: 240
; IeeeMode: 1
; LDSByteSize: 0 bytes/workgroup (compile time only)
; SGPRBlocks: 2
; VGPRBlocks: 0
; NumSGPRsForWavesPerEU: 24
; NumVGPRsForWavesPerEU: 7
; AccumOffset: 8
; Occupancy: 8
; WaveLimiterHint : 0
; COMPUTE_PGM_RSRC2:SCRATCH_EN: 0
; COMPUTE_PGM_RSRC2:USER_SGPR: 6
; COMPUTE_PGM_RSRC2:TRAP_HANDLER: 0
; COMPUTE_PGM_RSRC2:TGID_X_EN: 1
; COMPUTE_PGM_RSRC2:TGID_Y_EN: 0
; COMPUTE_PGM_RSRC2:TGID_Z_EN: 0
; COMPUTE_PGM_RSRC2:TIDIG_COMP_CNT: 0
; COMPUTE_PGM_RSRC3_GFX90A:ACCUM_OFFSET: 1
; COMPUTE_PGM_RSRC3_GFX90A:TG_SPLIT: 0
	.section	.text._ZN7rocprim17ROCPRIM_400000_NS6detail17trampoline_kernelINS0_14default_configENS1_29reduce_by_key_config_selectorIyyN6thrust23THRUST_200600_302600_NS4plusIyEEEEZZNS1_33reduce_by_key_impl_wrapped_configILNS1_25lookback_scan_determinismE0ES3_S9_NS6_6detail15normal_iteratorINS6_10device_ptrIyEEEESG_SG_SG_PmS8_NS6_8equal_toIyEEEE10hipError_tPvRmT2_T3_mT4_T5_T6_T7_T8_P12ihipStream_tbENKUlT_T0_E_clISt17integral_constantIbLb1EES10_IbLb0EEEEDaSW_SX_EUlSW_E_NS1_11comp_targetILNS1_3genE0ELNS1_11target_archE4294967295ELNS1_3gpuE0ELNS1_3repE0EEENS1_30default_config_static_selectorELNS0_4arch9wavefront6targetE1EEEvT1_,"axG",@progbits,_ZN7rocprim17ROCPRIM_400000_NS6detail17trampoline_kernelINS0_14default_configENS1_29reduce_by_key_config_selectorIyyN6thrust23THRUST_200600_302600_NS4plusIyEEEEZZNS1_33reduce_by_key_impl_wrapped_configILNS1_25lookback_scan_determinismE0ES3_S9_NS6_6detail15normal_iteratorINS6_10device_ptrIyEEEESG_SG_SG_PmS8_NS6_8equal_toIyEEEE10hipError_tPvRmT2_T3_mT4_T5_T6_T7_T8_P12ihipStream_tbENKUlT_T0_E_clISt17integral_constantIbLb1EES10_IbLb0EEEEDaSW_SX_EUlSW_E_NS1_11comp_targetILNS1_3genE0ELNS1_11target_archE4294967295ELNS1_3gpuE0ELNS1_3repE0EEENS1_30default_config_static_selectorELNS0_4arch9wavefront6targetE1EEEvT1_,comdat
	.protected	_ZN7rocprim17ROCPRIM_400000_NS6detail17trampoline_kernelINS0_14default_configENS1_29reduce_by_key_config_selectorIyyN6thrust23THRUST_200600_302600_NS4plusIyEEEEZZNS1_33reduce_by_key_impl_wrapped_configILNS1_25lookback_scan_determinismE0ES3_S9_NS6_6detail15normal_iteratorINS6_10device_ptrIyEEEESG_SG_SG_PmS8_NS6_8equal_toIyEEEE10hipError_tPvRmT2_T3_mT4_T5_T6_T7_T8_P12ihipStream_tbENKUlT_T0_E_clISt17integral_constantIbLb1EES10_IbLb0EEEEDaSW_SX_EUlSW_E_NS1_11comp_targetILNS1_3genE0ELNS1_11target_archE4294967295ELNS1_3gpuE0ELNS1_3repE0EEENS1_30default_config_static_selectorELNS0_4arch9wavefront6targetE1EEEvT1_ ; -- Begin function _ZN7rocprim17ROCPRIM_400000_NS6detail17trampoline_kernelINS0_14default_configENS1_29reduce_by_key_config_selectorIyyN6thrust23THRUST_200600_302600_NS4plusIyEEEEZZNS1_33reduce_by_key_impl_wrapped_configILNS1_25lookback_scan_determinismE0ES3_S9_NS6_6detail15normal_iteratorINS6_10device_ptrIyEEEESG_SG_SG_PmS8_NS6_8equal_toIyEEEE10hipError_tPvRmT2_T3_mT4_T5_T6_T7_T8_P12ihipStream_tbENKUlT_T0_E_clISt17integral_constantIbLb1EES10_IbLb0EEEEDaSW_SX_EUlSW_E_NS1_11comp_targetILNS1_3genE0ELNS1_11target_archE4294967295ELNS1_3gpuE0ELNS1_3repE0EEENS1_30default_config_static_selectorELNS0_4arch9wavefront6targetE1EEEvT1_
	.globl	_ZN7rocprim17ROCPRIM_400000_NS6detail17trampoline_kernelINS0_14default_configENS1_29reduce_by_key_config_selectorIyyN6thrust23THRUST_200600_302600_NS4plusIyEEEEZZNS1_33reduce_by_key_impl_wrapped_configILNS1_25lookback_scan_determinismE0ES3_S9_NS6_6detail15normal_iteratorINS6_10device_ptrIyEEEESG_SG_SG_PmS8_NS6_8equal_toIyEEEE10hipError_tPvRmT2_T3_mT4_T5_T6_T7_T8_P12ihipStream_tbENKUlT_T0_E_clISt17integral_constantIbLb1EES10_IbLb0EEEEDaSW_SX_EUlSW_E_NS1_11comp_targetILNS1_3genE0ELNS1_11target_archE4294967295ELNS1_3gpuE0ELNS1_3repE0EEENS1_30default_config_static_selectorELNS0_4arch9wavefront6targetE1EEEvT1_
	.p2align	8
	.type	_ZN7rocprim17ROCPRIM_400000_NS6detail17trampoline_kernelINS0_14default_configENS1_29reduce_by_key_config_selectorIyyN6thrust23THRUST_200600_302600_NS4plusIyEEEEZZNS1_33reduce_by_key_impl_wrapped_configILNS1_25lookback_scan_determinismE0ES3_S9_NS6_6detail15normal_iteratorINS6_10device_ptrIyEEEESG_SG_SG_PmS8_NS6_8equal_toIyEEEE10hipError_tPvRmT2_T3_mT4_T5_T6_T7_T8_P12ihipStream_tbENKUlT_T0_E_clISt17integral_constantIbLb1EES10_IbLb0EEEEDaSW_SX_EUlSW_E_NS1_11comp_targetILNS1_3genE0ELNS1_11target_archE4294967295ELNS1_3gpuE0ELNS1_3repE0EEENS1_30default_config_static_selectorELNS0_4arch9wavefront6targetE1EEEvT1_,@function
_ZN7rocprim17ROCPRIM_400000_NS6detail17trampoline_kernelINS0_14default_configENS1_29reduce_by_key_config_selectorIyyN6thrust23THRUST_200600_302600_NS4plusIyEEEEZZNS1_33reduce_by_key_impl_wrapped_configILNS1_25lookback_scan_determinismE0ES3_S9_NS6_6detail15normal_iteratorINS6_10device_ptrIyEEEESG_SG_SG_PmS8_NS6_8equal_toIyEEEE10hipError_tPvRmT2_T3_mT4_T5_T6_T7_T8_P12ihipStream_tbENKUlT_T0_E_clISt17integral_constantIbLb1EES10_IbLb0EEEEDaSW_SX_EUlSW_E_NS1_11comp_targetILNS1_3genE0ELNS1_11target_archE4294967295ELNS1_3gpuE0ELNS1_3repE0EEENS1_30default_config_static_selectorELNS0_4arch9wavefront6targetE1EEEvT1_: ; @_ZN7rocprim17ROCPRIM_400000_NS6detail17trampoline_kernelINS0_14default_configENS1_29reduce_by_key_config_selectorIyyN6thrust23THRUST_200600_302600_NS4plusIyEEEEZZNS1_33reduce_by_key_impl_wrapped_configILNS1_25lookback_scan_determinismE0ES3_S9_NS6_6detail15normal_iteratorINS6_10device_ptrIyEEEESG_SG_SG_PmS8_NS6_8equal_toIyEEEE10hipError_tPvRmT2_T3_mT4_T5_T6_T7_T8_P12ihipStream_tbENKUlT_T0_E_clISt17integral_constantIbLb1EES10_IbLb0EEEEDaSW_SX_EUlSW_E_NS1_11comp_targetILNS1_3genE0ELNS1_11target_archE4294967295ELNS1_3gpuE0ELNS1_3repE0EEENS1_30default_config_static_selectorELNS0_4arch9wavefront6targetE1EEEvT1_
; %bb.0:
	.section	.rodata,"a",@progbits
	.p2align	6, 0x0
	.amdhsa_kernel _ZN7rocprim17ROCPRIM_400000_NS6detail17trampoline_kernelINS0_14default_configENS1_29reduce_by_key_config_selectorIyyN6thrust23THRUST_200600_302600_NS4plusIyEEEEZZNS1_33reduce_by_key_impl_wrapped_configILNS1_25lookback_scan_determinismE0ES3_S9_NS6_6detail15normal_iteratorINS6_10device_ptrIyEEEESG_SG_SG_PmS8_NS6_8equal_toIyEEEE10hipError_tPvRmT2_T3_mT4_T5_T6_T7_T8_P12ihipStream_tbENKUlT_T0_E_clISt17integral_constantIbLb1EES10_IbLb0EEEEDaSW_SX_EUlSW_E_NS1_11comp_targetILNS1_3genE0ELNS1_11target_archE4294967295ELNS1_3gpuE0ELNS1_3repE0EEENS1_30default_config_static_selectorELNS0_4arch9wavefront6targetE1EEEvT1_
		.amdhsa_group_segment_fixed_size 0
		.amdhsa_private_segment_fixed_size 0
		.amdhsa_kernarg_size 136
		.amdhsa_user_sgpr_count 6
		.amdhsa_user_sgpr_private_segment_buffer 1
		.amdhsa_user_sgpr_dispatch_ptr 0
		.amdhsa_user_sgpr_queue_ptr 0
		.amdhsa_user_sgpr_kernarg_segment_ptr 1
		.amdhsa_user_sgpr_dispatch_id 0
		.amdhsa_user_sgpr_flat_scratch_init 0
		.amdhsa_user_sgpr_kernarg_preload_length 0
		.amdhsa_user_sgpr_kernarg_preload_offset 0
		.amdhsa_user_sgpr_private_segment_size 0
		.amdhsa_uses_dynamic_stack 0
		.amdhsa_system_sgpr_private_segment_wavefront_offset 0
		.amdhsa_system_sgpr_workgroup_id_x 1
		.amdhsa_system_sgpr_workgroup_id_y 0
		.amdhsa_system_sgpr_workgroup_id_z 0
		.amdhsa_system_sgpr_workgroup_info 0
		.amdhsa_system_vgpr_workitem_id 0
		.amdhsa_next_free_vgpr 1
		.amdhsa_next_free_sgpr 0
		.amdhsa_accum_offset 4
		.amdhsa_reserve_vcc 0
		.amdhsa_reserve_flat_scratch 0
		.amdhsa_float_round_mode_32 0
		.amdhsa_float_round_mode_16_64 0
		.amdhsa_float_denorm_mode_32 3
		.amdhsa_float_denorm_mode_16_64 3
		.amdhsa_dx10_clamp 1
		.amdhsa_ieee_mode 1
		.amdhsa_fp16_overflow 0
		.amdhsa_tg_split 0
		.amdhsa_exception_fp_ieee_invalid_op 0
		.amdhsa_exception_fp_denorm_src 0
		.amdhsa_exception_fp_ieee_div_zero 0
		.amdhsa_exception_fp_ieee_overflow 0
		.amdhsa_exception_fp_ieee_underflow 0
		.amdhsa_exception_fp_ieee_inexact 0
		.amdhsa_exception_int_div_zero 0
	.end_amdhsa_kernel
	.section	.text._ZN7rocprim17ROCPRIM_400000_NS6detail17trampoline_kernelINS0_14default_configENS1_29reduce_by_key_config_selectorIyyN6thrust23THRUST_200600_302600_NS4plusIyEEEEZZNS1_33reduce_by_key_impl_wrapped_configILNS1_25lookback_scan_determinismE0ES3_S9_NS6_6detail15normal_iteratorINS6_10device_ptrIyEEEESG_SG_SG_PmS8_NS6_8equal_toIyEEEE10hipError_tPvRmT2_T3_mT4_T5_T6_T7_T8_P12ihipStream_tbENKUlT_T0_E_clISt17integral_constantIbLb1EES10_IbLb0EEEEDaSW_SX_EUlSW_E_NS1_11comp_targetILNS1_3genE0ELNS1_11target_archE4294967295ELNS1_3gpuE0ELNS1_3repE0EEENS1_30default_config_static_selectorELNS0_4arch9wavefront6targetE1EEEvT1_,"axG",@progbits,_ZN7rocprim17ROCPRIM_400000_NS6detail17trampoline_kernelINS0_14default_configENS1_29reduce_by_key_config_selectorIyyN6thrust23THRUST_200600_302600_NS4plusIyEEEEZZNS1_33reduce_by_key_impl_wrapped_configILNS1_25lookback_scan_determinismE0ES3_S9_NS6_6detail15normal_iteratorINS6_10device_ptrIyEEEESG_SG_SG_PmS8_NS6_8equal_toIyEEEE10hipError_tPvRmT2_T3_mT4_T5_T6_T7_T8_P12ihipStream_tbENKUlT_T0_E_clISt17integral_constantIbLb1EES10_IbLb0EEEEDaSW_SX_EUlSW_E_NS1_11comp_targetILNS1_3genE0ELNS1_11target_archE4294967295ELNS1_3gpuE0ELNS1_3repE0EEENS1_30default_config_static_selectorELNS0_4arch9wavefront6targetE1EEEvT1_,comdat
.Lfunc_end258:
	.size	_ZN7rocprim17ROCPRIM_400000_NS6detail17trampoline_kernelINS0_14default_configENS1_29reduce_by_key_config_selectorIyyN6thrust23THRUST_200600_302600_NS4plusIyEEEEZZNS1_33reduce_by_key_impl_wrapped_configILNS1_25lookback_scan_determinismE0ES3_S9_NS6_6detail15normal_iteratorINS6_10device_ptrIyEEEESG_SG_SG_PmS8_NS6_8equal_toIyEEEE10hipError_tPvRmT2_T3_mT4_T5_T6_T7_T8_P12ihipStream_tbENKUlT_T0_E_clISt17integral_constantIbLb1EES10_IbLb0EEEEDaSW_SX_EUlSW_E_NS1_11comp_targetILNS1_3genE0ELNS1_11target_archE4294967295ELNS1_3gpuE0ELNS1_3repE0EEENS1_30default_config_static_selectorELNS0_4arch9wavefront6targetE1EEEvT1_, .Lfunc_end258-_ZN7rocprim17ROCPRIM_400000_NS6detail17trampoline_kernelINS0_14default_configENS1_29reduce_by_key_config_selectorIyyN6thrust23THRUST_200600_302600_NS4plusIyEEEEZZNS1_33reduce_by_key_impl_wrapped_configILNS1_25lookback_scan_determinismE0ES3_S9_NS6_6detail15normal_iteratorINS6_10device_ptrIyEEEESG_SG_SG_PmS8_NS6_8equal_toIyEEEE10hipError_tPvRmT2_T3_mT4_T5_T6_T7_T8_P12ihipStream_tbENKUlT_T0_E_clISt17integral_constantIbLb1EES10_IbLb0EEEEDaSW_SX_EUlSW_E_NS1_11comp_targetILNS1_3genE0ELNS1_11target_archE4294967295ELNS1_3gpuE0ELNS1_3repE0EEENS1_30default_config_static_selectorELNS0_4arch9wavefront6targetE1EEEvT1_
                                        ; -- End function
	.section	.AMDGPU.csdata,"",@progbits
; Kernel info:
; codeLenInByte = 0
; NumSgprs: 4
; NumVgprs: 0
; NumAgprs: 0
; TotalNumVgprs: 0
; ScratchSize: 0
; MemoryBound: 0
; FloatMode: 240
; IeeeMode: 1
; LDSByteSize: 0 bytes/workgroup (compile time only)
; SGPRBlocks: 0
; VGPRBlocks: 0
; NumSGPRsForWavesPerEU: 4
; NumVGPRsForWavesPerEU: 1
; AccumOffset: 4
; Occupancy: 8
; WaveLimiterHint : 0
; COMPUTE_PGM_RSRC2:SCRATCH_EN: 0
; COMPUTE_PGM_RSRC2:USER_SGPR: 6
; COMPUTE_PGM_RSRC2:TRAP_HANDLER: 0
; COMPUTE_PGM_RSRC2:TGID_X_EN: 1
; COMPUTE_PGM_RSRC2:TGID_Y_EN: 0
; COMPUTE_PGM_RSRC2:TGID_Z_EN: 0
; COMPUTE_PGM_RSRC2:TIDIG_COMP_CNT: 0
; COMPUTE_PGM_RSRC3_GFX90A:ACCUM_OFFSET: 0
; COMPUTE_PGM_RSRC3_GFX90A:TG_SPLIT: 0
	.section	.text._ZN7rocprim17ROCPRIM_400000_NS6detail17trampoline_kernelINS0_14default_configENS1_29reduce_by_key_config_selectorIyyN6thrust23THRUST_200600_302600_NS4plusIyEEEEZZNS1_33reduce_by_key_impl_wrapped_configILNS1_25lookback_scan_determinismE0ES3_S9_NS6_6detail15normal_iteratorINS6_10device_ptrIyEEEESG_SG_SG_PmS8_NS6_8equal_toIyEEEE10hipError_tPvRmT2_T3_mT4_T5_T6_T7_T8_P12ihipStream_tbENKUlT_T0_E_clISt17integral_constantIbLb1EES10_IbLb0EEEEDaSW_SX_EUlSW_E_NS1_11comp_targetILNS1_3genE5ELNS1_11target_archE942ELNS1_3gpuE9ELNS1_3repE0EEENS1_30default_config_static_selectorELNS0_4arch9wavefront6targetE1EEEvT1_,"axG",@progbits,_ZN7rocprim17ROCPRIM_400000_NS6detail17trampoline_kernelINS0_14default_configENS1_29reduce_by_key_config_selectorIyyN6thrust23THRUST_200600_302600_NS4plusIyEEEEZZNS1_33reduce_by_key_impl_wrapped_configILNS1_25lookback_scan_determinismE0ES3_S9_NS6_6detail15normal_iteratorINS6_10device_ptrIyEEEESG_SG_SG_PmS8_NS6_8equal_toIyEEEE10hipError_tPvRmT2_T3_mT4_T5_T6_T7_T8_P12ihipStream_tbENKUlT_T0_E_clISt17integral_constantIbLb1EES10_IbLb0EEEEDaSW_SX_EUlSW_E_NS1_11comp_targetILNS1_3genE5ELNS1_11target_archE942ELNS1_3gpuE9ELNS1_3repE0EEENS1_30default_config_static_selectorELNS0_4arch9wavefront6targetE1EEEvT1_,comdat
	.protected	_ZN7rocprim17ROCPRIM_400000_NS6detail17trampoline_kernelINS0_14default_configENS1_29reduce_by_key_config_selectorIyyN6thrust23THRUST_200600_302600_NS4plusIyEEEEZZNS1_33reduce_by_key_impl_wrapped_configILNS1_25lookback_scan_determinismE0ES3_S9_NS6_6detail15normal_iteratorINS6_10device_ptrIyEEEESG_SG_SG_PmS8_NS6_8equal_toIyEEEE10hipError_tPvRmT2_T3_mT4_T5_T6_T7_T8_P12ihipStream_tbENKUlT_T0_E_clISt17integral_constantIbLb1EES10_IbLb0EEEEDaSW_SX_EUlSW_E_NS1_11comp_targetILNS1_3genE5ELNS1_11target_archE942ELNS1_3gpuE9ELNS1_3repE0EEENS1_30default_config_static_selectorELNS0_4arch9wavefront6targetE1EEEvT1_ ; -- Begin function _ZN7rocprim17ROCPRIM_400000_NS6detail17trampoline_kernelINS0_14default_configENS1_29reduce_by_key_config_selectorIyyN6thrust23THRUST_200600_302600_NS4plusIyEEEEZZNS1_33reduce_by_key_impl_wrapped_configILNS1_25lookback_scan_determinismE0ES3_S9_NS6_6detail15normal_iteratorINS6_10device_ptrIyEEEESG_SG_SG_PmS8_NS6_8equal_toIyEEEE10hipError_tPvRmT2_T3_mT4_T5_T6_T7_T8_P12ihipStream_tbENKUlT_T0_E_clISt17integral_constantIbLb1EES10_IbLb0EEEEDaSW_SX_EUlSW_E_NS1_11comp_targetILNS1_3genE5ELNS1_11target_archE942ELNS1_3gpuE9ELNS1_3repE0EEENS1_30default_config_static_selectorELNS0_4arch9wavefront6targetE1EEEvT1_
	.globl	_ZN7rocprim17ROCPRIM_400000_NS6detail17trampoline_kernelINS0_14default_configENS1_29reduce_by_key_config_selectorIyyN6thrust23THRUST_200600_302600_NS4plusIyEEEEZZNS1_33reduce_by_key_impl_wrapped_configILNS1_25lookback_scan_determinismE0ES3_S9_NS6_6detail15normal_iteratorINS6_10device_ptrIyEEEESG_SG_SG_PmS8_NS6_8equal_toIyEEEE10hipError_tPvRmT2_T3_mT4_T5_T6_T7_T8_P12ihipStream_tbENKUlT_T0_E_clISt17integral_constantIbLb1EES10_IbLb0EEEEDaSW_SX_EUlSW_E_NS1_11comp_targetILNS1_3genE5ELNS1_11target_archE942ELNS1_3gpuE9ELNS1_3repE0EEENS1_30default_config_static_selectorELNS0_4arch9wavefront6targetE1EEEvT1_
	.p2align	8
	.type	_ZN7rocprim17ROCPRIM_400000_NS6detail17trampoline_kernelINS0_14default_configENS1_29reduce_by_key_config_selectorIyyN6thrust23THRUST_200600_302600_NS4plusIyEEEEZZNS1_33reduce_by_key_impl_wrapped_configILNS1_25lookback_scan_determinismE0ES3_S9_NS6_6detail15normal_iteratorINS6_10device_ptrIyEEEESG_SG_SG_PmS8_NS6_8equal_toIyEEEE10hipError_tPvRmT2_T3_mT4_T5_T6_T7_T8_P12ihipStream_tbENKUlT_T0_E_clISt17integral_constantIbLb1EES10_IbLb0EEEEDaSW_SX_EUlSW_E_NS1_11comp_targetILNS1_3genE5ELNS1_11target_archE942ELNS1_3gpuE9ELNS1_3repE0EEENS1_30default_config_static_selectorELNS0_4arch9wavefront6targetE1EEEvT1_,@function
_ZN7rocprim17ROCPRIM_400000_NS6detail17trampoline_kernelINS0_14default_configENS1_29reduce_by_key_config_selectorIyyN6thrust23THRUST_200600_302600_NS4plusIyEEEEZZNS1_33reduce_by_key_impl_wrapped_configILNS1_25lookback_scan_determinismE0ES3_S9_NS6_6detail15normal_iteratorINS6_10device_ptrIyEEEESG_SG_SG_PmS8_NS6_8equal_toIyEEEE10hipError_tPvRmT2_T3_mT4_T5_T6_T7_T8_P12ihipStream_tbENKUlT_T0_E_clISt17integral_constantIbLb1EES10_IbLb0EEEEDaSW_SX_EUlSW_E_NS1_11comp_targetILNS1_3genE5ELNS1_11target_archE942ELNS1_3gpuE9ELNS1_3repE0EEENS1_30default_config_static_selectorELNS0_4arch9wavefront6targetE1EEEvT1_: ; @_ZN7rocprim17ROCPRIM_400000_NS6detail17trampoline_kernelINS0_14default_configENS1_29reduce_by_key_config_selectorIyyN6thrust23THRUST_200600_302600_NS4plusIyEEEEZZNS1_33reduce_by_key_impl_wrapped_configILNS1_25lookback_scan_determinismE0ES3_S9_NS6_6detail15normal_iteratorINS6_10device_ptrIyEEEESG_SG_SG_PmS8_NS6_8equal_toIyEEEE10hipError_tPvRmT2_T3_mT4_T5_T6_T7_T8_P12ihipStream_tbENKUlT_T0_E_clISt17integral_constantIbLb1EES10_IbLb0EEEEDaSW_SX_EUlSW_E_NS1_11comp_targetILNS1_3genE5ELNS1_11target_archE942ELNS1_3gpuE9ELNS1_3repE0EEENS1_30default_config_static_selectorELNS0_4arch9wavefront6targetE1EEEvT1_
; %bb.0:
	.section	.rodata,"a",@progbits
	.p2align	6, 0x0
	.amdhsa_kernel _ZN7rocprim17ROCPRIM_400000_NS6detail17trampoline_kernelINS0_14default_configENS1_29reduce_by_key_config_selectorIyyN6thrust23THRUST_200600_302600_NS4plusIyEEEEZZNS1_33reduce_by_key_impl_wrapped_configILNS1_25lookback_scan_determinismE0ES3_S9_NS6_6detail15normal_iteratorINS6_10device_ptrIyEEEESG_SG_SG_PmS8_NS6_8equal_toIyEEEE10hipError_tPvRmT2_T3_mT4_T5_T6_T7_T8_P12ihipStream_tbENKUlT_T0_E_clISt17integral_constantIbLb1EES10_IbLb0EEEEDaSW_SX_EUlSW_E_NS1_11comp_targetILNS1_3genE5ELNS1_11target_archE942ELNS1_3gpuE9ELNS1_3repE0EEENS1_30default_config_static_selectorELNS0_4arch9wavefront6targetE1EEEvT1_
		.amdhsa_group_segment_fixed_size 0
		.amdhsa_private_segment_fixed_size 0
		.amdhsa_kernarg_size 136
		.amdhsa_user_sgpr_count 6
		.amdhsa_user_sgpr_private_segment_buffer 1
		.amdhsa_user_sgpr_dispatch_ptr 0
		.amdhsa_user_sgpr_queue_ptr 0
		.amdhsa_user_sgpr_kernarg_segment_ptr 1
		.amdhsa_user_sgpr_dispatch_id 0
		.amdhsa_user_sgpr_flat_scratch_init 0
		.amdhsa_user_sgpr_kernarg_preload_length 0
		.amdhsa_user_sgpr_kernarg_preload_offset 0
		.amdhsa_user_sgpr_private_segment_size 0
		.amdhsa_uses_dynamic_stack 0
		.amdhsa_system_sgpr_private_segment_wavefront_offset 0
		.amdhsa_system_sgpr_workgroup_id_x 1
		.amdhsa_system_sgpr_workgroup_id_y 0
		.amdhsa_system_sgpr_workgroup_id_z 0
		.amdhsa_system_sgpr_workgroup_info 0
		.amdhsa_system_vgpr_workitem_id 0
		.amdhsa_next_free_vgpr 1
		.amdhsa_next_free_sgpr 0
		.amdhsa_accum_offset 4
		.amdhsa_reserve_vcc 0
		.amdhsa_reserve_flat_scratch 0
		.amdhsa_float_round_mode_32 0
		.amdhsa_float_round_mode_16_64 0
		.amdhsa_float_denorm_mode_32 3
		.amdhsa_float_denorm_mode_16_64 3
		.amdhsa_dx10_clamp 1
		.amdhsa_ieee_mode 1
		.amdhsa_fp16_overflow 0
		.amdhsa_tg_split 0
		.amdhsa_exception_fp_ieee_invalid_op 0
		.amdhsa_exception_fp_denorm_src 0
		.amdhsa_exception_fp_ieee_div_zero 0
		.amdhsa_exception_fp_ieee_overflow 0
		.amdhsa_exception_fp_ieee_underflow 0
		.amdhsa_exception_fp_ieee_inexact 0
		.amdhsa_exception_int_div_zero 0
	.end_amdhsa_kernel
	.section	.text._ZN7rocprim17ROCPRIM_400000_NS6detail17trampoline_kernelINS0_14default_configENS1_29reduce_by_key_config_selectorIyyN6thrust23THRUST_200600_302600_NS4plusIyEEEEZZNS1_33reduce_by_key_impl_wrapped_configILNS1_25lookback_scan_determinismE0ES3_S9_NS6_6detail15normal_iteratorINS6_10device_ptrIyEEEESG_SG_SG_PmS8_NS6_8equal_toIyEEEE10hipError_tPvRmT2_T3_mT4_T5_T6_T7_T8_P12ihipStream_tbENKUlT_T0_E_clISt17integral_constantIbLb1EES10_IbLb0EEEEDaSW_SX_EUlSW_E_NS1_11comp_targetILNS1_3genE5ELNS1_11target_archE942ELNS1_3gpuE9ELNS1_3repE0EEENS1_30default_config_static_selectorELNS0_4arch9wavefront6targetE1EEEvT1_,"axG",@progbits,_ZN7rocprim17ROCPRIM_400000_NS6detail17trampoline_kernelINS0_14default_configENS1_29reduce_by_key_config_selectorIyyN6thrust23THRUST_200600_302600_NS4plusIyEEEEZZNS1_33reduce_by_key_impl_wrapped_configILNS1_25lookback_scan_determinismE0ES3_S9_NS6_6detail15normal_iteratorINS6_10device_ptrIyEEEESG_SG_SG_PmS8_NS6_8equal_toIyEEEE10hipError_tPvRmT2_T3_mT4_T5_T6_T7_T8_P12ihipStream_tbENKUlT_T0_E_clISt17integral_constantIbLb1EES10_IbLb0EEEEDaSW_SX_EUlSW_E_NS1_11comp_targetILNS1_3genE5ELNS1_11target_archE942ELNS1_3gpuE9ELNS1_3repE0EEENS1_30default_config_static_selectorELNS0_4arch9wavefront6targetE1EEEvT1_,comdat
.Lfunc_end259:
	.size	_ZN7rocprim17ROCPRIM_400000_NS6detail17trampoline_kernelINS0_14default_configENS1_29reduce_by_key_config_selectorIyyN6thrust23THRUST_200600_302600_NS4plusIyEEEEZZNS1_33reduce_by_key_impl_wrapped_configILNS1_25lookback_scan_determinismE0ES3_S9_NS6_6detail15normal_iteratorINS6_10device_ptrIyEEEESG_SG_SG_PmS8_NS6_8equal_toIyEEEE10hipError_tPvRmT2_T3_mT4_T5_T6_T7_T8_P12ihipStream_tbENKUlT_T0_E_clISt17integral_constantIbLb1EES10_IbLb0EEEEDaSW_SX_EUlSW_E_NS1_11comp_targetILNS1_3genE5ELNS1_11target_archE942ELNS1_3gpuE9ELNS1_3repE0EEENS1_30default_config_static_selectorELNS0_4arch9wavefront6targetE1EEEvT1_, .Lfunc_end259-_ZN7rocprim17ROCPRIM_400000_NS6detail17trampoline_kernelINS0_14default_configENS1_29reduce_by_key_config_selectorIyyN6thrust23THRUST_200600_302600_NS4plusIyEEEEZZNS1_33reduce_by_key_impl_wrapped_configILNS1_25lookback_scan_determinismE0ES3_S9_NS6_6detail15normal_iteratorINS6_10device_ptrIyEEEESG_SG_SG_PmS8_NS6_8equal_toIyEEEE10hipError_tPvRmT2_T3_mT4_T5_T6_T7_T8_P12ihipStream_tbENKUlT_T0_E_clISt17integral_constantIbLb1EES10_IbLb0EEEEDaSW_SX_EUlSW_E_NS1_11comp_targetILNS1_3genE5ELNS1_11target_archE942ELNS1_3gpuE9ELNS1_3repE0EEENS1_30default_config_static_selectorELNS0_4arch9wavefront6targetE1EEEvT1_
                                        ; -- End function
	.section	.AMDGPU.csdata,"",@progbits
; Kernel info:
; codeLenInByte = 0
; NumSgprs: 4
; NumVgprs: 0
; NumAgprs: 0
; TotalNumVgprs: 0
; ScratchSize: 0
; MemoryBound: 0
; FloatMode: 240
; IeeeMode: 1
; LDSByteSize: 0 bytes/workgroup (compile time only)
; SGPRBlocks: 0
; VGPRBlocks: 0
; NumSGPRsForWavesPerEU: 4
; NumVGPRsForWavesPerEU: 1
; AccumOffset: 4
; Occupancy: 8
; WaveLimiterHint : 0
; COMPUTE_PGM_RSRC2:SCRATCH_EN: 0
; COMPUTE_PGM_RSRC2:USER_SGPR: 6
; COMPUTE_PGM_RSRC2:TRAP_HANDLER: 0
; COMPUTE_PGM_RSRC2:TGID_X_EN: 1
; COMPUTE_PGM_RSRC2:TGID_Y_EN: 0
; COMPUTE_PGM_RSRC2:TGID_Z_EN: 0
; COMPUTE_PGM_RSRC2:TIDIG_COMP_CNT: 0
; COMPUTE_PGM_RSRC3_GFX90A:ACCUM_OFFSET: 0
; COMPUTE_PGM_RSRC3_GFX90A:TG_SPLIT: 0
	.section	.text._ZN7rocprim17ROCPRIM_400000_NS6detail17trampoline_kernelINS0_14default_configENS1_29reduce_by_key_config_selectorIyyN6thrust23THRUST_200600_302600_NS4plusIyEEEEZZNS1_33reduce_by_key_impl_wrapped_configILNS1_25lookback_scan_determinismE0ES3_S9_NS6_6detail15normal_iteratorINS6_10device_ptrIyEEEESG_SG_SG_PmS8_NS6_8equal_toIyEEEE10hipError_tPvRmT2_T3_mT4_T5_T6_T7_T8_P12ihipStream_tbENKUlT_T0_E_clISt17integral_constantIbLb1EES10_IbLb0EEEEDaSW_SX_EUlSW_E_NS1_11comp_targetILNS1_3genE4ELNS1_11target_archE910ELNS1_3gpuE8ELNS1_3repE0EEENS1_30default_config_static_selectorELNS0_4arch9wavefront6targetE1EEEvT1_,"axG",@progbits,_ZN7rocprim17ROCPRIM_400000_NS6detail17trampoline_kernelINS0_14default_configENS1_29reduce_by_key_config_selectorIyyN6thrust23THRUST_200600_302600_NS4plusIyEEEEZZNS1_33reduce_by_key_impl_wrapped_configILNS1_25lookback_scan_determinismE0ES3_S9_NS6_6detail15normal_iteratorINS6_10device_ptrIyEEEESG_SG_SG_PmS8_NS6_8equal_toIyEEEE10hipError_tPvRmT2_T3_mT4_T5_T6_T7_T8_P12ihipStream_tbENKUlT_T0_E_clISt17integral_constantIbLb1EES10_IbLb0EEEEDaSW_SX_EUlSW_E_NS1_11comp_targetILNS1_3genE4ELNS1_11target_archE910ELNS1_3gpuE8ELNS1_3repE0EEENS1_30default_config_static_selectorELNS0_4arch9wavefront6targetE1EEEvT1_,comdat
	.protected	_ZN7rocprim17ROCPRIM_400000_NS6detail17trampoline_kernelINS0_14default_configENS1_29reduce_by_key_config_selectorIyyN6thrust23THRUST_200600_302600_NS4plusIyEEEEZZNS1_33reduce_by_key_impl_wrapped_configILNS1_25lookback_scan_determinismE0ES3_S9_NS6_6detail15normal_iteratorINS6_10device_ptrIyEEEESG_SG_SG_PmS8_NS6_8equal_toIyEEEE10hipError_tPvRmT2_T3_mT4_T5_T6_T7_T8_P12ihipStream_tbENKUlT_T0_E_clISt17integral_constantIbLb1EES10_IbLb0EEEEDaSW_SX_EUlSW_E_NS1_11comp_targetILNS1_3genE4ELNS1_11target_archE910ELNS1_3gpuE8ELNS1_3repE0EEENS1_30default_config_static_selectorELNS0_4arch9wavefront6targetE1EEEvT1_ ; -- Begin function _ZN7rocprim17ROCPRIM_400000_NS6detail17trampoline_kernelINS0_14default_configENS1_29reduce_by_key_config_selectorIyyN6thrust23THRUST_200600_302600_NS4plusIyEEEEZZNS1_33reduce_by_key_impl_wrapped_configILNS1_25lookback_scan_determinismE0ES3_S9_NS6_6detail15normal_iteratorINS6_10device_ptrIyEEEESG_SG_SG_PmS8_NS6_8equal_toIyEEEE10hipError_tPvRmT2_T3_mT4_T5_T6_T7_T8_P12ihipStream_tbENKUlT_T0_E_clISt17integral_constantIbLb1EES10_IbLb0EEEEDaSW_SX_EUlSW_E_NS1_11comp_targetILNS1_3genE4ELNS1_11target_archE910ELNS1_3gpuE8ELNS1_3repE0EEENS1_30default_config_static_selectorELNS0_4arch9wavefront6targetE1EEEvT1_
	.globl	_ZN7rocprim17ROCPRIM_400000_NS6detail17trampoline_kernelINS0_14default_configENS1_29reduce_by_key_config_selectorIyyN6thrust23THRUST_200600_302600_NS4plusIyEEEEZZNS1_33reduce_by_key_impl_wrapped_configILNS1_25lookback_scan_determinismE0ES3_S9_NS6_6detail15normal_iteratorINS6_10device_ptrIyEEEESG_SG_SG_PmS8_NS6_8equal_toIyEEEE10hipError_tPvRmT2_T3_mT4_T5_T6_T7_T8_P12ihipStream_tbENKUlT_T0_E_clISt17integral_constantIbLb1EES10_IbLb0EEEEDaSW_SX_EUlSW_E_NS1_11comp_targetILNS1_3genE4ELNS1_11target_archE910ELNS1_3gpuE8ELNS1_3repE0EEENS1_30default_config_static_selectorELNS0_4arch9wavefront6targetE1EEEvT1_
	.p2align	8
	.type	_ZN7rocprim17ROCPRIM_400000_NS6detail17trampoline_kernelINS0_14default_configENS1_29reduce_by_key_config_selectorIyyN6thrust23THRUST_200600_302600_NS4plusIyEEEEZZNS1_33reduce_by_key_impl_wrapped_configILNS1_25lookback_scan_determinismE0ES3_S9_NS6_6detail15normal_iteratorINS6_10device_ptrIyEEEESG_SG_SG_PmS8_NS6_8equal_toIyEEEE10hipError_tPvRmT2_T3_mT4_T5_T6_T7_T8_P12ihipStream_tbENKUlT_T0_E_clISt17integral_constantIbLb1EES10_IbLb0EEEEDaSW_SX_EUlSW_E_NS1_11comp_targetILNS1_3genE4ELNS1_11target_archE910ELNS1_3gpuE8ELNS1_3repE0EEENS1_30default_config_static_selectorELNS0_4arch9wavefront6targetE1EEEvT1_,@function
_ZN7rocprim17ROCPRIM_400000_NS6detail17trampoline_kernelINS0_14default_configENS1_29reduce_by_key_config_selectorIyyN6thrust23THRUST_200600_302600_NS4plusIyEEEEZZNS1_33reduce_by_key_impl_wrapped_configILNS1_25lookback_scan_determinismE0ES3_S9_NS6_6detail15normal_iteratorINS6_10device_ptrIyEEEESG_SG_SG_PmS8_NS6_8equal_toIyEEEE10hipError_tPvRmT2_T3_mT4_T5_T6_T7_T8_P12ihipStream_tbENKUlT_T0_E_clISt17integral_constantIbLb1EES10_IbLb0EEEEDaSW_SX_EUlSW_E_NS1_11comp_targetILNS1_3genE4ELNS1_11target_archE910ELNS1_3gpuE8ELNS1_3repE0EEENS1_30default_config_static_selectorELNS0_4arch9wavefront6targetE1EEEvT1_: ; @_ZN7rocprim17ROCPRIM_400000_NS6detail17trampoline_kernelINS0_14default_configENS1_29reduce_by_key_config_selectorIyyN6thrust23THRUST_200600_302600_NS4plusIyEEEEZZNS1_33reduce_by_key_impl_wrapped_configILNS1_25lookback_scan_determinismE0ES3_S9_NS6_6detail15normal_iteratorINS6_10device_ptrIyEEEESG_SG_SG_PmS8_NS6_8equal_toIyEEEE10hipError_tPvRmT2_T3_mT4_T5_T6_T7_T8_P12ihipStream_tbENKUlT_T0_E_clISt17integral_constantIbLb1EES10_IbLb0EEEEDaSW_SX_EUlSW_E_NS1_11comp_targetILNS1_3genE4ELNS1_11target_archE910ELNS1_3gpuE8ELNS1_3repE0EEENS1_30default_config_static_selectorELNS0_4arch9wavefront6targetE1EEEvT1_
; %bb.0:
	s_load_dwordx8 s[52:59], s[4:5], 0x0
	s_load_dwordx4 s[60:63], s[4:5], 0x20
	s_load_dwordx16 s[36:51], s[4:5], 0x38
	s_waitcnt lgkmcnt(0)
	s_lshl_b64 s[0:1], s[54:55], 3
	s_add_u32 s2, s52, s0
	s_addc_u32 s3, s53, s1
	s_add_u32 s8, s56, s0
	s_addc_u32 s9, s57, s1
	s_mul_i32 s0, s44, s43
	s_mul_hi_u32 s1, s44, s42
	s_add_i32 s0, s1, s0
	s_mul_i32 s1, s45, s42
	s_add_i32 s10, s0, s1
	s_mul_i32 s0, s6, 0xf00
	s_mov_b32 s1, 0
	s_lshl_b64 s[0:1], s[0:1], 3
	s_add_u32 s7, s2, s0
	s_addc_u32 s56, s3, s1
	s_add_u32 s57, s8, s0
	s_mul_i32 s11, s44, s42
	s_addc_u32 s64, s9, s1
	s_add_u32 s52, s11, s6
	s_addc_u32 s53, s10, 0
	s_add_u32 s2, s46, -1
	s_addc_u32 s3, s47, -1
	s_cmp_eq_u64 s[52:53], s[2:3]
	s_cselect_b64 s[34:35], -1, 0
	s_cmp_lg_u64 s[52:53], s[2:3]
	s_mov_b64 s[0:1], -1
	s_cselect_b64 s[54:55], -1, 0
	s_mul_i32 s33, s2, 0xfffff100
	s_and_b64 vcc, exec, s[34:35]
	s_cbranch_vccnz .LBB260_2
; %bb.1:
	v_lshlrev_b32_e32 v80, 3, v0
	v_mov_b32_e32 v1, s56
	v_add_co_u32_e32 v2, vcc, s7, v80
	v_addc_co_u32_e32 v3, vcc, 0, v1, vcc
	v_add_co_u32_e32 v4, vcc, 0x1000, v2
	v_addc_co_u32_e32 v5, vcc, 0, v3, vcc
	flat_load_dwordx2 v[6:7], v[2:3]
	flat_load_dwordx2 v[8:9], v[2:3] offset:2048
	flat_load_dwordx2 v[10:11], v[4:5]
	flat_load_dwordx2 v[12:13], v[4:5] offset:2048
	v_add_co_u32_e32 v4, vcc, 0x2000, v2
	v_addc_co_u32_e32 v5, vcc, 0, v3, vcc
	v_add_co_u32_e32 v14, vcc, 0x3000, v2
	v_addc_co_u32_e32 v15, vcc, 0, v3, vcc
	flat_load_dwordx2 v[16:17], v[4:5]
	flat_load_dwordx2 v[18:19], v[4:5] offset:2048
	flat_load_dwordx2 v[20:21], v[14:15]
	flat_load_dwordx2 v[22:23], v[14:15] offset:2048
	;; [unrolled: 8-line block ×3, first 2 shown]
	v_add_co_u32_e32 v4, vcc, 0x6000, v2
	v_addc_co_u32_e32 v5, vcc, 0, v3, vcc
	v_add_co_u32_e32 v2, vcc, 0x7000, v2
	v_addc_co_u32_e32 v3, vcc, 0, v3, vcc
	flat_load_dwordx2 v[14:15], v[4:5]
	flat_load_dwordx2 v[32:33], v[4:5] offset:2048
	flat_load_dwordx2 v[34:35], v[2:3]
	v_mov_b32_e32 v36, s64
	s_movk_i32 s0, 0x1000
	s_movk_i32 s11, 0x70
	;; [unrolled: 1-line block ×3, first 2 shown]
	v_mad_u32_u24 v1, v0, s11, v80
	s_movk_i32 s2, 0x3000
	s_movk_i32 s3, 0x4000
	;; [unrolled: 1-line block ×5, first 2 shown]
	s_waitcnt vmcnt(0) lgkmcnt(0)
	ds_write2st64_b64 v80, v[6:7], v[8:9] offset1:4
	ds_write2st64_b64 v80, v[10:11], v[12:13] offset0:8 offset1:12
	ds_write2st64_b64 v80, v[16:17], v[18:19] offset0:16 offset1:20
	;; [unrolled: 1-line block ×6, first 2 shown]
	ds_write_b64 v80, v[34:35] offset:28672
	v_add_co_u32_e32 v30, vcc, s57, v80
	v_addc_co_u32_e32 v31, vcc, 0, v36, vcc
	v_add_co_u32_e32 v32, vcc, s0, v30
	v_addc_co_u32_e32 v33, vcc, 0, v31, vcc
	s_waitcnt lgkmcnt(0)
	s_barrier
	ds_read2_b64 v[26:29], v1 offset1:1
	ds_read2_b64 v[22:25], v1 offset0:2 offset1:3
	ds_read2_b64 v[18:21], v1 offset0:4 offset1:5
	;; [unrolled: 1-line block ×6, first 2 shown]
	ds_read_b64 v[74:75], v1 offset:112
	s_waitcnt lgkmcnt(0)
	s_barrier
	flat_load_dwordx2 v[34:35], v[30:31]
	flat_load_dwordx2 v[36:37], v[30:31] offset:2048
	flat_load_dwordx2 v[38:39], v[32:33]
	flat_load_dwordx2 v[40:41], v[32:33] offset:2048
	v_add_co_u32_e32 v32, vcc, s1, v30
	v_addc_co_u32_e32 v33, vcc, 0, v31, vcc
	v_add_co_u32_e32 v42, vcc, s2, v30
	v_addc_co_u32_e32 v43, vcc, 0, v31, vcc
	flat_load_dwordx2 v[44:45], v[32:33]
	flat_load_dwordx2 v[46:47], v[32:33] offset:2048
	flat_load_dwordx2 v[48:49], v[42:43]
	flat_load_dwordx2 v[50:51], v[42:43] offset:2048
	v_add_co_u32_e32 v32, vcc, s3, v30
	v_addc_co_u32_e32 v33, vcc, 0, v31, vcc
	v_add_co_u32_e32 v42, vcc, s8, v30
	v_addc_co_u32_e32 v43, vcc, 0, v31, vcc
	;; [unrolled: 8-line block ×3, first 2 shown]
	flat_load_dwordx2 v[42:43], v[32:33]
	flat_load_dwordx2 v[76:77], v[32:33] offset:2048
	flat_load_dwordx2 v[78:79], v[30:31]
	v_mov_b32_e32 v58, v26
	v_mov_b32_e32 v59, v27
	;; [unrolled: 1-line block ×14, first 2 shown]
	s_waitcnt vmcnt(0) lgkmcnt(0)
	ds_write2st64_b64 v80, v[34:35], v[36:37] offset1:4
	ds_write2st64_b64 v80, v[38:39], v[40:41] offset0:8 offset1:12
	ds_write2st64_b64 v80, v[44:45], v[46:47] offset0:16 offset1:20
	;; [unrolled: 1-line block ×6, first 2 shown]
	ds_write_b64 v80, v[78:79] offset:28672
	s_waitcnt lgkmcnt(0)
	s_barrier
	s_load_dwordx2 s[46:47], s[4:5], 0x78
	s_add_i32 s33, s33, s48
	s_cbranch_execz .LBB260_3
	s_branch .LBB260_50
.LBB260_2:
                                        ; implicit-def: $vgpr74_vgpr75
                                        ; implicit-def: $vgpr2_vgpr3
                                        ; implicit-def: $vgpr6_vgpr7
                                        ; implicit-def: $vgpr10_vgpr11
                                        ; implicit-def: $vgpr14_vgpr15
                                        ; implicit-def: $vgpr18_vgpr19
                                        ; implicit-def: $vgpr22_vgpr23
                                        ; implicit-def: $vgpr26_vgpr27
                                        ; implicit-def: $vgpr1
                                        ; implicit-def: $vgpr66_vgpr67_vgpr68_vgpr69
                                        ; implicit-def: $vgpr62_vgpr63_vgpr64_vgpr65
                                        ; implicit-def: $vgpr58_vgpr59_vgpr60_vgpr61
                                        ; implicit-def: $vgpr70_vgpr71_vgpr72_vgpr73
	s_load_dwordx2 s[46:47], s[4:5], 0x78
	s_andn2_b64 vcc, exec, s[0:1]
	s_add_i32 s33, s33, s48
	s_cbranch_vccnz .LBB260_50
.LBB260_3:
	v_cmp_gt_u32_e32 vcc, s33, v0
                                        ; implicit-def: $vgpr2_vgpr3
	s_and_saveexec_b64 s[2:3], vcc
	s_cbranch_execz .LBB260_5
; %bb.4:
	v_lshlrev_b32_e32 v1, 3, v0
	v_mov_b32_e32 v3, s56
	v_add_co_u32_e64 v2, s[0:1], s7, v1
	v_addc_co_u32_e64 v3, s[0:1], 0, v3, s[0:1]
	flat_load_dwordx2 v[2:3], v[2:3]
.LBB260_5:
	s_or_b64 exec, exec, s[2:3]
	v_or_b32_e32 v1, 0x100, v0
	v_cmp_gt_u32_e64 s[0:1], s33, v1
                                        ; implicit-def: $vgpr4_vgpr5
	s_and_saveexec_b64 s[4:5], s[0:1]
	s_cbranch_execz .LBB260_7
; %bb.6:
	v_lshlrev_b32_e32 v1, 3, v0
	v_mov_b32_e32 v5, s56
	v_add_co_u32_e64 v4, s[2:3], s7, v1
	v_addc_co_u32_e64 v5, s[2:3], 0, v5, s[2:3]
	flat_load_dwordx2 v[4:5], v[4:5] offset:2048
.LBB260_7:
	s_or_b64 exec, exec, s[4:5]
	v_or_b32_e32 v36, 0x200, v0
	v_cmp_gt_u32_e64 s[2:3], s33, v36
                                        ; implicit-def: $vgpr6_vgpr7
	s_and_saveexec_b64 s[8:9], s[2:3]
	s_cbranch_execz .LBB260_9
; %bb.8:
	v_lshlrev_b32_e32 v1, 3, v36
	v_mov_b32_e32 v7, s56
	v_add_co_u32_e64 v6, s[4:5], s7, v1
	v_addc_co_u32_e64 v7, s[4:5], 0, v7, s[4:5]
	flat_load_dwordx2 v[6:7], v[6:7]
.LBB260_9:
	s_or_b64 exec, exec, s[8:9]
	v_or_b32_e32 v38, 0x300, v0
	v_cmp_gt_u32_e64 s[4:5], s33, v38
                                        ; implicit-def: $vgpr8_vgpr9
	s_and_saveexec_b64 s[10:11], s[4:5]
	s_cbranch_execz .LBB260_11
; %bb.10:
	v_lshlrev_b32_e32 v1, 3, v38
	v_mov_b32_e32 v9, s56
	v_add_co_u32_e64 v8, s[8:9], s7, v1
	v_addc_co_u32_e64 v9, s[8:9], 0, v9, s[8:9]
	flat_load_dwordx2 v[8:9], v[8:9]
.LBB260_11:
	s_or_b64 exec, exec, s[10:11]
	v_or_b32_e32 v40, 0x400, v0
	v_cmp_gt_u32_e64 s[28:29], s33, v40
                                        ; implicit-def: $vgpr10_vgpr11
	s_and_saveexec_b64 s[10:11], s[28:29]
	s_cbranch_execz .LBB260_13
; %bb.12:
	v_lshlrev_b32_e32 v1, 3, v40
	v_mov_b32_e32 v11, s56
	v_add_co_u32_e64 v10, s[8:9], s7, v1
	v_addc_co_u32_e64 v11, s[8:9], 0, v11, s[8:9]
	flat_load_dwordx2 v[10:11], v[10:11]
.LBB260_13:
	s_or_b64 exec, exec, s[10:11]
	v_or_b32_e32 v42, 0x500, v0
	v_cmp_gt_u32_e64 s[8:9], s33, v42
                                        ; implicit-def: $vgpr12_vgpr13
	s_and_saveexec_b64 s[12:13], s[8:9]
	s_cbranch_execz .LBB260_15
; %bb.14:
	v_lshlrev_b32_e32 v1, 3, v42
	v_mov_b32_e32 v13, s56
	v_add_co_u32_e64 v12, s[10:11], s7, v1
	v_addc_co_u32_e64 v13, s[10:11], 0, v13, s[10:11]
	flat_load_dwordx2 v[12:13], v[12:13]
.LBB260_15:
	s_or_b64 exec, exec, s[12:13]
	v_or_b32_e32 v44, 0x600, v0
	v_cmp_gt_u32_e64 s[10:11], s33, v44
                                        ; implicit-def: $vgpr14_vgpr15
	s_and_saveexec_b64 s[14:15], s[10:11]
	s_cbranch_execz .LBB260_17
; %bb.16:
	v_lshlrev_b32_e32 v1, 3, v44
	v_mov_b32_e32 v15, s56
	v_add_co_u32_e64 v14, s[12:13], s7, v1
	v_addc_co_u32_e64 v15, s[12:13], 0, v15, s[12:13]
	flat_load_dwordx2 v[14:15], v[14:15]
.LBB260_17:
	s_or_b64 exec, exec, s[14:15]
	v_or_b32_e32 v46, 0x700, v0
	v_cmp_gt_u32_e64 s[12:13], s33, v46
                                        ; implicit-def: $vgpr16_vgpr17
	s_and_saveexec_b64 s[16:17], s[12:13]
	s_cbranch_execz .LBB260_19
; %bb.18:
	v_lshlrev_b32_e32 v1, 3, v46
	v_mov_b32_e32 v17, s56
	v_add_co_u32_e64 v16, s[14:15], s7, v1
	v_addc_co_u32_e64 v17, s[14:15], 0, v17, s[14:15]
	flat_load_dwordx2 v[16:17], v[16:17]
.LBB260_19:
	s_or_b64 exec, exec, s[16:17]
	v_or_b32_e32 v48, 0x800, v0
	v_cmp_gt_u32_e64 s[14:15], s33, v48
                                        ; implicit-def: $vgpr18_vgpr19
	s_and_saveexec_b64 s[18:19], s[14:15]
	s_cbranch_execz .LBB260_21
; %bb.20:
	v_lshlrev_b32_e32 v1, 3, v48
	v_mov_b32_e32 v19, s56
	v_add_co_u32_e64 v18, s[16:17], s7, v1
	v_addc_co_u32_e64 v19, s[16:17], 0, v19, s[16:17]
	flat_load_dwordx2 v[18:19], v[18:19]
.LBB260_21:
	s_or_b64 exec, exec, s[18:19]
	v_or_b32_e32 v50, 0x900, v0
	v_cmp_gt_u32_e64 s[16:17], s33, v50
                                        ; implicit-def: $vgpr20_vgpr21
	s_and_saveexec_b64 s[20:21], s[16:17]
	s_cbranch_execz .LBB260_23
; %bb.22:
	v_lshlrev_b32_e32 v1, 3, v50
	v_mov_b32_e32 v21, s56
	v_add_co_u32_e64 v20, s[18:19], s7, v1
	v_addc_co_u32_e64 v21, s[18:19], 0, v21, s[18:19]
	flat_load_dwordx2 v[20:21], v[20:21]
.LBB260_23:
	s_or_b64 exec, exec, s[20:21]
	v_or_b32_e32 v52, 0xa00, v0
	v_cmp_gt_u32_e64 s[18:19], s33, v52
                                        ; implicit-def: $vgpr22_vgpr23
	s_and_saveexec_b64 s[22:23], s[18:19]
	s_cbranch_execz .LBB260_25
; %bb.24:
	v_lshlrev_b32_e32 v1, 3, v52
	v_mov_b32_e32 v23, s56
	v_add_co_u32_e64 v22, s[20:21], s7, v1
	v_addc_co_u32_e64 v23, s[20:21], 0, v23, s[20:21]
	flat_load_dwordx2 v[22:23], v[22:23]
.LBB260_25:
	s_or_b64 exec, exec, s[22:23]
	v_or_b32_e32 v54, 0xb00, v0
	v_cmp_gt_u32_e64 s[20:21], s33, v54
                                        ; implicit-def: $vgpr24_vgpr25
	s_and_saveexec_b64 s[24:25], s[20:21]
	s_cbranch_execz .LBB260_27
; %bb.26:
	v_lshlrev_b32_e32 v1, 3, v54
	v_mov_b32_e32 v25, s56
	v_add_co_u32_e64 v24, s[22:23], s7, v1
	v_addc_co_u32_e64 v25, s[22:23], 0, v25, s[22:23]
	flat_load_dwordx2 v[24:25], v[24:25]
.LBB260_27:
	s_or_b64 exec, exec, s[24:25]
	v_or_b32_e32 v56, 0xc00, v0
	v_cmp_gt_u32_e64 s[22:23], s33, v56
                                        ; implicit-def: $vgpr26_vgpr27
	s_and_saveexec_b64 s[26:27], s[22:23]
	s_cbranch_execz .LBB260_29
; %bb.28:
	v_lshlrev_b32_e32 v1, 3, v56
	v_mov_b32_e32 v27, s56
	v_add_co_u32_e64 v26, s[24:25], s7, v1
	v_addc_co_u32_e64 v27, s[24:25], 0, v27, s[24:25]
	flat_load_dwordx2 v[26:27], v[26:27]
.LBB260_29:
	s_or_b64 exec, exec, s[26:27]
	v_or_b32_e32 v58, 0xd00, v0
	v_cmp_gt_u32_e64 s[24:25], s33, v58
                                        ; implicit-def: $vgpr28_vgpr29
	s_and_saveexec_b64 s[30:31], s[24:25]
	s_cbranch_execz .LBB260_31
; %bb.30:
	v_lshlrev_b32_e32 v1, 3, v58
	v_mov_b32_e32 v29, s56
	v_add_co_u32_e64 v28, s[26:27], s7, v1
	v_addc_co_u32_e64 v29, s[26:27], 0, v29, s[26:27]
	flat_load_dwordx2 v[28:29], v[28:29]
.LBB260_31:
	s_or_b64 exec, exec, s[30:31]
	v_or_b32_e32 v61, 0xe00, v0
	v_cmp_gt_u32_e64 s[26:27], s33, v61
                                        ; implicit-def: $vgpr30_vgpr31
	s_and_saveexec_b64 s[44:45], s[26:27]
	s_cbranch_execz .LBB260_33
; %bb.32:
	v_lshlrev_b32_e32 v1, 3, v61
	v_mov_b32_e32 v31, s56
	v_add_co_u32_e64 v30, s[30:31], s7, v1
	v_addc_co_u32_e64 v31, s[30:31], 0, v31, s[30:31]
	flat_load_dwordx2 v[30:31], v[30:31]
.LBB260_33:
	s_or_b64 exec, exec, s[44:45]
	v_lshlrev_b32_e32 v60, 3, v0
	s_movk_i32 s30, 0x70
	v_mad_u32_u24 v1, v0, s30, v60
	s_waitcnt vmcnt(0) lgkmcnt(0)
	ds_write2st64_b64 v60, v[2:3], v[4:5] offset1:4
	ds_write2st64_b64 v60, v[6:7], v[8:9] offset0:8 offset1:12
	ds_write2st64_b64 v60, v[10:11], v[12:13] offset0:16 offset1:20
	;; [unrolled: 1-line block ×6, first 2 shown]
	ds_write_b64 v60, v[30:31] offset:28672
	s_waitcnt lgkmcnt(0)
	s_barrier
	ds_read2_b64 v[26:29], v1 offset1:1
	ds_read2_b64 v[22:25], v1 offset0:2 offset1:3
	ds_read2_b64 v[18:21], v1 offset0:4 offset1:5
	;; [unrolled: 1-line block ×6, first 2 shown]
	ds_read_b64 v[74:75], v1 offset:112
	s_waitcnt lgkmcnt(0)
	s_barrier
	s_waitcnt lgkmcnt(0)
                                        ; implicit-def: $vgpr30_vgpr31
	s_and_saveexec_b64 s[30:31], vcc
	s_cbranch_execnz .LBB260_57
; %bb.34:
	s_or_b64 exec, exec, s[30:31]
                                        ; implicit-def: $vgpr32_vgpr33
	s_and_saveexec_b64 s[30:31], s[0:1]
	s_cbranch_execnz .LBB260_58
.LBB260_35:
	s_or_b64 exec, exec, s[30:31]
                                        ; implicit-def: $vgpr34_vgpr35
	s_and_saveexec_b64 s[0:1], s[2:3]
	s_cbranch_execnz .LBB260_59
.LBB260_36:
	s_or_b64 exec, exec, s[0:1]
                                        ; implicit-def: $vgpr36_vgpr37
	s_and_saveexec_b64 s[0:1], s[4:5]
	s_cbranch_execnz .LBB260_60
.LBB260_37:
	s_or_b64 exec, exec, s[0:1]
                                        ; implicit-def: $vgpr38_vgpr39
	s_and_saveexec_b64 s[0:1], s[28:29]
	s_cbranch_execnz .LBB260_61
.LBB260_38:
	s_or_b64 exec, exec, s[0:1]
                                        ; implicit-def: $vgpr40_vgpr41
	s_and_saveexec_b64 s[0:1], s[8:9]
	s_cbranch_execnz .LBB260_62
.LBB260_39:
	s_or_b64 exec, exec, s[0:1]
                                        ; implicit-def: $vgpr42_vgpr43
	s_and_saveexec_b64 s[0:1], s[10:11]
	s_cbranch_execnz .LBB260_63
.LBB260_40:
	s_or_b64 exec, exec, s[0:1]
                                        ; implicit-def: $vgpr44_vgpr45
	s_and_saveexec_b64 s[0:1], s[12:13]
	s_cbranch_execnz .LBB260_64
.LBB260_41:
	s_or_b64 exec, exec, s[0:1]
                                        ; implicit-def: $vgpr46_vgpr47
	s_and_saveexec_b64 s[0:1], s[14:15]
	s_cbranch_execnz .LBB260_65
.LBB260_42:
	s_or_b64 exec, exec, s[0:1]
                                        ; implicit-def: $vgpr48_vgpr49
	s_and_saveexec_b64 s[0:1], s[16:17]
	s_cbranch_execnz .LBB260_66
.LBB260_43:
	s_or_b64 exec, exec, s[0:1]
                                        ; implicit-def: $vgpr50_vgpr51
	s_and_saveexec_b64 s[0:1], s[18:19]
	s_cbranch_execnz .LBB260_67
.LBB260_44:
	s_or_b64 exec, exec, s[0:1]
                                        ; implicit-def: $vgpr52_vgpr53
	s_and_saveexec_b64 s[0:1], s[20:21]
	s_cbranch_execnz .LBB260_68
.LBB260_45:
	s_or_b64 exec, exec, s[0:1]
                                        ; implicit-def: $vgpr54_vgpr55
	s_and_saveexec_b64 s[0:1], s[22:23]
	s_cbranch_execnz .LBB260_69
.LBB260_46:
	s_or_b64 exec, exec, s[0:1]
                                        ; implicit-def: $vgpr56_vgpr57
	s_and_saveexec_b64 s[0:1], s[24:25]
	s_cbranch_execnz .LBB260_70
.LBB260_47:
	s_or_b64 exec, exec, s[0:1]
                                        ; implicit-def: $vgpr58_vgpr59
	s_and_saveexec_b64 s[0:1], s[26:27]
	s_cbranch_execz .LBB260_49
.LBB260_48:
	v_lshlrev_b32_e32 v58, 3, v61
	v_mov_b32_e32 v59, s64
	v_add_co_u32_e32 v58, vcc, s57, v58
	v_addc_co_u32_e32 v59, vcc, 0, v59, vcc
	flat_load_dwordx2 v[58:59], v[58:59]
.LBB260_49:
	s_or_b64 exec, exec, s[0:1]
	s_waitcnt vmcnt(0) lgkmcnt(0)
	ds_write2st64_b64 v60, v[30:31], v[32:33] offset1:4
	ds_write2st64_b64 v60, v[34:35], v[36:37] offset0:8 offset1:12
	ds_write2st64_b64 v60, v[38:39], v[40:41] offset0:16 offset1:20
	;; [unrolled: 1-line block ×6, first 2 shown]
	ds_write_b64 v60, v[58:59] offset:28672
	v_mov_b32_e32 v58, v26
	v_mov_b32_e32 v59, v27
	;; [unrolled: 1-line block ×14, first 2 shown]
	s_waitcnt lgkmcnt(0)
	s_barrier
.LBB260_50:
	s_waitcnt lgkmcnt(0)
	ds_read2_b64 v[54:57], v1 offset1:1
	ds_read2_b64 v[50:53], v1 offset0:2 offset1:3
	ds_read2_b64 v[46:49], v1 offset0:4 offset1:5
	;; [unrolled: 1-line block ×6, first 2 shown]
	ds_read_b64 v[72:73], v1 offset:112
	s_cmp_eq_u64 s[52:53], 0
	s_cselect_b64 s[44:45], -1, 0
	s_cmp_lg_u64 s[52:53], 0
	s_mov_b64 s[2:3], 0
	s_cselect_b64 s[30:31], -1, 0
	s_and_b64 vcc, exec, s[54:55]
	s_waitcnt lgkmcnt(0)
	s_barrier
	s_cbranch_vccz .LBB260_56
; %bb.51:
	s_and_b64 vcc, exec, s[30:31]
	s_cbranch_vccz .LBB260_71
; %bb.52:
	v_mov_b32_e32 v1, s56
	v_add_co_u32_e64 v76, vcc, -8, s7
	v_addc_co_u32_e32 v77, vcc, -1, v1, vcc
	flat_load_dwordx2 v[76:77], v[76:77]
	v_lshlrev_b32_e32 v1, 3, v0
	v_cmp_ne_u64_e32 vcc, v[4:5], v[74:75]
	v_cmp_ne_u64_e64 s[0:1], v[2:3], v[4:5]
	v_cmp_ne_u64_e64 s[2:3], v[8:9], v[2:3]
	;; [unrolled: 1-line block ×13, first 2 shown]
	v_cmp_ne_u32_e64 s[28:29], 0, v0
	ds_write_b64 v1, v[74:75]
	s_waitcnt lgkmcnt(0)
	s_barrier
	s_and_saveexec_b64 s[54:55], s[28:29]
	s_cbranch_execz .LBB260_54
; %bb.53:
	v_add_u32_e32 v1, -8, v1
	s_waitcnt vmcnt(0)
	ds_read_b64 v[76:77], v1
.LBB260_54:
	s_or_b64 exec, exec, s[54:55]
	v_cndmask_b32_e64 v1, 0, 1, vcc
	v_cndmask_b32_e64 v100, 0, 1, s[0:1]
	v_cndmask_b32_e64 v101, 0, 1, s[2:3]
	;; [unrolled: 1-line block ×13, first 2 shown]
	s_waitcnt vmcnt(0) lgkmcnt(0)
	v_cmp_ne_u64_e64 s[0:1], v[76:77], v[26:27]
	s_mov_b64 s[2:3], -1
.LBB260_55:
                                        ; implicit-def: $sgpr10
	s_branch .LBB260_83
.LBB260_56:
                                        ; implicit-def: $sgpr0_sgpr1
                                        ; implicit-def: $vgpr1
                                        ; implicit-def: $vgpr100
                                        ; implicit-def: $vgpr101
                                        ; implicit-def: $vgpr102
                                        ; implicit-def: $vgpr103
                                        ; implicit-def: $vgpr104
                                        ; implicit-def: $vgpr105
                                        ; implicit-def: $vgpr106
                                        ; implicit-def: $vgpr107
                                        ; implicit-def: $vgpr108
                                        ; implicit-def: $vgpr109
                                        ; implicit-def: $vgpr110
                                        ; implicit-def: $vgpr111
                                        ; implicit-def: $vgpr112
                                        ; implicit-def: $sgpr10
	s_cbranch_execnz .LBB260_75
	s_branch .LBB260_83
.LBB260_57:
	v_mov_b32_e32 v31, s64
	v_add_co_u32_e32 v30, vcc, s57, v60
	v_addc_co_u32_e32 v31, vcc, 0, v31, vcc
	flat_load_dwordx2 v[30:31], v[30:31]
	s_or_b64 exec, exec, s[30:31]
                                        ; implicit-def: $vgpr32_vgpr33
	s_and_saveexec_b64 s[30:31], s[0:1]
	s_cbranch_execz .LBB260_35
.LBB260_58:
	v_mov_b32_e32 v33, s64
	v_add_co_u32_e32 v32, vcc, s57, v60
	v_addc_co_u32_e32 v33, vcc, 0, v33, vcc
	flat_load_dwordx2 v[32:33], v[32:33] offset:2048
	s_or_b64 exec, exec, s[30:31]
                                        ; implicit-def: $vgpr34_vgpr35
	s_and_saveexec_b64 s[0:1], s[2:3]
	s_cbranch_execz .LBB260_36
.LBB260_59:
	v_lshlrev_b32_e32 v34, 3, v36
	v_mov_b32_e32 v35, s64
	v_add_co_u32_e32 v34, vcc, s57, v34
	v_addc_co_u32_e32 v35, vcc, 0, v35, vcc
	flat_load_dwordx2 v[34:35], v[34:35]
	s_or_b64 exec, exec, s[0:1]
                                        ; implicit-def: $vgpr36_vgpr37
	s_and_saveexec_b64 s[0:1], s[4:5]
	s_cbranch_execz .LBB260_37
.LBB260_60:
	v_lshlrev_b32_e32 v36, 3, v38
	v_mov_b32_e32 v37, s64
	v_add_co_u32_e32 v36, vcc, s57, v36
	v_addc_co_u32_e32 v37, vcc, 0, v37, vcc
	flat_load_dwordx2 v[36:37], v[36:37]
	s_or_b64 exec, exec, s[0:1]
                                        ; implicit-def: $vgpr38_vgpr39
	s_and_saveexec_b64 s[0:1], s[28:29]
	s_cbranch_execz .LBB260_38
.LBB260_61:
	v_lshlrev_b32_e32 v38, 3, v40
	v_mov_b32_e32 v39, s64
	v_add_co_u32_e32 v38, vcc, s57, v38
	v_addc_co_u32_e32 v39, vcc, 0, v39, vcc
	flat_load_dwordx2 v[38:39], v[38:39]
	s_or_b64 exec, exec, s[0:1]
                                        ; implicit-def: $vgpr40_vgpr41
	s_and_saveexec_b64 s[0:1], s[8:9]
	s_cbranch_execz .LBB260_39
.LBB260_62:
	v_lshlrev_b32_e32 v40, 3, v42
	v_mov_b32_e32 v41, s64
	v_add_co_u32_e32 v40, vcc, s57, v40
	v_addc_co_u32_e32 v41, vcc, 0, v41, vcc
	flat_load_dwordx2 v[40:41], v[40:41]
	s_or_b64 exec, exec, s[0:1]
                                        ; implicit-def: $vgpr42_vgpr43
	s_and_saveexec_b64 s[0:1], s[10:11]
	s_cbranch_execz .LBB260_40
.LBB260_63:
	v_lshlrev_b32_e32 v42, 3, v44
	v_mov_b32_e32 v43, s64
	v_add_co_u32_e32 v42, vcc, s57, v42
	v_addc_co_u32_e32 v43, vcc, 0, v43, vcc
	flat_load_dwordx2 v[42:43], v[42:43]
	s_or_b64 exec, exec, s[0:1]
                                        ; implicit-def: $vgpr44_vgpr45
	s_and_saveexec_b64 s[0:1], s[12:13]
	s_cbranch_execz .LBB260_41
.LBB260_64:
	v_lshlrev_b32_e32 v44, 3, v46
	v_mov_b32_e32 v45, s64
	v_add_co_u32_e32 v44, vcc, s57, v44
	v_addc_co_u32_e32 v45, vcc, 0, v45, vcc
	flat_load_dwordx2 v[44:45], v[44:45]
	s_or_b64 exec, exec, s[0:1]
                                        ; implicit-def: $vgpr46_vgpr47
	s_and_saveexec_b64 s[0:1], s[14:15]
	s_cbranch_execz .LBB260_42
.LBB260_65:
	v_lshlrev_b32_e32 v46, 3, v48
	v_mov_b32_e32 v47, s64
	v_add_co_u32_e32 v46, vcc, s57, v46
	v_addc_co_u32_e32 v47, vcc, 0, v47, vcc
	flat_load_dwordx2 v[46:47], v[46:47]
	s_or_b64 exec, exec, s[0:1]
                                        ; implicit-def: $vgpr48_vgpr49
	s_and_saveexec_b64 s[0:1], s[16:17]
	s_cbranch_execz .LBB260_43
.LBB260_66:
	v_lshlrev_b32_e32 v48, 3, v50
	v_mov_b32_e32 v49, s64
	v_add_co_u32_e32 v48, vcc, s57, v48
	v_addc_co_u32_e32 v49, vcc, 0, v49, vcc
	flat_load_dwordx2 v[48:49], v[48:49]
	s_or_b64 exec, exec, s[0:1]
                                        ; implicit-def: $vgpr50_vgpr51
	s_and_saveexec_b64 s[0:1], s[18:19]
	s_cbranch_execz .LBB260_44
.LBB260_67:
	v_lshlrev_b32_e32 v50, 3, v52
	v_mov_b32_e32 v51, s64
	v_add_co_u32_e32 v50, vcc, s57, v50
	v_addc_co_u32_e32 v51, vcc, 0, v51, vcc
	flat_load_dwordx2 v[50:51], v[50:51]
	s_or_b64 exec, exec, s[0:1]
                                        ; implicit-def: $vgpr52_vgpr53
	s_and_saveexec_b64 s[0:1], s[20:21]
	s_cbranch_execz .LBB260_45
.LBB260_68:
	v_lshlrev_b32_e32 v52, 3, v54
	v_mov_b32_e32 v53, s64
	v_add_co_u32_e32 v52, vcc, s57, v52
	v_addc_co_u32_e32 v53, vcc, 0, v53, vcc
	flat_load_dwordx2 v[52:53], v[52:53]
	s_or_b64 exec, exec, s[0:1]
                                        ; implicit-def: $vgpr54_vgpr55
	s_and_saveexec_b64 s[0:1], s[22:23]
	s_cbranch_execz .LBB260_46
.LBB260_69:
	v_lshlrev_b32_e32 v54, 3, v56
	v_mov_b32_e32 v55, s64
	v_add_co_u32_e32 v54, vcc, s57, v54
	v_addc_co_u32_e32 v55, vcc, 0, v55, vcc
	flat_load_dwordx2 v[54:55], v[54:55]
	s_or_b64 exec, exec, s[0:1]
                                        ; implicit-def: $vgpr56_vgpr57
	s_and_saveexec_b64 s[0:1], s[24:25]
	s_cbranch_execz .LBB260_47
.LBB260_70:
	v_lshlrev_b32_e32 v56, 3, v58
	v_mov_b32_e32 v57, s64
	v_add_co_u32_e32 v56, vcc, s57, v56
	v_addc_co_u32_e32 v57, vcc, 0, v57, vcc
	flat_load_dwordx2 v[56:57], v[56:57]
	s_or_b64 exec, exec, s[0:1]
                                        ; implicit-def: $vgpr58_vgpr59
	s_and_saveexec_b64 s[0:1], s[26:27]
	s_cbranch_execnz .LBB260_48
	s_branch .LBB260_49
.LBB260_71:
                                        ; implicit-def: $sgpr0_sgpr1
                                        ; implicit-def: $vgpr1
                                        ; implicit-def: $vgpr100
                                        ; implicit-def: $vgpr101
                                        ; implicit-def: $vgpr102
                                        ; implicit-def: $vgpr103
                                        ; implicit-def: $vgpr104
                                        ; implicit-def: $vgpr105
                                        ; implicit-def: $vgpr106
                                        ; implicit-def: $vgpr107
                                        ; implicit-def: $vgpr108
                                        ; implicit-def: $vgpr109
                                        ; implicit-def: $vgpr110
                                        ; implicit-def: $vgpr111
                                        ; implicit-def: $vgpr112
	s_cbranch_execz .LBB260_55
; %bb.72:
	v_cmp_ne_u64_e32 vcc, v[28:29], v[58:59]
	v_cndmask_b32_e64 v112, 0, 1, vcc
	v_cmp_ne_u64_e32 vcc, v[28:29], v[60:61]
	v_cndmask_b32_e64 v111, 0, 1, vcc
	;; [unrolled: 2-line block ×13, first 2 shown]
	v_cmp_ne_u64_e32 vcc, v[4:5], v[74:75]
	v_lshlrev_b32_e32 v76, 3, v0
	v_cndmask_b32_e64 v1, 0, 1, vcc
	v_cmp_ne_u32_e32 vcc, 0, v0
	ds_write_b64 v76, v[74:75]
	s_waitcnt lgkmcnt(0)
	s_barrier
	s_waitcnt lgkmcnt(0)
                                        ; implicit-def: $sgpr0_sgpr1
	s_and_saveexec_b64 s[4:5], vcc
	s_xor_b64 s[4:5], exec, s[4:5]
	s_cbranch_execz .LBB260_74
; %bb.73:
	v_add_u32_e32 v58, -8, v76
	ds_read_b64 v[58:59], v58
	s_or_b64 s[2:3], s[2:3], exec
	s_waitcnt lgkmcnt(0)
	v_cmp_ne_u64_e32 vcc, v[58:59], v[26:27]
	s_and_b64 s[0:1], vcc, exec
.LBB260_74:
	s_or_b64 exec, exec, s[4:5]
	s_mov_b32 s10, 1
	s_branch .LBB260_83
.LBB260_75:
	s_mul_hi_u32 s1, s52, 0xfffff100
	s_mul_i32 s0, s53, 0xfffff100
	s_sub_i32 s1, s1, s52
	s_add_i32 s1, s1, s0
	s_mul_i32 s0, s52, 0xfffff100
	s_add_u32 s4, s0, s48
	s_addc_u32 s5, s1, s49
	s_and_b64 vcc, exec, s[30:31]
	s_cbranch_vccz .LBB260_80
; %bb.76:
	v_mov_b32_e32 v1, s56
	v_add_co_u32_e64 v58, vcc, -8, s7
	v_addc_co_u32_e32 v59, vcc, -1, v1, vcc
	flat_load_dwordx2 v[58:59], v[58:59]
	v_mad_u32_u24 v62, v0, 15, 14
	v_mov_b32_e32 v63, 0
	v_cmp_gt_u64_e32 vcc, s[4:5], v[62:63]
	v_cmp_ne_u64_e64 s[0:1], v[4:5], v[74:75]
	v_mad_u32_u24 v62, v0, 15, 13
	s_and_b64 s[2:3], vcc, s[0:1]
	v_cmp_gt_u64_e32 vcc, s[4:5], v[62:63]
	v_cmp_ne_u64_e64 s[0:1], v[2:3], v[4:5]
	v_mad_u32_u24 v62, v0, 15, 12
	s_and_b64 s[8:9], vcc, s[0:1]
	;; [unrolled: 4-line block ×13, first 2 shown]
	v_cmp_gt_u64_e32 vcc, s[4:5], v[62:63]
	v_cmp_ne_u64_e64 s[0:1], v[26:27], v[28:29]
	v_lshlrev_b32_e32 v1, 3, v0
	v_mul_u32_u24_e32 v60, 15, v0
	s_and_b64 s[0:1], vcc, s[0:1]
	v_cmp_ne_u32_e32 vcc, 0, v0
	ds_write_b64 v1, v[74:75]
	s_waitcnt lgkmcnt(0)
	s_barrier
	s_and_saveexec_b64 s[48:49], vcc
	s_cbranch_execz .LBB260_78
; %bb.77:
	v_add_u32_e32 v1, -8, v1
	s_waitcnt vmcnt(0)
	ds_read_b64 v[58:59], v1
.LBB260_78:
	s_or_b64 exec, exec, s[48:49]
	v_mov_b32_e32 v61, v63
	v_cndmask_b32_e64 v112, 0, 1, s[0:1]
	v_cmp_gt_u64_e32 vcc, s[4:5], v[60:61]
	s_waitcnt vmcnt(0) lgkmcnt(0)
	v_cmp_ne_u64_e64 s[0:1], v[58:59], v[26:27]
	v_cndmask_b32_e64 v1, 0, 1, s[2:3]
	v_cndmask_b32_e64 v100, 0, 1, s[8:9]
	;; [unrolled: 1-line block ×13, first 2 shown]
	s_and_b64 s[0:1], vcc, s[0:1]
	s_mov_b64 s[2:3], -1
.LBB260_79:
                                        ; implicit-def: $sgpr10
	v_mov_b32_e32 v113, s10
	s_and_saveexec_b64 s[4:5], s[2:3]
	s_cbranch_execnz .LBB260_84
	s_branch .LBB260_85
.LBB260_80:
                                        ; implicit-def: $sgpr0_sgpr1
                                        ; implicit-def: $vgpr1
                                        ; implicit-def: $vgpr100
                                        ; implicit-def: $vgpr101
                                        ; implicit-def: $vgpr102
                                        ; implicit-def: $vgpr103
                                        ; implicit-def: $vgpr104
                                        ; implicit-def: $vgpr105
                                        ; implicit-def: $vgpr106
                                        ; implicit-def: $vgpr107
                                        ; implicit-def: $vgpr108
                                        ; implicit-def: $vgpr109
                                        ; implicit-def: $vgpr110
                                        ; implicit-def: $vgpr111
                                        ; implicit-def: $vgpr112
	s_cbranch_execz .LBB260_79
; %bb.81:
	v_mad_u32_u24 v58, v0, 15, 14
	v_mov_b32_e32 v59, 0
	v_cmp_gt_u64_e32 vcc, s[4:5], v[58:59]
	v_cmp_ne_u64_e64 s[0:1], v[4:5], v[74:75]
	s_and_b64 s[0:1], vcc, s[0:1]
	v_mad_u32_u24 v58, v0, 15, 13
	v_cndmask_b32_e64 v1, 0, 1, s[0:1]
	v_cmp_gt_u64_e32 vcc, s[4:5], v[58:59]
	v_cmp_ne_u64_e64 s[0:1], v[2:3], v[4:5]
	s_and_b64 s[0:1], vcc, s[0:1]
	v_mad_u32_u24 v58, v0, 15, 12
	v_cndmask_b32_e64 v100, 0, 1, s[0:1]
	;; [unrolled: 5-line block ×13, first 2 shown]
	v_cmp_gt_u64_e32 vcc, s[4:5], v[58:59]
	v_cmp_ne_u64_e64 s[0:1], v[26:27], v[28:29]
	s_and_b64 s[0:1], vcc, s[0:1]
	v_lshlrev_b32_e32 v60, 3, v0
	s_mov_b32 s10, 1
	v_cndmask_b32_e64 v112, 0, 1, s[0:1]
	v_cmp_ne_u32_e32 vcc, 0, v0
	ds_write_b64 v60, v[74:75]
	s_waitcnt lgkmcnt(0)
	s_barrier
	s_waitcnt lgkmcnt(0)
                                        ; implicit-def: $sgpr0_sgpr1
	s_and_saveexec_b64 s[8:9], vcc
	s_cbranch_execz .LBB260_224
; %bb.82:
	v_add_u32_e32 v58, -8, v60
	ds_read_b64 v[60:61], v58
	v_mul_u32_u24_e32 v58, 15, v0
	v_cmp_gt_u64_e32 vcc, s[4:5], v[58:59]
	s_or_b64 s[2:3], s[2:3], exec
	s_waitcnt lgkmcnt(0)
	v_cmp_ne_u64_e64 s[0:1], v[60:61], v[26:27]
	s_and_b64 s[0:1], vcc, s[0:1]
	s_and_b64 s[0:1], s[0:1], exec
	s_or_b64 exec, exec, s[8:9]
.LBB260_83:
	v_mov_b32_e32 v113, s10
	s_and_saveexec_b64 s[4:5], s[2:3]
.LBB260_84:
	v_cndmask_b32_e64 v113, 0, 1, s[0:1]
.LBB260_85:
	s_or_b64 exec, exec, s[4:5]
	s_cmp_eq_u64 s[42:43], 0
	v_add3_u32 v58, v112, v113, v111
	v_mov_b32_e32 v64, v54
	v_mov_b32_e32 v65, v55
	s_cselect_b64 s[30:31], -1, 0
	s_cmp_lg_u32 s6, 0
	v_cmp_eq_u32_e64 s[24:25], 0, v112
	v_cmp_eq_u32_e64 s[22:23], 0, v111
	v_cmp_eq_u32_e64 s[20:21], 0, v110
	v_add3_u32 v115, v58, v110, v109
	v_cmp_eq_u32_e64 s[18:19], 0, v109
	v_cmp_eq_u32_e64 s[16:17], 0, v108
	;; [unrolled: 1-line block ×10, first 2 shown]
	v_cmp_eq_u32_e32 vcc, 0, v1
	v_mbcnt_lo_u32_b32 v114, -1, 0
	s_cbranch_scc0 .LBB260_156
; %bb.86:
	v_cndmask_b32_e64 v59, 0, v54, s[24:25]
	v_cndmask_b32_e64 v58, 0, v55, s[24:25]
	v_add_co_u32_e64 v59, s[26:27], v59, v56
	v_addc_co_u32_e64 v58, s[26:27], v58, v57, s[26:27]
	v_cndmask_b32_e64 v59, 0, v59, s[22:23]
	v_cndmask_b32_e64 v58, 0, v58, s[22:23]
	v_add_co_u32_e64 v59, s[26:27], v59, v50
	v_addc_co_u32_e64 v58, s[26:27], v58, v51, s[26:27]
	;; [unrolled: 4-line block ×11, first 2 shown]
	v_cndmask_b32_e64 v59, 0, v59, s[2:3]
	v_add3_u32 v60, v115, v108, v107
	v_cndmask_b32_e64 v58, 0, v58, s[2:3]
	v_add_co_u32_e64 v59, s[26:27], v59, v30
	v_add3_u32 v60, v60, v106, v105
	v_addc_co_u32_e64 v58, s[26:27], v58, v31, s[26:27]
	v_cndmask_b32_e64 v59, 0, v59, s[0:1]
	v_add3_u32 v60, v60, v104, v103
	v_cndmask_b32_e64 v58, 0, v58, s[0:1]
	v_add_co_u32_e64 v59, s[26:27], v59, v32
	v_add3_u32 v60, v60, v102, v101
	v_addc_co_u32_e64 v58, s[26:27], v58, v33, s[26:27]
	v_cndmask_b32_e32 v59, 0, v59, vcc
	v_add3_u32 v62, v60, v100, v1
	v_cndmask_b32_e32 v58, 0, v58, vcc
	v_add_co_u32_e32 v60, vcc, v59, v72
	v_mbcnt_hi_u32_b32 v63, -1, v114
	v_addc_co_u32_e32 v61, vcc, v58, v73, vcc
	v_and_b32_e32 v58, 15, v63
	v_mov_b32_dpp v66, v62 row_shr:1 row_mask:0xf bank_mask:0xf
	v_mov_b32_dpp v59, v60 row_shr:1 row_mask:0xf bank_mask:0xf
	;; [unrolled: 1-line block ×3, first 2 shown]
	v_cmp_ne_u32_e32 vcc, 0, v58
	s_and_saveexec_b64 s[26:27], vcc
; %bb.87:
	v_cmp_eq_u32_e32 vcc, 0, v62
	v_cndmask_b32_e32 v59, 0, v59, vcc
	v_add_u32_e32 v66, v66, v62
	v_cndmask_b32_e32 v62, 0, v67, vcc
	v_add_co_u32_e32 v60, vcc, v59, v60
	v_addc_co_u32_e32 v61, vcc, v62, v61, vcc
	v_mov_b32_e32 v62, v66
; %bb.88:
	s_or_b64 exec, exec, s[26:27]
	s_nop 0
	v_mov_b32_dpp v66, v62 row_shr:2 row_mask:0xf bank_mask:0xf
	v_mov_b32_dpp v59, v60 row_shr:2 row_mask:0xf bank_mask:0xf
	v_mov_b32_dpp v67, v61 row_shr:2 row_mask:0xf bank_mask:0xf
	v_cmp_lt_u32_e32 vcc, 1, v58
	s_and_saveexec_b64 s[26:27], vcc
; %bb.89:
	v_cmp_eq_u32_e32 vcc, 0, v62
	v_cndmask_b32_e32 v59, 0, v59, vcc
	v_add_u32_e32 v66, v66, v62
	v_cndmask_b32_e32 v62, 0, v67, vcc
	v_add_co_u32_e32 v60, vcc, v59, v60
	v_addc_co_u32_e32 v61, vcc, v62, v61, vcc
	v_mov_b32_e32 v62, v66
; %bb.90:
	s_or_b64 exec, exec, s[26:27]
	s_nop 0
	v_mov_b32_dpp v66, v62 row_shr:4 row_mask:0xf bank_mask:0xf
	v_mov_b32_dpp v59, v60 row_shr:4 row_mask:0xf bank_mask:0xf
	v_mov_b32_dpp v67, v61 row_shr:4 row_mask:0xf bank_mask:0xf
	v_cmp_lt_u32_e32 vcc, 3, v58
	;; [unrolled: 16-line block ×3, first 2 shown]
	s_and_saveexec_b64 s[26:27], vcc
; %bb.93:
	v_cmp_eq_u32_e32 vcc, 0, v62
	v_cndmask_b32_e32 v59, 0, v59, vcc
	v_add_u32_e32 v58, v66, v62
	v_cndmask_b32_e32 v62, 0, v67, vcc
	v_add_co_u32_e32 v60, vcc, v59, v60
	v_addc_co_u32_e32 v61, vcc, v62, v61, vcc
	v_mov_b32_e32 v62, v58
; %bb.94:
	s_or_b64 exec, exec, s[26:27]
	v_and_b32_e32 v67, 16, v63
	v_mov_b32_dpp v59, v62 row_bcast:15 row_mask:0xf bank_mask:0xf
	v_mov_b32_dpp v58, v60 row_bcast:15 row_mask:0xf bank_mask:0xf
	;; [unrolled: 1-line block ×3, first 2 shown]
	v_cmp_ne_u32_e32 vcc, 0, v67
	s_and_saveexec_b64 s[26:27], vcc
; %bb.95:
	v_cmp_eq_u32_e32 vcc, 0, v62
	v_cndmask_b32_e32 v58, 0, v58, vcc
	v_add_u32_e32 v59, v59, v62
	v_cndmask_b32_e32 v62, 0, v66, vcc
	v_add_co_u32_e32 v60, vcc, v58, v60
	v_addc_co_u32_e32 v61, vcc, v62, v61, vcc
	v_mov_b32_e32 v62, v59
; %bb.96:
	s_or_b64 exec, exec, s[26:27]
	s_nop 0
	v_mov_b32_dpp v59, v62 row_bcast:31 row_mask:0xf bank_mask:0xf
	v_mov_b32_dpp v58, v60 row_bcast:31 row_mask:0xf bank_mask:0xf
	;; [unrolled: 1-line block ×3, first 2 shown]
	v_cmp_lt_u32_e32 vcc, 31, v63
	s_and_saveexec_b64 s[26:27], vcc
; %bb.97:
	v_cmp_eq_u32_e32 vcc, 0, v62
	v_cndmask_b32_e32 v58, 0, v58, vcc
	v_add_u32_e32 v59, v59, v62
	v_cndmask_b32_e32 v62, 0, v66, vcc
	v_add_co_u32_e32 v60, vcc, v58, v60
	v_addc_co_u32_e32 v61, vcc, v62, v61, vcc
	v_mov_b32_e32 v62, v59
; %bb.98:
	s_or_b64 exec, exec, s[26:27]
	v_lshrrev_b32_e32 v58, 6, v0
	v_or_b32_e32 v59, 63, v0
	v_cmp_eq_u32_e32 vcc, v59, v0
	v_lshlrev_b32_e32 v66, 4, v58
	s_and_saveexec_b64 s[26:27], vcc
	s_cbranch_execz .LBB260_100
; %bb.99:
	ds_write_b32 v66, v62 offset:4128
	ds_write_b64 v66, v[60:61] offset:4136
.LBB260_100:
	s_or_b64 exec, exec, s[26:27]
	v_cmp_gt_u32_e32 vcc, 4, v0
	s_waitcnt lgkmcnt(0)
	s_barrier
	s_and_saveexec_b64 s[26:27], vcc
	s_cbranch_execz .LBB260_106
; %bb.101:
	v_lshlrev_b32_e32 v67, 4, v0
	ds_read_b32 v68, v67 offset:4128
	ds_read_b64 v[58:59], v67 offset:4136
	v_and_b32_e32 v69, 3, v63
	v_cmp_ne_u32_e32 vcc, 0, v69
	s_waitcnt lgkmcnt(1)
	v_mov_b32_dpp v71, v68 row_shr:1 row_mask:0xf bank_mask:0xf
	s_waitcnt lgkmcnt(0)
	v_mov_b32_dpp v70, v58 row_shr:1 row_mask:0xf bank_mask:0xf
	v_mov_b32_dpp v76, v59 row_shr:1 row_mask:0xf bank_mask:0xf
	s_and_saveexec_b64 s[42:43], vcc
; %bb.102:
	v_cmp_eq_u32_e32 vcc, 0, v68
	v_cndmask_b32_e32 v70, 0, v70, vcc
	v_add_u32_e32 v71, v71, v68
	v_cndmask_b32_e32 v68, 0, v76, vcc
	v_add_co_u32_e32 v58, vcc, v70, v58
	v_addc_co_u32_e32 v59, vcc, v68, v59, vcc
	v_mov_b32_e32 v68, v71
; %bb.103:
	s_or_b64 exec, exec, s[42:43]
	s_nop 0
	v_mov_b32_dpp v71, v68 row_shr:2 row_mask:0xf bank_mask:0xf
	v_mov_b32_dpp v70, v58 row_shr:2 row_mask:0xf bank_mask:0xf
	v_mov_b32_dpp v76, v59 row_shr:2 row_mask:0xf bank_mask:0xf
	v_cmp_lt_u32_e32 vcc, 1, v69
	s_and_saveexec_b64 s[42:43], vcc
; %bb.104:
	v_cmp_eq_u32_e32 vcc, 0, v68
	v_cndmask_b32_e32 v70, 0, v70, vcc
	v_add_u32_e32 v69, v71, v68
	v_cndmask_b32_e32 v68, 0, v76, vcc
	v_add_co_u32_e32 v58, vcc, v70, v58
	v_addc_co_u32_e32 v59, vcc, v68, v59, vcc
	v_mov_b32_e32 v68, v69
; %bb.105:
	s_or_b64 exec, exec, s[42:43]
	ds_write_b32 v67, v68 offset:4128
	ds_write_b64 v67, v[58:59] offset:4136
.LBB260_106:
	s_or_b64 exec, exec, s[26:27]
	v_cmp_gt_u32_e32 vcc, 64, v0
	v_cmp_lt_u32_e64 s[26:27], 63, v0
	v_pk_mov_b32 v[58:59], 0, 0
	v_mov_b32_e32 v76, 0
	s_waitcnt lgkmcnt(0)
	s_barrier
	s_and_saveexec_b64 s[42:43], s[26:27]
	s_cbranch_execz .LBB260_108
; %bb.107:
	ds_read_b32 v76, v66 offset:4112
	ds_read_b64 v[58:59], v66 offset:4120
	v_cmp_eq_u32_e64 s[26:27], 0, v62
	s_waitcnt lgkmcnt(1)
	v_add_u32_e32 v66, v76, v62
	s_waitcnt lgkmcnt(0)
	v_cndmask_b32_e64 v67, 0, v58, s[26:27]
	v_cndmask_b32_e64 v62, 0, v59, s[26:27]
	v_add_co_u32_e64 v60, s[26:27], v67, v60
	v_addc_co_u32_e64 v61, s[26:27], v62, v61, s[26:27]
	v_mov_b32_e32 v62, v66
.LBB260_108:
	s_or_b64 exec, exec, s[42:43]
	v_add_u32_e32 v66, -1, v63
	v_and_b32_e32 v67, 64, v63
	v_cmp_lt_i32_e64 s[26:27], v66, v67
	v_cndmask_b32_e64 v66, v66, v63, s[26:27]
	v_lshlrev_b32_e32 v66, 2, v66
	ds_bpermute_b32 v77, v66, v62
	ds_bpermute_b32 v78, v66, v60
	;; [unrolled: 1-line block ×3, first 2 shown]
	v_cmp_eq_u32_e64 s[26:27], 0, v63
	s_and_saveexec_b64 s[42:43], vcc
	s_cbranch_execz .LBB260_155
; %bb.109:
	v_mov_b32_e32 v67, 0
	ds_read_b32 v80, v67 offset:4176
	ds_read_b64 v[60:61], v67 offset:4184
	s_and_saveexec_b64 s[48:49], s[26:27]
	s_cbranch_execz .LBB260_111
; %bb.110:
	s_add_i32 s52, s6, 64
	s_mov_b32 s53, 0
	s_lshl_b64 s[54:55], s[52:53], 4
	s_add_u32 s54, s36, s54
	s_addc_u32 s55, s37, s55
	v_mov_b32_e32 v62, s52
	v_mov_b32_e32 v66, 1
	s_waitcnt lgkmcnt(1)
	global_store_dword v67, v80, s[54:55]
	s_waitcnt lgkmcnt(0)
	global_store_dwordx2 v67, v[60:61], s[54:55] offset:8
	s_waitcnt vmcnt(0)
	buffer_wbinvl1_vol
	global_store_byte v62, v66, s[40:41]
.LBB260_111:
	s_or_b64 exec, exec, s[48:49]
	v_xad_u32 v62, v63, -1, s6
	v_add_u32_e32 v66, 64, v62
	global_load_ubyte v81, v66, s[40:41] glc
	s_waitcnt vmcnt(0)
	v_cmp_eq_u16_e32 vcc, 0, v81
	s_and_saveexec_b64 s[48:49], vcc
	s_cbranch_execz .LBB260_117
; %bb.112:
	v_mov_b32_e32 v69, s41
	v_add_co_u32_e32 v68, vcc, s40, v66
	v_addc_co_u32_e32 v69, vcc, 0, v69, vcc
	s_mov_b32 s7, 1
	s_mov_b64 s[52:53], 0
.LBB260_113:                            ; =>This Loop Header: Depth=1
                                        ;     Child Loop BB260_114 Depth 2
	s_max_u32 s54, s7, 1
.LBB260_114:                            ;   Parent Loop BB260_113 Depth=1
                                        ; =>  This Inner Loop Header: Depth=2
	s_add_i32 s54, s54, -1
	s_cmp_eq_u32 s54, 0
	s_sleep 1
	s_cbranch_scc0 .LBB260_114
; %bb.115:                              ;   in Loop: Header=BB260_113 Depth=1
	global_load_ubyte v81, v[68:69], off glc
	s_cmp_lt_u32 s7, 32
	s_cselect_b64 s[54:55], -1, 0
	s_cmp_lg_u64 s[54:55], 0
	s_addc_u32 s7, s7, 0
	s_waitcnt vmcnt(0)
	v_cmp_ne_u16_e32 vcc, 0, v81
	s_or_b64 s[52:53], vcc, s[52:53]
	s_andn2_b64 exec, exec, s[52:53]
	s_cbranch_execnz .LBB260_113
; %bb.116:
	s_or_b64 exec, exec, s[52:53]
.LBB260_117:
	s_or_b64 exec, exec, s[48:49]
	v_mov_b32_e32 v68, s39
	v_mov_b32_e32 v69, s37
	v_cmp_eq_u16_e32 vcc, 1, v81
	v_cndmask_b32_e32 v68, v68, v69, vcc
	v_mov_b32_e32 v69, s38
	v_mov_b32_e32 v70, s36
	v_cndmask_b32_e32 v69, v69, v70, vcc
	v_lshlrev_b64 v[66:67], 4, v[66:67]
	v_add_co_u32_e32 v66, vcc, v69, v66
	v_addc_co_u32_e32 v67, vcc, v68, v67, vcc
	s_waitcnt lgkmcnt(0)
	buffer_wbinvl1_vol
	global_load_dword v96, v[66:67], off
	global_load_dwordx2 v[70:71], v[66:67], off offset:8
	v_cmp_eq_u16_e32 vcc, 2, v81
	v_lshlrev_b64 v[66:67], v63, -1
	v_and_b32_e32 v82, 63, v63
	v_and_b32_e32 v68, vcc_hi, v67
	v_and_b32_e32 v86, vcc_lo, v66
	v_cmp_ne_u32_e32 vcc, 63, v82
	v_addc_co_u32_e32 v69, vcc, 0, v63, vcc
	v_lshlrev_b32_e32 v83, 2, v69
	v_or_b32_e32 v68, 0x80000000, v68
	v_ffbl_b32_e32 v68, v68
	v_add_u32_e32 v68, 32, v68
	v_ffbl_b32_e32 v86, v86
	v_min_u32_e32 v68, v86, v68
	v_cmp_lt_u32_e32 vcc, v82, v68
	s_waitcnt vmcnt(1)
	ds_bpermute_b32 v84, v83, v96
	s_waitcnt vmcnt(0)
	ds_bpermute_b32 v69, v83, v70
	ds_bpermute_b32 v85, v83, v71
	s_and_saveexec_b64 s[48:49], vcc
	s_cbranch_execz .LBB260_119
; %bb.118:
	v_cmp_eq_u32_e32 vcc, 0, v96
	s_waitcnt lgkmcnt(1)
	v_cndmask_b32_e32 v69, 0, v69, vcc
	v_add_u32_e32 v84, v84, v96
	s_waitcnt lgkmcnt(0)
	v_cndmask_b32_e32 v85, 0, v85, vcc
	v_add_co_u32_e32 v70, vcc, v69, v70
	v_addc_co_u32_e32 v71, vcc, v85, v71, vcc
	v_mov_b32_e32 v96, v84
.LBB260_119:
	s_or_b64 exec, exec, s[48:49]
	v_cmp_gt_u32_e32 vcc, 62, v82
	s_waitcnt lgkmcnt(1)
	v_cndmask_b32_e64 v69, 0, 1, vcc
	v_lshlrev_b32_e32 v69, 1, v69
	v_add_lshl_u32 v84, v69, v63, 2
	ds_bpermute_b32 v86, v84, v96
	ds_bpermute_b32 v69, v84, v70
	ds_bpermute_b32 v87, v84, v71
	s_waitcnt lgkmcnt(3)
	v_add_u32_e32 v85, 2, v82
	v_cmp_le_u32_e32 vcc, v85, v68
	s_and_saveexec_b64 s[48:49], vcc
	s_cbranch_execz .LBB260_121
; %bb.120:
	v_cmp_eq_u32_e32 vcc, 0, v96
	s_waitcnt lgkmcnt(1)
	v_cndmask_b32_e32 v69, 0, v69, vcc
	v_add_u32_e32 v86, v86, v96
	s_waitcnt lgkmcnt(0)
	v_cndmask_b32_e32 v87, 0, v87, vcc
	v_add_co_u32_e32 v70, vcc, v69, v70
	v_addc_co_u32_e32 v71, vcc, v87, v71, vcc
	v_mov_b32_e32 v96, v86
.LBB260_121:
	s_or_b64 exec, exec, s[48:49]
	v_cmp_gt_u32_e32 vcc, 60, v82
	s_waitcnt lgkmcnt(1)
	v_cndmask_b32_e64 v69, 0, 1, vcc
	v_lshlrev_b32_e32 v69, 2, v69
	v_add_lshl_u32 v86, v69, v63, 2
	ds_bpermute_b32 v88, v86, v96
	ds_bpermute_b32 v69, v86, v70
	ds_bpermute_b32 v89, v86, v71
	s_waitcnt lgkmcnt(3)
	v_add_u32_e32 v87, 4, v82
	v_cmp_le_u32_e32 vcc, v87, v68
	;; [unrolled: 25-line block ×4, first 2 shown]
	s_and_saveexec_b64 s[48:49], vcc
	s_cbranch_execz .LBB260_127
; %bb.126:
	v_cmp_eq_u32_e32 vcc, 0, v96
	s_waitcnt lgkmcnt(1)
	v_cndmask_b32_e32 v69, 0, v69, vcc
	v_add_u32_e32 v92, v92, v96
	s_waitcnt lgkmcnt(0)
	v_cndmask_b32_e32 v93, 0, v93, vcc
	v_add_co_u32_e32 v70, vcc, v69, v70
	v_addc_co_u32_e32 v71, vcc, v93, v71, vcc
	v_mov_b32_e32 v96, v92
.LBB260_127:
	s_or_b64 exec, exec, s[48:49]
	v_cmp_gt_u32_e32 vcc, 32, v82
	s_waitcnt lgkmcnt(1)
	v_cndmask_b32_e64 v69, 0, 1, vcc
	v_lshlrev_b32_e32 v69, 5, v69
	v_add_lshl_u32 v92, v69, v63, 2
	ds_bpermute_b32 v69, v92, v96
	ds_bpermute_b32 v63, v92, v70
	s_waitcnt lgkmcnt(2)
	ds_bpermute_b32 v93, v92, v71
	v_add_u32_e32 v94, 32, v82
	v_cmp_le_u32_e32 vcc, v94, v68
	s_and_saveexec_b64 s[48:49], vcc
	s_cbranch_execz .LBB260_129
; %bb.128:
	v_cmp_eq_u32_e32 vcc, 0, v96
	s_waitcnt lgkmcnt(1)
	v_cndmask_b32_e32 v63, 0, v63, vcc
	v_add_u32_e32 v68, v69, v96
	s_waitcnt lgkmcnt(0)
	v_cndmask_b32_e32 v69, 0, v93, vcc
	v_add_co_u32_e32 v70, vcc, v63, v70
	v_addc_co_u32_e32 v71, vcc, v69, v71, vcc
	v_mov_b32_e32 v96, v68
.LBB260_129:
	s_or_b64 exec, exec, s[48:49]
	s_waitcnt lgkmcnt(1)
	v_mov_b32_e32 v63, 0
	v_mov_b32_e32 v95, 2
	s_branch .LBB260_131
.LBB260_130:                            ;   in Loop: Header=BB260_131 Depth=1
	s_or_b64 exec, exec, s[48:49]
	v_cmp_eq_u32_e32 vcc, 0, v93
	v_cndmask_b32_e32 v70, 0, v70, vcc
	v_cndmask_b32_e32 v71, 0, v71, vcc
	v_add_co_u32_e32 v70, vcc, v70, v68
	v_subrev_u32_e32 v62, 64, v62
	v_add_u32_e32 v96, v97, v93
	v_addc_co_u32_e32 v71, vcc, v71, v69, vcc
.LBB260_131:                            ; =>This Loop Header: Depth=1
                                        ;     Child Loop BB260_134 Depth 2
                                        ;       Child Loop BB260_135 Depth 3
	v_cmp_ne_u16_sdwa s[48:49], v81, v95 src0_sel:BYTE_0 src1_sel:DWORD
	v_pk_mov_b32 v[68:69], v[70:71], v[70:71] op_sel:[0,1]
	v_cndmask_b32_e64 v70, 0, 1, s[48:49]
	;;#ASMSTART
	;;#ASMEND
	v_cmp_ne_u32_e32 vcc, 0, v70
	s_cmp_lg_u64 vcc, exec
	s_waitcnt lgkmcnt(0)
	v_mov_b32_e32 v93, v96
	s_cbranch_scc1 .LBB260_150
; %bb.132:                              ;   in Loop: Header=BB260_131 Depth=1
	global_load_ubyte v81, v62, s[40:41] glc
	s_waitcnt vmcnt(0)
	v_cmp_eq_u16_e32 vcc, 0, v81
	s_and_saveexec_b64 s[48:49], vcc
	s_cbranch_execz .LBB260_138
; %bb.133:                              ;   in Loop: Header=BB260_131 Depth=1
	v_mov_b32_e32 v71, s41
	v_add_co_u32_e32 v70, vcc, s40, v62
	v_addc_co_u32_e32 v71, vcc, 0, v71, vcc
	s_mov_b32 s7, 1
	s_mov_b64 s[52:53], 0
.LBB260_134:                            ;   Parent Loop BB260_131 Depth=1
                                        ; =>  This Loop Header: Depth=2
                                        ;       Child Loop BB260_135 Depth 3
	s_max_u32 s54, s7, 1
.LBB260_135:                            ;   Parent Loop BB260_131 Depth=1
                                        ;     Parent Loop BB260_134 Depth=2
                                        ; =>    This Inner Loop Header: Depth=3
	s_add_i32 s54, s54, -1
	s_cmp_eq_u32 s54, 0
	s_sleep 1
	s_cbranch_scc0 .LBB260_135
; %bb.136:                              ;   in Loop: Header=BB260_134 Depth=2
	global_load_ubyte v81, v[70:71], off glc
	s_cmp_lt_u32 s7, 32
	s_cselect_b64 s[54:55], -1, 0
	s_cmp_lg_u64 s[54:55], 0
	s_addc_u32 s7, s7, 0
	s_waitcnt vmcnt(0)
	v_cmp_ne_u16_e32 vcc, 0, v81
	s_or_b64 s[52:53], vcc, s[52:53]
	s_andn2_b64 exec, exec, s[52:53]
	s_cbranch_execnz .LBB260_134
; %bb.137:                              ;   in Loop: Header=BB260_131 Depth=1
	s_or_b64 exec, exec, s[52:53]
.LBB260_138:                            ;   in Loop: Header=BB260_131 Depth=1
	s_or_b64 exec, exec, s[48:49]
	v_mov_b32_e32 v70, s39
	v_mov_b32_e32 v71, s37
	v_cmp_eq_u16_e32 vcc, 1, v81
	v_cndmask_b32_e32 v96, v70, v71, vcc
	v_mov_b32_e32 v70, s38
	v_mov_b32_e32 v71, s36
	v_cndmask_b32_e32 v97, v70, v71, vcc
	v_lshlrev_b64 v[70:71], 4, v[62:63]
	v_add_co_u32_e32 v70, vcc, v97, v70
	v_addc_co_u32_e32 v71, vcc, v96, v71, vcc
	buffer_wbinvl1_vol
	global_load_dword v97, v[70:71], off
	s_nop 0
	global_load_dwordx2 v[70:71], v[70:71], off offset:8
	v_cmp_eq_u16_e32 vcc, 2, v81
	v_and_b32_e32 v96, vcc_hi, v67
	v_or_b32_e32 v96, 0x80000000, v96
	v_and_b32_e32 v117, vcc_lo, v66
	v_ffbl_b32_e32 v96, v96
	v_add_u32_e32 v96, 32, v96
	v_ffbl_b32_e32 v117, v117
	v_min_u32_e32 v96, v117, v96
	v_cmp_lt_u32_e32 vcc, v82, v96
	s_waitcnt vmcnt(1)
	ds_bpermute_b32 v99, v83, v97
	s_waitcnt vmcnt(0)
	ds_bpermute_b32 v98, v83, v70
	ds_bpermute_b32 v116, v83, v71
	s_and_saveexec_b64 s[48:49], vcc
	s_cbranch_execz .LBB260_140
; %bb.139:                              ;   in Loop: Header=BB260_131 Depth=1
	v_cmp_eq_u32_e32 vcc, 0, v97
	s_waitcnt lgkmcnt(1)
	v_cndmask_b32_e32 v98, 0, v98, vcc
	v_add_u32_e32 v99, v99, v97
	s_waitcnt lgkmcnt(0)
	v_cndmask_b32_e32 v97, 0, v116, vcc
	v_add_co_u32_e32 v70, vcc, v98, v70
	v_addc_co_u32_e32 v71, vcc, v97, v71, vcc
	v_mov_b32_e32 v97, v99
.LBB260_140:                            ;   in Loop: Header=BB260_131 Depth=1
	s_or_b64 exec, exec, s[48:49]
	s_waitcnt lgkmcnt(2)
	ds_bpermute_b32 v99, v84, v97
	s_waitcnt lgkmcnt(2)
	ds_bpermute_b32 v98, v84, v70
	s_waitcnt lgkmcnt(2)
	ds_bpermute_b32 v116, v84, v71
	v_cmp_le_u32_e32 vcc, v85, v96
	s_and_saveexec_b64 s[48:49], vcc
	s_cbranch_execz .LBB260_142
; %bb.141:                              ;   in Loop: Header=BB260_131 Depth=1
	v_cmp_eq_u32_e32 vcc, 0, v97
	s_waitcnt lgkmcnt(1)
	v_cndmask_b32_e32 v98, 0, v98, vcc
	v_add_u32_e32 v99, v99, v97
	s_waitcnt lgkmcnt(0)
	v_cndmask_b32_e32 v97, 0, v116, vcc
	v_add_co_u32_e32 v70, vcc, v98, v70
	v_addc_co_u32_e32 v71, vcc, v97, v71, vcc
	v_mov_b32_e32 v97, v99
.LBB260_142:                            ;   in Loop: Header=BB260_131 Depth=1
	s_or_b64 exec, exec, s[48:49]
	s_waitcnt lgkmcnt(2)
	ds_bpermute_b32 v99, v86, v97
	s_waitcnt lgkmcnt(2)
	ds_bpermute_b32 v98, v86, v70
	s_waitcnt lgkmcnt(2)
	ds_bpermute_b32 v116, v86, v71
	v_cmp_le_u32_e32 vcc, v87, v96
	;; [unrolled: 21-line block ×5, first 2 shown]
	s_and_saveexec_b64 s[48:49], vcc
	s_cbranch_execz .LBB260_130
; %bb.149:                              ;   in Loop: Header=BB260_131 Depth=1
	v_cmp_eq_u32_e32 vcc, 0, v97
	s_waitcnt lgkmcnt(1)
	v_cndmask_b32_e32 v98, 0, v98, vcc
	v_add_u32_e32 v96, v99, v97
	s_waitcnt lgkmcnt(0)
	v_cndmask_b32_e32 v97, 0, v116, vcc
	v_add_co_u32_e32 v70, vcc, v98, v70
	v_addc_co_u32_e32 v71, vcc, v97, v71, vcc
	v_mov_b32_e32 v97, v96
	s_branch .LBB260_130
.LBB260_150:                            ;   in Loop: Header=BB260_131 Depth=1
                                        ; implicit-def: $vgpr70_vgpr71
                                        ; implicit-def: $vgpr96
                                        ; implicit-def: $vgpr81
	s_cbranch_execz .LBB260_131
; %bb.151:
	s_and_saveexec_b64 s[36:37], s[26:27]
	s_cbranch_execz .LBB260_153
; %bb.152:
	s_mov_b32 s7, 0
	v_cmp_eq_u32_e32 vcc, 0, v80
	s_add_i32 s6, s6, 64
	v_cndmask_b32_e32 v62, 0, v68, vcc
	s_lshl_b64 s[48:49], s[6:7], 4
	v_cndmask_b32_e32 v63, 0, v69, vcc
	v_add_co_u32_e32 v62, vcc, v62, v60
	s_add_u32 s48, s38, s48
	v_add_u32_e32 v66, v93, v80
	v_addc_co_u32_e32 v63, vcc, v63, v61, vcc
	s_addc_u32 s49, s39, s49
	v_mov_b32_e32 v67, 0
	global_store_dword v67, v66, s[48:49]
	global_store_dwordx2 v67, v[62:63], s[48:49] offset:8
	v_mov_b32_e32 v62, s6
	v_mov_b32_e32 v63, 2
	s_waitcnt vmcnt(0) lgkmcnt(0)
	buffer_wbinvl1_vol
	global_store_byte v62, v63, s[40:41]
	ds_write_b32 v67, v80 offset:4096
	ds_write_b64 v67, v[60:61] offset:4104
	ds_write_b32 v67, v93 offset:4112
	ds_write_b64 v67, v[68:69] offset:4120
.LBB260_153:
	s_or_b64 exec, exec, s[36:37]
	v_cmp_eq_u32_e32 vcc, 0, v0
	s_and_b64 exec, exec, vcc
	s_cbranch_execz .LBB260_155
; %bb.154:
	v_mov_b32_e32 v60, 0
	ds_write_b32 v60, v93 offset:4176
	ds_write_b64 v60, v[68:69] offset:4184
.LBB260_155:
	s_or_b64 exec, exec, s[42:43]
	v_mov_b32_e32 v63, 0
	s_waitcnt lgkmcnt(0)
	s_barrier
	ds_read_b32 v62, v63 offset:4176
	ds_read_b64 v[60:61], v63 offset:4184
	v_cndmask_b32_e64 v66, v77, v76, s[26:27]
	v_cmp_eq_u32_e32 vcc, 0, v66
	v_cndmask_b32_e64 v58, v78, v58, s[26:27]
	v_cndmask_b32_e64 v59, v79, v59, s[26:27]
	s_waitcnt lgkmcnt(0)
	v_cndmask_b32_e32 v68, 0, v60, vcc
	v_cndmask_b32_e32 v67, 0, v61, vcc
	v_add_co_u32_e32 v58, vcc, v68, v58
	v_addc_co_u32_e32 v67, vcc, v67, v59, vcc
	v_cmp_eq_u32_e32 vcc, 0, v0
	v_cndmask_b32_e64 v59, v66, 0, vcc
	v_cndmask_b32_e32 v95, v67, v61, vcc
	v_cndmask_b32_e32 v94, v58, v60, vcc
	v_cmp_eq_u32_e32 vcc, 0, v113
	v_cndmask_b32_e32 v60, 0, v94, vcc
	v_cndmask_b32_e32 v58, 0, v95, vcc
	v_add_co_u32_e32 v66, vcc, v60, v54
	v_addc_co_u32_e32 v67, vcc, v58, v55, vcc
	v_cndmask_b32_e64 v60, 0, v66, s[24:25]
	v_cndmask_b32_e64 v58, 0, v67, s[24:25]
	v_add_co_u32_e32 v68, vcc, v60, v56
	v_addc_co_u32_e32 v69, vcc, v58, v57, vcc
	v_cndmask_b32_e64 v60, 0, v68, s[22:23]
	v_cndmask_b32_e64 v58, 0, v69, s[22:23]
	;; [unrolled: 4-line block ×11, first 2 shown]
	v_add_co_u32_e32 v92, vcc, v60, v36
	v_add_u32_e32 v59, v62, v59
	v_addc_co_u32_e32 v93, vcc, v58, v37, vcc
	s_barrier
	ds_read_b32 v58, v63 offset:4096
	ds_read_b64 v[60:61], v63 offset:4104
	ds_read_b32 v62, v63 offset:4112
	ds_read_b64 v[116:117], v63 offset:4120
	v_cndmask_b32_e64 v96, 0, v92, s[2:3]
	v_cndmask_b32_e64 v97, 0, v93, s[2:3]
	v_add_co_u32_e32 v96, vcc, v96, v30
	v_addc_co_u32_e32 v97, vcc, v97, v31, vcc
	s_waitcnt lgkmcnt(3)
	v_cmp_eq_u32_e32 vcc, 0, v58
	s_waitcnt lgkmcnt(0)
	v_cndmask_b32_e32 v116, 0, v116, vcc
	v_cndmask_b32_e32 v63, 0, v117, vcc
	v_add_co_u32_e32 v60, vcc, v116, v60
	v_cndmask_b32_e64 v99, 0, v97, s[0:1]
	v_cndmask_b32_e64 v98, 0, v96, s[0:1]
	v_addc_co_u32_e32 v61, vcc, v63, v61, vcc
	s_branch .LBB260_184
.LBB260_156:
                                        ; implicit-def: $vgpr58
                                        ; implicit-def: $vgpr60_vgpr61
                                        ; implicit-def: $vgpr62
                                        ; implicit-def: $vgpr94_vgpr95
                                        ; implicit-def: $vgpr66_vgpr67
                                        ; implicit-def: $vgpr68_vgpr69
                                        ; implicit-def: $vgpr70_vgpr71
                                        ; implicit-def: $vgpr76_vgpr77
                                        ; implicit-def: $vgpr78_vgpr79
                                        ; implicit-def: $vgpr80_vgpr81
                                        ; implicit-def: $vgpr82_vgpr83
                                        ; implicit-def: $vgpr84_vgpr85
                                        ; implicit-def: $vgpr86_vgpr87
                                        ; implicit-def: $vgpr88_vgpr89
                                        ; implicit-def: $vgpr90_vgpr91
                                        ; implicit-def: $vgpr92_vgpr93
                                        ; implicit-def: $vgpr96_vgpr97
                                        ; implicit-def: $vgpr98_vgpr99
                                        ; implicit-def: $vgpr59
	s_cbranch_execz .LBB260_184
; %bb.157:
	s_and_b64 s[0:1], s[30:31], exec
	s_cselect_b32 s1, 0, s47
	s_cselect_b32 s0, 0, s46
	s_cmp_eq_u64 s[0:1], 0
	s_cbranch_scc1 .LBB260_159
; %bb.158:
	v_mov_b32_e32 v58, 0
	global_load_dwordx2 v[64:65], v58, s[0:1]
.LBB260_159:
	v_cmp_eq_u32_e64 s[22:23], 0, v112
	v_cndmask_b32_e64 v59, 0, v54, s[22:23]
	v_cndmask_b32_e64 v58, 0, v55, s[22:23]
	v_add_co_u32_e32 v59, vcc, v59, v56
	v_cmp_eq_u32_e64 s[20:21], 0, v111
	v_addc_co_u32_e32 v58, vcc, v58, v57, vcc
	v_cndmask_b32_e64 v59, 0, v59, s[20:21]
	v_cndmask_b32_e64 v58, 0, v58, s[20:21]
	v_add_co_u32_e32 v59, vcc, v59, v50
	v_cmp_eq_u32_e64 s[18:19], 0, v110
	v_addc_co_u32_e32 v58, vcc, v58, v51, vcc
	;; [unrolled: 5-line block ×11, first 2 shown]
	v_cndmask_b32_e64 v59, 0, v59, s[2:3]
	v_cndmask_b32_e64 v58, 0, v58, s[2:3]
	v_add_co_u32_e32 v59, vcc, v59, v30
	v_addc_co_u32_e32 v58, vcc, v58, v31, vcc
	v_cmp_eq_u32_e32 vcc, 0, v100
	v_add3_u32 v60, v115, v108, v107
	v_cndmask_b32_e32 v59, 0, v59, vcc
	v_add3_u32 v60, v60, v106, v105
	v_cndmask_b32_e32 v58, 0, v58, vcc
	v_add_co_u32_e64 v59, s[24:25], v59, v32
	v_add3_u32 v60, v60, v104, v103
	v_addc_co_u32_e64 v58, s[24:25], v58, v33, s[24:25]
	v_add3_u32 v60, v60, v102, v101
	v_cmp_eq_u32_e64 s[24:25], 0, v1
	v_add3_u32 v63, v60, v100, v1
	v_cndmask_b32_e64 v60, 0, v58, s[24:25]
	v_cndmask_b32_e64 v58, 0, v59, s[24:25]
	v_add_co_u32_e64 v58, s[24:25], v58, v72
	v_mbcnt_hi_u32_b32 v62, -1, v114
	v_addc_co_u32_e64 v59, s[24:25], v60, v73, s[24:25]
	v_and_b32_e32 v60, 15, v62
	v_mov_b32_dpp v66, v63 row_shr:1 row_mask:0xf bank_mask:0xf
	v_mov_b32_dpp v61, v58 row_shr:1 row_mask:0xf bank_mask:0xf
	;; [unrolled: 1-line block ×3, first 2 shown]
	v_cmp_ne_u32_e64 s[24:25], 0, v60
	s_and_saveexec_b64 s[26:27], s[24:25]
; %bb.160:
	v_cmp_eq_u32_e64 s[24:25], 0, v63
	v_cndmask_b32_e64 v61, 0, v61, s[24:25]
	v_add_u32_e32 v66, v66, v63
	v_cndmask_b32_e64 v63, 0, v67, s[24:25]
	v_add_co_u32_e64 v58, s[24:25], v61, v58
	v_addc_co_u32_e64 v59, s[24:25], v63, v59, s[24:25]
	v_mov_b32_e32 v63, v66
; %bb.161:
	s_or_b64 exec, exec, s[26:27]
	s_nop 0
	v_mov_b32_dpp v66, v63 row_shr:2 row_mask:0xf bank_mask:0xf
	v_mov_b32_dpp v61, v58 row_shr:2 row_mask:0xf bank_mask:0xf
	v_mov_b32_dpp v67, v59 row_shr:2 row_mask:0xf bank_mask:0xf
	v_cmp_lt_u32_e64 s[24:25], 1, v60
	s_and_saveexec_b64 s[26:27], s[24:25]
; %bb.162:
	v_cmp_eq_u32_e64 s[24:25], 0, v63
	v_cndmask_b32_e64 v61, 0, v61, s[24:25]
	v_add_u32_e32 v66, v66, v63
	v_cndmask_b32_e64 v63, 0, v67, s[24:25]
	v_add_co_u32_e64 v58, s[24:25], v61, v58
	v_addc_co_u32_e64 v59, s[24:25], v63, v59, s[24:25]
	v_mov_b32_e32 v63, v66
; %bb.163:
	s_or_b64 exec, exec, s[26:27]
	s_nop 0
	v_mov_b32_dpp v66, v63 row_shr:4 row_mask:0xf bank_mask:0xf
	v_mov_b32_dpp v61, v58 row_shr:4 row_mask:0xf bank_mask:0xf
	v_mov_b32_dpp v67, v59 row_shr:4 row_mask:0xf bank_mask:0xf
	v_cmp_lt_u32_e64 s[24:25], 3, v60
	;; [unrolled: 16-line block ×3, first 2 shown]
	s_and_saveexec_b64 s[26:27], s[24:25]
; %bb.166:
	v_cmp_eq_u32_e64 s[24:25], 0, v63
	v_cndmask_b32_e64 v61, 0, v61, s[24:25]
	v_add_u32_e32 v60, v66, v63
	v_cndmask_b32_e64 v63, 0, v67, s[24:25]
	v_add_co_u32_e64 v58, s[24:25], v61, v58
	v_addc_co_u32_e64 v59, s[24:25], v63, v59, s[24:25]
	v_mov_b32_e32 v63, v60
; %bb.167:
	s_or_b64 exec, exec, s[26:27]
	v_and_b32_e32 v67, 16, v62
	v_mov_b32_dpp v61, v63 row_bcast:15 row_mask:0xf bank_mask:0xf
	v_mov_b32_dpp v60, v58 row_bcast:15 row_mask:0xf bank_mask:0xf
	;; [unrolled: 1-line block ×3, first 2 shown]
	v_cmp_ne_u32_e64 s[24:25], 0, v67
	s_and_saveexec_b64 s[26:27], s[24:25]
; %bb.168:
	v_cmp_eq_u32_e64 s[24:25], 0, v63
	v_cndmask_b32_e64 v60, 0, v60, s[24:25]
	v_add_u32_e32 v61, v61, v63
	v_cndmask_b32_e64 v63, 0, v66, s[24:25]
	v_add_co_u32_e64 v58, s[24:25], v60, v58
	v_addc_co_u32_e64 v59, s[24:25], v63, v59, s[24:25]
	v_mov_b32_e32 v63, v61
; %bb.169:
	s_or_b64 exec, exec, s[26:27]
	s_nop 0
	v_mov_b32_dpp v61, v63 row_bcast:31 row_mask:0xf bank_mask:0xf
	v_mov_b32_dpp v60, v58 row_bcast:31 row_mask:0xf bank_mask:0xf
	;; [unrolled: 1-line block ×3, first 2 shown]
	v_cmp_lt_u32_e64 s[24:25], 31, v62
	s_and_saveexec_b64 s[26:27], s[24:25]
; %bb.170:
	v_cmp_eq_u32_e64 s[24:25], 0, v63
	v_cndmask_b32_e64 v60, 0, v60, s[24:25]
	v_add_u32_e32 v61, v61, v63
	v_cndmask_b32_e64 v63, 0, v66, s[24:25]
	v_add_co_u32_e64 v58, s[24:25], v60, v58
	v_addc_co_u32_e64 v59, s[24:25], v63, v59, s[24:25]
	v_mov_b32_e32 v63, v61
; %bb.171:
	s_or_b64 exec, exec, s[26:27]
	v_or_b32_e32 v60, 63, v0
	v_lshrrev_b32_e32 v66, 6, v0
	v_cmp_eq_u32_e64 s[24:25], v60, v0
	s_and_saveexec_b64 s[26:27], s[24:25]
	s_cbranch_execz .LBB260_173
; %bb.172:
	v_lshlrev_b32_e32 v60, 4, v66
	ds_write_b32 v60, v63 offset:4128
	ds_write_b64 v60, v[58:59] offset:4136
.LBB260_173:
	s_or_b64 exec, exec, s[26:27]
	v_cmp_gt_u32_e64 s[24:25], 4, v0
	s_waitcnt lgkmcnt(0)
	s_barrier
	s_and_saveexec_b64 s[26:27], s[24:25]
	s_cbranch_execz .LBB260_179
; %bb.174:
	v_lshlrev_b32_e32 v67, 4, v0
	ds_read_b32 v68, v67 offset:4128
	ds_read_b64 v[60:61], v67 offset:4136
	v_and_b32_e32 v69, 3, v62
	v_cmp_ne_u32_e64 s[24:25], 0, v69
	s_waitcnt lgkmcnt(1)
	v_mov_b32_dpp v71, v68 row_shr:1 row_mask:0xf bank_mask:0xf
	s_waitcnt lgkmcnt(0)
	v_mov_b32_dpp v70, v60 row_shr:1 row_mask:0xf bank_mask:0xf
	v_mov_b32_dpp v72, v61 row_shr:1 row_mask:0xf bank_mask:0xf
	s_and_saveexec_b64 s[28:29], s[24:25]
; %bb.175:
	v_cmp_eq_u32_e64 s[24:25], 0, v68
	v_cndmask_b32_e64 v70, 0, v70, s[24:25]
	v_add_u32_e32 v71, v71, v68
	v_cndmask_b32_e64 v68, 0, v72, s[24:25]
	v_add_co_u32_e64 v60, s[24:25], v70, v60
	v_addc_co_u32_e64 v61, s[24:25], v68, v61, s[24:25]
	v_mov_b32_e32 v68, v71
; %bb.176:
	s_or_b64 exec, exec, s[28:29]
	s_nop 0
	v_mov_b32_dpp v71, v68 row_shr:2 row_mask:0xf bank_mask:0xf
	v_mov_b32_dpp v70, v60 row_shr:2 row_mask:0xf bank_mask:0xf
	;; [unrolled: 1-line block ×3, first 2 shown]
	v_cmp_lt_u32_e64 s[24:25], 1, v69
	s_and_saveexec_b64 s[28:29], s[24:25]
; %bb.177:
	v_cmp_eq_u32_e64 s[24:25], 0, v68
	v_cndmask_b32_e64 v70, 0, v70, s[24:25]
	v_add_u32_e32 v69, v71, v68
	v_cndmask_b32_e64 v68, 0, v72, s[24:25]
	v_add_co_u32_e64 v60, s[24:25], v70, v60
	v_addc_co_u32_e64 v61, s[24:25], v68, v61, s[24:25]
	v_mov_b32_e32 v68, v69
; %bb.178:
	s_or_b64 exec, exec, s[28:29]
	ds_write_b32 v67, v68 offset:4128
	ds_write_b64 v67, v[60:61] offset:4136
.LBB260_179:
	s_or_b64 exec, exec, s[26:27]
	v_cmp_lt_u32_e64 s[24:25], 63, v0
	v_mov_b32_e32 v72, 0
	v_mov_b32_e32 v67, 0
	s_waitcnt vmcnt(0)
	v_pk_mov_b32 v[60:61], v[64:65], v[64:65] op_sel:[0,1]
	s_waitcnt lgkmcnt(0)
	s_barrier
	s_and_saveexec_b64 s[26:27], s[24:25]
	s_cbranch_execz .LBB260_181
; %bb.180:
	v_lshlrev_b32_e32 v60, 4, v66
	ds_read_b32 v67, v60 offset:4112
	ds_read_b64 v[60:61], v60 offset:4120
	s_waitcnt lgkmcnt(1)
	v_cmp_eq_u32_e64 s[24:25], 0, v67
	v_cndmask_b32_e64 v68, 0, v64, s[24:25]
	v_cndmask_b32_e64 v66, 0, v65, s[24:25]
	s_waitcnt lgkmcnt(0)
	v_add_co_u32_e64 v60, s[24:25], v68, v60
	v_addc_co_u32_e64 v61, s[24:25], v66, v61, s[24:25]
.LBB260_181:
	s_or_b64 exec, exec, s[26:27]
	v_cmp_eq_u32_e64 s[24:25], 0, v63
	v_cndmask_b32_e64 v68, 0, v60, s[24:25]
	v_add_u32_e32 v66, v67, v63
	v_cndmask_b32_e64 v63, 0, v61, s[24:25]
	v_add_co_u32_e64 v58, s[24:25], v68, v58
	v_addc_co_u32_e64 v59, s[24:25], v63, v59, s[24:25]
	v_add_u32_e32 v63, -1, v62
	v_and_b32_e32 v68, 64, v62
	v_cmp_lt_i32_e64 s[24:25], v63, v68
	v_cndmask_b32_e64 v63, v63, v62, s[24:25]
	v_lshlrev_b32_e32 v63, 2, v63
	ds_bpermute_b32 v66, v63, v66
	ds_bpermute_b32 v68, v63, v59
	;; [unrolled: 1-line block ×3, first 2 shown]
	v_cmp_eq_u32_e64 s[24:25], 0, v62
	v_cmp_eq_u32_e64 s[26:27], 0, v113
	s_waitcnt lgkmcnt(2)
	v_cndmask_b32_e64 v59, v66, v67, s[24:25]
	s_waitcnt lgkmcnt(1)
	v_cndmask_b32_e64 v95, v68, v61, s[24:25]
	s_waitcnt lgkmcnt(0)
	v_cndmask_b32_e64 v94, v58, v60, s[24:25]
	v_cmp_eq_u32_e64 s[24:25], 0, v0
	v_cndmask_b32_e64 v58, v94, v64, s[24:25]
	v_cndmask_b32_e64 v60, v95, v65, s[24:25]
	;; [unrolled: 1-line block ×4, first 2 shown]
	v_add_co_u32_e64 v66, s[26:27], v58, v54
	v_addc_co_u32_e64 v67, s[26:27], v60, v55, s[26:27]
	v_cndmask_b32_e64 v55, 0, v66, s[22:23]
	v_cndmask_b32_e64 v54, 0, v67, s[22:23]
	v_add_co_u32_e64 v68, s[22:23], v55, v56
	v_addc_co_u32_e64 v69, s[22:23], v54, v57, s[22:23]
	v_cndmask_b32_e64 v55, 0, v68, s[20:21]
	v_cndmask_b32_e64 v54, 0, v69, s[20:21]
	v_add_co_u32_e64 v70, s[20:21], v55, v50
	v_addc_co_u32_e64 v71, s[20:21], v54, v51, s[20:21]
	v_cndmask_b32_e64 v51, 0, v70, s[18:19]
	v_cndmask_b32_e64 v50, 0, v71, s[18:19]
	v_add_co_u32_e64 v76, s[18:19], v51, v52
	v_addc_co_u32_e64 v77, s[18:19], v50, v53, s[18:19]
	v_cndmask_b32_e64 v51, 0, v76, s[16:17]
	v_cndmask_b32_e64 v50, 0, v77, s[16:17]
	v_add_co_u32_e64 v78, s[16:17], v51, v46
	v_addc_co_u32_e64 v79, s[16:17], v50, v47, s[16:17]
	v_cndmask_b32_e64 v47, 0, v78, s[12:13]
	v_cndmask_b32_e64 v46, 0, v79, s[12:13]
	v_add_co_u32_e64 v80, s[12:13], v47, v48
	v_addc_co_u32_e64 v81, s[12:13], v46, v49, s[12:13]
	v_cndmask_b32_e64 v47, 0, v80, s[14:15]
	v_cndmask_b32_e64 v46, 0, v81, s[14:15]
	v_add_co_u32_e64 v82, s[12:13], v47, v42
	v_addc_co_u32_e64 v83, s[12:13], v46, v43, s[12:13]
	v_cndmask_b32_e64 v43, 0, v82, s[8:9]
	v_cndmask_b32_e64 v42, 0, v83, s[8:9]
	v_add_co_u32_e64 v84, s[8:9], v43, v44
	v_addc_co_u32_e64 v85, s[8:9], v42, v45, s[8:9]
	v_cndmask_b32_e64 v43, 0, v84, s[10:11]
	v_cndmask_b32_e64 v42, 0, v85, s[10:11]
	v_add_co_u32_e64 v86, s[8:9], v43, v38
	v_addc_co_u32_e64 v87, s[8:9], v42, v39, s[8:9]
	v_cndmask_b32_e64 v39, 0, v86, s[4:5]
	v_cndmask_b32_e64 v38, 0, v87, s[4:5]
	v_add_co_u32_e64 v88, s[4:5], v39, v40
	v_addc_co_u32_e64 v89, s[4:5], v38, v41, s[4:5]
	v_cndmask_b32_e64 v39, 0, v88, s[6:7]
	v_cndmask_b32_e64 v38, 0, v89, s[6:7]
	v_add_co_u32_e64 v90, s[4:5], v39, v34
	v_addc_co_u32_e64 v91, s[4:5], v38, v35, s[4:5]
	v_cndmask_b32_e64 v35, 0, v90, s[0:1]
	v_cndmask_b32_e64 v34, 0, v91, s[0:1]
	v_add_co_u32_e64 v92, s[0:1], v35, v36
	v_addc_co_u32_e64 v93, s[0:1], v34, v37, s[0:1]
	v_cndmask_b32_e64 v35, 0, v92, s[2:3]
	ds_read_b32 v58, v72 offset:4176
	v_cndmask_b32_e64 v34, 0, v93, s[2:3]
	v_add_co_u32_e64 v96, s[0:1], v35, v30
	v_addc_co_u32_e64 v97, s[0:1], v34, v31, s[0:1]
	ds_read_b64 v[30:31], v72 offset:4184
	v_cndmask_b32_e32 v99, 0, v97, vcc
	v_cndmask_b32_e32 v98, 0, v96, vcc
	s_waitcnt lgkmcnt(1)
	v_cmp_eq_u32_e32 vcc, 0, v58
	v_cndmask_b32_e32 v35, 0, v64, vcc
	v_cndmask_b32_e32 v34, 0, v65, vcc
	s_waitcnt lgkmcnt(0)
	v_add_co_u32_e32 v60, vcc, v35, v30
	v_addc_co_u32_e32 v61, vcc, v34, v31, vcc
	s_and_saveexec_b64 s[0:1], s[24:25]
	s_cbranch_execz .LBB260_183
; %bb.182:
	v_mov_b32_e32 v59, 0
	v_mov_b32_e32 v30, 2
	v_pk_mov_b32 v[94:95], v[64:65], v[64:65] op_sel:[0,1]
	global_store_dword v59, v58, s[38:39] offset:1024
	global_store_dwordx2 v59, v[60:61], s[38:39] offset:1032
	s_waitcnt vmcnt(0)
	buffer_wbinvl1_vol
	global_store_byte v59, v30, s[40:41] offset:64
.LBB260_183:
	s_or_b64 exec, exec, s[0:1]
	v_mov_b32_e32 v62, 0
.LBB260_184:
	s_and_b64 s[0:1], s[30:31], exec
	s_cselect_b32 s1, 0, s51
	s_cselect_b32 s0, 0, s50
	s_cmp_eq_u64 s[0:1], 0
	v_pk_mov_b32 v[30:31], 0, 0
	s_barrier
	s_cbranch_scc1 .LBB260_186
; %bb.185:
	v_mov_b32_e32 v30, 0
	global_load_dwordx2 v[30:31], v30, s[0:1]
.LBB260_186:
	s_waitcnt vmcnt(0)
	v_lshlrev_b64 v[34:35], 3, v[30:31]
	v_mov_b32_e32 v36, s59
	v_add_co_u32_e32 v52, vcc, s58, v34
	v_mov_b32_e32 v63, 0
	v_addc_co_u32_e32 v53, vcc, v36, v35, vcc
	v_lshlrev_b64 v[36:37], 3, v[62:63]
	v_add_co_u32_e32 v52, vcc, v52, v36
	v_addc_co_u32_e32 v53, vcc, v53, v37, vcc
	v_cmp_eq_u32_e32 vcc, 0, v113
	v_cndmask_b32_e64 v54, 1, 2, vcc
	v_cmp_eq_u32_e32 vcc, 0, v112
	v_cndmask_b32_e64 v55, 1, 2, vcc
	v_cmp_eq_u32_e32 vcc, 0, v111
	v_and_b32_e32 v54, v55, v54
	v_cndmask_b32_e64 v55, 1, 2, vcc
	v_cmp_eq_u32_e32 vcc, 0, v110
	v_add_u32_e32 v51, v59, v113
	v_and_b32_e32 v54, v54, v55
	v_cndmask_b32_e64 v55, 1, 2, vcc
	v_cmp_eq_u32_e32 vcc, 0, v109
	v_add_u32_e32 v50, v51, v112
	;; [unrolled: 4-line block ×12, first 2 shown]
	v_and_b32_e32 v54, v54, v55
	v_cndmask_b32_e64 v55, 1, 2, vcc
	s_movk_i32 s30, 0x100
	v_add_u32_e32 v39, v40, v101
	v_and_b32_e32 v54, v54, v55
	v_cmp_gt_u32_e32 vcc, s30, v58
	v_add_u32_e32 v38, v39, v100
	v_cmp_ne_u32_e64 s[28:29], 0, v113
	v_cmp_ne_u32_e64 s[26:27], 0, v112
	;; [unrolled: 1-line block ×15, first 2 shown]
	s_mov_b64 s[36:37], -1
	v_cmp_gt_i16_e64 s[30:31], 2, v54
	s_cbranch_vccz .LBB260_193
; %bb.187:
	s_and_saveexec_b64 s[36:37], s[30:31]
	s_cbranch_execz .LBB260_192
; %bb.188:
	v_cmp_ne_u16_e32 vcc, 1, v54
	s_mov_b64 s[38:39], 0
	s_and_saveexec_b64 s[30:31], vcc
	s_xor_b64 s[30:31], exec, s[30:31]
	s_cbranch_execnz .LBB260_225
; %bb.189:
	s_andn2_saveexec_b64 s[30:31], s[30:31]
	s_cbranch_execnz .LBB260_241
.LBB260_190:
	s_or_b64 exec, exec, s[30:31]
	s_and_b64 exec, exec, s[38:39]
	s_cbranch_execz .LBB260_192
.LBB260_191:
	v_sub_u32_e32 v56, v38, v62
	v_mov_b32_e32 v57, 0
	v_lshlrev_b64 v[56:57], 3, v[56:57]
	v_add_co_u32_e32 v56, vcc, v52, v56
	v_addc_co_u32_e32 v57, vcc, v53, v57, vcc
	global_store_dwordx2 v[56:57], v[74:75], off
.LBB260_192:
	s_or_b64 exec, exec, s[36:37]
	s_mov_b64 s[36:37], 0
.LBB260_193:
	s_and_b64 vcc, exec, s[36:37]
	s_cbranch_vccz .LBB260_203
; %bb.194:
	v_cmp_gt_i16_e32 vcc, 2, v54
	s_and_saveexec_b64 s[30:31], vcc
	s_cbranch_execz .LBB260_199
; %bb.195:
	v_cmp_ne_u16_e32 vcc, 1, v54
	s_mov_b64 s[38:39], 0
	s_and_saveexec_b64 s[36:37], vcc
	s_xor_b64 s[36:37], exec, s[36:37]
	s_cbranch_execnz .LBB260_242
; %bb.196:
	s_andn2_saveexec_b64 s[0:1], s[36:37]
	s_cbranch_execnz .LBB260_258
.LBB260_197:
	s_or_b64 exec, exec, s[0:1]
	s_and_b64 exec, exec, s[38:39]
	s_cbranch_execz .LBB260_199
.LBB260_198:
	v_sub_u32_e32 v2, v38, v62
	v_lshlrev_b32_e32 v2, 3, v2
	ds_write_b64 v2, v[74:75]
.LBB260_199:
	s_or_b64 exec, exec, s[30:31]
	v_cmp_lt_u32_e32 vcc, v0, v58
	s_waitcnt lgkmcnt(0)
	s_barrier
	s_and_saveexec_b64 s[0:1], vcc
	s_cbranch_execz .LBB260_202
; %bb.200:
	v_lshlrev_b32_e32 v4, 3, v0
	s_mov_b64 s[2:3], 0
	v_mov_b32_e32 v3, 0
	v_mov_b32_e32 v2, v0
.LBB260_201:                            ; =>This Inner Loop Header: Depth=1
	v_lshlrev_b64 v[6:7], 3, v[2:3]
	ds_read_b64 v[8:9], v4
	v_add_co_u32_e32 v6, vcc, v52, v6
	v_add_u32_e32 v2, 0x100, v2
	v_addc_co_u32_e32 v7, vcc, v53, v7, vcc
	v_cmp_ge_u32_e32 vcc, v2, v58
	v_add_u32_e32 v4, 0x800, v4
	s_or_b64 s[2:3], vcc, s[2:3]
	s_waitcnt lgkmcnt(0)
	global_store_dwordx2 v[6:7], v[8:9], off
	s_andn2_b64 exec, exec, s[2:3]
	s_cbranch_execnz .LBB260_201
.LBB260_202:
	s_or_b64 exec, exec, s[0:1]
.LBB260_203:
	v_add_co_u32_e32 v2, vcc, v98, v32
	s_cmpk_lg_i32 s33, 0xf00
	v_addc_co_u32_e32 v3, vcc, v99, v33, vcc
	s_cselect_b64 s[0:1], -1, 0
	v_cndmask_b32_e64 v8, 0, 1, s[44:45]
	s_and_b64 s[0:1], s[34:35], s[0:1]
	v_cmp_eq_u32_e32 vcc, 0, v0
	v_sub_u32_e32 v4, v58, v8
	v_cndmask_b32_e64 v5, 0, 1, s[0:1]
	s_and_b64 s[0:1], vcc, s[44:45]
	v_add_u32_e32 v4, v4, v5
	v_cndmask_b32_e64 v5, v113, 0, s[0:1]
	s_mul_hi_u32 s0, s33, 0x88888889
	s_lshr_b32 s0, s0, 3
	v_mad_i32_i24 v6, v0, -15, s33
	v_cmp_eq_u32_e32 vcc, s0, v0
	v_cmp_ne_u32_e64 s[0:1], 0, v6
	v_cndmask_b32_e64 v7, 1, v5, s[0:1]
	v_cmp_ne_u32_e64 s[0:1], 1, v6
	v_cndmask_b32_e64 v9, 1, v112, s[0:1]
	;; [unrolled: 2-line block ×15, first 2 shown]
	s_and_b64 vcc, s[34:35], vcc
	v_cndmask_b32_e32 v22, v1, v6, vcc
	v_cndmask_b32_e32 v21, v100, v21, vcc
	;; [unrolled: 1-line block ×15, first 2 shown]
	v_mov_b32_e32 v1, s61
	v_add_co_u32_e32 v5, vcc, s60, v34
	v_addc_co_u32_e32 v6, vcc, v1, v35, vcc
	v_add_co_u32_e32 v1, vcc, v5, v36
	v_addc_co_u32_e32 v5, vcc, v6, v37, vcc
	v_lshlrev_b32_e32 v6, 3, v8
	v_add_co_u32_e32 v6, vcc, v6, v1
	v_addc_co_u32_e32 v7, vcc, 0, v5, vcc
	v_add_co_u32_e32 v6, vcc, -8, v6
	v_addc_co_u32_e32 v7, vcc, -1, v7, vcc
	v_cmp_eq_u32_e32 vcc, 0, v23
	v_cmp_ne_u32_e64 s[28:29], 0, v23
	v_cndmask_b32_e64 v23, 1, 2, vcc
	v_cmp_eq_u32_e32 vcc, 0, v9
	v_cmp_ne_u32_e64 s[26:27], 0, v9
	v_cndmask_b32_e64 v9, 1, 2, vcc
	v_cmp_eq_u32_e32 vcc, 0, v10
	v_and_b32_e32 v9, v9, v23
	v_cmp_ne_u32_e64 s[24:25], 0, v10
	v_cndmask_b32_e64 v10, 1, 2, vcc
	v_cmp_eq_u32_e32 vcc, 0, v11
	v_and_b32_e32 v9, v9, v10
	v_cndmask_b32_e64 v10, 1, 2, vcc
	v_cmp_eq_u32_e32 vcc, 0, v12
	v_and_b32_e32 v9, v9, v10
	;; [unrolled: 3-line block ×12, first 2 shown]
	v_cndmask_b32_e64 v10, 1, 2, vcc
	s_movk_i32 s30, 0x100
	v_and_b32_e32 v9, v9, v10
	v_cmp_gt_u32_e32 vcc, s30, v4
	v_add_u32_e32 v8, v62, v8
	v_cmp_ne_u32_e64 s[22:23], 0, v11
	v_cmp_ne_u32_e64 s[20:21], 0, v12
	;; [unrolled: 1-line block ×12, first 2 shown]
	s_mov_b64 s[36:37], -1
	v_cmp_gt_i16_e64 s[30:31], 2, v9
	s_barrier
	s_cbranch_vccz .LBB260_210
; %bb.204:
	s_and_saveexec_b64 s[36:37], s[30:31]
	s_cbranch_execz .LBB260_209
; %bb.205:
	v_cmp_ne_u16_e32 vcc, 1, v9
	s_mov_b64 s[38:39], 0
	s_and_saveexec_b64 s[30:31], vcc
	s_xor_b64 s[30:31], exec, s[30:31]
	s_cbranch_execnz .LBB260_259
; %bb.206:
	s_andn2_saveexec_b64 s[30:31], s[30:31]
	s_cbranch_execnz .LBB260_275
.LBB260_207:
	s_or_b64 exec, exec, s[30:31]
	s_and_b64 exec, exec, s[38:39]
	s_cbranch_execz .LBB260_209
.LBB260_208:
	v_sub_u32_e32 v10, v38, v8
	v_mov_b32_e32 v11, 0
	v_lshlrev_b64 v[10:11], 3, v[10:11]
	v_add_co_u32_e32 v10, vcc, v6, v10
	v_addc_co_u32_e32 v11, vcc, v7, v11, vcc
	global_store_dwordx2 v[10:11], v[2:3], off
.LBB260_209:
	s_or_b64 exec, exec, s[36:37]
	s_mov_b64 s[36:37], 0
.LBB260_210:
	s_and_b64 vcc, exec, s[36:37]
	s_cbranch_vccz .LBB260_220
; %bb.211:
	v_cmp_gt_i16_e32 vcc, 2, v9
	s_and_saveexec_b64 s[30:31], vcc
	s_cbranch_execz .LBB260_216
; %bb.212:
	v_cmp_ne_u16_e32 vcc, 1, v9
	s_mov_b64 s[38:39], 0
	s_and_saveexec_b64 s[36:37], vcc
	s_xor_b64 s[36:37], exec, s[36:37]
	s_cbranch_execnz .LBB260_276
; %bb.213:
	s_andn2_saveexec_b64 s[0:1], s[36:37]
	s_cbranch_execnz .LBB260_292
.LBB260_214:
	s_or_b64 exec, exec, s[0:1]
	s_and_b64 exec, exec, s[38:39]
	s_cbranch_execz .LBB260_216
.LBB260_215:
	v_sub_u32_e32 v8, v38, v8
	v_lshlrev_b32_e32 v8, 3, v8
	ds_write_b64 v8, v[2:3]
.LBB260_216:
	s_or_b64 exec, exec, s[30:31]
	v_cmp_lt_u32_e32 vcc, v0, v4
	s_waitcnt lgkmcnt(0)
	s_barrier
	s_and_saveexec_b64 s[0:1], vcc
	s_cbranch_execz .LBB260_219
; %bb.217:
	v_lshlrev_b32_e32 v8, 3, v0
	s_mov_b64 s[2:3], 0
	v_mov_b32_e32 v3, 0
	v_mov_b32_e32 v2, v0
.LBB260_218:                            ; =>This Inner Loop Header: Depth=1
	v_lshlrev_b64 v[10:11], 3, v[2:3]
	ds_read_b64 v[12:13], v8
	v_add_co_u32_e32 v10, vcc, v6, v10
	v_add_u32_e32 v2, 0x100, v2
	v_addc_co_u32_e32 v11, vcc, v7, v11, vcc
	v_cmp_ge_u32_e32 vcc, v2, v4
	v_add_u32_e32 v8, 0x800, v8
	s_or_b64 s[2:3], vcc, s[2:3]
	s_waitcnt lgkmcnt(0)
	global_store_dwordx2 v[10:11], v[12:13], off
	s_andn2_b64 exec, exec, s[2:3]
	s_cbranch_execnz .LBB260_218
.LBB260_219:
	s_or_b64 exec, exec, s[0:1]
.LBB260_220:
	s_movk_i32 s0, 0xff
	v_cmp_eq_u32_e32 vcc, s0, v0
	s_and_b64 s[0:1], vcc, s[34:35]
	s_and_saveexec_b64 s[2:3], s[0:1]
	s_cbranch_execz .LBB260_223
; %bb.221:
	v_add_co_u32_e32 v0, vcc, v58, v62
	v_addc_co_u32_e64 v3, s[0:1], 0, 0, vcc
	v_add_co_u32_e32 v2, vcc, v0, v30
	v_mov_b32_e32 v59, 0
	v_addc_co_u32_e32 v3, vcc, v3, v31, vcc
	s_cmpk_lg_i32 s33, 0xf00
	global_store_dwordx2 v59, v[2:3], s[62:63]
	s_cbranch_scc1 .LBB260_223
; %bb.222:
	v_lshlrev_b64 v[2:3], 3, v[58:59]
	v_add_co_u32_e32 v0, vcc, v1, v2
	v_addc_co_u32_e32 v1, vcc, v5, v3, vcc
	global_store_dwordx2 v[0:1], v[60:61], off offset:-8
.LBB260_223:
	s_endpgm
.LBB260_224:
	s_or_b64 exec, exec, s[8:9]
	v_mov_b32_e32 v113, s10
	s_and_saveexec_b64 s[4:5], s[2:3]
	s_cbranch_execnz .LBB260_84
	s_branch .LBB260_85
.LBB260_225:
	s_and_saveexec_b64 s[38:39], s[28:29]
	s_cbranch_execnz .LBB260_293
; %bb.226:
	s_or_b64 exec, exec, s[38:39]
	s_and_saveexec_b64 s[38:39], s[26:27]
	s_cbranch_execnz .LBB260_294
.LBB260_227:
	s_or_b64 exec, exec, s[38:39]
	s_and_saveexec_b64 s[38:39], s[24:25]
	s_cbranch_execnz .LBB260_295
.LBB260_228:
	s_or_b64 exec, exec, s[38:39]
	s_and_saveexec_b64 s[38:39], s[22:23]
	s_cbranch_execnz .LBB260_296
.LBB260_229:
	s_or_b64 exec, exec, s[38:39]
	s_and_saveexec_b64 s[38:39], s[20:21]
	s_cbranch_execnz .LBB260_297
.LBB260_230:
	s_or_b64 exec, exec, s[38:39]
	s_and_saveexec_b64 s[38:39], s[18:19]
	s_cbranch_execnz .LBB260_298
.LBB260_231:
	s_or_b64 exec, exec, s[38:39]
	s_and_saveexec_b64 s[38:39], s[16:17]
	s_cbranch_execnz .LBB260_299
.LBB260_232:
	s_or_b64 exec, exec, s[38:39]
	s_and_saveexec_b64 s[38:39], s[14:15]
	s_cbranch_execnz .LBB260_300
.LBB260_233:
	s_or_b64 exec, exec, s[38:39]
	s_and_saveexec_b64 s[38:39], s[12:13]
	s_cbranch_execnz .LBB260_301
.LBB260_234:
	s_or_b64 exec, exec, s[38:39]
	s_and_saveexec_b64 s[38:39], s[10:11]
	s_cbranch_execnz .LBB260_302
.LBB260_235:
	s_or_b64 exec, exec, s[38:39]
	s_and_saveexec_b64 s[38:39], s[8:9]
	s_cbranch_execnz .LBB260_303
.LBB260_236:
	s_or_b64 exec, exec, s[38:39]
	s_and_saveexec_b64 s[38:39], s[6:7]
	s_cbranch_execnz .LBB260_304
.LBB260_237:
	s_or_b64 exec, exec, s[38:39]
	s_and_saveexec_b64 s[38:39], s[4:5]
	s_cbranch_execnz .LBB260_305
.LBB260_238:
	s_or_b64 exec, exec, s[38:39]
	s_and_saveexec_b64 s[38:39], s[2:3]
	s_cbranch_execz .LBB260_240
.LBB260_239:
	v_sub_u32_e32 v56, v39, v62
	v_mov_b32_e32 v57, 0
	v_lshlrev_b64 v[56:57], 3, v[56:57]
	v_add_co_u32_e32 v56, vcc, v52, v56
	v_addc_co_u32_e32 v57, vcc, v53, v57, vcc
	global_store_dwordx2 v[56:57], v[4:5], off
.LBB260_240:
	s_or_b64 exec, exec, s[38:39]
	s_and_b64 s[38:39], s[0:1], exec
	s_andn2_saveexec_b64 s[30:31], s[30:31]
	s_cbranch_execz .LBB260_190
.LBB260_241:
	v_sub_u32_e32 v56, v59, v62
	v_mov_b32_e32 v57, 0
	v_lshlrev_b64 v[64:65], 3, v[56:57]
	v_add_co_u32_e32 v64, vcc, v52, v64
	v_addc_co_u32_e32 v65, vcc, v53, v65, vcc
	v_sub_u32_e32 v56, v51, v62
	global_store_dwordx2 v[64:65], v[26:27], off
	v_lshlrev_b64 v[64:65], 3, v[56:57]
	v_add_co_u32_e32 v64, vcc, v52, v64
	v_addc_co_u32_e32 v65, vcc, v53, v65, vcc
	v_sub_u32_e32 v56, v50, v62
	global_store_dwordx2 v[64:65], v[28:29], off
	;; [unrolled: 5-line block ×12, first 2 shown]
	v_lshlrev_b64 v[64:65], 3, v[56:57]
	v_add_co_u32_e32 v64, vcc, v52, v64
	v_sub_u32_e32 v56, v39, v62
	v_addc_co_u32_e32 v65, vcc, v53, v65, vcc
	v_lshlrev_b64 v[56:57], 3, v[56:57]
	v_add_co_u32_e32 v56, vcc, v52, v56
	v_addc_co_u32_e32 v57, vcc, v53, v57, vcc
	s_or_b64 s[38:39], s[38:39], exec
	global_store_dwordx2 v[64:65], v[2:3], off
	global_store_dwordx2 v[56:57], v[4:5], off
	s_or_b64 exec, exec, s[30:31]
	s_and_b64 exec, exec, s[38:39]
	s_cbranch_execnz .LBB260_191
	s_branch .LBB260_192
.LBB260_242:
	s_and_saveexec_b64 s[38:39], s[28:29]
	s_cbranch_execnz .LBB260_306
; %bb.243:
	s_or_b64 exec, exec, s[38:39]
	s_and_saveexec_b64 s[28:29], s[26:27]
	s_cbranch_execnz .LBB260_307
.LBB260_244:
	s_or_b64 exec, exec, s[28:29]
	s_and_saveexec_b64 s[26:27], s[24:25]
	s_cbranch_execnz .LBB260_308
.LBB260_245:
	s_or_b64 exec, exec, s[26:27]
	s_and_saveexec_b64 s[24:25], s[22:23]
	s_cbranch_execnz .LBB260_309
.LBB260_246:
	s_or_b64 exec, exec, s[24:25]
	s_and_saveexec_b64 s[22:23], s[20:21]
	s_cbranch_execnz .LBB260_310
.LBB260_247:
	s_or_b64 exec, exec, s[22:23]
	s_and_saveexec_b64 s[20:21], s[18:19]
	s_cbranch_execnz .LBB260_311
.LBB260_248:
	s_or_b64 exec, exec, s[20:21]
	s_and_saveexec_b64 s[18:19], s[16:17]
	s_cbranch_execnz .LBB260_312
.LBB260_249:
	s_or_b64 exec, exec, s[18:19]
	s_and_saveexec_b64 s[16:17], s[14:15]
	s_cbranch_execnz .LBB260_313
.LBB260_250:
	s_or_b64 exec, exec, s[16:17]
	s_and_saveexec_b64 s[14:15], s[12:13]
	s_cbranch_execnz .LBB260_314
.LBB260_251:
	s_or_b64 exec, exec, s[14:15]
	s_and_saveexec_b64 s[12:13], s[10:11]
	s_cbranch_execnz .LBB260_315
.LBB260_252:
	s_or_b64 exec, exec, s[12:13]
	s_and_saveexec_b64 s[10:11], s[8:9]
	s_cbranch_execnz .LBB260_316
.LBB260_253:
	s_or_b64 exec, exec, s[10:11]
	s_and_saveexec_b64 s[8:9], s[6:7]
	s_cbranch_execnz .LBB260_317
.LBB260_254:
	s_or_b64 exec, exec, s[8:9]
	s_and_saveexec_b64 s[6:7], s[4:5]
	s_cbranch_execnz .LBB260_318
.LBB260_255:
	s_or_b64 exec, exec, s[6:7]
	s_and_saveexec_b64 s[4:5], s[2:3]
	s_cbranch_execz .LBB260_257
.LBB260_256:
	v_sub_u32_e32 v2, v39, v62
	v_lshlrev_b32_e32 v2, 3, v2
	ds_write_b64 v2, v[4:5]
.LBB260_257:
	s_or_b64 exec, exec, s[4:5]
	s_and_b64 s[38:39], s[0:1], exec
                                        ; implicit-def: $vgpr2_vgpr3
                                        ; implicit-def: $vgpr6_vgpr7
                                        ; implicit-def: $vgpr10_vgpr11
                                        ; implicit-def: $vgpr14_vgpr15
                                        ; implicit-def: $vgpr18_vgpr19
                                        ; implicit-def: $vgpr22_vgpr23
                                        ; implicit-def: $vgpr26_vgpr27
	s_andn2_saveexec_b64 s[0:1], s[36:37]
	s_cbranch_execz .LBB260_197
.LBB260_258:
	v_sub_u32_e32 v54, v59, v62
	v_lshlrev_b32_e32 v54, 3, v54
	ds_write_b64 v54, v[26:27]
	v_sub_u32_e32 v26, v51, v62
	v_lshlrev_b32_e32 v26, 3, v26
	ds_write_b64 v26, v[28:29]
	;; [unrolled: 3-line block ×13, first 2 shown]
	v_sub_u32_e32 v2, v39, v62
	v_lshlrev_b32_e32 v2, 3, v2
	s_or_b64 s[38:39], s[38:39], exec
	ds_write_b64 v2, v[4:5]
	s_or_b64 exec, exec, s[0:1]
	s_and_b64 exec, exec, s[38:39]
	s_cbranch_execnz .LBB260_198
	s_branch .LBB260_199
.LBB260_259:
	s_and_saveexec_b64 s[38:39], s[28:29]
	s_cbranch_execnz .LBB260_319
; %bb.260:
	s_or_b64 exec, exec, s[38:39]
	s_and_saveexec_b64 s[38:39], s[26:27]
	s_cbranch_execnz .LBB260_320
.LBB260_261:
	s_or_b64 exec, exec, s[38:39]
	s_and_saveexec_b64 s[38:39], s[24:25]
	s_cbranch_execnz .LBB260_321
.LBB260_262:
	s_or_b64 exec, exec, s[38:39]
	s_and_saveexec_b64 s[38:39], s[22:23]
	s_cbranch_execnz .LBB260_322
.LBB260_263:
	s_or_b64 exec, exec, s[38:39]
	s_and_saveexec_b64 s[38:39], s[20:21]
	s_cbranch_execnz .LBB260_323
.LBB260_264:
	s_or_b64 exec, exec, s[38:39]
	s_and_saveexec_b64 s[38:39], s[18:19]
	s_cbranch_execnz .LBB260_324
.LBB260_265:
	s_or_b64 exec, exec, s[38:39]
	s_and_saveexec_b64 s[38:39], s[16:17]
	s_cbranch_execnz .LBB260_325
.LBB260_266:
	s_or_b64 exec, exec, s[38:39]
	s_and_saveexec_b64 s[38:39], s[14:15]
	s_cbranch_execnz .LBB260_326
.LBB260_267:
	s_or_b64 exec, exec, s[38:39]
	s_and_saveexec_b64 s[38:39], s[12:13]
	s_cbranch_execnz .LBB260_327
.LBB260_268:
	s_or_b64 exec, exec, s[38:39]
	s_and_saveexec_b64 s[38:39], s[10:11]
	s_cbranch_execnz .LBB260_328
.LBB260_269:
	s_or_b64 exec, exec, s[38:39]
	s_and_saveexec_b64 s[38:39], s[8:9]
	s_cbranch_execnz .LBB260_329
.LBB260_270:
	s_or_b64 exec, exec, s[38:39]
	s_and_saveexec_b64 s[38:39], s[6:7]
	s_cbranch_execnz .LBB260_330
.LBB260_271:
	s_or_b64 exec, exec, s[38:39]
	s_and_saveexec_b64 s[38:39], s[4:5]
	s_cbranch_execnz .LBB260_331
.LBB260_272:
	s_or_b64 exec, exec, s[38:39]
	s_and_saveexec_b64 s[38:39], s[2:3]
	s_cbranch_execz .LBB260_274
.LBB260_273:
	v_sub_u32_e32 v10, v39, v8
	v_mov_b32_e32 v11, 0
	v_lshlrev_b64 v[10:11], 3, v[10:11]
	v_add_co_u32_e32 v10, vcc, v6, v10
	v_addc_co_u32_e32 v11, vcc, v7, v11, vcc
	global_store_dwordx2 v[10:11], v[96:97], off
.LBB260_274:
	s_or_b64 exec, exec, s[38:39]
	s_and_b64 s[38:39], s[0:1], exec
	s_andn2_saveexec_b64 s[30:31], s[30:31]
	s_cbranch_execz .LBB260_207
.LBB260_275:
	v_sub_u32_e32 v10, v59, v8
	v_mov_b32_e32 v11, 0
	v_lshlrev_b64 v[12:13], 3, v[10:11]
	v_add_co_u32_e32 v12, vcc, v6, v12
	v_addc_co_u32_e32 v13, vcc, v7, v13, vcc
	v_sub_u32_e32 v10, v51, v8
	global_store_dwordx2 v[12:13], v[94:95], off
	v_lshlrev_b64 v[12:13], 3, v[10:11]
	v_add_co_u32_e32 v12, vcc, v6, v12
	v_addc_co_u32_e32 v13, vcc, v7, v13, vcc
	v_sub_u32_e32 v10, v50, v8
	global_store_dwordx2 v[12:13], v[66:67], off
	;; [unrolled: 5-line block ×12, first 2 shown]
	v_lshlrev_b64 v[12:13], 3, v[10:11]
	v_add_co_u32_e32 v12, vcc, v6, v12
	v_sub_u32_e32 v10, v39, v8
	v_addc_co_u32_e32 v13, vcc, v7, v13, vcc
	v_lshlrev_b64 v[10:11], 3, v[10:11]
	v_add_co_u32_e32 v10, vcc, v6, v10
	v_addc_co_u32_e32 v11, vcc, v7, v11, vcc
	s_or_b64 s[38:39], s[38:39], exec
	global_store_dwordx2 v[12:13], v[92:93], off
	global_store_dwordx2 v[10:11], v[96:97], off
	s_or_b64 exec, exec, s[30:31]
	s_and_b64 exec, exec, s[38:39]
	s_cbranch_execnz .LBB260_208
	s_branch .LBB260_209
.LBB260_276:
	s_and_saveexec_b64 s[38:39], s[28:29]
	s_cbranch_execnz .LBB260_332
; %bb.277:
	s_or_b64 exec, exec, s[38:39]
	s_and_saveexec_b64 s[28:29], s[26:27]
	s_cbranch_execnz .LBB260_333
.LBB260_278:
	s_or_b64 exec, exec, s[28:29]
	s_and_saveexec_b64 s[26:27], s[24:25]
	s_cbranch_execnz .LBB260_334
.LBB260_279:
	s_or_b64 exec, exec, s[26:27]
	s_and_saveexec_b64 s[24:25], s[22:23]
	s_cbranch_execnz .LBB260_335
.LBB260_280:
	s_or_b64 exec, exec, s[24:25]
	s_and_saveexec_b64 s[22:23], s[20:21]
	s_cbranch_execnz .LBB260_336
.LBB260_281:
	s_or_b64 exec, exec, s[22:23]
	s_and_saveexec_b64 s[20:21], s[18:19]
	s_cbranch_execnz .LBB260_337
.LBB260_282:
	s_or_b64 exec, exec, s[20:21]
	s_and_saveexec_b64 s[18:19], s[16:17]
	s_cbranch_execnz .LBB260_338
.LBB260_283:
	s_or_b64 exec, exec, s[18:19]
	s_and_saveexec_b64 s[16:17], s[14:15]
	s_cbranch_execnz .LBB260_339
.LBB260_284:
	s_or_b64 exec, exec, s[16:17]
	s_and_saveexec_b64 s[14:15], s[12:13]
	s_cbranch_execnz .LBB260_340
.LBB260_285:
	s_or_b64 exec, exec, s[14:15]
	s_and_saveexec_b64 s[12:13], s[10:11]
	s_cbranch_execnz .LBB260_341
.LBB260_286:
	s_or_b64 exec, exec, s[12:13]
	s_and_saveexec_b64 s[10:11], s[8:9]
	s_cbranch_execnz .LBB260_342
.LBB260_287:
	s_or_b64 exec, exec, s[10:11]
	s_and_saveexec_b64 s[8:9], s[6:7]
	s_cbranch_execnz .LBB260_343
.LBB260_288:
	s_or_b64 exec, exec, s[8:9]
	s_and_saveexec_b64 s[6:7], s[4:5]
	s_cbranch_execnz .LBB260_344
.LBB260_289:
	s_or_b64 exec, exec, s[6:7]
	s_and_saveexec_b64 s[4:5], s[2:3]
	s_cbranch_execz .LBB260_291
.LBB260_290:
	v_sub_u32_e32 v9, v39, v8
	v_lshlrev_b32_e32 v9, 3, v9
	ds_write_b64 v9, v[96:97]
.LBB260_291:
	s_or_b64 exec, exec, s[4:5]
	s_and_b64 s[38:39], s[0:1], exec
                                        ; implicit-def: $vgpr94_vgpr95
                                        ; implicit-def: $vgpr66_vgpr67
                                        ; implicit-def: $vgpr68_vgpr69
                                        ; implicit-def: $vgpr70_vgpr71
                                        ; implicit-def: $vgpr76_vgpr77
                                        ; implicit-def: $vgpr78_vgpr79
                                        ; implicit-def: $vgpr80_vgpr81
                                        ; implicit-def: $vgpr82_vgpr83
                                        ; implicit-def: $vgpr84_vgpr85
                                        ; implicit-def: $vgpr86_vgpr87
                                        ; implicit-def: $vgpr88_vgpr89
                                        ; implicit-def: $vgpr90_vgpr91
                                        ; implicit-def: $vgpr92_vgpr93
                                        ; implicit-def: $vgpr96_vgpr97
                                        ; implicit-def: $vgpr59
                                        ; implicit-def: $vgpr51
                                        ; implicit-def: $vgpr50
                                        ; implicit-def: $vgpr49
                                        ; implicit-def: $vgpr48
                                        ; implicit-def: $vgpr47
                                        ; implicit-def: $vgpr46
                                        ; implicit-def: $vgpr45
                                        ; implicit-def: $vgpr44
                                        ; implicit-def: $vgpr43
                                        ; implicit-def: $vgpr42
                                        ; implicit-def: $vgpr41
                                        ; implicit-def: $vgpr40
                                        ; implicit-def: $vgpr39
	s_andn2_saveexec_b64 s[0:1], s[36:37]
	s_cbranch_execz .LBB260_214
.LBB260_292:
	v_sub_u32_e32 v9, v59, v8
	v_lshlrev_b32_e32 v9, 3, v9
	ds_write_b64 v9, v[94:95]
	v_sub_u32_e32 v9, v51, v8
	v_lshlrev_b32_e32 v9, 3, v9
	ds_write_b64 v9, v[66:67]
	;; [unrolled: 3-line block ×13, first 2 shown]
	v_sub_u32_e32 v9, v39, v8
	v_lshlrev_b32_e32 v9, 3, v9
	s_or_b64 s[38:39], s[38:39], exec
	ds_write_b64 v9, v[96:97]
	s_or_b64 exec, exec, s[0:1]
	s_and_b64 exec, exec, s[38:39]
	s_cbranch_execnz .LBB260_215
	s_branch .LBB260_216
.LBB260_293:
	v_sub_u32_e32 v56, v59, v62
	v_mov_b32_e32 v57, 0
	v_lshlrev_b64 v[56:57], 3, v[56:57]
	v_add_co_u32_e32 v56, vcc, v52, v56
	v_addc_co_u32_e32 v57, vcc, v53, v57, vcc
	global_store_dwordx2 v[56:57], v[26:27], off
	s_or_b64 exec, exec, s[38:39]
	s_and_saveexec_b64 s[38:39], s[26:27]
	s_cbranch_execz .LBB260_227
.LBB260_294:
	v_sub_u32_e32 v56, v51, v62
	v_mov_b32_e32 v57, 0
	v_lshlrev_b64 v[56:57], 3, v[56:57]
	v_add_co_u32_e32 v56, vcc, v52, v56
	v_addc_co_u32_e32 v57, vcc, v53, v57, vcc
	global_store_dwordx2 v[56:57], v[28:29], off
	s_or_b64 exec, exec, s[38:39]
	s_and_saveexec_b64 s[38:39], s[24:25]
	s_cbranch_execz .LBB260_228
.LBB260_295:
	v_sub_u32_e32 v56, v50, v62
	v_mov_b32_e32 v57, 0
	v_lshlrev_b64 v[56:57], 3, v[56:57]
	v_add_co_u32_e32 v56, vcc, v52, v56
	v_addc_co_u32_e32 v57, vcc, v53, v57, vcc
	global_store_dwordx2 v[56:57], v[22:23], off
	s_or_b64 exec, exec, s[38:39]
	s_and_saveexec_b64 s[38:39], s[22:23]
	s_cbranch_execz .LBB260_229
.LBB260_296:
	v_sub_u32_e32 v56, v49, v62
	v_mov_b32_e32 v57, 0
	v_lshlrev_b64 v[56:57], 3, v[56:57]
	v_add_co_u32_e32 v56, vcc, v52, v56
	v_addc_co_u32_e32 v57, vcc, v53, v57, vcc
	global_store_dwordx2 v[56:57], v[24:25], off
	s_or_b64 exec, exec, s[38:39]
	s_and_saveexec_b64 s[38:39], s[20:21]
	s_cbranch_execz .LBB260_230
.LBB260_297:
	v_sub_u32_e32 v56, v48, v62
	v_mov_b32_e32 v57, 0
	v_lshlrev_b64 v[56:57], 3, v[56:57]
	v_add_co_u32_e32 v56, vcc, v52, v56
	v_addc_co_u32_e32 v57, vcc, v53, v57, vcc
	global_store_dwordx2 v[56:57], v[18:19], off
	s_or_b64 exec, exec, s[38:39]
	s_and_saveexec_b64 s[38:39], s[18:19]
	s_cbranch_execz .LBB260_231
.LBB260_298:
	v_sub_u32_e32 v56, v47, v62
	v_mov_b32_e32 v57, 0
	v_lshlrev_b64 v[56:57], 3, v[56:57]
	v_add_co_u32_e32 v56, vcc, v52, v56
	v_addc_co_u32_e32 v57, vcc, v53, v57, vcc
	global_store_dwordx2 v[56:57], v[20:21], off
	s_or_b64 exec, exec, s[38:39]
	s_and_saveexec_b64 s[38:39], s[16:17]
	s_cbranch_execz .LBB260_232
.LBB260_299:
	v_sub_u32_e32 v56, v46, v62
	v_mov_b32_e32 v57, 0
	v_lshlrev_b64 v[56:57], 3, v[56:57]
	v_add_co_u32_e32 v56, vcc, v52, v56
	v_addc_co_u32_e32 v57, vcc, v53, v57, vcc
	global_store_dwordx2 v[56:57], v[14:15], off
	s_or_b64 exec, exec, s[38:39]
	s_and_saveexec_b64 s[38:39], s[14:15]
	s_cbranch_execz .LBB260_233
.LBB260_300:
	v_sub_u32_e32 v56, v45, v62
	v_mov_b32_e32 v57, 0
	v_lshlrev_b64 v[56:57], 3, v[56:57]
	v_add_co_u32_e32 v56, vcc, v52, v56
	v_addc_co_u32_e32 v57, vcc, v53, v57, vcc
	global_store_dwordx2 v[56:57], v[16:17], off
	s_or_b64 exec, exec, s[38:39]
	s_and_saveexec_b64 s[38:39], s[12:13]
	s_cbranch_execz .LBB260_234
.LBB260_301:
	v_sub_u32_e32 v56, v44, v62
	v_mov_b32_e32 v57, 0
	v_lshlrev_b64 v[56:57], 3, v[56:57]
	v_add_co_u32_e32 v56, vcc, v52, v56
	v_addc_co_u32_e32 v57, vcc, v53, v57, vcc
	global_store_dwordx2 v[56:57], v[10:11], off
	s_or_b64 exec, exec, s[38:39]
	s_and_saveexec_b64 s[38:39], s[10:11]
	s_cbranch_execz .LBB260_235
.LBB260_302:
	v_sub_u32_e32 v56, v43, v62
	v_mov_b32_e32 v57, 0
	v_lshlrev_b64 v[56:57], 3, v[56:57]
	v_add_co_u32_e32 v56, vcc, v52, v56
	v_addc_co_u32_e32 v57, vcc, v53, v57, vcc
	global_store_dwordx2 v[56:57], v[12:13], off
	s_or_b64 exec, exec, s[38:39]
	s_and_saveexec_b64 s[38:39], s[8:9]
	s_cbranch_execz .LBB260_236
.LBB260_303:
	v_sub_u32_e32 v56, v42, v62
	v_mov_b32_e32 v57, 0
	v_lshlrev_b64 v[56:57], 3, v[56:57]
	v_add_co_u32_e32 v56, vcc, v52, v56
	v_addc_co_u32_e32 v57, vcc, v53, v57, vcc
	global_store_dwordx2 v[56:57], v[6:7], off
	s_or_b64 exec, exec, s[38:39]
	s_and_saveexec_b64 s[38:39], s[6:7]
	s_cbranch_execz .LBB260_237
.LBB260_304:
	v_sub_u32_e32 v56, v41, v62
	v_mov_b32_e32 v57, 0
	v_lshlrev_b64 v[56:57], 3, v[56:57]
	v_add_co_u32_e32 v56, vcc, v52, v56
	v_addc_co_u32_e32 v57, vcc, v53, v57, vcc
	global_store_dwordx2 v[56:57], v[8:9], off
	s_or_b64 exec, exec, s[38:39]
	s_and_saveexec_b64 s[38:39], s[4:5]
	s_cbranch_execz .LBB260_238
.LBB260_305:
	v_sub_u32_e32 v56, v40, v62
	v_mov_b32_e32 v57, 0
	v_lshlrev_b64 v[56:57], 3, v[56:57]
	v_add_co_u32_e32 v56, vcc, v52, v56
	v_addc_co_u32_e32 v57, vcc, v53, v57, vcc
	global_store_dwordx2 v[56:57], v[2:3], off
	s_or_b64 exec, exec, s[38:39]
	s_and_saveexec_b64 s[38:39], s[2:3]
	s_cbranch_execnz .LBB260_239
	s_branch .LBB260_240
.LBB260_306:
	v_sub_u32_e32 v54, v59, v62
	v_lshlrev_b32_e32 v54, 3, v54
	ds_write_b64 v54, v[26:27]
	s_or_b64 exec, exec, s[38:39]
	s_and_saveexec_b64 s[28:29], s[26:27]
	s_cbranch_execz .LBB260_244
.LBB260_307:
	v_sub_u32_e32 v26, v51, v62
	v_lshlrev_b32_e32 v26, 3, v26
	ds_write_b64 v26, v[28:29]
	s_or_b64 exec, exec, s[28:29]
	s_and_saveexec_b64 s[26:27], s[24:25]
	s_cbranch_execz .LBB260_245
.LBB260_308:
	v_sub_u32_e32 v26, v50, v62
	v_lshlrev_b32_e32 v26, 3, v26
	ds_write_b64 v26, v[22:23]
	s_or_b64 exec, exec, s[26:27]
	s_and_saveexec_b64 s[24:25], s[22:23]
	s_cbranch_execz .LBB260_246
.LBB260_309:
	v_sub_u32_e32 v22, v49, v62
	v_lshlrev_b32_e32 v22, 3, v22
	ds_write_b64 v22, v[24:25]
	s_or_b64 exec, exec, s[24:25]
	s_and_saveexec_b64 s[22:23], s[20:21]
	s_cbranch_execz .LBB260_247
.LBB260_310:
	v_sub_u32_e32 v22, v48, v62
	v_lshlrev_b32_e32 v22, 3, v22
	ds_write_b64 v22, v[18:19]
	s_or_b64 exec, exec, s[22:23]
	s_and_saveexec_b64 s[20:21], s[18:19]
	s_cbranch_execz .LBB260_248
.LBB260_311:
	v_sub_u32_e32 v18, v47, v62
	v_lshlrev_b32_e32 v18, 3, v18
	ds_write_b64 v18, v[20:21]
	s_or_b64 exec, exec, s[20:21]
	s_and_saveexec_b64 s[18:19], s[16:17]
	s_cbranch_execz .LBB260_249
.LBB260_312:
	v_sub_u32_e32 v18, v46, v62
	v_lshlrev_b32_e32 v18, 3, v18
	ds_write_b64 v18, v[14:15]
	s_or_b64 exec, exec, s[18:19]
	s_and_saveexec_b64 s[16:17], s[14:15]
	s_cbranch_execz .LBB260_250
.LBB260_313:
	v_sub_u32_e32 v14, v45, v62
	v_lshlrev_b32_e32 v14, 3, v14
	ds_write_b64 v14, v[16:17]
	s_or_b64 exec, exec, s[16:17]
	s_and_saveexec_b64 s[14:15], s[12:13]
	s_cbranch_execz .LBB260_251
.LBB260_314:
	v_sub_u32_e32 v14, v44, v62
	v_lshlrev_b32_e32 v14, 3, v14
	ds_write_b64 v14, v[10:11]
	s_or_b64 exec, exec, s[14:15]
	s_and_saveexec_b64 s[12:13], s[10:11]
	s_cbranch_execz .LBB260_252
.LBB260_315:
	v_sub_u32_e32 v10, v43, v62
	v_lshlrev_b32_e32 v10, 3, v10
	ds_write_b64 v10, v[12:13]
	s_or_b64 exec, exec, s[12:13]
	s_and_saveexec_b64 s[10:11], s[8:9]
	s_cbranch_execz .LBB260_253
.LBB260_316:
	v_sub_u32_e32 v10, v42, v62
	v_lshlrev_b32_e32 v10, 3, v10
	ds_write_b64 v10, v[6:7]
	s_or_b64 exec, exec, s[10:11]
	s_and_saveexec_b64 s[8:9], s[6:7]
	s_cbranch_execz .LBB260_254
.LBB260_317:
	v_sub_u32_e32 v6, v41, v62
	v_lshlrev_b32_e32 v6, 3, v6
	ds_write_b64 v6, v[8:9]
	s_or_b64 exec, exec, s[8:9]
	s_and_saveexec_b64 s[6:7], s[4:5]
	s_cbranch_execz .LBB260_255
.LBB260_318:
	v_sub_u32_e32 v6, v40, v62
	v_lshlrev_b32_e32 v6, 3, v6
	ds_write_b64 v6, v[2:3]
	s_or_b64 exec, exec, s[6:7]
	s_and_saveexec_b64 s[4:5], s[2:3]
	s_cbranch_execnz .LBB260_256
	s_branch .LBB260_257
.LBB260_319:
	v_sub_u32_e32 v10, v59, v8
	v_mov_b32_e32 v11, 0
	v_lshlrev_b64 v[10:11], 3, v[10:11]
	v_add_co_u32_e32 v10, vcc, v6, v10
	v_addc_co_u32_e32 v11, vcc, v7, v11, vcc
	global_store_dwordx2 v[10:11], v[94:95], off
	s_or_b64 exec, exec, s[38:39]
	s_and_saveexec_b64 s[38:39], s[26:27]
	s_cbranch_execz .LBB260_261
.LBB260_320:
	v_sub_u32_e32 v10, v51, v8
	v_mov_b32_e32 v11, 0
	v_lshlrev_b64 v[10:11], 3, v[10:11]
	v_add_co_u32_e32 v10, vcc, v6, v10
	v_addc_co_u32_e32 v11, vcc, v7, v11, vcc
	global_store_dwordx2 v[10:11], v[66:67], off
	s_or_b64 exec, exec, s[38:39]
	s_and_saveexec_b64 s[38:39], s[24:25]
	s_cbranch_execz .LBB260_262
.LBB260_321:
	v_sub_u32_e32 v10, v50, v8
	v_mov_b32_e32 v11, 0
	v_lshlrev_b64 v[10:11], 3, v[10:11]
	v_add_co_u32_e32 v10, vcc, v6, v10
	v_addc_co_u32_e32 v11, vcc, v7, v11, vcc
	global_store_dwordx2 v[10:11], v[68:69], off
	s_or_b64 exec, exec, s[38:39]
	s_and_saveexec_b64 s[38:39], s[22:23]
	s_cbranch_execz .LBB260_263
.LBB260_322:
	v_sub_u32_e32 v10, v49, v8
	v_mov_b32_e32 v11, 0
	v_lshlrev_b64 v[10:11], 3, v[10:11]
	v_add_co_u32_e32 v10, vcc, v6, v10
	v_addc_co_u32_e32 v11, vcc, v7, v11, vcc
	global_store_dwordx2 v[10:11], v[70:71], off
	s_or_b64 exec, exec, s[38:39]
	s_and_saveexec_b64 s[38:39], s[20:21]
	s_cbranch_execz .LBB260_264
.LBB260_323:
	v_sub_u32_e32 v10, v48, v8
	v_mov_b32_e32 v11, 0
	v_lshlrev_b64 v[10:11], 3, v[10:11]
	v_add_co_u32_e32 v10, vcc, v6, v10
	v_addc_co_u32_e32 v11, vcc, v7, v11, vcc
	global_store_dwordx2 v[10:11], v[76:77], off
	s_or_b64 exec, exec, s[38:39]
	s_and_saveexec_b64 s[38:39], s[18:19]
	s_cbranch_execz .LBB260_265
.LBB260_324:
	v_sub_u32_e32 v10, v47, v8
	v_mov_b32_e32 v11, 0
	v_lshlrev_b64 v[10:11], 3, v[10:11]
	v_add_co_u32_e32 v10, vcc, v6, v10
	v_addc_co_u32_e32 v11, vcc, v7, v11, vcc
	global_store_dwordx2 v[10:11], v[78:79], off
	s_or_b64 exec, exec, s[38:39]
	s_and_saveexec_b64 s[38:39], s[16:17]
	s_cbranch_execz .LBB260_266
.LBB260_325:
	v_sub_u32_e32 v10, v46, v8
	v_mov_b32_e32 v11, 0
	v_lshlrev_b64 v[10:11], 3, v[10:11]
	v_add_co_u32_e32 v10, vcc, v6, v10
	v_addc_co_u32_e32 v11, vcc, v7, v11, vcc
	global_store_dwordx2 v[10:11], v[80:81], off
	s_or_b64 exec, exec, s[38:39]
	s_and_saveexec_b64 s[38:39], s[14:15]
	s_cbranch_execz .LBB260_267
.LBB260_326:
	v_sub_u32_e32 v10, v45, v8
	v_mov_b32_e32 v11, 0
	v_lshlrev_b64 v[10:11], 3, v[10:11]
	v_add_co_u32_e32 v10, vcc, v6, v10
	v_addc_co_u32_e32 v11, vcc, v7, v11, vcc
	global_store_dwordx2 v[10:11], v[82:83], off
	s_or_b64 exec, exec, s[38:39]
	s_and_saveexec_b64 s[38:39], s[12:13]
	s_cbranch_execz .LBB260_268
.LBB260_327:
	v_sub_u32_e32 v10, v44, v8
	v_mov_b32_e32 v11, 0
	v_lshlrev_b64 v[10:11], 3, v[10:11]
	v_add_co_u32_e32 v10, vcc, v6, v10
	v_addc_co_u32_e32 v11, vcc, v7, v11, vcc
	global_store_dwordx2 v[10:11], v[84:85], off
	s_or_b64 exec, exec, s[38:39]
	s_and_saveexec_b64 s[38:39], s[10:11]
	s_cbranch_execz .LBB260_269
.LBB260_328:
	v_sub_u32_e32 v10, v43, v8
	v_mov_b32_e32 v11, 0
	v_lshlrev_b64 v[10:11], 3, v[10:11]
	v_add_co_u32_e32 v10, vcc, v6, v10
	v_addc_co_u32_e32 v11, vcc, v7, v11, vcc
	global_store_dwordx2 v[10:11], v[86:87], off
	s_or_b64 exec, exec, s[38:39]
	s_and_saveexec_b64 s[38:39], s[8:9]
	s_cbranch_execz .LBB260_270
.LBB260_329:
	v_sub_u32_e32 v10, v42, v8
	v_mov_b32_e32 v11, 0
	v_lshlrev_b64 v[10:11], 3, v[10:11]
	v_add_co_u32_e32 v10, vcc, v6, v10
	v_addc_co_u32_e32 v11, vcc, v7, v11, vcc
	global_store_dwordx2 v[10:11], v[88:89], off
	s_or_b64 exec, exec, s[38:39]
	s_and_saveexec_b64 s[38:39], s[6:7]
	s_cbranch_execz .LBB260_271
.LBB260_330:
	v_sub_u32_e32 v10, v41, v8
	v_mov_b32_e32 v11, 0
	v_lshlrev_b64 v[10:11], 3, v[10:11]
	v_add_co_u32_e32 v10, vcc, v6, v10
	v_addc_co_u32_e32 v11, vcc, v7, v11, vcc
	global_store_dwordx2 v[10:11], v[90:91], off
	s_or_b64 exec, exec, s[38:39]
	s_and_saveexec_b64 s[38:39], s[4:5]
	s_cbranch_execz .LBB260_272
.LBB260_331:
	v_sub_u32_e32 v10, v40, v8
	v_mov_b32_e32 v11, 0
	v_lshlrev_b64 v[10:11], 3, v[10:11]
	v_add_co_u32_e32 v10, vcc, v6, v10
	v_addc_co_u32_e32 v11, vcc, v7, v11, vcc
	global_store_dwordx2 v[10:11], v[92:93], off
	s_or_b64 exec, exec, s[38:39]
	s_and_saveexec_b64 s[38:39], s[2:3]
	s_cbranch_execnz .LBB260_273
	s_branch .LBB260_274
.LBB260_332:
	v_sub_u32_e32 v9, v59, v8
	v_lshlrev_b32_e32 v9, 3, v9
	ds_write_b64 v9, v[94:95]
	s_or_b64 exec, exec, s[38:39]
	s_and_saveexec_b64 s[28:29], s[26:27]
	s_cbranch_execz .LBB260_278
.LBB260_333:
	v_sub_u32_e32 v9, v51, v8
	v_lshlrev_b32_e32 v9, 3, v9
	ds_write_b64 v9, v[66:67]
	s_or_b64 exec, exec, s[28:29]
	s_and_saveexec_b64 s[26:27], s[24:25]
	s_cbranch_execz .LBB260_279
.LBB260_334:
	v_sub_u32_e32 v9, v50, v8
	v_lshlrev_b32_e32 v9, 3, v9
	ds_write_b64 v9, v[68:69]
	s_or_b64 exec, exec, s[26:27]
	s_and_saveexec_b64 s[24:25], s[22:23]
	s_cbranch_execz .LBB260_280
.LBB260_335:
	v_sub_u32_e32 v9, v49, v8
	v_lshlrev_b32_e32 v9, 3, v9
	ds_write_b64 v9, v[70:71]
	s_or_b64 exec, exec, s[24:25]
	s_and_saveexec_b64 s[22:23], s[20:21]
	s_cbranch_execz .LBB260_281
.LBB260_336:
	v_sub_u32_e32 v9, v48, v8
	v_lshlrev_b32_e32 v9, 3, v9
	ds_write_b64 v9, v[76:77]
	s_or_b64 exec, exec, s[22:23]
	s_and_saveexec_b64 s[20:21], s[18:19]
	s_cbranch_execz .LBB260_282
.LBB260_337:
	v_sub_u32_e32 v9, v47, v8
	v_lshlrev_b32_e32 v9, 3, v9
	ds_write_b64 v9, v[78:79]
	s_or_b64 exec, exec, s[20:21]
	s_and_saveexec_b64 s[18:19], s[16:17]
	s_cbranch_execz .LBB260_283
.LBB260_338:
	v_sub_u32_e32 v9, v46, v8
	v_lshlrev_b32_e32 v9, 3, v9
	ds_write_b64 v9, v[80:81]
	s_or_b64 exec, exec, s[18:19]
	s_and_saveexec_b64 s[16:17], s[14:15]
	s_cbranch_execz .LBB260_284
.LBB260_339:
	v_sub_u32_e32 v9, v45, v8
	v_lshlrev_b32_e32 v9, 3, v9
	ds_write_b64 v9, v[82:83]
	s_or_b64 exec, exec, s[16:17]
	s_and_saveexec_b64 s[14:15], s[12:13]
	s_cbranch_execz .LBB260_285
.LBB260_340:
	v_sub_u32_e32 v9, v44, v8
	v_lshlrev_b32_e32 v9, 3, v9
	ds_write_b64 v9, v[84:85]
	s_or_b64 exec, exec, s[14:15]
	s_and_saveexec_b64 s[12:13], s[10:11]
	s_cbranch_execz .LBB260_286
.LBB260_341:
	v_sub_u32_e32 v9, v43, v8
	v_lshlrev_b32_e32 v9, 3, v9
	ds_write_b64 v9, v[86:87]
	s_or_b64 exec, exec, s[12:13]
	s_and_saveexec_b64 s[10:11], s[8:9]
	s_cbranch_execz .LBB260_287
.LBB260_342:
	v_sub_u32_e32 v9, v42, v8
	v_lshlrev_b32_e32 v9, 3, v9
	ds_write_b64 v9, v[88:89]
	s_or_b64 exec, exec, s[10:11]
	s_and_saveexec_b64 s[8:9], s[6:7]
	s_cbranch_execz .LBB260_288
.LBB260_343:
	v_sub_u32_e32 v9, v41, v8
	v_lshlrev_b32_e32 v9, 3, v9
	ds_write_b64 v9, v[90:91]
	s_or_b64 exec, exec, s[8:9]
	s_and_saveexec_b64 s[6:7], s[4:5]
	s_cbranch_execz .LBB260_289
.LBB260_344:
	v_sub_u32_e32 v9, v40, v8
	v_lshlrev_b32_e32 v9, 3, v9
	ds_write_b64 v9, v[92:93]
	s_or_b64 exec, exec, s[6:7]
	s_and_saveexec_b64 s[4:5], s[2:3]
	s_cbranch_execnz .LBB260_290
	s_branch .LBB260_291
	.section	.rodata,"a",@progbits
	.p2align	6, 0x0
	.amdhsa_kernel _ZN7rocprim17ROCPRIM_400000_NS6detail17trampoline_kernelINS0_14default_configENS1_29reduce_by_key_config_selectorIyyN6thrust23THRUST_200600_302600_NS4plusIyEEEEZZNS1_33reduce_by_key_impl_wrapped_configILNS1_25lookback_scan_determinismE0ES3_S9_NS6_6detail15normal_iteratorINS6_10device_ptrIyEEEESG_SG_SG_PmS8_NS6_8equal_toIyEEEE10hipError_tPvRmT2_T3_mT4_T5_T6_T7_T8_P12ihipStream_tbENKUlT_T0_E_clISt17integral_constantIbLb1EES10_IbLb0EEEEDaSW_SX_EUlSW_E_NS1_11comp_targetILNS1_3genE4ELNS1_11target_archE910ELNS1_3gpuE8ELNS1_3repE0EEENS1_30default_config_static_selectorELNS0_4arch9wavefront6targetE1EEEvT1_
		.amdhsa_group_segment_fixed_size 30720
		.amdhsa_private_segment_fixed_size 0
		.amdhsa_kernarg_size 136
		.amdhsa_user_sgpr_count 6
		.amdhsa_user_sgpr_private_segment_buffer 1
		.amdhsa_user_sgpr_dispatch_ptr 0
		.amdhsa_user_sgpr_queue_ptr 0
		.amdhsa_user_sgpr_kernarg_segment_ptr 1
		.amdhsa_user_sgpr_dispatch_id 0
		.amdhsa_user_sgpr_flat_scratch_init 0
		.amdhsa_user_sgpr_kernarg_preload_length 0
		.amdhsa_user_sgpr_kernarg_preload_offset 0
		.amdhsa_user_sgpr_private_segment_size 0
		.amdhsa_uses_dynamic_stack 0
		.amdhsa_system_sgpr_private_segment_wavefront_offset 0
		.amdhsa_system_sgpr_workgroup_id_x 1
		.amdhsa_system_sgpr_workgroup_id_y 0
		.amdhsa_system_sgpr_workgroup_id_z 0
		.amdhsa_system_sgpr_workgroup_info 0
		.amdhsa_system_vgpr_workitem_id 0
		.amdhsa_next_free_vgpr 118
		.amdhsa_next_free_sgpr 65
		.amdhsa_accum_offset 120
		.amdhsa_reserve_vcc 1
		.amdhsa_reserve_flat_scratch 0
		.amdhsa_float_round_mode_32 0
		.amdhsa_float_round_mode_16_64 0
		.amdhsa_float_denorm_mode_32 3
		.amdhsa_float_denorm_mode_16_64 3
		.amdhsa_dx10_clamp 1
		.amdhsa_ieee_mode 1
		.amdhsa_fp16_overflow 0
		.amdhsa_tg_split 0
		.amdhsa_exception_fp_ieee_invalid_op 0
		.amdhsa_exception_fp_denorm_src 0
		.amdhsa_exception_fp_ieee_div_zero 0
		.amdhsa_exception_fp_ieee_overflow 0
		.amdhsa_exception_fp_ieee_underflow 0
		.amdhsa_exception_fp_ieee_inexact 0
		.amdhsa_exception_int_div_zero 0
	.end_amdhsa_kernel
	.section	.text._ZN7rocprim17ROCPRIM_400000_NS6detail17trampoline_kernelINS0_14default_configENS1_29reduce_by_key_config_selectorIyyN6thrust23THRUST_200600_302600_NS4plusIyEEEEZZNS1_33reduce_by_key_impl_wrapped_configILNS1_25lookback_scan_determinismE0ES3_S9_NS6_6detail15normal_iteratorINS6_10device_ptrIyEEEESG_SG_SG_PmS8_NS6_8equal_toIyEEEE10hipError_tPvRmT2_T3_mT4_T5_T6_T7_T8_P12ihipStream_tbENKUlT_T0_E_clISt17integral_constantIbLb1EES10_IbLb0EEEEDaSW_SX_EUlSW_E_NS1_11comp_targetILNS1_3genE4ELNS1_11target_archE910ELNS1_3gpuE8ELNS1_3repE0EEENS1_30default_config_static_selectorELNS0_4arch9wavefront6targetE1EEEvT1_,"axG",@progbits,_ZN7rocprim17ROCPRIM_400000_NS6detail17trampoline_kernelINS0_14default_configENS1_29reduce_by_key_config_selectorIyyN6thrust23THRUST_200600_302600_NS4plusIyEEEEZZNS1_33reduce_by_key_impl_wrapped_configILNS1_25lookback_scan_determinismE0ES3_S9_NS6_6detail15normal_iteratorINS6_10device_ptrIyEEEESG_SG_SG_PmS8_NS6_8equal_toIyEEEE10hipError_tPvRmT2_T3_mT4_T5_T6_T7_T8_P12ihipStream_tbENKUlT_T0_E_clISt17integral_constantIbLb1EES10_IbLb0EEEEDaSW_SX_EUlSW_E_NS1_11comp_targetILNS1_3genE4ELNS1_11target_archE910ELNS1_3gpuE8ELNS1_3repE0EEENS1_30default_config_static_selectorELNS0_4arch9wavefront6targetE1EEEvT1_,comdat
.Lfunc_end260:
	.size	_ZN7rocprim17ROCPRIM_400000_NS6detail17trampoline_kernelINS0_14default_configENS1_29reduce_by_key_config_selectorIyyN6thrust23THRUST_200600_302600_NS4plusIyEEEEZZNS1_33reduce_by_key_impl_wrapped_configILNS1_25lookback_scan_determinismE0ES3_S9_NS6_6detail15normal_iteratorINS6_10device_ptrIyEEEESG_SG_SG_PmS8_NS6_8equal_toIyEEEE10hipError_tPvRmT2_T3_mT4_T5_T6_T7_T8_P12ihipStream_tbENKUlT_T0_E_clISt17integral_constantIbLb1EES10_IbLb0EEEEDaSW_SX_EUlSW_E_NS1_11comp_targetILNS1_3genE4ELNS1_11target_archE910ELNS1_3gpuE8ELNS1_3repE0EEENS1_30default_config_static_selectorELNS0_4arch9wavefront6targetE1EEEvT1_, .Lfunc_end260-_ZN7rocprim17ROCPRIM_400000_NS6detail17trampoline_kernelINS0_14default_configENS1_29reduce_by_key_config_selectorIyyN6thrust23THRUST_200600_302600_NS4plusIyEEEEZZNS1_33reduce_by_key_impl_wrapped_configILNS1_25lookback_scan_determinismE0ES3_S9_NS6_6detail15normal_iteratorINS6_10device_ptrIyEEEESG_SG_SG_PmS8_NS6_8equal_toIyEEEE10hipError_tPvRmT2_T3_mT4_T5_T6_T7_T8_P12ihipStream_tbENKUlT_T0_E_clISt17integral_constantIbLb1EES10_IbLb0EEEEDaSW_SX_EUlSW_E_NS1_11comp_targetILNS1_3genE4ELNS1_11target_archE910ELNS1_3gpuE8ELNS1_3repE0EEENS1_30default_config_static_selectorELNS0_4arch9wavefront6targetE1EEEvT1_
                                        ; -- End function
	.section	.AMDGPU.csdata,"",@progbits
; Kernel info:
; codeLenInByte = 16928
; NumSgprs: 69
; NumVgprs: 118
; NumAgprs: 0
; TotalNumVgprs: 118
; ScratchSize: 0
; MemoryBound: 0
; FloatMode: 240
; IeeeMode: 1
; LDSByteSize: 30720 bytes/workgroup (compile time only)
; SGPRBlocks: 8
; VGPRBlocks: 14
; NumSGPRsForWavesPerEU: 69
; NumVGPRsForWavesPerEU: 118
; AccumOffset: 120
; Occupancy: 2
; WaveLimiterHint : 1
; COMPUTE_PGM_RSRC2:SCRATCH_EN: 0
; COMPUTE_PGM_RSRC2:USER_SGPR: 6
; COMPUTE_PGM_RSRC2:TRAP_HANDLER: 0
; COMPUTE_PGM_RSRC2:TGID_X_EN: 1
; COMPUTE_PGM_RSRC2:TGID_Y_EN: 0
; COMPUTE_PGM_RSRC2:TGID_Z_EN: 0
; COMPUTE_PGM_RSRC2:TIDIG_COMP_CNT: 0
; COMPUTE_PGM_RSRC3_GFX90A:ACCUM_OFFSET: 29
; COMPUTE_PGM_RSRC3_GFX90A:TG_SPLIT: 0
	.section	.text._ZN7rocprim17ROCPRIM_400000_NS6detail17trampoline_kernelINS0_14default_configENS1_29reduce_by_key_config_selectorIyyN6thrust23THRUST_200600_302600_NS4plusIyEEEEZZNS1_33reduce_by_key_impl_wrapped_configILNS1_25lookback_scan_determinismE0ES3_S9_NS6_6detail15normal_iteratorINS6_10device_ptrIyEEEESG_SG_SG_PmS8_NS6_8equal_toIyEEEE10hipError_tPvRmT2_T3_mT4_T5_T6_T7_T8_P12ihipStream_tbENKUlT_T0_E_clISt17integral_constantIbLb1EES10_IbLb0EEEEDaSW_SX_EUlSW_E_NS1_11comp_targetILNS1_3genE3ELNS1_11target_archE908ELNS1_3gpuE7ELNS1_3repE0EEENS1_30default_config_static_selectorELNS0_4arch9wavefront6targetE1EEEvT1_,"axG",@progbits,_ZN7rocprim17ROCPRIM_400000_NS6detail17trampoline_kernelINS0_14default_configENS1_29reduce_by_key_config_selectorIyyN6thrust23THRUST_200600_302600_NS4plusIyEEEEZZNS1_33reduce_by_key_impl_wrapped_configILNS1_25lookback_scan_determinismE0ES3_S9_NS6_6detail15normal_iteratorINS6_10device_ptrIyEEEESG_SG_SG_PmS8_NS6_8equal_toIyEEEE10hipError_tPvRmT2_T3_mT4_T5_T6_T7_T8_P12ihipStream_tbENKUlT_T0_E_clISt17integral_constantIbLb1EES10_IbLb0EEEEDaSW_SX_EUlSW_E_NS1_11comp_targetILNS1_3genE3ELNS1_11target_archE908ELNS1_3gpuE7ELNS1_3repE0EEENS1_30default_config_static_selectorELNS0_4arch9wavefront6targetE1EEEvT1_,comdat
	.protected	_ZN7rocprim17ROCPRIM_400000_NS6detail17trampoline_kernelINS0_14default_configENS1_29reduce_by_key_config_selectorIyyN6thrust23THRUST_200600_302600_NS4plusIyEEEEZZNS1_33reduce_by_key_impl_wrapped_configILNS1_25lookback_scan_determinismE0ES3_S9_NS6_6detail15normal_iteratorINS6_10device_ptrIyEEEESG_SG_SG_PmS8_NS6_8equal_toIyEEEE10hipError_tPvRmT2_T3_mT4_T5_T6_T7_T8_P12ihipStream_tbENKUlT_T0_E_clISt17integral_constantIbLb1EES10_IbLb0EEEEDaSW_SX_EUlSW_E_NS1_11comp_targetILNS1_3genE3ELNS1_11target_archE908ELNS1_3gpuE7ELNS1_3repE0EEENS1_30default_config_static_selectorELNS0_4arch9wavefront6targetE1EEEvT1_ ; -- Begin function _ZN7rocprim17ROCPRIM_400000_NS6detail17trampoline_kernelINS0_14default_configENS1_29reduce_by_key_config_selectorIyyN6thrust23THRUST_200600_302600_NS4plusIyEEEEZZNS1_33reduce_by_key_impl_wrapped_configILNS1_25lookback_scan_determinismE0ES3_S9_NS6_6detail15normal_iteratorINS6_10device_ptrIyEEEESG_SG_SG_PmS8_NS6_8equal_toIyEEEE10hipError_tPvRmT2_T3_mT4_T5_T6_T7_T8_P12ihipStream_tbENKUlT_T0_E_clISt17integral_constantIbLb1EES10_IbLb0EEEEDaSW_SX_EUlSW_E_NS1_11comp_targetILNS1_3genE3ELNS1_11target_archE908ELNS1_3gpuE7ELNS1_3repE0EEENS1_30default_config_static_selectorELNS0_4arch9wavefront6targetE1EEEvT1_
	.globl	_ZN7rocprim17ROCPRIM_400000_NS6detail17trampoline_kernelINS0_14default_configENS1_29reduce_by_key_config_selectorIyyN6thrust23THRUST_200600_302600_NS4plusIyEEEEZZNS1_33reduce_by_key_impl_wrapped_configILNS1_25lookback_scan_determinismE0ES3_S9_NS6_6detail15normal_iteratorINS6_10device_ptrIyEEEESG_SG_SG_PmS8_NS6_8equal_toIyEEEE10hipError_tPvRmT2_T3_mT4_T5_T6_T7_T8_P12ihipStream_tbENKUlT_T0_E_clISt17integral_constantIbLb1EES10_IbLb0EEEEDaSW_SX_EUlSW_E_NS1_11comp_targetILNS1_3genE3ELNS1_11target_archE908ELNS1_3gpuE7ELNS1_3repE0EEENS1_30default_config_static_selectorELNS0_4arch9wavefront6targetE1EEEvT1_
	.p2align	8
	.type	_ZN7rocprim17ROCPRIM_400000_NS6detail17trampoline_kernelINS0_14default_configENS1_29reduce_by_key_config_selectorIyyN6thrust23THRUST_200600_302600_NS4plusIyEEEEZZNS1_33reduce_by_key_impl_wrapped_configILNS1_25lookback_scan_determinismE0ES3_S9_NS6_6detail15normal_iteratorINS6_10device_ptrIyEEEESG_SG_SG_PmS8_NS6_8equal_toIyEEEE10hipError_tPvRmT2_T3_mT4_T5_T6_T7_T8_P12ihipStream_tbENKUlT_T0_E_clISt17integral_constantIbLb1EES10_IbLb0EEEEDaSW_SX_EUlSW_E_NS1_11comp_targetILNS1_3genE3ELNS1_11target_archE908ELNS1_3gpuE7ELNS1_3repE0EEENS1_30default_config_static_selectorELNS0_4arch9wavefront6targetE1EEEvT1_,@function
_ZN7rocprim17ROCPRIM_400000_NS6detail17trampoline_kernelINS0_14default_configENS1_29reduce_by_key_config_selectorIyyN6thrust23THRUST_200600_302600_NS4plusIyEEEEZZNS1_33reduce_by_key_impl_wrapped_configILNS1_25lookback_scan_determinismE0ES3_S9_NS6_6detail15normal_iteratorINS6_10device_ptrIyEEEESG_SG_SG_PmS8_NS6_8equal_toIyEEEE10hipError_tPvRmT2_T3_mT4_T5_T6_T7_T8_P12ihipStream_tbENKUlT_T0_E_clISt17integral_constantIbLb1EES10_IbLb0EEEEDaSW_SX_EUlSW_E_NS1_11comp_targetILNS1_3genE3ELNS1_11target_archE908ELNS1_3gpuE7ELNS1_3repE0EEENS1_30default_config_static_selectorELNS0_4arch9wavefront6targetE1EEEvT1_: ; @_ZN7rocprim17ROCPRIM_400000_NS6detail17trampoline_kernelINS0_14default_configENS1_29reduce_by_key_config_selectorIyyN6thrust23THRUST_200600_302600_NS4plusIyEEEEZZNS1_33reduce_by_key_impl_wrapped_configILNS1_25lookback_scan_determinismE0ES3_S9_NS6_6detail15normal_iteratorINS6_10device_ptrIyEEEESG_SG_SG_PmS8_NS6_8equal_toIyEEEE10hipError_tPvRmT2_T3_mT4_T5_T6_T7_T8_P12ihipStream_tbENKUlT_T0_E_clISt17integral_constantIbLb1EES10_IbLb0EEEEDaSW_SX_EUlSW_E_NS1_11comp_targetILNS1_3genE3ELNS1_11target_archE908ELNS1_3gpuE7ELNS1_3repE0EEENS1_30default_config_static_selectorELNS0_4arch9wavefront6targetE1EEEvT1_
; %bb.0:
	.section	.rodata,"a",@progbits
	.p2align	6, 0x0
	.amdhsa_kernel _ZN7rocprim17ROCPRIM_400000_NS6detail17trampoline_kernelINS0_14default_configENS1_29reduce_by_key_config_selectorIyyN6thrust23THRUST_200600_302600_NS4plusIyEEEEZZNS1_33reduce_by_key_impl_wrapped_configILNS1_25lookback_scan_determinismE0ES3_S9_NS6_6detail15normal_iteratorINS6_10device_ptrIyEEEESG_SG_SG_PmS8_NS6_8equal_toIyEEEE10hipError_tPvRmT2_T3_mT4_T5_T6_T7_T8_P12ihipStream_tbENKUlT_T0_E_clISt17integral_constantIbLb1EES10_IbLb0EEEEDaSW_SX_EUlSW_E_NS1_11comp_targetILNS1_3genE3ELNS1_11target_archE908ELNS1_3gpuE7ELNS1_3repE0EEENS1_30default_config_static_selectorELNS0_4arch9wavefront6targetE1EEEvT1_
		.amdhsa_group_segment_fixed_size 0
		.amdhsa_private_segment_fixed_size 0
		.amdhsa_kernarg_size 136
		.amdhsa_user_sgpr_count 6
		.amdhsa_user_sgpr_private_segment_buffer 1
		.amdhsa_user_sgpr_dispatch_ptr 0
		.amdhsa_user_sgpr_queue_ptr 0
		.amdhsa_user_sgpr_kernarg_segment_ptr 1
		.amdhsa_user_sgpr_dispatch_id 0
		.amdhsa_user_sgpr_flat_scratch_init 0
		.amdhsa_user_sgpr_kernarg_preload_length 0
		.amdhsa_user_sgpr_kernarg_preload_offset 0
		.amdhsa_user_sgpr_private_segment_size 0
		.amdhsa_uses_dynamic_stack 0
		.amdhsa_system_sgpr_private_segment_wavefront_offset 0
		.amdhsa_system_sgpr_workgroup_id_x 1
		.amdhsa_system_sgpr_workgroup_id_y 0
		.amdhsa_system_sgpr_workgroup_id_z 0
		.amdhsa_system_sgpr_workgroup_info 0
		.amdhsa_system_vgpr_workitem_id 0
		.amdhsa_next_free_vgpr 1
		.amdhsa_next_free_sgpr 0
		.amdhsa_accum_offset 4
		.amdhsa_reserve_vcc 0
		.amdhsa_reserve_flat_scratch 0
		.amdhsa_float_round_mode_32 0
		.amdhsa_float_round_mode_16_64 0
		.amdhsa_float_denorm_mode_32 3
		.amdhsa_float_denorm_mode_16_64 3
		.amdhsa_dx10_clamp 1
		.amdhsa_ieee_mode 1
		.amdhsa_fp16_overflow 0
		.amdhsa_tg_split 0
		.amdhsa_exception_fp_ieee_invalid_op 0
		.amdhsa_exception_fp_denorm_src 0
		.amdhsa_exception_fp_ieee_div_zero 0
		.amdhsa_exception_fp_ieee_overflow 0
		.amdhsa_exception_fp_ieee_underflow 0
		.amdhsa_exception_fp_ieee_inexact 0
		.amdhsa_exception_int_div_zero 0
	.end_amdhsa_kernel
	.section	.text._ZN7rocprim17ROCPRIM_400000_NS6detail17trampoline_kernelINS0_14default_configENS1_29reduce_by_key_config_selectorIyyN6thrust23THRUST_200600_302600_NS4plusIyEEEEZZNS1_33reduce_by_key_impl_wrapped_configILNS1_25lookback_scan_determinismE0ES3_S9_NS6_6detail15normal_iteratorINS6_10device_ptrIyEEEESG_SG_SG_PmS8_NS6_8equal_toIyEEEE10hipError_tPvRmT2_T3_mT4_T5_T6_T7_T8_P12ihipStream_tbENKUlT_T0_E_clISt17integral_constantIbLb1EES10_IbLb0EEEEDaSW_SX_EUlSW_E_NS1_11comp_targetILNS1_3genE3ELNS1_11target_archE908ELNS1_3gpuE7ELNS1_3repE0EEENS1_30default_config_static_selectorELNS0_4arch9wavefront6targetE1EEEvT1_,"axG",@progbits,_ZN7rocprim17ROCPRIM_400000_NS6detail17trampoline_kernelINS0_14default_configENS1_29reduce_by_key_config_selectorIyyN6thrust23THRUST_200600_302600_NS4plusIyEEEEZZNS1_33reduce_by_key_impl_wrapped_configILNS1_25lookback_scan_determinismE0ES3_S9_NS6_6detail15normal_iteratorINS6_10device_ptrIyEEEESG_SG_SG_PmS8_NS6_8equal_toIyEEEE10hipError_tPvRmT2_T3_mT4_T5_T6_T7_T8_P12ihipStream_tbENKUlT_T0_E_clISt17integral_constantIbLb1EES10_IbLb0EEEEDaSW_SX_EUlSW_E_NS1_11comp_targetILNS1_3genE3ELNS1_11target_archE908ELNS1_3gpuE7ELNS1_3repE0EEENS1_30default_config_static_selectorELNS0_4arch9wavefront6targetE1EEEvT1_,comdat
.Lfunc_end261:
	.size	_ZN7rocprim17ROCPRIM_400000_NS6detail17trampoline_kernelINS0_14default_configENS1_29reduce_by_key_config_selectorIyyN6thrust23THRUST_200600_302600_NS4plusIyEEEEZZNS1_33reduce_by_key_impl_wrapped_configILNS1_25lookback_scan_determinismE0ES3_S9_NS6_6detail15normal_iteratorINS6_10device_ptrIyEEEESG_SG_SG_PmS8_NS6_8equal_toIyEEEE10hipError_tPvRmT2_T3_mT4_T5_T6_T7_T8_P12ihipStream_tbENKUlT_T0_E_clISt17integral_constantIbLb1EES10_IbLb0EEEEDaSW_SX_EUlSW_E_NS1_11comp_targetILNS1_3genE3ELNS1_11target_archE908ELNS1_3gpuE7ELNS1_3repE0EEENS1_30default_config_static_selectorELNS0_4arch9wavefront6targetE1EEEvT1_, .Lfunc_end261-_ZN7rocprim17ROCPRIM_400000_NS6detail17trampoline_kernelINS0_14default_configENS1_29reduce_by_key_config_selectorIyyN6thrust23THRUST_200600_302600_NS4plusIyEEEEZZNS1_33reduce_by_key_impl_wrapped_configILNS1_25lookback_scan_determinismE0ES3_S9_NS6_6detail15normal_iteratorINS6_10device_ptrIyEEEESG_SG_SG_PmS8_NS6_8equal_toIyEEEE10hipError_tPvRmT2_T3_mT4_T5_T6_T7_T8_P12ihipStream_tbENKUlT_T0_E_clISt17integral_constantIbLb1EES10_IbLb0EEEEDaSW_SX_EUlSW_E_NS1_11comp_targetILNS1_3genE3ELNS1_11target_archE908ELNS1_3gpuE7ELNS1_3repE0EEENS1_30default_config_static_selectorELNS0_4arch9wavefront6targetE1EEEvT1_
                                        ; -- End function
	.section	.AMDGPU.csdata,"",@progbits
; Kernel info:
; codeLenInByte = 0
; NumSgprs: 4
; NumVgprs: 0
; NumAgprs: 0
; TotalNumVgprs: 0
; ScratchSize: 0
; MemoryBound: 0
; FloatMode: 240
; IeeeMode: 1
; LDSByteSize: 0 bytes/workgroup (compile time only)
; SGPRBlocks: 0
; VGPRBlocks: 0
; NumSGPRsForWavesPerEU: 4
; NumVGPRsForWavesPerEU: 1
; AccumOffset: 4
; Occupancy: 8
; WaveLimiterHint : 0
; COMPUTE_PGM_RSRC2:SCRATCH_EN: 0
; COMPUTE_PGM_RSRC2:USER_SGPR: 6
; COMPUTE_PGM_RSRC2:TRAP_HANDLER: 0
; COMPUTE_PGM_RSRC2:TGID_X_EN: 1
; COMPUTE_PGM_RSRC2:TGID_Y_EN: 0
; COMPUTE_PGM_RSRC2:TGID_Z_EN: 0
; COMPUTE_PGM_RSRC2:TIDIG_COMP_CNT: 0
; COMPUTE_PGM_RSRC3_GFX90A:ACCUM_OFFSET: 0
; COMPUTE_PGM_RSRC3_GFX90A:TG_SPLIT: 0
	.section	.text._ZN7rocprim17ROCPRIM_400000_NS6detail17trampoline_kernelINS0_14default_configENS1_29reduce_by_key_config_selectorIyyN6thrust23THRUST_200600_302600_NS4plusIyEEEEZZNS1_33reduce_by_key_impl_wrapped_configILNS1_25lookback_scan_determinismE0ES3_S9_NS6_6detail15normal_iteratorINS6_10device_ptrIyEEEESG_SG_SG_PmS8_NS6_8equal_toIyEEEE10hipError_tPvRmT2_T3_mT4_T5_T6_T7_T8_P12ihipStream_tbENKUlT_T0_E_clISt17integral_constantIbLb1EES10_IbLb0EEEEDaSW_SX_EUlSW_E_NS1_11comp_targetILNS1_3genE2ELNS1_11target_archE906ELNS1_3gpuE6ELNS1_3repE0EEENS1_30default_config_static_selectorELNS0_4arch9wavefront6targetE1EEEvT1_,"axG",@progbits,_ZN7rocprim17ROCPRIM_400000_NS6detail17trampoline_kernelINS0_14default_configENS1_29reduce_by_key_config_selectorIyyN6thrust23THRUST_200600_302600_NS4plusIyEEEEZZNS1_33reduce_by_key_impl_wrapped_configILNS1_25lookback_scan_determinismE0ES3_S9_NS6_6detail15normal_iteratorINS6_10device_ptrIyEEEESG_SG_SG_PmS8_NS6_8equal_toIyEEEE10hipError_tPvRmT2_T3_mT4_T5_T6_T7_T8_P12ihipStream_tbENKUlT_T0_E_clISt17integral_constantIbLb1EES10_IbLb0EEEEDaSW_SX_EUlSW_E_NS1_11comp_targetILNS1_3genE2ELNS1_11target_archE906ELNS1_3gpuE6ELNS1_3repE0EEENS1_30default_config_static_selectorELNS0_4arch9wavefront6targetE1EEEvT1_,comdat
	.protected	_ZN7rocprim17ROCPRIM_400000_NS6detail17trampoline_kernelINS0_14default_configENS1_29reduce_by_key_config_selectorIyyN6thrust23THRUST_200600_302600_NS4plusIyEEEEZZNS1_33reduce_by_key_impl_wrapped_configILNS1_25lookback_scan_determinismE0ES3_S9_NS6_6detail15normal_iteratorINS6_10device_ptrIyEEEESG_SG_SG_PmS8_NS6_8equal_toIyEEEE10hipError_tPvRmT2_T3_mT4_T5_T6_T7_T8_P12ihipStream_tbENKUlT_T0_E_clISt17integral_constantIbLb1EES10_IbLb0EEEEDaSW_SX_EUlSW_E_NS1_11comp_targetILNS1_3genE2ELNS1_11target_archE906ELNS1_3gpuE6ELNS1_3repE0EEENS1_30default_config_static_selectorELNS0_4arch9wavefront6targetE1EEEvT1_ ; -- Begin function _ZN7rocprim17ROCPRIM_400000_NS6detail17trampoline_kernelINS0_14default_configENS1_29reduce_by_key_config_selectorIyyN6thrust23THRUST_200600_302600_NS4plusIyEEEEZZNS1_33reduce_by_key_impl_wrapped_configILNS1_25lookback_scan_determinismE0ES3_S9_NS6_6detail15normal_iteratorINS6_10device_ptrIyEEEESG_SG_SG_PmS8_NS6_8equal_toIyEEEE10hipError_tPvRmT2_T3_mT4_T5_T6_T7_T8_P12ihipStream_tbENKUlT_T0_E_clISt17integral_constantIbLb1EES10_IbLb0EEEEDaSW_SX_EUlSW_E_NS1_11comp_targetILNS1_3genE2ELNS1_11target_archE906ELNS1_3gpuE6ELNS1_3repE0EEENS1_30default_config_static_selectorELNS0_4arch9wavefront6targetE1EEEvT1_
	.globl	_ZN7rocprim17ROCPRIM_400000_NS6detail17trampoline_kernelINS0_14default_configENS1_29reduce_by_key_config_selectorIyyN6thrust23THRUST_200600_302600_NS4plusIyEEEEZZNS1_33reduce_by_key_impl_wrapped_configILNS1_25lookback_scan_determinismE0ES3_S9_NS6_6detail15normal_iteratorINS6_10device_ptrIyEEEESG_SG_SG_PmS8_NS6_8equal_toIyEEEE10hipError_tPvRmT2_T3_mT4_T5_T6_T7_T8_P12ihipStream_tbENKUlT_T0_E_clISt17integral_constantIbLb1EES10_IbLb0EEEEDaSW_SX_EUlSW_E_NS1_11comp_targetILNS1_3genE2ELNS1_11target_archE906ELNS1_3gpuE6ELNS1_3repE0EEENS1_30default_config_static_selectorELNS0_4arch9wavefront6targetE1EEEvT1_
	.p2align	8
	.type	_ZN7rocprim17ROCPRIM_400000_NS6detail17trampoline_kernelINS0_14default_configENS1_29reduce_by_key_config_selectorIyyN6thrust23THRUST_200600_302600_NS4plusIyEEEEZZNS1_33reduce_by_key_impl_wrapped_configILNS1_25lookback_scan_determinismE0ES3_S9_NS6_6detail15normal_iteratorINS6_10device_ptrIyEEEESG_SG_SG_PmS8_NS6_8equal_toIyEEEE10hipError_tPvRmT2_T3_mT4_T5_T6_T7_T8_P12ihipStream_tbENKUlT_T0_E_clISt17integral_constantIbLb1EES10_IbLb0EEEEDaSW_SX_EUlSW_E_NS1_11comp_targetILNS1_3genE2ELNS1_11target_archE906ELNS1_3gpuE6ELNS1_3repE0EEENS1_30default_config_static_selectorELNS0_4arch9wavefront6targetE1EEEvT1_,@function
_ZN7rocprim17ROCPRIM_400000_NS6detail17trampoline_kernelINS0_14default_configENS1_29reduce_by_key_config_selectorIyyN6thrust23THRUST_200600_302600_NS4plusIyEEEEZZNS1_33reduce_by_key_impl_wrapped_configILNS1_25lookback_scan_determinismE0ES3_S9_NS6_6detail15normal_iteratorINS6_10device_ptrIyEEEESG_SG_SG_PmS8_NS6_8equal_toIyEEEE10hipError_tPvRmT2_T3_mT4_T5_T6_T7_T8_P12ihipStream_tbENKUlT_T0_E_clISt17integral_constantIbLb1EES10_IbLb0EEEEDaSW_SX_EUlSW_E_NS1_11comp_targetILNS1_3genE2ELNS1_11target_archE906ELNS1_3gpuE6ELNS1_3repE0EEENS1_30default_config_static_selectorELNS0_4arch9wavefront6targetE1EEEvT1_: ; @_ZN7rocprim17ROCPRIM_400000_NS6detail17trampoline_kernelINS0_14default_configENS1_29reduce_by_key_config_selectorIyyN6thrust23THRUST_200600_302600_NS4plusIyEEEEZZNS1_33reduce_by_key_impl_wrapped_configILNS1_25lookback_scan_determinismE0ES3_S9_NS6_6detail15normal_iteratorINS6_10device_ptrIyEEEESG_SG_SG_PmS8_NS6_8equal_toIyEEEE10hipError_tPvRmT2_T3_mT4_T5_T6_T7_T8_P12ihipStream_tbENKUlT_T0_E_clISt17integral_constantIbLb1EES10_IbLb0EEEEDaSW_SX_EUlSW_E_NS1_11comp_targetILNS1_3genE2ELNS1_11target_archE906ELNS1_3gpuE6ELNS1_3repE0EEENS1_30default_config_static_selectorELNS0_4arch9wavefront6targetE1EEEvT1_
; %bb.0:
	.section	.rodata,"a",@progbits
	.p2align	6, 0x0
	.amdhsa_kernel _ZN7rocprim17ROCPRIM_400000_NS6detail17trampoline_kernelINS0_14default_configENS1_29reduce_by_key_config_selectorIyyN6thrust23THRUST_200600_302600_NS4plusIyEEEEZZNS1_33reduce_by_key_impl_wrapped_configILNS1_25lookback_scan_determinismE0ES3_S9_NS6_6detail15normal_iteratorINS6_10device_ptrIyEEEESG_SG_SG_PmS8_NS6_8equal_toIyEEEE10hipError_tPvRmT2_T3_mT4_T5_T6_T7_T8_P12ihipStream_tbENKUlT_T0_E_clISt17integral_constantIbLb1EES10_IbLb0EEEEDaSW_SX_EUlSW_E_NS1_11comp_targetILNS1_3genE2ELNS1_11target_archE906ELNS1_3gpuE6ELNS1_3repE0EEENS1_30default_config_static_selectorELNS0_4arch9wavefront6targetE1EEEvT1_
		.amdhsa_group_segment_fixed_size 0
		.amdhsa_private_segment_fixed_size 0
		.amdhsa_kernarg_size 136
		.amdhsa_user_sgpr_count 6
		.amdhsa_user_sgpr_private_segment_buffer 1
		.amdhsa_user_sgpr_dispatch_ptr 0
		.amdhsa_user_sgpr_queue_ptr 0
		.amdhsa_user_sgpr_kernarg_segment_ptr 1
		.amdhsa_user_sgpr_dispatch_id 0
		.amdhsa_user_sgpr_flat_scratch_init 0
		.amdhsa_user_sgpr_kernarg_preload_length 0
		.amdhsa_user_sgpr_kernarg_preload_offset 0
		.amdhsa_user_sgpr_private_segment_size 0
		.amdhsa_uses_dynamic_stack 0
		.amdhsa_system_sgpr_private_segment_wavefront_offset 0
		.amdhsa_system_sgpr_workgroup_id_x 1
		.amdhsa_system_sgpr_workgroup_id_y 0
		.amdhsa_system_sgpr_workgroup_id_z 0
		.amdhsa_system_sgpr_workgroup_info 0
		.amdhsa_system_vgpr_workitem_id 0
		.amdhsa_next_free_vgpr 1
		.amdhsa_next_free_sgpr 0
		.amdhsa_accum_offset 4
		.amdhsa_reserve_vcc 0
		.amdhsa_reserve_flat_scratch 0
		.amdhsa_float_round_mode_32 0
		.amdhsa_float_round_mode_16_64 0
		.amdhsa_float_denorm_mode_32 3
		.amdhsa_float_denorm_mode_16_64 3
		.amdhsa_dx10_clamp 1
		.amdhsa_ieee_mode 1
		.amdhsa_fp16_overflow 0
		.amdhsa_tg_split 0
		.amdhsa_exception_fp_ieee_invalid_op 0
		.amdhsa_exception_fp_denorm_src 0
		.amdhsa_exception_fp_ieee_div_zero 0
		.amdhsa_exception_fp_ieee_overflow 0
		.amdhsa_exception_fp_ieee_underflow 0
		.amdhsa_exception_fp_ieee_inexact 0
		.amdhsa_exception_int_div_zero 0
	.end_amdhsa_kernel
	.section	.text._ZN7rocprim17ROCPRIM_400000_NS6detail17trampoline_kernelINS0_14default_configENS1_29reduce_by_key_config_selectorIyyN6thrust23THRUST_200600_302600_NS4plusIyEEEEZZNS1_33reduce_by_key_impl_wrapped_configILNS1_25lookback_scan_determinismE0ES3_S9_NS6_6detail15normal_iteratorINS6_10device_ptrIyEEEESG_SG_SG_PmS8_NS6_8equal_toIyEEEE10hipError_tPvRmT2_T3_mT4_T5_T6_T7_T8_P12ihipStream_tbENKUlT_T0_E_clISt17integral_constantIbLb1EES10_IbLb0EEEEDaSW_SX_EUlSW_E_NS1_11comp_targetILNS1_3genE2ELNS1_11target_archE906ELNS1_3gpuE6ELNS1_3repE0EEENS1_30default_config_static_selectorELNS0_4arch9wavefront6targetE1EEEvT1_,"axG",@progbits,_ZN7rocprim17ROCPRIM_400000_NS6detail17trampoline_kernelINS0_14default_configENS1_29reduce_by_key_config_selectorIyyN6thrust23THRUST_200600_302600_NS4plusIyEEEEZZNS1_33reduce_by_key_impl_wrapped_configILNS1_25lookback_scan_determinismE0ES3_S9_NS6_6detail15normal_iteratorINS6_10device_ptrIyEEEESG_SG_SG_PmS8_NS6_8equal_toIyEEEE10hipError_tPvRmT2_T3_mT4_T5_T6_T7_T8_P12ihipStream_tbENKUlT_T0_E_clISt17integral_constantIbLb1EES10_IbLb0EEEEDaSW_SX_EUlSW_E_NS1_11comp_targetILNS1_3genE2ELNS1_11target_archE906ELNS1_3gpuE6ELNS1_3repE0EEENS1_30default_config_static_selectorELNS0_4arch9wavefront6targetE1EEEvT1_,comdat
.Lfunc_end262:
	.size	_ZN7rocprim17ROCPRIM_400000_NS6detail17trampoline_kernelINS0_14default_configENS1_29reduce_by_key_config_selectorIyyN6thrust23THRUST_200600_302600_NS4plusIyEEEEZZNS1_33reduce_by_key_impl_wrapped_configILNS1_25lookback_scan_determinismE0ES3_S9_NS6_6detail15normal_iteratorINS6_10device_ptrIyEEEESG_SG_SG_PmS8_NS6_8equal_toIyEEEE10hipError_tPvRmT2_T3_mT4_T5_T6_T7_T8_P12ihipStream_tbENKUlT_T0_E_clISt17integral_constantIbLb1EES10_IbLb0EEEEDaSW_SX_EUlSW_E_NS1_11comp_targetILNS1_3genE2ELNS1_11target_archE906ELNS1_3gpuE6ELNS1_3repE0EEENS1_30default_config_static_selectorELNS0_4arch9wavefront6targetE1EEEvT1_, .Lfunc_end262-_ZN7rocprim17ROCPRIM_400000_NS6detail17trampoline_kernelINS0_14default_configENS1_29reduce_by_key_config_selectorIyyN6thrust23THRUST_200600_302600_NS4plusIyEEEEZZNS1_33reduce_by_key_impl_wrapped_configILNS1_25lookback_scan_determinismE0ES3_S9_NS6_6detail15normal_iteratorINS6_10device_ptrIyEEEESG_SG_SG_PmS8_NS6_8equal_toIyEEEE10hipError_tPvRmT2_T3_mT4_T5_T6_T7_T8_P12ihipStream_tbENKUlT_T0_E_clISt17integral_constantIbLb1EES10_IbLb0EEEEDaSW_SX_EUlSW_E_NS1_11comp_targetILNS1_3genE2ELNS1_11target_archE906ELNS1_3gpuE6ELNS1_3repE0EEENS1_30default_config_static_selectorELNS0_4arch9wavefront6targetE1EEEvT1_
                                        ; -- End function
	.section	.AMDGPU.csdata,"",@progbits
; Kernel info:
; codeLenInByte = 0
; NumSgprs: 4
; NumVgprs: 0
; NumAgprs: 0
; TotalNumVgprs: 0
; ScratchSize: 0
; MemoryBound: 0
; FloatMode: 240
; IeeeMode: 1
; LDSByteSize: 0 bytes/workgroup (compile time only)
; SGPRBlocks: 0
; VGPRBlocks: 0
; NumSGPRsForWavesPerEU: 4
; NumVGPRsForWavesPerEU: 1
; AccumOffset: 4
; Occupancy: 8
; WaveLimiterHint : 0
; COMPUTE_PGM_RSRC2:SCRATCH_EN: 0
; COMPUTE_PGM_RSRC2:USER_SGPR: 6
; COMPUTE_PGM_RSRC2:TRAP_HANDLER: 0
; COMPUTE_PGM_RSRC2:TGID_X_EN: 1
; COMPUTE_PGM_RSRC2:TGID_Y_EN: 0
; COMPUTE_PGM_RSRC2:TGID_Z_EN: 0
; COMPUTE_PGM_RSRC2:TIDIG_COMP_CNT: 0
; COMPUTE_PGM_RSRC3_GFX90A:ACCUM_OFFSET: 0
; COMPUTE_PGM_RSRC3_GFX90A:TG_SPLIT: 0
	.section	.text._ZN7rocprim17ROCPRIM_400000_NS6detail17trampoline_kernelINS0_14default_configENS1_29reduce_by_key_config_selectorIyyN6thrust23THRUST_200600_302600_NS4plusIyEEEEZZNS1_33reduce_by_key_impl_wrapped_configILNS1_25lookback_scan_determinismE0ES3_S9_NS6_6detail15normal_iteratorINS6_10device_ptrIyEEEESG_SG_SG_PmS8_NS6_8equal_toIyEEEE10hipError_tPvRmT2_T3_mT4_T5_T6_T7_T8_P12ihipStream_tbENKUlT_T0_E_clISt17integral_constantIbLb1EES10_IbLb0EEEEDaSW_SX_EUlSW_E_NS1_11comp_targetILNS1_3genE10ELNS1_11target_archE1201ELNS1_3gpuE5ELNS1_3repE0EEENS1_30default_config_static_selectorELNS0_4arch9wavefront6targetE1EEEvT1_,"axG",@progbits,_ZN7rocprim17ROCPRIM_400000_NS6detail17trampoline_kernelINS0_14default_configENS1_29reduce_by_key_config_selectorIyyN6thrust23THRUST_200600_302600_NS4plusIyEEEEZZNS1_33reduce_by_key_impl_wrapped_configILNS1_25lookback_scan_determinismE0ES3_S9_NS6_6detail15normal_iteratorINS6_10device_ptrIyEEEESG_SG_SG_PmS8_NS6_8equal_toIyEEEE10hipError_tPvRmT2_T3_mT4_T5_T6_T7_T8_P12ihipStream_tbENKUlT_T0_E_clISt17integral_constantIbLb1EES10_IbLb0EEEEDaSW_SX_EUlSW_E_NS1_11comp_targetILNS1_3genE10ELNS1_11target_archE1201ELNS1_3gpuE5ELNS1_3repE0EEENS1_30default_config_static_selectorELNS0_4arch9wavefront6targetE1EEEvT1_,comdat
	.protected	_ZN7rocprim17ROCPRIM_400000_NS6detail17trampoline_kernelINS0_14default_configENS1_29reduce_by_key_config_selectorIyyN6thrust23THRUST_200600_302600_NS4plusIyEEEEZZNS1_33reduce_by_key_impl_wrapped_configILNS1_25lookback_scan_determinismE0ES3_S9_NS6_6detail15normal_iteratorINS6_10device_ptrIyEEEESG_SG_SG_PmS8_NS6_8equal_toIyEEEE10hipError_tPvRmT2_T3_mT4_T5_T6_T7_T8_P12ihipStream_tbENKUlT_T0_E_clISt17integral_constantIbLb1EES10_IbLb0EEEEDaSW_SX_EUlSW_E_NS1_11comp_targetILNS1_3genE10ELNS1_11target_archE1201ELNS1_3gpuE5ELNS1_3repE0EEENS1_30default_config_static_selectorELNS0_4arch9wavefront6targetE1EEEvT1_ ; -- Begin function _ZN7rocprim17ROCPRIM_400000_NS6detail17trampoline_kernelINS0_14default_configENS1_29reduce_by_key_config_selectorIyyN6thrust23THRUST_200600_302600_NS4plusIyEEEEZZNS1_33reduce_by_key_impl_wrapped_configILNS1_25lookback_scan_determinismE0ES3_S9_NS6_6detail15normal_iteratorINS6_10device_ptrIyEEEESG_SG_SG_PmS8_NS6_8equal_toIyEEEE10hipError_tPvRmT2_T3_mT4_T5_T6_T7_T8_P12ihipStream_tbENKUlT_T0_E_clISt17integral_constantIbLb1EES10_IbLb0EEEEDaSW_SX_EUlSW_E_NS1_11comp_targetILNS1_3genE10ELNS1_11target_archE1201ELNS1_3gpuE5ELNS1_3repE0EEENS1_30default_config_static_selectorELNS0_4arch9wavefront6targetE1EEEvT1_
	.globl	_ZN7rocprim17ROCPRIM_400000_NS6detail17trampoline_kernelINS0_14default_configENS1_29reduce_by_key_config_selectorIyyN6thrust23THRUST_200600_302600_NS4plusIyEEEEZZNS1_33reduce_by_key_impl_wrapped_configILNS1_25lookback_scan_determinismE0ES3_S9_NS6_6detail15normal_iteratorINS6_10device_ptrIyEEEESG_SG_SG_PmS8_NS6_8equal_toIyEEEE10hipError_tPvRmT2_T3_mT4_T5_T6_T7_T8_P12ihipStream_tbENKUlT_T0_E_clISt17integral_constantIbLb1EES10_IbLb0EEEEDaSW_SX_EUlSW_E_NS1_11comp_targetILNS1_3genE10ELNS1_11target_archE1201ELNS1_3gpuE5ELNS1_3repE0EEENS1_30default_config_static_selectorELNS0_4arch9wavefront6targetE1EEEvT1_
	.p2align	8
	.type	_ZN7rocprim17ROCPRIM_400000_NS6detail17trampoline_kernelINS0_14default_configENS1_29reduce_by_key_config_selectorIyyN6thrust23THRUST_200600_302600_NS4plusIyEEEEZZNS1_33reduce_by_key_impl_wrapped_configILNS1_25lookback_scan_determinismE0ES3_S9_NS6_6detail15normal_iteratorINS6_10device_ptrIyEEEESG_SG_SG_PmS8_NS6_8equal_toIyEEEE10hipError_tPvRmT2_T3_mT4_T5_T6_T7_T8_P12ihipStream_tbENKUlT_T0_E_clISt17integral_constantIbLb1EES10_IbLb0EEEEDaSW_SX_EUlSW_E_NS1_11comp_targetILNS1_3genE10ELNS1_11target_archE1201ELNS1_3gpuE5ELNS1_3repE0EEENS1_30default_config_static_selectorELNS0_4arch9wavefront6targetE1EEEvT1_,@function
_ZN7rocprim17ROCPRIM_400000_NS6detail17trampoline_kernelINS0_14default_configENS1_29reduce_by_key_config_selectorIyyN6thrust23THRUST_200600_302600_NS4plusIyEEEEZZNS1_33reduce_by_key_impl_wrapped_configILNS1_25lookback_scan_determinismE0ES3_S9_NS6_6detail15normal_iteratorINS6_10device_ptrIyEEEESG_SG_SG_PmS8_NS6_8equal_toIyEEEE10hipError_tPvRmT2_T3_mT4_T5_T6_T7_T8_P12ihipStream_tbENKUlT_T0_E_clISt17integral_constantIbLb1EES10_IbLb0EEEEDaSW_SX_EUlSW_E_NS1_11comp_targetILNS1_3genE10ELNS1_11target_archE1201ELNS1_3gpuE5ELNS1_3repE0EEENS1_30default_config_static_selectorELNS0_4arch9wavefront6targetE1EEEvT1_: ; @_ZN7rocprim17ROCPRIM_400000_NS6detail17trampoline_kernelINS0_14default_configENS1_29reduce_by_key_config_selectorIyyN6thrust23THRUST_200600_302600_NS4plusIyEEEEZZNS1_33reduce_by_key_impl_wrapped_configILNS1_25lookback_scan_determinismE0ES3_S9_NS6_6detail15normal_iteratorINS6_10device_ptrIyEEEESG_SG_SG_PmS8_NS6_8equal_toIyEEEE10hipError_tPvRmT2_T3_mT4_T5_T6_T7_T8_P12ihipStream_tbENKUlT_T0_E_clISt17integral_constantIbLb1EES10_IbLb0EEEEDaSW_SX_EUlSW_E_NS1_11comp_targetILNS1_3genE10ELNS1_11target_archE1201ELNS1_3gpuE5ELNS1_3repE0EEENS1_30default_config_static_selectorELNS0_4arch9wavefront6targetE1EEEvT1_
; %bb.0:
	.section	.rodata,"a",@progbits
	.p2align	6, 0x0
	.amdhsa_kernel _ZN7rocprim17ROCPRIM_400000_NS6detail17trampoline_kernelINS0_14default_configENS1_29reduce_by_key_config_selectorIyyN6thrust23THRUST_200600_302600_NS4plusIyEEEEZZNS1_33reduce_by_key_impl_wrapped_configILNS1_25lookback_scan_determinismE0ES3_S9_NS6_6detail15normal_iteratorINS6_10device_ptrIyEEEESG_SG_SG_PmS8_NS6_8equal_toIyEEEE10hipError_tPvRmT2_T3_mT4_T5_T6_T7_T8_P12ihipStream_tbENKUlT_T0_E_clISt17integral_constantIbLb1EES10_IbLb0EEEEDaSW_SX_EUlSW_E_NS1_11comp_targetILNS1_3genE10ELNS1_11target_archE1201ELNS1_3gpuE5ELNS1_3repE0EEENS1_30default_config_static_selectorELNS0_4arch9wavefront6targetE1EEEvT1_
		.amdhsa_group_segment_fixed_size 0
		.amdhsa_private_segment_fixed_size 0
		.amdhsa_kernarg_size 136
		.amdhsa_user_sgpr_count 6
		.amdhsa_user_sgpr_private_segment_buffer 1
		.amdhsa_user_sgpr_dispatch_ptr 0
		.amdhsa_user_sgpr_queue_ptr 0
		.amdhsa_user_sgpr_kernarg_segment_ptr 1
		.amdhsa_user_sgpr_dispatch_id 0
		.amdhsa_user_sgpr_flat_scratch_init 0
		.amdhsa_user_sgpr_kernarg_preload_length 0
		.amdhsa_user_sgpr_kernarg_preload_offset 0
		.amdhsa_user_sgpr_private_segment_size 0
		.amdhsa_uses_dynamic_stack 0
		.amdhsa_system_sgpr_private_segment_wavefront_offset 0
		.amdhsa_system_sgpr_workgroup_id_x 1
		.amdhsa_system_sgpr_workgroup_id_y 0
		.amdhsa_system_sgpr_workgroup_id_z 0
		.amdhsa_system_sgpr_workgroup_info 0
		.amdhsa_system_vgpr_workitem_id 0
		.amdhsa_next_free_vgpr 1
		.amdhsa_next_free_sgpr 0
		.amdhsa_accum_offset 4
		.amdhsa_reserve_vcc 0
		.amdhsa_reserve_flat_scratch 0
		.amdhsa_float_round_mode_32 0
		.amdhsa_float_round_mode_16_64 0
		.amdhsa_float_denorm_mode_32 3
		.amdhsa_float_denorm_mode_16_64 3
		.amdhsa_dx10_clamp 1
		.amdhsa_ieee_mode 1
		.amdhsa_fp16_overflow 0
		.amdhsa_tg_split 0
		.amdhsa_exception_fp_ieee_invalid_op 0
		.amdhsa_exception_fp_denorm_src 0
		.amdhsa_exception_fp_ieee_div_zero 0
		.amdhsa_exception_fp_ieee_overflow 0
		.amdhsa_exception_fp_ieee_underflow 0
		.amdhsa_exception_fp_ieee_inexact 0
		.amdhsa_exception_int_div_zero 0
	.end_amdhsa_kernel
	.section	.text._ZN7rocprim17ROCPRIM_400000_NS6detail17trampoline_kernelINS0_14default_configENS1_29reduce_by_key_config_selectorIyyN6thrust23THRUST_200600_302600_NS4plusIyEEEEZZNS1_33reduce_by_key_impl_wrapped_configILNS1_25lookback_scan_determinismE0ES3_S9_NS6_6detail15normal_iteratorINS6_10device_ptrIyEEEESG_SG_SG_PmS8_NS6_8equal_toIyEEEE10hipError_tPvRmT2_T3_mT4_T5_T6_T7_T8_P12ihipStream_tbENKUlT_T0_E_clISt17integral_constantIbLb1EES10_IbLb0EEEEDaSW_SX_EUlSW_E_NS1_11comp_targetILNS1_3genE10ELNS1_11target_archE1201ELNS1_3gpuE5ELNS1_3repE0EEENS1_30default_config_static_selectorELNS0_4arch9wavefront6targetE1EEEvT1_,"axG",@progbits,_ZN7rocprim17ROCPRIM_400000_NS6detail17trampoline_kernelINS0_14default_configENS1_29reduce_by_key_config_selectorIyyN6thrust23THRUST_200600_302600_NS4plusIyEEEEZZNS1_33reduce_by_key_impl_wrapped_configILNS1_25lookback_scan_determinismE0ES3_S9_NS6_6detail15normal_iteratorINS6_10device_ptrIyEEEESG_SG_SG_PmS8_NS6_8equal_toIyEEEE10hipError_tPvRmT2_T3_mT4_T5_T6_T7_T8_P12ihipStream_tbENKUlT_T0_E_clISt17integral_constantIbLb1EES10_IbLb0EEEEDaSW_SX_EUlSW_E_NS1_11comp_targetILNS1_3genE10ELNS1_11target_archE1201ELNS1_3gpuE5ELNS1_3repE0EEENS1_30default_config_static_selectorELNS0_4arch9wavefront6targetE1EEEvT1_,comdat
.Lfunc_end263:
	.size	_ZN7rocprim17ROCPRIM_400000_NS6detail17trampoline_kernelINS0_14default_configENS1_29reduce_by_key_config_selectorIyyN6thrust23THRUST_200600_302600_NS4plusIyEEEEZZNS1_33reduce_by_key_impl_wrapped_configILNS1_25lookback_scan_determinismE0ES3_S9_NS6_6detail15normal_iteratorINS6_10device_ptrIyEEEESG_SG_SG_PmS8_NS6_8equal_toIyEEEE10hipError_tPvRmT2_T3_mT4_T5_T6_T7_T8_P12ihipStream_tbENKUlT_T0_E_clISt17integral_constantIbLb1EES10_IbLb0EEEEDaSW_SX_EUlSW_E_NS1_11comp_targetILNS1_3genE10ELNS1_11target_archE1201ELNS1_3gpuE5ELNS1_3repE0EEENS1_30default_config_static_selectorELNS0_4arch9wavefront6targetE1EEEvT1_, .Lfunc_end263-_ZN7rocprim17ROCPRIM_400000_NS6detail17trampoline_kernelINS0_14default_configENS1_29reduce_by_key_config_selectorIyyN6thrust23THRUST_200600_302600_NS4plusIyEEEEZZNS1_33reduce_by_key_impl_wrapped_configILNS1_25lookback_scan_determinismE0ES3_S9_NS6_6detail15normal_iteratorINS6_10device_ptrIyEEEESG_SG_SG_PmS8_NS6_8equal_toIyEEEE10hipError_tPvRmT2_T3_mT4_T5_T6_T7_T8_P12ihipStream_tbENKUlT_T0_E_clISt17integral_constantIbLb1EES10_IbLb0EEEEDaSW_SX_EUlSW_E_NS1_11comp_targetILNS1_3genE10ELNS1_11target_archE1201ELNS1_3gpuE5ELNS1_3repE0EEENS1_30default_config_static_selectorELNS0_4arch9wavefront6targetE1EEEvT1_
                                        ; -- End function
	.section	.AMDGPU.csdata,"",@progbits
; Kernel info:
; codeLenInByte = 0
; NumSgprs: 4
; NumVgprs: 0
; NumAgprs: 0
; TotalNumVgprs: 0
; ScratchSize: 0
; MemoryBound: 0
; FloatMode: 240
; IeeeMode: 1
; LDSByteSize: 0 bytes/workgroup (compile time only)
; SGPRBlocks: 0
; VGPRBlocks: 0
; NumSGPRsForWavesPerEU: 4
; NumVGPRsForWavesPerEU: 1
; AccumOffset: 4
; Occupancy: 8
; WaveLimiterHint : 0
; COMPUTE_PGM_RSRC2:SCRATCH_EN: 0
; COMPUTE_PGM_RSRC2:USER_SGPR: 6
; COMPUTE_PGM_RSRC2:TRAP_HANDLER: 0
; COMPUTE_PGM_RSRC2:TGID_X_EN: 1
; COMPUTE_PGM_RSRC2:TGID_Y_EN: 0
; COMPUTE_PGM_RSRC2:TGID_Z_EN: 0
; COMPUTE_PGM_RSRC2:TIDIG_COMP_CNT: 0
; COMPUTE_PGM_RSRC3_GFX90A:ACCUM_OFFSET: 0
; COMPUTE_PGM_RSRC3_GFX90A:TG_SPLIT: 0
	.section	.text._ZN7rocprim17ROCPRIM_400000_NS6detail17trampoline_kernelINS0_14default_configENS1_29reduce_by_key_config_selectorIyyN6thrust23THRUST_200600_302600_NS4plusIyEEEEZZNS1_33reduce_by_key_impl_wrapped_configILNS1_25lookback_scan_determinismE0ES3_S9_NS6_6detail15normal_iteratorINS6_10device_ptrIyEEEESG_SG_SG_PmS8_NS6_8equal_toIyEEEE10hipError_tPvRmT2_T3_mT4_T5_T6_T7_T8_P12ihipStream_tbENKUlT_T0_E_clISt17integral_constantIbLb1EES10_IbLb0EEEEDaSW_SX_EUlSW_E_NS1_11comp_targetILNS1_3genE10ELNS1_11target_archE1200ELNS1_3gpuE4ELNS1_3repE0EEENS1_30default_config_static_selectorELNS0_4arch9wavefront6targetE1EEEvT1_,"axG",@progbits,_ZN7rocprim17ROCPRIM_400000_NS6detail17trampoline_kernelINS0_14default_configENS1_29reduce_by_key_config_selectorIyyN6thrust23THRUST_200600_302600_NS4plusIyEEEEZZNS1_33reduce_by_key_impl_wrapped_configILNS1_25lookback_scan_determinismE0ES3_S9_NS6_6detail15normal_iteratorINS6_10device_ptrIyEEEESG_SG_SG_PmS8_NS6_8equal_toIyEEEE10hipError_tPvRmT2_T3_mT4_T5_T6_T7_T8_P12ihipStream_tbENKUlT_T0_E_clISt17integral_constantIbLb1EES10_IbLb0EEEEDaSW_SX_EUlSW_E_NS1_11comp_targetILNS1_3genE10ELNS1_11target_archE1200ELNS1_3gpuE4ELNS1_3repE0EEENS1_30default_config_static_selectorELNS0_4arch9wavefront6targetE1EEEvT1_,comdat
	.protected	_ZN7rocprim17ROCPRIM_400000_NS6detail17trampoline_kernelINS0_14default_configENS1_29reduce_by_key_config_selectorIyyN6thrust23THRUST_200600_302600_NS4plusIyEEEEZZNS1_33reduce_by_key_impl_wrapped_configILNS1_25lookback_scan_determinismE0ES3_S9_NS6_6detail15normal_iteratorINS6_10device_ptrIyEEEESG_SG_SG_PmS8_NS6_8equal_toIyEEEE10hipError_tPvRmT2_T3_mT4_T5_T6_T7_T8_P12ihipStream_tbENKUlT_T0_E_clISt17integral_constantIbLb1EES10_IbLb0EEEEDaSW_SX_EUlSW_E_NS1_11comp_targetILNS1_3genE10ELNS1_11target_archE1200ELNS1_3gpuE4ELNS1_3repE0EEENS1_30default_config_static_selectorELNS0_4arch9wavefront6targetE1EEEvT1_ ; -- Begin function _ZN7rocprim17ROCPRIM_400000_NS6detail17trampoline_kernelINS0_14default_configENS1_29reduce_by_key_config_selectorIyyN6thrust23THRUST_200600_302600_NS4plusIyEEEEZZNS1_33reduce_by_key_impl_wrapped_configILNS1_25lookback_scan_determinismE0ES3_S9_NS6_6detail15normal_iteratorINS6_10device_ptrIyEEEESG_SG_SG_PmS8_NS6_8equal_toIyEEEE10hipError_tPvRmT2_T3_mT4_T5_T6_T7_T8_P12ihipStream_tbENKUlT_T0_E_clISt17integral_constantIbLb1EES10_IbLb0EEEEDaSW_SX_EUlSW_E_NS1_11comp_targetILNS1_3genE10ELNS1_11target_archE1200ELNS1_3gpuE4ELNS1_3repE0EEENS1_30default_config_static_selectorELNS0_4arch9wavefront6targetE1EEEvT1_
	.globl	_ZN7rocprim17ROCPRIM_400000_NS6detail17trampoline_kernelINS0_14default_configENS1_29reduce_by_key_config_selectorIyyN6thrust23THRUST_200600_302600_NS4plusIyEEEEZZNS1_33reduce_by_key_impl_wrapped_configILNS1_25lookback_scan_determinismE0ES3_S9_NS6_6detail15normal_iteratorINS6_10device_ptrIyEEEESG_SG_SG_PmS8_NS6_8equal_toIyEEEE10hipError_tPvRmT2_T3_mT4_T5_T6_T7_T8_P12ihipStream_tbENKUlT_T0_E_clISt17integral_constantIbLb1EES10_IbLb0EEEEDaSW_SX_EUlSW_E_NS1_11comp_targetILNS1_3genE10ELNS1_11target_archE1200ELNS1_3gpuE4ELNS1_3repE0EEENS1_30default_config_static_selectorELNS0_4arch9wavefront6targetE1EEEvT1_
	.p2align	8
	.type	_ZN7rocprim17ROCPRIM_400000_NS6detail17trampoline_kernelINS0_14default_configENS1_29reduce_by_key_config_selectorIyyN6thrust23THRUST_200600_302600_NS4plusIyEEEEZZNS1_33reduce_by_key_impl_wrapped_configILNS1_25lookback_scan_determinismE0ES3_S9_NS6_6detail15normal_iteratorINS6_10device_ptrIyEEEESG_SG_SG_PmS8_NS6_8equal_toIyEEEE10hipError_tPvRmT2_T3_mT4_T5_T6_T7_T8_P12ihipStream_tbENKUlT_T0_E_clISt17integral_constantIbLb1EES10_IbLb0EEEEDaSW_SX_EUlSW_E_NS1_11comp_targetILNS1_3genE10ELNS1_11target_archE1200ELNS1_3gpuE4ELNS1_3repE0EEENS1_30default_config_static_selectorELNS0_4arch9wavefront6targetE1EEEvT1_,@function
_ZN7rocprim17ROCPRIM_400000_NS6detail17trampoline_kernelINS0_14default_configENS1_29reduce_by_key_config_selectorIyyN6thrust23THRUST_200600_302600_NS4plusIyEEEEZZNS1_33reduce_by_key_impl_wrapped_configILNS1_25lookback_scan_determinismE0ES3_S9_NS6_6detail15normal_iteratorINS6_10device_ptrIyEEEESG_SG_SG_PmS8_NS6_8equal_toIyEEEE10hipError_tPvRmT2_T3_mT4_T5_T6_T7_T8_P12ihipStream_tbENKUlT_T0_E_clISt17integral_constantIbLb1EES10_IbLb0EEEEDaSW_SX_EUlSW_E_NS1_11comp_targetILNS1_3genE10ELNS1_11target_archE1200ELNS1_3gpuE4ELNS1_3repE0EEENS1_30default_config_static_selectorELNS0_4arch9wavefront6targetE1EEEvT1_: ; @_ZN7rocprim17ROCPRIM_400000_NS6detail17trampoline_kernelINS0_14default_configENS1_29reduce_by_key_config_selectorIyyN6thrust23THRUST_200600_302600_NS4plusIyEEEEZZNS1_33reduce_by_key_impl_wrapped_configILNS1_25lookback_scan_determinismE0ES3_S9_NS6_6detail15normal_iteratorINS6_10device_ptrIyEEEESG_SG_SG_PmS8_NS6_8equal_toIyEEEE10hipError_tPvRmT2_T3_mT4_T5_T6_T7_T8_P12ihipStream_tbENKUlT_T0_E_clISt17integral_constantIbLb1EES10_IbLb0EEEEDaSW_SX_EUlSW_E_NS1_11comp_targetILNS1_3genE10ELNS1_11target_archE1200ELNS1_3gpuE4ELNS1_3repE0EEENS1_30default_config_static_selectorELNS0_4arch9wavefront6targetE1EEEvT1_
; %bb.0:
	.section	.rodata,"a",@progbits
	.p2align	6, 0x0
	.amdhsa_kernel _ZN7rocprim17ROCPRIM_400000_NS6detail17trampoline_kernelINS0_14default_configENS1_29reduce_by_key_config_selectorIyyN6thrust23THRUST_200600_302600_NS4plusIyEEEEZZNS1_33reduce_by_key_impl_wrapped_configILNS1_25lookback_scan_determinismE0ES3_S9_NS6_6detail15normal_iteratorINS6_10device_ptrIyEEEESG_SG_SG_PmS8_NS6_8equal_toIyEEEE10hipError_tPvRmT2_T3_mT4_T5_T6_T7_T8_P12ihipStream_tbENKUlT_T0_E_clISt17integral_constantIbLb1EES10_IbLb0EEEEDaSW_SX_EUlSW_E_NS1_11comp_targetILNS1_3genE10ELNS1_11target_archE1200ELNS1_3gpuE4ELNS1_3repE0EEENS1_30default_config_static_selectorELNS0_4arch9wavefront6targetE1EEEvT1_
		.amdhsa_group_segment_fixed_size 0
		.amdhsa_private_segment_fixed_size 0
		.amdhsa_kernarg_size 136
		.amdhsa_user_sgpr_count 6
		.amdhsa_user_sgpr_private_segment_buffer 1
		.amdhsa_user_sgpr_dispatch_ptr 0
		.amdhsa_user_sgpr_queue_ptr 0
		.amdhsa_user_sgpr_kernarg_segment_ptr 1
		.amdhsa_user_sgpr_dispatch_id 0
		.amdhsa_user_sgpr_flat_scratch_init 0
		.amdhsa_user_sgpr_kernarg_preload_length 0
		.amdhsa_user_sgpr_kernarg_preload_offset 0
		.amdhsa_user_sgpr_private_segment_size 0
		.amdhsa_uses_dynamic_stack 0
		.amdhsa_system_sgpr_private_segment_wavefront_offset 0
		.amdhsa_system_sgpr_workgroup_id_x 1
		.amdhsa_system_sgpr_workgroup_id_y 0
		.amdhsa_system_sgpr_workgroup_id_z 0
		.amdhsa_system_sgpr_workgroup_info 0
		.amdhsa_system_vgpr_workitem_id 0
		.amdhsa_next_free_vgpr 1
		.amdhsa_next_free_sgpr 0
		.amdhsa_accum_offset 4
		.amdhsa_reserve_vcc 0
		.amdhsa_reserve_flat_scratch 0
		.amdhsa_float_round_mode_32 0
		.amdhsa_float_round_mode_16_64 0
		.amdhsa_float_denorm_mode_32 3
		.amdhsa_float_denorm_mode_16_64 3
		.amdhsa_dx10_clamp 1
		.amdhsa_ieee_mode 1
		.amdhsa_fp16_overflow 0
		.amdhsa_tg_split 0
		.amdhsa_exception_fp_ieee_invalid_op 0
		.amdhsa_exception_fp_denorm_src 0
		.amdhsa_exception_fp_ieee_div_zero 0
		.amdhsa_exception_fp_ieee_overflow 0
		.amdhsa_exception_fp_ieee_underflow 0
		.amdhsa_exception_fp_ieee_inexact 0
		.amdhsa_exception_int_div_zero 0
	.end_amdhsa_kernel
	.section	.text._ZN7rocprim17ROCPRIM_400000_NS6detail17trampoline_kernelINS0_14default_configENS1_29reduce_by_key_config_selectorIyyN6thrust23THRUST_200600_302600_NS4plusIyEEEEZZNS1_33reduce_by_key_impl_wrapped_configILNS1_25lookback_scan_determinismE0ES3_S9_NS6_6detail15normal_iteratorINS6_10device_ptrIyEEEESG_SG_SG_PmS8_NS6_8equal_toIyEEEE10hipError_tPvRmT2_T3_mT4_T5_T6_T7_T8_P12ihipStream_tbENKUlT_T0_E_clISt17integral_constantIbLb1EES10_IbLb0EEEEDaSW_SX_EUlSW_E_NS1_11comp_targetILNS1_3genE10ELNS1_11target_archE1200ELNS1_3gpuE4ELNS1_3repE0EEENS1_30default_config_static_selectorELNS0_4arch9wavefront6targetE1EEEvT1_,"axG",@progbits,_ZN7rocprim17ROCPRIM_400000_NS6detail17trampoline_kernelINS0_14default_configENS1_29reduce_by_key_config_selectorIyyN6thrust23THRUST_200600_302600_NS4plusIyEEEEZZNS1_33reduce_by_key_impl_wrapped_configILNS1_25lookback_scan_determinismE0ES3_S9_NS6_6detail15normal_iteratorINS6_10device_ptrIyEEEESG_SG_SG_PmS8_NS6_8equal_toIyEEEE10hipError_tPvRmT2_T3_mT4_T5_T6_T7_T8_P12ihipStream_tbENKUlT_T0_E_clISt17integral_constantIbLb1EES10_IbLb0EEEEDaSW_SX_EUlSW_E_NS1_11comp_targetILNS1_3genE10ELNS1_11target_archE1200ELNS1_3gpuE4ELNS1_3repE0EEENS1_30default_config_static_selectorELNS0_4arch9wavefront6targetE1EEEvT1_,comdat
.Lfunc_end264:
	.size	_ZN7rocprim17ROCPRIM_400000_NS6detail17trampoline_kernelINS0_14default_configENS1_29reduce_by_key_config_selectorIyyN6thrust23THRUST_200600_302600_NS4plusIyEEEEZZNS1_33reduce_by_key_impl_wrapped_configILNS1_25lookback_scan_determinismE0ES3_S9_NS6_6detail15normal_iteratorINS6_10device_ptrIyEEEESG_SG_SG_PmS8_NS6_8equal_toIyEEEE10hipError_tPvRmT2_T3_mT4_T5_T6_T7_T8_P12ihipStream_tbENKUlT_T0_E_clISt17integral_constantIbLb1EES10_IbLb0EEEEDaSW_SX_EUlSW_E_NS1_11comp_targetILNS1_3genE10ELNS1_11target_archE1200ELNS1_3gpuE4ELNS1_3repE0EEENS1_30default_config_static_selectorELNS0_4arch9wavefront6targetE1EEEvT1_, .Lfunc_end264-_ZN7rocprim17ROCPRIM_400000_NS6detail17trampoline_kernelINS0_14default_configENS1_29reduce_by_key_config_selectorIyyN6thrust23THRUST_200600_302600_NS4plusIyEEEEZZNS1_33reduce_by_key_impl_wrapped_configILNS1_25lookback_scan_determinismE0ES3_S9_NS6_6detail15normal_iteratorINS6_10device_ptrIyEEEESG_SG_SG_PmS8_NS6_8equal_toIyEEEE10hipError_tPvRmT2_T3_mT4_T5_T6_T7_T8_P12ihipStream_tbENKUlT_T0_E_clISt17integral_constantIbLb1EES10_IbLb0EEEEDaSW_SX_EUlSW_E_NS1_11comp_targetILNS1_3genE10ELNS1_11target_archE1200ELNS1_3gpuE4ELNS1_3repE0EEENS1_30default_config_static_selectorELNS0_4arch9wavefront6targetE1EEEvT1_
                                        ; -- End function
	.section	.AMDGPU.csdata,"",@progbits
; Kernel info:
; codeLenInByte = 0
; NumSgprs: 4
; NumVgprs: 0
; NumAgprs: 0
; TotalNumVgprs: 0
; ScratchSize: 0
; MemoryBound: 0
; FloatMode: 240
; IeeeMode: 1
; LDSByteSize: 0 bytes/workgroup (compile time only)
; SGPRBlocks: 0
; VGPRBlocks: 0
; NumSGPRsForWavesPerEU: 4
; NumVGPRsForWavesPerEU: 1
; AccumOffset: 4
; Occupancy: 8
; WaveLimiterHint : 0
; COMPUTE_PGM_RSRC2:SCRATCH_EN: 0
; COMPUTE_PGM_RSRC2:USER_SGPR: 6
; COMPUTE_PGM_RSRC2:TRAP_HANDLER: 0
; COMPUTE_PGM_RSRC2:TGID_X_EN: 1
; COMPUTE_PGM_RSRC2:TGID_Y_EN: 0
; COMPUTE_PGM_RSRC2:TGID_Z_EN: 0
; COMPUTE_PGM_RSRC2:TIDIG_COMP_CNT: 0
; COMPUTE_PGM_RSRC3_GFX90A:ACCUM_OFFSET: 0
; COMPUTE_PGM_RSRC3_GFX90A:TG_SPLIT: 0
	.section	.text._ZN7rocprim17ROCPRIM_400000_NS6detail17trampoline_kernelINS0_14default_configENS1_29reduce_by_key_config_selectorIyyN6thrust23THRUST_200600_302600_NS4plusIyEEEEZZNS1_33reduce_by_key_impl_wrapped_configILNS1_25lookback_scan_determinismE0ES3_S9_NS6_6detail15normal_iteratorINS6_10device_ptrIyEEEESG_SG_SG_PmS8_NS6_8equal_toIyEEEE10hipError_tPvRmT2_T3_mT4_T5_T6_T7_T8_P12ihipStream_tbENKUlT_T0_E_clISt17integral_constantIbLb1EES10_IbLb0EEEEDaSW_SX_EUlSW_E_NS1_11comp_targetILNS1_3genE9ELNS1_11target_archE1100ELNS1_3gpuE3ELNS1_3repE0EEENS1_30default_config_static_selectorELNS0_4arch9wavefront6targetE1EEEvT1_,"axG",@progbits,_ZN7rocprim17ROCPRIM_400000_NS6detail17trampoline_kernelINS0_14default_configENS1_29reduce_by_key_config_selectorIyyN6thrust23THRUST_200600_302600_NS4plusIyEEEEZZNS1_33reduce_by_key_impl_wrapped_configILNS1_25lookback_scan_determinismE0ES3_S9_NS6_6detail15normal_iteratorINS6_10device_ptrIyEEEESG_SG_SG_PmS8_NS6_8equal_toIyEEEE10hipError_tPvRmT2_T3_mT4_T5_T6_T7_T8_P12ihipStream_tbENKUlT_T0_E_clISt17integral_constantIbLb1EES10_IbLb0EEEEDaSW_SX_EUlSW_E_NS1_11comp_targetILNS1_3genE9ELNS1_11target_archE1100ELNS1_3gpuE3ELNS1_3repE0EEENS1_30default_config_static_selectorELNS0_4arch9wavefront6targetE1EEEvT1_,comdat
	.protected	_ZN7rocprim17ROCPRIM_400000_NS6detail17trampoline_kernelINS0_14default_configENS1_29reduce_by_key_config_selectorIyyN6thrust23THRUST_200600_302600_NS4plusIyEEEEZZNS1_33reduce_by_key_impl_wrapped_configILNS1_25lookback_scan_determinismE0ES3_S9_NS6_6detail15normal_iteratorINS6_10device_ptrIyEEEESG_SG_SG_PmS8_NS6_8equal_toIyEEEE10hipError_tPvRmT2_T3_mT4_T5_T6_T7_T8_P12ihipStream_tbENKUlT_T0_E_clISt17integral_constantIbLb1EES10_IbLb0EEEEDaSW_SX_EUlSW_E_NS1_11comp_targetILNS1_3genE9ELNS1_11target_archE1100ELNS1_3gpuE3ELNS1_3repE0EEENS1_30default_config_static_selectorELNS0_4arch9wavefront6targetE1EEEvT1_ ; -- Begin function _ZN7rocprim17ROCPRIM_400000_NS6detail17trampoline_kernelINS0_14default_configENS1_29reduce_by_key_config_selectorIyyN6thrust23THRUST_200600_302600_NS4plusIyEEEEZZNS1_33reduce_by_key_impl_wrapped_configILNS1_25lookback_scan_determinismE0ES3_S9_NS6_6detail15normal_iteratorINS6_10device_ptrIyEEEESG_SG_SG_PmS8_NS6_8equal_toIyEEEE10hipError_tPvRmT2_T3_mT4_T5_T6_T7_T8_P12ihipStream_tbENKUlT_T0_E_clISt17integral_constantIbLb1EES10_IbLb0EEEEDaSW_SX_EUlSW_E_NS1_11comp_targetILNS1_3genE9ELNS1_11target_archE1100ELNS1_3gpuE3ELNS1_3repE0EEENS1_30default_config_static_selectorELNS0_4arch9wavefront6targetE1EEEvT1_
	.globl	_ZN7rocprim17ROCPRIM_400000_NS6detail17trampoline_kernelINS0_14default_configENS1_29reduce_by_key_config_selectorIyyN6thrust23THRUST_200600_302600_NS4plusIyEEEEZZNS1_33reduce_by_key_impl_wrapped_configILNS1_25lookback_scan_determinismE0ES3_S9_NS6_6detail15normal_iteratorINS6_10device_ptrIyEEEESG_SG_SG_PmS8_NS6_8equal_toIyEEEE10hipError_tPvRmT2_T3_mT4_T5_T6_T7_T8_P12ihipStream_tbENKUlT_T0_E_clISt17integral_constantIbLb1EES10_IbLb0EEEEDaSW_SX_EUlSW_E_NS1_11comp_targetILNS1_3genE9ELNS1_11target_archE1100ELNS1_3gpuE3ELNS1_3repE0EEENS1_30default_config_static_selectorELNS0_4arch9wavefront6targetE1EEEvT1_
	.p2align	8
	.type	_ZN7rocprim17ROCPRIM_400000_NS6detail17trampoline_kernelINS0_14default_configENS1_29reduce_by_key_config_selectorIyyN6thrust23THRUST_200600_302600_NS4plusIyEEEEZZNS1_33reduce_by_key_impl_wrapped_configILNS1_25lookback_scan_determinismE0ES3_S9_NS6_6detail15normal_iteratorINS6_10device_ptrIyEEEESG_SG_SG_PmS8_NS6_8equal_toIyEEEE10hipError_tPvRmT2_T3_mT4_T5_T6_T7_T8_P12ihipStream_tbENKUlT_T0_E_clISt17integral_constantIbLb1EES10_IbLb0EEEEDaSW_SX_EUlSW_E_NS1_11comp_targetILNS1_3genE9ELNS1_11target_archE1100ELNS1_3gpuE3ELNS1_3repE0EEENS1_30default_config_static_selectorELNS0_4arch9wavefront6targetE1EEEvT1_,@function
_ZN7rocprim17ROCPRIM_400000_NS6detail17trampoline_kernelINS0_14default_configENS1_29reduce_by_key_config_selectorIyyN6thrust23THRUST_200600_302600_NS4plusIyEEEEZZNS1_33reduce_by_key_impl_wrapped_configILNS1_25lookback_scan_determinismE0ES3_S9_NS6_6detail15normal_iteratorINS6_10device_ptrIyEEEESG_SG_SG_PmS8_NS6_8equal_toIyEEEE10hipError_tPvRmT2_T3_mT4_T5_T6_T7_T8_P12ihipStream_tbENKUlT_T0_E_clISt17integral_constantIbLb1EES10_IbLb0EEEEDaSW_SX_EUlSW_E_NS1_11comp_targetILNS1_3genE9ELNS1_11target_archE1100ELNS1_3gpuE3ELNS1_3repE0EEENS1_30default_config_static_selectorELNS0_4arch9wavefront6targetE1EEEvT1_: ; @_ZN7rocprim17ROCPRIM_400000_NS6detail17trampoline_kernelINS0_14default_configENS1_29reduce_by_key_config_selectorIyyN6thrust23THRUST_200600_302600_NS4plusIyEEEEZZNS1_33reduce_by_key_impl_wrapped_configILNS1_25lookback_scan_determinismE0ES3_S9_NS6_6detail15normal_iteratorINS6_10device_ptrIyEEEESG_SG_SG_PmS8_NS6_8equal_toIyEEEE10hipError_tPvRmT2_T3_mT4_T5_T6_T7_T8_P12ihipStream_tbENKUlT_T0_E_clISt17integral_constantIbLb1EES10_IbLb0EEEEDaSW_SX_EUlSW_E_NS1_11comp_targetILNS1_3genE9ELNS1_11target_archE1100ELNS1_3gpuE3ELNS1_3repE0EEENS1_30default_config_static_selectorELNS0_4arch9wavefront6targetE1EEEvT1_
; %bb.0:
	.section	.rodata,"a",@progbits
	.p2align	6, 0x0
	.amdhsa_kernel _ZN7rocprim17ROCPRIM_400000_NS6detail17trampoline_kernelINS0_14default_configENS1_29reduce_by_key_config_selectorIyyN6thrust23THRUST_200600_302600_NS4plusIyEEEEZZNS1_33reduce_by_key_impl_wrapped_configILNS1_25lookback_scan_determinismE0ES3_S9_NS6_6detail15normal_iteratorINS6_10device_ptrIyEEEESG_SG_SG_PmS8_NS6_8equal_toIyEEEE10hipError_tPvRmT2_T3_mT4_T5_T6_T7_T8_P12ihipStream_tbENKUlT_T0_E_clISt17integral_constantIbLb1EES10_IbLb0EEEEDaSW_SX_EUlSW_E_NS1_11comp_targetILNS1_3genE9ELNS1_11target_archE1100ELNS1_3gpuE3ELNS1_3repE0EEENS1_30default_config_static_selectorELNS0_4arch9wavefront6targetE1EEEvT1_
		.amdhsa_group_segment_fixed_size 0
		.amdhsa_private_segment_fixed_size 0
		.amdhsa_kernarg_size 136
		.amdhsa_user_sgpr_count 6
		.amdhsa_user_sgpr_private_segment_buffer 1
		.amdhsa_user_sgpr_dispatch_ptr 0
		.amdhsa_user_sgpr_queue_ptr 0
		.amdhsa_user_sgpr_kernarg_segment_ptr 1
		.amdhsa_user_sgpr_dispatch_id 0
		.amdhsa_user_sgpr_flat_scratch_init 0
		.amdhsa_user_sgpr_kernarg_preload_length 0
		.amdhsa_user_sgpr_kernarg_preload_offset 0
		.amdhsa_user_sgpr_private_segment_size 0
		.amdhsa_uses_dynamic_stack 0
		.amdhsa_system_sgpr_private_segment_wavefront_offset 0
		.amdhsa_system_sgpr_workgroup_id_x 1
		.amdhsa_system_sgpr_workgroup_id_y 0
		.amdhsa_system_sgpr_workgroup_id_z 0
		.amdhsa_system_sgpr_workgroup_info 0
		.amdhsa_system_vgpr_workitem_id 0
		.amdhsa_next_free_vgpr 1
		.amdhsa_next_free_sgpr 0
		.amdhsa_accum_offset 4
		.amdhsa_reserve_vcc 0
		.amdhsa_reserve_flat_scratch 0
		.amdhsa_float_round_mode_32 0
		.amdhsa_float_round_mode_16_64 0
		.amdhsa_float_denorm_mode_32 3
		.amdhsa_float_denorm_mode_16_64 3
		.amdhsa_dx10_clamp 1
		.amdhsa_ieee_mode 1
		.amdhsa_fp16_overflow 0
		.amdhsa_tg_split 0
		.amdhsa_exception_fp_ieee_invalid_op 0
		.amdhsa_exception_fp_denorm_src 0
		.amdhsa_exception_fp_ieee_div_zero 0
		.amdhsa_exception_fp_ieee_overflow 0
		.amdhsa_exception_fp_ieee_underflow 0
		.amdhsa_exception_fp_ieee_inexact 0
		.amdhsa_exception_int_div_zero 0
	.end_amdhsa_kernel
	.section	.text._ZN7rocprim17ROCPRIM_400000_NS6detail17trampoline_kernelINS0_14default_configENS1_29reduce_by_key_config_selectorIyyN6thrust23THRUST_200600_302600_NS4plusIyEEEEZZNS1_33reduce_by_key_impl_wrapped_configILNS1_25lookback_scan_determinismE0ES3_S9_NS6_6detail15normal_iteratorINS6_10device_ptrIyEEEESG_SG_SG_PmS8_NS6_8equal_toIyEEEE10hipError_tPvRmT2_T3_mT4_T5_T6_T7_T8_P12ihipStream_tbENKUlT_T0_E_clISt17integral_constantIbLb1EES10_IbLb0EEEEDaSW_SX_EUlSW_E_NS1_11comp_targetILNS1_3genE9ELNS1_11target_archE1100ELNS1_3gpuE3ELNS1_3repE0EEENS1_30default_config_static_selectorELNS0_4arch9wavefront6targetE1EEEvT1_,"axG",@progbits,_ZN7rocprim17ROCPRIM_400000_NS6detail17trampoline_kernelINS0_14default_configENS1_29reduce_by_key_config_selectorIyyN6thrust23THRUST_200600_302600_NS4plusIyEEEEZZNS1_33reduce_by_key_impl_wrapped_configILNS1_25lookback_scan_determinismE0ES3_S9_NS6_6detail15normal_iteratorINS6_10device_ptrIyEEEESG_SG_SG_PmS8_NS6_8equal_toIyEEEE10hipError_tPvRmT2_T3_mT4_T5_T6_T7_T8_P12ihipStream_tbENKUlT_T0_E_clISt17integral_constantIbLb1EES10_IbLb0EEEEDaSW_SX_EUlSW_E_NS1_11comp_targetILNS1_3genE9ELNS1_11target_archE1100ELNS1_3gpuE3ELNS1_3repE0EEENS1_30default_config_static_selectorELNS0_4arch9wavefront6targetE1EEEvT1_,comdat
.Lfunc_end265:
	.size	_ZN7rocprim17ROCPRIM_400000_NS6detail17trampoline_kernelINS0_14default_configENS1_29reduce_by_key_config_selectorIyyN6thrust23THRUST_200600_302600_NS4plusIyEEEEZZNS1_33reduce_by_key_impl_wrapped_configILNS1_25lookback_scan_determinismE0ES3_S9_NS6_6detail15normal_iteratorINS6_10device_ptrIyEEEESG_SG_SG_PmS8_NS6_8equal_toIyEEEE10hipError_tPvRmT2_T3_mT4_T5_T6_T7_T8_P12ihipStream_tbENKUlT_T0_E_clISt17integral_constantIbLb1EES10_IbLb0EEEEDaSW_SX_EUlSW_E_NS1_11comp_targetILNS1_3genE9ELNS1_11target_archE1100ELNS1_3gpuE3ELNS1_3repE0EEENS1_30default_config_static_selectorELNS0_4arch9wavefront6targetE1EEEvT1_, .Lfunc_end265-_ZN7rocprim17ROCPRIM_400000_NS6detail17trampoline_kernelINS0_14default_configENS1_29reduce_by_key_config_selectorIyyN6thrust23THRUST_200600_302600_NS4plusIyEEEEZZNS1_33reduce_by_key_impl_wrapped_configILNS1_25lookback_scan_determinismE0ES3_S9_NS6_6detail15normal_iteratorINS6_10device_ptrIyEEEESG_SG_SG_PmS8_NS6_8equal_toIyEEEE10hipError_tPvRmT2_T3_mT4_T5_T6_T7_T8_P12ihipStream_tbENKUlT_T0_E_clISt17integral_constantIbLb1EES10_IbLb0EEEEDaSW_SX_EUlSW_E_NS1_11comp_targetILNS1_3genE9ELNS1_11target_archE1100ELNS1_3gpuE3ELNS1_3repE0EEENS1_30default_config_static_selectorELNS0_4arch9wavefront6targetE1EEEvT1_
                                        ; -- End function
	.section	.AMDGPU.csdata,"",@progbits
; Kernel info:
; codeLenInByte = 0
; NumSgprs: 4
; NumVgprs: 0
; NumAgprs: 0
; TotalNumVgprs: 0
; ScratchSize: 0
; MemoryBound: 0
; FloatMode: 240
; IeeeMode: 1
; LDSByteSize: 0 bytes/workgroup (compile time only)
; SGPRBlocks: 0
; VGPRBlocks: 0
; NumSGPRsForWavesPerEU: 4
; NumVGPRsForWavesPerEU: 1
; AccumOffset: 4
; Occupancy: 8
; WaveLimiterHint : 0
; COMPUTE_PGM_RSRC2:SCRATCH_EN: 0
; COMPUTE_PGM_RSRC2:USER_SGPR: 6
; COMPUTE_PGM_RSRC2:TRAP_HANDLER: 0
; COMPUTE_PGM_RSRC2:TGID_X_EN: 1
; COMPUTE_PGM_RSRC2:TGID_Y_EN: 0
; COMPUTE_PGM_RSRC2:TGID_Z_EN: 0
; COMPUTE_PGM_RSRC2:TIDIG_COMP_CNT: 0
; COMPUTE_PGM_RSRC3_GFX90A:ACCUM_OFFSET: 0
; COMPUTE_PGM_RSRC3_GFX90A:TG_SPLIT: 0
	.section	.text._ZN7rocprim17ROCPRIM_400000_NS6detail17trampoline_kernelINS0_14default_configENS1_29reduce_by_key_config_selectorIyyN6thrust23THRUST_200600_302600_NS4plusIyEEEEZZNS1_33reduce_by_key_impl_wrapped_configILNS1_25lookback_scan_determinismE0ES3_S9_NS6_6detail15normal_iteratorINS6_10device_ptrIyEEEESG_SG_SG_PmS8_NS6_8equal_toIyEEEE10hipError_tPvRmT2_T3_mT4_T5_T6_T7_T8_P12ihipStream_tbENKUlT_T0_E_clISt17integral_constantIbLb1EES10_IbLb0EEEEDaSW_SX_EUlSW_E_NS1_11comp_targetILNS1_3genE8ELNS1_11target_archE1030ELNS1_3gpuE2ELNS1_3repE0EEENS1_30default_config_static_selectorELNS0_4arch9wavefront6targetE1EEEvT1_,"axG",@progbits,_ZN7rocprim17ROCPRIM_400000_NS6detail17trampoline_kernelINS0_14default_configENS1_29reduce_by_key_config_selectorIyyN6thrust23THRUST_200600_302600_NS4plusIyEEEEZZNS1_33reduce_by_key_impl_wrapped_configILNS1_25lookback_scan_determinismE0ES3_S9_NS6_6detail15normal_iteratorINS6_10device_ptrIyEEEESG_SG_SG_PmS8_NS6_8equal_toIyEEEE10hipError_tPvRmT2_T3_mT4_T5_T6_T7_T8_P12ihipStream_tbENKUlT_T0_E_clISt17integral_constantIbLb1EES10_IbLb0EEEEDaSW_SX_EUlSW_E_NS1_11comp_targetILNS1_3genE8ELNS1_11target_archE1030ELNS1_3gpuE2ELNS1_3repE0EEENS1_30default_config_static_selectorELNS0_4arch9wavefront6targetE1EEEvT1_,comdat
	.protected	_ZN7rocprim17ROCPRIM_400000_NS6detail17trampoline_kernelINS0_14default_configENS1_29reduce_by_key_config_selectorIyyN6thrust23THRUST_200600_302600_NS4plusIyEEEEZZNS1_33reduce_by_key_impl_wrapped_configILNS1_25lookback_scan_determinismE0ES3_S9_NS6_6detail15normal_iteratorINS6_10device_ptrIyEEEESG_SG_SG_PmS8_NS6_8equal_toIyEEEE10hipError_tPvRmT2_T3_mT4_T5_T6_T7_T8_P12ihipStream_tbENKUlT_T0_E_clISt17integral_constantIbLb1EES10_IbLb0EEEEDaSW_SX_EUlSW_E_NS1_11comp_targetILNS1_3genE8ELNS1_11target_archE1030ELNS1_3gpuE2ELNS1_3repE0EEENS1_30default_config_static_selectorELNS0_4arch9wavefront6targetE1EEEvT1_ ; -- Begin function _ZN7rocprim17ROCPRIM_400000_NS6detail17trampoline_kernelINS0_14default_configENS1_29reduce_by_key_config_selectorIyyN6thrust23THRUST_200600_302600_NS4plusIyEEEEZZNS1_33reduce_by_key_impl_wrapped_configILNS1_25lookback_scan_determinismE0ES3_S9_NS6_6detail15normal_iteratorINS6_10device_ptrIyEEEESG_SG_SG_PmS8_NS6_8equal_toIyEEEE10hipError_tPvRmT2_T3_mT4_T5_T6_T7_T8_P12ihipStream_tbENKUlT_T0_E_clISt17integral_constantIbLb1EES10_IbLb0EEEEDaSW_SX_EUlSW_E_NS1_11comp_targetILNS1_3genE8ELNS1_11target_archE1030ELNS1_3gpuE2ELNS1_3repE0EEENS1_30default_config_static_selectorELNS0_4arch9wavefront6targetE1EEEvT1_
	.globl	_ZN7rocprim17ROCPRIM_400000_NS6detail17trampoline_kernelINS0_14default_configENS1_29reduce_by_key_config_selectorIyyN6thrust23THRUST_200600_302600_NS4plusIyEEEEZZNS1_33reduce_by_key_impl_wrapped_configILNS1_25lookback_scan_determinismE0ES3_S9_NS6_6detail15normal_iteratorINS6_10device_ptrIyEEEESG_SG_SG_PmS8_NS6_8equal_toIyEEEE10hipError_tPvRmT2_T3_mT4_T5_T6_T7_T8_P12ihipStream_tbENKUlT_T0_E_clISt17integral_constantIbLb1EES10_IbLb0EEEEDaSW_SX_EUlSW_E_NS1_11comp_targetILNS1_3genE8ELNS1_11target_archE1030ELNS1_3gpuE2ELNS1_3repE0EEENS1_30default_config_static_selectorELNS0_4arch9wavefront6targetE1EEEvT1_
	.p2align	8
	.type	_ZN7rocprim17ROCPRIM_400000_NS6detail17trampoline_kernelINS0_14default_configENS1_29reduce_by_key_config_selectorIyyN6thrust23THRUST_200600_302600_NS4plusIyEEEEZZNS1_33reduce_by_key_impl_wrapped_configILNS1_25lookback_scan_determinismE0ES3_S9_NS6_6detail15normal_iteratorINS6_10device_ptrIyEEEESG_SG_SG_PmS8_NS6_8equal_toIyEEEE10hipError_tPvRmT2_T3_mT4_T5_T6_T7_T8_P12ihipStream_tbENKUlT_T0_E_clISt17integral_constantIbLb1EES10_IbLb0EEEEDaSW_SX_EUlSW_E_NS1_11comp_targetILNS1_3genE8ELNS1_11target_archE1030ELNS1_3gpuE2ELNS1_3repE0EEENS1_30default_config_static_selectorELNS0_4arch9wavefront6targetE1EEEvT1_,@function
_ZN7rocprim17ROCPRIM_400000_NS6detail17trampoline_kernelINS0_14default_configENS1_29reduce_by_key_config_selectorIyyN6thrust23THRUST_200600_302600_NS4plusIyEEEEZZNS1_33reduce_by_key_impl_wrapped_configILNS1_25lookback_scan_determinismE0ES3_S9_NS6_6detail15normal_iteratorINS6_10device_ptrIyEEEESG_SG_SG_PmS8_NS6_8equal_toIyEEEE10hipError_tPvRmT2_T3_mT4_T5_T6_T7_T8_P12ihipStream_tbENKUlT_T0_E_clISt17integral_constantIbLb1EES10_IbLb0EEEEDaSW_SX_EUlSW_E_NS1_11comp_targetILNS1_3genE8ELNS1_11target_archE1030ELNS1_3gpuE2ELNS1_3repE0EEENS1_30default_config_static_selectorELNS0_4arch9wavefront6targetE1EEEvT1_: ; @_ZN7rocprim17ROCPRIM_400000_NS6detail17trampoline_kernelINS0_14default_configENS1_29reduce_by_key_config_selectorIyyN6thrust23THRUST_200600_302600_NS4plusIyEEEEZZNS1_33reduce_by_key_impl_wrapped_configILNS1_25lookback_scan_determinismE0ES3_S9_NS6_6detail15normal_iteratorINS6_10device_ptrIyEEEESG_SG_SG_PmS8_NS6_8equal_toIyEEEE10hipError_tPvRmT2_T3_mT4_T5_T6_T7_T8_P12ihipStream_tbENKUlT_T0_E_clISt17integral_constantIbLb1EES10_IbLb0EEEEDaSW_SX_EUlSW_E_NS1_11comp_targetILNS1_3genE8ELNS1_11target_archE1030ELNS1_3gpuE2ELNS1_3repE0EEENS1_30default_config_static_selectorELNS0_4arch9wavefront6targetE1EEEvT1_
; %bb.0:
	.section	.rodata,"a",@progbits
	.p2align	6, 0x0
	.amdhsa_kernel _ZN7rocprim17ROCPRIM_400000_NS6detail17trampoline_kernelINS0_14default_configENS1_29reduce_by_key_config_selectorIyyN6thrust23THRUST_200600_302600_NS4plusIyEEEEZZNS1_33reduce_by_key_impl_wrapped_configILNS1_25lookback_scan_determinismE0ES3_S9_NS6_6detail15normal_iteratorINS6_10device_ptrIyEEEESG_SG_SG_PmS8_NS6_8equal_toIyEEEE10hipError_tPvRmT2_T3_mT4_T5_T6_T7_T8_P12ihipStream_tbENKUlT_T0_E_clISt17integral_constantIbLb1EES10_IbLb0EEEEDaSW_SX_EUlSW_E_NS1_11comp_targetILNS1_3genE8ELNS1_11target_archE1030ELNS1_3gpuE2ELNS1_3repE0EEENS1_30default_config_static_selectorELNS0_4arch9wavefront6targetE1EEEvT1_
		.amdhsa_group_segment_fixed_size 0
		.amdhsa_private_segment_fixed_size 0
		.amdhsa_kernarg_size 136
		.amdhsa_user_sgpr_count 6
		.amdhsa_user_sgpr_private_segment_buffer 1
		.amdhsa_user_sgpr_dispatch_ptr 0
		.amdhsa_user_sgpr_queue_ptr 0
		.amdhsa_user_sgpr_kernarg_segment_ptr 1
		.amdhsa_user_sgpr_dispatch_id 0
		.amdhsa_user_sgpr_flat_scratch_init 0
		.amdhsa_user_sgpr_kernarg_preload_length 0
		.amdhsa_user_sgpr_kernarg_preload_offset 0
		.amdhsa_user_sgpr_private_segment_size 0
		.amdhsa_uses_dynamic_stack 0
		.amdhsa_system_sgpr_private_segment_wavefront_offset 0
		.amdhsa_system_sgpr_workgroup_id_x 1
		.amdhsa_system_sgpr_workgroup_id_y 0
		.amdhsa_system_sgpr_workgroup_id_z 0
		.amdhsa_system_sgpr_workgroup_info 0
		.amdhsa_system_vgpr_workitem_id 0
		.amdhsa_next_free_vgpr 1
		.amdhsa_next_free_sgpr 0
		.amdhsa_accum_offset 4
		.amdhsa_reserve_vcc 0
		.amdhsa_reserve_flat_scratch 0
		.amdhsa_float_round_mode_32 0
		.amdhsa_float_round_mode_16_64 0
		.amdhsa_float_denorm_mode_32 3
		.amdhsa_float_denorm_mode_16_64 3
		.amdhsa_dx10_clamp 1
		.amdhsa_ieee_mode 1
		.amdhsa_fp16_overflow 0
		.amdhsa_tg_split 0
		.amdhsa_exception_fp_ieee_invalid_op 0
		.amdhsa_exception_fp_denorm_src 0
		.amdhsa_exception_fp_ieee_div_zero 0
		.amdhsa_exception_fp_ieee_overflow 0
		.amdhsa_exception_fp_ieee_underflow 0
		.amdhsa_exception_fp_ieee_inexact 0
		.amdhsa_exception_int_div_zero 0
	.end_amdhsa_kernel
	.section	.text._ZN7rocprim17ROCPRIM_400000_NS6detail17trampoline_kernelINS0_14default_configENS1_29reduce_by_key_config_selectorIyyN6thrust23THRUST_200600_302600_NS4plusIyEEEEZZNS1_33reduce_by_key_impl_wrapped_configILNS1_25lookback_scan_determinismE0ES3_S9_NS6_6detail15normal_iteratorINS6_10device_ptrIyEEEESG_SG_SG_PmS8_NS6_8equal_toIyEEEE10hipError_tPvRmT2_T3_mT4_T5_T6_T7_T8_P12ihipStream_tbENKUlT_T0_E_clISt17integral_constantIbLb1EES10_IbLb0EEEEDaSW_SX_EUlSW_E_NS1_11comp_targetILNS1_3genE8ELNS1_11target_archE1030ELNS1_3gpuE2ELNS1_3repE0EEENS1_30default_config_static_selectorELNS0_4arch9wavefront6targetE1EEEvT1_,"axG",@progbits,_ZN7rocprim17ROCPRIM_400000_NS6detail17trampoline_kernelINS0_14default_configENS1_29reduce_by_key_config_selectorIyyN6thrust23THRUST_200600_302600_NS4plusIyEEEEZZNS1_33reduce_by_key_impl_wrapped_configILNS1_25lookback_scan_determinismE0ES3_S9_NS6_6detail15normal_iteratorINS6_10device_ptrIyEEEESG_SG_SG_PmS8_NS6_8equal_toIyEEEE10hipError_tPvRmT2_T3_mT4_T5_T6_T7_T8_P12ihipStream_tbENKUlT_T0_E_clISt17integral_constantIbLb1EES10_IbLb0EEEEDaSW_SX_EUlSW_E_NS1_11comp_targetILNS1_3genE8ELNS1_11target_archE1030ELNS1_3gpuE2ELNS1_3repE0EEENS1_30default_config_static_selectorELNS0_4arch9wavefront6targetE1EEEvT1_,comdat
.Lfunc_end266:
	.size	_ZN7rocprim17ROCPRIM_400000_NS6detail17trampoline_kernelINS0_14default_configENS1_29reduce_by_key_config_selectorIyyN6thrust23THRUST_200600_302600_NS4plusIyEEEEZZNS1_33reduce_by_key_impl_wrapped_configILNS1_25lookback_scan_determinismE0ES3_S9_NS6_6detail15normal_iteratorINS6_10device_ptrIyEEEESG_SG_SG_PmS8_NS6_8equal_toIyEEEE10hipError_tPvRmT2_T3_mT4_T5_T6_T7_T8_P12ihipStream_tbENKUlT_T0_E_clISt17integral_constantIbLb1EES10_IbLb0EEEEDaSW_SX_EUlSW_E_NS1_11comp_targetILNS1_3genE8ELNS1_11target_archE1030ELNS1_3gpuE2ELNS1_3repE0EEENS1_30default_config_static_selectorELNS0_4arch9wavefront6targetE1EEEvT1_, .Lfunc_end266-_ZN7rocprim17ROCPRIM_400000_NS6detail17trampoline_kernelINS0_14default_configENS1_29reduce_by_key_config_selectorIyyN6thrust23THRUST_200600_302600_NS4plusIyEEEEZZNS1_33reduce_by_key_impl_wrapped_configILNS1_25lookback_scan_determinismE0ES3_S9_NS6_6detail15normal_iteratorINS6_10device_ptrIyEEEESG_SG_SG_PmS8_NS6_8equal_toIyEEEE10hipError_tPvRmT2_T3_mT4_T5_T6_T7_T8_P12ihipStream_tbENKUlT_T0_E_clISt17integral_constantIbLb1EES10_IbLb0EEEEDaSW_SX_EUlSW_E_NS1_11comp_targetILNS1_3genE8ELNS1_11target_archE1030ELNS1_3gpuE2ELNS1_3repE0EEENS1_30default_config_static_selectorELNS0_4arch9wavefront6targetE1EEEvT1_
                                        ; -- End function
	.section	.AMDGPU.csdata,"",@progbits
; Kernel info:
; codeLenInByte = 0
; NumSgprs: 4
; NumVgprs: 0
; NumAgprs: 0
; TotalNumVgprs: 0
; ScratchSize: 0
; MemoryBound: 0
; FloatMode: 240
; IeeeMode: 1
; LDSByteSize: 0 bytes/workgroup (compile time only)
; SGPRBlocks: 0
; VGPRBlocks: 0
; NumSGPRsForWavesPerEU: 4
; NumVGPRsForWavesPerEU: 1
; AccumOffset: 4
; Occupancy: 8
; WaveLimiterHint : 0
; COMPUTE_PGM_RSRC2:SCRATCH_EN: 0
; COMPUTE_PGM_RSRC2:USER_SGPR: 6
; COMPUTE_PGM_RSRC2:TRAP_HANDLER: 0
; COMPUTE_PGM_RSRC2:TGID_X_EN: 1
; COMPUTE_PGM_RSRC2:TGID_Y_EN: 0
; COMPUTE_PGM_RSRC2:TGID_Z_EN: 0
; COMPUTE_PGM_RSRC2:TIDIG_COMP_CNT: 0
; COMPUTE_PGM_RSRC3_GFX90A:ACCUM_OFFSET: 0
; COMPUTE_PGM_RSRC3_GFX90A:TG_SPLIT: 0
	.section	.text._ZN7rocprim17ROCPRIM_400000_NS6detail25reduce_by_key_init_kernelINS1_19lookback_scan_stateINS0_5tupleIJjyEEELb0ELb0EEEyNS1_16block_id_wrapperIjLb1EEEEEvT_jbjPmPT0_T1_,"axG",@progbits,_ZN7rocprim17ROCPRIM_400000_NS6detail25reduce_by_key_init_kernelINS1_19lookback_scan_stateINS0_5tupleIJjyEEELb0ELb0EEEyNS1_16block_id_wrapperIjLb1EEEEEvT_jbjPmPT0_T1_,comdat
	.protected	_ZN7rocprim17ROCPRIM_400000_NS6detail25reduce_by_key_init_kernelINS1_19lookback_scan_stateINS0_5tupleIJjyEEELb0ELb0EEEyNS1_16block_id_wrapperIjLb1EEEEEvT_jbjPmPT0_T1_ ; -- Begin function _ZN7rocprim17ROCPRIM_400000_NS6detail25reduce_by_key_init_kernelINS1_19lookback_scan_stateINS0_5tupleIJjyEEELb0ELb0EEEyNS1_16block_id_wrapperIjLb1EEEEEvT_jbjPmPT0_T1_
	.globl	_ZN7rocprim17ROCPRIM_400000_NS6detail25reduce_by_key_init_kernelINS1_19lookback_scan_stateINS0_5tupleIJjyEEELb0ELb0EEEyNS1_16block_id_wrapperIjLb1EEEEEvT_jbjPmPT0_T1_
	.p2align	8
	.type	_ZN7rocprim17ROCPRIM_400000_NS6detail25reduce_by_key_init_kernelINS1_19lookback_scan_stateINS0_5tupleIJjyEEELb0ELb0EEEyNS1_16block_id_wrapperIjLb1EEEEEvT_jbjPmPT0_T1_,@function
_ZN7rocprim17ROCPRIM_400000_NS6detail25reduce_by_key_init_kernelINS1_19lookback_scan_stateINS0_5tupleIJjyEEELb0ELb0EEEyNS1_16block_id_wrapperIjLb1EEEEEvT_jbjPmPT0_T1_: ; @_ZN7rocprim17ROCPRIM_400000_NS6detail25reduce_by_key_init_kernelINS1_19lookback_scan_stateINS0_5tupleIJjyEEELb0ELb0EEEyNS1_16block_id_wrapperIjLb1EEEEEvT_jbjPmPT0_T1_
; %bb.0:
	s_load_dwordx8 s[8:15], s[4:5], 0x18
	s_load_dword s0, s[4:5], 0x4c
	s_load_dwordx2 s[18:19], s[4:5], 0x38
	s_load_dwordx2 s[16:17], s[4:5], 0x10
	s_waitcnt lgkmcnt(0)
	s_and_b32 s1, s9, 1
	s_and_b32 s0, s0, 0xffff
	s_mul_i32 s6, s6, s0
	s_cmp_eq_u32 s1, 0
	v_add_u32_e32 v0, s6, v0
	s_mov_b64 s[0:1], -1
	s_cbranch_scc1 .LBB267_6
; %bb.1:
	s_andn2_b64 vcc, exec, s[0:1]
	v_cmp_eq_u32_e64 s[0:1], 0, v0
	s_cbranch_vccz .LBB267_12
.LBB267_2:
	v_cmp_eq_u32_e32 vcc, 0, v0
	s_and_saveexec_b64 s[0:1], vcc
	s_cbranch_execnz .LBB267_15
.LBB267_3:
	s_or_b64 exec, exec, s[0:1]
	v_cmp_gt_u32_e32 vcc, s8, v0
	s_and_saveexec_b64 s[0:1], vcc
	s_cbranch_execnz .LBB267_16
.LBB267_4:
	s_or_b64 exec, exec, s[0:1]
	v_cmp_gt_u32_e32 vcc, 64, v0
	s_and_saveexec_b64 s[0:1], vcc
	s_cbranch_execnz .LBB267_17
.LBB267_5:
	s_endpgm
.LBB267_6:
	s_cmp_lt_u32 s10, s8
	s_cselect_b32 s0, s10, 0
	v_cmp_eq_u32_e32 vcc, s0, v0
	s_and_saveexec_b64 s[6:7], vcc
	s_cbranch_execz .LBB267_11
; %bb.7:
	s_add_i32 s10, s10, 64
	v_mov_b32_e32 v1, s10
	global_load_ubyte v1, v1, s[16:17] glc
	s_load_dwordx4 s[0:3], s[4:5], 0x0
	s_add_u32 s4, s16, s10
	s_mov_b32 s11, 0
	s_addc_u32 s5, s17, 0
	s_waitcnt vmcnt(0)
	v_cmp_ne_u16_e32 vcc, 0, v1
	v_readfirstlane_b32 s9, v1
	s_cbranch_vccnz .LBB267_10
; %bb.8:
	v_mov_b32_e32 v1, 0
.LBB267_9:                              ; =>This Inner Loop Header: Depth=1
	global_load_ubyte v2, v1, s[4:5] glc
	s_waitcnt vmcnt(0)
	v_cmp_eq_u16_e32 vcc, 0, v2
	v_readfirstlane_b32 s9, v2
	s_cbranch_vccnz .LBB267_9
.LBB267_10:
	s_and_b32 s4, 0xffff, s9
	s_cmp_eq_u32 s4, 1
	s_waitcnt lgkmcnt(0)
	s_cselect_b32 s3, s1, s3
	s_cselect_b32 s2, s0, s2
	s_lshl_b64 s[0:1], s[10:11], 4
	v_mov_b32_e32 v1, 0
	s_add_u32 s0, s2, s0
	buffer_wbinvl1_vol
	s_addc_u32 s1, s3, s1
	global_load_dwordx2 v[2:3], v1, s[12:13]
	global_load_dword v6, v1, s[0:1]
	global_load_dwordx2 v[4:5], v1, s[0:1] offset:8
	s_waitcnt vmcnt(1)
	v_add_co_u32_e32 v2, vcc, v2, v6
	v_addc_co_u32_e32 v3, vcc, 0, v3, vcc
	global_store_dwordx2 v1, v[2:3], s[12:13]
	s_waitcnt vmcnt(1)
	global_store_dwordx2 v1, v[4:5], s[14:15]
.LBB267_11:
	s_or_b64 exec, exec, s[6:7]
	v_cmp_eq_u32_e64 s[0:1], 0, v0
	s_cbranch_execnz .LBB267_2
.LBB267_12:
	s_cmp_lg_u64 s[12:13], 0
	s_cselect_b64 s[2:3], -1, 0
	s_and_b64 s[2:3], s[2:3], s[0:1]
	s_and_saveexec_b64 s[0:1], s[2:3]
	s_cbranch_execz .LBB267_14
; %bb.13:
	v_mov_b32_e32 v2, 0
	v_mov_b32_e32 v3, v2
	global_store_dwordx2 v2, v[2:3], s[12:13]
.LBB267_14:
	s_or_b64 exec, exec, s[0:1]
	v_cmp_eq_u32_e32 vcc, 0, v0
	s_and_saveexec_b64 s[0:1], vcc
	s_cbranch_execz .LBB267_3
.LBB267_15:
	v_mov_b32_e32 v1, 0
	global_store_dword v1, v1, s[18:19]
	s_or_b64 exec, exec, s[0:1]
	v_cmp_gt_u32_e32 vcc, s8, v0
	s_and_saveexec_b64 s[0:1], vcc
	s_cbranch_execz .LBB267_4
.LBB267_16:
	v_add_u32_e32 v1, 64, v0
	v_mov_b32_e32 v2, 0
	global_store_byte v1, v2, s[16:17]
	s_or_b64 exec, exec, s[0:1]
	v_cmp_gt_u32_e32 vcc, 64, v0
	s_and_saveexec_b64 s[0:1], vcc
	s_cbranch_execz .LBB267_5
.LBB267_17:
	v_mov_b32_e32 v1, 0xff
	global_store_byte v0, v1, s[16:17]
	s_endpgm
	.section	.rodata,"a",@progbits
	.p2align	6, 0x0
	.amdhsa_kernel _ZN7rocprim17ROCPRIM_400000_NS6detail25reduce_by_key_init_kernelINS1_19lookback_scan_stateINS0_5tupleIJjyEEELb0ELb0EEEyNS1_16block_id_wrapperIjLb1EEEEEvT_jbjPmPT0_T1_
		.amdhsa_group_segment_fixed_size 0
		.amdhsa_private_segment_fixed_size 0
		.amdhsa_kernarg_size 320
		.amdhsa_user_sgpr_count 6
		.amdhsa_user_sgpr_private_segment_buffer 1
		.amdhsa_user_sgpr_dispatch_ptr 0
		.amdhsa_user_sgpr_queue_ptr 0
		.amdhsa_user_sgpr_kernarg_segment_ptr 1
		.amdhsa_user_sgpr_dispatch_id 0
		.amdhsa_user_sgpr_flat_scratch_init 0
		.amdhsa_user_sgpr_kernarg_preload_length 0
		.amdhsa_user_sgpr_kernarg_preload_offset 0
		.amdhsa_user_sgpr_private_segment_size 0
		.amdhsa_uses_dynamic_stack 0
		.amdhsa_system_sgpr_private_segment_wavefront_offset 0
		.amdhsa_system_sgpr_workgroup_id_x 1
		.amdhsa_system_sgpr_workgroup_id_y 0
		.amdhsa_system_sgpr_workgroup_id_z 0
		.amdhsa_system_sgpr_workgroup_info 0
		.amdhsa_system_vgpr_workitem_id 0
		.amdhsa_next_free_vgpr 7
		.amdhsa_next_free_sgpr 20
		.amdhsa_accum_offset 8
		.amdhsa_reserve_vcc 1
		.amdhsa_reserve_flat_scratch 0
		.amdhsa_float_round_mode_32 0
		.amdhsa_float_round_mode_16_64 0
		.amdhsa_float_denorm_mode_32 3
		.amdhsa_float_denorm_mode_16_64 3
		.amdhsa_dx10_clamp 1
		.amdhsa_ieee_mode 1
		.amdhsa_fp16_overflow 0
		.amdhsa_tg_split 0
		.amdhsa_exception_fp_ieee_invalid_op 0
		.amdhsa_exception_fp_denorm_src 0
		.amdhsa_exception_fp_ieee_div_zero 0
		.amdhsa_exception_fp_ieee_overflow 0
		.amdhsa_exception_fp_ieee_underflow 0
		.amdhsa_exception_fp_ieee_inexact 0
		.amdhsa_exception_int_div_zero 0
	.end_amdhsa_kernel
	.section	.text._ZN7rocprim17ROCPRIM_400000_NS6detail25reduce_by_key_init_kernelINS1_19lookback_scan_stateINS0_5tupleIJjyEEELb0ELb0EEEyNS1_16block_id_wrapperIjLb1EEEEEvT_jbjPmPT0_T1_,"axG",@progbits,_ZN7rocprim17ROCPRIM_400000_NS6detail25reduce_by_key_init_kernelINS1_19lookback_scan_stateINS0_5tupleIJjyEEELb0ELb0EEEyNS1_16block_id_wrapperIjLb1EEEEEvT_jbjPmPT0_T1_,comdat
.Lfunc_end267:
	.size	_ZN7rocprim17ROCPRIM_400000_NS6detail25reduce_by_key_init_kernelINS1_19lookback_scan_stateINS0_5tupleIJjyEEELb0ELb0EEEyNS1_16block_id_wrapperIjLb1EEEEEvT_jbjPmPT0_T1_, .Lfunc_end267-_ZN7rocprim17ROCPRIM_400000_NS6detail25reduce_by_key_init_kernelINS1_19lookback_scan_stateINS0_5tupleIJjyEEELb0ELb0EEEyNS1_16block_id_wrapperIjLb1EEEEEvT_jbjPmPT0_T1_
                                        ; -- End function
	.section	.AMDGPU.csdata,"",@progbits
; Kernel info:
; codeLenInByte = 484
; NumSgprs: 24
; NumVgprs: 7
; NumAgprs: 0
; TotalNumVgprs: 7
; ScratchSize: 0
; MemoryBound: 0
; FloatMode: 240
; IeeeMode: 1
; LDSByteSize: 0 bytes/workgroup (compile time only)
; SGPRBlocks: 2
; VGPRBlocks: 0
; NumSGPRsForWavesPerEU: 24
; NumVGPRsForWavesPerEU: 7
; AccumOffset: 8
; Occupancy: 8
; WaveLimiterHint : 0
; COMPUTE_PGM_RSRC2:SCRATCH_EN: 0
; COMPUTE_PGM_RSRC2:USER_SGPR: 6
; COMPUTE_PGM_RSRC2:TRAP_HANDLER: 0
; COMPUTE_PGM_RSRC2:TGID_X_EN: 1
; COMPUTE_PGM_RSRC2:TGID_Y_EN: 0
; COMPUTE_PGM_RSRC2:TGID_Z_EN: 0
; COMPUTE_PGM_RSRC2:TIDIG_COMP_CNT: 0
; COMPUTE_PGM_RSRC3_GFX90A:ACCUM_OFFSET: 1
; COMPUTE_PGM_RSRC3_GFX90A:TG_SPLIT: 0
	.section	.text._ZN7rocprim17ROCPRIM_400000_NS6detail17trampoline_kernelINS0_14default_configENS1_29reduce_by_key_config_selectorIyyN6thrust23THRUST_200600_302600_NS4plusIyEEEEZZNS1_33reduce_by_key_impl_wrapped_configILNS1_25lookback_scan_determinismE0ES3_S9_NS6_6detail15normal_iteratorINS6_10device_ptrIyEEEESG_SG_SG_PmS8_NS6_8equal_toIyEEEE10hipError_tPvRmT2_T3_mT4_T5_T6_T7_T8_P12ihipStream_tbENKUlT_T0_E_clISt17integral_constantIbLb0EES10_IbLb1EEEEDaSW_SX_EUlSW_E_NS1_11comp_targetILNS1_3genE0ELNS1_11target_archE4294967295ELNS1_3gpuE0ELNS1_3repE0EEENS1_30default_config_static_selectorELNS0_4arch9wavefront6targetE1EEEvT1_,"axG",@progbits,_ZN7rocprim17ROCPRIM_400000_NS6detail17trampoline_kernelINS0_14default_configENS1_29reduce_by_key_config_selectorIyyN6thrust23THRUST_200600_302600_NS4plusIyEEEEZZNS1_33reduce_by_key_impl_wrapped_configILNS1_25lookback_scan_determinismE0ES3_S9_NS6_6detail15normal_iteratorINS6_10device_ptrIyEEEESG_SG_SG_PmS8_NS6_8equal_toIyEEEE10hipError_tPvRmT2_T3_mT4_T5_T6_T7_T8_P12ihipStream_tbENKUlT_T0_E_clISt17integral_constantIbLb0EES10_IbLb1EEEEDaSW_SX_EUlSW_E_NS1_11comp_targetILNS1_3genE0ELNS1_11target_archE4294967295ELNS1_3gpuE0ELNS1_3repE0EEENS1_30default_config_static_selectorELNS0_4arch9wavefront6targetE1EEEvT1_,comdat
	.protected	_ZN7rocprim17ROCPRIM_400000_NS6detail17trampoline_kernelINS0_14default_configENS1_29reduce_by_key_config_selectorIyyN6thrust23THRUST_200600_302600_NS4plusIyEEEEZZNS1_33reduce_by_key_impl_wrapped_configILNS1_25lookback_scan_determinismE0ES3_S9_NS6_6detail15normal_iteratorINS6_10device_ptrIyEEEESG_SG_SG_PmS8_NS6_8equal_toIyEEEE10hipError_tPvRmT2_T3_mT4_T5_T6_T7_T8_P12ihipStream_tbENKUlT_T0_E_clISt17integral_constantIbLb0EES10_IbLb1EEEEDaSW_SX_EUlSW_E_NS1_11comp_targetILNS1_3genE0ELNS1_11target_archE4294967295ELNS1_3gpuE0ELNS1_3repE0EEENS1_30default_config_static_selectorELNS0_4arch9wavefront6targetE1EEEvT1_ ; -- Begin function _ZN7rocprim17ROCPRIM_400000_NS6detail17trampoline_kernelINS0_14default_configENS1_29reduce_by_key_config_selectorIyyN6thrust23THRUST_200600_302600_NS4plusIyEEEEZZNS1_33reduce_by_key_impl_wrapped_configILNS1_25lookback_scan_determinismE0ES3_S9_NS6_6detail15normal_iteratorINS6_10device_ptrIyEEEESG_SG_SG_PmS8_NS6_8equal_toIyEEEE10hipError_tPvRmT2_T3_mT4_T5_T6_T7_T8_P12ihipStream_tbENKUlT_T0_E_clISt17integral_constantIbLb0EES10_IbLb1EEEEDaSW_SX_EUlSW_E_NS1_11comp_targetILNS1_3genE0ELNS1_11target_archE4294967295ELNS1_3gpuE0ELNS1_3repE0EEENS1_30default_config_static_selectorELNS0_4arch9wavefront6targetE1EEEvT1_
	.globl	_ZN7rocprim17ROCPRIM_400000_NS6detail17trampoline_kernelINS0_14default_configENS1_29reduce_by_key_config_selectorIyyN6thrust23THRUST_200600_302600_NS4plusIyEEEEZZNS1_33reduce_by_key_impl_wrapped_configILNS1_25lookback_scan_determinismE0ES3_S9_NS6_6detail15normal_iteratorINS6_10device_ptrIyEEEESG_SG_SG_PmS8_NS6_8equal_toIyEEEE10hipError_tPvRmT2_T3_mT4_T5_T6_T7_T8_P12ihipStream_tbENKUlT_T0_E_clISt17integral_constantIbLb0EES10_IbLb1EEEEDaSW_SX_EUlSW_E_NS1_11comp_targetILNS1_3genE0ELNS1_11target_archE4294967295ELNS1_3gpuE0ELNS1_3repE0EEENS1_30default_config_static_selectorELNS0_4arch9wavefront6targetE1EEEvT1_
	.p2align	8
	.type	_ZN7rocprim17ROCPRIM_400000_NS6detail17trampoline_kernelINS0_14default_configENS1_29reduce_by_key_config_selectorIyyN6thrust23THRUST_200600_302600_NS4plusIyEEEEZZNS1_33reduce_by_key_impl_wrapped_configILNS1_25lookback_scan_determinismE0ES3_S9_NS6_6detail15normal_iteratorINS6_10device_ptrIyEEEESG_SG_SG_PmS8_NS6_8equal_toIyEEEE10hipError_tPvRmT2_T3_mT4_T5_T6_T7_T8_P12ihipStream_tbENKUlT_T0_E_clISt17integral_constantIbLb0EES10_IbLb1EEEEDaSW_SX_EUlSW_E_NS1_11comp_targetILNS1_3genE0ELNS1_11target_archE4294967295ELNS1_3gpuE0ELNS1_3repE0EEENS1_30default_config_static_selectorELNS0_4arch9wavefront6targetE1EEEvT1_,@function
_ZN7rocprim17ROCPRIM_400000_NS6detail17trampoline_kernelINS0_14default_configENS1_29reduce_by_key_config_selectorIyyN6thrust23THRUST_200600_302600_NS4plusIyEEEEZZNS1_33reduce_by_key_impl_wrapped_configILNS1_25lookback_scan_determinismE0ES3_S9_NS6_6detail15normal_iteratorINS6_10device_ptrIyEEEESG_SG_SG_PmS8_NS6_8equal_toIyEEEE10hipError_tPvRmT2_T3_mT4_T5_T6_T7_T8_P12ihipStream_tbENKUlT_T0_E_clISt17integral_constantIbLb0EES10_IbLb1EEEEDaSW_SX_EUlSW_E_NS1_11comp_targetILNS1_3genE0ELNS1_11target_archE4294967295ELNS1_3gpuE0ELNS1_3repE0EEENS1_30default_config_static_selectorELNS0_4arch9wavefront6targetE1EEEvT1_: ; @_ZN7rocprim17ROCPRIM_400000_NS6detail17trampoline_kernelINS0_14default_configENS1_29reduce_by_key_config_selectorIyyN6thrust23THRUST_200600_302600_NS4plusIyEEEEZZNS1_33reduce_by_key_impl_wrapped_configILNS1_25lookback_scan_determinismE0ES3_S9_NS6_6detail15normal_iteratorINS6_10device_ptrIyEEEESG_SG_SG_PmS8_NS6_8equal_toIyEEEE10hipError_tPvRmT2_T3_mT4_T5_T6_T7_T8_P12ihipStream_tbENKUlT_T0_E_clISt17integral_constantIbLb0EES10_IbLb1EEEEDaSW_SX_EUlSW_E_NS1_11comp_targetILNS1_3genE0ELNS1_11target_archE4294967295ELNS1_3gpuE0ELNS1_3repE0EEENS1_30default_config_static_selectorELNS0_4arch9wavefront6targetE1EEEvT1_
; %bb.0:
	.section	.rodata,"a",@progbits
	.p2align	6, 0x0
	.amdhsa_kernel _ZN7rocprim17ROCPRIM_400000_NS6detail17trampoline_kernelINS0_14default_configENS1_29reduce_by_key_config_selectorIyyN6thrust23THRUST_200600_302600_NS4plusIyEEEEZZNS1_33reduce_by_key_impl_wrapped_configILNS1_25lookback_scan_determinismE0ES3_S9_NS6_6detail15normal_iteratorINS6_10device_ptrIyEEEESG_SG_SG_PmS8_NS6_8equal_toIyEEEE10hipError_tPvRmT2_T3_mT4_T5_T6_T7_T8_P12ihipStream_tbENKUlT_T0_E_clISt17integral_constantIbLb0EES10_IbLb1EEEEDaSW_SX_EUlSW_E_NS1_11comp_targetILNS1_3genE0ELNS1_11target_archE4294967295ELNS1_3gpuE0ELNS1_3repE0EEENS1_30default_config_static_selectorELNS0_4arch9wavefront6targetE1EEEvT1_
		.amdhsa_group_segment_fixed_size 0
		.amdhsa_private_segment_fixed_size 0
		.amdhsa_kernarg_size 136
		.amdhsa_user_sgpr_count 6
		.amdhsa_user_sgpr_private_segment_buffer 1
		.amdhsa_user_sgpr_dispatch_ptr 0
		.amdhsa_user_sgpr_queue_ptr 0
		.amdhsa_user_sgpr_kernarg_segment_ptr 1
		.amdhsa_user_sgpr_dispatch_id 0
		.amdhsa_user_sgpr_flat_scratch_init 0
		.amdhsa_user_sgpr_kernarg_preload_length 0
		.amdhsa_user_sgpr_kernarg_preload_offset 0
		.amdhsa_user_sgpr_private_segment_size 0
		.amdhsa_uses_dynamic_stack 0
		.amdhsa_system_sgpr_private_segment_wavefront_offset 0
		.amdhsa_system_sgpr_workgroup_id_x 1
		.amdhsa_system_sgpr_workgroup_id_y 0
		.amdhsa_system_sgpr_workgroup_id_z 0
		.amdhsa_system_sgpr_workgroup_info 0
		.amdhsa_system_vgpr_workitem_id 0
		.amdhsa_next_free_vgpr 1
		.amdhsa_next_free_sgpr 0
		.amdhsa_accum_offset 4
		.amdhsa_reserve_vcc 0
		.amdhsa_reserve_flat_scratch 0
		.amdhsa_float_round_mode_32 0
		.amdhsa_float_round_mode_16_64 0
		.amdhsa_float_denorm_mode_32 3
		.amdhsa_float_denorm_mode_16_64 3
		.amdhsa_dx10_clamp 1
		.amdhsa_ieee_mode 1
		.amdhsa_fp16_overflow 0
		.amdhsa_tg_split 0
		.amdhsa_exception_fp_ieee_invalid_op 0
		.amdhsa_exception_fp_denorm_src 0
		.amdhsa_exception_fp_ieee_div_zero 0
		.amdhsa_exception_fp_ieee_overflow 0
		.amdhsa_exception_fp_ieee_underflow 0
		.amdhsa_exception_fp_ieee_inexact 0
		.amdhsa_exception_int_div_zero 0
	.end_amdhsa_kernel
	.section	.text._ZN7rocprim17ROCPRIM_400000_NS6detail17trampoline_kernelINS0_14default_configENS1_29reduce_by_key_config_selectorIyyN6thrust23THRUST_200600_302600_NS4plusIyEEEEZZNS1_33reduce_by_key_impl_wrapped_configILNS1_25lookback_scan_determinismE0ES3_S9_NS6_6detail15normal_iteratorINS6_10device_ptrIyEEEESG_SG_SG_PmS8_NS6_8equal_toIyEEEE10hipError_tPvRmT2_T3_mT4_T5_T6_T7_T8_P12ihipStream_tbENKUlT_T0_E_clISt17integral_constantIbLb0EES10_IbLb1EEEEDaSW_SX_EUlSW_E_NS1_11comp_targetILNS1_3genE0ELNS1_11target_archE4294967295ELNS1_3gpuE0ELNS1_3repE0EEENS1_30default_config_static_selectorELNS0_4arch9wavefront6targetE1EEEvT1_,"axG",@progbits,_ZN7rocprim17ROCPRIM_400000_NS6detail17trampoline_kernelINS0_14default_configENS1_29reduce_by_key_config_selectorIyyN6thrust23THRUST_200600_302600_NS4plusIyEEEEZZNS1_33reduce_by_key_impl_wrapped_configILNS1_25lookback_scan_determinismE0ES3_S9_NS6_6detail15normal_iteratorINS6_10device_ptrIyEEEESG_SG_SG_PmS8_NS6_8equal_toIyEEEE10hipError_tPvRmT2_T3_mT4_T5_T6_T7_T8_P12ihipStream_tbENKUlT_T0_E_clISt17integral_constantIbLb0EES10_IbLb1EEEEDaSW_SX_EUlSW_E_NS1_11comp_targetILNS1_3genE0ELNS1_11target_archE4294967295ELNS1_3gpuE0ELNS1_3repE0EEENS1_30default_config_static_selectorELNS0_4arch9wavefront6targetE1EEEvT1_,comdat
.Lfunc_end268:
	.size	_ZN7rocprim17ROCPRIM_400000_NS6detail17trampoline_kernelINS0_14default_configENS1_29reduce_by_key_config_selectorIyyN6thrust23THRUST_200600_302600_NS4plusIyEEEEZZNS1_33reduce_by_key_impl_wrapped_configILNS1_25lookback_scan_determinismE0ES3_S9_NS6_6detail15normal_iteratorINS6_10device_ptrIyEEEESG_SG_SG_PmS8_NS6_8equal_toIyEEEE10hipError_tPvRmT2_T3_mT4_T5_T6_T7_T8_P12ihipStream_tbENKUlT_T0_E_clISt17integral_constantIbLb0EES10_IbLb1EEEEDaSW_SX_EUlSW_E_NS1_11comp_targetILNS1_3genE0ELNS1_11target_archE4294967295ELNS1_3gpuE0ELNS1_3repE0EEENS1_30default_config_static_selectorELNS0_4arch9wavefront6targetE1EEEvT1_, .Lfunc_end268-_ZN7rocprim17ROCPRIM_400000_NS6detail17trampoline_kernelINS0_14default_configENS1_29reduce_by_key_config_selectorIyyN6thrust23THRUST_200600_302600_NS4plusIyEEEEZZNS1_33reduce_by_key_impl_wrapped_configILNS1_25lookback_scan_determinismE0ES3_S9_NS6_6detail15normal_iteratorINS6_10device_ptrIyEEEESG_SG_SG_PmS8_NS6_8equal_toIyEEEE10hipError_tPvRmT2_T3_mT4_T5_T6_T7_T8_P12ihipStream_tbENKUlT_T0_E_clISt17integral_constantIbLb0EES10_IbLb1EEEEDaSW_SX_EUlSW_E_NS1_11comp_targetILNS1_3genE0ELNS1_11target_archE4294967295ELNS1_3gpuE0ELNS1_3repE0EEENS1_30default_config_static_selectorELNS0_4arch9wavefront6targetE1EEEvT1_
                                        ; -- End function
	.section	.AMDGPU.csdata,"",@progbits
; Kernel info:
; codeLenInByte = 0
; NumSgprs: 4
; NumVgprs: 0
; NumAgprs: 0
; TotalNumVgprs: 0
; ScratchSize: 0
; MemoryBound: 0
; FloatMode: 240
; IeeeMode: 1
; LDSByteSize: 0 bytes/workgroup (compile time only)
; SGPRBlocks: 0
; VGPRBlocks: 0
; NumSGPRsForWavesPerEU: 4
; NumVGPRsForWavesPerEU: 1
; AccumOffset: 4
; Occupancy: 8
; WaveLimiterHint : 0
; COMPUTE_PGM_RSRC2:SCRATCH_EN: 0
; COMPUTE_PGM_RSRC2:USER_SGPR: 6
; COMPUTE_PGM_RSRC2:TRAP_HANDLER: 0
; COMPUTE_PGM_RSRC2:TGID_X_EN: 1
; COMPUTE_PGM_RSRC2:TGID_Y_EN: 0
; COMPUTE_PGM_RSRC2:TGID_Z_EN: 0
; COMPUTE_PGM_RSRC2:TIDIG_COMP_CNT: 0
; COMPUTE_PGM_RSRC3_GFX90A:ACCUM_OFFSET: 0
; COMPUTE_PGM_RSRC3_GFX90A:TG_SPLIT: 0
	.section	.text._ZN7rocprim17ROCPRIM_400000_NS6detail17trampoline_kernelINS0_14default_configENS1_29reduce_by_key_config_selectorIyyN6thrust23THRUST_200600_302600_NS4plusIyEEEEZZNS1_33reduce_by_key_impl_wrapped_configILNS1_25lookback_scan_determinismE0ES3_S9_NS6_6detail15normal_iteratorINS6_10device_ptrIyEEEESG_SG_SG_PmS8_NS6_8equal_toIyEEEE10hipError_tPvRmT2_T3_mT4_T5_T6_T7_T8_P12ihipStream_tbENKUlT_T0_E_clISt17integral_constantIbLb0EES10_IbLb1EEEEDaSW_SX_EUlSW_E_NS1_11comp_targetILNS1_3genE5ELNS1_11target_archE942ELNS1_3gpuE9ELNS1_3repE0EEENS1_30default_config_static_selectorELNS0_4arch9wavefront6targetE1EEEvT1_,"axG",@progbits,_ZN7rocprim17ROCPRIM_400000_NS6detail17trampoline_kernelINS0_14default_configENS1_29reduce_by_key_config_selectorIyyN6thrust23THRUST_200600_302600_NS4plusIyEEEEZZNS1_33reduce_by_key_impl_wrapped_configILNS1_25lookback_scan_determinismE0ES3_S9_NS6_6detail15normal_iteratorINS6_10device_ptrIyEEEESG_SG_SG_PmS8_NS6_8equal_toIyEEEE10hipError_tPvRmT2_T3_mT4_T5_T6_T7_T8_P12ihipStream_tbENKUlT_T0_E_clISt17integral_constantIbLb0EES10_IbLb1EEEEDaSW_SX_EUlSW_E_NS1_11comp_targetILNS1_3genE5ELNS1_11target_archE942ELNS1_3gpuE9ELNS1_3repE0EEENS1_30default_config_static_selectorELNS0_4arch9wavefront6targetE1EEEvT1_,comdat
	.protected	_ZN7rocprim17ROCPRIM_400000_NS6detail17trampoline_kernelINS0_14default_configENS1_29reduce_by_key_config_selectorIyyN6thrust23THRUST_200600_302600_NS4plusIyEEEEZZNS1_33reduce_by_key_impl_wrapped_configILNS1_25lookback_scan_determinismE0ES3_S9_NS6_6detail15normal_iteratorINS6_10device_ptrIyEEEESG_SG_SG_PmS8_NS6_8equal_toIyEEEE10hipError_tPvRmT2_T3_mT4_T5_T6_T7_T8_P12ihipStream_tbENKUlT_T0_E_clISt17integral_constantIbLb0EES10_IbLb1EEEEDaSW_SX_EUlSW_E_NS1_11comp_targetILNS1_3genE5ELNS1_11target_archE942ELNS1_3gpuE9ELNS1_3repE0EEENS1_30default_config_static_selectorELNS0_4arch9wavefront6targetE1EEEvT1_ ; -- Begin function _ZN7rocprim17ROCPRIM_400000_NS6detail17trampoline_kernelINS0_14default_configENS1_29reduce_by_key_config_selectorIyyN6thrust23THRUST_200600_302600_NS4plusIyEEEEZZNS1_33reduce_by_key_impl_wrapped_configILNS1_25lookback_scan_determinismE0ES3_S9_NS6_6detail15normal_iteratorINS6_10device_ptrIyEEEESG_SG_SG_PmS8_NS6_8equal_toIyEEEE10hipError_tPvRmT2_T3_mT4_T5_T6_T7_T8_P12ihipStream_tbENKUlT_T0_E_clISt17integral_constantIbLb0EES10_IbLb1EEEEDaSW_SX_EUlSW_E_NS1_11comp_targetILNS1_3genE5ELNS1_11target_archE942ELNS1_3gpuE9ELNS1_3repE0EEENS1_30default_config_static_selectorELNS0_4arch9wavefront6targetE1EEEvT1_
	.globl	_ZN7rocprim17ROCPRIM_400000_NS6detail17trampoline_kernelINS0_14default_configENS1_29reduce_by_key_config_selectorIyyN6thrust23THRUST_200600_302600_NS4plusIyEEEEZZNS1_33reduce_by_key_impl_wrapped_configILNS1_25lookback_scan_determinismE0ES3_S9_NS6_6detail15normal_iteratorINS6_10device_ptrIyEEEESG_SG_SG_PmS8_NS6_8equal_toIyEEEE10hipError_tPvRmT2_T3_mT4_T5_T6_T7_T8_P12ihipStream_tbENKUlT_T0_E_clISt17integral_constantIbLb0EES10_IbLb1EEEEDaSW_SX_EUlSW_E_NS1_11comp_targetILNS1_3genE5ELNS1_11target_archE942ELNS1_3gpuE9ELNS1_3repE0EEENS1_30default_config_static_selectorELNS0_4arch9wavefront6targetE1EEEvT1_
	.p2align	8
	.type	_ZN7rocprim17ROCPRIM_400000_NS6detail17trampoline_kernelINS0_14default_configENS1_29reduce_by_key_config_selectorIyyN6thrust23THRUST_200600_302600_NS4plusIyEEEEZZNS1_33reduce_by_key_impl_wrapped_configILNS1_25lookback_scan_determinismE0ES3_S9_NS6_6detail15normal_iteratorINS6_10device_ptrIyEEEESG_SG_SG_PmS8_NS6_8equal_toIyEEEE10hipError_tPvRmT2_T3_mT4_T5_T6_T7_T8_P12ihipStream_tbENKUlT_T0_E_clISt17integral_constantIbLb0EES10_IbLb1EEEEDaSW_SX_EUlSW_E_NS1_11comp_targetILNS1_3genE5ELNS1_11target_archE942ELNS1_3gpuE9ELNS1_3repE0EEENS1_30default_config_static_selectorELNS0_4arch9wavefront6targetE1EEEvT1_,@function
_ZN7rocprim17ROCPRIM_400000_NS6detail17trampoline_kernelINS0_14default_configENS1_29reduce_by_key_config_selectorIyyN6thrust23THRUST_200600_302600_NS4plusIyEEEEZZNS1_33reduce_by_key_impl_wrapped_configILNS1_25lookback_scan_determinismE0ES3_S9_NS6_6detail15normal_iteratorINS6_10device_ptrIyEEEESG_SG_SG_PmS8_NS6_8equal_toIyEEEE10hipError_tPvRmT2_T3_mT4_T5_T6_T7_T8_P12ihipStream_tbENKUlT_T0_E_clISt17integral_constantIbLb0EES10_IbLb1EEEEDaSW_SX_EUlSW_E_NS1_11comp_targetILNS1_3genE5ELNS1_11target_archE942ELNS1_3gpuE9ELNS1_3repE0EEENS1_30default_config_static_selectorELNS0_4arch9wavefront6targetE1EEEvT1_: ; @_ZN7rocprim17ROCPRIM_400000_NS6detail17trampoline_kernelINS0_14default_configENS1_29reduce_by_key_config_selectorIyyN6thrust23THRUST_200600_302600_NS4plusIyEEEEZZNS1_33reduce_by_key_impl_wrapped_configILNS1_25lookback_scan_determinismE0ES3_S9_NS6_6detail15normal_iteratorINS6_10device_ptrIyEEEESG_SG_SG_PmS8_NS6_8equal_toIyEEEE10hipError_tPvRmT2_T3_mT4_T5_T6_T7_T8_P12ihipStream_tbENKUlT_T0_E_clISt17integral_constantIbLb0EES10_IbLb1EEEEDaSW_SX_EUlSW_E_NS1_11comp_targetILNS1_3genE5ELNS1_11target_archE942ELNS1_3gpuE9ELNS1_3repE0EEENS1_30default_config_static_selectorELNS0_4arch9wavefront6targetE1EEEvT1_
; %bb.0:
	.section	.rodata,"a",@progbits
	.p2align	6, 0x0
	.amdhsa_kernel _ZN7rocprim17ROCPRIM_400000_NS6detail17trampoline_kernelINS0_14default_configENS1_29reduce_by_key_config_selectorIyyN6thrust23THRUST_200600_302600_NS4plusIyEEEEZZNS1_33reduce_by_key_impl_wrapped_configILNS1_25lookback_scan_determinismE0ES3_S9_NS6_6detail15normal_iteratorINS6_10device_ptrIyEEEESG_SG_SG_PmS8_NS6_8equal_toIyEEEE10hipError_tPvRmT2_T3_mT4_T5_T6_T7_T8_P12ihipStream_tbENKUlT_T0_E_clISt17integral_constantIbLb0EES10_IbLb1EEEEDaSW_SX_EUlSW_E_NS1_11comp_targetILNS1_3genE5ELNS1_11target_archE942ELNS1_3gpuE9ELNS1_3repE0EEENS1_30default_config_static_selectorELNS0_4arch9wavefront6targetE1EEEvT1_
		.amdhsa_group_segment_fixed_size 0
		.amdhsa_private_segment_fixed_size 0
		.amdhsa_kernarg_size 136
		.amdhsa_user_sgpr_count 6
		.amdhsa_user_sgpr_private_segment_buffer 1
		.amdhsa_user_sgpr_dispatch_ptr 0
		.amdhsa_user_sgpr_queue_ptr 0
		.amdhsa_user_sgpr_kernarg_segment_ptr 1
		.amdhsa_user_sgpr_dispatch_id 0
		.amdhsa_user_sgpr_flat_scratch_init 0
		.amdhsa_user_sgpr_kernarg_preload_length 0
		.amdhsa_user_sgpr_kernarg_preload_offset 0
		.amdhsa_user_sgpr_private_segment_size 0
		.amdhsa_uses_dynamic_stack 0
		.amdhsa_system_sgpr_private_segment_wavefront_offset 0
		.amdhsa_system_sgpr_workgroup_id_x 1
		.amdhsa_system_sgpr_workgroup_id_y 0
		.amdhsa_system_sgpr_workgroup_id_z 0
		.amdhsa_system_sgpr_workgroup_info 0
		.amdhsa_system_vgpr_workitem_id 0
		.amdhsa_next_free_vgpr 1
		.amdhsa_next_free_sgpr 0
		.amdhsa_accum_offset 4
		.amdhsa_reserve_vcc 0
		.amdhsa_reserve_flat_scratch 0
		.amdhsa_float_round_mode_32 0
		.amdhsa_float_round_mode_16_64 0
		.amdhsa_float_denorm_mode_32 3
		.amdhsa_float_denorm_mode_16_64 3
		.amdhsa_dx10_clamp 1
		.amdhsa_ieee_mode 1
		.amdhsa_fp16_overflow 0
		.amdhsa_tg_split 0
		.amdhsa_exception_fp_ieee_invalid_op 0
		.amdhsa_exception_fp_denorm_src 0
		.amdhsa_exception_fp_ieee_div_zero 0
		.amdhsa_exception_fp_ieee_overflow 0
		.amdhsa_exception_fp_ieee_underflow 0
		.amdhsa_exception_fp_ieee_inexact 0
		.amdhsa_exception_int_div_zero 0
	.end_amdhsa_kernel
	.section	.text._ZN7rocprim17ROCPRIM_400000_NS6detail17trampoline_kernelINS0_14default_configENS1_29reduce_by_key_config_selectorIyyN6thrust23THRUST_200600_302600_NS4plusIyEEEEZZNS1_33reduce_by_key_impl_wrapped_configILNS1_25lookback_scan_determinismE0ES3_S9_NS6_6detail15normal_iteratorINS6_10device_ptrIyEEEESG_SG_SG_PmS8_NS6_8equal_toIyEEEE10hipError_tPvRmT2_T3_mT4_T5_T6_T7_T8_P12ihipStream_tbENKUlT_T0_E_clISt17integral_constantIbLb0EES10_IbLb1EEEEDaSW_SX_EUlSW_E_NS1_11comp_targetILNS1_3genE5ELNS1_11target_archE942ELNS1_3gpuE9ELNS1_3repE0EEENS1_30default_config_static_selectorELNS0_4arch9wavefront6targetE1EEEvT1_,"axG",@progbits,_ZN7rocprim17ROCPRIM_400000_NS6detail17trampoline_kernelINS0_14default_configENS1_29reduce_by_key_config_selectorIyyN6thrust23THRUST_200600_302600_NS4plusIyEEEEZZNS1_33reduce_by_key_impl_wrapped_configILNS1_25lookback_scan_determinismE0ES3_S9_NS6_6detail15normal_iteratorINS6_10device_ptrIyEEEESG_SG_SG_PmS8_NS6_8equal_toIyEEEE10hipError_tPvRmT2_T3_mT4_T5_T6_T7_T8_P12ihipStream_tbENKUlT_T0_E_clISt17integral_constantIbLb0EES10_IbLb1EEEEDaSW_SX_EUlSW_E_NS1_11comp_targetILNS1_3genE5ELNS1_11target_archE942ELNS1_3gpuE9ELNS1_3repE0EEENS1_30default_config_static_selectorELNS0_4arch9wavefront6targetE1EEEvT1_,comdat
.Lfunc_end269:
	.size	_ZN7rocprim17ROCPRIM_400000_NS6detail17trampoline_kernelINS0_14default_configENS1_29reduce_by_key_config_selectorIyyN6thrust23THRUST_200600_302600_NS4plusIyEEEEZZNS1_33reduce_by_key_impl_wrapped_configILNS1_25lookback_scan_determinismE0ES3_S9_NS6_6detail15normal_iteratorINS6_10device_ptrIyEEEESG_SG_SG_PmS8_NS6_8equal_toIyEEEE10hipError_tPvRmT2_T3_mT4_T5_T6_T7_T8_P12ihipStream_tbENKUlT_T0_E_clISt17integral_constantIbLb0EES10_IbLb1EEEEDaSW_SX_EUlSW_E_NS1_11comp_targetILNS1_3genE5ELNS1_11target_archE942ELNS1_3gpuE9ELNS1_3repE0EEENS1_30default_config_static_selectorELNS0_4arch9wavefront6targetE1EEEvT1_, .Lfunc_end269-_ZN7rocprim17ROCPRIM_400000_NS6detail17trampoline_kernelINS0_14default_configENS1_29reduce_by_key_config_selectorIyyN6thrust23THRUST_200600_302600_NS4plusIyEEEEZZNS1_33reduce_by_key_impl_wrapped_configILNS1_25lookback_scan_determinismE0ES3_S9_NS6_6detail15normal_iteratorINS6_10device_ptrIyEEEESG_SG_SG_PmS8_NS6_8equal_toIyEEEE10hipError_tPvRmT2_T3_mT4_T5_T6_T7_T8_P12ihipStream_tbENKUlT_T0_E_clISt17integral_constantIbLb0EES10_IbLb1EEEEDaSW_SX_EUlSW_E_NS1_11comp_targetILNS1_3genE5ELNS1_11target_archE942ELNS1_3gpuE9ELNS1_3repE0EEENS1_30default_config_static_selectorELNS0_4arch9wavefront6targetE1EEEvT1_
                                        ; -- End function
	.section	.AMDGPU.csdata,"",@progbits
; Kernel info:
; codeLenInByte = 0
; NumSgprs: 4
; NumVgprs: 0
; NumAgprs: 0
; TotalNumVgprs: 0
; ScratchSize: 0
; MemoryBound: 0
; FloatMode: 240
; IeeeMode: 1
; LDSByteSize: 0 bytes/workgroup (compile time only)
; SGPRBlocks: 0
; VGPRBlocks: 0
; NumSGPRsForWavesPerEU: 4
; NumVGPRsForWavesPerEU: 1
; AccumOffset: 4
; Occupancy: 8
; WaveLimiterHint : 0
; COMPUTE_PGM_RSRC2:SCRATCH_EN: 0
; COMPUTE_PGM_RSRC2:USER_SGPR: 6
; COMPUTE_PGM_RSRC2:TRAP_HANDLER: 0
; COMPUTE_PGM_RSRC2:TGID_X_EN: 1
; COMPUTE_PGM_RSRC2:TGID_Y_EN: 0
; COMPUTE_PGM_RSRC2:TGID_Z_EN: 0
; COMPUTE_PGM_RSRC2:TIDIG_COMP_CNT: 0
; COMPUTE_PGM_RSRC3_GFX90A:ACCUM_OFFSET: 0
; COMPUTE_PGM_RSRC3_GFX90A:TG_SPLIT: 0
	.section	.text._ZN7rocprim17ROCPRIM_400000_NS6detail17trampoline_kernelINS0_14default_configENS1_29reduce_by_key_config_selectorIyyN6thrust23THRUST_200600_302600_NS4plusIyEEEEZZNS1_33reduce_by_key_impl_wrapped_configILNS1_25lookback_scan_determinismE0ES3_S9_NS6_6detail15normal_iteratorINS6_10device_ptrIyEEEESG_SG_SG_PmS8_NS6_8equal_toIyEEEE10hipError_tPvRmT2_T3_mT4_T5_T6_T7_T8_P12ihipStream_tbENKUlT_T0_E_clISt17integral_constantIbLb0EES10_IbLb1EEEEDaSW_SX_EUlSW_E_NS1_11comp_targetILNS1_3genE4ELNS1_11target_archE910ELNS1_3gpuE8ELNS1_3repE0EEENS1_30default_config_static_selectorELNS0_4arch9wavefront6targetE1EEEvT1_,"axG",@progbits,_ZN7rocprim17ROCPRIM_400000_NS6detail17trampoline_kernelINS0_14default_configENS1_29reduce_by_key_config_selectorIyyN6thrust23THRUST_200600_302600_NS4plusIyEEEEZZNS1_33reduce_by_key_impl_wrapped_configILNS1_25lookback_scan_determinismE0ES3_S9_NS6_6detail15normal_iteratorINS6_10device_ptrIyEEEESG_SG_SG_PmS8_NS6_8equal_toIyEEEE10hipError_tPvRmT2_T3_mT4_T5_T6_T7_T8_P12ihipStream_tbENKUlT_T0_E_clISt17integral_constantIbLb0EES10_IbLb1EEEEDaSW_SX_EUlSW_E_NS1_11comp_targetILNS1_3genE4ELNS1_11target_archE910ELNS1_3gpuE8ELNS1_3repE0EEENS1_30default_config_static_selectorELNS0_4arch9wavefront6targetE1EEEvT1_,comdat
	.protected	_ZN7rocprim17ROCPRIM_400000_NS6detail17trampoline_kernelINS0_14default_configENS1_29reduce_by_key_config_selectorIyyN6thrust23THRUST_200600_302600_NS4plusIyEEEEZZNS1_33reduce_by_key_impl_wrapped_configILNS1_25lookback_scan_determinismE0ES3_S9_NS6_6detail15normal_iteratorINS6_10device_ptrIyEEEESG_SG_SG_PmS8_NS6_8equal_toIyEEEE10hipError_tPvRmT2_T3_mT4_T5_T6_T7_T8_P12ihipStream_tbENKUlT_T0_E_clISt17integral_constantIbLb0EES10_IbLb1EEEEDaSW_SX_EUlSW_E_NS1_11comp_targetILNS1_3genE4ELNS1_11target_archE910ELNS1_3gpuE8ELNS1_3repE0EEENS1_30default_config_static_selectorELNS0_4arch9wavefront6targetE1EEEvT1_ ; -- Begin function _ZN7rocprim17ROCPRIM_400000_NS6detail17trampoline_kernelINS0_14default_configENS1_29reduce_by_key_config_selectorIyyN6thrust23THRUST_200600_302600_NS4plusIyEEEEZZNS1_33reduce_by_key_impl_wrapped_configILNS1_25lookback_scan_determinismE0ES3_S9_NS6_6detail15normal_iteratorINS6_10device_ptrIyEEEESG_SG_SG_PmS8_NS6_8equal_toIyEEEE10hipError_tPvRmT2_T3_mT4_T5_T6_T7_T8_P12ihipStream_tbENKUlT_T0_E_clISt17integral_constantIbLb0EES10_IbLb1EEEEDaSW_SX_EUlSW_E_NS1_11comp_targetILNS1_3genE4ELNS1_11target_archE910ELNS1_3gpuE8ELNS1_3repE0EEENS1_30default_config_static_selectorELNS0_4arch9wavefront6targetE1EEEvT1_
	.globl	_ZN7rocprim17ROCPRIM_400000_NS6detail17trampoline_kernelINS0_14default_configENS1_29reduce_by_key_config_selectorIyyN6thrust23THRUST_200600_302600_NS4plusIyEEEEZZNS1_33reduce_by_key_impl_wrapped_configILNS1_25lookback_scan_determinismE0ES3_S9_NS6_6detail15normal_iteratorINS6_10device_ptrIyEEEESG_SG_SG_PmS8_NS6_8equal_toIyEEEE10hipError_tPvRmT2_T3_mT4_T5_T6_T7_T8_P12ihipStream_tbENKUlT_T0_E_clISt17integral_constantIbLb0EES10_IbLb1EEEEDaSW_SX_EUlSW_E_NS1_11comp_targetILNS1_3genE4ELNS1_11target_archE910ELNS1_3gpuE8ELNS1_3repE0EEENS1_30default_config_static_selectorELNS0_4arch9wavefront6targetE1EEEvT1_
	.p2align	8
	.type	_ZN7rocprim17ROCPRIM_400000_NS6detail17trampoline_kernelINS0_14default_configENS1_29reduce_by_key_config_selectorIyyN6thrust23THRUST_200600_302600_NS4plusIyEEEEZZNS1_33reduce_by_key_impl_wrapped_configILNS1_25lookback_scan_determinismE0ES3_S9_NS6_6detail15normal_iteratorINS6_10device_ptrIyEEEESG_SG_SG_PmS8_NS6_8equal_toIyEEEE10hipError_tPvRmT2_T3_mT4_T5_T6_T7_T8_P12ihipStream_tbENKUlT_T0_E_clISt17integral_constantIbLb0EES10_IbLb1EEEEDaSW_SX_EUlSW_E_NS1_11comp_targetILNS1_3genE4ELNS1_11target_archE910ELNS1_3gpuE8ELNS1_3repE0EEENS1_30default_config_static_selectorELNS0_4arch9wavefront6targetE1EEEvT1_,@function
_ZN7rocprim17ROCPRIM_400000_NS6detail17trampoline_kernelINS0_14default_configENS1_29reduce_by_key_config_selectorIyyN6thrust23THRUST_200600_302600_NS4plusIyEEEEZZNS1_33reduce_by_key_impl_wrapped_configILNS1_25lookback_scan_determinismE0ES3_S9_NS6_6detail15normal_iteratorINS6_10device_ptrIyEEEESG_SG_SG_PmS8_NS6_8equal_toIyEEEE10hipError_tPvRmT2_T3_mT4_T5_T6_T7_T8_P12ihipStream_tbENKUlT_T0_E_clISt17integral_constantIbLb0EES10_IbLb1EEEEDaSW_SX_EUlSW_E_NS1_11comp_targetILNS1_3genE4ELNS1_11target_archE910ELNS1_3gpuE8ELNS1_3repE0EEENS1_30default_config_static_selectorELNS0_4arch9wavefront6targetE1EEEvT1_: ; @_ZN7rocprim17ROCPRIM_400000_NS6detail17trampoline_kernelINS0_14default_configENS1_29reduce_by_key_config_selectorIyyN6thrust23THRUST_200600_302600_NS4plusIyEEEEZZNS1_33reduce_by_key_impl_wrapped_configILNS1_25lookback_scan_determinismE0ES3_S9_NS6_6detail15normal_iteratorINS6_10device_ptrIyEEEESG_SG_SG_PmS8_NS6_8equal_toIyEEEE10hipError_tPvRmT2_T3_mT4_T5_T6_T7_T8_P12ihipStream_tbENKUlT_T0_E_clISt17integral_constantIbLb0EES10_IbLb1EEEEDaSW_SX_EUlSW_E_NS1_11comp_targetILNS1_3genE4ELNS1_11target_archE910ELNS1_3gpuE8ELNS1_3repE0EEENS1_30default_config_static_selectorELNS0_4arch9wavefront6targetE1EEEvT1_
; %bb.0:
	s_load_dwordx8 s[52:59], s[4:5], 0x0
	s_load_dwordx4 s[60:63], s[4:5], 0x20
	s_load_dwordx2 s[64:65], s[4:5], 0x78
	v_cmp_ne_u32_e64 s[2:3], 0, v0
	v_cmp_eq_u32_e64 s[0:1], 0, v0
	s_and_saveexec_b64 s[6:7], s[0:1]
	s_cbranch_execz .LBB270_4
; %bb.1:
	s_mov_b64 s[10:11], exec
	v_mbcnt_lo_u32_b32 v1, s10, 0
	v_mbcnt_hi_u32_b32 v1, s11, v1
	v_cmp_eq_u32_e32 vcc, 0, v1
                                        ; implicit-def: $vgpr2
	s_and_saveexec_b64 s[8:9], vcc
	s_cbranch_execz .LBB270_3
; %bb.2:
	s_load_dwordx2 s[12:13], s[4:5], 0x80
	s_bcnt1_i32_b64 s10, s[10:11]
	v_mov_b32_e32 v2, 0
	v_mov_b32_e32 v3, s10
	s_waitcnt lgkmcnt(0)
	global_atomic_add v2, v2, v3, s[12:13] glc
.LBB270_3:
	s_or_b64 exec, exec, s[8:9]
	s_waitcnt vmcnt(0)
	v_readfirstlane_b32 s8, v2
	v_add_u32_e32 v1, s8, v1
	v_mov_b32_e32 v2, 0
	ds_write_b32 v2, v1
.LBB270_4:
	s_or_b64 exec, exec, s[6:7]
	s_load_dwordx16 s[36:51], s[4:5], 0x38
	v_mov_b32_e32 v3, 0
	s_waitcnt lgkmcnt(0)
	s_lshl_b64 s[4:5], s[54:55], 3
	s_barrier
	ds_read_b32 v1, v3
	s_add_u32 s6, s52, s4
	s_addc_u32 s7, s53, s5
	s_add_u32 s4, s56, s4
	s_mul_i32 s8, s44, s43
	s_mul_hi_u32 s9, s44, s42
	s_addc_u32 s5, s57, s5
	s_add_i32 s8, s9, s8
	s_mul_i32 s9, s45, s42
	s_add_i32 s8, s8, s9
	s_mul_i32 s9, s44, s42
	s_waitcnt lgkmcnt(0)
	v_readfirstlane_b32 s56, v1
	s_movk_i32 s10, 0xf00
	v_mul_lo_u32 v2, v1, s10
	s_add_u32 s52, s9, s56
	v_lshlrev_b64 v[2:3], 3, v[2:3]
	s_addc_u32 s53, s8, 0
	v_mov_b32_e32 v1, s7
	v_add_co_u32_e32 v79, vcc, s6, v2
	s_add_u32 s6, s46, -1
	v_addc_co_u32_e32 v81, vcc, v1, v3, vcc
	s_addc_u32 s7, s47, -1
	v_mov_b32_e32 v4, s5
	v_add_co_u32_e32 v1, vcc, s4, v2
	s_cmp_eq_u64 s[52:53], s[6:7]
	v_addc_co_u32_e32 v76, vcc, v4, v3, vcc
	s_cselect_b64 s[44:45], -1, 0
	s_cmp_lg_u64 s[52:53], s[6:7]
	s_mov_b64 s[4:5], -1
	s_cselect_b64 s[54:55], -1, 0
	s_mul_i32 s33, s6, 0xfffff100
	s_and_b64 vcc, exec, s[44:45]
	s_barrier
	s_cbranch_vccnz .LBB270_6
; %bb.5:
	v_lshlrev_b32_e32 v78, 3, v0
	v_add_co_u32_e32 v2, vcc, v79, v78
	v_addc_co_u32_e32 v3, vcc, 0, v81, vcc
	v_add_co_u32_e32 v4, vcc, 0x1000, v2
	v_addc_co_u32_e32 v5, vcc, 0, v3, vcc
	flat_load_dwordx2 v[6:7], v[2:3]
	flat_load_dwordx2 v[8:9], v[2:3] offset:2048
	flat_load_dwordx2 v[10:11], v[4:5]
	flat_load_dwordx2 v[12:13], v[4:5] offset:2048
	v_add_co_u32_e32 v4, vcc, 0x2000, v2
	v_addc_co_u32_e32 v5, vcc, 0, v3, vcc
	v_add_co_u32_e32 v14, vcc, 0x3000, v2
	v_addc_co_u32_e32 v15, vcc, 0, v3, vcc
	flat_load_dwordx2 v[16:17], v[4:5]
	flat_load_dwordx2 v[18:19], v[4:5] offset:2048
	flat_load_dwordx2 v[20:21], v[14:15]
	flat_load_dwordx2 v[22:23], v[14:15] offset:2048
	;; [unrolled: 8-line block ×3, first 2 shown]
	v_add_co_u32_e32 v4, vcc, 0x6000, v2
	v_addc_co_u32_e32 v5, vcc, 0, v3, vcc
	v_add_co_u32_e32 v2, vcc, 0x7000, v2
	v_addc_co_u32_e32 v3, vcc, 0, v3, vcc
	flat_load_dwordx2 v[14:15], v[4:5]
	flat_load_dwordx2 v[32:33], v[4:5] offset:2048
	flat_load_dwordx2 v[34:35], v[2:3]
	v_add_co_u32_e32 v36, vcc, v1, v78
	s_movk_i32 s4, 0x1000
	v_addc_co_u32_e32 v37, vcc, 0, v76, vcc
	s_movk_i32 s11, 0x70
	s_movk_i32 s5, 0x2000
	v_mad_u32_u24 v77, v0, s11, v78
	s_movk_i32 s6, 0x3000
	s_movk_i32 s7, 0x4000
	s_movk_i32 s8, 0x5000
	s_movk_i32 s9, 0x6000
	s_movk_i32 s10, 0x7000
	s_waitcnt vmcnt(0) lgkmcnt(0)
	ds_write2st64_b64 v78, v[6:7], v[8:9] offset1:4
	ds_write2st64_b64 v78, v[10:11], v[12:13] offset0:8 offset1:12
	ds_write2st64_b64 v78, v[16:17], v[18:19] offset0:16 offset1:20
	;; [unrolled: 1-line block ×6, first 2 shown]
	ds_write_b64 v78, v[34:35] offset:28672
	v_add_co_u32_e32 v30, vcc, s4, v36
	v_addc_co_u32_e32 v31, vcc, 0, v37, vcc
	s_waitcnt lgkmcnt(0)
	s_barrier
	ds_read2_b64 v[26:29], v77 offset1:1
	ds_read2_b64 v[22:25], v77 offset0:2 offset1:3
	ds_read2_b64 v[18:21], v77 offset0:4 offset1:5
	;; [unrolled: 1-line block ×6, first 2 shown]
	ds_read_b64 v[74:75], v77 offset:112
	s_waitcnt lgkmcnt(0)
	s_barrier
	flat_load_dwordx2 v[32:33], v[36:37]
	flat_load_dwordx2 v[34:35], v[36:37] offset:2048
	flat_load_dwordx2 v[38:39], v[30:31]
	flat_load_dwordx2 v[40:41], v[30:31] offset:2048
	v_add_co_u32_e32 v30, vcc, s5, v36
	v_addc_co_u32_e32 v31, vcc, 0, v37, vcc
	v_add_co_u32_e32 v42, vcc, s6, v36
	v_addc_co_u32_e32 v43, vcc, 0, v37, vcc
	flat_load_dwordx2 v[44:45], v[30:31]
	flat_load_dwordx2 v[46:47], v[30:31] offset:2048
	flat_load_dwordx2 v[48:49], v[42:43]
	flat_load_dwordx2 v[50:51], v[42:43] offset:2048
	v_add_co_u32_e32 v30, vcc, s7, v36
	v_addc_co_u32_e32 v31, vcc, 0, v37, vcc
	v_add_co_u32_e32 v42, vcc, s8, v36
	v_addc_co_u32_e32 v43, vcc, 0, v37, vcc
	;; [unrolled: 8-line block ×3, first 2 shown]
	flat_load_dwordx2 v[42:43], v[30:31]
	flat_load_dwordx2 v[82:83], v[30:31] offset:2048
	flat_load_dwordx2 v[84:85], v[36:37]
	v_mov_b32_e32 v58, v26
	v_mov_b32_e32 v59, v27
	;; [unrolled: 1-line block ×14, first 2 shown]
	s_waitcnt vmcnt(0) lgkmcnt(0)
	ds_write2st64_b64 v78, v[32:33], v[34:35] offset1:4
	ds_write2st64_b64 v78, v[38:39], v[40:41] offset0:8 offset1:12
	ds_write2st64_b64 v78, v[44:45], v[46:47] offset0:16 offset1:20
	;; [unrolled: 1-line block ×6, first 2 shown]
	ds_write_b64 v78, v[84:85] offset:28672
	s_waitcnt lgkmcnt(0)
	s_barrier
	s_add_i32 s33, s33, s48
	s_cbranch_execz .LBB270_7
	s_branch .LBB270_54
.LBB270_6:
                                        ; implicit-def: $vgpr74_vgpr75
                                        ; implicit-def: $vgpr2_vgpr3
                                        ; implicit-def: $vgpr6_vgpr7
                                        ; implicit-def: $vgpr10_vgpr11
                                        ; implicit-def: $vgpr14_vgpr15
                                        ; implicit-def: $vgpr18_vgpr19
                                        ; implicit-def: $vgpr22_vgpr23
                                        ; implicit-def: $vgpr26_vgpr27
                                        ; implicit-def: $vgpr77
                                        ; implicit-def: $vgpr66_vgpr67_vgpr68_vgpr69
                                        ; implicit-def: $vgpr62_vgpr63_vgpr64_vgpr65
                                        ; implicit-def: $vgpr58_vgpr59_vgpr60_vgpr61
                                        ; implicit-def: $vgpr70_vgpr71_vgpr72_vgpr73
	s_andn2_b64 vcc, exec, s[4:5]
	s_add_i32 s33, s33, s48
	s_cbranch_vccnz .LBB270_54
.LBB270_7:
	v_cmp_gt_u32_e32 vcc, s33, v0
                                        ; implicit-def: $vgpr2_vgpr3
	s_and_saveexec_b64 s[6:7], vcc
	s_cbranch_execz .LBB270_9
; %bb.8:
	v_lshlrev_b32_e32 v2, 3, v0
	v_add_co_u32_e64 v2, s[4:5], v79, v2
	v_addc_co_u32_e64 v3, s[4:5], 0, v81, s[4:5]
	flat_load_dwordx2 v[2:3], v[2:3]
.LBB270_9:
	s_or_b64 exec, exec, s[6:7]
	v_or_b32_e32 v4, 0x100, v0
	v_cmp_gt_u32_e64 s[4:5], s33, v4
                                        ; implicit-def: $vgpr4_vgpr5
	s_and_saveexec_b64 s[8:9], s[4:5]
	s_cbranch_execz .LBB270_11
; %bb.10:
	v_lshlrev_b32_e32 v4, 3, v0
	v_add_co_u32_e64 v4, s[6:7], v79, v4
	v_addc_co_u32_e64 v5, s[6:7], 0, v81, s[6:7]
	flat_load_dwordx2 v[4:5], v[4:5] offset:2048
.LBB270_11:
	s_or_b64 exec, exec, s[8:9]
	v_or_b32_e32 v6, 0x200, v0
	v_cmp_gt_u32_e64 s[6:7], s33, v6
	v_lshlrev_b32_e32 v36, 3, v6
                                        ; implicit-def: $vgpr6_vgpr7
	s_and_saveexec_b64 s[10:11], s[6:7]
	s_cbranch_execz .LBB270_13
; %bb.12:
	v_add_co_u32_e64 v6, s[8:9], v79, v36
	v_addc_co_u32_e64 v7, s[8:9], 0, v81, s[8:9]
	flat_load_dwordx2 v[6:7], v[6:7]
.LBB270_13:
	s_or_b64 exec, exec, s[10:11]
	v_or_b32_e32 v8, 0x300, v0
	v_cmp_gt_u32_e64 s[8:9], s33, v8
	v_lshlrev_b32_e32 v38, 3, v8
                                        ; implicit-def: $vgpr8_vgpr9
	s_and_saveexec_b64 s[12:13], s[8:9]
	s_cbranch_execz .LBB270_15
; %bb.14:
	v_add_co_u32_e64 v8, s[10:11], v79, v38
	v_addc_co_u32_e64 v9, s[10:11], 0, v81, s[10:11]
	flat_load_dwordx2 v[8:9], v[8:9]
.LBB270_15:
	s_or_b64 exec, exec, s[12:13]
	v_or_b32_e32 v10, 0x400, v0
	v_cmp_gt_u32_e64 s[10:11], s33, v10
	v_lshlrev_b32_e32 v40, 3, v10
                                        ; implicit-def: $vgpr10_vgpr11
	s_and_saveexec_b64 s[14:15], s[10:11]
	s_cbranch_execz .LBB270_17
; %bb.16:
	v_add_co_u32_e64 v10, s[12:13], v79, v40
	v_addc_co_u32_e64 v11, s[12:13], 0, v81, s[12:13]
	flat_load_dwordx2 v[10:11], v[10:11]
.LBB270_17:
	s_or_b64 exec, exec, s[14:15]
	v_or_b32_e32 v12, 0x500, v0
	v_cmp_gt_u32_e64 s[12:13], s33, v12
	v_lshlrev_b32_e32 v42, 3, v12
                                        ; implicit-def: $vgpr12_vgpr13
	s_and_saveexec_b64 s[16:17], s[12:13]
	s_cbranch_execz .LBB270_19
; %bb.18:
	v_add_co_u32_e64 v12, s[14:15], v79, v42
	v_addc_co_u32_e64 v13, s[14:15], 0, v81, s[14:15]
	flat_load_dwordx2 v[12:13], v[12:13]
.LBB270_19:
	s_or_b64 exec, exec, s[16:17]
	v_or_b32_e32 v14, 0x600, v0
	v_cmp_gt_u32_e64 s[14:15], s33, v14
	v_lshlrev_b32_e32 v44, 3, v14
                                        ; implicit-def: $vgpr14_vgpr15
	s_and_saveexec_b64 s[18:19], s[14:15]
	s_cbranch_execz .LBB270_21
; %bb.20:
	v_add_co_u32_e64 v14, s[16:17], v79, v44
	v_addc_co_u32_e64 v15, s[16:17], 0, v81, s[16:17]
	flat_load_dwordx2 v[14:15], v[14:15]
.LBB270_21:
	s_or_b64 exec, exec, s[18:19]
	v_or_b32_e32 v16, 0x700, v0
	v_cmp_gt_u32_e64 s[16:17], s33, v16
	v_lshlrev_b32_e32 v46, 3, v16
                                        ; implicit-def: $vgpr16_vgpr17
	s_and_saveexec_b64 s[20:21], s[16:17]
	s_cbranch_execz .LBB270_23
; %bb.22:
	v_add_co_u32_e64 v16, s[18:19], v79, v46
	v_addc_co_u32_e64 v17, s[18:19], 0, v81, s[18:19]
	flat_load_dwordx2 v[16:17], v[16:17]
.LBB270_23:
	s_or_b64 exec, exec, s[20:21]
	v_or_b32_e32 v18, 0x800, v0
	v_cmp_gt_u32_e64 s[18:19], s33, v18
	v_lshlrev_b32_e32 v48, 3, v18
                                        ; implicit-def: $vgpr18_vgpr19
	s_and_saveexec_b64 s[22:23], s[18:19]
	s_cbranch_execz .LBB270_25
; %bb.24:
	v_add_co_u32_e64 v18, s[20:21], v79, v48
	v_addc_co_u32_e64 v19, s[20:21], 0, v81, s[20:21]
	flat_load_dwordx2 v[18:19], v[18:19]
.LBB270_25:
	s_or_b64 exec, exec, s[22:23]
	v_or_b32_e32 v20, 0x900, v0
	v_cmp_gt_u32_e64 s[20:21], s33, v20
	v_lshlrev_b32_e32 v50, 3, v20
                                        ; implicit-def: $vgpr20_vgpr21
	s_and_saveexec_b64 s[24:25], s[20:21]
	s_cbranch_execz .LBB270_27
; %bb.26:
	v_add_co_u32_e64 v20, s[22:23], v79, v50
	v_addc_co_u32_e64 v21, s[22:23], 0, v81, s[22:23]
	flat_load_dwordx2 v[20:21], v[20:21]
.LBB270_27:
	s_or_b64 exec, exec, s[24:25]
	v_or_b32_e32 v22, 0xa00, v0
	v_cmp_gt_u32_e64 s[22:23], s33, v22
	v_lshlrev_b32_e32 v52, 3, v22
                                        ; implicit-def: $vgpr22_vgpr23
	s_and_saveexec_b64 s[26:27], s[22:23]
	s_cbranch_execz .LBB270_29
; %bb.28:
	v_add_co_u32_e64 v22, s[24:25], v79, v52
	v_addc_co_u32_e64 v23, s[24:25], 0, v81, s[24:25]
	flat_load_dwordx2 v[22:23], v[22:23]
.LBB270_29:
	s_or_b64 exec, exec, s[26:27]
	v_or_b32_e32 v24, 0xb00, v0
	v_cmp_gt_u32_e64 s[24:25], s33, v24
	v_lshlrev_b32_e32 v54, 3, v24
                                        ; implicit-def: $vgpr24_vgpr25
	s_and_saveexec_b64 s[28:29], s[24:25]
	s_cbranch_execz .LBB270_31
; %bb.30:
	v_add_co_u32_e64 v24, s[26:27], v79, v54
	v_addc_co_u32_e64 v25, s[26:27], 0, v81, s[26:27]
	flat_load_dwordx2 v[24:25], v[24:25]
.LBB270_31:
	s_or_b64 exec, exec, s[28:29]
	v_or_b32_e32 v26, 0xc00, v0
	v_cmp_gt_u32_e64 s[26:27], s33, v26
	v_lshlrev_b32_e32 v56, 3, v26
                                        ; implicit-def: $vgpr26_vgpr27
	s_and_saveexec_b64 s[30:31], s[26:27]
	s_cbranch_execz .LBB270_33
; %bb.32:
	v_add_co_u32_e64 v26, s[28:29], v79, v56
	v_addc_co_u32_e64 v27, s[28:29], 0, v81, s[28:29]
	flat_load_dwordx2 v[26:27], v[26:27]
.LBB270_33:
	s_or_b64 exec, exec, s[30:31]
	v_or_b32_e32 v28, 0xd00, v0
	v_cmp_gt_u32_e64 s[28:29], s33, v28
	v_lshlrev_b32_e32 v58, 3, v28
                                        ; implicit-def: $vgpr28_vgpr29
	s_and_saveexec_b64 s[34:35], s[28:29]
	s_cbranch_execz .LBB270_35
; %bb.34:
	v_add_co_u32_e64 v28, s[30:31], v79, v58
	v_addc_co_u32_e64 v29, s[30:31], 0, v81, s[30:31]
	flat_load_dwordx2 v[28:29], v[28:29]
.LBB270_35:
	s_or_b64 exec, exec, s[34:35]
	v_or_b32_e32 v30, 0xe00, v0
	v_cmp_gt_u32_e64 s[30:31], s33, v30
	v_lshlrev_b32_e32 v61, 3, v30
                                        ; implicit-def: $vgpr30_vgpr31
	s_and_saveexec_b64 s[46:47], s[30:31]
	s_cbranch_execz .LBB270_37
; %bb.36:
	v_add_co_u32_e64 v30, s[34:35], v79, v61
	v_addc_co_u32_e64 v31, s[34:35], 0, v81, s[34:35]
	flat_load_dwordx2 v[30:31], v[30:31]
.LBB270_37:
	s_or_b64 exec, exec, s[46:47]
	v_lshlrev_b32_e32 v60, 3, v0
	s_movk_i32 s34, 0x70
	v_mad_u32_u24 v77, v0, s34, v60
	s_waitcnt vmcnt(0) lgkmcnt(0)
	ds_write2st64_b64 v60, v[2:3], v[4:5] offset1:4
	ds_write2st64_b64 v60, v[6:7], v[8:9] offset0:8 offset1:12
	ds_write2st64_b64 v60, v[10:11], v[12:13] offset0:16 offset1:20
	;; [unrolled: 1-line block ×6, first 2 shown]
	ds_write_b64 v60, v[30:31] offset:28672
	s_waitcnt lgkmcnt(0)
	s_barrier
	ds_read2_b64 v[26:29], v77 offset1:1
	ds_read2_b64 v[22:25], v77 offset0:2 offset1:3
	ds_read2_b64 v[18:21], v77 offset0:4 offset1:5
	;; [unrolled: 1-line block ×6, first 2 shown]
	ds_read_b64 v[74:75], v77 offset:112
	s_waitcnt lgkmcnt(0)
	s_barrier
	s_waitcnt lgkmcnt(0)
                                        ; implicit-def: $vgpr30_vgpr31
	s_and_saveexec_b64 s[34:35], vcc
	s_cbranch_execnz .LBB270_61
; %bb.38:
	s_or_b64 exec, exec, s[34:35]
                                        ; implicit-def: $vgpr32_vgpr33
	s_and_saveexec_b64 s[34:35], s[4:5]
	s_cbranch_execnz .LBB270_62
.LBB270_39:
	s_or_b64 exec, exec, s[34:35]
                                        ; implicit-def: $vgpr34_vgpr35
	s_and_saveexec_b64 s[4:5], s[6:7]
	s_cbranch_execnz .LBB270_63
.LBB270_40:
	s_or_b64 exec, exec, s[4:5]
                                        ; implicit-def: $vgpr36_vgpr37
	s_and_saveexec_b64 s[4:5], s[8:9]
	s_cbranch_execnz .LBB270_64
.LBB270_41:
	s_or_b64 exec, exec, s[4:5]
                                        ; implicit-def: $vgpr38_vgpr39
	s_and_saveexec_b64 s[4:5], s[10:11]
	s_cbranch_execnz .LBB270_65
.LBB270_42:
	s_or_b64 exec, exec, s[4:5]
                                        ; implicit-def: $vgpr40_vgpr41
	s_and_saveexec_b64 s[4:5], s[12:13]
	s_cbranch_execnz .LBB270_66
.LBB270_43:
	s_or_b64 exec, exec, s[4:5]
                                        ; implicit-def: $vgpr42_vgpr43
	s_and_saveexec_b64 s[4:5], s[14:15]
	s_cbranch_execnz .LBB270_67
.LBB270_44:
	s_or_b64 exec, exec, s[4:5]
                                        ; implicit-def: $vgpr44_vgpr45
	s_and_saveexec_b64 s[4:5], s[16:17]
	s_cbranch_execnz .LBB270_68
.LBB270_45:
	s_or_b64 exec, exec, s[4:5]
                                        ; implicit-def: $vgpr46_vgpr47
	s_and_saveexec_b64 s[4:5], s[18:19]
	s_cbranch_execnz .LBB270_69
.LBB270_46:
	s_or_b64 exec, exec, s[4:5]
                                        ; implicit-def: $vgpr48_vgpr49
	s_and_saveexec_b64 s[4:5], s[20:21]
	s_cbranch_execnz .LBB270_70
.LBB270_47:
	s_or_b64 exec, exec, s[4:5]
                                        ; implicit-def: $vgpr50_vgpr51
	s_and_saveexec_b64 s[4:5], s[22:23]
	s_cbranch_execnz .LBB270_71
.LBB270_48:
	s_or_b64 exec, exec, s[4:5]
                                        ; implicit-def: $vgpr52_vgpr53
	s_and_saveexec_b64 s[4:5], s[24:25]
	s_cbranch_execnz .LBB270_72
.LBB270_49:
	s_or_b64 exec, exec, s[4:5]
                                        ; implicit-def: $vgpr54_vgpr55
	s_and_saveexec_b64 s[4:5], s[26:27]
	s_cbranch_execnz .LBB270_73
.LBB270_50:
	s_or_b64 exec, exec, s[4:5]
                                        ; implicit-def: $vgpr56_vgpr57
	s_and_saveexec_b64 s[4:5], s[28:29]
	s_cbranch_execnz .LBB270_74
.LBB270_51:
	s_or_b64 exec, exec, s[4:5]
                                        ; implicit-def: $vgpr58_vgpr59
	s_and_saveexec_b64 s[4:5], s[30:31]
	s_cbranch_execz .LBB270_53
.LBB270_52:
	v_add_co_u32_e32 v58, vcc, v1, v61
	v_addc_co_u32_e32 v59, vcc, 0, v76, vcc
	flat_load_dwordx2 v[58:59], v[58:59]
.LBB270_53:
	s_or_b64 exec, exec, s[4:5]
	s_waitcnt vmcnt(0) lgkmcnt(0)
	ds_write2st64_b64 v60, v[30:31], v[32:33] offset1:4
	ds_write2st64_b64 v60, v[34:35], v[36:37] offset0:8 offset1:12
	ds_write2st64_b64 v60, v[38:39], v[40:41] offset0:16 offset1:20
	ds_write2st64_b64 v60, v[42:43], v[44:45] offset0:24 offset1:28
	ds_write2st64_b64 v60, v[46:47], v[48:49] offset0:32 offset1:36
	ds_write2st64_b64 v60, v[50:51], v[52:53] offset0:40 offset1:44
	ds_write2st64_b64 v60, v[54:55], v[56:57] offset0:48 offset1:52
	ds_write_b64 v60, v[58:59] offset:28672
	v_mov_b32_e32 v58, v26
	v_mov_b32_e32 v59, v27
	;; [unrolled: 1-line block ×14, first 2 shown]
	s_waitcnt lgkmcnt(0)
	s_barrier
.LBB270_54:
	ds_read2_b64 v[54:57], v77 offset1:1
	ds_read2_b64 v[50:53], v77 offset0:2 offset1:3
	ds_read2_b64 v[46:49], v77 offset0:4 offset1:5
	ds_read2_b64 v[42:45], v77 offset0:6 offset1:7
	ds_read2_b64 v[38:41], v77 offset0:8 offset1:9
	ds_read2_b64 v[34:37], v77 offset0:10 offset1:11
	ds_read2_b64 v[30:33], v77 offset0:12 offset1:13
	ds_read_b64 v[72:73], v77 offset:112
	s_cmp_eq_u64 s[52:53], 0
	s_cselect_b64 s[46:47], -1, 0
	s_cmp_lg_u64 s[52:53], 0
	s_mov_b64 s[34:35], 0
	s_cselect_b64 s[30:31], -1, 0
	s_and_b64 vcc, exec, s[54:55]
	s_waitcnt lgkmcnt(0)
	s_barrier
	s_cbranch_vccz .LBB270_60
; %bb.55:
	s_and_b64 vcc, exec, s[30:31]
	s_cbranch_vccz .LBB270_75
; %bb.56:
	v_add_co_u32_e32 v76, vcc, -8, v79
	v_addc_co_u32_e32 v77, vcc, -1, v81, vcc
	flat_load_dwordx2 v[76:77], v[76:77]
	v_lshlrev_b32_e32 v1, 3, v0
	v_cmp_ne_u64_e32 vcc, v[4:5], v[74:75]
	v_cmp_ne_u64_e64 s[4:5], v[2:3], v[4:5]
	v_cmp_ne_u64_e64 s[6:7], v[8:9], v[2:3]
	v_cmp_ne_u64_e64 s[8:9], v[6:7], v[8:9]
	v_cmp_ne_u64_e64 s[10:11], v[12:13], v[6:7]
	v_cmp_ne_u64_e64 s[12:13], v[10:11], v[12:13]
	v_cmp_ne_u64_e64 s[14:15], v[16:17], v[10:11]
	v_cmp_ne_u64_e64 s[16:17], v[14:15], v[16:17]
	v_cmp_ne_u64_e64 s[18:19], v[20:21], v[14:15]
	v_cmp_ne_u64_e64 s[20:21], v[18:19], v[20:21]
	v_cmp_ne_u64_e64 s[22:23], v[24:25], v[18:19]
	v_cmp_ne_u64_e64 s[24:25], v[22:23], v[24:25]
	v_cmp_ne_u64_e64 s[26:27], v[28:29], v[22:23]
	v_cmp_ne_u64_e64 s[28:29], v[26:27], v[28:29]
	ds_write_b64 v1, v[74:75]
	s_waitcnt lgkmcnt(0)
	s_barrier
	s_and_saveexec_b64 s[34:35], s[2:3]
	s_cbranch_execz .LBB270_58
; %bb.57:
	v_add_u32_e32 v1, -8, v1
	s_waitcnt vmcnt(0)
	ds_read_b64 v[76:77], v1
.LBB270_58:
	s_or_b64 exec, exec, s[34:35]
	v_cndmask_b32_e64 v1, 0, 1, vcc
	v_cndmask_b32_e64 v100, 0, 1, s[4:5]
	v_cndmask_b32_e64 v101, 0, 1, s[6:7]
	;; [unrolled: 1-line block ×13, first 2 shown]
	s_waitcnt vmcnt(0) lgkmcnt(0)
	v_cmp_ne_u64_e64 s[4:5], v[76:77], v[26:27]
	s_mov_b64 s[34:35], -1
.LBB270_59:
                                        ; implicit-def: $sgpr8
	s_branch .LBB270_87
.LBB270_60:
                                        ; implicit-def: $sgpr4_sgpr5
                                        ; implicit-def: $vgpr1
                                        ; implicit-def: $vgpr100
                                        ; implicit-def: $vgpr101
                                        ; implicit-def: $vgpr102
                                        ; implicit-def: $vgpr103
                                        ; implicit-def: $vgpr104
                                        ; implicit-def: $vgpr105
                                        ; implicit-def: $vgpr106
                                        ; implicit-def: $vgpr107
                                        ; implicit-def: $vgpr108
                                        ; implicit-def: $vgpr109
                                        ; implicit-def: $vgpr110
                                        ; implicit-def: $vgpr111
                                        ; implicit-def: $vgpr112
                                        ; implicit-def: $sgpr8
	s_cbranch_execnz .LBB270_79
	s_branch .LBB270_87
.LBB270_61:
	v_add_co_u32_e32 v30, vcc, v1, v60
	v_addc_co_u32_e32 v31, vcc, 0, v76, vcc
	flat_load_dwordx2 v[30:31], v[30:31]
	s_or_b64 exec, exec, s[34:35]
                                        ; implicit-def: $vgpr32_vgpr33
	s_and_saveexec_b64 s[34:35], s[4:5]
	s_cbranch_execz .LBB270_39
.LBB270_62:
	v_add_co_u32_e32 v32, vcc, v1, v60
	v_addc_co_u32_e32 v33, vcc, 0, v76, vcc
	flat_load_dwordx2 v[32:33], v[32:33] offset:2048
	s_or_b64 exec, exec, s[34:35]
                                        ; implicit-def: $vgpr34_vgpr35
	s_and_saveexec_b64 s[4:5], s[6:7]
	s_cbranch_execz .LBB270_40
.LBB270_63:
	v_add_co_u32_e32 v34, vcc, v1, v36
	v_addc_co_u32_e32 v35, vcc, 0, v76, vcc
	flat_load_dwordx2 v[34:35], v[34:35]
	s_or_b64 exec, exec, s[4:5]
                                        ; implicit-def: $vgpr36_vgpr37
	s_and_saveexec_b64 s[4:5], s[8:9]
	s_cbranch_execz .LBB270_41
.LBB270_64:
	v_add_co_u32_e32 v36, vcc, v1, v38
	v_addc_co_u32_e32 v37, vcc, 0, v76, vcc
	flat_load_dwordx2 v[36:37], v[36:37]
	s_or_b64 exec, exec, s[4:5]
                                        ; implicit-def: $vgpr38_vgpr39
	s_and_saveexec_b64 s[4:5], s[10:11]
	s_cbranch_execz .LBB270_42
.LBB270_65:
	v_add_co_u32_e32 v38, vcc, v1, v40
	v_addc_co_u32_e32 v39, vcc, 0, v76, vcc
	flat_load_dwordx2 v[38:39], v[38:39]
	s_or_b64 exec, exec, s[4:5]
                                        ; implicit-def: $vgpr40_vgpr41
	s_and_saveexec_b64 s[4:5], s[12:13]
	s_cbranch_execz .LBB270_43
.LBB270_66:
	v_add_co_u32_e32 v40, vcc, v1, v42
	v_addc_co_u32_e32 v41, vcc, 0, v76, vcc
	flat_load_dwordx2 v[40:41], v[40:41]
	s_or_b64 exec, exec, s[4:5]
                                        ; implicit-def: $vgpr42_vgpr43
	s_and_saveexec_b64 s[4:5], s[14:15]
	s_cbranch_execz .LBB270_44
.LBB270_67:
	v_add_co_u32_e32 v42, vcc, v1, v44
	v_addc_co_u32_e32 v43, vcc, 0, v76, vcc
	flat_load_dwordx2 v[42:43], v[42:43]
	s_or_b64 exec, exec, s[4:5]
                                        ; implicit-def: $vgpr44_vgpr45
	s_and_saveexec_b64 s[4:5], s[16:17]
	s_cbranch_execz .LBB270_45
.LBB270_68:
	v_add_co_u32_e32 v44, vcc, v1, v46
	v_addc_co_u32_e32 v45, vcc, 0, v76, vcc
	flat_load_dwordx2 v[44:45], v[44:45]
	s_or_b64 exec, exec, s[4:5]
                                        ; implicit-def: $vgpr46_vgpr47
	s_and_saveexec_b64 s[4:5], s[18:19]
	s_cbranch_execz .LBB270_46
.LBB270_69:
	v_add_co_u32_e32 v46, vcc, v1, v48
	v_addc_co_u32_e32 v47, vcc, 0, v76, vcc
	flat_load_dwordx2 v[46:47], v[46:47]
	s_or_b64 exec, exec, s[4:5]
                                        ; implicit-def: $vgpr48_vgpr49
	s_and_saveexec_b64 s[4:5], s[20:21]
	s_cbranch_execz .LBB270_47
.LBB270_70:
	v_add_co_u32_e32 v48, vcc, v1, v50
	v_addc_co_u32_e32 v49, vcc, 0, v76, vcc
	flat_load_dwordx2 v[48:49], v[48:49]
	s_or_b64 exec, exec, s[4:5]
                                        ; implicit-def: $vgpr50_vgpr51
	s_and_saveexec_b64 s[4:5], s[22:23]
	s_cbranch_execz .LBB270_48
.LBB270_71:
	v_add_co_u32_e32 v50, vcc, v1, v52
	v_addc_co_u32_e32 v51, vcc, 0, v76, vcc
	flat_load_dwordx2 v[50:51], v[50:51]
	s_or_b64 exec, exec, s[4:5]
                                        ; implicit-def: $vgpr52_vgpr53
	s_and_saveexec_b64 s[4:5], s[24:25]
	s_cbranch_execz .LBB270_49
.LBB270_72:
	v_add_co_u32_e32 v52, vcc, v1, v54
	v_addc_co_u32_e32 v53, vcc, 0, v76, vcc
	flat_load_dwordx2 v[52:53], v[52:53]
	s_or_b64 exec, exec, s[4:5]
                                        ; implicit-def: $vgpr54_vgpr55
	s_and_saveexec_b64 s[4:5], s[26:27]
	s_cbranch_execz .LBB270_50
.LBB270_73:
	v_add_co_u32_e32 v54, vcc, v1, v56
	v_addc_co_u32_e32 v55, vcc, 0, v76, vcc
	flat_load_dwordx2 v[54:55], v[54:55]
	s_or_b64 exec, exec, s[4:5]
                                        ; implicit-def: $vgpr56_vgpr57
	s_and_saveexec_b64 s[4:5], s[28:29]
	s_cbranch_execz .LBB270_51
.LBB270_74:
	v_add_co_u32_e32 v56, vcc, v1, v58
	v_addc_co_u32_e32 v57, vcc, 0, v76, vcc
	flat_load_dwordx2 v[56:57], v[56:57]
	s_or_b64 exec, exec, s[4:5]
                                        ; implicit-def: $vgpr58_vgpr59
	s_and_saveexec_b64 s[4:5], s[30:31]
	s_cbranch_execnz .LBB270_52
	s_branch .LBB270_53
.LBB270_75:
                                        ; implicit-def: $sgpr4_sgpr5
                                        ; implicit-def: $vgpr1
                                        ; implicit-def: $vgpr100
                                        ; implicit-def: $vgpr101
                                        ; implicit-def: $vgpr102
                                        ; implicit-def: $vgpr103
                                        ; implicit-def: $vgpr104
                                        ; implicit-def: $vgpr105
                                        ; implicit-def: $vgpr106
                                        ; implicit-def: $vgpr107
                                        ; implicit-def: $vgpr108
                                        ; implicit-def: $vgpr109
                                        ; implicit-def: $vgpr110
                                        ; implicit-def: $vgpr111
                                        ; implicit-def: $vgpr112
	s_cbranch_execz .LBB270_59
; %bb.76:
	v_cmp_ne_u64_e32 vcc, v[28:29], v[58:59]
	v_cndmask_b32_e64 v112, 0, 1, vcc
	v_cmp_ne_u64_e32 vcc, v[28:29], v[60:61]
	v_cndmask_b32_e64 v111, 0, 1, vcc
	;; [unrolled: 2-line block ×13, first 2 shown]
	v_cmp_ne_u64_e32 vcc, v[4:5], v[74:75]
	v_lshlrev_b32_e32 v76, 3, v0
	v_cndmask_b32_e64 v1, 0, 1, vcc
	ds_write_b64 v76, v[74:75]
	s_waitcnt lgkmcnt(0)
	s_barrier
	s_waitcnt lgkmcnt(0)
                                        ; implicit-def: $sgpr4_sgpr5
	s_and_saveexec_b64 s[6:7], s[2:3]
	s_xor_b64 s[6:7], exec, s[6:7]
	s_cbranch_execz .LBB270_78
; %bb.77:
	v_add_u32_e32 v58, -8, v76
	ds_read_b64 v[58:59], v58
	s_or_b64 s[34:35], s[34:35], exec
	s_waitcnt lgkmcnt(0)
	v_cmp_ne_u64_e32 vcc, v[58:59], v[26:27]
	s_and_b64 s[4:5], vcc, exec
.LBB270_78:
	s_or_b64 exec, exec, s[6:7]
	s_mov_b32 s8, 1
	s_branch .LBB270_87
.LBB270_79:
	s_mul_hi_u32 s5, s52, 0xfffff100
	s_mul_i32 s4, s53, 0xfffff100
	s_sub_i32 s5, s5, s52
	s_add_i32 s5, s5, s4
	s_mul_i32 s4, s52, 0xfffff100
	s_add_u32 s48, s4, s48
	s_addc_u32 s49, s5, s49
	s_and_b64 vcc, exec, s[30:31]
	v_cmp_ne_u64_e64 s[30:31], v[4:5], v[74:75]
	v_cmp_ne_u64_e64 s[28:29], v[2:3], v[4:5]
	;; [unrolled: 1-line block ×14, first 2 shown]
	v_mad_u32_u24 v58, v0, 15, 14
	v_mad_u32_u24 v88, v0, 15, 13
	;; [unrolled: 1-line block ×14, first 2 shown]
	s_cbranch_vccz .LBB270_84
; %bb.80:
	v_add_co_u32_e32 v90, vcc, -8, v79
	v_addc_co_u32_e32 v91, vcc, -1, v81, vcc
	flat_load_dwordx2 v[90:91], v[90:91]
	v_mov_b32_e32 v59, 0
	v_cmp_gt_u64_e32 vcc, s[48:49], v[58:59]
	v_mov_b32_e32 v89, v59
	s_and_b64 s[30:31], vcc, s[30:31]
	v_cmp_gt_u64_e32 vcc, s[48:49], v[88:89]
	v_mov_b32_e32 v87, v59
	s_and_b64 s[28:29], vcc, s[28:29]
	;; [unrolled: 3-line block ×13, first 2 shown]
	v_cmp_gt_u64_e32 vcc, s[48:49], v[60:61]
	v_lshlrev_b32_e32 v1, 3, v0
	v_mul_u32_u24_e32 v92, 15, v0
	s_and_b64 s[4:5], vcc, s[4:5]
	ds_write_b64 v1, v[74:75]
	s_waitcnt lgkmcnt(0)
	s_barrier
	s_and_saveexec_b64 s[34:35], s[2:3]
	s_cbranch_execz .LBB270_82
; %bb.81:
	v_add_u32_e32 v1, -8, v1
	s_waitcnt vmcnt(0)
	ds_read_b64 v[90:91], v1
.LBB270_82:
	s_or_b64 exec, exec, s[34:35]
	v_mov_b32_e32 v93, v59
	v_cndmask_b32_e64 v112, 0, 1, s[4:5]
	v_cmp_gt_u64_e32 vcc, s[48:49], v[92:93]
	s_waitcnt vmcnt(0) lgkmcnt(0)
	v_cmp_ne_u64_e64 s[4:5], v[90:91], v[26:27]
	v_cndmask_b32_e64 v1, 0, 1, s[30:31]
	v_cndmask_b32_e64 v100, 0, 1, s[28:29]
	;; [unrolled: 1-line block ×13, first 2 shown]
	s_and_b64 s[4:5], vcc, s[4:5]
	s_mov_b64 s[34:35], -1
.LBB270_83:
                                        ; implicit-def: $sgpr8
	v_mov_b32_e32 v113, s8
	s_and_saveexec_b64 s[2:3], s[34:35]
	s_cbranch_execnz .LBB270_88
	s_branch .LBB270_89
.LBB270_84:
                                        ; implicit-def: $sgpr4_sgpr5
                                        ; implicit-def: $vgpr1
                                        ; implicit-def: $vgpr100
                                        ; implicit-def: $vgpr101
                                        ; implicit-def: $vgpr102
                                        ; implicit-def: $vgpr103
                                        ; implicit-def: $vgpr104
                                        ; implicit-def: $vgpr105
                                        ; implicit-def: $vgpr106
                                        ; implicit-def: $vgpr107
                                        ; implicit-def: $vgpr108
                                        ; implicit-def: $vgpr109
                                        ; implicit-def: $vgpr110
                                        ; implicit-def: $vgpr111
                                        ; implicit-def: $vgpr112
	s_cbranch_execz .LBB270_83
; %bb.85:
	v_mov_b32_e32 v59, 0
	v_cmp_gt_u64_e32 vcc, s[48:49], v[58:59]
	v_cmp_ne_u64_e64 s[4:5], v[4:5], v[74:75]
	s_and_b64 s[4:5], vcc, s[4:5]
	v_mov_b32_e32 v89, v59
	v_cndmask_b32_e64 v1, 0, 1, s[4:5]
	v_cmp_gt_u64_e32 vcc, s[48:49], v[88:89]
	v_cmp_ne_u64_e64 s[4:5], v[2:3], v[4:5]
	s_and_b64 s[4:5], vcc, s[4:5]
	v_mov_b32_e32 v87, v59
	v_cndmask_b32_e64 v100, 0, 1, s[4:5]
	;; [unrolled: 5-line block ×13, first 2 shown]
	v_cmp_gt_u64_e32 vcc, s[48:49], v[60:61]
	v_cmp_ne_u64_e64 s[4:5], v[26:27], v[28:29]
	s_and_b64 s[4:5], vcc, s[4:5]
	v_lshlrev_b32_e32 v90, 3, v0
	s_mov_b32 s8, 1
	v_cndmask_b32_e64 v112, 0, 1, s[4:5]
	ds_write_b64 v90, v[74:75]
	s_waitcnt lgkmcnt(0)
	s_barrier
	s_waitcnt lgkmcnt(0)
                                        ; implicit-def: $sgpr4_sgpr5
	s_and_saveexec_b64 s[6:7], s[2:3]
	s_cbranch_execz .LBB270_224
; %bb.86:
	v_add_u32_e32 v58, -8, v90
	ds_read_b64 v[60:61], v58
	v_mul_u32_u24_e32 v58, 15, v0
	v_cmp_gt_u64_e32 vcc, s[48:49], v[58:59]
	s_or_b64 s[34:35], s[34:35], exec
	s_waitcnt lgkmcnt(0)
	v_cmp_ne_u64_e64 s[2:3], v[60:61], v[26:27]
	s_and_b64 s[2:3], vcc, s[2:3]
	s_and_b64 s[4:5], s[2:3], exec
	s_or_b64 exec, exec, s[6:7]
.LBB270_87:
	v_mov_b32_e32 v113, s8
	s_and_saveexec_b64 s[2:3], s[34:35]
.LBB270_88:
	v_cndmask_b32_e64 v113, 0, 1, s[4:5]
.LBB270_89:
	s_or_b64 exec, exec, s[2:3]
	s_cmp_eq_u64 s[42:43], 0
	v_add3_u32 v58, v112, v113, v111
	v_mov_b32_e32 v96, v54
	v_mov_b32_e32 v97, v55
	s_cselect_b64 s[30:31], -1, 0
	s_cmp_lg_u32 s56, 0
	v_cmp_eq_u32_e64 s[26:27], 0, v112
	v_cmp_eq_u32_e64 s[24:25], 0, v111
	;; [unrolled: 1-line block ×3, first 2 shown]
	v_add3_u32 v115, v58, v110, v109
	v_cmp_eq_u32_e64 s[20:21], 0, v109
	v_cmp_eq_u32_e64 s[18:19], 0, v108
	v_cmp_eq_u32_e64 s[16:17], 0, v107
	v_cmp_eq_u32_e64 s[14:15], 0, v106
	v_cmp_eq_u32_e64 s[12:13], 0, v105
	v_cmp_eq_u32_e64 s[10:11], 0, v104
	v_cmp_eq_u32_e64 s[8:9], 0, v103
	v_cmp_eq_u32_e64 s[6:7], 0, v102
	v_cmp_eq_u32_e64 s[4:5], 0, v101
	v_cmp_eq_u32_e64 s[2:3], 0, v100
	v_cmp_eq_u32_e32 vcc, 0, v1
	v_mbcnt_lo_u32_b32 v114, -1, 0
	s_cbranch_scc0 .LBB270_156
; %bb.90:
	v_cndmask_b32_e64 v59, 0, v54, s[26:27]
	v_cndmask_b32_e64 v58, 0, v55, s[26:27]
	v_add_co_u32_e64 v59, s[28:29], v59, v56
	v_addc_co_u32_e64 v58, s[28:29], v58, v57, s[28:29]
	v_cndmask_b32_e64 v59, 0, v59, s[24:25]
	v_cndmask_b32_e64 v58, 0, v58, s[24:25]
	v_add_co_u32_e64 v59, s[28:29], v59, v50
	v_addc_co_u32_e64 v58, s[28:29], v58, v51, s[28:29]
	v_cndmask_b32_e64 v59, 0, v59, s[22:23]
	v_cndmask_b32_e64 v58, 0, v58, s[22:23]
	v_add_co_u32_e64 v59, s[28:29], v59, v52
	v_addc_co_u32_e64 v58, s[28:29], v58, v53, s[28:29]
	v_cndmask_b32_e64 v59, 0, v59, s[20:21]
	v_cndmask_b32_e64 v58, 0, v58, s[20:21]
	v_add_co_u32_e64 v59, s[28:29], v59, v46
	v_addc_co_u32_e64 v58, s[28:29], v58, v47, s[28:29]
	v_cndmask_b32_e64 v59, 0, v59, s[18:19]
	v_cndmask_b32_e64 v58, 0, v58, s[18:19]
	v_add_co_u32_e64 v59, s[28:29], v59, v48
	v_addc_co_u32_e64 v58, s[28:29], v58, v49, s[28:29]
	v_cndmask_b32_e64 v59, 0, v59, s[16:17]
	v_cndmask_b32_e64 v58, 0, v58, s[16:17]
	v_add_co_u32_e64 v59, s[28:29], v59, v42
	v_addc_co_u32_e64 v58, s[28:29], v58, v43, s[28:29]
	v_cndmask_b32_e64 v59, 0, v59, s[14:15]
	v_cndmask_b32_e64 v58, 0, v58, s[14:15]
	v_add_co_u32_e64 v59, s[28:29], v59, v44
	v_addc_co_u32_e64 v58, s[28:29], v58, v45, s[28:29]
	v_cndmask_b32_e64 v59, 0, v59, s[12:13]
	v_cndmask_b32_e64 v58, 0, v58, s[12:13]
	v_add_co_u32_e64 v59, s[28:29], v59, v38
	v_addc_co_u32_e64 v58, s[28:29], v58, v39, s[28:29]
	v_cndmask_b32_e64 v59, 0, v59, s[10:11]
	v_cndmask_b32_e64 v58, 0, v58, s[10:11]
	v_add_co_u32_e64 v59, s[28:29], v59, v40
	v_addc_co_u32_e64 v58, s[28:29], v58, v41, s[28:29]
	v_cndmask_b32_e64 v59, 0, v59, s[8:9]
	v_cndmask_b32_e64 v58, 0, v58, s[8:9]
	v_add_co_u32_e64 v59, s[28:29], v59, v34
	v_addc_co_u32_e64 v58, s[28:29], v58, v35, s[28:29]
	v_cndmask_b32_e64 v59, 0, v59, s[6:7]
	v_cndmask_b32_e64 v58, 0, v58, s[6:7]
	v_add_co_u32_e64 v59, s[28:29], v59, v36
	v_addc_co_u32_e64 v58, s[28:29], v58, v37, s[28:29]
	v_cndmask_b32_e64 v59, 0, v59, s[4:5]
	v_add3_u32 v60, v115, v108, v107
	v_cndmask_b32_e64 v58, 0, v58, s[4:5]
	v_add_co_u32_e64 v59, s[28:29], v59, v30
	v_add3_u32 v60, v60, v106, v105
	v_addc_co_u32_e64 v58, s[28:29], v58, v31, s[28:29]
	v_cndmask_b32_e64 v59, 0, v59, s[2:3]
	v_add3_u32 v60, v60, v104, v103
	v_cndmask_b32_e64 v58, 0, v58, s[2:3]
	v_add_co_u32_e64 v59, s[28:29], v59, v32
	v_add3_u32 v60, v60, v102, v101
	v_addc_co_u32_e64 v58, s[28:29], v58, v33, s[28:29]
	v_cndmask_b32_e32 v59, 0, v59, vcc
	v_add3_u32 v62, v60, v100, v1
	v_cndmask_b32_e32 v58, 0, v58, vcc
	v_add_co_u32_e32 v60, vcc, v59, v72
	v_mbcnt_hi_u32_b32 v63, -1, v114
	v_addc_co_u32_e32 v61, vcc, v58, v73, vcc
	v_and_b32_e32 v58, 15, v63
	v_mov_b32_dpp v64, v62 row_shr:1 row_mask:0xf bank_mask:0xf
	v_mov_b32_dpp v59, v60 row_shr:1 row_mask:0xf bank_mask:0xf
	v_mov_b32_dpp v65, v61 row_shr:1 row_mask:0xf bank_mask:0xf
	v_cmp_ne_u32_e32 vcc, 0, v58
	s_and_saveexec_b64 s[28:29], vcc
; %bb.91:
	v_cmp_eq_u32_e32 vcc, 0, v62
	v_cndmask_b32_e32 v59, 0, v59, vcc
	v_add_u32_e32 v64, v64, v62
	v_cndmask_b32_e32 v62, 0, v65, vcc
	v_add_co_u32_e32 v60, vcc, v59, v60
	v_addc_co_u32_e32 v61, vcc, v62, v61, vcc
	v_mov_b32_e32 v62, v64
; %bb.92:
	s_or_b64 exec, exec, s[28:29]
	s_nop 0
	v_mov_b32_dpp v64, v62 row_shr:2 row_mask:0xf bank_mask:0xf
	v_mov_b32_dpp v59, v60 row_shr:2 row_mask:0xf bank_mask:0xf
	v_mov_b32_dpp v65, v61 row_shr:2 row_mask:0xf bank_mask:0xf
	v_cmp_lt_u32_e32 vcc, 1, v58
	s_and_saveexec_b64 s[28:29], vcc
; %bb.93:
	v_cmp_eq_u32_e32 vcc, 0, v62
	v_cndmask_b32_e32 v59, 0, v59, vcc
	v_add_u32_e32 v64, v64, v62
	v_cndmask_b32_e32 v62, 0, v65, vcc
	v_add_co_u32_e32 v60, vcc, v59, v60
	v_addc_co_u32_e32 v61, vcc, v62, v61, vcc
	v_mov_b32_e32 v62, v64
; %bb.94:
	s_or_b64 exec, exec, s[28:29]
	s_nop 0
	v_mov_b32_dpp v64, v62 row_shr:4 row_mask:0xf bank_mask:0xf
	v_mov_b32_dpp v59, v60 row_shr:4 row_mask:0xf bank_mask:0xf
	v_mov_b32_dpp v65, v61 row_shr:4 row_mask:0xf bank_mask:0xf
	v_cmp_lt_u32_e32 vcc, 3, v58
	s_and_saveexec_b64 s[28:29], vcc
; %bb.95:
	v_cmp_eq_u32_e32 vcc, 0, v62
	v_cndmask_b32_e32 v59, 0, v59, vcc
	v_add_u32_e32 v64, v64, v62
	v_cndmask_b32_e32 v62, 0, v65, vcc
	v_add_co_u32_e32 v60, vcc, v59, v60
	v_addc_co_u32_e32 v61, vcc, v62, v61, vcc
	v_mov_b32_e32 v62, v64
; %bb.96:
	s_or_b64 exec, exec, s[28:29]
	s_nop 0
	v_mov_b32_dpp v64, v62 row_shr:8 row_mask:0xf bank_mask:0xf
	v_mov_b32_dpp v59, v60 row_shr:8 row_mask:0xf bank_mask:0xf
	v_mov_b32_dpp v65, v61 row_shr:8 row_mask:0xf bank_mask:0xf
	v_cmp_lt_u32_e32 vcc, 7, v58
	s_and_saveexec_b64 s[28:29], vcc
; %bb.97:
	v_cmp_eq_u32_e32 vcc, 0, v62
	v_cndmask_b32_e32 v59, 0, v59, vcc
	v_add_u32_e32 v58, v64, v62
	v_cndmask_b32_e32 v62, 0, v65, vcc
	v_add_co_u32_e32 v60, vcc, v59, v60
	v_addc_co_u32_e32 v61, vcc, v62, v61, vcc
	v_mov_b32_e32 v62, v58
; %bb.98:
	s_or_b64 exec, exec, s[28:29]
	v_and_b32_e32 v65, 16, v63
	v_mov_b32_dpp v59, v62 row_bcast:15 row_mask:0xf bank_mask:0xf
	v_mov_b32_dpp v58, v60 row_bcast:15 row_mask:0xf bank_mask:0xf
	;; [unrolled: 1-line block ×3, first 2 shown]
	v_cmp_ne_u32_e32 vcc, 0, v65
	s_and_saveexec_b64 s[28:29], vcc
; %bb.99:
	v_cmp_eq_u32_e32 vcc, 0, v62
	v_cndmask_b32_e32 v58, 0, v58, vcc
	v_add_u32_e32 v59, v59, v62
	v_cndmask_b32_e32 v62, 0, v64, vcc
	v_add_co_u32_e32 v60, vcc, v58, v60
	v_addc_co_u32_e32 v61, vcc, v62, v61, vcc
	v_mov_b32_e32 v62, v59
; %bb.100:
	s_or_b64 exec, exec, s[28:29]
	s_nop 0
	v_mov_b32_dpp v59, v62 row_bcast:31 row_mask:0xf bank_mask:0xf
	v_mov_b32_dpp v58, v60 row_bcast:31 row_mask:0xf bank_mask:0xf
	;; [unrolled: 1-line block ×3, first 2 shown]
	v_cmp_lt_u32_e32 vcc, 31, v63
	s_and_saveexec_b64 s[28:29], vcc
; %bb.101:
	v_cmp_eq_u32_e32 vcc, 0, v62
	v_cndmask_b32_e32 v58, 0, v58, vcc
	v_add_u32_e32 v59, v59, v62
	v_cndmask_b32_e32 v62, 0, v64, vcc
	v_add_co_u32_e32 v60, vcc, v58, v60
	v_addc_co_u32_e32 v61, vcc, v62, v61, vcc
	v_mov_b32_e32 v62, v59
; %bb.102:
	s_or_b64 exec, exec, s[28:29]
	v_lshrrev_b32_e32 v58, 6, v0
	v_or_b32_e32 v59, 63, v0
	v_cmp_eq_u32_e32 vcc, v59, v0
	v_lshlrev_b32_e32 v64, 4, v58
	s_and_saveexec_b64 s[28:29], vcc
	s_cbranch_execz .LBB270_104
; %bb.103:
	ds_write_b32 v64, v62 offset:4128
	ds_write_b64 v64, v[60:61] offset:4136
.LBB270_104:
	s_or_b64 exec, exec, s[28:29]
	v_cmp_gt_u32_e32 vcc, 4, v0
	s_waitcnt lgkmcnt(0)
	s_barrier
	s_and_saveexec_b64 s[28:29], vcc
	s_cbranch_execz .LBB270_110
; %bb.105:
	v_lshlrev_b32_e32 v65, 4, v0
	ds_read_b32 v66, v65 offset:4128
	ds_read_b64 v[58:59], v65 offset:4136
	v_and_b32_e32 v67, 3, v63
	v_cmp_ne_u32_e32 vcc, 0, v67
	s_waitcnt lgkmcnt(1)
	v_mov_b32_dpp v69, v66 row_shr:1 row_mask:0xf bank_mask:0xf
	s_waitcnt lgkmcnt(0)
	v_mov_b32_dpp v68, v58 row_shr:1 row_mask:0xf bank_mask:0xf
	v_mov_b32_dpp v70, v59 row_shr:1 row_mask:0xf bank_mask:0xf
	s_and_saveexec_b64 s[34:35], vcc
; %bb.106:
	v_cmp_eq_u32_e32 vcc, 0, v66
	v_cndmask_b32_e32 v68, 0, v68, vcc
	v_add_u32_e32 v69, v69, v66
	v_cndmask_b32_e32 v66, 0, v70, vcc
	v_add_co_u32_e32 v58, vcc, v68, v58
	v_addc_co_u32_e32 v59, vcc, v66, v59, vcc
	v_mov_b32_e32 v66, v69
; %bb.107:
	s_or_b64 exec, exec, s[34:35]
	s_nop 0
	v_mov_b32_dpp v69, v66 row_shr:2 row_mask:0xf bank_mask:0xf
	v_mov_b32_dpp v68, v58 row_shr:2 row_mask:0xf bank_mask:0xf
	v_mov_b32_dpp v70, v59 row_shr:2 row_mask:0xf bank_mask:0xf
	v_cmp_lt_u32_e32 vcc, 1, v67
	s_and_saveexec_b64 s[34:35], vcc
; %bb.108:
	v_cmp_eq_u32_e32 vcc, 0, v66
	v_cndmask_b32_e32 v68, 0, v68, vcc
	v_add_u32_e32 v67, v69, v66
	v_cndmask_b32_e32 v66, 0, v70, vcc
	v_add_co_u32_e32 v58, vcc, v68, v58
	v_addc_co_u32_e32 v59, vcc, v66, v59, vcc
	v_mov_b32_e32 v66, v67
; %bb.109:
	s_or_b64 exec, exec, s[34:35]
	ds_write_b32 v65, v66 offset:4128
	ds_write_b64 v65, v[58:59] offset:4136
.LBB270_110:
	s_or_b64 exec, exec, s[28:29]
	v_cmp_gt_u32_e32 vcc, 64, v0
	v_cmp_lt_u32_e64 s[28:29], 63, v0
	v_pk_mov_b32 v[58:59], 0, 0
	v_mov_b32_e32 v70, 0
	s_waitcnt lgkmcnt(0)
	s_barrier
	s_and_saveexec_b64 s[34:35], s[28:29]
	s_cbranch_execz .LBB270_112
; %bb.111:
	ds_read_b32 v70, v64 offset:4112
	ds_read_b64 v[58:59], v64 offset:4120
	v_cmp_eq_u32_e64 s[28:29], 0, v62
	s_waitcnt lgkmcnt(1)
	v_add_u32_e32 v64, v70, v62
	s_waitcnt lgkmcnt(0)
	v_cndmask_b32_e64 v65, 0, v58, s[28:29]
	v_cndmask_b32_e64 v62, 0, v59, s[28:29]
	v_add_co_u32_e64 v60, s[28:29], v65, v60
	v_addc_co_u32_e64 v61, s[28:29], v62, v61, s[28:29]
	v_mov_b32_e32 v62, v64
.LBB270_112:
	s_or_b64 exec, exec, s[34:35]
	v_add_u32_e32 v64, -1, v63
	v_and_b32_e32 v65, 64, v63
	v_cmp_lt_i32_e64 s[28:29], v64, v65
	v_cndmask_b32_e64 v64, v64, v63, s[28:29]
	v_lshlrev_b32_e32 v64, 2, v64
	ds_bpermute_b32 v71, v64, v62
	ds_bpermute_b32 v76, v64, v60
	ds_bpermute_b32 v77, v64, v61
	v_cmp_eq_u32_e64 s[28:29], 0, v63
	s_and_saveexec_b64 s[34:35], vcc
	s_cbranch_execz .LBB270_155
; %bb.113:
	v_mov_b32_e32 v65, 0
	ds_read_b32 v78, v65 offset:4176
	ds_read_b64 v[60:61], v65 offset:4184
	s_and_saveexec_b64 s[42:43], s[28:29]
	s_cbranch_execz .LBB270_115
; %bb.114:
	s_add_i32 s48, s56, 64
	s_mov_b32 s49, 0
	s_lshl_b64 s[52:53], s[48:49], 4
	s_add_u32 s52, s36, s52
	s_addc_u32 s53, s37, s53
	v_mov_b32_e32 v62, s48
	v_mov_b32_e32 v64, 1
	s_waitcnt lgkmcnt(1)
	global_store_dword v65, v78, s[52:53]
	s_waitcnt lgkmcnt(0)
	global_store_dwordx2 v65, v[60:61], s[52:53] offset:8
	s_waitcnt vmcnt(0)
	buffer_wbinvl1_vol
	global_store_byte v62, v64, s[40:41]
.LBB270_115:
	s_or_b64 exec, exec, s[42:43]
	v_xad_u32 v62, v63, -1, s56
	v_add_u32_e32 v64, 64, v62
	global_load_ubyte v79, v64, s[40:41] glc
	s_waitcnt vmcnt(0)
	v_cmp_eq_u16_e32 vcc, 0, v79
	s_and_saveexec_b64 s[42:43], vcc
	s_cbranch_execz .LBB270_119
; %bb.116:
	v_mov_b32_e32 v67, s41
	v_add_co_u32_e32 v66, vcc, s40, v64
	v_addc_co_u32_e32 v67, vcc, 0, v67, vcc
	s_mov_b64 s[48:49], 0
.LBB270_117:                            ; =>This Inner Loop Header: Depth=1
	global_load_ubyte v79, v[66:67], off glc
	s_waitcnt vmcnt(0)
	v_cmp_ne_u16_e32 vcc, 0, v79
	s_or_b64 s[48:49], vcc, s[48:49]
	s_andn2_b64 exec, exec, s[48:49]
	s_cbranch_execnz .LBB270_117
; %bb.118:
	s_or_b64 exec, exec, s[48:49]
.LBB270_119:
	s_or_b64 exec, exec, s[42:43]
	v_mov_b32_e32 v66, s39
	v_mov_b32_e32 v67, s37
	v_cmp_eq_u16_e32 vcc, 1, v79
	v_cndmask_b32_e32 v66, v66, v67, vcc
	v_mov_b32_e32 v67, s38
	v_mov_b32_e32 v68, s36
	v_cndmask_b32_e32 v67, v67, v68, vcc
	v_lshlrev_b64 v[64:65], 4, v[64:65]
	v_add_co_u32_e32 v64, vcc, v67, v64
	v_addc_co_u32_e32 v65, vcc, v66, v65, vcc
	s_waitcnt lgkmcnt(0)
	buffer_wbinvl1_vol
	global_load_dword v94, v[64:65], off
	global_load_dwordx2 v[68:69], v[64:65], off offset:8
	v_cmp_eq_u16_e32 vcc, 2, v79
	v_lshlrev_b64 v[64:65], v63, -1
	v_and_b32_e32 v80, 63, v63
	v_and_b32_e32 v66, vcc_hi, v65
	v_and_b32_e32 v84, vcc_lo, v64
	v_cmp_ne_u32_e32 vcc, 63, v80
	v_addc_co_u32_e32 v67, vcc, 0, v63, vcc
	v_lshlrev_b32_e32 v81, 2, v67
	v_or_b32_e32 v66, 0x80000000, v66
	v_ffbl_b32_e32 v66, v66
	v_add_u32_e32 v66, 32, v66
	v_ffbl_b32_e32 v84, v84
	v_min_u32_e32 v66, v84, v66
	v_cmp_lt_u32_e32 vcc, v80, v66
	s_waitcnt vmcnt(1)
	ds_bpermute_b32 v82, v81, v94
	s_waitcnt vmcnt(0)
	ds_bpermute_b32 v67, v81, v68
	ds_bpermute_b32 v83, v81, v69
	s_and_saveexec_b64 s[42:43], vcc
	s_cbranch_execz .LBB270_121
; %bb.120:
	v_cmp_eq_u32_e32 vcc, 0, v94
	s_waitcnt lgkmcnt(1)
	v_cndmask_b32_e32 v67, 0, v67, vcc
	v_add_u32_e32 v82, v82, v94
	s_waitcnt lgkmcnt(0)
	v_cndmask_b32_e32 v83, 0, v83, vcc
	v_add_co_u32_e32 v68, vcc, v67, v68
	v_addc_co_u32_e32 v69, vcc, v83, v69, vcc
	v_mov_b32_e32 v94, v82
.LBB270_121:
	s_or_b64 exec, exec, s[42:43]
	v_cmp_gt_u32_e32 vcc, 62, v80
	s_waitcnt lgkmcnt(1)
	v_cndmask_b32_e64 v67, 0, 1, vcc
	v_lshlrev_b32_e32 v67, 1, v67
	v_add_lshl_u32 v82, v67, v63, 2
	ds_bpermute_b32 v84, v82, v94
	ds_bpermute_b32 v67, v82, v68
	ds_bpermute_b32 v85, v82, v69
	s_waitcnt lgkmcnt(3)
	v_add_u32_e32 v83, 2, v80
	v_cmp_le_u32_e32 vcc, v83, v66
	s_and_saveexec_b64 s[42:43], vcc
	s_cbranch_execz .LBB270_123
; %bb.122:
	v_cmp_eq_u32_e32 vcc, 0, v94
	s_waitcnt lgkmcnt(1)
	v_cndmask_b32_e32 v67, 0, v67, vcc
	v_add_u32_e32 v84, v84, v94
	s_waitcnt lgkmcnt(0)
	v_cndmask_b32_e32 v85, 0, v85, vcc
	v_add_co_u32_e32 v68, vcc, v67, v68
	v_addc_co_u32_e32 v69, vcc, v85, v69, vcc
	v_mov_b32_e32 v94, v84
.LBB270_123:
	s_or_b64 exec, exec, s[42:43]
	v_cmp_gt_u32_e32 vcc, 60, v80
	s_waitcnt lgkmcnt(1)
	v_cndmask_b32_e64 v67, 0, 1, vcc
	v_lshlrev_b32_e32 v67, 2, v67
	v_add_lshl_u32 v84, v67, v63, 2
	ds_bpermute_b32 v86, v84, v94
	ds_bpermute_b32 v67, v84, v68
	ds_bpermute_b32 v87, v84, v69
	s_waitcnt lgkmcnt(3)
	v_add_u32_e32 v85, 4, v80
	v_cmp_le_u32_e32 vcc, v85, v66
	;; [unrolled: 25-line block ×4, first 2 shown]
	s_and_saveexec_b64 s[42:43], vcc
	s_cbranch_execz .LBB270_129
; %bb.128:
	v_cmp_eq_u32_e32 vcc, 0, v94
	s_waitcnt lgkmcnt(1)
	v_cndmask_b32_e32 v67, 0, v67, vcc
	v_add_u32_e32 v90, v90, v94
	s_waitcnt lgkmcnt(0)
	v_cndmask_b32_e32 v91, 0, v91, vcc
	v_add_co_u32_e32 v68, vcc, v67, v68
	v_addc_co_u32_e32 v69, vcc, v91, v69, vcc
	v_mov_b32_e32 v94, v90
.LBB270_129:
	s_or_b64 exec, exec, s[42:43]
	v_cmp_gt_u32_e32 vcc, 32, v80
	s_waitcnt lgkmcnt(1)
	v_cndmask_b32_e64 v67, 0, 1, vcc
	v_lshlrev_b32_e32 v67, 5, v67
	v_add_lshl_u32 v90, v67, v63, 2
	ds_bpermute_b32 v67, v90, v94
	ds_bpermute_b32 v63, v90, v68
	s_waitcnt lgkmcnt(2)
	ds_bpermute_b32 v91, v90, v69
	v_add_u32_e32 v92, 32, v80
	v_cmp_le_u32_e32 vcc, v92, v66
	s_and_saveexec_b64 s[42:43], vcc
	s_cbranch_execz .LBB270_131
; %bb.130:
	v_cmp_eq_u32_e32 vcc, 0, v94
	s_waitcnt lgkmcnt(1)
	v_cndmask_b32_e32 v63, 0, v63, vcc
	v_add_u32_e32 v66, v67, v94
	s_waitcnt lgkmcnt(0)
	v_cndmask_b32_e32 v67, 0, v91, vcc
	v_add_co_u32_e32 v68, vcc, v63, v68
	v_addc_co_u32_e32 v69, vcc, v67, v69, vcc
	v_mov_b32_e32 v94, v66
.LBB270_131:
	s_or_b64 exec, exec, s[42:43]
	s_waitcnt lgkmcnt(1)
	v_mov_b32_e32 v63, 0
	v_mov_b32_e32 v93, 2
	s_branch .LBB270_133
.LBB270_132:                            ;   in Loop: Header=BB270_133 Depth=1
	s_or_b64 exec, exec, s[42:43]
	v_cmp_eq_u32_e32 vcc, 0, v91
	v_cndmask_b32_e32 v68, 0, v68, vcc
	v_cndmask_b32_e32 v69, 0, v69, vcc
	v_add_co_u32_e32 v68, vcc, v68, v66
	v_subrev_u32_e32 v62, 64, v62
	v_add_u32_e32 v94, v95, v91
	v_addc_co_u32_e32 v69, vcc, v69, v67, vcc
.LBB270_133:                            ; =>This Loop Header: Depth=1
                                        ;     Child Loop BB270_136 Depth 2
	v_cmp_ne_u16_sdwa s[42:43], v79, v93 src0_sel:BYTE_0 src1_sel:DWORD
	v_pk_mov_b32 v[66:67], v[68:69], v[68:69] op_sel:[0,1]
	v_cndmask_b32_e64 v68, 0, 1, s[42:43]
	;;#ASMSTART
	;;#ASMEND
	v_cmp_ne_u32_e32 vcc, 0, v68
	s_cmp_lg_u64 vcc, exec
	s_waitcnt lgkmcnt(0)
	v_mov_b32_e32 v91, v94
	s_cbranch_scc1 .LBB270_150
; %bb.134:                              ;   in Loop: Header=BB270_133 Depth=1
	global_load_ubyte v79, v62, s[40:41] glc
	s_waitcnt vmcnt(0)
	v_cmp_eq_u16_e32 vcc, 0, v79
	s_and_saveexec_b64 s[42:43], vcc
	s_cbranch_execz .LBB270_138
; %bb.135:                              ;   in Loop: Header=BB270_133 Depth=1
	v_mov_b32_e32 v69, s41
	v_add_co_u32_e32 v68, vcc, s40, v62
	v_addc_co_u32_e32 v69, vcc, 0, v69, vcc
	s_mov_b64 s[48:49], 0
.LBB270_136:                            ;   Parent Loop BB270_133 Depth=1
                                        ; =>  This Inner Loop Header: Depth=2
	global_load_ubyte v79, v[68:69], off glc
	s_waitcnt vmcnt(0)
	v_cmp_ne_u16_e32 vcc, 0, v79
	s_or_b64 s[48:49], vcc, s[48:49]
	s_andn2_b64 exec, exec, s[48:49]
	s_cbranch_execnz .LBB270_136
; %bb.137:                              ;   in Loop: Header=BB270_133 Depth=1
	s_or_b64 exec, exec, s[48:49]
.LBB270_138:                            ;   in Loop: Header=BB270_133 Depth=1
	s_or_b64 exec, exec, s[42:43]
	v_mov_b32_e32 v68, s39
	v_mov_b32_e32 v69, s37
	v_cmp_eq_u16_e32 vcc, 1, v79
	v_cndmask_b32_e32 v94, v68, v69, vcc
	v_mov_b32_e32 v68, s38
	v_mov_b32_e32 v69, s36
	v_cndmask_b32_e32 v95, v68, v69, vcc
	v_lshlrev_b64 v[68:69], 4, v[62:63]
	v_add_co_u32_e32 v68, vcc, v95, v68
	v_addc_co_u32_e32 v69, vcc, v94, v69, vcc
	buffer_wbinvl1_vol
	global_load_dword v95, v[68:69], off
	s_nop 0
	global_load_dwordx2 v[68:69], v[68:69], off offset:8
	v_cmp_eq_u16_e32 vcc, 2, v79
	v_and_b32_e32 v94, vcc_hi, v65
	v_or_b32_e32 v94, 0x80000000, v94
	v_and_b32_e32 v117, vcc_lo, v64
	v_ffbl_b32_e32 v94, v94
	v_add_u32_e32 v94, 32, v94
	v_ffbl_b32_e32 v117, v117
	v_min_u32_e32 v94, v117, v94
	v_cmp_lt_u32_e32 vcc, v80, v94
	s_waitcnt vmcnt(1)
	ds_bpermute_b32 v99, v81, v95
	s_waitcnt vmcnt(0)
	ds_bpermute_b32 v98, v81, v68
	ds_bpermute_b32 v116, v81, v69
	s_and_saveexec_b64 s[42:43], vcc
	s_cbranch_execz .LBB270_140
; %bb.139:                              ;   in Loop: Header=BB270_133 Depth=1
	v_cmp_eq_u32_e32 vcc, 0, v95
	s_waitcnt lgkmcnt(1)
	v_cndmask_b32_e32 v98, 0, v98, vcc
	v_add_u32_e32 v99, v99, v95
	s_waitcnt lgkmcnt(0)
	v_cndmask_b32_e32 v95, 0, v116, vcc
	v_add_co_u32_e32 v68, vcc, v98, v68
	v_addc_co_u32_e32 v69, vcc, v95, v69, vcc
	v_mov_b32_e32 v95, v99
.LBB270_140:                            ;   in Loop: Header=BB270_133 Depth=1
	s_or_b64 exec, exec, s[42:43]
	s_waitcnt lgkmcnt(2)
	ds_bpermute_b32 v99, v82, v95
	s_waitcnt lgkmcnt(2)
	ds_bpermute_b32 v98, v82, v68
	s_waitcnt lgkmcnt(2)
	ds_bpermute_b32 v116, v82, v69
	v_cmp_le_u32_e32 vcc, v83, v94
	s_and_saveexec_b64 s[42:43], vcc
	s_cbranch_execz .LBB270_142
; %bb.141:                              ;   in Loop: Header=BB270_133 Depth=1
	v_cmp_eq_u32_e32 vcc, 0, v95
	s_waitcnt lgkmcnt(1)
	v_cndmask_b32_e32 v98, 0, v98, vcc
	v_add_u32_e32 v99, v99, v95
	s_waitcnt lgkmcnt(0)
	v_cndmask_b32_e32 v95, 0, v116, vcc
	v_add_co_u32_e32 v68, vcc, v98, v68
	v_addc_co_u32_e32 v69, vcc, v95, v69, vcc
	v_mov_b32_e32 v95, v99
.LBB270_142:                            ;   in Loop: Header=BB270_133 Depth=1
	s_or_b64 exec, exec, s[42:43]
	s_waitcnt lgkmcnt(2)
	ds_bpermute_b32 v99, v84, v95
	s_waitcnt lgkmcnt(2)
	ds_bpermute_b32 v98, v84, v68
	s_waitcnt lgkmcnt(2)
	ds_bpermute_b32 v116, v84, v69
	v_cmp_le_u32_e32 vcc, v85, v94
	;; [unrolled: 21-line block ×5, first 2 shown]
	s_and_saveexec_b64 s[42:43], vcc
	s_cbranch_execz .LBB270_132
; %bb.149:                              ;   in Loop: Header=BB270_133 Depth=1
	v_cmp_eq_u32_e32 vcc, 0, v95
	s_waitcnt lgkmcnt(1)
	v_cndmask_b32_e32 v98, 0, v98, vcc
	v_add_u32_e32 v94, v99, v95
	s_waitcnt lgkmcnt(0)
	v_cndmask_b32_e32 v95, 0, v116, vcc
	v_add_co_u32_e32 v68, vcc, v98, v68
	v_addc_co_u32_e32 v69, vcc, v95, v69, vcc
	v_mov_b32_e32 v95, v94
	s_branch .LBB270_132
.LBB270_150:                            ;   in Loop: Header=BB270_133 Depth=1
                                        ; implicit-def: $vgpr68_vgpr69
                                        ; implicit-def: $vgpr94
                                        ; implicit-def: $vgpr79
	s_cbranch_execz .LBB270_133
; %bb.151:
	s_and_saveexec_b64 s[36:37], s[28:29]
	s_cbranch_execz .LBB270_153
; %bb.152:
	s_mov_b32 s43, 0
	v_cmp_eq_u32_e32 vcc, 0, v78
	s_add_i32 s42, s56, 64
	v_cndmask_b32_e32 v62, 0, v66, vcc
	s_lshl_b64 s[48:49], s[42:43], 4
	v_cndmask_b32_e32 v63, 0, v67, vcc
	v_add_co_u32_e32 v62, vcc, v62, v60
	s_add_u32 s48, s38, s48
	v_add_u32_e32 v64, v91, v78
	v_addc_co_u32_e32 v63, vcc, v63, v61, vcc
	s_addc_u32 s49, s39, s49
	v_mov_b32_e32 v65, 0
	global_store_dword v65, v64, s[48:49]
	global_store_dwordx2 v65, v[62:63], s[48:49] offset:8
	v_mov_b32_e32 v62, s42
	v_mov_b32_e32 v63, 2
	s_waitcnt vmcnt(0) lgkmcnt(0)
	buffer_wbinvl1_vol
	global_store_byte v62, v63, s[40:41]
	ds_write_b32 v65, v78 offset:4096
	ds_write_b64 v65, v[60:61] offset:4104
	ds_write_b32 v65, v91 offset:4112
	ds_write_b64 v65, v[66:67] offset:4120
.LBB270_153:
	s_or_b64 exec, exec, s[36:37]
	s_and_b64 exec, exec, s[0:1]
	s_cbranch_execz .LBB270_155
; %bb.154:
	v_mov_b32_e32 v60, 0
	ds_write_b32 v60, v91 offset:4176
	ds_write_b64 v60, v[66:67] offset:4184
.LBB270_155:
	s_or_b64 exec, exec, s[34:35]
	v_mov_b32_e32 v63, 0
	s_waitcnt lgkmcnt(0)
	s_barrier
	ds_read_b32 v62, v63 offset:4176
	ds_read_b64 v[60:61], v63 offset:4184
	v_cndmask_b32_e64 v64, v71, v70, s[28:29]
	v_cmp_eq_u32_e32 vcc, 0, v64
	v_cndmask_b32_e64 v58, v76, v58, s[28:29]
	v_cndmask_b32_e64 v59, v77, v59, s[28:29]
	s_waitcnt lgkmcnt(0)
	v_cndmask_b32_e32 v66, 0, v60, vcc
	v_cndmask_b32_e32 v65, 0, v61, vcc
	v_add_co_u32_e32 v58, vcc, v66, v58
	v_addc_co_u32_e32 v65, vcc, v65, v59, vcc
	v_cndmask_b32_e64 v92, v58, v60, s[0:1]
	v_cmp_eq_u32_e32 vcc, 0, v113
	v_cndmask_b32_e64 v93, v65, v61, s[0:1]
	v_cndmask_b32_e32 v60, 0, v92, vcc
	v_cndmask_b32_e64 v59, v64, 0, s[0:1]
	v_cndmask_b32_e32 v58, 0, v93, vcc
	v_add_co_u32_e32 v64, vcc, v60, v54
	v_addc_co_u32_e32 v65, vcc, v58, v55, vcc
	v_cndmask_b32_e64 v60, 0, v64, s[26:27]
	v_cndmask_b32_e64 v58, 0, v65, s[26:27]
	v_add_co_u32_e32 v66, vcc, v60, v56
	v_addc_co_u32_e32 v67, vcc, v58, v57, vcc
	v_cndmask_b32_e64 v60, 0, v66, s[24:25]
	v_cndmask_b32_e64 v58, 0, v67, s[24:25]
	v_add_co_u32_e32 v68, vcc, v60, v50
	v_addc_co_u32_e32 v69, vcc, v58, v51, vcc
	v_cndmask_b32_e64 v60, 0, v68, s[22:23]
	v_cndmask_b32_e64 v58, 0, v69, s[22:23]
	v_add_co_u32_e32 v70, vcc, v60, v52
	v_addc_co_u32_e32 v71, vcc, v58, v53, vcc
	v_cndmask_b32_e64 v60, 0, v70, s[20:21]
	v_cndmask_b32_e64 v58, 0, v71, s[20:21]
	v_add_co_u32_e32 v76, vcc, v60, v46
	v_addc_co_u32_e32 v77, vcc, v58, v47, vcc
	v_cndmask_b32_e64 v60, 0, v76, s[18:19]
	v_cndmask_b32_e64 v58, 0, v77, s[18:19]
	v_add_co_u32_e32 v78, vcc, v60, v48
	v_addc_co_u32_e32 v79, vcc, v58, v49, vcc
	v_cndmask_b32_e64 v60, 0, v78, s[16:17]
	v_cndmask_b32_e64 v58, 0, v79, s[16:17]
	v_add_co_u32_e32 v80, vcc, v60, v42
	v_addc_co_u32_e32 v81, vcc, v58, v43, vcc
	v_cndmask_b32_e64 v60, 0, v80, s[14:15]
	v_cndmask_b32_e64 v58, 0, v81, s[14:15]
	v_add_co_u32_e32 v82, vcc, v60, v44
	v_addc_co_u32_e32 v83, vcc, v58, v45, vcc
	v_cndmask_b32_e64 v60, 0, v82, s[12:13]
	v_cndmask_b32_e64 v58, 0, v83, s[12:13]
	v_add_co_u32_e32 v84, vcc, v60, v38
	v_addc_co_u32_e32 v85, vcc, v58, v39, vcc
	v_cndmask_b32_e64 v60, 0, v84, s[10:11]
	v_cndmask_b32_e64 v58, 0, v85, s[10:11]
	v_add_co_u32_e32 v86, vcc, v60, v40
	v_addc_co_u32_e32 v87, vcc, v58, v41, vcc
	v_cndmask_b32_e64 v60, 0, v86, s[8:9]
	v_cndmask_b32_e64 v58, 0, v87, s[8:9]
	v_add_co_u32_e32 v88, vcc, v60, v34
	v_addc_co_u32_e32 v89, vcc, v58, v35, vcc
	v_cndmask_b32_e64 v60, 0, v88, s[6:7]
	v_cndmask_b32_e64 v58, 0, v89, s[6:7]
	v_add_co_u32_e32 v90, vcc, v60, v36
	v_add_u32_e32 v59, v62, v59
	v_addc_co_u32_e32 v91, vcc, v58, v37, vcc
	s_barrier
	ds_read_b32 v58, v63 offset:4096
	ds_read_b64 v[60:61], v63 offset:4104
	ds_read_b32 v62, v63 offset:4112
	ds_read_b64 v[116:117], v63 offset:4120
	v_cndmask_b32_e64 v94, 0, v90, s[4:5]
	v_cndmask_b32_e64 v95, 0, v91, s[4:5]
	v_add_co_u32_e32 v94, vcc, v94, v30
	v_addc_co_u32_e32 v95, vcc, v95, v31, vcc
	s_waitcnt lgkmcnt(3)
	v_cmp_eq_u32_e32 vcc, 0, v58
	s_waitcnt lgkmcnt(0)
	v_cndmask_b32_e32 v116, 0, v116, vcc
	v_cndmask_b32_e32 v63, 0, v117, vcc
	v_add_co_u32_e32 v60, vcc, v116, v60
	v_cndmask_b32_e64 v99, 0, v95, s[2:3]
	v_cndmask_b32_e64 v98, 0, v94, s[2:3]
	v_addc_co_u32_e32 v61, vcc, v63, v61, vcc
	s_branch .LBB270_184
.LBB270_156:
                                        ; implicit-def: $vgpr58
                                        ; implicit-def: $vgpr60_vgpr61
                                        ; implicit-def: $vgpr62
                                        ; implicit-def: $vgpr92_vgpr93
                                        ; implicit-def: $vgpr64_vgpr65
                                        ; implicit-def: $vgpr66_vgpr67
                                        ; implicit-def: $vgpr68_vgpr69
                                        ; implicit-def: $vgpr70_vgpr71
                                        ; implicit-def: $vgpr76_vgpr77
                                        ; implicit-def: $vgpr78_vgpr79
                                        ; implicit-def: $vgpr80_vgpr81
                                        ; implicit-def: $vgpr82_vgpr83
                                        ; implicit-def: $vgpr84_vgpr85
                                        ; implicit-def: $vgpr86_vgpr87
                                        ; implicit-def: $vgpr88_vgpr89
                                        ; implicit-def: $vgpr90_vgpr91
                                        ; implicit-def: $vgpr94_vgpr95
                                        ; implicit-def: $vgpr98_vgpr99
                                        ; implicit-def: $vgpr59
	s_cbranch_execz .LBB270_184
; %bb.157:
	s_and_b64 s[2:3], s[30:31], exec
	s_cselect_b32 s3, 0, s65
	s_cselect_b32 s2, 0, s64
	s_cmp_eq_u64 s[2:3], 0
	s_cbranch_scc1 .LBB270_159
; %bb.158:
	v_mov_b32_e32 v58, 0
	global_load_dwordx2 v[96:97], v58, s[2:3]
.LBB270_159:
	v_cmp_eq_u32_e64 s[24:25], 0, v112
	v_cndmask_b32_e64 v59, 0, v54, s[24:25]
	v_cndmask_b32_e64 v58, 0, v55, s[24:25]
	v_add_co_u32_e32 v59, vcc, v59, v56
	v_cmp_eq_u32_e64 s[22:23], 0, v111
	v_addc_co_u32_e32 v58, vcc, v58, v57, vcc
	v_cndmask_b32_e64 v59, 0, v59, s[22:23]
	v_cndmask_b32_e64 v58, 0, v58, s[22:23]
	v_add_co_u32_e32 v59, vcc, v59, v50
	v_cmp_eq_u32_e64 s[20:21], 0, v110
	v_addc_co_u32_e32 v58, vcc, v58, v51, vcc
	;; [unrolled: 5-line block ×11, first 2 shown]
	v_cndmask_b32_e64 v59, 0, v59, s[4:5]
	v_cndmask_b32_e64 v58, 0, v58, s[4:5]
	v_add_co_u32_e32 v59, vcc, v59, v30
	v_addc_co_u32_e32 v58, vcc, v58, v31, vcc
	v_cmp_eq_u32_e32 vcc, 0, v100
	v_add3_u32 v60, v115, v108, v107
	v_cndmask_b32_e32 v59, 0, v59, vcc
	v_add3_u32 v60, v60, v106, v105
	v_cndmask_b32_e32 v58, 0, v58, vcc
	v_add_co_u32_e64 v59, s[26:27], v59, v32
	v_add3_u32 v60, v60, v104, v103
	v_addc_co_u32_e64 v58, s[26:27], v58, v33, s[26:27]
	v_add3_u32 v60, v60, v102, v101
	v_cmp_eq_u32_e64 s[26:27], 0, v1
	v_add3_u32 v63, v60, v100, v1
	v_cndmask_b32_e64 v60, 0, v58, s[26:27]
	v_cndmask_b32_e64 v58, 0, v59, s[26:27]
	v_add_co_u32_e64 v58, s[26:27], v58, v72
	v_mbcnt_hi_u32_b32 v62, -1, v114
	v_addc_co_u32_e64 v59, s[26:27], v60, v73, s[26:27]
	v_and_b32_e32 v60, 15, v62
	v_mov_b32_dpp v64, v63 row_shr:1 row_mask:0xf bank_mask:0xf
	v_mov_b32_dpp v61, v58 row_shr:1 row_mask:0xf bank_mask:0xf
	;; [unrolled: 1-line block ×3, first 2 shown]
	v_cmp_ne_u32_e64 s[26:27], 0, v60
	s_and_saveexec_b64 s[28:29], s[26:27]
; %bb.160:
	v_cmp_eq_u32_e64 s[26:27], 0, v63
	v_cndmask_b32_e64 v61, 0, v61, s[26:27]
	v_add_u32_e32 v64, v64, v63
	v_cndmask_b32_e64 v63, 0, v65, s[26:27]
	v_add_co_u32_e64 v58, s[26:27], v61, v58
	v_addc_co_u32_e64 v59, s[26:27], v63, v59, s[26:27]
	v_mov_b32_e32 v63, v64
; %bb.161:
	s_or_b64 exec, exec, s[28:29]
	s_nop 0
	v_mov_b32_dpp v64, v63 row_shr:2 row_mask:0xf bank_mask:0xf
	v_mov_b32_dpp v61, v58 row_shr:2 row_mask:0xf bank_mask:0xf
	v_mov_b32_dpp v65, v59 row_shr:2 row_mask:0xf bank_mask:0xf
	v_cmp_lt_u32_e64 s[26:27], 1, v60
	s_and_saveexec_b64 s[28:29], s[26:27]
; %bb.162:
	v_cmp_eq_u32_e64 s[26:27], 0, v63
	v_cndmask_b32_e64 v61, 0, v61, s[26:27]
	v_add_u32_e32 v64, v64, v63
	v_cndmask_b32_e64 v63, 0, v65, s[26:27]
	v_add_co_u32_e64 v58, s[26:27], v61, v58
	v_addc_co_u32_e64 v59, s[26:27], v63, v59, s[26:27]
	v_mov_b32_e32 v63, v64
; %bb.163:
	s_or_b64 exec, exec, s[28:29]
	s_nop 0
	v_mov_b32_dpp v64, v63 row_shr:4 row_mask:0xf bank_mask:0xf
	v_mov_b32_dpp v61, v58 row_shr:4 row_mask:0xf bank_mask:0xf
	v_mov_b32_dpp v65, v59 row_shr:4 row_mask:0xf bank_mask:0xf
	v_cmp_lt_u32_e64 s[26:27], 3, v60
	;; [unrolled: 16-line block ×3, first 2 shown]
	s_and_saveexec_b64 s[28:29], s[26:27]
; %bb.166:
	v_cmp_eq_u32_e64 s[26:27], 0, v63
	v_cndmask_b32_e64 v61, 0, v61, s[26:27]
	v_add_u32_e32 v60, v64, v63
	v_cndmask_b32_e64 v63, 0, v65, s[26:27]
	v_add_co_u32_e64 v58, s[26:27], v61, v58
	v_addc_co_u32_e64 v59, s[26:27], v63, v59, s[26:27]
	v_mov_b32_e32 v63, v60
; %bb.167:
	s_or_b64 exec, exec, s[28:29]
	v_and_b32_e32 v65, 16, v62
	v_mov_b32_dpp v61, v63 row_bcast:15 row_mask:0xf bank_mask:0xf
	v_mov_b32_dpp v60, v58 row_bcast:15 row_mask:0xf bank_mask:0xf
	;; [unrolled: 1-line block ×3, first 2 shown]
	v_cmp_ne_u32_e64 s[26:27], 0, v65
	s_and_saveexec_b64 s[28:29], s[26:27]
; %bb.168:
	v_cmp_eq_u32_e64 s[26:27], 0, v63
	v_cndmask_b32_e64 v60, 0, v60, s[26:27]
	v_add_u32_e32 v61, v61, v63
	v_cndmask_b32_e64 v63, 0, v64, s[26:27]
	v_add_co_u32_e64 v58, s[26:27], v60, v58
	v_addc_co_u32_e64 v59, s[26:27], v63, v59, s[26:27]
	v_mov_b32_e32 v63, v61
; %bb.169:
	s_or_b64 exec, exec, s[28:29]
	s_nop 0
	v_mov_b32_dpp v61, v63 row_bcast:31 row_mask:0xf bank_mask:0xf
	v_mov_b32_dpp v60, v58 row_bcast:31 row_mask:0xf bank_mask:0xf
	;; [unrolled: 1-line block ×3, first 2 shown]
	v_cmp_lt_u32_e64 s[26:27], 31, v62
	s_and_saveexec_b64 s[28:29], s[26:27]
; %bb.170:
	v_cmp_eq_u32_e64 s[26:27], 0, v63
	v_cndmask_b32_e64 v60, 0, v60, s[26:27]
	v_add_u32_e32 v61, v61, v63
	v_cndmask_b32_e64 v63, 0, v64, s[26:27]
	v_add_co_u32_e64 v58, s[26:27], v60, v58
	v_addc_co_u32_e64 v59, s[26:27], v63, v59, s[26:27]
	v_mov_b32_e32 v63, v61
; %bb.171:
	s_or_b64 exec, exec, s[28:29]
	v_lshrrev_b32_e32 v60, 6, v0
	v_or_b32_e32 v61, 63, v0
	v_cmp_eq_u32_e64 s[26:27], v61, v0
	v_lshlrev_b32_e32 v64, 4, v60
	s_and_saveexec_b64 s[28:29], s[26:27]
	s_cbranch_execz .LBB270_173
; %bb.172:
	ds_write_b32 v64, v63 offset:4128
	ds_write_b64 v64, v[58:59] offset:4136
.LBB270_173:
	s_or_b64 exec, exec, s[28:29]
	v_cmp_gt_u32_e64 s[26:27], 4, v0
	s_waitcnt lgkmcnt(0)
	s_barrier
	s_and_saveexec_b64 s[28:29], s[26:27]
	s_cbranch_execz .LBB270_179
; %bb.174:
	v_lshlrev_b32_e32 v65, 4, v0
	ds_read_b32 v66, v65 offset:4128
	ds_read_b64 v[60:61], v65 offset:4136
	v_and_b32_e32 v67, 3, v62
	v_cmp_ne_u32_e64 s[26:27], 0, v67
	s_waitcnt lgkmcnt(1)
	v_mov_b32_dpp v69, v66 row_shr:1 row_mask:0xf bank_mask:0xf
	s_waitcnt lgkmcnt(0)
	v_mov_b32_dpp v68, v60 row_shr:1 row_mask:0xf bank_mask:0xf
	v_mov_b32_dpp v70, v61 row_shr:1 row_mask:0xf bank_mask:0xf
	s_and_saveexec_b64 s[34:35], s[26:27]
; %bb.175:
	v_cmp_eq_u32_e64 s[26:27], 0, v66
	v_cndmask_b32_e64 v68, 0, v68, s[26:27]
	v_add_u32_e32 v69, v69, v66
	v_cndmask_b32_e64 v66, 0, v70, s[26:27]
	v_add_co_u32_e64 v60, s[26:27], v68, v60
	v_addc_co_u32_e64 v61, s[26:27], v66, v61, s[26:27]
	v_mov_b32_e32 v66, v69
; %bb.176:
	s_or_b64 exec, exec, s[34:35]
	s_nop 0
	v_mov_b32_dpp v69, v66 row_shr:2 row_mask:0xf bank_mask:0xf
	v_mov_b32_dpp v68, v60 row_shr:2 row_mask:0xf bank_mask:0xf
	;; [unrolled: 1-line block ×3, first 2 shown]
	v_cmp_lt_u32_e64 s[26:27], 1, v67
	s_and_saveexec_b64 s[34:35], s[26:27]
; %bb.177:
	v_cmp_eq_u32_e64 s[26:27], 0, v66
	v_cndmask_b32_e64 v68, 0, v68, s[26:27]
	v_add_u32_e32 v67, v69, v66
	v_cndmask_b32_e64 v66, 0, v70, s[26:27]
	v_add_co_u32_e64 v60, s[26:27], v68, v60
	v_addc_co_u32_e64 v61, s[26:27], v66, v61, s[26:27]
	v_mov_b32_e32 v66, v67
; %bb.178:
	s_or_b64 exec, exec, s[34:35]
	ds_write_b32 v65, v66 offset:4128
	ds_write_b64 v65, v[60:61] offset:4136
.LBB270_179:
	s_or_b64 exec, exec, s[28:29]
	v_cmp_lt_u32_e64 s[26:27], 63, v0
	v_mov_b32_e32 v72, 0
	v_mov_b32_e32 v65, 0
	s_waitcnt vmcnt(0)
	v_pk_mov_b32 v[60:61], v[96:97], v[96:97] op_sel:[0,1]
	s_waitcnt lgkmcnt(0)
	s_barrier
	s_and_saveexec_b64 s[28:29], s[26:27]
	s_cbranch_execz .LBB270_181
; %bb.180:
	ds_read_b32 v65, v64 offset:4112
	ds_read_b64 v[60:61], v64 offset:4120
	s_waitcnt lgkmcnt(1)
	v_cmp_eq_u32_e64 s[26:27], 0, v65
	v_cndmask_b32_e64 v66, 0, v96, s[26:27]
	v_cndmask_b32_e64 v64, 0, v97, s[26:27]
	s_waitcnt lgkmcnt(0)
	v_add_co_u32_e64 v60, s[26:27], v66, v60
	v_addc_co_u32_e64 v61, s[26:27], v64, v61, s[26:27]
.LBB270_181:
	s_or_b64 exec, exec, s[28:29]
	v_cmp_eq_u32_e64 s[26:27], 0, v63
	v_cndmask_b32_e64 v66, 0, v60, s[26:27]
	v_add_u32_e32 v64, v65, v63
	v_cndmask_b32_e64 v63, 0, v61, s[26:27]
	v_add_co_u32_e64 v58, s[26:27], v66, v58
	v_addc_co_u32_e64 v59, s[26:27], v63, v59, s[26:27]
	v_add_u32_e32 v63, -1, v62
	v_and_b32_e32 v66, 64, v62
	v_cmp_lt_i32_e64 s[26:27], v63, v66
	v_cndmask_b32_e64 v63, v63, v62, s[26:27]
	v_lshlrev_b32_e32 v63, 2, v63
	ds_bpermute_b32 v58, v63, v58
	ds_bpermute_b32 v64, v63, v64
	;; [unrolled: 1-line block ×3, first 2 shown]
	v_cmp_eq_u32_e64 s[26:27], 0, v62
	s_waitcnt lgkmcnt(2)
	v_cndmask_b32_e64 v92, v58, v60, s[26:27]
	s_waitcnt lgkmcnt(1)
	v_cndmask_b32_e64 v59, v64, v65, s[26:27]
	;; [unrolled: 2-line block ×3, first 2 shown]
	v_cndmask_b32_e64 v58, v92, v96, s[0:1]
	v_cmp_eq_u32_e64 s[26:27], 0, v113
	v_cndmask_b32_e64 v60, v93, v97, s[0:1]
	v_cndmask_b32_e64 v58, 0, v58, s[26:27]
	;; [unrolled: 1-line block ×3, first 2 shown]
	v_add_co_u32_e64 v64, s[26:27], v58, v54
	v_addc_co_u32_e64 v65, s[26:27], v60, v55, s[26:27]
	v_cndmask_b32_e64 v55, 0, v64, s[24:25]
	v_cndmask_b32_e64 v54, 0, v65, s[24:25]
	v_add_co_u32_e64 v66, s[24:25], v55, v56
	v_addc_co_u32_e64 v67, s[24:25], v54, v57, s[24:25]
	v_cndmask_b32_e64 v55, 0, v66, s[22:23]
	v_cndmask_b32_e64 v54, 0, v67, s[22:23]
	;; [unrolled: 4-line block ×11, first 2 shown]
	v_add_co_u32_e64 v90, s[2:3], v35, v36
	v_addc_co_u32_e64 v91, s[2:3], v34, v37, s[2:3]
	v_cndmask_b32_e64 v35, 0, v90, s[4:5]
	ds_read_b32 v58, v72 offset:4176
	v_cndmask_b32_e64 v34, 0, v91, s[4:5]
	v_add_co_u32_e64 v94, s[2:3], v35, v30
	v_addc_co_u32_e64 v95, s[2:3], v34, v31, s[2:3]
	ds_read_b64 v[30:31], v72 offset:4184
	v_cndmask_b32_e32 v99, 0, v95, vcc
	v_cndmask_b32_e32 v98, 0, v94, vcc
	s_waitcnt lgkmcnt(1)
	v_cmp_eq_u32_e32 vcc, 0, v58
	v_cndmask_b32_e32 v35, 0, v96, vcc
	v_cndmask_b32_e32 v34, 0, v97, vcc
	s_waitcnt lgkmcnt(0)
	v_add_co_u32_e32 v60, vcc, v35, v30
	v_addc_co_u32_e32 v61, vcc, v34, v31, vcc
	s_and_saveexec_b64 s[2:3], s[0:1]
	s_cbranch_execz .LBB270_183
; %bb.182:
	v_mov_b32_e32 v59, 0
	v_mov_b32_e32 v30, 2
	v_pk_mov_b32 v[92:93], v[96:97], v[96:97] op_sel:[0,1]
	global_store_dword v59, v58, s[38:39] offset:1024
	global_store_dwordx2 v59, v[60:61], s[38:39] offset:1032
	s_waitcnt vmcnt(0)
	buffer_wbinvl1_vol
	global_store_byte v59, v30, s[40:41] offset:64
.LBB270_183:
	s_or_b64 exec, exec, s[2:3]
	v_mov_b32_e32 v62, 0
.LBB270_184:
	s_and_b64 s[2:3], s[30:31], exec
	s_cselect_b32 s3, 0, s51
	s_cselect_b32 s2, 0, s50
	s_cmp_eq_u64 s[2:3], 0
	v_pk_mov_b32 v[30:31], 0, 0
	s_barrier
	s_cbranch_scc1 .LBB270_186
; %bb.185:
	v_mov_b32_e32 v30, 0
	global_load_dwordx2 v[30:31], v30, s[2:3]
.LBB270_186:
	s_waitcnt vmcnt(0)
	v_lshlrev_b64 v[34:35], 3, v[30:31]
	v_mov_b32_e32 v36, s59
	v_add_co_u32_e32 v52, vcc, s58, v34
	v_mov_b32_e32 v63, 0
	v_addc_co_u32_e32 v53, vcc, v36, v35, vcc
	v_lshlrev_b64 v[36:37], 3, v[62:63]
	v_add_co_u32_e32 v52, vcc, v52, v36
	v_addc_co_u32_e32 v53, vcc, v53, v37, vcc
	v_cmp_eq_u32_e32 vcc, 0, v113
	v_cndmask_b32_e64 v54, 1, 2, vcc
	v_cmp_eq_u32_e32 vcc, 0, v112
	v_cndmask_b32_e64 v55, 1, 2, vcc
	v_cmp_eq_u32_e32 vcc, 0, v111
	v_and_b32_e32 v54, v55, v54
	v_cndmask_b32_e64 v55, 1, 2, vcc
	v_cmp_eq_u32_e32 vcc, 0, v110
	v_add_u32_e32 v51, v59, v113
	v_and_b32_e32 v54, v54, v55
	v_cndmask_b32_e64 v55, 1, 2, vcc
	v_cmp_eq_u32_e32 vcc, 0, v109
	v_add_u32_e32 v50, v51, v112
	;; [unrolled: 4-line block ×12, first 2 shown]
	v_and_b32_e32 v54, v54, v55
	v_cndmask_b32_e64 v55, 1, 2, vcc
	s_movk_i32 s34, 0x100
	v_add_u32_e32 v39, v40, v101
	v_and_b32_e32 v54, v54, v55
	v_cmp_gt_u32_e32 vcc, s34, v58
	v_add_u32_e32 v38, v39, v100
	v_cmp_ne_u32_e64 s[30:31], 0, v113
	v_cmp_ne_u32_e64 s[28:29], 0, v112
	;; [unrolled: 1-line block ×15, first 2 shown]
	s_mov_b64 s[36:37], -1
	v_cmp_gt_i16_e64 s[34:35], 2, v54
	s_cbranch_vccz .LBB270_193
; %bb.187:
	s_and_saveexec_b64 s[36:37], s[34:35]
	s_cbranch_execz .LBB270_192
; %bb.188:
	v_cmp_ne_u16_e32 vcc, 1, v54
	s_mov_b64 s[38:39], 0
	s_and_saveexec_b64 s[34:35], vcc
	s_xor_b64 s[34:35], exec, s[34:35]
	s_cbranch_execnz .LBB270_225
; %bb.189:
	s_andn2_saveexec_b64 s[34:35], s[34:35]
	s_cbranch_execnz .LBB270_241
.LBB270_190:
	s_or_b64 exec, exec, s[34:35]
	s_and_b64 exec, exec, s[38:39]
	s_cbranch_execz .LBB270_192
.LBB270_191:
	v_sub_u32_e32 v56, v38, v62
	v_mov_b32_e32 v57, 0
	v_lshlrev_b64 v[56:57], 3, v[56:57]
	v_add_co_u32_e32 v56, vcc, v52, v56
	v_addc_co_u32_e32 v57, vcc, v53, v57, vcc
	global_store_dwordx2 v[56:57], v[74:75], off
.LBB270_192:
	s_or_b64 exec, exec, s[36:37]
	s_mov_b64 s[36:37], 0
.LBB270_193:
	s_and_b64 vcc, exec, s[36:37]
	s_cbranch_vccz .LBB270_203
; %bb.194:
	v_cmp_gt_i16_e32 vcc, 2, v54
	s_and_saveexec_b64 s[34:35], vcc
	s_cbranch_execz .LBB270_199
; %bb.195:
	v_cmp_ne_u16_e32 vcc, 1, v54
	s_mov_b64 s[38:39], 0
	s_and_saveexec_b64 s[36:37], vcc
	s_xor_b64 s[36:37], exec, s[36:37]
	s_cbranch_execnz .LBB270_242
; %bb.196:
	s_andn2_saveexec_b64 s[2:3], s[36:37]
	s_cbranch_execnz .LBB270_258
.LBB270_197:
	s_or_b64 exec, exec, s[2:3]
	s_and_b64 exec, exec, s[38:39]
	s_cbranch_execz .LBB270_199
.LBB270_198:
	v_sub_u32_e32 v2, v38, v62
	v_lshlrev_b32_e32 v2, 3, v2
	ds_write_b64 v2, v[74:75]
.LBB270_199:
	s_or_b64 exec, exec, s[34:35]
	v_cmp_lt_u32_e32 vcc, v0, v58
	s_waitcnt lgkmcnt(0)
	s_barrier
	s_and_saveexec_b64 s[2:3], vcc
	s_cbranch_execz .LBB270_202
; %bb.200:
	v_lshlrev_b32_e32 v4, 3, v0
	s_mov_b64 s[4:5], 0
	v_mov_b32_e32 v3, 0
	v_mov_b32_e32 v2, v0
.LBB270_201:                            ; =>This Inner Loop Header: Depth=1
	v_lshlrev_b64 v[6:7], 3, v[2:3]
	ds_read_b64 v[8:9], v4
	v_add_co_u32_e32 v6, vcc, v52, v6
	v_add_u32_e32 v2, 0x100, v2
	v_addc_co_u32_e32 v7, vcc, v53, v7, vcc
	v_cmp_ge_u32_e32 vcc, v2, v58
	v_add_u32_e32 v4, 0x800, v4
	s_or_b64 s[4:5], vcc, s[4:5]
	s_waitcnt lgkmcnt(0)
	global_store_dwordx2 v[6:7], v[8:9], off
	s_andn2_b64 exec, exec, s[4:5]
	s_cbranch_execnz .LBB270_201
.LBB270_202:
	s_or_b64 exec, exec, s[2:3]
.LBB270_203:
	s_cmpk_lg_i32 s33, 0xf00
	s_cselect_b64 s[2:3], -1, 0
	v_cndmask_b32_e64 v8, 0, 1, s[46:47]
	s_and_b64 s[2:3], s[2:3], s[44:45]
	v_sub_u32_e32 v4, v58, v8
	v_cndmask_b32_e64 v5, 0, 1, s[2:3]
	s_and_b64 s[0:1], s[0:1], s[46:47]
	v_add_co_u32_e32 v2, vcc, v98, v32
	v_add_u32_e32 v4, v4, v5
	v_cndmask_b32_e64 v5, v113, 0, s[0:1]
	s_mul_hi_u32 s0, s33, 0x88888889
	v_addc_co_u32_e32 v3, vcc, v99, v33, vcc
	s_lshr_b32 s0, s0, 3
	v_mad_i32_i24 v6, v0, -15, s33
	v_cmp_eq_u32_e32 vcc, s0, v0
	v_cmp_ne_u32_e64 s[0:1], 0, v6
	v_cndmask_b32_e64 v7, 1, v5, s[0:1]
	v_cmp_ne_u32_e64 s[0:1], 1, v6
	v_cndmask_b32_e64 v9, 1, v112, s[0:1]
	;; [unrolled: 2-line block ×15, first 2 shown]
	s_and_b64 vcc, vcc, s[44:45]
	v_cndmask_b32_e32 v22, v1, v6, vcc
	v_cndmask_b32_e32 v21, v100, v21, vcc
	v_cndmask_b32_e32 v20, v101, v20, vcc
	v_cndmask_b32_e32 v19, v102, v19, vcc
	v_cndmask_b32_e32 v18, v103, v18, vcc
	v_cndmask_b32_e32 v17, v104, v17, vcc
	v_cndmask_b32_e32 v16, v105, v16, vcc
	v_cndmask_b32_e32 v15, v106, v15, vcc
	v_cndmask_b32_e32 v14, v107, v14, vcc
	v_cndmask_b32_e32 v13, v108, v13, vcc
	v_cndmask_b32_e32 v12, v109, v12, vcc
	v_cndmask_b32_e32 v11, v110, v11, vcc
	v_cndmask_b32_e32 v10, v111, v10, vcc
	v_cndmask_b32_e32 v9, v112, v9, vcc
	v_cndmask_b32_e32 v23, v5, v7, vcc
	v_mov_b32_e32 v1, s61
	v_add_co_u32_e32 v5, vcc, s60, v34
	v_addc_co_u32_e32 v6, vcc, v1, v35, vcc
	v_add_co_u32_e32 v1, vcc, v5, v36
	v_addc_co_u32_e32 v5, vcc, v6, v37, vcc
	v_lshlrev_b32_e32 v6, 3, v8
	v_add_co_u32_e32 v6, vcc, v6, v1
	v_addc_co_u32_e32 v7, vcc, 0, v5, vcc
	v_add_co_u32_e32 v6, vcc, -8, v6
	v_addc_co_u32_e32 v7, vcc, -1, v7, vcc
	v_cmp_eq_u32_e32 vcc, 0, v23
	v_cmp_ne_u32_e64 s[28:29], 0, v23
	v_cndmask_b32_e64 v23, 1, 2, vcc
	v_cmp_eq_u32_e32 vcc, 0, v9
	v_cmp_ne_u32_e64 s[26:27], 0, v9
	v_cndmask_b32_e64 v9, 1, 2, vcc
	v_cmp_eq_u32_e32 vcc, 0, v10
	v_and_b32_e32 v9, v9, v23
	v_cmp_ne_u32_e64 s[24:25], 0, v10
	v_cndmask_b32_e64 v10, 1, 2, vcc
	v_cmp_eq_u32_e32 vcc, 0, v11
	v_and_b32_e32 v9, v9, v10
	v_cndmask_b32_e64 v10, 1, 2, vcc
	v_cmp_eq_u32_e32 vcc, 0, v12
	v_and_b32_e32 v9, v9, v10
	;; [unrolled: 3-line block ×12, first 2 shown]
	v_cndmask_b32_e64 v10, 1, 2, vcc
	s_movk_i32 s30, 0x100
	v_and_b32_e32 v9, v9, v10
	v_cmp_gt_u32_e32 vcc, s30, v4
	v_add_u32_e32 v8, v62, v8
	v_cmp_ne_u32_e64 s[22:23], 0, v11
	v_cmp_ne_u32_e64 s[20:21], 0, v12
	;; [unrolled: 1-line block ×12, first 2 shown]
	s_mov_b64 s[34:35], -1
	v_cmp_gt_i16_e64 s[30:31], 2, v9
	s_barrier
	s_cbranch_vccz .LBB270_210
; %bb.204:
	s_and_saveexec_b64 s[34:35], s[30:31]
	s_cbranch_execz .LBB270_209
; %bb.205:
	v_cmp_ne_u16_e32 vcc, 1, v9
	s_mov_b64 s[36:37], 0
	s_and_saveexec_b64 s[30:31], vcc
	s_xor_b64 s[30:31], exec, s[30:31]
	s_cbranch_execnz .LBB270_259
; %bb.206:
	s_andn2_saveexec_b64 s[30:31], s[30:31]
	s_cbranch_execnz .LBB270_275
.LBB270_207:
	s_or_b64 exec, exec, s[30:31]
	s_and_b64 exec, exec, s[36:37]
	s_cbranch_execz .LBB270_209
.LBB270_208:
	v_sub_u32_e32 v10, v38, v8
	v_mov_b32_e32 v11, 0
	v_lshlrev_b64 v[10:11], 3, v[10:11]
	v_add_co_u32_e32 v10, vcc, v6, v10
	v_addc_co_u32_e32 v11, vcc, v7, v11, vcc
	global_store_dwordx2 v[10:11], v[2:3], off
.LBB270_209:
	s_or_b64 exec, exec, s[34:35]
	s_mov_b64 s[34:35], 0
.LBB270_210:
	s_and_b64 vcc, exec, s[34:35]
	s_cbranch_vccz .LBB270_220
; %bb.211:
	v_cmp_gt_i16_e32 vcc, 2, v9
	s_and_saveexec_b64 s[30:31], vcc
	s_cbranch_execz .LBB270_216
; %bb.212:
	v_cmp_ne_u16_e32 vcc, 1, v9
	s_mov_b64 s[36:37], 0
	s_and_saveexec_b64 s[34:35], vcc
	s_xor_b64 s[34:35], exec, s[34:35]
	s_cbranch_execnz .LBB270_276
; %bb.213:
	s_andn2_saveexec_b64 s[0:1], s[34:35]
	s_cbranch_execnz .LBB270_292
.LBB270_214:
	s_or_b64 exec, exec, s[0:1]
	s_and_b64 exec, exec, s[36:37]
	s_cbranch_execz .LBB270_216
.LBB270_215:
	v_sub_u32_e32 v8, v38, v8
	v_lshlrev_b32_e32 v8, 3, v8
	ds_write_b64 v8, v[2:3]
.LBB270_216:
	s_or_b64 exec, exec, s[30:31]
	v_cmp_lt_u32_e32 vcc, v0, v4
	s_waitcnt lgkmcnt(0)
	s_barrier
	s_and_saveexec_b64 s[0:1], vcc
	s_cbranch_execz .LBB270_219
; %bb.217:
	v_lshlrev_b32_e32 v8, 3, v0
	s_mov_b64 s[2:3], 0
	v_mov_b32_e32 v3, 0
	v_mov_b32_e32 v2, v0
.LBB270_218:                            ; =>This Inner Loop Header: Depth=1
	v_lshlrev_b64 v[10:11], 3, v[2:3]
	ds_read_b64 v[12:13], v8
	v_add_co_u32_e32 v10, vcc, v6, v10
	v_add_u32_e32 v2, 0x100, v2
	v_addc_co_u32_e32 v11, vcc, v7, v11, vcc
	v_cmp_ge_u32_e32 vcc, v2, v4
	v_add_u32_e32 v8, 0x800, v8
	s_or_b64 s[2:3], vcc, s[2:3]
	s_waitcnt lgkmcnt(0)
	global_store_dwordx2 v[10:11], v[12:13], off
	s_andn2_b64 exec, exec, s[2:3]
	s_cbranch_execnz .LBB270_218
.LBB270_219:
	s_or_b64 exec, exec, s[0:1]
.LBB270_220:
	s_movk_i32 s0, 0xff
	v_cmp_eq_u32_e32 vcc, s0, v0
	s_and_b64 s[0:1], vcc, s[44:45]
	s_and_saveexec_b64 s[2:3], s[0:1]
	s_cbranch_execz .LBB270_223
; %bb.221:
	v_add_co_u32_e32 v0, vcc, v58, v62
	v_addc_co_u32_e64 v3, s[0:1], 0, 0, vcc
	v_add_co_u32_e32 v2, vcc, v0, v30
	v_mov_b32_e32 v59, 0
	v_addc_co_u32_e32 v3, vcc, v3, v31, vcc
	s_cmpk_lg_i32 s33, 0xf00
	global_store_dwordx2 v59, v[2:3], s[62:63]
	s_cbranch_scc1 .LBB270_223
; %bb.222:
	v_lshlrev_b64 v[2:3], 3, v[58:59]
	v_add_co_u32_e32 v0, vcc, v1, v2
	v_addc_co_u32_e32 v1, vcc, v5, v3, vcc
	global_store_dwordx2 v[0:1], v[60:61], off offset:-8
.LBB270_223:
	s_endpgm
.LBB270_224:
	s_or_b64 exec, exec, s[6:7]
	v_mov_b32_e32 v113, s8
	s_and_saveexec_b64 s[2:3], s[34:35]
	s_cbranch_execnz .LBB270_88
	s_branch .LBB270_89
.LBB270_225:
	s_and_saveexec_b64 s[38:39], s[30:31]
	s_cbranch_execnz .LBB270_293
; %bb.226:
	s_or_b64 exec, exec, s[38:39]
	s_and_saveexec_b64 s[38:39], s[28:29]
	s_cbranch_execnz .LBB270_294
.LBB270_227:
	s_or_b64 exec, exec, s[38:39]
	s_and_saveexec_b64 s[38:39], s[26:27]
	s_cbranch_execnz .LBB270_295
.LBB270_228:
	s_or_b64 exec, exec, s[38:39]
	s_and_saveexec_b64 s[38:39], s[24:25]
	s_cbranch_execnz .LBB270_296
.LBB270_229:
	s_or_b64 exec, exec, s[38:39]
	s_and_saveexec_b64 s[38:39], s[22:23]
	s_cbranch_execnz .LBB270_297
.LBB270_230:
	s_or_b64 exec, exec, s[38:39]
	s_and_saveexec_b64 s[38:39], s[20:21]
	s_cbranch_execnz .LBB270_298
.LBB270_231:
	s_or_b64 exec, exec, s[38:39]
	s_and_saveexec_b64 s[38:39], s[18:19]
	s_cbranch_execnz .LBB270_299
.LBB270_232:
	s_or_b64 exec, exec, s[38:39]
	s_and_saveexec_b64 s[38:39], s[16:17]
	s_cbranch_execnz .LBB270_300
.LBB270_233:
	s_or_b64 exec, exec, s[38:39]
	s_and_saveexec_b64 s[38:39], s[14:15]
	s_cbranch_execnz .LBB270_301
.LBB270_234:
	s_or_b64 exec, exec, s[38:39]
	s_and_saveexec_b64 s[38:39], s[12:13]
	s_cbranch_execnz .LBB270_302
.LBB270_235:
	s_or_b64 exec, exec, s[38:39]
	s_and_saveexec_b64 s[38:39], s[10:11]
	s_cbranch_execnz .LBB270_303
.LBB270_236:
	s_or_b64 exec, exec, s[38:39]
	s_and_saveexec_b64 s[38:39], s[8:9]
	s_cbranch_execnz .LBB270_304
.LBB270_237:
	s_or_b64 exec, exec, s[38:39]
	s_and_saveexec_b64 s[38:39], s[6:7]
	s_cbranch_execnz .LBB270_305
.LBB270_238:
	s_or_b64 exec, exec, s[38:39]
	s_and_saveexec_b64 s[38:39], s[4:5]
	s_cbranch_execz .LBB270_240
.LBB270_239:
	v_sub_u32_e32 v56, v39, v62
	v_mov_b32_e32 v57, 0
	v_lshlrev_b64 v[56:57], 3, v[56:57]
	v_add_co_u32_e32 v56, vcc, v52, v56
	v_addc_co_u32_e32 v57, vcc, v53, v57, vcc
	global_store_dwordx2 v[56:57], v[4:5], off
.LBB270_240:
	s_or_b64 exec, exec, s[38:39]
	s_and_b64 s[38:39], s[2:3], exec
	s_andn2_saveexec_b64 s[34:35], s[34:35]
	s_cbranch_execz .LBB270_190
.LBB270_241:
	v_sub_u32_e32 v56, v59, v62
	v_mov_b32_e32 v57, 0
	v_lshlrev_b64 v[72:73], 3, v[56:57]
	v_add_co_u32_e32 v72, vcc, v52, v72
	v_addc_co_u32_e32 v73, vcc, v53, v73, vcc
	v_sub_u32_e32 v56, v51, v62
	global_store_dwordx2 v[72:73], v[26:27], off
	v_lshlrev_b64 v[72:73], 3, v[56:57]
	v_add_co_u32_e32 v72, vcc, v52, v72
	v_addc_co_u32_e32 v73, vcc, v53, v73, vcc
	v_sub_u32_e32 v56, v50, v62
	global_store_dwordx2 v[72:73], v[28:29], off
	;; [unrolled: 5-line block ×12, first 2 shown]
	v_lshlrev_b64 v[72:73], 3, v[56:57]
	v_add_co_u32_e32 v72, vcc, v52, v72
	v_sub_u32_e32 v56, v39, v62
	v_addc_co_u32_e32 v73, vcc, v53, v73, vcc
	v_lshlrev_b64 v[56:57], 3, v[56:57]
	v_add_co_u32_e32 v56, vcc, v52, v56
	v_addc_co_u32_e32 v57, vcc, v53, v57, vcc
	s_or_b64 s[38:39], s[38:39], exec
	global_store_dwordx2 v[72:73], v[2:3], off
	global_store_dwordx2 v[56:57], v[4:5], off
	s_or_b64 exec, exec, s[34:35]
	s_and_b64 exec, exec, s[38:39]
	s_cbranch_execnz .LBB270_191
	s_branch .LBB270_192
.LBB270_242:
	s_and_saveexec_b64 s[38:39], s[30:31]
	s_cbranch_execnz .LBB270_306
; %bb.243:
	s_or_b64 exec, exec, s[38:39]
	s_and_saveexec_b64 s[30:31], s[28:29]
	s_cbranch_execnz .LBB270_307
.LBB270_244:
	s_or_b64 exec, exec, s[30:31]
	s_and_saveexec_b64 s[28:29], s[26:27]
	s_cbranch_execnz .LBB270_308
.LBB270_245:
	s_or_b64 exec, exec, s[28:29]
	s_and_saveexec_b64 s[26:27], s[24:25]
	s_cbranch_execnz .LBB270_309
.LBB270_246:
	s_or_b64 exec, exec, s[26:27]
	s_and_saveexec_b64 s[24:25], s[22:23]
	s_cbranch_execnz .LBB270_310
.LBB270_247:
	s_or_b64 exec, exec, s[24:25]
	s_and_saveexec_b64 s[22:23], s[20:21]
	s_cbranch_execnz .LBB270_311
.LBB270_248:
	s_or_b64 exec, exec, s[22:23]
	s_and_saveexec_b64 s[20:21], s[18:19]
	s_cbranch_execnz .LBB270_312
.LBB270_249:
	s_or_b64 exec, exec, s[20:21]
	s_and_saveexec_b64 s[18:19], s[16:17]
	s_cbranch_execnz .LBB270_313
.LBB270_250:
	s_or_b64 exec, exec, s[18:19]
	s_and_saveexec_b64 s[16:17], s[14:15]
	s_cbranch_execnz .LBB270_314
.LBB270_251:
	s_or_b64 exec, exec, s[16:17]
	s_and_saveexec_b64 s[14:15], s[12:13]
	s_cbranch_execnz .LBB270_315
.LBB270_252:
	s_or_b64 exec, exec, s[14:15]
	s_and_saveexec_b64 s[12:13], s[10:11]
	s_cbranch_execnz .LBB270_316
.LBB270_253:
	s_or_b64 exec, exec, s[12:13]
	s_and_saveexec_b64 s[10:11], s[8:9]
	s_cbranch_execnz .LBB270_317
.LBB270_254:
	s_or_b64 exec, exec, s[10:11]
	s_and_saveexec_b64 s[8:9], s[6:7]
	s_cbranch_execnz .LBB270_318
.LBB270_255:
	s_or_b64 exec, exec, s[8:9]
	s_and_saveexec_b64 s[6:7], s[4:5]
	s_cbranch_execz .LBB270_257
.LBB270_256:
	v_sub_u32_e32 v2, v39, v62
	v_lshlrev_b32_e32 v2, 3, v2
	ds_write_b64 v2, v[4:5]
.LBB270_257:
	s_or_b64 exec, exec, s[6:7]
	s_and_b64 s[38:39], s[2:3], exec
                                        ; implicit-def: $vgpr2_vgpr3
                                        ; implicit-def: $vgpr6_vgpr7
                                        ; implicit-def: $vgpr10_vgpr11
                                        ; implicit-def: $vgpr14_vgpr15
                                        ; implicit-def: $vgpr18_vgpr19
                                        ; implicit-def: $vgpr22_vgpr23
                                        ; implicit-def: $vgpr26_vgpr27
	s_andn2_saveexec_b64 s[2:3], s[36:37]
	s_cbranch_execz .LBB270_197
.LBB270_258:
	v_sub_u32_e32 v54, v59, v62
	v_lshlrev_b32_e32 v54, 3, v54
	ds_write_b64 v54, v[26:27]
	v_sub_u32_e32 v26, v51, v62
	v_lshlrev_b32_e32 v26, 3, v26
	ds_write_b64 v26, v[28:29]
	;; [unrolled: 3-line block ×13, first 2 shown]
	v_sub_u32_e32 v2, v39, v62
	v_lshlrev_b32_e32 v2, 3, v2
	s_or_b64 s[38:39], s[38:39], exec
	ds_write_b64 v2, v[4:5]
	s_or_b64 exec, exec, s[2:3]
	s_and_b64 exec, exec, s[38:39]
	s_cbranch_execnz .LBB270_198
	s_branch .LBB270_199
.LBB270_259:
	s_and_saveexec_b64 s[36:37], s[28:29]
	s_cbranch_execnz .LBB270_319
; %bb.260:
	s_or_b64 exec, exec, s[36:37]
	s_and_saveexec_b64 s[36:37], s[26:27]
	s_cbranch_execnz .LBB270_320
.LBB270_261:
	s_or_b64 exec, exec, s[36:37]
	s_and_saveexec_b64 s[36:37], s[24:25]
	s_cbranch_execnz .LBB270_321
.LBB270_262:
	s_or_b64 exec, exec, s[36:37]
	s_and_saveexec_b64 s[36:37], s[22:23]
	s_cbranch_execnz .LBB270_322
.LBB270_263:
	s_or_b64 exec, exec, s[36:37]
	s_and_saveexec_b64 s[36:37], s[20:21]
	s_cbranch_execnz .LBB270_323
.LBB270_264:
	s_or_b64 exec, exec, s[36:37]
	s_and_saveexec_b64 s[36:37], s[18:19]
	s_cbranch_execnz .LBB270_324
.LBB270_265:
	s_or_b64 exec, exec, s[36:37]
	s_and_saveexec_b64 s[36:37], s[16:17]
	s_cbranch_execnz .LBB270_325
.LBB270_266:
	s_or_b64 exec, exec, s[36:37]
	s_and_saveexec_b64 s[36:37], s[14:15]
	s_cbranch_execnz .LBB270_326
.LBB270_267:
	s_or_b64 exec, exec, s[36:37]
	s_and_saveexec_b64 s[36:37], s[12:13]
	s_cbranch_execnz .LBB270_327
.LBB270_268:
	s_or_b64 exec, exec, s[36:37]
	s_and_saveexec_b64 s[36:37], s[10:11]
	s_cbranch_execnz .LBB270_328
.LBB270_269:
	s_or_b64 exec, exec, s[36:37]
	s_and_saveexec_b64 s[36:37], s[8:9]
	s_cbranch_execnz .LBB270_329
.LBB270_270:
	s_or_b64 exec, exec, s[36:37]
	s_and_saveexec_b64 s[36:37], s[6:7]
	s_cbranch_execnz .LBB270_330
.LBB270_271:
	s_or_b64 exec, exec, s[36:37]
	s_and_saveexec_b64 s[36:37], s[4:5]
	s_cbranch_execnz .LBB270_331
.LBB270_272:
	s_or_b64 exec, exec, s[36:37]
	s_and_saveexec_b64 s[36:37], s[2:3]
	s_cbranch_execz .LBB270_274
.LBB270_273:
	v_sub_u32_e32 v10, v39, v8
	v_mov_b32_e32 v11, 0
	v_lshlrev_b64 v[10:11], 3, v[10:11]
	v_add_co_u32_e32 v10, vcc, v6, v10
	v_addc_co_u32_e32 v11, vcc, v7, v11, vcc
	global_store_dwordx2 v[10:11], v[94:95], off
.LBB270_274:
	s_or_b64 exec, exec, s[36:37]
	s_and_b64 s[36:37], s[0:1], exec
	s_andn2_saveexec_b64 s[30:31], s[30:31]
	s_cbranch_execz .LBB270_207
.LBB270_275:
	v_sub_u32_e32 v10, v59, v8
	v_mov_b32_e32 v11, 0
	v_lshlrev_b64 v[12:13], 3, v[10:11]
	v_add_co_u32_e32 v12, vcc, v6, v12
	v_addc_co_u32_e32 v13, vcc, v7, v13, vcc
	v_sub_u32_e32 v10, v51, v8
	global_store_dwordx2 v[12:13], v[92:93], off
	v_lshlrev_b64 v[12:13], 3, v[10:11]
	v_add_co_u32_e32 v12, vcc, v6, v12
	v_addc_co_u32_e32 v13, vcc, v7, v13, vcc
	v_sub_u32_e32 v10, v50, v8
	global_store_dwordx2 v[12:13], v[64:65], off
	;; [unrolled: 5-line block ×12, first 2 shown]
	v_lshlrev_b64 v[12:13], 3, v[10:11]
	v_add_co_u32_e32 v12, vcc, v6, v12
	v_sub_u32_e32 v10, v39, v8
	v_addc_co_u32_e32 v13, vcc, v7, v13, vcc
	v_lshlrev_b64 v[10:11], 3, v[10:11]
	v_add_co_u32_e32 v10, vcc, v6, v10
	v_addc_co_u32_e32 v11, vcc, v7, v11, vcc
	s_or_b64 s[36:37], s[36:37], exec
	global_store_dwordx2 v[12:13], v[90:91], off
	global_store_dwordx2 v[10:11], v[94:95], off
	s_or_b64 exec, exec, s[30:31]
	s_and_b64 exec, exec, s[36:37]
	s_cbranch_execnz .LBB270_208
	s_branch .LBB270_209
.LBB270_276:
	s_and_saveexec_b64 s[36:37], s[28:29]
	s_cbranch_execnz .LBB270_332
; %bb.277:
	s_or_b64 exec, exec, s[36:37]
	s_and_saveexec_b64 s[28:29], s[26:27]
	s_cbranch_execnz .LBB270_333
.LBB270_278:
	s_or_b64 exec, exec, s[28:29]
	s_and_saveexec_b64 s[26:27], s[24:25]
	s_cbranch_execnz .LBB270_334
.LBB270_279:
	s_or_b64 exec, exec, s[26:27]
	s_and_saveexec_b64 s[24:25], s[22:23]
	s_cbranch_execnz .LBB270_335
.LBB270_280:
	s_or_b64 exec, exec, s[24:25]
	s_and_saveexec_b64 s[22:23], s[20:21]
	s_cbranch_execnz .LBB270_336
.LBB270_281:
	s_or_b64 exec, exec, s[22:23]
	s_and_saveexec_b64 s[20:21], s[18:19]
	s_cbranch_execnz .LBB270_337
.LBB270_282:
	s_or_b64 exec, exec, s[20:21]
	s_and_saveexec_b64 s[18:19], s[16:17]
	s_cbranch_execnz .LBB270_338
.LBB270_283:
	s_or_b64 exec, exec, s[18:19]
	s_and_saveexec_b64 s[16:17], s[14:15]
	s_cbranch_execnz .LBB270_339
.LBB270_284:
	s_or_b64 exec, exec, s[16:17]
	s_and_saveexec_b64 s[14:15], s[12:13]
	s_cbranch_execnz .LBB270_340
.LBB270_285:
	s_or_b64 exec, exec, s[14:15]
	s_and_saveexec_b64 s[12:13], s[10:11]
	s_cbranch_execnz .LBB270_341
.LBB270_286:
	s_or_b64 exec, exec, s[12:13]
	s_and_saveexec_b64 s[10:11], s[8:9]
	s_cbranch_execnz .LBB270_342
.LBB270_287:
	s_or_b64 exec, exec, s[10:11]
	s_and_saveexec_b64 s[8:9], s[6:7]
	s_cbranch_execnz .LBB270_343
.LBB270_288:
	s_or_b64 exec, exec, s[8:9]
	s_and_saveexec_b64 s[6:7], s[4:5]
	s_cbranch_execnz .LBB270_344
.LBB270_289:
	s_or_b64 exec, exec, s[6:7]
	s_and_saveexec_b64 s[4:5], s[2:3]
	s_cbranch_execz .LBB270_291
.LBB270_290:
	v_sub_u32_e32 v9, v39, v8
	v_lshlrev_b32_e32 v9, 3, v9
	ds_write_b64 v9, v[94:95]
.LBB270_291:
	s_or_b64 exec, exec, s[4:5]
	s_and_b64 s[36:37], s[0:1], exec
                                        ; implicit-def: $vgpr92_vgpr93
                                        ; implicit-def: $vgpr64_vgpr65
                                        ; implicit-def: $vgpr66_vgpr67
                                        ; implicit-def: $vgpr68_vgpr69
                                        ; implicit-def: $vgpr70_vgpr71
                                        ; implicit-def: $vgpr76_vgpr77
                                        ; implicit-def: $vgpr78_vgpr79
                                        ; implicit-def: $vgpr80_vgpr81
                                        ; implicit-def: $vgpr82_vgpr83
                                        ; implicit-def: $vgpr84_vgpr85
                                        ; implicit-def: $vgpr86_vgpr87
                                        ; implicit-def: $vgpr88_vgpr89
                                        ; implicit-def: $vgpr90_vgpr91
                                        ; implicit-def: $vgpr94_vgpr95
                                        ; implicit-def: $vgpr59
                                        ; implicit-def: $vgpr51
                                        ; implicit-def: $vgpr50
                                        ; implicit-def: $vgpr49
                                        ; implicit-def: $vgpr48
                                        ; implicit-def: $vgpr47
                                        ; implicit-def: $vgpr46
                                        ; implicit-def: $vgpr45
                                        ; implicit-def: $vgpr44
                                        ; implicit-def: $vgpr43
                                        ; implicit-def: $vgpr42
                                        ; implicit-def: $vgpr41
                                        ; implicit-def: $vgpr40
                                        ; implicit-def: $vgpr39
	s_andn2_saveexec_b64 s[0:1], s[34:35]
	s_cbranch_execz .LBB270_214
.LBB270_292:
	v_sub_u32_e32 v9, v59, v8
	v_lshlrev_b32_e32 v9, 3, v9
	ds_write_b64 v9, v[92:93]
	v_sub_u32_e32 v9, v51, v8
	v_lshlrev_b32_e32 v9, 3, v9
	ds_write_b64 v9, v[64:65]
	;; [unrolled: 3-line block ×13, first 2 shown]
	v_sub_u32_e32 v9, v39, v8
	v_lshlrev_b32_e32 v9, 3, v9
	s_or_b64 s[36:37], s[36:37], exec
	ds_write_b64 v9, v[94:95]
	s_or_b64 exec, exec, s[0:1]
	s_and_b64 exec, exec, s[36:37]
	s_cbranch_execnz .LBB270_215
	s_branch .LBB270_216
.LBB270_293:
	v_sub_u32_e32 v56, v59, v62
	v_mov_b32_e32 v57, 0
	v_lshlrev_b64 v[56:57], 3, v[56:57]
	v_add_co_u32_e32 v56, vcc, v52, v56
	v_addc_co_u32_e32 v57, vcc, v53, v57, vcc
	global_store_dwordx2 v[56:57], v[26:27], off
	s_or_b64 exec, exec, s[38:39]
	s_and_saveexec_b64 s[38:39], s[28:29]
	s_cbranch_execz .LBB270_227
.LBB270_294:
	v_sub_u32_e32 v56, v51, v62
	v_mov_b32_e32 v57, 0
	v_lshlrev_b64 v[56:57], 3, v[56:57]
	v_add_co_u32_e32 v56, vcc, v52, v56
	v_addc_co_u32_e32 v57, vcc, v53, v57, vcc
	global_store_dwordx2 v[56:57], v[28:29], off
	s_or_b64 exec, exec, s[38:39]
	s_and_saveexec_b64 s[38:39], s[26:27]
	s_cbranch_execz .LBB270_228
.LBB270_295:
	v_sub_u32_e32 v56, v50, v62
	v_mov_b32_e32 v57, 0
	v_lshlrev_b64 v[56:57], 3, v[56:57]
	v_add_co_u32_e32 v56, vcc, v52, v56
	v_addc_co_u32_e32 v57, vcc, v53, v57, vcc
	global_store_dwordx2 v[56:57], v[22:23], off
	s_or_b64 exec, exec, s[38:39]
	s_and_saveexec_b64 s[38:39], s[24:25]
	s_cbranch_execz .LBB270_229
.LBB270_296:
	v_sub_u32_e32 v56, v49, v62
	v_mov_b32_e32 v57, 0
	v_lshlrev_b64 v[56:57], 3, v[56:57]
	v_add_co_u32_e32 v56, vcc, v52, v56
	v_addc_co_u32_e32 v57, vcc, v53, v57, vcc
	global_store_dwordx2 v[56:57], v[24:25], off
	s_or_b64 exec, exec, s[38:39]
	s_and_saveexec_b64 s[38:39], s[22:23]
	s_cbranch_execz .LBB270_230
.LBB270_297:
	v_sub_u32_e32 v56, v48, v62
	v_mov_b32_e32 v57, 0
	v_lshlrev_b64 v[56:57], 3, v[56:57]
	v_add_co_u32_e32 v56, vcc, v52, v56
	v_addc_co_u32_e32 v57, vcc, v53, v57, vcc
	global_store_dwordx2 v[56:57], v[18:19], off
	s_or_b64 exec, exec, s[38:39]
	s_and_saveexec_b64 s[38:39], s[20:21]
	s_cbranch_execz .LBB270_231
.LBB270_298:
	v_sub_u32_e32 v56, v47, v62
	v_mov_b32_e32 v57, 0
	v_lshlrev_b64 v[56:57], 3, v[56:57]
	v_add_co_u32_e32 v56, vcc, v52, v56
	v_addc_co_u32_e32 v57, vcc, v53, v57, vcc
	global_store_dwordx2 v[56:57], v[20:21], off
	s_or_b64 exec, exec, s[38:39]
	s_and_saveexec_b64 s[38:39], s[18:19]
	s_cbranch_execz .LBB270_232
.LBB270_299:
	v_sub_u32_e32 v56, v46, v62
	v_mov_b32_e32 v57, 0
	v_lshlrev_b64 v[56:57], 3, v[56:57]
	v_add_co_u32_e32 v56, vcc, v52, v56
	v_addc_co_u32_e32 v57, vcc, v53, v57, vcc
	global_store_dwordx2 v[56:57], v[14:15], off
	s_or_b64 exec, exec, s[38:39]
	s_and_saveexec_b64 s[38:39], s[16:17]
	s_cbranch_execz .LBB270_233
.LBB270_300:
	v_sub_u32_e32 v56, v45, v62
	v_mov_b32_e32 v57, 0
	v_lshlrev_b64 v[56:57], 3, v[56:57]
	v_add_co_u32_e32 v56, vcc, v52, v56
	v_addc_co_u32_e32 v57, vcc, v53, v57, vcc
	global_store_dwordx2 v[56:57], v[16:17], off
	s_or_b64 exec, exec, s[38:39]
	s_and_saveexec_b64 s[38:39], s[14:15]
	s_cbranch_execz .LBB270_234
.LBB270_301:
	v_sub_u32_e32 v56, v44, v62
	v_mov_b32_e32 v57, 0
	v_lshlrev_b64 v[56:57], 3, v[56:57]
	v_add_co_u32_e32 v56, vcc, v52, v56
	v_addc_co_u32_e32 v57, vcc, v53, v57, vcc
	global_store_dwordx2 v[56:57], v[10:11], off
	s_or_b64 exec, exec, s[38:39]
	s_and_saveexec_b64 s[38:39], s[12:13]
	s_cbranch_execz .LBB270_235
.LBB270_302:
	v_sub_u32_e32 v56, v43, v62
	v_mov_b32_e32 v57, 0
	v_lshlrev_b64 v[56:57], 3, v[56:57]
	v_add_co_u32_e32 v56, vcc, v52, v56
	v_addc_co_u32_e32 v57, vcc, v53, v57, vcc
	global_store_dwordx2 v[56:57], v[12:13], off
	s_or_b64 exec, exec, s[38:39]
	s_and_saveexec_b64 s[38:39], s[10:11]
	s_cbranch_execz .LBB270_236
.LBB270_303:
	v_sub_u32_e32 v56, v42, v62
	v_mov_b32_e32 v57, 0
	v_lshlrev_b64 v[56:57], 3, v[56:57]
	v_add_co_u32_e32 v56, vcc, v52, v56
	v_addc_co_u32_e32 v57, vcc, v53, v57, vcc
	global_store_dwordx2 v[56:57], v[6:7], off
	s_or_b64 exec, exec, s[38:39]
	s_and_saveexec_b64 s[38:39], s[8:9]
	s_cbranch_execz .LBB270_237
.LBB270_304:
	v_sub_u32_e32 v56, v41, v62
	v_mov_b32_e32 v57, 0
	v_lshlrev_b64 v[56:57], 3, v[56:57]
	v_add_co_u32_e32 v56, vcc, v52, v56
	v_addc_co_u32_e32 v57, vcc, v53, v57, vcc
	global_store_dwordx2 v[56:57], v[8:9], off
	s_or_b64 exec, exec, s[38:39]
	s_and_saveexec_b64 s[38:39], s[6:7]
	s_cbranch_execz .LBB270_238
.LBB270_305:
	v_sub_u32_e32 v56, v40, v62
	v_mov_b32_e32 v57, 0
	v_lshlrev_b64 v[56:57], 3, v[56:57]
	v_add_co_u32_e32 v56, vcc, v52, v56
	v_addc_co_u32_e32 v57, vcc, v53, v57, vcc
	global_store_dwordx2 v[56:57], v[2:3], off
	s_or_b64 exec, exec, s[38:39]
	s_and_saveexec_b64 s[38:39], s[4:5]
	s_cbranch_execnz .LBB270_239
	s_branch .LBB270_240
.LBB270_306:
	v_sub_u32_e32 v54, v59, v62
	v_lshlrev_b32_e32 v54, 3, v54
	ds_write_b64 v54, v[26:27]
	s_or_b64 exec, exec, s[38:39]
	s_and_saveexec_b64 s[30:31], s[28:29]
	s_cbranch_execz .LBB270_244
.LBB270_307:
	v_sub_u32_e32 v26, v51, v62
	v_lshlrev_b32_e32 v26, 3, v26
	ds_write_b64 v26, v[28:29]
	s_or_b64 exec, exec, s[30:31]
	s_and_saveexec_b64 s[28:29], s[26:27]
	s_cbranch_execz .LBB270_245
.LBB270_308:
	v_sub_u32_e32 v26, v50, v62
	v_lshlrev_b32_e32 v26, 3, v26
	ds_write_b64 v26, v[22:23]
	s_or_b64 exec, exec, s[28:29]
	s_and_saveexec_b64 s[26:27], s[24:25]
	s_cbranch_execz .LBB270_246
.LBB270_309:
	v_sub_u32_e32 v22, v49, v62
	v_lshlrev_b32_e32 v22, 3, v22
	ds_write_b64 v22, v[24:25]
	s_or_b64 exec, exec, s[26:27]
	s_and_saveexec_b64 s[24:25], s[22:23]
	s_cbranch_execz .LBB270_247
.LBB270_310:
	v_sub_u32_e32 v22, v48, v62
	v_lshlrev_b32_e32 v22, 3, v22
	ds_write_b64 v22, v[18:19]
	s_or_b64 exec, exec, s[24:25]
	s_and_saveexec_b64 s[22:23], s[20:21]
	s_cbranch_execz .LBB270_248
.LBB270_311:
	v_sub_u32_e32 v18, v47, v62
	v_lshlrev_b32_e32 v18, 3, v18
	ds_write_b64 v18, v[20:21]
	s_or_b64 exec, exec, s[22:23]
	s_and_saveexec_b64 s[20:21], s[18:19]
	s_cbranch_execz .LBB270_249
.LBB270_312:
	v_sub_u32_e32 v18, v46, v62
	v_lshlrev_b32_e32 v18, 3, v18
	ds_write_b64 v18, v[14:15]
	s_or_b64 exec, exec, s[20:21]
	s_and_saveexec_b64 s[18:19], s[16:17]
	s_cbranch_execz .LBB270_250
.LBB270_313:
	v_sub_u32_e32 v14, v45, v62
	v_lshlrev_b32_e32 v14, 3, v14
	ds_write_b64 v14, v[16:17]
	s_or_b64 exec, exec, s[18:19]
	s_and_saveexec_b64 s[16:17], s[14:15]
	s_cbranch_execz .LBB270_251
.LBB270_314:
	v_sub_u32_e32 v14, v44, v62
	v_lshlrev_b32_e32 v14, 3, v14
	ds_write_b64 v14, v[10:11]
	s_or_b64 exec, exec, s[16:17]
	s_and_saveexec_b64 s[14:15], s[12:13]
	s_cbranch_execz .LBB270_252
.LBB270_315:
	v_sub_u32_e32 v10, v43, v62
	v_lshlrev_b32_e32 v10, 3, v10
	ds_write_b64 v10, v[12:13]
	s_or_b64 exec, exec, s[14:15]
	s_and_saveexec_b64 s[12:13], s[10:11]
	s_cbranch_execz .LBB270_253
.LBB270_316:
	v_sub_u32_e32 v10, v42, v62
	v_lshlrev_b32_e32 v10, 3, v10
	ds_write_b64 v10, v[6:7]
	s_or_b64 exec, exec, s[12:13]
	s_and_saveexec_b64 s[10:11], s[8:9]
	s_cbranch_execz .LBB270_254
.LBB270_317:
	v_sub_u32_e32 v6, v41, v62
	v_lshlrev_b32_e32 v6, 3, v6
	ds_write_b64 v6, v[8:9]
	s_or_b64 exec, exec, s[10:11]
	s_and_saveexec_b64 s[8:9], s[6:7]
	s_cbranch_execz .LBB270_255
.LBB270_318:
	v_sub_u32_e32 v6, v40, v62
	v_lshlrev_b32_e32 v6, 3, v6
	ds_write_b64 v6, v[2:3]
	s_or_b64 exec, exec, s[8:9]
	s_and_saveexec_b64 s[6:7], s[4:5]
	s_cbranch_execnz .LBB270_256
	s_branch .LBB270_257
.LBB270_319:
	v_sub_u32_e32 v10, v59, v8
	v_mov_b32_e32 v11, 0
	v_lshlrev_b64 v[10:11], 3, v[10:11]
	v_add_co_u32_e32 v10, vcc, v6, v10
	v_addc_co_u32_e32 v11, vcc, v7, v11, vcc
	global_store_dwordx2 v[10:11], v[92:93], off
	s_or_b64 exec, exec, s[36:37]
	s_and_saveexec_b64 s[36:37], s[26:27]
	s_cbranch_execz .LBB270_261
.LBB270_320:
	v_sub_u32_e32 v10, v51, v8
	v_mov_b32_e32 v11, 0
	v_lshlrev_b64 v[10:11], 3, v[10:11]
	v_add_co_u32_e32 v10, vcc, v6, v10
	v_addc_co_u32_e32 v11, vcc, v7, v11, vcc
	global_store_dwordx2 v[10:11], v[64:65], off
	s_or_b64 exec, exec, s[36:37]
	s_and_saveexec_b64 s[36:37], s[24:25]
	s_cbranch_execz .LBB270_262
.LBB270_321:
	v_sub_u32_e32 v10, v50, v8
	v_mov_b32_e32 v11, 0
	v_lshlrev_b64 v[10:11], 3, v[10:11]
	v_add_co_u32_e32 v10, vcc, v6, v10
	v_addc_co_u32_e32 v11, vcc, v7, v11, vcc
	global_store_dwordx2 v[10:11], v[66:67], off
	s_or_b64 exec, exec, s[36:37]
	s_and_saveexec_b64 s[36:37], s[22:23]
	s_cbranch_execz .LBB270_263
.LBB270_322:
	v_sub_u32_e32 v10, v49, v8
	v_mov_b32_e32 v11, 0
	v_lshlrev_b64 v[10:11], 3, v[10:11]
	v_add_co_u32_e32 v10, vcc, v6, v10
	v_addc_co_u32_e32 v11, vcc, v7, v11, vcc
	global_store_dwordx2 v[10:11], v[68:69], off
	s_or_b64 exec, exec, s[36:37]
	s_and_saveexec_b64 s[36:37], s[20:21]
	s_cbranch_execz .LBB270_264
.LBB270_323:
	v_sub_u32_e32 v10, v48, v8
	v_mov_b32_e32 v11, 0
	v_lshlrev_b64 v[10:11], 3, v[10:11]
	v_add_co_u32_e32 v10, vcc, v6, v10
	v_addc_co_u32_e32 v11, vcc, v7, v11, vcc
	global_store_dwordx2 v[10:11], v[70:71], off
	s_or_b64 exec, exec, s[36:37]
	s_and_saveexec_b64 s[36:37], s[18:19]
	s_cbranch_execz .LBB270_265
.LBB270_324:
	v_sub_u32_e32 v10, v47, v8
	v_mov_b32_e32 v11, 0
	v_lshlrev_b64 v[10:11], 3, v[10:11]
	v_add_co_u32_e32 v10, vcc, v6, v10
	v_addc_co_u32_e32 v11, vcc, v7, v11, vcc
	global_store_dwordx2 v[10:11], v[76:77], off
	s_or_b64 exec, exec, s[36:37]
	s_and_saveexec_b64 s[36:37], s[16:17]
	s_cbranch_execz .LBB270_266
.LBB270_325:
	v_sub_u32_e32 v10, v46, v8
	v_mov_b32_e32 v11, 0
	v_lshlrev_b64 v[10:11], 3, v[10:11]
	v_add_co_u32_e32 v10, vcc, v6, v10
	v_addc_co_u32_e32 v11, vcc, v7, v11, vcc
	global_store_dwordx2 v[10:11], v[78:79], off
	s_or_b64 exec, exec, s[36:37]
	s_and_saveexec_b64 s[36:37], s[14:15]
	s_cbranch_execz .LBB270_267
.LBB270_326:
	v_sub_u32_e32 v10, v45, v8
	v_mov_b32_e32 v11, 0
	v_lshlrev_b64 v[10:11], 3, v[10:11]
	v_add_co_u32_e32 v10, vcc, v6, v10
	v_addc_co_u32_e32 v11, vcc, v7, v11, vcc
	global_store_dwordx2 v[10:11], v[80:81], off
	s_or_b64 exec, exec, s[36:37]
	s_and_saveexec_b64 s[36:37], s[12:13]
	s_cbranch_execz .LBB270_268
.LBB270_327:
	v_sub_u32_e32 v10, v44, v8
	v_mov_b32_e32 v11, 0
	v_lshlrev_b64 v[10:11], 3, v[10:11]
	v_add_co_u32_e32 v10, vcc, v6, v10
	v_addc_co_u32_e32 v11, vcc, v7, v11, vcc
	global_store_dwordx2 v[10:11], v[82:83], off
	s_or_b64 exec, exec, s[36:37]
	s_and_saveexec_b64 s[36:37], s[10:11]
	s_cbranch_execz .LBB270_269
.LBB270_328:
	v_sub_u32_e32 v10, v43, v8
	v_mov_b32_e32 v11, 0
	v_lshlrev_b64 v[10:11], 3, v[10:11]
	v_add_co_u32_e32 v10, vcc, v6, v10
	v_addc_co_u32_e32 v11, vcc, v7, v11, vcc
	global_store_dwordx2 v[10:11], v[84:85], off
	s_or_b64 exec, exec, s[36:37]
	s_and_saveexec_b64 s[36:37], s[8:9]
	s_cbranch_execz .LBB270_270
.LBB270_329:
	v_sub_u32_e32 v10, v42, v8
	v_mov_b32_e32 v11, 0
	v_lshlrev_b64 v[10:11], 3, v[10:11]
	v_add_co_u32_e32 v10, vcc, v6, v10
	v_addc_co_u32_e32 v11, vcc, v7, v11, vcc
	global_store_dwordx2 v[10:11], v[86:87], off
	s_or_b64 exec, exec, s[36:37]
	s_and_saveexec_b64 s[36:37], s[6:7]
	s_cbranch_execz .LBB270_271
.LBB270_330:
	v_sub_u32_e32 v10, v41, v8
	v_mov_b32_e32 v11, 0
	v_lshlrev_b64 v[10:11], 3, v[10:11]
	v_add_co_u32_e32 v10, vcc, v6, v10
	v_addc_co_u32_e32 v11, vcc, v7, v11, vcc
	global_store_dwordx2 v[10:11], v[88:89], off
	s_or_b64 exec, exec, s[36:37]
	s_and_saveexec_b64 s[36:37], s[4:5]
	s_cbranch_execz .LBB270_272
.LBB270_331:
	v_sub_u32_e32 v10, v40, v8
	v_mov_b32_e32 v11, 0
	v_lshlrev_b64 v[10:11], 3, v[10:11]
	v_add_co_u32_e32 v10, vcc, v6, v10
	v_addc_co_u32_e32 v11, vcc, v7, v11, vcc
	global_store_dwordx2 v[10:11], v[90:91], off
	s_or_b64 exec, exec, s[36:37]
	s_and_saveexec_b64 s[36:37], s[2:3]
	s_cbranch_execnz .LBB270_273
	s_branch .LBB270_274
.LBB270_332:
	v_sub_u32_e32 v9, v59, v8
	v_lshlrev_b32_e32 v9, 3, v9
	ds_write_b64 v9, v[92:93]
	s_or_b64 exec, exec, s[36:37]
	s_and_saveexec_b64 s[28:29], s[26:27]
	s_cbranch_execz .LBB270_278
.LBB270_333:
	v_sub_u32_e32 v9, v51, v8
	v_lshlrev_b32_e32 v9, 3, v9
	ds_write_b64 v9, v[64:65]
	s_or_b64 exec, exec, s[28:29]
	s_and_saveexec_b64 s[26:27], s[24:25]
	s_cbranch_execz .LBB270_279
.LBB270_334:
	v_sub_u32_e32 v9, v50, v8
	v_lshlrev_b32_e32 v9, 3, v9
	ds_write_b64 v9, v[66:67]
	s_or_b64 exec, exec, s[26:27]
	s_and_saveexec_b64 s[24:25], s[22:23]
	s_cbranch_execz .LBB270_280
.LBB270_335:
	v_sub_u32_e32 v9, v49, v8
	v_lshlrev_b32_e32 v9, 3, v9
	ds_write_b64 v9, v[68:69]
	s_or_b64 exec, exec, s[24:25]
	s_and_saveexec_b64 s[22:23], s[20:21]
	s_cbranch_execz .LBB270_281
.LBB270_336:
	v_sub_u32_e32 v9, v48, v8
	v_lshlrev_b32_e32 v9, 3, v9
	ds_write_b64 v9, v[70:71]
	s_or_b64 exec, exec, s[22:23]
	s_and_saveexec_b64 s[20:21], s[18:19]
	s_cbranch_execz .LBB270_282
.LBB270_337:
	v_sub_u32_e32 v9, v47, v8
	v_lshlrev_b32_e32 v9, 3, v9
	ds_write_b64 v9, v[76:77]
	s_or_b64 exec, exec, s[20:21]
	s_and_saveexec_b64 s[18:19], s[16:17]
	s_cbranch_execz .LBB270_283
.LBB270_338:
	v_sub_u32_e32 v9, v46, v8
	v_lshlrev_b32_e32 v9, 3, v9
	ds_write_b64 v9, v[78:79]
	s_or_b64 exec, exec, s[18:19]
	s_and_saveexec_b64 s[16:17], s[14:15]
	s_cbranch_execz .LBB270_284
.LBB270_339:
	v_sub_u32_e32 v9, v45, v8
	v_lshlrev_b32_e32 v9, 3, v9
	ds_write_b64 v9, v[80:81]
	s_or_b64 exec, exec, s[16:17]
	s_and_saveexec_b64 s[14:15], s[12:13]
	s_cbranch_execz .LBB270_285
.LBB270_340:
	v_sub_u32_e32 v9, v44, v8
	v_lshlrev_b32_e32 v9, 3, v9
	ds_write_b64 v9, v[82:83]
	s_or_b64 exec, exec, s[14:15]
	s_and_saveexec_b64 s[12:13], s[10:11]
	s_cbranch_execz .LBB270_286
.LBB270_341:
	v_sub_u32_e32 v9, v43, v8
	v_lshlrev_b32_e32 v9, 3, v9
	ds_write_b64 v9, v[84:85]
	s_or_b64 exec, exec, s[12:13]
	s_and_saveexec_b64 s[10:11], s[8:9]
	s_cbranch_execz .LBB270_287
.LBB270_342:
	v_sub_u32_e32 v9, v42, v8
	v_lshlrev_b32_e32 v9, 3, v9
	ds_write_b64 v9, v[86:87]
	s_or_b64 exec, exec, s[10:11]
	s_and_saveexec_b64 s[8:9], s[6:7]
	s_cbranch_execz .LBB270_288
.LBB270_343:
	v_sub_u32_e32 v9, v41, v8
	v_lshlrev_b32_e32 v9, 3, v9
	ds_write_b64 v9, v[88:89]
	s_or_b64 exec, exec, s[8:9]
	s_and_saveexec_b64 s[6:7], s[4:5]
	s_cbranch_execz .LBB270_289
.LBB270_344:
	v_sub_u32_e32 v9, v40, v8
	v_lshlrev_b32_e32 v9, 3, v9
	ds_write_b64 v9, v[90:91]
	s_or_b64 exec, exec, s[6:7]
	s_and_saveexec_b64 s[4:5], s[2:3]
	s_cbranch_execnz .LBB270_290
	s_branch .LBB270_291
	.section	.rodata,"a",@progbits
	.p2align	6, 0x0
	.amdhsa_kernel _ZN7rocprim17ROCPRIM_400000_NS6detail17trampoline_kernelINS0_14default_configENS1_29reduce_by_key_config_selectorIyyN6thrust23THRUST_200600_302600_NS4plusIyEEEEZZNS1_33reduce_by_key_impl_wrapped_configILNS1_25lookback_scan_determinismE0ES3_S9_NS6_6detail15normal_iteratorINS6_10device_ptrIyEEEESG_SG_SG_PmS8_NS6_8equal_toIyEEEE10hipError_tPvRmT2_T3_mT4_T5_T6_T7_T8_P12ihipStream_tbENKUlT_T0_E_clISt17integral_constantIbLb0EES10_IbLb1EEEEDaSW_SX_EUlSW_E_NS1_11comp_targetILNS1_3genE4ELNS1_11target_archE910ELNS1_3gpuE8ELNS1_3repE0EEENS1_30default_config_static_selectorELNS0_4arch9wavefront6targetE1EEEvT1_
		.amdhsa_group_segment_fixed_size 30720
		.amdhsa_private_segment_fixed_size 0
		.amdhsa_kernarg_size 136
		.amdhsa_user_sgpr_count 6
		.amdhsa_user_sgpr_private_segment_buffer 1
		.amdhsa_user_sgpr_dispatch_ptr 0
		.amdhsa_user_sgpr_queue_ptr 0
		.amdhsa_user_sgpr_kernarg_segment_ptr 1
		.amdhsa_user_sgpr_dispatch_id 0
		.amdhsa_user_sgpr_flat_scratch_init 0
		.amdhsa_user_sgpr_kernarg_preload_length 0
		.amdhsa_user_sgpr_kernarg_preload_offset 0
		.amdhsa_user_sgpr_private_segment_size 0
		.amdhsa_uses_dynamic_stack 0
		.amdhsa_system_sgpr_private_segment_wavefront_offset 0
		.amdhsa_system_sgpr_workgroup_id_x 1
		.amdhsa_system_sgpr_workgroup_id_y 0
		.amdhsa_system_sgpr_workgroup_id_z 0
		.amdhsa_system_sgpr_workgroup_info 0
		.amdhsa_system_vgpr_workitem_id 0
		.amdhsa_next_free_vgpr 118
		.amdhsa_next_free_sgpr 66
		.amdhsa_accum_offset 120
		.amdhsa_reserve_vcc 1
		.amdhsa_reserve_flat_scratch 0
		.amdhsa_float_round_mode_32 0
		.amdhsa_float_round_mode_16_64 0
		.amdhsa_float_denorm_mode_32 3
		.amdhsa_float_denorm_mode_16_64 3
		.amdhsa_dx10_clamp 1
		.amdhsa_ieee_mode 1
		.amdhsa_fp16_overflow 0
		.amdhsa_tg_split 0
		.amdhsa_exception_fp_ieee_invalid_op 0
		.amdhsa_exception_fp_denorm_src 0
		.amdhsa_exception_fp_ieee_div_zero 0
		.amdhsa_exception_fp_ieee_overflow 0
		.amdhsa_exception_fp_ieee_underflow 0
		.amdhsa_exception_fp_ieee_inexact 0
		.amdhsa_exception_int_div_zero 0
	.end_amdhsa_kernel
	.section	.text._ZN7rocprim17ROCPRIM_400000_NS6detail17trampoline_kernelINS0_14default_configENS1_29reduce_by_key_config_selectorIyyN6thrust23THRUST_200600_302600_NS4plusIyEEEEZZNS1_33reduce_by_key_impl_wrapped_configILNS1_25lookback_scan_determinismE0ES3_S9_NS6_6detail15normal_iteratorINS6_10device_ptrIyEEEESG_SG_SG_PmS8_NS6_8equal_toIyEEEE10hipError_tPvRmT2_T3_mT4_T5_T6_T7_T8_P12ihipStream_tbENKUlT_T0_E_clISt17integral_constantIbLb0EES10_IbLb1EEEEDaSW_SX_EUlSW_E_NS1_11comp_targetILNS1_3genE4ELNS1_11target_archE910ELNS1_3gpuE8ELNS1_3repE0EEENS1_30default_config_static_selectorELNS0_4arch9wavefront6targetE1EEEvT1_,"axG",@progbits,_ZN7rocprim17ROCPRIM_400000_NS6detail17trampoline_kernelINS0_14default_configENS1_29reduce_by_key_config_selectorIyyN6thrust23THRUST_200600_302600_NS4plusIyEEEEZZNS1_33reduce_by_key_impl_wrapped_configILNS1_25lookback_scan_determinismE0ES3_S9_NS6_6detail15normal_iteratorINS6_10device_ptrIyEEEESG_SG_SG_PmS8_NS6_8equal_toIyEEEE10hipError_tPvRmT2_T3_mT4_T5_T6_T7_T8_P12ihipStream_tbENKUlT_T0_E_clISt17integral_constantIbLb0EES10_IbLb1EEEEDaSW_SX_EUlSW_E_NS1_11comp_targetILNS1_3genE4ELNS1_11target_archE910ELNS1_3gpuE8ELNS1_3repE0EEENS1_30default_config_static_selectorELNS0_4arch9wavefront6targetE1EEEvT1_,comdat
.Lfunc_end270:
	.size	_ZN7rocprim17ROCPRIM_400000_NS6detail17trampoline_kernelINS0_14default_configENS1_29reduce_by_key_config_selectorIyyN6thrust23THRUST_200600_302600_NS4plusIyEEEEZZNS1_33reduce_by_key_impl_wrapped_configILNS1_25lookback_scan_determinismE0ES3_S9_NS6_6detail15normal_iteratorINS6_10device_ptrIyEEEESG_SG_SG_PmS8_NS6_8equal_toIyEEEE10hipError_tPvRmT2_T3_mT4_T5_T6_T7_T8_P12ihipStream_tbENKUlT_T0_E_clISt17integral_constantIbLb0EES10_IbLb1EEEEDaSW_SX_EUlSW_E_NS1_11comp_targetILNS1_3genE4ELNS1_11target_archE910ELNS1_3gpuE8ELNS1_3repE0EEENS1_30default_config_static_selectorELNS0_4arch9wavefront6targetE1EEEvT1_, .Lfunc_end270-_ZN7rocprim17ROCPRIM_400000_NS6detail17trampoline_kernelINS0_14default_configENS1_29reduce_by_key_config_selectorIyyN6thrust23THRUST_200600_302600_NS4plusIyEEEEZZNS1_33reduce_by_key_impl_wrapped_configILNS1_25lookback_scan_determinismE0ES3_S9_NS6_6detail15normal_iteratorINS6_10device_ptrIyEEEESG_SG_SG_PmS8_NS6_8equal_toIyEEEE10hipError_tPvRmT2_T3_mT4_T5_T6_T7_T8_P12ihipStream_tbENKUlT_T0_E_clISt17integral_constantIbLb0EES10_IbLb1EEEEDaSW_SX_EUlSW_E_NS1_11comp_targetILNS1_3genE4ELNS1_11target_archE910ELNS1_3gpuE8ELNS1_3repE0EEENS1_30default_config_static_selectorELNS0_4arch9wavefront6targetE1EEEvT1_
                                        ; -- End function
	.section	.AMDGPU.csdata,"",@progbits
; Kernel info:
; codeLenInByte = 16756
; NumSgprs: 70
; NumVgprs: 118
; NumAgprs: 0
; TotalNumVgprs: 118
; ScratchSize: 0
; MemoryBound: 0
; FloatMode: 240
; IeeeMode: 1
; LDSByteSize: 30720 bytes/workgroup (compile time only)
; SGPRBlocks: 8
; VGPRBlocks: 14
; NumSGPRsForWavesPerEU: 70
; NumVGPRsForWavesPerEU: 118
; AccumOffset: 120
; Occupancy: 2
; WaveLimiterHint : 1
; COMPUTE_PGM_RSRC2:SCRATCH_EN: 0
; COMPUTE_PGM_RSRC2:USER_SGPR: 6
; COMPUTE_PGM_RSRC2:TRAP_HANDLER: 0
; COMPUTE_PGM_RSRC2:TGID_X_EN: 1
; COMPUTE_PGM_RSRC2:TGID_Y_EN: 0
; COMPUTE_PGM_RSRC2:TGID_Z_EN: 0
; COMPUTE_PGM_RSRC2:TIDIG_COMP_CNT: 0
; COMPUTE_PGM_RSRC3_GFX90A:ACCUM_OFFSET: 29
; COMPUTE_PGM_RSRC3_GFX90A:TG_SPLIT: 0
	.section	.text._ZN7rocprim17ROCPRIM_400000_NS6detail17trampoline_kernelINS0_14default_configENS1_29reduce_by_key_config_selectorIyyN6thrust23THRUST_200600_302600_NS4plusIyEEEEZZNS1_33reduce_by_key_impl_wrapped_configILNS1_25lookback_scan_determinismE0ES3_S9_NS6_6detail15normal_iteratorINS6_10device_ptrIyEEEESG_SG_SG_PmS8_NS6_8equal_toIyEEEE10hipError_tPvRmT2_T3_mT4_T5_T6_T7_T8_P12ihipStream_tbENKUlT_T0_E_clISt17integral_constantIbLb0EES10_IbLb1EEEEDaSW_SX_EUlSW_E_NS1_11comp_targetILNS1_3genE3ELNS1_11target_archE908ELNS1_3gpuE7ELNS1_3repE0EEENS1_30default_config_static_selectorELNS0_4arch9wavefront6targetE1EEEvT1_,"axG",@progbits,_ZN7rocprim17ROCPRIM_400000_NS6detail17trampoline_kernelINS0_14default_configENS1_29reduce_by_key_config_selectorIyyN6thrust23THRUST_200600_302600_NS4plusIyEEEEZZNS1_33reduce_by_key_impl_wrapped_configILNS1_25lookback_scan_determinismE0ES3_S9_NS6_6detail15normal_iteratorINS6_10device_ptrIyEEEESG_SG_SG_PmS8_NS6_8equal_toIyEEEE10hipError_tPvRmT2_T3_mT4_T5_T6_T7_T8_P12ihipStream_tbENKUlT_T0_E_clISt17integral_constantIbLb0EES10_IbLb1EEEEDaSW_SX_EUlSW_E_NS1_11comp_targetILNS1_3genE3ELNS1_11target_archE908ELNS1_3gpuE7ELNS1_3repE0EEENS1_30default_config_static_selectorELNS0_4arch9wavefront6targetE1EEEvT1_,comdat
	.protected	_ZN7rocprim17ROCPRIM_400000_NS6detail17trampoline_kernelINS0_14default_configENS1_29reduce_by_key_config_selectorIyyN6thrust23THRUST_200600_302600_NS4plusIyEEEEZZNS1_33reduce_by_key_impl_wrapped_configILNS1_25lookback_scan_determinismE0ES3_S9_NS6_6detail15normal_iteratorINS6_10device_ptrIyEEEESG_SG_SG_PmS8_NS6_8equal_toIyEEEE10hipError_tPvRmT2_T3_mT4_T5_T6_T7_T8_P12ihipStream_tbENKUlT_T0_E_clISt17integral_constantIbLb0EES10_IbLb1EEEEDaSW_SX_EUlSW_E_NS1_11comp_targetILNS1_3genE3ELNS1_11target_archE908ELNS1_3gpuE7ELNS1_3repE0EEENS1_30default_config_static_selectorELNS0_4arch9wavefront6targetE1EEEvT1_ ; -- Begin function _ZN7rocprim17ROCPRIM_400000_NS6detail17trampoline_kernelINS0_14default_configENS1_29reduce_by_key_config_selectorIyyN6thrust23THRUST_200600_302600_NS4plusIyEEEEZZNS1_33reduce_by_key_impl_wrapped_configILNS1_25lookback_scan_determinismE0ES3_S9_NS6_6detail15normal_iteratorINS6_10device_ptrIyEEEESG_SG_SG_PmS8_NS6_8equal_toIyEEEE10hipError_tPvRmT2_T3_mT4_T5_T6_T7_T8_P12ihipStream_tbENKUlT_T0_E_clISt17integral_constantIbLb0EES10_IbLb1EEEEDaSW_SX_EUlSW_E_NS1_11comp_targetILNS1_3genE3ELNS1_11target_archE908ELNS1_3gpuE7ELNS1_3repE0EEENS1_30default_config_static_selectorELNS0_4arch9wavefront6targetE1EEEvT1_
	.globl	_ZN7rocprim17ROCPRIM_400000_NS6detail17trampoline_kernelINS0_14default_configENS1_29reduce_by_key_config_selectorIyyN6thrust23THRUST_200600_302600_NS4plusIyEEEEZZNS1_33reduce_by_key_impl_wrapped_configILNS1_25lookback_scan_determinismE0ES3_S9_NS6_6detail15normal_iteratorINS6_10device_ptrIyEEEESG_SG_SG_PmS8_NS6_8equal_toIyEEEE10hipError_tPvRmT2_T3_mT4_T5_T6_T7_T8_P12ihipStream_tbENKUlT_T0_E_clISt17integral_constantIbLb0EES10_IbLb1EEEEDaSW_SX_EUlSW_E_NS1_11comp_targetILNS1_3genE3ELNS1_11target_archE908ELNS1_3gpuE7ELNS1_3repE0EEENS1_30default_config_static_selectorELNS0_4arch9wavefront6targetE1EEEvT1_
	.p2align	8
	.type	_ZN7rocprim17ROCPRIM_400000_NS6detail17trampoline_kernelINS0_14default_configENS1_29reduce_by_key_config_selectorIyyN6thrust23THRUST_200600_302600_NS4plusIyEEEEZZNS1_33reduce_by_key_impl_wrapped_configILNS1_25lookback_scan_determinismE0ES3_S9_NS6_6detail15normal_iteratorINS6_10device_ptrIyEEEESG_SG_SG_PmS8_NS6_8equal_toIyEEEE10hipError_tPvRmT2_T3_mT4_T5_T6_T7_T8_P12ihipStream_tbENKUlT_T0_E_clISt17integral_constantIbLb0EES10_IbLb1EEEEDaSW_SX_EUlSW_E_NS1_11comp_targetILNS1_3genE3ELNS1_11target_archE908ELNS1_3gpuE7ELNS1_3repE0EEENS1_30default_config_static_selectorELNS0_4arch9wavefront6targetE1EEEvT1_,@function
_ZN7rocprim17ROCPRIM_400000_NS6detail17trampoline_kernelINS0_14default_configENS1_29reduce_by_key_config_selectorIyyN6thrust23THRUST_200600_302600_NS4plusIyEEEEZZNS1_33reduce_by_key_impl_wrapped_configILNS1_25lookback_scan_determinismE0ES3_S9_NS6_6detail15normal_iteratorINS6_10device_ptrIyEEEESG_SG_SG_PmS8_NS6_8equal_toIyEEEE10hipError_tPvRmT2_T3_mT4_T5_T6_T7_T8_P12ihipStream_tbENKUlT_T0_E_clISt17integral_constantIbLb0EES10_IbLb1EEEEDaSW_SX_EUlSW_E_NS1_11comp_targetILNS1_3genE3ELNS1_11target_archE908ELNS1_3gpuE7ELNS1_3repE0EEENS1_30default_config_static_selectorELNS0_4arch9wavefront6targetE1EEEvT1_: ; @_ZN7rocprim17ROCPRIM_400000_NS6detail17trampoline_kernelINS0_14default_configENS1_29reduce_by_key_config_selectorIyyN6thrust23THRUST_200600_302600_NS4plusIyEEEEZZNS1_33reduce_by_key_impl_wrapped_configILNS1_25lookback_scan_determinismE0ES3_S9_NS6_6detail15normal_iteratorINS6_10device_ptrIyEEEESG_SG_SG_PmS8_NS6_8equal_toIyEEEE10hipError_tPvRmT2_T3_mT4_T5_T6_T7_T8_P12ihipStream_tbENKUlT_T0_E_clISt17integral_constantIbLb0EES10_IbLb1EEEEDaSW_SX_EUlSW_E_NS1_11comp_targetILNS1_3genE3ELNS1_11target_archE908ELNS1_3gpuE7ELNS1_3repE0EEENS1_30default_config_static_selectorELNS0_4arch9wavefront6targetE1EEEvT1_
; %bb.0:
	.section	.rodata,"a",@progbits
	.p2align	6, 0x0
	.amdhsa_kernel _ZN7rocprim17ROCPRIM_400000_NS6detail17trampoline_kernelINS0_14default_configENS1_29reduce_by_key_config_selectorIyyN6thrust23THRUST_200600_302600_NS4plusIyEEEEZZNS1_33reduce_by_key_impl_wrapped_configILNS1_25lookback_scan_determinismE0ES3_S9_NS6_6detail15normal_iteratorINS6_10device_ptrIyEEEESG_SG_SG_PmS8_NS6_8equal_toIyEEEE10hipError_tPvRmT2_T3_mT4_T5_T6_T7_T8_P12ihipStream_tbENKUlT_T0_E_clISt17integral_constantIbLb0EES10_IbLb1EEEEDaSW_SX_EUlSW_E_NS1_11comp_targetILNS1_3genE3ELNS1_11target_archE908ELNS1_3gpuE7ELNS1_3repE0EEENS1_30default_config_static_selectorELNS0_4arch9wavefront6targetE1EEEvT1_
		.amdhsa_group_segment_fixed_size 0
		.amdhsa_private_segment_fixed_size 0
		.amdhsa_kernarg_size 136
		.amdhsa_user_sgpr_count 6
		.amdhsa_user_sgpr_private_segment_buffer 1
		.amdhsa_user_sgpr_dispatch_ptr 0
		.amdhsa_user_sgpr_queue_ptr 0
		.amdhsa_user_sgpr_kernarg_segment_ptr 1
		.amdhsa_user_sgpr_dispatch_id 0
		.amdhsa_user_sgpr_flat_scratch_init 0
		.amdhsa_user_sgpr_kernarg_preload_length 0
		.amdhsa_user_sgpr_kernarg_preload_offset 0
		.amdhsa_user_sgpr_private_segment_size 0
		.amdhsa_uses_dynamic_stack 0
		.amdhsa_system_sgpr_private_segment_wavefront_offset 0
		.amdhsa_system_sgpr_workgroup_id_x 1
		.amdhsa_system_sgpr_workgroup_id_y 0
		.amdhsa_system_sgpr_workgroup_id_z 0
		.amdhsa_system_sgpr_workgroup_info 0
		.amdhsa_system_vgpr_workitem_id 0
		.amdhsa_next_free_vgpr 1
		.amdhsa_next_free_sgpr 0
		.amdhsa_accum_offset 4
		.amdhsa_reserve_vcc 0
		.amdhsa_reserve_flat_scratch 0
		.amdhsa_float_round_mode_32 0
		.amdhsa_float_round_mode_16_64 0
		.amdhsa_float_denorm_mode_32 3
		.amdhsa_float_denorm_mode_16_64 3
		.amdhsa_dx10_clamp 1
		.amdhsa_ieee_mode 1
		.amdhsa_fp16_overflow 0
		.amdhsa_tg_split 0
		.amdhsa_exception_fp_ieee_invalid_op 0
		.amdhsa_exception_fp_denorm_src 0
		.amdhsa_exception_fp_ieee_div_zero 0
		.amdhsa_exception_fp_ieee_overflow 0
		.amdhsa_exception_fp_ieee_underflow 0
		.amdhsa_exception_fp_ieee_inexact 0
		.amdhsa_exception_int_div_zero 0
	.end_amdhsa_kernel
	.section	.text._ZN7rocprim17ROCPRIM_400000_NS6detail17trampoline_kernelINS0_14default_configENS1_29reduce_by_key_config_selectorIyyN6thrust23THRUST_200600_302600_NS4plusIyEEEEZZNS1_33reduce_by_key_impl_wrapped_configILNS1_25lookback_scan_determinismE0ES3_S9_NS6_6detail15normal_iteratorINS6_10device_ptrIyEEEESG_SG_SG_PmS8_NS6_8equal_toIyEEEE10hipError_tPvRmT2_T3_mT4_T5_T6_T7_T8_P12ihipStream_tbENKUlT_T0_E_clISt17integral_constantIbLb0EES10_IbLb1EEEEDaSW_SX_EUlSW_E_NS1_11comp_targetILNS1_3genE3ELNS1_11target_archE908ELNS1_3gpuE7ELNS1_3repE0EEENS1_30default_config_static_selectorELNS0_4arch9wavefront6targetE1EEEvT1_,"axG",@progbits,_ZN7rocprim17ROCPRIM_400000_NS6detail17trampoline_kernelINS0_14default_configENS1_29reduce_by_key_config_selectorIyyN6thrust23THRUST_200600_302600_NS4plusIyEEEEZZNS1_33reduce_by_key_impl_wrapped_configILNS1_25lookback_scan_determinismE0ES3_S9_NS6_6detail15normal_iteratorINS6_10device_ptrIyEEEESG_SG_SG_PmS8_NS6_8equal_toIyEEEE10hipError_tPvRmT2_T3_mT4_T5_T6_T7_T8_P12ihipStream_tbENKUlT_T0_E_clISt17integral_constantIbLb0EES10_IbLb1EEEEDaSW_SX_EUlSW_E_NS1_11comp_targetILNS1_3genE3ELNS1_11target_archE908ELNS1_3gpuE7ELNS1_3repE0EEENS1_30default_config_static_selectorELNS0_4arch9wavefront6targetE1EEEvT1_,comdat
.Lfunc_end271:
	.size	_ZN7rocprim17ROCPRIM_400000_NS6detail17trampoline_kernelINS0_14default_configENS1_29reduce_by_key_config_selectorIyyN6thrust23THRUST_200600_302600_NS4plusIyEEEEZZNS1_33reduce_by_key_impl_wrapped_configILNS1_25lookback_scan_determinismE0ES3_S9_NS6_6detail15normal_iteratorINS6_10device_ptrIyEEEESG_SG_SG_PmS8_NS6_8equal_toIyEEEE10hipError_tPvRmT2_T3_mT4_T5_T6_T7_T8_P12ihipStream_tbENKUlT_T0_E_clISt17integral_constantIbLb0EES10_IbLb1EEEEDaSW_SX_EUlSW_E_NS1_11comp_targetILNS1_3genE3ELNS1_11target_archE908ELNS1_3gpuE7ELNS1_3repE0EEENS1_30default_config_static_selectorELNS0_4arch9wavefront6targetE1EEEvT1_, .Lfunc_end271-_ZN7rocprim17ROCPRIM_400000_NS6detail17trampoline_kernelINS0_14default_configENS1_29reduce_by_key_config_selectorIyyN6thrust23THRUST_200600_302600_NS4plusIyEEEEZZNS1_33reduce_by_key_impl_wrapped_configILNS1_25lookback_scan_determinismE0ES3_S9_NS6_6detail15normal_iteratorINS6_10device_ptrIyEEEESG_SG_SG_PmS8_NS6_8equal_toIyEEEE10hipError_tPvRmT2_T3_mT4_T5_T6_T7_T8_P12ihipStream_tbENKUlT_T0_E_clISt17integral_constantIbLb0EES10_IbLb1EEEEDaSW_SX_EUlSW_E_NS1_11comp_targetILNS1_3genE3ELNS1_11target_archE908ELNS1_3gpuE7ELNS1_3repE0EEENS1_30default_config_static_selectorELNS0_4arch9wavefront6targetE1EEEvT1_
                                        ; -- End function
	.section	.AMDGPU.csdata,"",@progbits
; Kernel info:
; codeLenInByte = 0
; NumSgprs: 4
; NumVgprs: 0
; NumAgprs: 0
; TotalNumVgprs: 0
; ScratchSize: 0
; MemoryBound: 0
; FloatMode: 240
; IeeeMode: 1
; LDSByteSize: 0 bytes/workgroup (compile time only)
; SGPRBlocks: 0
; VGPRBlocks: 0
; NumSGPRsForWavesPerEU: 4
; NumVGPRsForWavesPerEU: 1
; AccumOffset: 4
; Occupancy: 8
; WaveLimiterHint : 0
; COMPUTE_PGM_RSRC2:SCRATCH_EN: 0
; COMPUTE_PGM_RSRC2:USER_SGPR: 6
; COMPUTE_PGM_RSRC2:TRAP_HANDLER: 0
; COMPUTE_PGM_RSRC2:TGID_X_EN: 1
; COMPUTE_PGM_RSRC2:TGID_Y_EN: 0
; COMPUTE_PGM_RSRC2:TGID_Z_EN: 0
; COMPUTE_PGM_RSRC2:TIDIG_COMP_CNT: 0
; COMPUTE_PGM_RSRC3_GFX90A:ACCUM_OFFSET: 0
; COMPUTE_PGM_RSRC3_GFX90A:TG_SPLIT: 0
	.section	.text._ZN7rocprim17ROCPRIM_400000_NS6detail17trampoline_kernelINS0_14default_configENS1_29reduce_by_key_config_selectorIyyN6thrust23THRUST_200600_302600_NS4plusIyEEEEZZNS1_33reduce_by_key_impl_wrapped_configILNS1_25lookback_scan_determinismE0ES3_S9_NS6_6detail15normal_iteratorINS6_10device_ptrIyEEEESG_SG_SG_PmS8_NS6_8equal_toIyEEEE10hipError_tPvRmT2_T3_mT4_T5_T6_T7_T8_P12ihipStream_tbENKUlT_T0_E_clISt17integral_constantIbLb0EES10_IbLb1EEEEDaSW_SX_EUlSW_E_NS1_11comp_targetILNS1_3genE2ELNS1_11target_archE906ELNS1_3gpuE6ELNS1_3repE0EEENS1_30default_config_static_selectorELNS0_4arch9wavefront6targetE1EEEvT1_,"axG",@progbits,_ZN7rocprim17ROCPRIM_400000_NS6detail17trampoline_kernelINS0_14default_configENS1_29reduce_by_key_config_selectorIyyN6thrust23THRUST_200600_302600_NS4plusIyEEEEZZNS1_33reduce_by_key_impl_wrapped_configILNS1_25lookback_scan_determinismE0ES3_S9_NS6_6detail15normal_iteratorINS6_10device_ptrIyEEEESG_SG_SG_PmS8_NS6_8equal_toIyEEEE10hipError_tPvRmT2_T3_mT4_T5_T6_T7_T8_P12ihipStream_tbENKUlT_T0_E_clISt17integral_constantIbLb0EES10_IbLb1EEEEDaSW_SX_EUlSW_E_NS1_11comp_targetILNS1_3genE2ELNS1_11target_archE906ELNS1_3gpuE6ELNS1_3repE0EEENS1_30default_config_static_selectorELNS0_4arch9wavefront6targetE1EEEvT1_,comdat
	.protected	_ZN7rocprim17ROCPRIM_400000_NS6detail17trampoline_kernelINS0_14default_configENS1_29reduce_by_key_config_selectorIyyN6thrust23THRUST_200600_302600_NS4plusIyEEEEZZNS1_33reduce_by_key_impl_wrapped_configILNS1_25lookback_scan_determinismE0ES3_S9_NS6_6detail15normal_iteratorINS6_10device_ptrIyEEEESG_SG_SG_PmS8_NS6_8equal_toIyEEEE10hipError_tPvRmT2_T3_mT4_T5_T6_T7_T8_P12ihipStream_tbENKUlT_T0_E_clISt17integral_constantIbLb0EES10_IbLb1EEEEDaSW_SX_EUlSW_E_NS1_11comp_targetILNS1_3genE2ELNS1_11target_archE906ELNS1_3gpuE6ELNS1_3repE0EEENS1_30default_config_static_selectorELNS0_4arch9wavefront6targetE1EEEvT1_ ; -- Begin function _ZN7rocprim17ROCPRIM_400000_NS6detail17trampoline_kernelINS0_14default_configENS1_29reduce_by_key_config_selectorIyyN6thrust23THRUST_200600_302600_NS4plusIyEEEEZZNS1_33reduce_by_key_impl_wrapped_configILNS1_25lookback_scan_determinismE0ES3_S9_NS6_6detail15normal_iteratorINS6_10device_ptrIyEEEESG_SG_SG_PmS8_NS6_8equal_toIyEEEE10hipError_tPvRmT2_T3_mT4_T5_T6_T7_T8_P12ihipStream_tbENKUlT_T0_E_clISt17integral_constantIbLb0EES10_IbLb1EEEEDaSW_SX_EUlSW_E_NS1_11comp_targetILNS1_3genE2ELNS1_11target_archE906ELNS1_3gpuE6ELNS1_3repE0EEENS1_30default_config_static_selectorELNS0_4arch9wavefront6targetE1EEEvT1_
	.globl	_ZN7rocprim17ROCPRIM_400000_NS6detail17trampoline_kernelINS0_14default_configENS1_29reduce_by_key_config_selectorIyyN6thrust23THRUST_200600_302600_NS4plusIyEEEEZZNS1_33reduce_by_key_impl_wrapped_configILNS1_25lookback_scan_determinismE0ES3_S9_NS6_6detail15normal_iteratorINS6_10device_ptrIyEEEESG_SG_SG_PmS8_NS6_8equal_toIyEEEE10hipError_tPvRmT2_T3_mT4_T5_T6_T7_T8_P12ihipStream_tbENKUlT_T0_E_clISt17integral_constantIbLb0EES10_IbLb1EEEEDaSW_SX_EUlSW_E_NS1_11comp_targetILNS1_3genE2ELNS1_11target_archE906ELNS1_3gpuE6ELNS1_3repE0EEENS1_30default_config_static_selectorELNS0_4arch9wavefront6targetE1EEEvT1_
	.p2align	8
	.type	_ZN7rocprim17ROCPRIM_400000_NS6detail17trampoline_kernelINS0_14default_configENS1_29reduce_by_key_config_selectorIyyN6thrust23THRUST_200600_302600_NS4plusIyEEEEZZNS1_33reduce_by_key_impl_wrapped_configILNS1_25lookback_scan_determinismE0ES3_S9_NS6_6detail15normal_iteratorINS6_10device_ptrIyEEEESG_SG_SG_PmS8_NS6_8equal_toIyEEEE10hipError_tPvRmT2_T3_mT4_T5_T6_T7_T8_P12ihipStream_tbENKUlT_T0_E_clISt17integral_constantIbLb0EES10_IbLb1EEEEDaSW_SX_EUlSW_E_NS1_11comp_targetILNS1_3genE2ELNS1_11target_archE906ELNS1_3gpuE6ELNS1_3repE0EEENS1_30default_config_static_selectorELNS0_4arch9wavefront6targetE1EEEvT1_,@function
_ZN7rocprim17ROCPRIM_400000_NS6detail17trampoline_kernelINS0_14default_configENS1_29reduce_by_key_config_selectorIyyN6thrust23THRUST_200600_302600_NS4plusIyEEEEZZNS1_33reduce_by_key_impl_wrapped_configILNS1_25lookback_scan_determinismE0ES3_S9_NS6_6detail15normal_iteratorINS6_10device_ptrIyEEEESG_SG_SG_PmS8_NS6_8equal_toIyEEEE10hipError_tPvRmT2_T3_mT4_T5_T6_T7_T8_P12ihipStream_tbENKUlT_T0_E_clISt17integral_constantIbLb0EES10_IbLb1EEEEDaSW_SX_EUlSW_E_NS1_11comp_targetILNS1_3genE2ELNS1_11target_archE906ELNS1_3gpuE6ELNS1_3repE0EEENS1_30default_config_static_selectorELNS0_4arch9wavefront6targetE1EEEvT1_: ; @_ZN7rocprim17ROCPRIM_400000_NS6detail17trampoline_kernelINS0_14default_configENS1_29reduce_by_key_config_selectorIyyN6thrust23THRUST_200600_302600_NS4plusIyEEEEZZNS1_33reduce_by_key_impl_wrapped_configILNS1_25lookback_scan_determinismE0ES3_S9_NS6_6detail15normal_iteratorINS6_10device_ptrIyEEEESG_SG_SG_PmS8_NS6_8equal_toIyEEEE10hipError_tPvRmT2_T3_mT4_T5_T6_T7_T8_P12ihipStream_tbENKUlT_T0_E_clISt17integral_constantIbLb0EES10_IbLb1EEEEDaSW_SX_EUlSW_E_NS1_11comp_targetILNS1_3genE2ELNS1_11target_archE906ELNS1_3gpuE6ELNS1_3repE0EEENS1_30default_config_static_selectorELNS0_4arch9wavefront6targetE1EEEvT1_
; %bb.0:
	.section	.rodata,"a",@progbits
	.p2align	6, 0x0
	.amdhsa_kernel _ZN7rocprim17ROCPRIM_400000_NS6detail17trampoline_kernelINS0_14default_configENS1_29reduce_by_key_config_selectorIyyN6thrust23THRUST_200600_302600_NS4plusIyEEEEZZNS1_33reduce_by_key_impl_wrapped_configILNS1_25lookback_scan_determinismE0ES3_S9_NS6_6detail15normal_iteratorINS6_10device_ptrIyEEEESG_SG_SG_PmS8_NS6_8equal_toIyEEEE10hipError_tPvRmT2_T3_mT4_T5_T6_T7_T8_P12ihipStream_tbENKUlT_T0_E_clISt17integral_constantIbLb0EES10_IbLb1EEEEDaSW_SX_EUlSW_E_NS1_11comp_targetILNS1_3genE2ELNS1_11target_archE906ELNS1_3gpuE6ELNS1_3repE0EEENS1_30default_config_static_selectorELNS0_4arch9wavefront6targetE1EEEvT1_
		.amdhsa_group_segment_fixed_size 0
		.amdhsa_private_segment_fixed_size 0
		.amdhsa_kernarg_size 136
		.amdhsa_user_sgpr_count 6
		.amdhsa_user_sgpr_private_segment_buffer 1
		.amdhsa_user_sgpr_dispatch_ptr 0
		.amdhsa_user_sgpr_queue_ptr 0
		.amdhsa_user_sgpr_kernarg_segment_ptr 1
		.amdhsa_user_sgpr_dispatch_id 0
		.amdhsa_user_sgpr_flat_scratch_init 0
		.amdhsa_user_sgpr_kernarg_preload_length 0
		.amdhsa_user_sgpr_kernarg_preload_offset 0
		.amdhsa_user_sgpr_private_segment_size 0
		.amdhsa_uses_dynamic_stack 0
		.amdhsa_system_sgpr_private_segment_wavefront_offset 0
		.amdhsa_system_sgpr_workgroup_id_x 1
		.amdhsa_system_sgpr_workgroup_id_y 0
		.amdhsa_system_sgpr_workgroup_id_z 0
		.amdhsa_system_sgpr_workgroup_info 0
		.amdhsa_system_vgpr_workitem_id 0
		.amdhsa_next_free_vgpr 1
		.amdhsa_next_free_sgpr 0
		.amdhsa_accum_offset 4
		.amdhsa_reserve_vcc 0
		.amdhsa_reserve_flat_scratch 0
		.amdhsa_float_round_mode_32 0
		.amdhsa_float_round_mode_16_64 0
		.amdhsa_float_denorm_mode_32 3
		.amdhsa_float_denorm_mode_16_64 3
		.amdhsa_dx10_clamp 1
		.amdhsa_ieee_mode 1
		.amdhsa_fp16_overflow 0
		.amdhsa_tg_split 0
		.amdhsa_exception_fp_ieee_invalid_op 0
		.amdhsa_exception_fp_denorm_src 0
		.amdhsa_exception_fp_ieee_div_zero 0
		.amdhsa_exception_fp_ieee_overflow 0
		.amdhsa_exception_fp_ieee_underflow 0
		.amdhsa_exception_fp_ieee_inexact 0
		.amdhsa_exception_int_div_zero 0
	.end_amdhsa_kernel
	.section	.text._ZN7rocprim17ROCPRIM_400000_NS6detail17trampoline_kernelINS0_14default_configENS1_29reduce_by_key_config_selectorIyyN6thrust23THRUST_200600_302600_NS4plusIyEEEEZZNS1_33reduce_by_key_impl_wrapped_configILNS1_25lookback_scan_determinismE0ES3_S9_NS6_6detail15normal_iteratorINS6_10device_ptrIyEEEESG_SG_SG_PmS8_NS6_8equal_toIyEEEE10hipError_tPvRmT2_T3_mT4_T5_T6_T7_T8_P12ihipStream_tbENKUlT_T0_E_clISt17integral_constantIbLb0EES10_IbLb1EEEEDaSW_SX_EUlSW_E_NS1_11comp_targetILNS1_3genE2ELNS1_11target_archE906ELNS1_3gpuE6ELNS1_3repE0EEENS1_30default_config_static_selectorELNS0_4arch9wavefront6targetE1EEEvT1_,"axG",@progbits,_ZN7rocprim17ROCPRIM_400000_NS6detail17trampoline_kernelINS0_14default_configENS1_29reduce_by_key_config_selectorIyyN6thrust23THRUST_200600_302600_NS4plusIyEEEEZZNS1_33reduce_by_key_impl_wrapped_configILNS1_25lookback_scan_determinismE0ES3_S9_NS6_6detail15normal_iteratorINS6_10device_ptrIyEEEESG_SG_SG_PmS8_NS6_8equal_toIyEEEE10hipError_tPvRmT2_T3_mT4_T5_T6_T7_T8_P12ihipStream_tbENKUlT_T0_E_clISt17integral_constantIbLb0EES10_IbLb1EEEEDaSW_SX_EUlSW_E_NS1_11comp_targetILNS1_3genE2ELNS1_11target_archE906ELNS1_3gpuE6ELNS1_3repE0EEENS1_30default_config_static_selectorELNS0_4arch9wavefront6targetE1EEEvT1_,comdat
.Lfunc_end272:
	.size	_ZN7rocprim17ROCPRIM_400000_NS6detail17trampoline_kernelINS0_14default_configENS1_29reduce_by_key_config_selectorIyyN6thrust23THRUST_200600_302600_NS4plusIyEEEEZZNS1_33reduce_by_key_impl_wrapped_configILNS1_25lookback_scan_determinismE0ES3_S9_NS6_6detail15normal_iteratorINS6_10device_ptrIyEEEESG_SG_SG_PmS8_NS6_8equal_toIyEEEE10hipError_tPvRmT2_T3_mT4_T5_T6_T7_T8_P12ihipStream_tbENKUlT_T0_E_clISt17integral_constantIbLb0EES10_IbLb1EEEEDaSW_SX_EUlSW_E_NS1_11comp_targetILNS1_3genE2ELNS1_11target_archE906ELNS1_3gpuE6ELNS1_3repE0EEENS1_30default_config_static_selectorELNS0_4arch9wavefront6targetE1EEEvT1_, .Lfunc_end272-_ZN7rocprim17ROCPRIM_400000_NS6detail17trampoline_kernelINS0_14default_configENS1_29reduce_by_key_config_selectorIyyN6thrust23THRUST_200600_302600_NS4plusIyEEEEZZNS1_33reduce_by_key_impl_wrapped_configILNS1_25lookback_scan_determinismE0ES3_S9_NS6_6detail15normal_iteratorINS6_10device_ptrIyEEEESG_SG_SG_PmS8_NS6_8equal_toIyEEEE10hipError_tPvRmT2_T3_mT4_T5_T6_T7_T8_P12ihipStream_tbENKUlT_T0_E_clISt17integral_constantIbLb0EES10_IbLb1EEEEDaSW_SX_EUlSW_E_NS1_11comp_targetILNS1_3genE2ELNS1_11target_archE906ELNS1_3gpuE6ELNS1_3repE0EEENS1_30default_config_static_selectorELNS0_4arch9wavefront6targetE1EEEvT1_
                                        ; -- End function
	.section	.AMDGPU.csdata,"",@progbits
; Kernel info:
; codeLenInByte = 0
; NumSgprs: 4
; NumVgprs: 0
; NumAgprs: 0
; TotalNumVgprs: 0
; ScratchSize: 0
; MemoryBound: 0
; FloatMode: 240
; IeeeMode: 1
; LDSByteSize: 0 bytes/workgroup (compile time only)
; SGPRBlocks: 0
; VGPRBlocks: 0
; NumSGPRsForWavesPerEU: 4
; NumVGPRsForWavesPerEU: 1
; AccumOffset: 4
; Occupancy: 8
; WaveLimiterHint : 0
; COMPUTE_PGM_RSRC2:SCRATCH_EN: 0
; COMPUTE_PGM_RSRC2:USER_SGPR: 6
; COMPUTE_PGM_RSRC2:TRAP_HANDLER: 0
; COMPUTE_PGM_RSRC2:TGID_X_EN: 1
; COMPUTE_PGM_RSRC2:TGID_Y_EN: 0
; COMPUTE_PGM_RSRC2:TGID_Z_EN: 0
; COMPUTE_PGM_RSRC2:TIDIG_COMP_CNT: 0
; COMPUTE_PGM_RSRC3_GFX90A:ACCUM_OFFSET: 0
; COMPUTE_PGM_RSRC3_GFX90A:TG_SPLIT: 0
	.section	.text._ZN7rocprim17ROCPRIM_400000_NS6detail17trampoline_kernelINS0_14default_configENS1_29reduce_by_key_config_selectorIyyN6thrust23THRUST_200600_302600_NS4plusIyEEEEZZNS1_33reduce_by_key_impl_wrapped_configILNS1_25lookback_scan_determinismE0ES3_S9_NS6_6detail15normal_iteratorINS6_10device_ptrIyEEEESG_SG_SG_PmS8_NS6_8equal_toIyEEEE10hipError_tPvRmT2_T3_mT4_T5_T6_T7_T8_P12ihipStream_tbENKUlT_T0_E_clISt17integral_constantIbLb0EES10_IbLb1EEEEDaSW_SX_EUlSW_E_NS1_11comp_targetILNS1_3genE10ELNS1_11target_archE1201ELNS1_3gpuE5ELNS1_3repE0EEENS1_30default_config_static_selectorELNS0_4arch9wavefront6targetE1EEEvT1_,"axG",@progbits,_ZN7rocprim17ROCPRIM_400000_NS6detail17trampoline_kernelINS0_14default_configENS1_29reduce_by_key_config_selectorIyyN6thrust23THRUST_200600_302600_NS4plusIyEEEEZZNS1_33reduce_by_key_impl_wrapped_configILNS1_25lookback_scan_determinismE0ES3_S9_NS6_6detail15normal_iteratorINS6_10device_ptrIyEEEESG_SG_SG_PmS8_NS6_8equal_toIyEEEE10hipError_tPvRmT2_T3_mT4_T5_T6_T7_T8_P12ihipStream_tbENKUlT_T0_E_clISt17integral_constantIbLb0EES10_IbLb1EEEEDaSW_SX_EUlSW_E_NS1_11comp_targetILNS1_3genE10ELNS1_11target_archE1201ELNS1_3gpuE5ELNS1_3repE0EEENS1_30default_config_static_selectorELNS0_4arch9wavefront6targetE1EEEvT1_,comdat
	.protected	_ZN7rocprim17ROCPRIM_400000_NS6detail17trampoline_kernelINS0_14default_configENS1_29reduce_by_key_config_selectorIyyN6thrust23THRUST_200600_302600_NS4plusIyEEEEZZNS1_33reduce_by_key_impl_wrapped_configILNS1_25lookback_scan_determinismE0ES3_S9_NS6_6detail15normal_iteratorINS6_10device_ptrIyEEEESG_SG_SG_PmS8_NS6_8equal_toIyEEEE10hipError_tPvRmT2_T3_mT4_T5_T6_T7_T8_P12ihipStream_tbENKUlT_T0_E_clISt17integral_constantIbLb0EES10_IbLb1EEEEDaSW_SX_EUlSW_E_NS1_11comp_targetILNS1_3genE10ELNS1_11target_archE1201ELNS1_3gpuE5ELNS1_3repE0EEENS1_30default_config_static_selectorELNS0_4arch9wavefront6targetE1EEEvT1_ ; -- Begin function _ZN7rocprim17ROCPRIM_400000_NS6detail17trampoline_kernelINS0_14default_configENS1_29reduce_by_key_config_selectorIyyN6thrust23THRUST_200600_302600_NS4plusIyEEEEZZNS1_33reduce_by_key_impl_wrapped_configILNS1_25lookback_scan_determinismE0ES3_S9_NS6_6detail15normal_iteratorINS6_10device_ptrIyEEEESG_SG_SG_PmS8_NS6_8equal_toIyEEEE10hipError_tPvRmT2_T3_mT4_T5_T6_T7_T8_P12ihipStream_tbENKUlT_T0_E_clISt17integral_constantIbLb0EES10_IbLb1EEEEDaSW_SX_EUlSW_E_NS1_11comp_targetILNS1_3genE10ELNS1_11target_archE1201ELNS1_3gpuE5ELNS1_3repE0EEENS1_30default_config_static_selectorELNS0_4arch9wavefront6targetE1EEEvT1_
	.globl	_ZN7rocprim17ROCPRIM_400000_NS6detail17trampoline_kernelINS0_14default_configENS1_29reduce_by_key_config_selectorIyyN6thrust23THRUST_200600_302600_NS4plusIyEEEEZZNS1_33reduce_by_key_impl_wrapped_configILNS1_25lookback_scan_determinismE0ES3_S9_NS6_6detail15normal_iteratorINS6_10device_ptrIyEEEESG_SG_SG_PmS8_NS6_8equal_toIyEEEE10hipError_tPvRmT2_T3_mT4_T5_T6_T7_T8_P12ihipStream_tbENKUlT_T0_E_clISt17integral_constantIbLb0EES10_IbLb1EEEEDaSW_SX_EUlSW_E_NS1_11comp_targetILNS1_3genE10ELNS1_11target_archE1201ELNS1_3gpuE5ELNS1_3repE0EEENS1_30default_config_static_selectorELNS0_4arch9wavefront6targetE1EEEvT1_
	.p2align	8
	.type	_ZN7rocprim17ROCPRIM_400000_NS6detail17trampoline_kernelINS0_14default_configENS1_29reduce_by_key_config_selectorIyyN6thrust23THRUST_200600_302600_NS4plusIyEEEEZZNS1_33reduce_by_key_impl_wrapped_configILNS1_25lookback_scan_determinismE0ES3_S9_NS6_6detail15normal_iteratorINS6_10device_ptrIyEEEESG_SG_SG_PmS8_NS6_8equal_toIyEEEE10hipError_tPvRmT2_T3_mT4_T5_T6_T7_T8_P12ihipStream_tbENKUlT_T0_E_clISt17integral_constantIbLb0EES10_IbLb1EEEEDaSW_SX_EUlSW_E_NS1_11comp_targetILNS1_3genE10ELNS1_11target_archE1201ELNS1_3gpuE5ELNS1_3repE0EEENS1_30default_config_static_selectorELNS0_4arch9wavefront6targetE1EEEvT1_,@function
_ZN7rocprim17ROCPRIM_400000_NS6detail17trampoline_kernelINS0_14default_configENS1_29reduce_by_key_config_selectorIyyN6thrust23THRUST_200600_302600_NS4plusIyEEEEZZNS1_33reduce_by_key_impl_wrapped_configILNS1_25lookback_scan_determinismE0ES3_S9_NS6_6detail15normal_iteratorINS6_10device_ptrIyEEEESG_SG_SG_PmS8_NS6_8equal_toIyEEEE10hipError_tPvRmT2_T3_mT4_T5_T6_T7_T8_P12ihipStream_tbENKUlT_T0_E_clISt17integral_constantIbLb0EES10_IbLb1EEEEDaSW_SX_EUlSW_E_NS1_11comp_targetILNS1_3genE10ELNS1_11target_archE1201ELNS1_3gpuE5ELNS1_3repE0EEENS1_30default_config_static_selectorELNS0_4arch9wavefront6targetE1EEEvT1_: ; @_ZN7rocprim17ROCPRIM_400000_NS6detail17trampoline_kernelINS0_14default_configENS1_29reduce_by_key_config_selectorIyyN6thrust23THRUST_200600_302600_NS4plusIyEEEEZZNS1_33reduce_by_key_impl_wrapped_configILNS1_25lookback_scan_determinismE0ES3_S9_NS6_6detail15normal_iteratorINS6_10device_ptrIyEEEESG_SG_SG_PmS8_NS6_8equal_toIyEEEE10hipError_tPvRmT2_T3_mT4_T5_T6_T7_T8_P12ihipStream_tbENKUlT_T0_E_clISt17integral_constantIbLb0EES10_IbLb1EEEEDaSW_SX_EUlSW_E_NS1_11comp_targetILNS1_3genE10ELNS1_11target_archE1201ELNS1_3gpuE5ELNS1_3repE0EEENS1_30default_config_static_selectorELNS0_4arch9wavefront6targetE1EEEvT1_
; %bb.0:
	.section	.rodata,"a",@progbits
	.p2align	6, 0x0
	.amdhsa_kernel _ZN7rocprim17ROCPRIM_400000_NS6detail17trampoline_kernelINS0_14default_configENS1_29reduce_by_key_config_selectorIyyN6thrust23THRUST_200600_302600_NS4plusIyEEEEZZNS1_33reduce_by_key_impl_wrapped_configILNS1_25lookback_scan_determinismE0ES3_S9_NS6_6detail15normal_iteratorINS6_10device_ptrIyEEEESG_SG_SG_PmS8_NS6_8equal_toIyEEEE10hipError_tPvRmT2_T3_mT4_T5_T6_T7_T8_P12ihipStream_tbENKUlT_T0_E_clISt17integral_constantIbLb0EES10_IbLb1EEEEDaSW_SX_EUlSW_E_NS1_11comp_targetILNS1_3genE10ELNS1_11target_archE1201ELNS1_3gpuE5ELNS1_3repE0EEENS1_30default_config_static_selectorELNS0_4arch9wavefront6targetE1EEEvT1_
		.amdhsa_group_segment_fixed_size 0
		.amdhsa_private_segment_fixed_size 0
		.amdhsa_kernarg_size 136
		.amdhsa_user_sgpr_count 6
		.amdhsa_user_sgpr_private_segment_buffer 1
		.amdhsa_user_sgpr_dispatch_ptr 0
		.amdhsa_user_sgpr_queue_ptr 0
		.amdhsa_user_sgpr_kernarg_segment_ptr 1
		.amdhsa_user_sgpr_dispatch_id 0
		.amdhsa_user_sgpr_flat_scratch_init 0
		.amdhsa_user_sgpr_kernarg_preload_length 0
		.amdhsa_user_sgpr_kernarg_preload_offset 0
		.amdhsa_user_sgpr_private_segment_size 0
		.amdhsa_uses_dynamic_stack 0
		.amdhsa_system_sgpr_private_segment_wavefront_offset 0
		.amdhsa_system_sgpr_workgroup_id_x 1
		.amdhsa_system_sgpr_workgroup_id_y 0
		.amdhsa_system_sgpr_workgroup_id_z 0
		.amdhsa_system_sgpr_workgroup_info 0
		.amdhsa_system_vgpr_workitem_id 0
		.amdhsa_next_free_vgpr 1
		.amdhsa_next_free_sgpr 0
		.amdhsa_accum_offset 4
		.amdhsa_reserve_vcc 0
		.amdhsa_reserve_flat_scratch 0
		.amdhsa_float_round_mode_32 0
		.amdhsa_float_round_mode_16_64 0
		.amdhsa_float_denorm_mode_32 3
		.amdhsa_float_denorm_mode_16_64 3
		.amdhsa_dx10_clamp 1
		.amdhsa_ieee_mode 1
		.amdhsa_fp16_overflow 0
		.amdhsa_tg_split 0
		.amdhsa_exception_fp_ieee_invalid_op 0
		.amdhsa_exception_fp_denorm_src 0
		.amdhsa_exception_fp_ieee_div_zero 0
		.amdhsa_exception_fp_ieee_overflow 0
		.amdhsa_exception_fp_ieee_underflow 0
		.amdhsa_exception_fp_ieee_inexact 0
		.amdhsa_exception_int_div_zero 0
	.end_amdhsa_kernel
	.section	.text._ZN7rocprim17ROCPRIM_400000_NS6detail17trampoline_kernelINS0_14default_configENS1_29reduce_by_key_config_selectorIyyN6thrust23THRUST_200600_302600_NS4plusIyEEEEZZNS1_33reduce_by_key_impl_wrapped_configILNS1_25lookback_scan_determinismE0ES3_S9_NS6_6detail15normal_iteratorINS6_10device_ptrIyEEEESG_SG_SG_PmS8_NS6_8equal_toIyEEEE10hipError_tPvRmT2_T3_mT4_T5_T6_T7_T8_P12ihipStream_tbENKUlT_T0_E_clISt17integral_constantIbLb0EES10_IbLb1EEEEDaSW_SX_EUlSW_E_NS1_11comp_targetILNS1_3genE10ELNS1_11target_archE1201ELNS1_3gpuE5ELNS1_3repE0EEENS1_30default_config_static_selectorELNS0_4arch9wavefront6targetE1EEEvT1_,"axG",@progbits,_ZN7rocprim17ROCPRIM_400000_NS6detail17trampoline_kernelINS0_14default_configENS1_29reduce_by_key_config_selectorIyyN6thrust23THRUST_200600_302600_NS4plusIyEEEEZZNS1_33reduce_by_key_impl_wrapped_configILNS1_25lookback_scan_determinismE0ES3_S9_NS6_6detail15normal_iteratorINS6_10device_ptrIyEEEESG_SG_SG_PmS8_NS6_8equal_toIyEEEE10hipError_tPvRmT2_T3_mT4_T5_T6_T7_T8_P12ihipStream_tbENKUlT_T0_E_clISt17integral_constantIbLb0EES10_IbLb1EEEEDaSW_SX_EUlSW_E_NS1_11comp_targetILNS1_3genE10ELNS1_11target_archE1201ELNS1_3gpuE5ELNS1_3repE0EEENS1_30default_config_static_selectorELNS0_4arch9wavefront6targetE1EEEvT1_,comdat
.Lfunc_end273:
	.size	_ZN7rocprim17ROCPRIM_400000_NS6detail17trampoline_kernelINS0_14default_configENS1_29reduce_by_key_config_selectorIyyN6thrust23THRUST_200600_302600_NS4plusIyEEEEZZNS1_33reduce_by_key_impl_wrapped_configILNS1_25lookback_scan_determinismE0ES3_S9_NS6_6detail15normal_iteratorINS6_10device_ptrIyEEEESG_SG_SG_PmS8_NS6_8equal_toIyEEEE10hipError_tPvRmT2_T3_mT4_T5_T6_T7_T8_P12ihipStream_tbENKUlT_T0_E_clISt17integral_constantIbLb0EES10_IbLb1EEEEDaSW_SX_EUlSW_E_NS1_11comp_targetILNS1_3genE10ELNS1_11target_archE1201ELNS1_3gpuE5ELNS1_3repE0EEENS1_30default_config_static_selectorELNS0_4arch9wavefront6targetE1EEEvT1_, .Lfunc_end273-_ZN7rocprim17ROCPRIM_400000_NS6detail17trampoline_kernelINS0_14default_configENS1_29reduce_by_key_config_selectorIyyN6thrust23THRUST_200600_302600_NS4plusIyEEEEZZNS1_33reduce_by_key_impl_wrapped_configILNS1_25lookback_scan_determinismE0ES3_S9_NS6_6detail15normal_iteratorINS6_10device_ptrIyEEEESG_SG_SG_PmS8_NS6_8equal_toIyEEEE10hipError_tPvRmT2_T3_mT4_T5_T6_T7_T8_P12ihipStream_tbENKUlT_T0_E_clISt17integral_constantIbLb0EES10_IbLb1EEEEDaSW_SX_EUlSW_E_NS1_11comp_targetILNS1_3genE10ELNS1_11target_archE1201ELNS1_3gpuE5ELNS1_3repE0EEENS1_30default_config_static_selectorELNS0_4arch9wavefront6targetE1EEEvT1_
                                        ; -- End function
	.section	.AMDGPU.csdata,"",@progbits
; Kernel info:
; codeLenInByte = 0
; NumSgprs: 4
; NumVgprs: 0
; NumAgprs: 0
; TotalNumVgprs: 0
; ScratchSize: 0
; MemoryBound: 0
; FloatMode: 240
; IeeeMode: 1
; LDSByteSize: 0 bytes/workgroup (compile time only)
; SGPRBlocks: 0
; VGPRBlocks: 0
; NumSGPRsForWavesPerEU: 4
; NumVGPRsForWavesPerEU: 1
; AccumOffset: 4
; Occupancy: 8
; WaveLimiterHint : 0
; COMPUTE_PGM_RSRC2:SCRATCH_EN: 0
; COMPUTE_PGM_RSRC2:USER_SGPR: 6
; COMPUTE_PGM_RSRC2:TRAP_HANDLER: 0
; COMPUTE_PGM_RSRC2:TGID_X_EN: 1
; COMPUTE_PGM_RSRC2:TGID_Y_EN: 0
; COMPUTE_PGM_RSRC2:TGID_Z_EN: 0
; COMPUTE_PGM_RSRC2:TIDIG_COMP_CNT: 0
; COMPUTE_PGM_RSRC3_GFX90A:ACCUM_OFFSET: 0
; COMPUTE_PGM_RSRC3_GFX90A:TG_SPLIT: 0
	.section	.text._ZN7rocprim17ROCPRIM_400000_NS6detail17trampoline_kernelINS0_14default_configENS1_29reduce_by_key_config_selectorIyyN6thrust23THRUST_200600_302600_NS4plusIyEEEEZZNS1_33reduce_by_key_impl_wrapped_configILNS1_25lookback_scan_determinismE0ES3_S9_NS6_6detail15normal_iteratorINS6_10device_ptrIyEEEESG_SG_SG_PmS8_NS6_8equal_toIyEEEE10hipError_tPvRmT2_T3_mT4_T5_T6_T7_T8_P12ihipStream_tbENKUlT_T0_E_clISt17integral_constantIbLb0EES10_IbLb1EEEEDaSW_SX_EUlSW_E_NS1_11comp_targetILNS1_3genE10ELNS1_11target_archE1200ELNS1_3gpuE4ELNS1_3repE0EEENS1_30default_config_static_selectorELNS0_4arch9wavefront6targetE1EEEvT1_,"axG",@progbits,_ZN7rocprim17ROCPRIM_400000_NS6detail17trampoline_kernelINS0_14default_configENS1_29reduce_by_key_config_selectorIyyN6thrust23THRUST_200600_302600_NS4plusIyEEEEZZNS1_33reduce_by_key_impl_wrapped_configILNS1_25lookback_scan_determinismE0ES3_S9_NS6_6detail15normal_iteratorINS6_10device_ptrIyEEEESG_SG_SG_PmS8_NS6_8equal_toIyEEEE10hipError_tPvRmT2_T3_mT4_T5_T6_T7_T8_P12ihipStream_tbENKUlT_T0_E_clISt17integral_constantIbLb0EES10_IbLb1EEEEDaSW_SX_EUlSW_E_NS1_11comp_targetILNS1_3genE10ELNS1_11target_archE1200ELNS1_3gpuE4ELNS1_3repE0EEENS1_30default_config_static_selectorELNS0_4arch9wavefront6targetE1EEEvT1_,comdat
	.protected	_ZN7rocprim17ROCPRIM_400000_NS6detail17trampoline_kernelINS0_14default_configENS1_29reduce_by_key_config_selectorIyyN6thrust23THRUST_200600_302600_NS4plusIyEEEEZZNS1_33reduce_by_key_impl_wrapped_configILNS1_25lookback_scan_determinismE0ES3_S9_NS6_6detail15normal_iteratorINS6_10device_ptrIyEEEESG_SG_SG_PmS8_NS6_8equal_toIyEEEE10hipError_tPvRmT2_T3_mT4_T5_T6_T7_T8_P12ihipStream_tbENKUlT_T0_E_clISt17integral_constantIbLb0EES10_IbLb1EEEEDaSW_SX_EUlSW_E_NS1_11comp_targetILNS1_3genE10ELNS1_11target_archE1200ELNS1_3gpuE4ELNS1_3repE0EEENS1_30default_config_static_selectorELNS0_4arch9wavefront6targetE1EEEvT1_ ; -- Begin function _ZN7rocprim17ROCPRIM_400000_NS6detail17trampoline_kernelINS0_14default_configENS1_29reduce_by_key_config_selectorIyyN6thrust23THRUST_200600_302600_NS4plusIyEEEEZZNS1_33reduce_by_key_impl_wrapped_configILNS1_25lookback_scan_determinismE0ES3_S9_NS6_6detail15normal_iteratorINS6_10device_ptrIyEEEESG_SG_SG_PmS8_NS6_8equal_toIyEEEE10hipError_tPvRmT2_T3_mT4_T5_T6_T7_T8_P12ihipStream_tbENKUlT_T0_E_clISt17integral_constantIbLb0EES10_IbLb1EEEEDaSW_SX_EUlSW_E_NS1_11comp_targetILNS1_3genE10ELNS1_11target_archE1200ELNS1_3gpuE4ELNS1_3repE0EEENS1_30default_config_static_selectorELNS0_4arch9wavefront6targetE1EEEvT1_
	.globl	_ZN7rocprim17ROCPRIM_400000_NS6detail17trampoline_kernelINS0_14default_configENS1_29reduce_by_key_config_selectorIyyN6thrust23THRUST_200600_302600_NS4plusIyEEEEZZNS1_33reduce_by_key_impl_wrapped_configILNS1_25lookback_scan_determinismE0ES3_S9_NS6_6detail15normal_iteratorINS6_10device_ptrIyEEEESG_SG_SG_PmS8_NS6_8equal_toIyEEEE10hipError_tPvRmT2_T3_mT4_T5_T6_T7_T8_P12ihipStream_tbENKUlT_T0_E_clISt17integral_constantIbLb0EES10_IbLb1EEEEDaSW_SX_EUlSW_E_NS1_11comp_targetILNS1_3genE10ELNS1_11target_archE1200ELNS1_3gpuE4ELNS1_3repE0EEENS1_30default_config_static_selectorELNS0_4arch9wavefront6targetE1EEEvT1_
	.p2align	8
	.type	_ZN7rocprim17ROCPRIM_400000_NS6detail17trampoline_kernelINS0_14default_configENS1_29reduce_by_key_config_selectorIyyN6thrust23THRUST_200600_302600_NS4plusIyEEEEZZNS1_33reduce_by_key_impl_wrapped_configILNS1_25lookback_scan_determinismE0ES3_S9_NS6_6detail15normal_iteratorINS6_10device_ptrIyEEEESG_SG_SG_PmS8_NS6_8equal_toIyEEEE10hipError_tPvRmT2_T3_mT4_T5_T6_T7_T8_P12ihipStream_tbENKUlT_T0_E_clISt17integral_constantIbLb0EES10_IbLb1EEEEDaSW_SX_EUlSW_E_NS1_11comp_targetILNS1_3genE10ELNS1_11target_archE1200ELNS1_3gpuE4ELNS1_3repE0EEENS1_30default_config_static_selectorELNS0_4arch9wavefront6targetE1EEEvT1_,@function
_ZN7rocprim17ROCPRIM_400000_NS6detail17trampoline_kernelINS0_14default_configENS1_29reduce_by_key_config_selectorIyyN6thrust23THRUST_200600_302600_NS4plusIyEEEEZZNS1_33reduce_by_key_impl_wrapped_configILNS1_25lookback_scan_determinismE0ES3_S9_NS6_6detail15normal_iteratorINS6_10device_ptrIyEEEESG_SG_SG_PmS8_NS6_8equal_toIyEEEE10hipError_tPvRmT2_T3_mT4_T5_T6_T7_T8_P12ihipStream_tbENKUlT_T0_E_clISt17integral_constantIbLb0EES10_IbLb1EEEEDaSW_SX_EUlSW_E_NS1_11comp_targetILNS1_3genE10ELNS1_11target_archE1200ELNS1_3gpuE4ELNS1_3repE0EEENS1_30default_config_static_selectorELNS0_4arch9wavefront6targetE1EEEvT1_: ; @_ZN7rocprim17ROCPRIM_400000_NS6detail17trampoline_kernelINS0_14default_configENS1_29reduce_by_key_config_selectorIyyN6thrust23THRUST_200600_302600_NS4plusIyEEEEZZNS1_33reduce_by_key_impl_wrapped_configILNS1_25lookback_scan_determinismE0ES3_S9_NS6_6detail15normal_iteratorINS6_10device_ptrIyEEEESG_SG_SG_PmS8_NS6_8equal_toIyEEEE10hipError_tPvRmT2_T3_mT4_T5_T6_T7_T8_P12ihipStream_tbENKUlT_T0_E_clISt17integral_constantIbLb0EES10_IbLb1EEEEDaSW_SX_EUlSW_E_NS1_11comp_targetILNS1_3genE10ELNS1_11target_archE1200ELNS1_3gpuE4ELNS1_3repE0EEENS1_30default_config_static_selectorELNS0_4arch9wavefront6targetE1EEEvT1_
; %bb.0:
	.section	.rodata,"a",@progbits
	.p2align	6, 0x0
	.amdhsa_kernel _ZN7rocprim17ROCPRIM_400000_NS6detail17trampoline_kernelINS0_14default_configENS1_29reduce_by_key_config_selectorIyyN6thrust23THRUST_200600_302600_NS4plusIyEEEEZZNS1_33reduce_by_key_impl_wrapped_configILNS1_25lookback_scan_determinismE0ES3_S9_NS6_6detail15normal_iteratorINS6_10device_ptrIyEEEESG_SG_SG_PmS8_NS6_8equal_toIyEEEE10hipError_tPvRmT2_T3_mT4_T5_T6_T7_T8_P12ihipStream_tbENKUlT_T0_E_clISt17integral_constantIbLb0EES10_IbLb1EEEEDaSW_SX_EUlSW_E_NS1_11comp_targetILNS1_3genE10ELNS1_11target_archE1200ELNS1_3gpuE4ELNS1_3repE0EEENS1_30default_config_static_selectorELNS0_4arch9wavefront6targetE1EEEvT1_
		.amdhsa_group_segment_fixed_size 0
		.amdhsa_private_segment_fixed_size 0
		.amdhsa_kernarg_size 136
		.amdhsa_user_sgpr_count 6
		.amdhsa_user_sgpr_private_segment_buffer 1
		.amdhsa_user_sgpr_dispatch_ptr 0
		.amdhsa_user_sgpr_queue_ptr 0
		.amdhsa_user_sgpr_kernarg_segment_ptr 1
		.amdhsa_user_sgpr_dispatch_id 0
		.amdhsa_user_sgpr_flat_scratch_init 0
		.amdhsa_user_sgpr_kernarg_preload_length 0
		.amdhsa_user_sgpr_kernarg_preload_offset 0
		.amdhsa_user_sgpr_private_segment_size 0
		.amdhsa_uses_dynamic_stack 0
		.amdhsa_system_sgpr_private_segment_wavefront_offset 0
		.amdhsa_system_sgpr_workgroup_id_x 1
		.amdhsa_system_sgpr_workgroup_id_y 0
		.amdhsa_system_sgpr_workgroup_id_z 0
		.amdhsa_system_sgpr_workgroup_info 0
		.amdhsa_system_vgpr_workitem_id 0
		.amdhsa_next_free_vgpr 1
		.amdhsa_next_free_sgpr 0
		.amdhsa_accum_offset 4
		.amdhsa_reserve_vcc 0
		.amdhsa_reserve_flat_scratch 0
		.amdhsa_float_round_mode_32 0
		.amdhsa_float_round_mode_16_64 0
		.amdhsa_float_denorm_mode_32 3
		.amdhsa_float_denorm_mode_16_64 3
		.amdhsa_dx10_clamp 1
		.amdhsa_ieee_mode 1
		.amdhsa_fp16_overflow 0
		.amdhsa_tg_split 0
		.amdhsa_exception_fp_ieee_invalid_op 0
		.amdhsa_exception_fp_denorm_src 0
		.amdhsa_exception_fp_ieee_div_zero 0
		.amdhsa_exception_fp_ieee_overflow 0
		.amdhsa_exception_fp_ieee_underflow 0
		.amdhsa_exception_fp_ieee_inexact 0
		.amdhsa_exception_int_div_zero 0
	.end_amdhsa_kernel
	.section	.text._ZN7rocprim17ROCPRIM_400000_NS6detail17trampoline_kernelINS0_14default_configENS1_29reduce_by_key_config_selectorIyyN6thrust23THRUST_200600_302600_NS4plusIyEEEEZZNS1_33reduce_by_key_impl_wrapped_configILNS1_25lookback_scan_determinismE0ES3_S9_NS6_6detail15normal_iteratorINS6_10device_ptrIyEEEESG_SG_SG_PmS8_NS6_8equal_toIyEEEE10hipError_tPvRmT2_T3_mT4_T5_T6_T7_T8_P12ihipStream_tbENKUlT_T0_E_clISt17integral_constantIbLb0EES10_IbLb1EEEEDaSW_SX_EUlSW_E_NS1_11comp_targetILNS1_3genE10ELNS1_11target_archE1200ELNS1_3gpuE4ELNS1_3repE0EEENS1_30default_config_static_selectorELNS0_4arch9wavefront6targetE1EEEvT1_,"axG",@progbits,_ZN7rocprim17ROCPRIM_400000_NS6detail17trampoline_kernelINS0_14default_configENS1_29reduce_by_key_config_selectorIyyN6thrust23THRUST_200600_302600_NS4plusIyEEEEZZNS1_33reduce_by_key_impl_wrapped_configILNS1_25lookback_scan_determinismE0ES3_S9_NS6_6detail15normal_iteratorINS6_10device_ptrIyEEEESG_SG_SG_PmS8_NS6_8equal_toIyEEEE10hipError_tPvRmT2_T3_mT4_T5_T6_T7_T8_P12ihipStream_tbENKUlT_T0_E_clISt17integral_constantIbLb0EES10_IbLb1EEEEDaSW_SX_EUlSW_E_NS1_11comp_targetILNS1_3genE10ELNS1_11target_archE1200ELNS1_3gpuE4ELNS1_3repE0EEENS1_30default_config_static_selectorELNS0_4arch9wavefront6targetE1EEEvT1_,comdat
.Lfunc_end274:
	.size	_ZN7rocprim17ROCPRIM_400000_NS6detail17trampoline_kernelINS0_14default_configENS1_29reduce_by_key_config_selectorIyyN6thrust23THRUST_200600_302600_NS4plusIyEEEEZZNS1_33reduce_by_key_impl_wrapped_configILNS1_25lookback_scan_determinismE0ES3_S9_NS6_6detail15normal_iteratorINS6_10device_ptrIyEEEESG_SG_SG_PmS8_NS6_8equal_toIyEEEE10hipError_tPvRmT2_T3_mT4_T5_T6_T7_T8_P12ihipStream_tbENKUlT_T0_E_clISt17integral_constantIbLb0EES10_IbLb1EEEEDaSW_SX_EUlSW_E_NS1_11comp_targetILNS1_3genE10ELNS1_11target_archE1200ELNS1_3gpuE4ELNS1_3repE0EEENS1_30default_config_static_selectorELNS0_4arch9wavefront6targetE1EEEvT1_, .Lfunc_end274-_ZN7rocprim17ROCPRIM_400000_NS6detail17trampoline_kernelINS0_14default_configENS1_29reduce_by_key_config_selectorIyyN6thrust23THRUST_200600_302600_NS4plusIyEEEEZZNS1_33reduce_by_key_impl_wrapped_configILNS1_25lookback_scan_determinismE0ES3_S9_NS6_6detail15normal_iteratorINS6_10device_ptrIyEEEESG_SG_SG_PmS8_NS6_8equal_toIyEEEE10hipError_tPvRmT2_T3_mT4_T5_T6_T7_T8_P12ihipStream_tbENKUlT_T0_E_clISt17integral_constantIbLb0EES10_IbLb1EEEEDaSW_SX_EUlSW_E_NS1_11comp_targetILNS1_3genE10ELNS1_11target_archE1200ELNS1_3gpuE4ELNS1_3repE0EEENS1_30default_config_static_selectorELNS0_4arch9wavefront6targetE1EEEvT1_
                                        ; -- End function
	.section	.AMDGPU.csdata,"",@progbits
; Kernel info:
; codeLenInByte = 0
; NumSgprs: 4
; NumVgprs: 0
; NumAgprs: 0
; TotalNumVgprs: 0
; ScratchSize: 0
; MemoryBound: 0
; FloatMode: 240
; IeeeMode: 1
; LDSByteSize: 0 bytes/workgroup (compile time only)
; SGPRBlocks: 0
; VGPRBlocks: 0
; NumSGPRsForWavesPerEU: 4
; NumVGPRsForWavesPerEU: 1
; AccumOffset: 4
; Occupancy: 8
; WaveLimiterHint : 0
; COMPUTE_PGM_RSRC2:SCRATCH_EN: 0
; COMPUTE_PGM_RSRC2:USER_SGPR: 6
; COMPUTE_PGM_RSRC2:TRAP_HANDLER: 0
; COMPUTE_PGM_RSRC2:TGID_X_EN: 1
; COMPUTE_PGM_RSRC2:TGID_Y_EN: 0
; COMPUTE_PGM_RSRC2:TGID_Z_EN: 0
; COMPUTE_PGM_RSRC2:TIDIG_COMP_CNT: 0
; COMPUTE_PGM_RSRC3_GFX90A:ACCUM_OFFSET: 0
; COMPUTE_PGM_RSRC3_GFX90A:TG_SPLIT: 0
	.section	.text._ZN7rocprim17ROCPRIM_400000_NS6detail17trampoline_kernelINS0_14default_configENS1_29reduce_by_key_config_selectorIyyN6thrust23THRUST_200600_302600_NS4plusIyEEEEZZNS1_33reduce_by_key_impl_wrapped_configILNS1_25lookback_scan_determinismE0ES3_S9_NS6_6detail15normal_iteratorINS6_10device_ptrIyEEEESG_SG_SG_PmS8_NS6_8equal_toIyEEEE10hipError_tPvRmT2_T3_mT4_T5_T6_T7_T8_P12ihipStream_tbENKUlT_T0_E_clISt17integral_constantIbLb0EES10_IbLb1EEEEDaSW_SX_EUlSW_E_NS1_11comp_targetILNS1_3genE9ELNS1_11target_archE1100ELNS1_3gpuE3ELNS1_3repE0EEENS1_30default_config_static_selectorELNS0_4arch9wavefront6targetE1EEEvT1_,"axG",@progbits,_ZN7rocprim17ROCPRIM_400000_NS6detail17trampoline_kernelINS0_14default_configENS1_29reduce_by_key_config_selectorIyyN6thrust23THRUST_200600_302600_NS4plusIyEEEEZZNS1_33reduce_by_key_impl_wrapped_configILNS1_25lookback_scan_determinismE0ES3_S9_NS6_6detail15normal_iteratorINS6_10device_ptrIyEEEESG_SG_SG_PmS8_NS6_8equal_toIyEEEE10hipError_tPvRmT2_T3_mT4_T5_T6_T7_T8_P12ihipStream_tbENKUlT_T0_E_clISt17integral_constantIbLb0EES10_IbLb1EEEEDaSW_SX_EUlSW_E_NS1_11comp_targetILNS1_3genE9ELNS1_11target_archE1100ELNS1_3gpuE3ELNS1_3repE0EEENS1_30default_config_static_selectorELNS0_4arch9wavefront6targetE1EEEvT1_,comdat
	.protected	_ZN7rocprim17ROCPRIM_400000_NS6detail17trampoline_kernelINS0_14default_configENS1_29reduce_by_key_config_selectorIyyN6thrust23THRUST_200600_302600_NS4plusIyEEEEZZNS1_33reduce_by_key_impl_wrapped_configILNS1_25lookback_scan_determinismE0ES3_S9_NS6_6detail15normal_iteratorINS6_10device_ptrIyEEEESG_SG_SG_PmS8_NS6_8equal_toIyEEEE10hipError_tPvRmT2_T3_mT4_T5_T6_T7_T8_P12ihipStream_tbENKUlT_T0_E_clISt17integral_constantIbLb0EES10_IbLb1EEEEDaSW_SX_EUlSW_E_NS1_11comp_targetILNS1_3genE9ELNS1_11target_archE1100ELNS1_3gpuE3ELNS1_3repE0EEENS1_30default_config_static_selectorELNS0_4arch9wavefront6targetE1EEEvT1_ ; -- Begin function _ZN7rocprim17ROCPRIM_400000_NS6detail17trampoline_kernelINS0_14default_configENS1_29reduce_by_key_config_selectorIyyN6thrust23THRUST_200600_302600_NS4plusIyEEEEZZNS1_33reduce_by_key_impl_wrapped_configILNS1_25lookback_scan_determinismE0ES3_S9_NS6_6detail15normal_iteratorINS6_10device_ptrIyEEEESG_SG_SG_PmS8_NS6_8equal_toIyEEEE10hipError_tPvRmT2_T3_mT4_T5_T6_T7_T8_P12ihipStream_tbENKUlT_T0_E_clISt17integral_constantIbLb0EES10_IbLb1EEEEDaSW_SX_EUlSW_E_NS1_11comp_targetILNS1_3genE9ELNS1_11target_archE1100ELNS1_3gpuE3ELNS1_3repE0EEENS1_30default_config_static_selectorELNS0_4arch9wavefront6targetE1EEEvT1_
	.globl	_ZN7rocprim17ROCPRIM_400000_NS6detail17trampoline_kernelINS0_14default_configENS1_29reduce_by_key_config_selectorIyyN6thrust23THRUST_200600_302600_NS4plusIyEEEEZZNS1_33reduce_by_key_impl_wrapped_configILNS1_25lookback_scan_determinismE0ES3_S9_NS6_6detail15normal_iteratorINS6_10device_ptrIyEEEESG_SG_SG_PmS8_NS6_8equal_toIyEEEE10hipError_tPvRmT2_T3_mT4_T5_T6_T7_T8_P12ihipStream_tbENKUlT_T0_E_clISt17integral_constantIbLb0EES10_IbLb1EEEEDaSW_SX_EUlSW_E_NS1_11comp_targetILNS1_3genE9ELNS1_11target_archE1100ELNS1_3gpuE3ELNS1_3repE0EEENS1_30default_config_static_selectorELNS0_4arch9wavefront6targetE1EEEvT1_
	.p2align	8
	.type	_ZN7rocprim17ROCPRIM_400000_NS6detail17trampoline_kernelINS0_14default_configENS1_29reduce_by_key_config_selectorIyyN6thrust23THRUST_200600_302600_NS4plusIyEEEEZZNS1_33reduce_by_key_impl_wrapped_configILNS1_25lookback_scan_determinismE0ES3_S9_NS6_6detail15normal_iteratorINS6_10device_ptrIyEEEESG_SG_SG_PmS8_NS6_8equal_toIyEEEE10hipError_tPvRmT2_T3_mT4_T5_T6_T7_T8_P12ihipStream_tbENKUlT_T0_E_clISt17integral_constantIbLb0EES10_IbLb1EEEEDaSW_SX_EUlSW_E_NS1_11comp_targetILNS1_3genE9ELNS1_11target_archE1100ELNS1_3gpuE3ELNS1_3repE0EEENS1_30default_config_static_selectorELNS0_4arch9wavefront6targetE1EEEvT1_,@function
_ZN7rocprim17ROCPRIM_400000_NS6detail17trampoline_kernelINS0_14default_configENS1_29reduce_by_key_config_selectorIyyN6thrust23THRUST_200600_302600_NS4plusIyEEEEZZNS1_33reduce_by_key_impl_wrapped_configILNS1_25lookback_scan_determinismE0ES3_S9_NS6_6detail15normal_iteratorINS6_10device_ptrIyEEEESG_SG_SG_PmS8_NS6_8equal_toIyEEEE10hipError_tPvRmT2_T3_mT4_T5_T6_T7_T8_P12ihipStream_tbENKUlT_T0_E_clISt17integral_constantIbLb0EES10_IbLb1EEEEDaSW_SX_EUlSW_E_NS1_11comp_targetILNS1_3genE9ELNS1_11target_archE1100ELNS1_3gpuE3ELNS1_3repE0EEENS1_30default_config_static_selectorELNS0_4arch9wavefront6targetE1EEEvT1_: ; @_ZN7rocprim17ROCPRIM_400000_NS6detail17trampoline_kernelINS0_14default_configENS1_29reduce_by_key_config_selectorIyyN6thrust23THRUST_200600_302600_NS4plusIyEEEEZZNS1_33reduce_by_key_impl_wrapped_configILNS1_25lookback_scan_determinismE0ES3_S9_NS6_6detail15normal_iteratorINS6_10device_ptrIyEEEESG_SG_SG_PmS8_NS6_8equal_toIyEEEE10hipError_tPvRmT2_T3_mT4_T5_T6_T7_T8_P12ihipStream_tbENKUlT_T0_E_clISt17integral_constantIbLb0EES10_IbLb1EEEEDaSW_SX_EUlSW_E_NS1_11comp_targetILNS1_3genE9ELNS1_11target_archE1100ELNS1_3gpuE3ELNS1_3repE0EEENS1_30default_config_static_selectorELNS0_4arch9wavefront6targetE1EEEvT1_
; %bb.0:
	.section	.rodata,"a",@progbits
	.p2align	6, 0x0
	.amdhsa_kernel _ZN7rocprim17ROCPRIM_400000_NS6detail17trampoline_kernelINS0_14default_configENS1_29reduce_by_key_config_selectorIyyN6thrust23THRUST_200600_302600_NS4plusIyEEEEZZNS1_33reduce_by_key_impl_wrapped_configILNS1_25lookback_scan_determinismE0ES3_S9_NS6_6detail15normal_iteratorINS6_10device_ptrIyEEEESG_SG_SG_PmS8_NS6_8equal_toIyEEEE10hipError_tPvRmT2_T3_mT4_T5_T6_T7_T8_P12ihipStream_tbENKUlT_T0_E_clISt17integral_constantIbLb0EES10_IbLb1EEEEDaSW_SX_EUlSW_E_NS1_11comp_targetILNS1_3genE9ELNS1_11target_archE1100ELNS1_3gpuE3ELNS1_3repE0EEENS1_30default_config_static_selectorELNS0_4arch9wavefront6targetE1EEEvT1_
		.amdhsa_group_segment_fixed_size 0
		.amdhsa_private_segment_fixed_size 0
		.amdhsa_kernarg_size 136
		.amdhsa_user_sgpr_count 6
		.amdhsa_user_sgpr_private_segment_buffer 1
		.amdhsa_user_sgpr_dispatch_ptr 0
		.amdhsa_user_sgpr_queue_ptr 0
		.amdhsa_user_sgpr_kernarg_segment_ptr 1
		.amdhsa_user_sgpr_dispatch_id 0
		.amdhsa_user_sgpr_flat_scratch_init 0
		.amdhsa_user_sgpr_kernarg_preload_length 0
		.amdhsa_user_sgpr_kernarg_preload_offset 0
		.amdhsa_user_sgpr_private_segment_size 0
		.amdhsa_uses_dynamic_stack 0
		.amdhsa_system_sgpr_private_segment_wavefront_offset 0
		.amdhsa_system_sgpr_workgroup_id_x 1
		.amdhsa_system_sgpr_workgroup_id_y 0
		.amdhsa_system_sgpr_workgroup_id_z 0
		.amdhsa_system_sgpr_workgroup_info 0
		.amdhsa_system_vgpr_workitem_id 0
		.amdhsa_next_free_vgpr 1
		.amdhsa_next_free_sgpr 0
		.amdhsa_accum_offset 4
		.amdhsa_reserve_vcc 0
		.amdhsa_reserve_flat_scratch 0
		.amdhsa_float_round_mode_32 0
		.amdhsa_float_round_mode_16_64 0
		.amdhsa_float_denorm_mode_32 3
		.amdhsa_float_denorm_mode_16_64 3
		.amdhsa_dx10_clamp 1
		.amdhsa_ieee_mode 1
		.amdhsa_fp16_overflow 0
		.amdhsa_tg_split 0
		.amdhsa_exception_fp_ieee_invalid_op 0
		.amdhsa_exception_fp_denorm_src 0
		.amdhsa_exception_fp_ieee_div_zero 0
		.amdhsa_exception_fp_ieee_overflow 0
		.amdhsa_exception_fp_ieee_underflow 0
		.amdhsa_exception_fp_ieee_inexact 0
		.amdhsa_exception_int_div_zero 0
	.end_amdhsa_kernel
	.section	.text._ZN7rocprim17ROCPRIM_400000_NS6detail17trampoline_kernelINS0_14default_configENS1_29reduce_by_key_config_selectorIyyN6thrust23THRUST_200600_302600_NS4plusIyEEEEZZNS1_33reduce_by_key_impl_wrapped_configILNS1_25lookback_scan_determinismE0ES3_S9_NS6_6detail15normal_iteratorINS6_10device_ptrIyEEEESG_SG_SG_PmS8_NS6_8equal_toIyEEEE10hipError_tPvRmT2_T3_mT4_T5_T6_T7_T8_P12ihipStream_tbENKUlT_T0_E_clISt17integral_constantIbLb0EES10_IbLb1EEEEDaSW_SX_EUlSW_E_NS1_11comp_targetILNS1_3genE9ELNS1_11target_archE1100ELNS1_3gpuE3ELNS1_3repE0EEENS1_30default_config_static_selectorELNS0_4arch9wavefront6targetE1EEEvT1_,"axG",@progbits,_ZN7rocprim17ROCPRIM_400000_NS6detail17trampoline_kernelINS0_14default_configENS1_29reduce_by_key_config_selectorIyyN6thrust23THRUST_200600_302600_NS4plusIyEEEEZZNS1_33reduce_by_key_impl_wrapped_configILNS1_25lookback_scan_determinismE0ES3_S9_NS6_6detail15normal_iteratorINS6_10device_ptrIyEEEESG_SG_SG_PmS8_NS6_8equal_toIyEEEE10hipError_tPvRmT2_T3_mT4_T5_T6_T7_T8_P12ihipStream_tbENKUlT_T0_E_clISt17integral_constantIbLb0EES10_IbLb1EEEEDaSW_SX_EUlSW_E_NS1_11comp_targetILNS1_3genE9ELNS1_11target_archE1100ELNS1_3gpuE3ELNS1_3repE0EEENS1_30default_config_static_selectorELNS0_4arch9wavefront6targetE1EEEvT1_,comdat
.Lfunc_end275:
	.size	_ZN7rocprim17ROCPRIM_400000_NS6detail17trampoline_kernelINS0_14default_configENS1_29reduce_by_key_config_selectorIyyN6thrust23THRUST_200600_302600_NS4plusIyEEEEZZNS1_33reduce_by_key_impl_wrapped_configILNS1_25lookback_scan_determinismE0ES3_S9_NS6_6detail15normal_iteratorINS6_10device_ptrIyEEEESG_SG_SG_PmS8_NS6_8equal_toIyEEEE10hipError_tPvRmT2_T3_mT4_T5_T6_T7_T8_P12ihipStream_tbENKUlT_T0_E_clISt17integral_constantIbLb0EES10_IbLb1EEEEDaSW_SX_EUlSW_E_NS1_11comp_targetILNS1_3genE9ELNS1_11target_archE1100ELNS1_3gpuE3ELNS1_3repE0EEENS1_30default_config_static_selectorELNS0_4arch9wavefront6targetE1EEEvT1_, .Lfunc_end275-_ZN7rocprim17ROCPRIM_400000_NS6detail17trampoline_kernelINS0_14default_configENS1_29reduce_by_key_config_selectorIyyN6thrust23THRUST_200600_302600_NS4plusIyEEEEZZNS1_33reduce_by_key_impl_wrapped_configILNS1_25lookback_scan_determinismE0ES3_S9_NS6_6detail15normal_iteratorINS6_10device_ptrIyEEEESG_SG_SG_PmS8_NS6_8equal_toIyEEEE10hipError_tPvRmT2_T3_mT4_T5_T6_T7_T8_P12ihipStream_tbENKUlT_T0_E_clISt17integral_constantIbLb0EES10_IbLb1EEEEDaSW_SX_EUlSW_E_NS1_11comp_targetILNS1_3genE9ELNS1_11target_archE1100ELNS1_3gpuE3ELNS1_3repE0EEENS1_30default_config_static_selectorELNS0_4arch9wavefront6targetE1EEEvT1_
                                        ; -- End function
	.section	.AMDGPU.csdata,"",@progbits
; Kernel info:
; codeLenInByte = 0
; NumSgprs: 4
; NumVgprs: 0
; NumAgprs: 0
; TotalNumVgprs: 0
; ScratchSize: 0
; MemoryBound: 0
; FloatMode: 240
; IeeeMode: 1
; LDSByteSize: 0 bytes/workgroup (compile time only)
; SGPRBlocks: 0
; VGPRBlocks: 0
; NumSGPRsForWavesPerEU: 4
; NumVGPRsForWavesPerEU: 1
; AccumOffset: 4
; Occupancy: 8
; WaveLimiterHint : 0
; COMPUTE_PGM_RSRC2:SCRATCH_EN: 0
; COMPUTE_PGM_RSRC2:USER_SGPR: 6
; COMPUTE_PGM_RSRC2:TRAP_HANDLER: 0
; COMPUTE_PGM_RSRC2:TGID_X_EN: 1
; COMPUTE_PGM_RSRC2:TGID_Y_EN: 0
; COMPUTE_PGM_RSRC2:TGID_Z_EN: 0
; COMPUTE_PGM_RSRC2:TIDIG_COMP_CNT: 0
; COMPUTE_PGM_RSRC3_GFX90A:ACCUM_OFFSET: 0
; COMPUTE_PGM_RSRC3_GFX90A:TG_SPLIT: 0
	.section	.text._ZN7rocprim17ROCPRIM_400000_NS6detail17trampoline_kernelINS0_14default_configENS1_29reduce_by_key_config_selectorIyyN6thrust23THRUST_200600_302600_NS4plusIyEEEEZZNS1_33reduce_by_key_impl_wrapped_configILNS1_25lookback_scan_determinismE0ES3_S9_NS6_6detail15normal_iteratorINS6_10device_ptrIyEEEESG_SG_SG_PmS8_NS6_8equal_toIyEEEE10hipError_tPvRmT2_T3_mT4_T5_T6_T7_T8_P12ihipStream_tbENKUlT_T0_E_clISt17integral_constantIbLb0EES10_IbLb1EEEEDaSW_SX_EUlSW_E_NS1_11comp_targetILNS1_3genE8ELNS1_11target_archE1030ELNS1_3gpuE2ELNS1_3repE0EEENS1_30default_config_static_selectorELNS0_4arch9wavefront6targetE1EEEvT1_,"axG",@progbits,_ZN7rocprim17ROCPRIM_400000_NS6detail17trampoline_kernelINS0_14default_configENS1_29reduce_by_key_config_selectorIyyN6thrust23THRUST_200600_302600_NS4plusIyEEEEZZNS1_33reduce_by_key_impl_wrapped_configILNS1_25lookback_scan_determinismE0ES3_S9_NS6_6detail15normal_iteratorINS6_10device_ptrIyEEEESG_SG_SG_PmS8_NS6_8equal_toIyEEEE10hipError_tPvRmT2_T3_mT4_T5_T6_T7_T8_P12ihipStream_tbENKUlT_T0_E_clISt17integral_constantIbLb0EES10_IbLb1EEEEDaSW_SX_EUlSW_E_NS1_11comp_targetILNS1_3genE8ELNS1_11target_archE1030ELNS1_3gpuE2ELNS1_3repE0EEENS1_30default_config_static_selectorELNS0_4arch9wavefront6targetE1EEEvT1_,comdat
	.protected	_ZN7rocprim17ROCPRIM_400000_NS6detail17trampoline_kernelINS0_14default_configENS1_29reduce_by_key_config_selectorIyyN6thrust23THRUST_200600_302600_NS4plusIyEEEEZZNS1_33reduce_by_key_impl_wrapped_configILNS1_25lookback_scan_determinismE0ES3_S9_NS6_6detail15normal_iteratorINS6_10device_ptrIyEEEESG_SG_SG_PmS8_NS6_8equal_toIyEEEE10hipError_tPvRmT2_T3_mT4_T5_T6_T7_T8_P12ihipStream_tbENKUlT_T0_E_clISt17integral_constantIbLb0EES10_IbLb1EEEEDaSW_SX_EUlSW_E_NS1_11comp_targetILNS1_3genE8ELNS1_11target_archE1030ELNS1_3gpuE2ELNS1_3repE0EEENS1_30default_config_static_selectorELNS0_4arch9wavefront6targetE1EEEvT1_ ; -- Begin function _ZN7rocprim17ROCPRIM_400000_NS6detail17trampoline_kernelINS0_14default_configENS1_29reduce_by_key_config_selectorIyyN6thrust23THRUST_200600_302600_NS4plusIyEEEEZZNS1_33reduce_by_key_impl_wrapped_configILNS1_25lookback_scan_determinismE0ES3_S9_NS6_6detail15normal_iteratorINS6_10device_ptrIyEEEESG_SG_SG_PmS8_NS6_8equal_toIyEEEE10hipError_tPvRmT2_T3_mT4_T5_T6_T7_T8_P12ihipStream_tbENKUlT_T0_E_clISt17integral_constantIbLb0EES10_IbLb1EEEEDaSW_SX_EUlSW_E_NS1_11comp_targetILNS1_3genE8ELNS1_11target_archE1030ELNS1_3gpuE2ELNS1_3repE0EEENS1_30default_config_static_selectorELNS0_4arch9wavefront6targetE1EEEvT1_
	.globl	_ZN7rocprim17ROCPRIM_400000_NS6detail17trampoline_kernelINS0_14default_configENS1_29reduce_by_key_config_selectorIyyN6thrust23THRUST_200600_302600_NS4plusIyEEEEZZNS1_33reduce_by_key_impl_wrapped_configILNS1_25lookback_scan_determinismE0ES3_S9_NS6_6detail15normal_iteratorINS6_10device_ptrIyEEEESG_SG_SG_PmS8_NS6_8equal_toIyEEEE10hipError_tPvRmT2_T3_mT4_T5_T6_T7_T8_P12ihipStream_tbENKUlT_T0_E_clISt17integral_constantIbLb0EES10_IbLb1EEEEDaSW_SX_EUlSW_E_NS1_11comp_targetILNS1_3genE8ELNS1_11target_archE1030ELNS1_3gpuE2ELNS1_3repE0EEENS1_30default_config_static_selectorELNS0_4arch9wavefront6targetE1EEEvT1_
	.p2align	8
	.type	_ZN7rocprim17ROCPRIM_400000_NS6detail17trampoline_kernelINS0_14default_configENS1_29reduce_by_key_config_selectorIyyN6thrust23THRUST_200600_302600_NS4plusIyEEEEZZNS1_33reduce_by_key_impl_wrapped_configILNS1_25lookback_scan_determinismE0ES3_S9_NS6_6detail15normal_iteratorINS6_10device_ptrIyEEEESG_SG_SG_PmS8_NS6_8equal_toIyEEEE10hipError_tPvRmT2_T3_mT4_T5_T6_T7_T8_P12ihipStream_tbENKUlT_T0_E_clISt17integral_constantIbLb0EES10_IbLb1EEEEDaSW_SX_EUlSW_E_NS1_11comp_targetILNS1_3genE8ELNS1_11target_archE1030ELNS1_3gpuE2ELNS1_3repE0EEENS1_30default_config_static_selectorELNS0_4arch9wavefront6targetE1EEEvT1_,@function
_ZN7rocprim17ROCPRIM_400000_NS6detail17trampoline_kernelINS0_14default_configENS1_29reduce_by_key_config_selectorIyyN6thrust23THRUST_200600_302600_NS4plusIyEEEEZZNS1_33reduce_by_key_impl_wrapped_configILNS1_25lookback_scan_determinismE0ES3_S9_NS6_6detail15normal_iteratorINS6_10device_ptrIyEEEESG_SG_SG_PmS8_NS6_8equal_toIyEEEE10hipError_tPvRmT2_T3_mT4_T5_T6_T7_T8_P12ihipStream_tbENKUlT_T0_E_clISt17integral_constantIbLb0EES10_IbLb1EEEEDaSW_SX_EUlSW_E_NS1_11comp_targetILNS1_3genE8ELNS1_11target_archE1030ELNS1_3gpuE2ELNS1_3repE0EEENS1_30default_config_static_selectorELNS0_4arch9wavefront6targetE1EEEvT1_: ; @_ZN7rocprim17ROCPRIM_400000_NS6detail17trampoline_kernelINS0_14default_configENS1_29reduce_by_key_config_selectorIyyN6thrust23THRUST_200600_302600_NS4plusIyEEEEZZNS1_33reduce_by_key_impl_wrapped_configILNS1_25lookback_scan_determinismE0ES3_S9_NS6_6detail15normal_iteratorINS6_10device_ptrIyEEEESG_SG_SG_PmS8_NS6_8equal_toIyEEEE10hipError_tPvRmT2_T3_mT4_T5_T6_T7_T8_P12ihipStream_tbENKUlT_T0_E_clISt17integral_constantIbLb0EES10_IbLb1EEEEDaSW_SX_EUlSW_E_NS1_11comp_targetILNS1_3genE8ELNS1_11target_archE1030ELNS1_3gpuE2ELNS1_3repE0EEENS1_30default_config_static_selectorELNS0_4arch9wavefront6targetE1EEEvT1_
; %bb.0:
	.section	.rodata,"a",@progbits
	.p2align	6, 0x0
	.amdhsa_kernel _ZN7rocprim17ROCPRIM_400000_NS6detail17trampoline_kernelINS0_14default_configENS1_29reduce_by_key_config_selectorIyyN6thrust23THRUST_200600_302600_NS4plusIyEEEEZZNS1_33reduce_by_key_impl_wrapped_configILNS1_25lookback_scan_determinismE0ES3_S9_NS6_6detail15normal_iteratorINS6_10device_ptrIyEEEESG_SG_SG_PmS8_NS6_8equal_toIyEEEE10hipError_tPvRmT2_T3_mT4_T5_T6_T7_T8_P12ihipStream_tbENKUlT_T0_E_clISt17integral_constantIbLb0EES10_IbLb1EEEEDaSW_SX_EUlSW_E_NS1_11comp_targetILNS1_3genE8ELNS1_11target_archE1030ELNS1_3gpuE2ELNS1_3repE0EEENS1_30default_config_static_selectorELNS0_4arch9wavefront6targetE1EEEvT1_
		.amdhsa_group_segment_fixed_size 0
		.amdhsa_private_segment_fixed_size 0
		.amdhsa_kernarg_size 136
		.amdhsa_user_sgpr_count 6
		.amdhsa_user_sgpr_private_segment_buffer 1
		.amdhsa_user_sgpr_dispatch_ptr 0
		.amdhsa_user_sgpr_queue_ptr 0
		.amdhsa_user_sgpr_kernarg_segment_ptr 1
		.amdhsa_user_sgpr_dispatch_id 0
		.amdhsa_user_sgpr_flat_scratch_init 0
		.amdhsa_user_sgpr_kernarg_preload_length 0
		.amdhsa_user_sgpr_kernarg_preload_offset 0
		.amdhsa_user_sgpr_private_segment_size 0
		.amdhsa_uses_dynamic_stack 0
		.amdhsa_system_sgpr_private_segment_wavefront_offset 0
		.amdhsa_system_sgpr_workgroup_id_x 1
		.amdhsa_system_sgpr_workgroup_id_y 0
		.amdhsa_system_sgpr_workgroup_id_z 0
		.amdhsa_system_sgpr_workgroup_info 0
		.amdhsa_system_vgpr_workitem_id 0
		.amdhsa_next_free_vgpr 1
		.amdhsa_next_free_sgpr 0
		.amdhsa_accum_offset 4
		.amdhsa_reserve_vcc 0
		.amdhsa_reserve_flat_scratch 0
		.amdhsa_float_round_mode_32 0
		.amdhsa_float_round_mode_16_64 0
		.amdhsa_float_denorm_mode_32 3
		.amdhsa_float_denorm_mode_16_64 3
		.amdhsa_dx10_clamp 1
		.amdhsa_ieee_mode 1
		.amdhsa_fp16_overflow 0
		.amdhsa_tg_split 0
		.amdhsa_exception_fp_ieee_invalid_op 0
		.amdhsa_exception_fp_denorm_src 0
		.amdhsa_exception_fp_ieee_div_zero 0
		.amdhsa_exception_fp_ieee_overflow 0
		.amdhsa_exception_fp_ieee_underflow 0
		.amdhsa_exception_fp_ieee_inexact 0
		.amdhsa_exception_int_div_zero 0
	.end_amdhsa_kernel
	.section	.text._ZN7rocprim17ROCPRIM_400000_NS6detail17trampoline_kernelINS0_14default_configENS1_29reduce_by_key_config_selectorIyyN6thrust23THRUST_200600_302600_NS4plusIyEEEEZZNS1_33reduce_by_key_impl_wrapped_configILNS1_25lookback_scan_determinismE0ES3_S9_NS6_6detail15normal_iteratorINS6_10device_ptrIyEEEESG_SG_SG_PmS8_NS6_8equal_toIyEEEE10hipError_tPvRmT2_T3_mT4_T5_T6_T7_T8_P12ihipStream_tbENKUlT_T0_E_clISt17integral_constantIbLb0EES10_IbLb1EEEEDaSW_SX_EUlSW_E_NS1_11comp_targetILNS1_3genE8ELNS1_11target_archE1030ELNS1_3gpuE2ELNS1_3repE0EEENS1_30default_config_static_selectorELNS0_4arch9wavefront6targetE1EEEvT1_,"axG",@progbits,_ZN7rocprim17ROCPRIM_400000_NS6detail17trampoline_kernelINS0_14default_configENS1_29reduce_by_key_config_selectorIyyN6thrust23THRUST_200600_302600_NS4plusIyEEEEZZNS1_33reduce_by_key_impl_wrapped_configILNS1_25lookback_scan_determinismE0ES3_S9_NS6_6detail15normal_iteratorINS6_10device_ptrIyEEEESG_SG_SG_PmS8_NS6_8equal_toIyEEEE10hipError_tPvRmT2_T3_mT4_T5_T6_T7_T8_P12ihipStream_tbENKUlT_T0_E_clISt17integral_constantIbLb0EES10_IbLb1EEEEDaSW_SX_EUlSW_E_NS1_11comp_targetILNS1_3genE8ELNS1_11target_archE1030ELNS1_3gpuE2ELNS1_3repE0EEENS1_30default_config_static_selectorELNS0_4arch9wavefront6targetE1EEEvT1_,comdat
.Lfunc_end276:
	.size	_ZN7rocprim17ROCPRIM_400000_NS6detail17trampoline_kernelINS0_14default_configENS1_29reduce_by_key_config_selectorIyyN6thrust23THRUST_200600_302600_NS4plusIyEEEEZZNS1_33reduce_by_key_impl_wrapped_configILNS1_25lookback_scan_determinismE0ES3_S9_NS6_6detail15normal_iteratorINS6_10device_ptrIyEEEESG_SG_SG_PmS8_NS6_8equal_toIyEEEE10hipError_tPvRmT2_T3_mT4_T5_T6_T7_T8_P12ihipStream_tbENKUlT_T0_E_clISt17integral_constantIbLb0EES10_IbLb1EEEEDaSW_SX_EUlSW_E_NS1_11comp_targetILNS1_3genE8ELNS1_11target_archE1030ELNS1_3gpuE2ELNS1_3repE0EEENS1_30default_config_static_selectorELNS0_4arch9wavefront6targetE1EEEvT1_, .Lfunc_end276-_ZN7rocprim17ROCPRIM_400000_NS6detail17trampoline_kernelINS0_14default_configENS1_29reduce_by_key_config_selectorIyyN6thrust23THRUST_200600_302600_NS4plusIyEEEEZZNS1_33reduce_by_key_impl_wrapped_configILNS1_25lookback_scan_determinismE0ES3_S9_NS6_6detail15normal_iteratorINS6_10device_ptrIyEEEESG_SG_SG_PmS8_NS6_8equal_toIyEEEE10hipError_tPvRmT2_T3_mT4_T5_T6_T7_T8_P12ihipStream_tbENKUlT_T0_E_clISt17integral_constantIbLb0EES10_IbLb1EEEEDaSW_SX_EUlSW_E_NS1_11comp_targetILNS1_3genE8ELNS1_11target_archE1030ELNS1_3gpuE2ELNS1_3repE0EEENS1_30default_config_static_selectorELNS0_4arch9wavefront6targetE1EEEvT1_
                                        ; -- End function
	.section	.AMDGPU.csdata,"",@progbits
; Kernel info:
; codeLenInByte = 0
; NumSgprs: 4
; NumVgprs: 0
; NumAgprs: 0
; TotalNumVgprs: 0
; ScratchSize: 0
; MemoryBound: 0
; FloatMode: 240
; IeeeMode: 1
; LDSByteSize: 0 bytes/workgroup (compile time only)
; SGPRBlocks: 0
; VGPRBlocks: 0
; NumSGPRsForWavesPerEU: 4
; NumVGPRsForWavesPerEU: 1
; AccumOffset: 4
; Occupancy: 8
; WaveLimiterHint : 0
; COMPUTE_PGM_RSRC2:SCRATCH_EN: 0
; COMPUTE_PGM_RSRC2:USER_SGPR: 6
; COMPUTE_PGM_RSRC2:TRAP_HANDLER: 0
; COMPUTE_PGM_RSRC2:TGID_X_EN: 1
; COMPUTE_PGM_RSRC2:TGID_Y_EN: 0
; COMPUTE_PGM_RSRC2:TGID_Z_EN: 0
; COMPUTE_PGM_RSRC2:TIDIG_COMP_CNT: 0
; COMPUTE_PGM_RSRC3_GFX90A:ACCUM_OFFSET: 0
; COMPUTE_PGM_RSRC3_GFX90A:TG_SPLIT: 0
	.section	.text._ZN7rocprim17ROCPRIM_400000_NS6detail17trampoline_kernelINS0_14default_configENS1_29reduce_by_key_config_selectorIyyN6thrust23THRUST_200600_302600_NS4plusIyEEEEZZNS1_33reduce_by_key_impl_wrapped_configILNS1_25lookback_scan_determinismE0ES3_S9_NS6_6detail15normal_iteratorINS6_10device_ptrIyEEEESG_SG_SG_PmS8_22is_equal_div_10_reduceIyEEE10hipError_tPvRmT2_T3_mT4_T5_T6_T7_T8_P12ihipStream_tbENKUlT_T0_E_clISt17integral_constantIbLb0EES11_EEDaSW_SX_EUlSW_E_NS1_11comp_targetILNS1_3genE0ELNS1_11target_archE4294967295ELNS1_3gpuE0ELNS1_3repE0EEENS1_30default_config_static_selectorELNS0_4arch9wavefront6targetE1EEEvT1_,"axG",@progbits,_ZN7rocprim17ROCPRIM_400000_NS6detail17trampoline_kernelINS0_14default_configENS1_29reduce_by_key_config_selectorIyyN6thrust23THRUST_200600_302600_NS4plusIyEEEEZZNS1_33reduce_by_key_impl_wrapped_configILNS1_25lookback_scan_determinismE0ES3_S9_NS6_6detail15normal_iteratorINS6_10device_ptrIyEEEESG_SG_SG_PmS8_22is_equal_div_10_reduceIyEEE10hipError_tPvRmT2_T3_mT4_T5_T6_T7_T8_P12ihipStream_tbENKUlT_T0_E_clISt17integral_constantIbLb0EES11_EEDaSW_SX_EUlSW_E_NS1_11comp_targetILNS1_3genE0ELNS1_11target_archE4294967295ELNS1_3gpuE0ELNS1_3repE0EEENS1_30default_config_static_selectorELNS0_4arch9wavefront6targetE1EEEvT1_,comdat
	.protected	_ZN7rocprim17ROCPRIM_400000_NS6detail17trampoline_kernelINS0_14default_configENS1_29reduce_by_key_config_selectorIyyN6thrust23THRUST_200600_302600_NS4plusIyEEEEZZNS1_33reduce_by_key_impl_wrapped_configILNS1_25lookback_scan_determinismE0ES3_S9_NS6_6detail15normal_iteratorINS6_10device_ptrIyEEEESG_SG_SG_PmS8_22is_equal_div_10_reduceIyEEE10hipError_tPvRmT2_T3_mT4_T5_T6_T7_T8_P12ihipStream_tbENKUlT_T0_E_clISt17integral_constantIbLb0EES11_EEDaSW_SX_EUlSW_E_NS1_11comp_targetILNS1_3genE0ELNS1_11target_archE4294967295ELNS1_3gpuE0ELNS1_3repE0EEENS1_30default_config_static_selectorELNS0_4arch9wavefront6targetE1EEEvT1_ ; -- Begin function _ZN7rocprim17ROCPRIM_400000_NS6detail17trampoline_kernelINS0_14default_configENS1_29reduce_by_key_config_selectorIyyN6thrust23THRUST_200600_302600_NS4plusIyEEEEZZNS1_33reduce_by_key_impl_wrapped_configILNS1_25lookback_scan_determinismE0ES3_S9_NS6_6detail15normal_iteratorINS6_10device_ptrIyEEEESG_SG_SG_PmS8_22is_equal_div_10_reduceIyEEE10hipError_tPvRmT2_T3_mT4_T5_T6_T7_T8_P12ihipStream_tbENKUlT_T0_E_clISt17integral_constantIbLb0EES11_EEDaSW_SX_EUlSW_E_NS1_11comp_targetILNS1_3genE0ELNS1_11target_archE4294967295ELNS1_3gpuE0ELNS1_3repE0EEENS1_30default_config_static_selectorELNS0_4arch9wavefront6targetE1EEEvT1_
	.globl	_ZN7rocprim17ROCPRIM_400000_NS6detail17trampoline_kernelINS0_14default_configENS1_29reduce_by_key_config_selectorIyyN6thrust23THRUST_200600_302600_NS4plusIyEEEEZZNS1_33reduce_by_key_impl_wrapped_configILNS1_25lookback_scan_determinismE0ES3_S9_NS6_6detail15normal_iteratorINS6_10device_ptrIyEEEESG_SG_SG_PmS8_22is_equal_div_10_reduceIyEEE10hipError_tPvRmT2_T3_mT4_T5_T6_T7_T8_P12ihipStream_tbENKUlT_T0_E_clISt17integral_constantIbLb0EES11_EEDaSW_SX_EUlSW_E_NS1_11comp_targetILNS1_3genE0ELNS1_11target_archE4294967295ELNS1_3gpuE0ELNS1_3repE0EEENS1_30default_config_static_selectorELNS0_4arch9wavefront6targetE1EEEvT1_
	.p2align	8
	.type	_ZN7rocprim17ROCPRIM_400000_NS6detail17trampoline_kernelINS0_14default_configENS1_29reduce_by_key_config_selectorIyyN6thrust23THRUST_200600_302600_NS4plusIyEEEEZZNS1_33reduce_by_key_impl_wrapped_configILNS1_25lookback_scan_determinismE0ES3_S9_NS6_6detail15normal_iteratorINS6_10device_ptrIyEEEESG_SG_SG_PmS8_22is_equal_div_10_reduceIyEEE10hipError_tPvRmT2_T3_mT4_T5_T6_T7_T8_P12ihipStream_tbENKUlT_T0_E_clISt17integral_constantIbLb0EES11_EEDaSW_SX_EUlSW_E_NS1_11comp_targetILNS1_3genE0ELNS1_11target_archE4294967295ELNS1_3gpuE0ELNS1_3repE0EEENS1_30default_config_static_selectorELNS0_4arch9wavefront6targetE1EEEvT1_,@function
_ZN7rocprim17ROCPRIM_400000_NS6detail17trampoline_kernelINS0_14default_configENS1_29reduce_by_key_config_selectorIyyN6thrust23THRUST_200600_302600_NS4plusIyEEEEZZNS1_33reduce_by_key_impl_wrapped_configILNS1_25lookback_scan_determinismE0ES3_S9_NS6_6detail15normal_iteratorINS6_10device_ptrIyEEEESG_SG_SG_PmS8_22is_equal_div_10_reduceIyEEE10hipError_tPvRmT2_T3_mT4_T5_T6_T7_T8_P12ihipStream_tbENKUlT_T0_E_clISt17integral_constantIbLb0EES11_EEDaSW_SX_EUlSW_E_NS1_11comp_targetILNS1_3genE0ELNS1_11target_archE4294967295ELNS1_3gpuE0ELNS1_3repE0EEENS1_30default_config_static_selectorELNS0_4arch9wavefront6targetE1EEEvT1_: ; @_ZN7rocprim17ROCPRIM_400000_NS6detail17trampoline_kernelINS0_14default_configENS1_29reduce_by_key_config_selectorIyyN6thrust23THRUST_200600_302600_NS4plusIyEEEEZZNS1_33reduce_by_key_impl_wrapped_configILNS1_25lookback_scan_determinismE0ES3_S9_NS6_6detail15normal_iteratorINS6_10device_ptrIyEEEESG_SG_SG_PmS8_22is_equal_div_10_reduceIyEEE10hipError_tPvRmT2_T3_mT4_T5_T6_T7_T8_P12ihipStream_tbENKUlT_T0_E_clISt17integral_constantIbLb0EES11_EEDaSW_SX_EUlSW_E_NS1_11comp_targetILNS1_3genE0ELNS1_11target_archE4294967295ELNS1_3gpuE0ELNS1_3repE0EEENS1_30default_config_static_selectorELNS0_4arch9wavefront6targetE1EEEvT1_
; %bb.0:
	.section	.rodata,"a",@progbits
	.p2align	6, 0x0
	.amdhsa_kernel _ZN7rocprim17ROCPRIM_400000_NS6detail17trampoline_kernelINS0_14default_configENS1_29reduce_by_key_config_selectorIyyN6thrust23THRUST_200600_302600_NS4plusIyEEEEZZNS1_33reduce_by_key_impl_wrapped_configILNS1_25lookback_scan_determinismE0ES3_S9_NS6_6detail15normal_iteratorINS6_10device_ptrIyEEEESG_SG_SG_PmS8_22is_equal_div_10_reduceIyEEE10hipError_tPvRmT2_T3_mT4_T5_T6_T7_T8_P12ihipStream_tbENKUlT_T0_E_clISt17integral_constantIbLb0EES11_EEDaSW_SX_EUlSW_E_NS1_11comp_targetILNS1_3genE0ELNS1_11target_archE4294967295ELNS1_3gpuE0ELNS1_3repE0EEENS1_30default_config_static_selectorELNS0_4arch9wavefront6targetE1EEEvT1_
		.amdhsa_group_segment_fixed_size 0
		.amdhsa_private_segment_fixed_size 0
		.amdhsa_kernarg_size 136
		.amdhsa_user_sgpr_count 6
		.amdhsa_user_sgpr_private_segment_buffer 1
		.amdhsa_user_sgpr_dispatch_ptr 0
		.amdhsa_user_sgpr_queue_ptr 0
		.amdhsa_user_sgpr_kernarg_segment_ptr 1
		.amdhsa_user_sgpr_dispatch_id 0
		.amdhsa_user_sgpr_flat_scratch_init 0
		.amdhsa_user_sgpr_kernarg_preload_length 0
		.amdhsa_user_sgpr_kernarg_preload_offset 0
		.amdhsa_user_sgpr_private_segment_size 0
		.amdhsa_uses_dynamic_stack 0
		.amdhsa_system_sgpr_private_segment_wavefront_offset 0
		.amdhsa_system_sgpr_workgroup_id_x 1
		.amdhsa_system_sgpr_workgroup_id_y 0
		.amdhsa_system_sgpr_workgroup_id_z 0
		.amdhsa_system_sgpr_workgroup_info 0
		.amdhsa_system_vgpr_workitem_id 0
		.amdhsa_next_free_vgpr 1
		.amdhsa_next_free_sgpr 0
		.amdhsa_accum_offset 4
		.amdhsa_reserve_vcc 0
		.amdhsa_reserve_flat_scratch 0
		.amdhsa_float_round_mode_32 0
		.amdhsa_float_round_mode_16_64 0
		.amdhsa_float_denorm_mode_32 3
		.amdhsa_float_denorm_mode_16_64 3
		.amdhsa_dx10_clamp 1
		.amdhsa_ieee_mode 1
		.amdhsa_fp16_overflow 0
		.amdhsa_tg_split 0
		.amdhsa_exception_fp_ieee_invalid_op 0
		.amdhsa_exception_fp_denorm_src 0
		.amdhsa_exception_fp_ieee_div_zero 0
		.amdhsa_exception_fp_ieee_overflow 0
		.amdhsa_exception_fp_ieee_underflow 0
		.amdhsa_exception_fp_ieee_inexact 0
		.amdhsa_exception_int_div_zero 0
	.end_amdhsa_kernel
	.section	.text._ZN7rocprim17ROCPRIM_400000_NS6detail17trampoline_kernelINS0_14default_configENS1_29reduce_by_key_config_selectorIyyN6thrust23THRUST_200600_302600_NS4plusIyEEEEZZNS1_33reduce_by_key_impl_wrapped_configILNS1_25lookback_scan_determinismE0ES3_S9_NS6_6detail15normal_iteratorINS6_10device_ptrIyEEEESG_SG_SG_PmS8_22is_equal_div_10_reduceIyEEE10hipError_tPvRmT2_T3_mT4_T5_T6_T7_T8_P12ihipStream_tbENKUlT_T0_E_clISt17integral_constantIbLb0EES11_EEDaSW_SX_EUlSW_E_NS1_11comp_targetILNS1_3genE0ELNS1_11target_archE4294967295ELNS1_3gpuE0ELNS1_3repE0EEENS1_30default_config_static_selectorELNS0_4arch9wavefront6targetE1EEEvT1_,"axG",@progbits,_ZN7rocprim17ROCPRIM_400000_NS6detail17trampoline_kernelINS0_14default_configENS1_29reduce_by_key_config_selectorIyyN6thrust23THRUST_200600_302600_NS4plusIyEEEEZZNS1_33reduce_by_key_impl_wrapped_configILNS1_25lookback_scan_determinismE0ES3_S9_NS6_6detail15normal_iteratorINS6_10device_ptrIyEEEESG_SG_SG_PmS8_22is_equal_div_10_reduceIyEEE10hipError_tPvRmT2_T3_mT4_T5_T6_T7_T8_P12ihipStream_tbENKUlT_T0_E_clISt17integral_constantIbLb0EES11_EEDaSW_SX_EUlSW_E_NS1_11comp_targetILNS1_3genE0ELNS1_11target_archE4294967295ELNS1_3gpuE0ELNS1_3repE0EEENS1_30default_config_static_selectorELNS0_4arch9wavefront6targetE1EEEvT1_,comdat
.Lfunc_end277:
	.size	_ZN7rocprim17ROCPRIM_400000_NS6detail17trampoline_kernelINS0_14default_configENS1_29reduce_by_key_config_selectorIyyN6thrust23THRUST_200600_302600_NS4plusIyEEEEZZNS1_33reduce_by_key_impl_wrapped_configILNS1_25lookback_scan_determinismE0ES3_S9_NS6_6detail15normal_iteratorINS6_10device_ptrIyEEEESG_SG_SG_PmS8_22is_equal_div_10_reduceIyEEE10hipError_tPvRmT2_T3_mT4_T5_T6_T7_T8_P12ihipStream_tbENKUlT_T0_E_clISt17integral_constantIbLb0EES11_EEDaSW_SX_EUlSW_E_NS1_11comp_targetILNS1_3genE0ELNS1_11target_archE4294967295ELNS1_3gpuE0ELNS1_3repE0EEENS1_30default_config_static_selectorELNS0_4arch9wavefront6targetE1EEEvT1_, .Lfunc_end277-_ZN7rocprim17ROCPRIM_400000_NS6detail17trampoline_kernelINS0_14default_configENS1_29reduce_by_key_config_selectorIyyN6thrust23THRUST_200600_302600_NS4plusIyEEEEZZNS1_33reduce_by_key_impl_wrapped_configILNS1_25lookback_scan_determinismE0ES3_S9_NS6_6detail15normal_iteratorINS6_10device_ptrIyEEEESG_SG_SG_PmS8_22is_equal_div_10_reduceIyEEE10hipError_tPvRmT2_T3_mT4_T5_T6_T7_T8_P12ihipStream_tbENKUlT_T0_E_clISt17integral_constantIbLb0EES11_EEDaSW_SX_EUlSW_E_NS1_11comp_targetILNS1_3genE0ELNS1_11target_archE4294967295ELNS1_3gpuE0ELNS1_3repE0EEENS1_30default_config_static_selectorELNS0_4arch9wavefront6targetE1EEEvT1_
                                        ; -- End function
	.section	.AMDGPU.csdata,"",@progbits
; Kernel info:
; codeLenInByte = 0
; NumSgprs: 4
; NumVgprs: 0
; NumAgprs: 0
; TotalNumVgprs: 0
; ScratchSize: 0
; MemoryBound: 0
; FloatMode: 240
; IeeeMode: 1
; LDSByteSize: 0 bytes/workgroup (compile time only)
; SGPRBlocks: 0
; VGPRBlocks: 0
; NumSGPRsForWavesPerEU: 4
; NumVGPRsForWavesPerEU: 1
; AccumOffset: 4
; Occupancy: 8
; WaveLimiterHint : 0
; COMPUTE_PGM_RSRC2:SCRATCH_EN: 0
; COMPUTE_PGM_RSRC2:USER_SGPR: 6
; COMPUTE_PGM_RSRC2:TRAP_HANDLER: 0
; COMPUTE_PGM_RSRC2:TGID_X_EN: 1
; COMPUTE_PGM_RSRC2:TGID_Y_EN: 0
; COMPUTE_PGM_RSRC2:TGID_Z_EN: 0
; COMPUTE_PGM_RSRC2:TIDIG_COMP_CNT: 0
; COMPUTE_PGM_RSRC3_GFX90A:ACCUM_OFFSET: 0
; COMPUTE_PGM_RSRC3_GFX90A:TG_SPLIT: 0
	.section	.text._ZN7rocprim17ROCPRIM_400000_NS6detail17trampoline_kernelINS0_14default_configENS1_29reduce_by_key_config_selectorIyyN6thrust23THRUST_200600_302600_NS4plusIyEEEEZZNS1_33reduce_by_key_impl_wrapped_configILNS1_25lookback_scan_determinismE0ES3_S9_NS6_6detail15normal_iteratorINS6_10device_ptrIyEEEESG_SG_SG_PmS8_22is_equal_div_10_reduceIyEEE10hipError_tPvRmT2_T3_mT4_T5_T6_T7_T8_P12ihipStream_tbENKUlT_T0_E_clISt17integral_constantIbLb0EES11_EEDaSW_SX_EUlSW_E_NS1_11comp_targetILNS1_3genE5ELNS1_11target_archE942ELNS1_3gpuE9ELNS1_3repE0EEENS1_30default_config_static_selectorELNS0_4arch9wavefront6targetE1EEEvT1_,"axG",@progbits,_ZN7rocprim17ROCPRIM_400000_NS6detail17trampoline_kernelINS0_14default_configENS1_29reduce_by_key_config_selectorIyyN6thrust23THRUST_200600_302600_NS4plusIyEEEEZZNS1_33reduce_by_key_impl_wrapped_configILNS1_25lookback_scan_determinismE0ES3_S9_NS6_6detail15normal_iteratorINS6_10device_ptrIyEEEESG_SG_SG_PmS8_22is_equal_div_10_reduceIyEEE10hipError_tPvRmT2_T3_mT4_T5_T6_T7_T8_P12ihipStream_tbENKUlT_T0_E_clISt17integral_constantIbLb0EES11_EEDaSW_SX_EUlSW_E_NS1_11comp_targetILNS1_3genE5ELNS1_11target_archE942ELNS1_3gpuE9ELNS1_3repE0EEENS1_30default_config_static_selectorELNS0_4arch9wavefront6targetE1EEEvT1_,comdat
	.protected	_ZN7rocprim17ROCPRIM_400000_NS6detail17trampoline_kernelINS0_14default_configENS1_29reduce_by_key_config_selectorIyyN6thrust23THRUST_200600_302600_NS4plusIyEEEEZZNS1_33reduce_by_key_impl_wrapped_configILNS1_25lookback_scan_determinismE0ES3_S9_NS6_6detail15normal_iteratorINS6_10device_ptrIyEEEESG_SG_SG_PmS8_22is_equal_div_10_reduceIyEEE10hipError_tPvRmT2_T3_mT4_T5_T6_T7_T8_P12ihipStream_tbENKUlT_T0_E_clISt17integral_constantIbLb0EES11_EEDaSW_SX_EUlSW_E_NS1_11comp_targetILNS1_3genE5ELNS1_11target_archE942ELNS1_3gpuE9ELNS1_3repE0EEENS1_30default_config_static_selectorELNS0_4arch9wavefront6targetE1EEEvT1_ ; -- Begin function _ZN7rocprim17ROCPRIM_400000_NS6detail17trampoline_kernelINS0_14default_configENS1_29reduce_by_key_config_selectorIyyN6thrust23THRUST_200600_302600_NS4plusIyEEEEZZNS1_33reduce_by_key_impl_wrapped_configILNS1_25lookback_scan_determinismE0ES3_S9_NS6_6detail15normal_iteratorINS6_10device_ptrIyEEEESG_SG_SG_PmS8_22is_equal_div_10_reduceIyEEE10hipError_tPvRmT2_T3_mT4_T5_T6_T7_T8_P12ihipStream_tbENKUlT_T0_E_clISt17integral_constantIbLb0EES11_EEDaSW_SX_EUlSW_E_NS1_11comp_targetILNS1_3genE5ELNS1_11target_archE942ELNS1_3gpuE9ELNS1_3repE0EEENS1_30default_config_static_selectorELNS0_4arch9wavefront6targetE1EEEvT1_
	.globl	_ZN7rocprim17ROCPRIM_400000_NS6detail17trampoline_kernelINS0_14default_configENS1_29reduce_by_key_config_selectorIyyN6thrust23THRUST_200600_302600_NS4plusIyEEEEZZNS1_33reduce_by_key_impl_wrapped_configILNS1_25lookback_scan_determinismE0ES3_S9_NS6_6detail15normal_iteratorINS6_10device_ptrIyEEEESG_SG_SG_PmS8_22is_equal_div_10_reduceIyEEE10hipError_tPvRmT2_T3_mT4_T5_T6_T7_T8_P12ihipStream_tbENKUlT_T0_E_clISt17integral_constantIbLb0EES11_EEDaSW_SX_EUlSW_E_NS1_11comp_targetILNS1_3genE5ELNS1_11target_archE942ELNS1_3gpuE9ELNS1_3repE0EEENS1_30default_config_static_selectorELNS0_4arch9wavefront6targetE1EEEvT1_
	.p2align	8
	.type	_ZN7rocprim17ROCPRIM_400000_NS6detail17trampoline_kernelINS0_14default_configENS1_29reduce_by_key_config_selectorIyyN6thrust23THRUST_200600_302600_NS4plusIyEEEEZZNS1_33reduce_by_key_impl_wrapped_configILNS1_25lookback_scan_determinismE0ES3_S9_NS6_6detail15normal_iteratorINS6_10device_ptrIyEEEESG_SG_SG_PmS8_22is_equal_div_10_reduceIyEEE10hipError_tPvRmT2_T3_mT4_T5_T6_T7_T8_P12ihipStream_tbENKUlT_T0_E_clISt17integral_constantIbLb0EES11_EEDaSW_SX_EUlSW_E_NS1_11comp_targetILNS1_3genE5ELNS1_11target_archE942ELNS1_3gpuE9ELNS1_3repE0EEENS1_30default_config_static_selectorELNS0_4arch9wavefront6targetE1EEEvT1_,@function
_ZN7rocprim17ROCPRIM_400000_NS6detail17trampoline_kernelINS0_14default_configENS1_29reduce_by_key_config_selectorIyyN6thrust23THRUST_200600_302600_NS4plusIyEEEEZZNS1_33reduce_by_key_impl_wrapped_configILNS1_25lookback_scan_determinismE0ES3_S9_NS6_6detail15normal_iteratorINS6_10device_ptrIyEEEESG_SG_SG_PmS8_22is_equal_div_10_reduceIyEEE10hipError_tPvRmT2_T3_mT4_T5_T6_T7_T8_P12ihipStream_tbENKUlT_T0_E_clISt17integral_constantIbLb0EES11_EEDaSW_SX_EUlSW_E_NS1_11comp_targetILNS1_3genE5ELNS1_11target_archE942ELNS1_3gpuE9ELNS1_3repE0EEENS1_30default_config_static_selectorELNS0_4arch9wavefront6targetE1EEEvT1_: ; @_ZN7rocprim17ROCPRIM_400000_NS6detail17trampoline_kernelINS0_14default_configENS1_29reduce_by_key_config_selectorIyyN6thrust23THRUST_200600_302600_NS4plusIyEEEEZZNS1_33reduce_by_key_impl_wrapped_configILNS1_25lookback_scan_determinismE0ES3_S9_NS6_6detail15normal_iteratorINS6_10device_ptrIyEEEESG_SG_SG_PmS8_22is_equal_div_10_reduceIyEEE10hipError_tPvRmT2_T3_mT4_T5_T6_T7_T8_P12ihipStream_tbENKUlT_T0_E_clISt17integral_constantIbLb0EES11_EEDaSW_SX_EUlSW_E_NS1_11comp_targetILNS1_3genE5ELNS1_11target_archE942ELNS1_3gpuE9ELNS1_3repE0EEENS1_30default_config_static_selectorELNS0_4arch9wavefront6targetE1EEEvT1_
; %bb.0:
	.section	.rodata,"a",@progbits
	.p2align	6, 0x0
	.amdhsa_kernel _ZN7rocprim17ROCPRIM_400000_NS6detail17trampoline_kernelINS0_14default_configENS1_29reduce_by_key_config_selectorIyyN6thrust23THRUST_200600_302600_NS4plusIyEEEEZZNS1_33reduce_by_key_impl_wrapped_configILNS1_25lookback_scan_determinismE0ES3_S9_NS6_6detail15normal_iteratorINS6_10device_ptrIyEEEESG_SG_SG_PmS8_22is_equal_div_10_reduceIyEEE10hipError_tPvRmT2_T3_mT4_T5_T6_T7_T8_P12ihipStream_tbENKUlT_T0_E_clISt17integral_constantIbLb0EES11_EEDaSW_SX_EUlSW_E_NS1_11comp_targetILNS1_3genE5ELNS1_11target_archE942ELNS1_3gpuE9ELNS1_3repE0EEENS1_30default_config_static_selectorELNS0_4arch9wavefront6targetE1EEEvT1_
		.amdhsa_group_segment_fixed_size 0
		.amdhsa_private_segment_fixed_size 0
		.amdhsa_kernarg_size 136
		.amdhsa_user_sgpr_count 6
		.amdhsa_user_sgpr_private_segment_buffer 1
		.amdhsa_user_sgpr_dispatch_ptr 0
		.amdhsa_user_sgpr_queue_ptr 0
		.amdhsa_user_sgpr_kernarg_segment_ptr 1
		.amdhsa_user_sgpr_dispatch_id 0
		.amdhsa_user_sgpr_flat_scratch_init 0
		.amdhsa_user_sgpr_kernarg_preload_length 0
		.amdhsa_user_sgpr_kernarg_preload_offset 0
		.amdhsa_user_sgpr_private_segment_size 0
		.amdhsa_uses_dynamic_stack 0
		.amdhsa_system_sgpr_private_segment_wavefront_offset 0
		.amdhsa_system_sgpr_workgroup_id_x 1
		.amdhsa_system_sgpr_workgroup_id_y 0
		.amdhsa_system_sgpr_workgroup_id_z 0
		.amdhsa_system_sgpr_workgroup_info 0
		.amdhsa_system_vgpr_workitem_id 0
		.amdhsa_next_free_vgpr 1
		.amdhsa_next_free_sgpr 0
		.amdhsa_accum_offset 4
		.amdhsa_reserve_vcc 0
		.amdhsa_reserve_flat_scratch 0
		.amdhsa_float_round_mode_32 0
		.amdhsa_float_round_mode_16_64 0
		.amdhsa_float_denorm_mode_32 3
		.amdhsa_float_denorm_mode_16_64 3
		.amdhsa_dx10_clamp 1
		.amdhsa_ieee_mode 1
		.amdhsa_fp16_overflow 0
		.amdhsa_tg_split 0
		.amdhsa_exception_fp_ieee_invalid_op 0
		.amdhsa_exception_fp_denorm_src 0
		.amdhsa_exception_fp_ieee_div_zero 0
		.amdhsa_exception_fp_ieee_overflow 0
		.amdhsa_exception_fp_ieee_underflow 0
		.amdhsa_exception_fp_ieee_inexact 0
		.amdhsa_exception_int_div_zero 0
	.end_amdhsa_kernel
	.section	.text._ZN7rocprim17ROCPRIM_400000_NS6detail17trampoline_kernelINS0_14default_configENS1_29reduce_by_key_config_selectorIyyN6thrust23THRUST_200600_302600_NS4plusIyEEEEZZNS1_33reduce_by_key_impl_wrapped_configILNS1_25lookback_scan_determinismE0ES3_S9_NS6_6detail15normal_iteratorINS6_10device_ptrIyEEEESG_SG_SG_PmS8_22is_equal_div_10_reduceIyEEE10hipError_tPvRmT2_T3_mT4_T5_T6_T7_T8_P12ihipStream_tbENKUlT_T0_E_clISt17integral_constantIbLb0EES11_EEDaSW_SX_EUlSW_E_NS1_11comp_targetILNS1_3genE5ELNS1_11target_archE942ELNS1_3gpuE9ELNS1_3repE0EEENS1_30default_config_static_selectorELNS0_4arch9wavefront6targetE1EEEvT1_,"axG",@progbits,_ZN7rocprim17ROCPRIM_400000_NS6detail17trampoline_kernelINS0_14default_configENS1_29reduce_by_key_config_selectorIyyN6thrust23THRUST_200600_302600_NS4plusIyEEEEZZNS1_33reduce_by_key_impl_wrapped_configILNS1_25lookback_scan_determinismE0ES3_S9_NS6_6detail15normal_iteratorINS6_10device_ptrIyEEEESG_SG_SG_PmS8_22is_equal_div_10_reduceIyEEE10hipError_tPvRmT2_T3_mT4_T5_T6_T7_T8_P12ihipStream_tbENKUlT_T0_E_clISt17integral_constantIbLb0EES11_EEDaSW_SX_EUlSW_E_NS1_11comp_targetILNS1_3genE5ELNS1_11target_archE942ELNS1_3gpuE9ELNS1_3repE0EEENS1_30default_config_static_selectorELNS0_4arch9wavefront6targetE1EEEvT1_,comdat
.Lfunc_end278:
	.size	_ZN7rocprim17ROCPRIM_400000_NS6detail17trampoline_kernelINS0_14default_configENS1_29reduce_by_key_config_selectorIyyN6thrust23THRUST_200600_302600_NS4plusIyEEEEZZNS1_33reduce_by_key_impl_wrapped_configILNS1_25lookback_scan_determinismE0ES3_S9_NS6_6detail15normal_iteratorINS6_10device_ptrIyEEEESG_SG_SG_PmS8_22is_equal_div_10_reduceIyEEE10hipError_tPvRmT2_T3_mT4_T5_T6_T7_T8_P12ihipStream_tbENKUlT_T0_E_clISt17integral_constantIbLb0EES11_EEDaSW_SX_EUlSW_E_NS1_11comp_targetILNS1_3genE5ELNS1_11target_archE942ELNS1_3gpuE9ELNS1_3repE0EEENS1_30default_config_static_selectorELNS0_4arch9wavefront6targetE1EEEvT1_, .Lfunc_end278-_ZN7rocprim17ROCPRIM_400000_NS6detail17trampoline_kernelINS0_14default_configENS1_29reduce_by_key_config_selectorIyyN6thrust23THRUST_200600_302600_NS4plusIyEEEEZZNS1_33reduce_by_key_impl_wrapped_configILNS1_25lookback_scan_determinismE0ES3_S9_NS6_6detail15normal_iteratorINS6_10device_ptrIyEEEESG_SG_SG_PmS8_22is_equal_div_10_reduceIyEEE10hipError_tPvRmT2_T3_mT4_T5_T6_T7_T8_P12ihipStream_tbENKUlT_T0_E_clISt17integral_constantIbLb0EES11_EEDaSW_SX_EUlSW_E_NS1_11comp_targetILNS1_3genE5ELNS1_11target_archE942ELNS1_3gpuE9ELNS1_3repE0EEENS1_30default_config_static_selectorELNS0_4arch9wavefront6targetE1EEEvT1_
                                        ; -- End function
	.section	.AMDGPU.csdata,"",@progbits
; Kernel info:
; codeLenInByte = 0
; NumSgprs: 4
; NumVgprs: 0
; NumAgprs: 0
; TotalNumVgprs: 0
; ScratchSize: 0
; MemoryBound: 0
; FloatMode: 240
; IeeeMode: 1
; LDSByteSize: 0 bytes/workgroup (compile time only)
; SGPRBlocks: 0
; VGPRBlocks: 0
; NumSGPRsForWavesPerEU: 4
; NumVGPRsForWavesPerEU: 1
; AccumOffset: 4
; Occupancy: 8
; WaveLimiterHint : 0
; COMPUTE_PGM_RSRC2:SCRATCH_EN: 0
; COMPUTE_PGM_RSRC2:USER_SGPR: 6
; COMPUTE_PGM_RSRC2:TRAP_HANDLER: 0
; COMPUTE_PGM_RSRC2:TGID_X_EN: 1
; COMPUTE_PGM_RSRC2:TGID_Y_EN: 0
; COMPUTE_PGM_RSRC2:TGID_Z_EN: 0
; COMPUTE_PGM_RSRC2:TIDIG_COMP_CNT: 0
; COMPUTE_PGM_RSRC3_GFX90A:ACCUM_OFFSET: 0
; COMPUTE_PGM_RSRC3_GFX90A:TG_SPLIT: 0
	.section	.text._ZN7rocprim17ROCPRIM_400000_NS6detail17trampoline_kernelINS0_14default_configENS1_29reduce_by_key_config_selectorIyyN6thrust23THRUST_200600_302600_NS4plusIyEEEEZZNS1_33reduce_by_key_impl_wrapped_configILNS1_25lookback_scan_determinismE0ES3_S9_NS6_6detail15normal_iteratorINS6_10device_ptrIyEEEESG_SG_SG_PmS8_22is_equal_div_10_reduceIyEEE10hipError_tPvRmT2_T3_mT4_T5_T6_T7_T8_P12ihipStream_tbENKUlT_T0_E_clISt17integral_constantIbLb0EES11_EEDaSW_SX_EUlSW_E_NS1_11comp_targetILNS1_3genE4ELNS1_11target_archE910ELNS1_3gpuE8ELNS1_3repE0EEENS1_30default_config_static_selectorELNS0_4arch9wavefront6targetE1EEEvT1_,"axG",@progbits,_ZN7rocprim17ROCPRIM_400000_NS6detail17trampoline_kernelINS0_14default_configENS1_29reduce_by_key_config_selectorIyyN6thrust23THRUST_200600_302600_NS4plusIyEEEEZZNS1_33reduce_by_key_impl_wrapped_configILNS1_25lookback_scan_determinismE0ES3_S9_NS6_6detail15normal_iteratorINS6_10device_ptrIyEEEESG_SG_SG_PmS8_22is_equal_div_10_reduceIyEEE10hipError_tPvRmT2_T3_mT4_T5_T6_T7_T8_P12ihipStream_tbENKUlT_T0_E_clISt17integral_constantIbLb0EES11_EEDaSW_SX_EUlSW_E_NS1_11comp_targetILNS1_3genE4ELNS1_11target_archE910ELNS1_3gpuE8ELNS1_3repE0EEENS1_30default_config_static_selectorELNS0_4arch9wavefront6targetE1EEEvT1_,comdat
	.protected	_ZN7rocprim17ROCPRIM_400000_NS6detail17trampoline_kernelINS0_14default_configENS1_29reduce_by_key_config_selectorIyyN6thrust23THRUST_200600_302600_NS4plusIyEEEEZZNS1_33reduce_by_key_impl_wrapped_configILNS1_25lookback_scan_determinismE0ES3_S9_NS6_6detail15normal_iteratorINS6_10device_ptrIyEEEESG_SG_SG_PmS8_22is_equal_div_10_reduceIyEEE10hipError_tPvRmT2_T3_mT4_T5_T6_T7_T8_P12ihipStream_tbENKUlT_T0_E_clISt17integral_constantIbLb0EES11_EEDaSW_SX_EUlSW_E_NS1_11comp_targetILNS1_3genE4ELNS1_11target_archE910ELNS1_3gpuE8ELNS1_3repE0EEENS1_30default_config_static_selectorELNS0_4arch9wavefront6targetE1EEEvT1_ ; -- Begin function _ZN7rocprim17ROCPRIM_400000_NS6detail17trampoline_kernelINS0_14default_configENS1_29reduce_by_key_config_selectorIyyN6thrust23THRUST_200600_302600_NS4plusIyEEEEZZNS1_33reduce_by_key_impl_wrapped_configILNS1_25lookback_scan_determinismE0ES3_S9_NS6_6detail15normal_iteratorINS6_10device_ptrIyEEEESG_SG_SG_PmS8_22is_equal_div_10_reduceIyEEE10hipError_tPvRmT2_T3_mT4_T5_T6_T7_T8_P12ihipStream_tbENKUlT_T0_E_clISt17integral_constantIbLb0EES11_EEDaSW_SX_EUlSW_E_NS1_11comp_targetILNS1_3genE4ELNS1_11target_archE910ELNS1_3gpuE8ELNS1_3repE0EEENS1_30default_config_static_selectorELNS0_4arch9wavefront6targetE1EEEvT1_
	.globl	_ZN7rocprim17ROCPRIM_400000_NS6detail17trampoline_kernelINS0_14default_configENS1_29reduce_by_key_config_selectorIyyN6thrust23THRUST_200600_302600_NS4plusIyEEEEZZNS1_33reduce_by_key_impl_wrapped_configILNS1_25lookback_scan_determinismE0ES3_S9_NS6_6detail15normal_iteratorINS6_10device_ptrIyEEEESG_SG_SG_PmS8_22is_equal_div_10_reduceIyEEE10hipError_tPvRmT2_T3_mT4_T5_T6_T7_T8_P12ihipStream_tbENKUlT_T0_E_clISt17integral_constantIbLb0EES11_EEDaSW_SX_EUlSW_E_NS1_11comp_targetILNS1_3genE4ELNS1_11target_archE910ELNS1_3gpuE8ELNS1_3repE0EEENS1_30default_config_static_selectorELNS0_4arch9wavefront6targetE1EEEvT1_
	.p2align	8
	.type	_ZN7rocprim17ROCPRIM_400000_NS6detail17trampoline_kernelINS0_14default_configENS1_29reduce_by_key_config_selectorIyyN6thrust23THRUST_200600_302600_NS4plusIyEEEEZZNS1_33reduce_by_key_impl_wrapped_configILNS1_25lookback_scan_determinismE0ES3_S9_NS6_6detail15normal_iteratorINS6_10device_ptrIyEEEESG_SG_SG_PmS8_22is_equal_div_10_reduceIyEEE10hipError_tPvRmT2_T3_mT4_T5_T6_T7_T8_P12ihipStream_tbENKUlT_T0_E_clISt17integral_constantIbLb0EES11_EEDaSW_SX_EUlSW_E_NS1_11comp_targetILNS1_3genE4ELNS1_11target_archE910ELNS1_3gpuE8ELNS1_3repE0EEENS1_30default_config_static_selectorELNS0_4arch9wavefront6targetE1EEEvT1_,@function
_ZN7rocprim17ROCPRIM_400000_NS6detail17trampoline_kernelINS0_14default_configENS1_29reduce_by_key_config_selectorIyyN6thrust23THRUST_200600_302600_NS4plusIyEEEEZZNS1_33reduce_by_key_impl_wrapped_configILNS1_25lookback_scan_determinismE0ES3_S9_NS6_6detail15normal_iteratorINS6_10device_ptrIyEEEESG_SG_SG_PmS8_22is_equal_div_10_reduceIyEEE10hipError_tPvRmT2_T3_mT4_T5_T6_T7_T8_P12ihipStream_tbENKUlT_T0_E_clISt17integral_constantIbLb0EES11_EEDaSW_SX_EUlSW_E_NS1_11comp_targetILNS1_3genE4ELNS1_11target_archE910ELNS1_3gpuE8ELNS1_3repE0EEENS1_30default_config_static_selectorELNS0_4arch9wavefront6targetE1EEEvT1_: ; @_ZN7rocprim17ROCPRIM_400000_NS6detail17trampoline_kernelINS0_14default_configENS1_29reduce_by_key_config_selectorIyyN6thrust23THRUST_200600_302600_NS4plusIyEEEEZZNS1_33reduce_by_key_impl_wrapped_configILNS1_25lookback_scan_determinismE0ES3_S9_NS6_6detail15normal_iteratorINS6_10device_ptrIyEEEESG_SG_SG_PmS8_22is_equal_div_10_reduceIyEEE10hipError_tPvRmT2_T3_mT4_T5_T6_T7_T8_P12ihipStream_tbENKUlT_T0_E_clISt17integral_constantIbLb0EES11_EEDaSW_SX_EUlSW_E_NS1_11comp_targetILNS1_3genE4ELNS1_11target_archE910ELNS1_3gpuE8ELNS1_3repE0EEENS1_30default_config_static_selectorELNS0_4arch9wavefront6targetE1EEEvT1_
; %bb.0:
	s_load_dwordx8 s[52:59], s[4:5], 0x0
	s_load_dwordx4 s[60:63], s[4:5], 0x20
	s_load_dwordx16 s[36:51], s[4:5], 0x38
	v_mul_u32_u24_e32 v76, 15, v0
	s_waitcnt lgkmcnt(0)
	s_lshl_b64 s[0:1], s[54:55], 3
	s_add_u32 s2, s52, s0
	s_addc_u32 s3, s53, s1
	s_add_u32 s8, s56, s0
	s_addc_u32 s9, s57, s1
	s_mul_i32 s0, s44, s43
	s_mul_hi_u32 s1, s44, s42
	s_add_i32 s0, s1, s0
	s_mul_i32 s1, s45, s42
	s_add_i32 s10, s0, s1
	s_mul_i32 s0, s6, 0xf00
	s_mov_b32 s1, 0
	s_lshl_b64 s[0:1], s[0:1], 3
	s_add_u32 s7, s2, s0
	s_addc_u32 s56, s3, s1
	s_add_u32 s57, s8, s0
	s_mul_i32 s11, s44, s42
	s_addc_u32 s64, s9, s1
	s_add_u32 s52, s11, s6
	s_addc_u32 s53, s10, 0
	s_add_u32 s2, s46, -1
	s_addc_u32 s3, s47, -1
	s_cmp_eq_u64 s[52:53], s[2:3]
	s_cselect_b64 s[34:35], -1, 0
	s_cmp_lg_u64 s[52:53], s[2:3]
	s_mov_b64 s[0:1], -1
	s_cselect_b64 s[54:55], -1, 0
	s_mul_i32 s33, s2, 0xfffff100
	s_and_b64 vcc, exec, s[34:35]
	s_cbranch_vccnz .LBB279_2
; %bb.1:
	v_lshlrev_b32_e32 v66, 3, v0
	v_mov_b32_e32 v1, s56
	v_add_co_u32_e32 v2, vcc, s7, v66
	v_addc_co_u32_e32 v3, vcc, 0, v1, vcc
	v_add_co_u32_e32 v4, vcc, 0x1000, v2
	v_addc_co_u32_e32 v5, vcc, 0, v3, vcc
	flat_load_dwordx2 v[6:7], v[2:3]
	flat_load_dwordx2 v[8:9], v[2:3] offset:2048
	flat_load_dwordx2 v[10:11], v[4:5]
	flat_load_dwordx2 v[12:13], v[4:5] offset:2048
	v_add_co_u32_e32 v4, vcc, 0x2000, v2
	v_addc_co_u32_e32 v5, vcc, 0, v3, vcc
	v_add_co_u32_e32 v14, vcc, 0x3000, v2
	v_addc_co_u32_e32 v15, vcc, 0, v3, vcc
	flat_load_dwordx2 v[16:17], v[4:5]
	flat_load_dwordx2 v[18:19], v[4:5] offset:2048
	flat_load_dwordx2 v[20:21], v[14:15]
	flat_load_dwordx2 v[22:23], v[14:15] offset:2048
	;; [unrolled: 8-line block ×3, first 2 shown]
	v_add_co_u32_e32 v4, vcc, 0x6000, v2
	v_addc_co_u32_e32 v5, vcc, 0, v3, vcc
	v_add_co_u32_e32 v2, vcc, 0x7000, v2
	v_addc_co_u32_e32 v3, vcc, 0, v3, vcc
	flat_load_dwordx2 v[14:15], v[4:5]
	flat_load_dwordx2 v[32:33], v[4:5] offset:2048
	flat_load_dwordx2 v[34:35], v[2:3]
	v_mov_b32_e32 v36, s64
	s_movk_i32 s0, 0x1000
	s_movk_i32 s11, 0x70
	s_movk_i32 s1, 0x2000
	v_mad_u32_u24 v1, v0, s11, v66
	s_movk_i32 s2, 0x3000
	s_movk_i32 s3, 0x4000
	;; [unrolled: 1-line block ×5, first 2 shown]
	s_waitcnt vmcnt(0) lgkmcnt(0)
	ds_write2st64_b64 v66, v[6:7], v[8:9] offset1:4
	ds_write2st64_b64 v66, v[10:11], v[12:13] offset0:8 offset1:12
	ds_write2st64_b64 v66, v[16:17], v[18:19] offset0:16 offset1:20
	;; [unrolled: 1-line block ×6, first 2 shown]
	ds_write_b64 v66, v[34:35] offset:28672
	v_add_co_u32_e32 v30, vcc, s57, v66
	v_addc_co_u32_e32 v31, vcc, 0, v36, vcc
	v_add_co_u32_e32 v32, vcc, s0, v30
	v_addc_co_u32_e32 v33, vcc, 0, v31, vcc
	s_waitcnt lgkmcnt(0)
	s_barrier
	ds_read2_b64 v[26:29], v1 offset1:1
	ds_read2_b64 v[22:25], v1 offset0:2 offset1:3
	ds_read2_b64 v[18:21], v1 offset0:4 offset1:5
	;; [unrolled: 1-line block ×6, first 2 shown]
	ds_read_b64 v[58:59], v1 offset:112
	s_waitcnt lgkmcnt(0)
	s_barrier
	flat_load_dwordx2 v[34:35], v[30:31]
	flat_load_dwordx2 v[36:37], v[30:31] offset:2048
	flat_load_dwordx2 v[38:39], v[32:33]
	flat_load_dwordx2 v[40:41], v[32:33] offset:2048
	v_add_co_u32_e32 v32, vcc, s1, v30
	v_addc_co_u32_e32 v33, vcc, 0, v31, vcc
	v_add_co_u32_e32 v42, vcc, s2, v30
	v_addc_co_u32_e32 v43, vcc, 0, v31, vcc
	flat_load_dwordx2 v[44:45], v[32:33]
	flat_load_dwordx2 v[46:47], v[32:33] offset:2048
	flat_load_dwordx2 v[48:49], v[42:43]
	flat_load_dwordx2 v[50:51], v[42:43] offset:2048
	v_add_co_u32_e32 v32, vcc, s3, v30
	v_addc_co_u32_e32 v33, vcc, 0, v31, vcc
	v_add_co_u32_e32 v42, vcc, s8, v30
	v_addc_co_u32_e32 v43, vcc, 0, v31, vcc
	;; [unrolled: 8-line block ×3, first 2 shown]
	flat_load_dwordx2 v[42:43], v[32:33]
	flat_load_dwordx2 v[62:63], v[32:33] offset:2048
	flat_load_dwordx2 v[64:65], v[30:31]
	v_mul_u32_u24_e32 v30, 15, v0
	s_waitcnt vmcnt(0) lgkmcnt(0)
	ds_write2st64_b64 v66, v[34:35], v[36:37] offset1:4
	ds_write2st64_b64 v66, v[38:39], v[40:41] offset0:8 offset1:12
	ds_write2st64_b64 v66, v[44:45], v[46:47] offset0:16 offset1:20
	;; [unrolled: 1-line block ×6, first 2 shown]
	ds_write_b64 v66, v[64:65] offset:28672
	s_waitcnt lgkmcnt(0)
	s_barrier
	s_load_dwordx2 s[46:47], s[4:5], 0x78
	s_add_i32 s33, s33, s48
	s_cbranch_execz .LBB279_3
	s_branch .LBB279_50
.LBB279_2:
                                        ; implicit-def: $vgpr2_vgpr3_vgpr4_vgpr5
                                        ; implicit-def: $vgpr6_vgpr7_vgpr8_vgpr9
                                        ; implicit-def: $vgpr10_vgpr11_vgpr12_vgpr13
                                        ; implicit-def: $vgpr14_vgpr15_vgpr16_vgpr17
                                        ; implicit-def: $vgpr18_vgpr19_vgpr20_vgpr21
                                        ; implicit-def: $vgpr22_vgpr23_vgpr24_vgpr25
                                        ; implicit-def: $vgpr26_vgpr27_vgpr28_vgpr29
                                        ; implicit-def: $vgpr30
                                        ; implicit-def: $vgpr1
                                        ; implicit-def: $vgpr58_vgpr59
	s_load_dwordx2 s[46:47], s[4:5], 0x78
	s_andn2_b64 vcc, exec, s[0:1]
	s_add_i32 s33, s33, s48
	s_cbranch_vccnz .LBB279_50
.LBB279_3:
	v_cmp_gt_u32_e32 vcc, s33, v0
                                        ; implicit-def: $vgpr2_vgpr3
	s_and_saveexec_b64 s[2:3], vcc
	s_cbranch_execz .LBB279_5
; %bb.4:
	v_lshlrev_b32_e32 v1, 3, v0
	v_mov_b32_e32 v3, s56
	v_add_co_u32_e64 v2, s[0:1], s7, v1
	v_addc_co_u32_e64 v3, s[0:1], 0, v3, s[0:1]
	flat_load_dwordx2 v[2:3], v[2:3]
.LBB279_5:
	s_or_b64 exec, exec, s[2:3]
	v_or_b32_e32 v1, 0x100, v0
	v_cmp_gt_u32_e64 s[0:1], s33, v1
                                        ; implicit-def: $vgpr4_vgpr5
	s_and_saveexec_b64 s[4:5], s[0:1]
	s_cbranch_execz .LBB279_7
; %bb.6:
	v_lshlrev_b32_e32 v1, 3, v0
	v_mov_b32_e32 v5, s56
	v_add_co_u32_e64 v4, s[2:3], s7, v1
	v_addc_co_u32_e64 v5, s[2:3], 0, v5, s[2:3]
	flat_load_dwordx2 v[4:5], v[4:5] offset:2048
.LBB279_7:
	s_or_b64 exec, exec, s[4:5]
	v_or_b32_e32 v1, 0x200, v0
	v_cmp_gt_u32_e64 s[2:3], s33, v1
	v_lshlrev_b32_e32 v36, 3, v1
                                        ; implicit-def: $vgpr6_vgpr7
	s_and_saveexec_b64 s[8:9], s[2:3]
	s_cbranch_execz .LBB279_9
; %bb.8:
	v_mov_b32_e32 v1, s56
	v_add_co_u32_e64 v6, s[4:5], s7, v36
	v_addc_co_u32_e64 v7, s[4:5], 0, v1, s[4:5]
	flat_load_dwordx2 v[6:7], v[6:7]
.LBB279_9:
	s_or_b64 exec, exec, s[8:9]
	v_or_b32_e32 v1, 0x300, v0
	v_cmp_gt_u32_e64 s[4:5], s33, v1
	v_lshlrev_b32_e32 v38, 3, v1
                                        ; implicit-def: $vgpr8_vgpr9
	s_and_saveexec_b64 s[10:11], s[4:5]
	s_cbranch_execz .LBB279_11
; %bb.10:
	v_mov_b32_e32 v1, s56
	v_add_co_u32_e64 v8, s[8:9], s7, v38
	v_addc_co_u32_e64 v9, s[8:9], 0, v1, s[8:9]
	flat_load_dwordx2 v[8:9], v[8:9]
.LBB279_11:
	s_or_b64 exec, exec, s[10:11]
	v_or_b32_e32 v1, 0x400, v0
	v_cmp_gt_u32_e64 s[28:29], s33, v1
	v_lshlrev_b32_e32 v40, 3, v1
                                        ; implicit-def: $vgpr10_vgpr11
	s_and_saveexec_b64 s[10:11], s[28:29]
	s_cbranch_execz .LBB279_13
; %bb.12:
	v_mov_b32_e32 v1, s56
	v_add_co_u32_e64 v10, s[8:9], s7, v40
	v_addc_co_u32_e64 v11, s[8:9], 0, v1, s[8:9]
	flat_load_dwordx2 v[10:11], v[10:11]
.LBB279_13:
	s_or_b64 exec, exec, s[10:11]
	v_or_b32_e32 v1, 0x500, v0
	v_cmp_gt_u32_e64 s[8:9], s33, v1
	v_lshlrev_b32_e32 v42, 3, v1
                                        ; implicit-def: $vgpr12_vgpr13
	s_and_saveexec_b64 s[12:13], s[8:9]
	s_cbranch_execz .LBB279_15
; %bb.14:
	v_mov_b32_e32 v1, s56
	v_add_co_u32_e64 v12, s[10:11], s7, v42
	v_addc_co_u32_e64 v13, s[10:11], 0, v1, s[10:11]
	flat_load_dwordx2 v[12:13], v[12:13]
.LBB279_15:
	s_or_b64 exec, exec, s[12:13]
	v_or_b32_e32 v1, 0x600, v0
	v_cmp_gt_u32_e64 s[10:11], s33, v1
	v_lshlrev_b32_e32 v44, 3, v1
                                        ; implicit-def: $vgpr14_vgpr15
	s_and_saveexec_b64 s[14:15], s[10:11]
	s_cbranch_execz .LBB279_17
; %bb.16:
	v_mov_b32_e32 v1, s56
	v_add_co_u32_e64 v14, s[12:13], s7, v44
	v_addc_co_u32_e64 v15, s[12:13], 0, v1, s[12:13]
	flat_load_dwordx2 v[14:15], v[14:15]
.LBB279_17:
	s_or_b64 exec, exec, s[14:15]
	v_or_b32_e32 v1, 0x700, v0
	v_cmp_gt_u32_e64 s[12:13], s33, v1
	v_lshlrev_b32_e32 v46, 3, v1
                                        ; implicit-def: $vgpr16_vgpr17
	s_and_saveexec_b64 s[16:17], s[12:13]
	s_cbranch_execz .LBB279_19
; %bb.18:
	v_mov_b32_e32 v1, s56
	v_add_co_u32_e64 v16, s[14:15], s7, v46
	v_addc_co_u32_e64 v17, s[14:15], 0, v1, s[14:15]
	flat_load_dwordx2 v[16:17], v[16:17]
.LBB279_19:
	s_or_b64 exec, exec, s[16:17]
	v_or_b32_e32 v1, 0x800, v0
	v_cmp_gt_u32_e64 s[14:15], s33, v1
	v_lshlrev_b32_e32 v48, 3, v1
                                        ; implicit-def: $vgpr18_vgpr19
	s_and_saveexec_b64 s[18:19], s[14:15]
	s_cbranch_execz .LBB279_21
; %bb.20:
	v_mov_b32_e32 v1, s56
	v_add_co_u32_e64 v18, s[16:17], s7, v48
	v_addc_co_u32_e64 v19, s[16:17], 0, v1, s[16:17]
	flat_load_dwordx2 v[18:19], v[18:19]
.LBB279_21:
	s_or_b64 exec, exec, s[18:19]
	v_or_b32_e32 v1, 0x900, v0
	v_cmp_gt_u32_e64 s[16:17], s33, v1
	v_lshlrev_b32_e32 v50, 3, v1
                                        ; implicit-def: $vgpr20_vgpr21
	s_and_saveexec_b64 s[20:21], s[16:17]
	s_cbranch_execz .LBB279_23
; %bb.22:
	v_mov_b32_e32 v1, s56
	v_add_co_u32_e64 v20, s[18:19], s7, v50
	v_addc_co_u32_e64 v21, s[18:19], 0, v1, s[18:19]
	flat_load_dwordx2 v[20:21], v[20:21]
.LBB279_23:
	s_or_b64 exec, exec, s[20:21]
	v_or_b32_e32 v1, 0xa00, v0
	v_cmp_gt_u32_e64 s[18:19], s33, v1
	v_lshlrev_b32_e32 v52, 3, v1
                                        ; implicit-def: $vgpr22_vgpr23
	s_and_saveexec_b64 s[22:23], s[18:19]
	s_cbranch_execz .LBB279_25
; %bb.24:
	v_mov_b32_e32 v1, s56
	v_add_co_u32_e64 v22, s[20:21], s7, v52
	v_addc_co_u32_e64 v23, s[20:21], 0, v1, s[20:21]
	flat_load_dwordx2 v[22:23], v[22:23]
.LBB279_25:
	s_or_b64 exec, exec, s[22:23]
	v_or_b32_e32 v1, 0xb00, v0
	v_cmp_gt_u32_e64 s[20:21], s33, v1
	v_lshlrev_b32_e32 v54, 3, v1
                                        ; implicit-def: $vgpr24_vgpr25
	s_and_saveexec_b64 s[24:25], s[20:21]
	s_cbranch_execz .LBB279_27
; %bb.26:
	v_mov_b32_e32 v1, s56
	v_add_co_u32_e64 v24, s[22:23], s7, v54
	v_addc_co_u32_e64 v25, s[22:23], 0, v1, s[22:23]
	flat_load_dwordx2 v[24:25], v[24:25]
.LBB279_27:
	s_or_b64 exec, exec, s[24:25]
	v_or_b32_e32 v1, 0xc00, v0
	v_cmp_gt_u32_e64 s[22:23], s33, v1
	v_lshlrev_b32_e32 v56, 3, v1
                                        ; implicit-def: $vgpr26_vgpr27
	s_and_saveexec_b64 s[26:27], s[22:23]
	s_cbranch_execz .LBB279_29
; %bb.28:
	v_mov_b32_e32 v1, s56
	v_add_co_u32_e64 v26, s[24:25], s7, v56
	v_addc_co_u32_e64 v27, s[24:25], 0, v1, s[24:25]
	flat_load_dwordx2 v[26:27], v[26:27]
.LBB279_29:
	s_or_b64 exec, exec, s[26:27]
	v_or_b32_e32 v1, 0xd00, v0
	v_cmp_gt_u32_e64 s[24:25], s33, v1
	v_lshlrev_b32_e32 v60, 3, v1
                                        ; implicit-def: $vgpr28_vgpr29
	s_and_saveexec_b64 s[30:31], s[24:25]
	s_cbranch_execz .LBB279_31
; %bb.30:
	v_mov_b32_e32 v1, s56
	v_add_co_u32_e64 v28, s[26:27], s7, v60
	v_addc_co_u32_e64 v29, s[26:27], 0, v1, s[26:27]
	flat_load_dwordx2 v[28:29], v[28:29]
.LBB279_31:
	s_or_b64 exec, exec, s[30:31]
	v_or_b32_e32 v1, 0xe00, v0
	v_cmp_gt_u32_e64 s[26:27], s33, v1
	v_lshlrev_b32_e32 v62, 3, v1
                                        ; implicit-def: $vgpr30_vgpr31
	s_and_saveexec_b64 s[44:45], s[26:27]
	s_cbranch_execz .LBB279_33
; %bb.32:
	v_mov_b32_e32 v1, s56
	v_add_co_u32_e64 v30, s[30:31], s7, v62
	v_addc_co_u32_e64 v31, s[30:31], 0, v1, s[30:31]
	flat_load_dwordx2 v[30:31], v[30:31]
.LBB279_33:
	s_or_b64 exec, exec, s[44:45]
	v_lshlrev_b32_e32 v63, 3, v0
	s_movk_i32 s30, 0x70
	v_mad_u32_u24 v1, v0, s30, v63
	s_waitcnt vmcnt(0) lgkmcnt(0)
	ds_write2st64_b64 v63, v[2:3], v[4:5] offset1:4
	ds_write2st64_b64 v63, v[6:7], v[8:9] offset0:8 offset1:12
	ds_write2st64_b64 v63, v[10:11], v[12:13] offset0:16 offset1:20
	;; [unrolled: 1-line block ×6, first 2 shown]
	ds_write_b64 v63, v[30:31] offset:28672
	s_waitcnt lgkmcnt(0)
	s_barrier
	ds_read2_b64 v[26:29], v1 offset1:1
	ds_read2_b64 v[22:25], v1 offset0:2 offset1:3
	ds_read2_b64 v[18:21], v1 offset0:4 offset1:5
	;; [unrolled: 1-line block ×6, first 2 shown]
	ds_read_b64 v[58:59], v1 offset:112
	s_waitcnt lgkmcnt(0)
	s_barrier
	s_waitcnt lgkmcnt(0)
                                        ; implicit-def: $vgpr30_vgpr31
	s_and_saveexec_b64 s[30:31], vcc
	s_cbranch_execnz .LBB279_57
; %bb.34:
	s_or_b64 exec, exec, s[30:31]
                                        ; implicit-def: $vgpr32_vgpr33
	s_and_saveexec_b64 s[30:31], s[0:1]
	s_cbranch_execnz .LBB279_58
.LBB279_35:
	s_or_b64 exec, exec, s[30:31]
                                        ; implicit-def: $vgpr34_vgpr35
	s_and_saveexec_b64 s[0:1], s[2:3]
	s_cbranch_execnz .LBB279_59
.LBB279_36:
	s_or_b64 exec, exec, s[0:1]
                                        ; implicit-def: $vgpr36_vgpr37
	s_and_saveexec_b64 s[0:1], s[4:5]
	s_cbranch_execnz .LBB279_60
.LBB279_37:
	s_or_b64 exec, exec, s[0:1]
                                        ; implicit-def: $vgpr38_vgpr39
	s_and_saveexec_b64 s[0:1], s[28:29]
	s_cbranch_execnz .LBB279_61
.LBB279_38:
	s_or_b64 exec, exec, s[0:1]
                                        ; implicit-def: $vgpr40_vgpr41
	s_and_saveexec_b64 s[0:1], s[8:9]
	s_cbranch_execnz .LBB279_62
.LBB279_39:
	s_or_b64 exec, exec, s[0:1]
                                        ; implicit-def: $vgpr42_vgpr43
	s_and_saveexec_b64 s[0:1], s[10:11]
	s_cbranch_execnz .LBB279_63
.LBB279_40:
	s_or_b64 exec, exec, s[0:1]
                                        ; implicit-def: $vgpr44_vgpr45
	s_and_saveexec_b64 s[0:1], s[12:13]
	s_cbranch_execnz .LBB279_64
.LBB279_41:
	s_or_b64 exec, exec, s[0:1]
                                        ; implicit-def: $vgpr46_vgpr47
	s_and_saveexec_b64 s[0:1], s[14:15]
	s_cbranch_execnz .LBB279_65
.LBB279_42:
	s_or_b64 exec, exec, s[0:1]
                                        ; implicit-def: $vgpr48_vgpr49
	s_and_saveexec_b64 s[0:1], s[16:17]
	s_cbranch_execnz .LBB279_66
.LBB279_43:
	s_or_b64 exec, exec, s[0:1]
                                        ; implicit-def: $vgpr50_vgpr51
	s_and_saveexec_b64 s[0:1], s[18:19]
	s_cbranch_execnz .LBB279_67
.LBB279_44:
	s_or_b64 exec, exec, s[0:1]
                                        ; implicit-def: $vgpr52_vgpr53
	s_and_saveexec_b64 s[0:1], s[20:21]
	s_cbranch_execnz .LBB279_68
.LBB279_45:
	s_or_b64 exec, exec, s[0:1]
                                        ; implicit-def: $vgpr54_vgpr55
	s_and_saveexec_b64 s[0:1], s[22:23]
	s_cbranch_execnz .LBB279_69
.LBB279_46:
	s_or_b64 exec, exec, s[0:1]
                                        ; implicit-def: $vgpr56_vgpr57
	s_and_saveexec_b64 s[0:1], s[24:25]
	s_cbranch_execnz .LBB279_70
.LBB279_47:
	s_or_b64 exec, exec, s[0:1]
                                        ; implicit-def: $vgpr60_vgpr61
	s_and_saveexec_b64 s[0:1], s[26:27]
	s_cbranch_execz .LBB279_49
.LBB279_48:
	v_mov_b32_e32 v61, s64
	v_add_co_u32_e32 v60, vcc, s57, v62
	v_addc_co_u32_e32 v61, vcc, 0, v61, vcc
	flat_load_dwordx2 v[60:61], v[60:61]
.LBB279_49:
	s_or_b64 exec, exec, s[0:1]
	s_waitcnt vmcnt(0) lgkmcnt(0)
	ds_write2st64_b64 v63, v[30:31], v[32:33] offset1:4
	ds_write2st64_b64 v63, v[34:35], v[36:37] offset0:8 offset1:12
	ds_write2st64_b64 v63, v[38:39], v[40:41] offset0:16 offset1:20
	;; [unrolled: 1-line block ×6, first 2 shown]
	ds_write_b64 v63, v[60:61] offset:28672
	v_mov_b32_e32 v30, v76
	s_waitcnt lgkmcnt(0)
	s_barrier
.LBB279_50:
	v_lshlrev_b32_e32 v60, 3, v30
	s_waitcnt lgkmcnt(0)
	ds_read2_b64 v[50:53], v1 offset1:2
	ds_read2_b64 v[42:45], v1 offset0:4 offset1:6
	ds_read2_b64 v[54:57], v60 offset0:1 offset1:3
	ds_read2_b64 v[46:49], v60 offset0:5 offset1:7
	ds_read2_b64 v[38:41], v1 offset0:8 offset1:10
	ds_read2_b64 v[34:37], v60 offset0:9 offset1:11
	ds_read2_b64 v[30:33], v1 offset0:12 offset1:14
	ds_read_b64 v[60:61], v60 offset:104
	s_cmp_eq_u64 s[52:53], 0
	s_cselect_b64 s[44:45], -1, 0
	s_cmp_lg_u64 s[52:53], 0
	s_mov_b64 s[0:1], 0
	s_cselect_b64 s[30:31], -1, 0
	s_and_b64 vcc, exec, s[54:55]
	s_waitcnt lgkmcnt(0)
	s_barrier
	s_cbranch_vccz .LBB279_56
; %bb.51:
	s_and_b64 vcc, exec, s[30:31]
	s_cbranch_vccz .LBB279_71
; %bb.52:
	v_mov_b32_e32 v1, s56
	v_add_co_u32_e64 v62, vcc, -8, s7
	v_addc_co_u32_e32 v63, vcc, -1, v1, vcc
	flat_load_dwordx2 v[62:63], v[62:63]
	s_mov_b32 s57, 0x66666667
	s_waitcnt vmcnt(0) lgkmcnt(0)
	v_mul_hi_i32 v63, v4, s57
	v_lshrrev_b32_e32 v64, 31, v63
	v_ashrrev_i32_e32 v63, 2, v63
	v_add_u32_e32 v63, v63, v64
	v_mul_hi_i32 v64, v58, s57
	v_lshrrev_b32_e32 v65, 31, v64
	v_ashrrev_i32_e32 v64, 2, v64
	v_add_u32_e32 v64, v64, v65
	v_cmp_ne_u32_e32 vcc, v63, v64
	v_mul_hi_i32 v64, v2, s57
	v_lshrrev_b32_e32 v65, 31, v64
	v_ashrrev_i32_e32 v64, 2, v64
	v_add_u32_e32 v64, v64, v65
	v_cmp_ne_u32_e64 s[0:1], v64, v63
	v_mul_hi_i32 v63, v8, s57
	v_lshrrev_b32_e32 v65, 31, v63
	v_ashrrev_i32_e32 v63, 2, v63
	v_add_u32_e32 v63, v63, v65
	v_cmp_ne_u32_e64 s[2:3], v63, v64
	;; [unrolled: 5-line block ×12, first 2 shown]
	v_mul_hi_i32 v64, v26, s57
	v_lshrrev_b32_e32 v65, 31, v64
	v_ashrrev_i32_e32 v64, 2, v64
	v_add_u32_e32 v68, v64, v65
	v_lshlrev_b32_e32 v1, 3, v0
	v_cmp_ne_u32_e64 s[24:25], v68, v63
	v_cmp_ne_u32_e64 s[28:29], 0, v0
	ds_write_b64 v1, v[58:59]
	s_waitcnt lgkmcnt(0)
	s_barrier
	s_and_saveexec_b64 s[54:55], s[28:29]
	s_cbranch_execz .LBB279_54
; %bb.53:
	v_add_u32_e32 v1, -8, v1
	ds_read_b64 v[62:63], v1
.LBB279_54:
	s_or_b64 exec, exec, s[54:55]
	s_waitcnt lgkmcnt(0)
	v_mul_hi_i32 v62, v62, s57
	v_lshrrev_b32_e32 v69, 31, v62
	v_ashrrev_i32_e32 v62, 2, v62
	v_add_u32_e32 v62, v62, v69
	v_cndmask_b32_e64 v1, 0, 1, vcc
	v_cndmask_b32_e64 v79, 0, 1, s[0:1]
	v_cndmask_b32_e64 v110, 0, 1, s[2:3]
	;; [unrolled: 1-line block ×13, first 2 shown]
	v_cmp_ne_u32_e64 s[4:5], v62, v68
	s_mov_b64 s[0:1], -1
.LBB279_55:
                                        ; implicit-def: $sgpr8
	s_branch .LBB279_75
.LBB279_56:
                                        ; implicit-def: $sgpr4_sgpr5
                                        ; implicit-def: $vgpr1
                                        ; implicit-def: $vgpr79
                                        ; implicit-def: $vgpr110
                                        ; implicit-def: $vgpr63
                                        ; implicit-def: $vgpr111
                                        ; implicit-def: $vgpr65
                                        ; implicit-def: $vgpr64
                                        ; implicit-def: $vgpr67
                                        ; implicit-def: $vgpr66
                                        ; implicit-def: $vgpr71
                                        ; implicit-def: $vgpr70
                                        ; implicit-def: $vgpr73
                                        ; implicit-def: $vgpr72
                                        ; implicit-def: $vgpr75
                                        ; implicit-def: $vgpr69
                                        ; implicit-def: $sgpr8
	s_cbranch_execnz .LBB279_76
	s_branch .LBB279_111
.LBB279_57:
	v_mov_b32_e32 v31, s64
	v_add_co_u32_e32 v30, vcc, s57, v63
	v_addc_co_u32_e32 v31, vcc, 0, v31, vcc
	flat_load_dwordx2 v[30:31], v[30:31]
	s_or_b64 exec, exec, s[30:31]
                                        ; implicit-def: $vgpr32_vgpr33
	s_and_saveexec_b64 s[30:31], s[0:1]
	s_cbranch_execz .LBB279_35
.LBB279_58:
	v_mov_b32_e32 v33, s64
	v_add_co_u32_e32 v32, vcc, s57, v63
	v_addc_co_u32_e32 v33, vcc, 0, v33, vcc
	flat_load_dwordx2 v[32:33], v[32:33] offset:2048
	s_or_b64 exec, exec, s[30:31]
                                        ; implicit-def: $vgpr34_vgpr35
	s_and_saveexec_b64 s[0:1], s[2:3]
	s_cbranch_execz .LBB279_36
.LBB279_59:
	v_mov_b32_e32 v35, s64
	v_add_co_u32_e32 v34, vcc, s57, v36
	v_addc_co_u32_e32 v35, vcc, 0, v35, vcc
	flat_load_dwordx2 v[34:35], v[34:35]
	s_or_b64 exec, exec, s[0:1]
                                        ; implicit-def: $vgpr36_vgpr37
	s_and_saveexec_b64 s[0:1], s[4:5]
	s_cbranch_execz .LBB279_37
.LBB279_60:
	v_mov_b32_e32 v37, s64
	v_add_co_u32_e32 v36, vcc, s57, v38
	v_addc_co_u32_e32 v37, vcc, 0, v37, vcc
	flat_load_dwordx2 v[36:37], v[36:37]
	s_or_b64 exec, exec, s[0:1]
                                        ; implicit-def: $vgpr38_vgpr39
	s_and_saveexec_b64 s[0:1], s[28:29]
	s_cbranch_execz .LBB279_38
.LBB279_61:
	v_mov_b32_e32 v39, s64
	v_add_co_u32_e32 v38, vcc, s57, v40
	v_addc_co_u32_e32 v39, vcc, 0, v39, vcc
	flat_load_dwordx2 v[38:39], v[38:39]
	s_or_b64 exec, exec, s[0:1]
                                        ; implicit-def: $vgpr40_vgpr41
	s_and_saveexec_b64 s[0:1], s[8:9]
	s_cbranch_execz .LBB279_39
.LBB279_62:
	v_mov_b32_e32 v41, s64
	v_add_co_u32_e32 v40, vcc, s57, v42
	v_addc_co_u32_e32 v41, vcc, 0, v41, vcc
	flat_load_dwordx2 v[40:41], v[40:41]
	s_or_b64 exec, exec, s[0:1]
                                        ; implicit-def: $vgpr42_vgpr43
	s_and_saveexec_b64 s[0:1], s[10:11]
	s_cbranch_execz .LBB279_40
.LBB279_63:
	v_mov_b32_e32 v43, s64
	v_add_co_u32_e32 v42, vcc, s57, v44
	v_addc_co_u32_e32 v43, vcc, 0, v43, vcc
	flat_load_dwordx2 v[42:43], v[42:43]
	s_or_b64 exec, exec, s[0:1]
                                        ; implicit-def: $vgpr44_vgpr45
	s_and_saveexec_b64 s[0:1], s[12:13]
	s_cbranch_execz .LBB279_41
.LBB279_64:
	v_mov_b32_e32 v45, s64
	v_add_co_u32_e32 v44, vcc, s57, v46
	v_addc_co_u32_e32 v45, vcc, 0, v45, vcc
	flat_load_dwordx2 v[44:45], v[44:45]
	s_or_b64 exec, exec, s[0:1]
                                        ; implicit-def: $vgpr46_vgpr47
	s_and_saveexec_b64 s[0:1], s[14:15]
	s_cbranch_execz .LBB279_42
.LBB279_65:
	v_mov_b32_e32 v47, s64
	v_add_co_u32_e32 v46, vcc, s57, v48
	v_addc_co_u32_e32 v47, vcc, 0, v47, vcc
	flat_load_dwordx2 v[46:47], v[46:47]
	s_or_b64 exec, exec, s[0:1]
                                        ; implicit-def: $vgpr48_vgpr49
	s_and_saveexec_b64 s[0:1], s[16:17]
	s_cbranch_execz .LBB279_43
.LBB279_66:
	v_mov_b32_e32 v49, s64
	v_add_co_u32_e32 v48, vcc, s57, v50
	v_addc_co_u32_e32 v49, vcc, 0, v49, vcc
	flat_load_dwordx2 v[48:49], v[48:49]
	s_or_b64 exec, exec, s[0:1]
                                        ; implicit-def: $vgpr50_vgpr51
	s_and_saveexec_b64 s[0:1], s[18:19]
	s_cbranch_execz .LBB279_44
.LBB279_67:
	v_mov_b32_e32 v51, s64
	v_add_co_u32_e32 v50, vcc, s57, v52
	v_addc_co_u32_e32 v51, vcc, 0, v51, vcc
	flat_load_dwordx2 v[50:51], v[50:51]
	s_or_b64 exec, exec, s[0:1]
                                        ; implicit-def: $vgpr52_vgpr53
	s_and_saveexec_b64 s[0:1], s[20:21]
	s_cbranch_execz .LBB279_45
.LBB279_68:
	v_mov_b32_e32 v53, s64
	v_add_co_u32_e32 v52, vcc, s57, v54
	v_addc_co_u32_e32 v53, vcc, 0, v53, vcc
	flat_load_dwordx2 v[52:53], v[52:53]
	s_or_b64 exec, exec, s[0:1]
                                        ; implicit-def: $vgpr54_vgpr55
	s_and_saveexec_b64 s[0:1], s[22:23]
	s_cbranch_execz .LBB279_46
.LBB279_69:
	v_mov_b32_e32 v55, s64
	v_add_co_u32_e32 v54, vcc, s57, v56
	v_addc_co_u32_e32 v55, vcc, 0, v55, vcc
	flat_load_dwordx2 v[54:55], v[54:55]
	s_or_b64 exec, exec, s[0:1]
                                        ; implicit-def: $vgpr56_vgpr57
	s_and_saveexec_b64 s[0:1], s[24:25]
	s_cbranch_execz .LBB279_47
.LBB279_70:
	v_mov_b32_e32 v57, s64
	v_add_co_u32_e32 v56, vcc, s57, v60
	v_addc_co_u32_e32 v57, vcc, 0, v57, vcc
	flat_load_dwordx2 v[56:57], v[56:57]
	s_or_b64 exec, exec, s[0:1]
                                        ; implicit-def: $vgpr60_vgpr61
	s_and_saveexec_b64 s[0:1], s[26:27]
	s_cbranch_execnz .LBB279_48
	s_branch .LBB279_49
.LBB279_71:
                                        ; implicit-def: $sgpr4_sgpr5
                                        ; implicit-def: $vgpr1
                                        ; implicit-def: $vgpr79
                                        ; implicit-def: $vgpr110
                                        ; implicit-def: $vgpr63
                                        ; implicit-def: $vgpr111
                                        ; implicit-def: $vgpr65
                                        ; implicit-def: $vgpr64
                                        ; implicit-def: $vgpr67
                                        ; implicit-def: $vgpr66
                                        ; implicit-def: $vgpr71
                                        ; implicit-def: $vgpr70
                                        ; implicit-def: $vgpr73
                                        ; implicit-def: $vgpr72
                                        ; implicit-def: $vgpr75
	s_cbranch_execz .LBB279_55
; %bb.72:
	s_mov_b32 s8, 0x66666667
	v_mul_hi_i32 v1, v4, s8
	v_lshrrev_b32_e32 v63, 31, v1
	v_ashrrev_i32_e32 v1, 2, v1
	v_add_u32_e32 v63, v1, v63
	v_mul_hi_i32 v1, v58, s8
	v_lshrrev_b32_e32 v64, 31, v1
	v_ashrrev_i32_e32 v1, 2, v1
	v_add_u32_e32 v1, v1, v64
	v_mul_hi_i32 v64, v2, s8
	v_lshrrev_b32_e32 v65, 31, v64
	v_ashrrev_i32_e32 v64, 2, v64
	v_cmp_ne_u32_e32 vcc, v63, v1
	v_add_u32_e32 v64, v64, v65
	v_cndmask_b32_e64 v1, 0, 1, vcc
	v_cmp_ne_u32_e32 vcc, v64, v63
	v_mul_hi_i32 v63, v8, s8
	v_lshrrev_b32_e32 v65, 31, v63
	v_ashrrev_i32_e32 v63, 2, v63
	v_add_u32_e32 v63, v63, v65
	v_cndmask_b32_e64 v79, 0, 1, vcc
	v_cmp_ne_u32_e32 vcc, v63, v64
	v_mul_hi_i32 v64, v6, s8
	v_lshrrev_b32_e32 v65, 31, v64
	v_ashrrev_i32_e32 v64, 2, v64
	v_add_u32_e32 v64, v64, v65
	v_mul_hi_i32 v65, v12, s8
	v_lshrrev_b32_e32 v66, 31, v65
	v_ashrrev_i32_e32 v65, 2, v65
	v_cndmask_b32_e64 v110, 0, 1, vcc
	v_cmp_ne_u32_e32 vcc, v64, v63
	v_add_u32_e32 v65, v65, v66
	v_cndmask_b32_e64 v63, 0, 1, vcc
	v_cmp_ne_u32_e32 vcc, v65, v64
	v_mul_hi_i32 v64, v10, s8
	v_lshrrev_b32_e32 v66, 31, v64
	v_ashrrev_i32_e32 v64, 2, v64
	v_add_u32_e32 v64, v64, v66
	v_mul_hi_i32 v66, v16, s8
	v_lshrrev_b32_e32 v67, 31, v66
	v_ashrrev_i32_e32 v66, 2, v66
	v_add_u32_e32 v66, v66, v67
	v_mul_hi_i32 v67, v14, s8
	v_cndmask_b32_e64 v111, 0, 1, vcc
	v_cmp_ne_u32_e32 vcc, v64, v65
	v_lshrrev_b32_e32 v68, 31, v67
	v_ashrrev_i32_e32 v67, 2, v67
	v_cndmask_b32_e64 v65, 0, 1, vcc
	v_cmp_ne_u32_e32 vcc, v66, v64
	v_add_u32_e32 v68, v67, v68
	v_cndmask_b32_e64 v64, 0, 1, vcc
	v_cmp_ne_u32_e32 vcc, v68, v66
	v_mul_hi_i32 v66, v20, s8
	v_lshrrev_b32_e32 v69, 31, v66
	v_ashrrev_i32_e32 v66, 2, v66
	v_add_u32_e32 v69, v66, v69
	v_cndmask_b32_e64 v67, 0, 1, vcc
	v_cmp_ne_u32_e32 vcc, v69, v68
	v_mul_hi_i32 v68, v18, s8
	v_lshrrev_b32_e32 v70, 31, v68
	v_ashrrev_i32_e32 v68, 2, v68
	;; [unrolled: 6-line block ×6, first 2 shown]
	v_add_u32_e32 v68, v68, v74
	v_cndmask_b32_e64 v72, 0, 1, vcc
	v_cmp_ne_u32_e32 vcc, v68, v69
	v_lshlrev_b32_e32 v62, 3, v0
	v_cndmask_b32_e64 v75, 0, 1, vcc
	v_cmp_ne_u32_e32 vcc, 0, v0
	ds_write_b64 v62, v[58:59]
	s_waitcnt lgkmcnt(0)
	s_barrier
	s_waitcnt lgkmcnt(0)
                                        ; implicit-def: $sgpr4_sgpr5
	s_and_saveexec_b64 s[2:3], vcc
	s_xor_b64 s[2:3], exec, s[2:3]
	s_cbranch_execz .LBB279_74
; %bb.73:
	v_add_u32_e32 v62, -8, v62
	ds_read_b32 v62, v62
	s_or_b64 s[0:1], s[0:1], exec
	s_waitcnt lgkmcnt(0)
	v_mul_hi_i32 v62, v62, s8
	v_lshrrev_b32_e32 v69, 31, v62
	v_ashrrev_i32_e32 v62, 2, v62
	v_add_u32_e32 v62, v62, v69
	v_cmp_ne_u32_e32 vcc, v62, v68
	s_and_b64 s[4:5], vcc, exec
.LBB279_74:
	s_or_b64 exec, exec, s[2:3]
	s_mov_b32 s8, 1
.LBB279_75:
	v_mov_b32_e32 v69, v79
	s_branch .LBB279_111
.LBB279_76:
	s_mul_hi_u32 s3, s52, 0xfffff100
	s_mul_i32 s2, s53, 0xfffff100
	s_sub_i32 s3, s3, s52
	s_add_i32 s3, s3, s2
	s_mul_i32 s2, s52, 0xfffff100
	s_add_u32 s2, s2, s48
	s_addc_u32 s3, s3, s49
	s_and_b64 vcc, exec, s[30:31]
	v_mad_u32_u24 v68, v0, 15, 14
	s_cbranch_vccz .LBB279_248
; %bb.77:
	v_mov_b32_e32 v1, s56
	v_add_co_u32_e64 v62, vcc, -8, s7
	v_addc_co_u32_e32 v63, vcc, -1, v1, vcc
	flat_load_dwordx2 v[80:81], v[62:63]
	v_mov_b32_e32 v79, 0
	v_mov_b32_e32 v69, v79
	v_lshlrev_b32_e32 v77, 3, v0
	v_cmp_gt_u64_e32 vcc, s[2:3], v[68:69]
	v_mov_b32_e32 v1, 0
	ds_write_b64 v77, v[58:59]
	s_and_saveexec_b64 s[0:1], vcc
; %bb.78:
	s_mov_b32 s4, 0x66666667
	v_mul_hi_i32 v1, v4, s4
	v_lshrrev_b32_e32 v62, 31, v1
	v_ashrrev_i32_e32 v1, 2, v1
	v_add_u32_e32 v1, v1, v62
	v_mul_hi_i32 v62, v58, s4
	v_lshrrev_b32_e32 v63, 31, v62
	v_ashrrev_i32_e32 v62, 2, v62
	v_add_u32_e32 v62, v62, v63
	v_cmp_ne_u32_e32 vcc, v1, v62
	v_cndmask_b32_e64 v1, 0, 1, vcc
; %bb.79:
	s_or_b64 exec, exec, s[0:1]
	v_add_u32_e32 v78, 13, v76
	v_cmp_gt_u64_e32 vcc, s[2:3], v[78:79]
	s_and_saveexec_b64 s[0:1], vcc
; %bb.80:
	s_mov_b32 s4, 0x66666667
	v_mul_hi_i32 v62, v2, s4
	v_lshrrev_b32_e32 v63, 31, v62
	v_ashrrev_i32_e32 v62, 2, v62
	v_add_u32_e32 v62, v62, v63
	v_mul_hi_i32 v63, v4, s4
	v_lshrrev_b32_e32 v64, 31, v63
	v_ashrrev_i32_e32 v63, 2, v63
	v_add_u32_e32 v63, v63, v64
	v_cmp_ne_u32_e32 vcc, v62, v63
	v_cndmask_b32_e64 v79, 0, 1, vcc
; %bb.81:
	s_or_b64 exec, exec, s[0:1]
	v_add_u32_e32 v62, 12, v76
	v_mov_b32_e32 v63, 0
	v_cmp_gt_u64_e32 vcc, s[2:3], v[62:63]
	v_mov_b32_e32 v110, 0
	s_and_saveexec_b64 s[0:1], vcc
; %bb.82:
	s_mov_b32 s4, 0x66666667
	v_mul_hi_i32 v62, v8, s4
	v_lshrrev_b32_e32 v64, 31, v62
	v_ashrrev_i32_e32 v62, 2, v62
	v_add_u32_e32 v62, v62, v64
	v_mul_hi_i32 v64, v2, s4
	v_lshrrev_b32_e32 v65, 31, v64
	v_ashrrev_i32_e32 v64, 2, v64
	v_add_u32_e32 v64, v64, v65
	v_cmp_ne_u32_e32 vcc, v62, v64
	v_cndmask_b32_e64 v110, 0, 1, vcc
; %bb.83:
	s_or_b64 exec, exec, s[0:1]
	v_add_u32_e32 v62, 11, v76
	v_cmp_gt_u64_e32 vcc, s[2:3], v[62:63]
	s_and_saveexec_b64 s[0:1], vcc
; %bb.84:
	s_mov_b32 s4, 0x66666667
	v_mul_hi_i32 v62, v6, s4
	v_lshrrev_b32_e32 v63, 31, v62
	v_ashrrev_i32_e32 v62, 2, v62
	v_add_u32_e32 v62, v62, v63
	v_mul_hi_i32 v63, v8, s4
	v_lshrrev_b32_e32 v64, 31, v63
	v_ashrrev_i32_e32 v63, 2, v63
	v_add_u32_e32 v63, v63, v64
	v_cmp_ne_u32_e32 vcc, v62, v63
	v_cndmask_b32_e64 v63, 0, 1, vcc
; %bb.85:
	s_or_b64 exec, exec, s[0:1]
	v_add_u32_e32 v64, 10, v76
	v_mov_b32_e32 v65, 0
	v_cmp_gt_u64_e32 vcc, s[2:3], v[64:65]
	v_mov_b32_e32 v111, 0
	s_and_saveexec_b64 s[0:1], vcc
; %bb.86:
	s_mov_b32 s4, 0x66666667
	v_mul_hi_i32 v62, v12, s4
	v_lshrrev_b32_e32 v64, 31, v62
	v_ashrrev_i32_e32 v62, 2, v62
	v_add_u32_e32 v62, v62, v64
	v_mul_hi_i32 v64, v6, s4
	v_lshrrev_b32_e32 v66, 31, v64
	v_ashrrev_i32_e32 v64, 2, v64
	v_add_u32_e32 v64, v64, v66
	v_cmp_ne_u32_e32 vcc, v62, v64
	v_cndmask_b32_e64 v111, 0, 1, vcc
; %bb.87:
	s_or_b64 exec, exec, s[0:1]
	v_add_u32_e32 v64, 9, v76
	v_cmp_gt_u64_e32 vcc, s[2:3], v[64:65]
	s_and_saveexec_b64 s[0:1], vcc
; %bb.88:
	s_mov_b32 s4, 0x66666667
	v_mul_hi_i32 v62, v10, s4
	v_lshrrev_b32_e32 v64, 31, v62
	v_ashrrev_i32_e32 v62, 2, v62
	v_add_u32_e32 v62, v62, v64
	v_mul_hi_i32 v64, v12, s4
	v_lshrrev_b32_e32 v65, 31, v64
	v_ashrrev_i32_e32 v64, 2, v64
	v_add_u32_e32 v64, v64, v65
	v_cmp_ne_u32_e32 vcc, v62, v64
	v_cndmask_b32_e64 v65, 0, 1, vcc
; %bb.89:
	s_or_b64 exec, exec, s[0:1]
	v_add_u32_e32 v66, 8, v76
	v_mov_b32_e32 v67, 0
	v_cmp_gt_u64_e32 vcc, s[2:3], v[66:67]
	v_mov_b32_e32 v64, 0
	s_and_saveexec_b64 s[0:1], vcc
; %bb.90:
	s_mov_b32 s4, 0x66666667
	v_mul_hi_i32 v62, v16, s4
	v_lshrrev_b32_e32 v64, 31, v62
	v_ashrrev_i32_e32 v62, 2, v62
	v_add_u32_e32 v62, v62, v64
	v_mul_hi_i32 v64, v10, s4
	v_lshrrev_b32_e32 v66, 31, v64
	v_ashrrev_i32_e32 v64, 2, v64
	v_add_u32_e32 v64, v64, v66
	v_cmp_ne_u32_e32 vcc, v62, v64
	v_cndmask_b32_e64 v64, 0, 1, vcc
; %bb.91:
	s_or_b64 exec, exec, s[0:1]
	v_add_u32_e32 v66, 7, v76
	v_cmp_gt_u64_e32 vcc, s[2:3], v[66:67]
	s_and_saveexec_b64 s[0:1], vcc
; %bb.92:
	s_mov_b32 s4, 0x66666667
	v_mul_hi_i32 v62, v14, s4
	v_lshrrev_b32_e32 v66, 31, v62
	v_ashrrev_i32_e32 v62, 2, v62
	v_add_u32_e32 v62, v62, v66
	v_mul_hi_i32 v66, v16, s4
	v_lshrrev_b32_e32 v67, 31, v66
	v_ashrrev_i32_e32 v66, 2, v66
	v_add_u32_e32 v66, v66, v67
	v_cmp_ne_u32_e32 vcc, v62, v66
	v_cndmask_b32_e64 v67, 0, 1, vcc
; %bb.93:
	s_or_b64 exec, exec, s[0:1]
	v_add_u32_e32 v70, 6, v76
	v_mov_b32_e32 v71, 0
	v_cmp_gt_u64_e32 vcc, s[2:3], v[70:71]
	v_mov_b32_e32 v66, 0
	s_and_saveexec_b64 s[0:1], vcc
; %bb.94:
	s_mov_b32 s4, 0x66666667
	v_mul_hi_i32 v62, v20, s4
	v_lshrrev_b32_e32 v66, 31, v62
	v_ashrrev_i32_e32 v62, 2, v62
	v_add_u32_e32 v62, v62, v66
	v_mul_hi_i32 v66, v14, s4
	v_lshrrev_b32_e32 v69, 31, v66
	v_ashrrev_i32_e32 v66, 2, v66
	v_add_u32_e32 v66, v66, v69
	v_cmp_ne_u32_e32 vcc, v62, v66
	v_cndmask_b32_e64 v66, 0, 1, vcc
; %bb.95:
	s_or_b64 exec, exec, s[0:1]
	v_add_u32_e32 v70, 5, v76
	v_cmp_gt_u64_e32 vcc, s[2:3], v[70:71]
	s_and_saveexec_b64 s[0:1], vcc
; %bb.96:
	s_mov_b32 s4, 0x66666667
	v_mul_hi_i32 v62, v18, s4
	v_lshrrev_b32_e32 v69, 31, v62
	v_ashrrev_i32_e32 v62, 2, v62
	v_add_u32_e32 v62, v62, v69
	v_mul_hi_i32 v69, v20, s4
	v_lshrrev_b32_e32 v70, 31, v69
	v_ashrrev_i32_e32 v69, 2, v69
	v_add_u32_e32 v69, v69, v70
	v_cmp_ne_u32_e32 vcc, v62, v69
	v_cndmask_b32_e64 v71, 0, 1, vcc
; %bb.97:
	s_or_b64 exec, exec, s[0:1]
	v_add_u32_e32 v72, 4, v76
	v_mov_b32_e32 v73, 0
	v_cmp_gt_u64_e32 vcc, s[2:3], v[72:73]
	v_mov_b32_e32 v70, 0
	s_and_saveexec_b64 s[0:1], vcc
; %bb.98:
	s_mov_b32 s4, 0x66666667
	v_mul_hi_i32 v62, v24, s4
	v_lshrrev_b32_e32 v69, 31, v62
	v_ashrrev_i32_e32 v62, 2, v62
	v_add_u32_e32 v62, v62, v69
	v_mul_hi_i32 v69, v18, s4
	v_lshrrev_b32_e32 v70, 31, v69
	v_ashrrev_i32_e32 v69, 2, v69
	v_add_u32_e32 v69, v69, v70
	v_cmp_ne_u32_e32 vcc, v62, v69
	v_cndmask_b32_e64 v70, 0, 1, vcc
; %bb.99:
	s_or_b64 exec, exec, s[0:1]
	v_add_u32_e32 v72, 3, v76
	v_cmp_gt_u64_e32 vcc, s[2:3], v[72:73]
	s_and_saveexec_b64 s[0:1], vcc
; %bb.100:
	s_mov_b32 s4, 0x66666667
	v_mul_hi_i32 v62, v22, s4
	v_lshrrev_b32_e32 v69, 31, v62
	v_ashrrev_i32_e32 v62, 2, v62
	v_add_u32_e32 v62, v62, v69
	v_mul_hi_i32 v69, v24, s4
	v_lshrrev_b32_e32 v72, 31, v69
	v_ashrrev_i32_e32 v69, 2, v69
	v_add_u32_e32 v69, v69, v72
	v_cmp_ne_u32_e32 vcc, v62, v69
	v_cndmask_b32_e64 v73, 0, 1, vcc
; %bb.101:
	s_or_b64 exec, exec, s[0:1]
	v_add_u32_e32 v74, 2, v76
	v_mov_b32_e32 v75, 0
	v_cmp_gt_u64_e32 vcc, s[2:3], v[74:75]
	v_mov_b32_e32 v72, 0
	s_and_saveexec_b64 s[0:1], vcc
; %bb.102:
	s_mov_b32 s4, 0x66666667
	v_mul_hi_i32 v62, v28, s4
	v_lshrrev_b32_e32 v69, 31, v62
	v_ashrrev_i32_e32 v62, 2, v62
	v_add_u32_e32 v62, v62, v69
	v_mul_hi_i32 v69, v22, s4
	v_lshrrev_b32_e32 v72, 31, v69
	v_ashrrev_i32_e32 v69, 2, v69
	v_add_u32_e32 v69, v69, v72
	v_cmp_ne_u32_e32 vcc, v62, v69
	v_cndmask_b32_e64 v72, 0, 1, vcc
; %bb.103:
	s_or_b64 exec, exec, s[0:1]
	v_add_u32_e32 v74, 1, v76
	v_cmp_gt_u64_e32 vcc, s[2:3], v[74:75]
	s_and_saveexec_b64 s[0:1], vcc
; %bb.104:
	s_mov_b32 s4, 0x66666667
	v_mul_hi_i32 v62, v26, s4
	v_lshrrev_b32_e32 v69, 31, v62
	v_ashrrev_i32_e32 v62, 2, v62
	v_add_u32_e32 v62, v62, v69
	v_mul_hi_i32 v69, v28, s4
	v_lshrrev_b32_e32 v74, 31, v69
	v_ashrrev_i32_e32 v69, 2, v69
	v_add_u32_e32 v69, v69, v74
	v_cmp_ne_u32_e32 vcc, v62, v69
	v_cndmask_b32_e64 v75, 0, 1, vcc
; %bb.105:
	s_or_b64 exec, exec, s[0:1]
	v_cmp_ne_u32_e32 vcc, 0, v0
	s_waitcnt lgkmcnt(0)
	s_barrier
	s_and_saveexec_b64 s[0:1], vcc
	s_cbranch_execz .LBB279_107
; %bb.106:
	v_add_u32_e32 v62, -8, v77
	s_waitcnt vmcnt(0)
	ds_read_b64 v[80:81], v62
.LBB279_107:
	s_or_b64 exec, exec, s[0:1]
	v_mov_b32_e32 v77, 0
	v_cmp_gt_u64_e32 vcc, s[2:3], v[76:77]
	s_mov_b64 s[8:9], 0
	s_mov_b64 s[4:5], 0
	s_and_saveexec_b64 s[0:1], vcc
	s_cbranch_execz .LBB279_109
; %bb.108:
	s_mov_b32 s4, 0x66666667
	s_waitcnt vmcnt(0) lgkmcnt(0)
	v_mul_hi_i32 v62, v80, s4
	v_lshrrev_b32_e32 v69, 31, v62
	v_ashrrev_i32_e32 v62, 2, v62
	v_add_u32_e32 v62, v62, v69
	v_mul_hi_i32 v69, v26, s4
	v_lshrrev_b32_e32 v74, 31, v69
	v_ashrrev_i32_e32 v69, 2, v69
	v_add_u32_e32 v69, v69, v74
	v_cmp_ne_u32_e32 vcc, v62, v69
	s_and_b64 s[4:5], vcc, exec
.LBB279_109:
	s_or_b64 exec, exec, s[0:1]
	s_mov_b64 s[0:1], -1
	s_and_b64 vcc, exec, s[8:9]
	s_cbranch_vccnz .LBB279_249
.LBB279_110:
                                        ; implicit-def: $vgpr69
                                        ; implicit-def: $sgpr8
.LBB279_111:
	v_mov_b32_e32 v68, s8
	s_and_saveexec_b64 s[2:3], s[0:1]
.LBB279_112:
	v_cndmask_b32_e64 v68, 0, 1, s[4:5]
	v_mov_b32_e32 v69, v79
.LBB279_113:
	s_or_b64 exec, exec, s[2:3]
	s_cmp_eq_u64 s[42:43], 0
	v_add3_u32 v62, v75, v68, v72
	s_cselect_b64 s[30:31], -1, 0
	s_cmp_lg_u32 s6, 0
	v_cmp_eq_u32_e64 s[24:25], 0, v75
	v_cmp_eq_u32_e64 s[22:23], 0, v72
	;; [unrolled: 1-line block ×3, first 2 shown]
	v_add3_u32 v113, v62, v73, v70
	v_cmp_eq_u32_e64 s[18:19], 0, v70
	v_cmp_eq_u32_e64 s[16:17], 0, v71
	v_cmp_eq_u32_e64 s[14:15], 0, v66
	v_cmp_eq_u32_e64 s[12:13], 0, v67
	v_cmp_eq_u32_e64 s[10:11], 0, v64
	v_cmp_eq_u32_e64 s[8:9], 0, v65
	v_cmp_eq_u32_e64 s[28:29], 0, v111
	v_cmp_eq_u32_e64 s[4:5], 0, v63
	v_cmp_eq_u32_e64 s[2:3], 0, v110
	v_cmp_eq_u32_e64 s[0:1], 0, v69
	v_cmp_eq_u32_e32 vcc, 0, v1
	v_mbcnt_lo_u32_b32 v112, -1, 0
	s_cbranch_scc0 .LBB279_180
; %bb.114:
	v_cndmask_b32_e64 v74, 0, v50, s[24:25]
	v_cndmask_b32_e64 v62, 0, v51, s[24:25]
	v_add_co_u32_e64 v74, s[26:27], v74, v54
	v_addc_co_u32_e64 v62, s[26:27], v62, v55, s[26:27]
	v_cndmask_b32_e64 v74, 0, v74, s[22:23]
	v_cndmask_b32_e64 v62, 0, v62, s[22:23]
	v_add_co_u32_e64 v74, s[26:27], v74, v52
	v_addc_co_u32_e64 v62, s[26:27], v62, v53, s[26:27]
	;; [unrolled: 4-line block ×10, first 2 shown]
	v_cndmask_b32_e64 v74, 0, v74, s[4:5]
	v_cndmask_b32_e64 v62, 0, v62, s[4:5]
	v_add_co_u32_e64 v74, s[26:27], v74, v36
	v_add3_u32 v76, v113, v71, v66
	v_addc_co_u32_e64 v62, s[26:27], v62, v37, s[26:27]
	v_cndmask_b32_e64 v74, 0, v74, s[2:3]
	v_add3_u32 v76, v76, v67, v64
	v_cndmask_b32_e64 v62, 0, v62, s[2:3]
	v_add_co_u32_e64 v74, s[26:27], v74, v30
	v_add3_u32 v76, v76, v65, v111
	v_addc_co_u32_e64 v62, s[26:27], v62, v31, s[26:27]
	v_cndmask_b32_e64 v74, 0, v74, s[0:1]
	v_add3_u32 v76, v76, v63, v110
	v_cndmask_b32_e64 v62, 0, v62, s[0:1]
	v_add_co_u32_e64 v77, s[26:27], v74, v60
	v_addc_co_u32_e64 v62, s[26:27], v62, v61, s[26:27]
	v_add3_u32 v74, v76, v69, v1
	v_cndmask_b32_e32 v76, 0, v77, vcc
	v_cndmask_b32_e32 v62, 0, v62, vcc
	v_add_co_u32_e32 v78, vcc, v76, v32
	s_waitcnt vmcnt(0) lgkmcnt(0)
	v_mbcnt_hi_u32_b32 v81, -1, v112
	v_addc_co_u32_e32 v79, vcc, v62, v33, vcc
	v_and_b32_e32 v62, 15, v81
	v_mov_b32_dpp v77, v74 row_shr:1 row_mask:0xf bank_mask:0xf
	v_mov_b32_dpp v76, v78 row_shr:1 row_mask:0xf bank_mask:0xf
	;; [unrolled: 1-line block ×3, first 2 shown]
	v_cmp_ne_u32_e32 vcc, 0, v62
	s_and_saveexec_b64 s[26:27], vcc
; %bb.115:
	v_cmp_eq_u32_e32 vcc, 0, v74
	v_cndmask_b32_e32 v76, 0, v76, vcc
	v_add_u32_e32 v77, v77, v74
	v_cndmask_b32_e32 v74, 0, v80, vcc
	v_add_co_u32_e32 v78, vcc, v76, v78
	v_addc_co_u32_e32 v79, vcc, v74, v79, vcc
	v_mov_b32_e32 v74, v77
; %bb.116:
	s_or_b64 exec, exec, s[26:27]
	s_nop 0
	v_mov_b32_dpp v77, v74 row_shr:2 row_mask:0xf bank_mask:0xf
	v_mov_b32_dpp v76, v78 row_shr:2 row_mask:0xf bank_mask:0xf
	v_mov_b32_dpp v80, v79 row_shr:2 row_mask:0xf bank_mask:0xf
	v_cmp_lt_u32_e32 vcc, 1, v62
	s_and_saveexec_b64 s[26:27], vcc
; %bb.117:
	v_cmp_eq_u32_e32 vcc, 0, v74
	v_cndmask_b32_e32 v76, 0, v76, vcc
	v_add_u32_e32 v77, v77, v74
	v_cndmask_b32_e32 v74, 0, v80, vcc
	v_add_co_u32_e32 v78, vcc, v76, v78
	v_addc_co_u32_e32 v79, vcc, v74, v79, vcc
	v_mov_b32_e32 v74, v77
; %bb.118:
	s_or_b64 exec, exec, s[26:27]
	s_nop 0
	v_mov_b32_dpp v77, v74 row_shr:4 row_mask:0xf bank_mask:0xf
	v_mov_b32_dpp v76, v78 row_shr:4 row_mask:0xf bank_mask:0xf
	v_mov_b32_dpp v80, v79 row_shr:4 row_mask:0xf bank_mask:0xf
	v_cmp_lt_u32_e32 vcc, 3, v62
	;; [unrolled: 16-line block ×3, first 2 shown]
	s_and_saveexec_b64 s[26:27], vcc
; %bb.121:
	v_cmp_eq_u32_e32 vcc, 0, v74
	v_cndmask_b32_e32 v76, 0, v76, vcc
	v_add_u32_e32 v62, v77, v74
	v_cndmask_b32_e32 v74, 0, v80, vcc
	v_add_co_u32_e32 v78, vcc, v76, v78
	v_addc_co_u32_e32 v79, vcc, v74, v79, vcc
	v_mov_b32_e32 v74, v62
; %bb.122:
	s_or_b64 exec, exec, s[26:27]
	v_and_b32_e32 v80, 16, v81
	v_mov_b32_dpp v76, v74 row_bcast:15 row_mask:0xf bank_mask:0xf
	v_mov_b32_dpp v62, v78 row_bcast:15 row_mask:0xf bank_mask:0xf
	;; [unrolled: 1-line block ×3, first 2 shown]
	v_cmp_ne_u32_e32 vcc, 0, v80
	s_and_saveexec_b64 s[26:27], vcc
; %bb.123:
	v_cmp_eq_u32_e32 vcc, 0, v74
	v_cndmask_b32_e32 v62, 0, v62, vcc
	v_add_u32_e32 v76, v76, v74
	v_cndmask_b32_e32 v74, 0, v77, vcc
	v_add_co_u32_e32 v78, vcc, v62, v78
	v_addc_co_u32_e32 v79, vcc, v74, v79, vcc
	v_mov_b32_e32 v74, v76
; %bb.124:
	s_or_b64 exec, exec, s[26:27]
	s_nop 0
	v_mov_b32_dpp v76, v74 row_bcast:31 row_mask:0xf bank_mask:0xf
	v_mov_b32_dpp v62, v78 row_bcast:31 row_mask:0xf bank_mask:0xf
	;; [unrolled: 1-line block ×3, first 2 shown]
	v_cmp_lt_u32_e32 vcc, 31, v81
	s_and_saveexec_b64 s[26:27], vcc
; %bb.125:
	v_cmp_eq_u32_e32 vcc, 0, v74
	v_cndmask_b32_e32 v62, 0, v62, vcc
	v_add_u32_e32 v76, v76, v74
	v_cndmask_b32_e32 v74, 0, v77, vcc
	v_add_co_u32_e32 v78, vcc, v62, v78
	v_addc_co_u32_e32 v79, vcc, v74, v79, vcc
	v_mov_b32_e32 v74, v76
; %bb.126:
	s_or_b64 exec, exec, s[26:27]
	v_lshrrev_b32_e32 v62, 6, v0
	v_or_b32_e32 v76, 63, v0
	v_cmp_eq_u32_e32 vcc, v76, v0
	v_lshlrev_b32_e32 v80, 4, v62
	s_and_saveexec_b64 s[26:27], vcc
	s_cbranch_execz .LBB279_128
; %bb.127:
	ds_write_b32 v80, v74 offset:4128
	ds_write_b64 v80, v[78:79] offset:4136
.LBB279_128:
	s_or_b64 exec, exec, s[26:27]
	v_cmp_gt_u32_e32 vcc, 4, v0
	s_waitcnt lgkmcnt(0)
	s_barrier
	s_and_saveexec_b64 s[26:27], vcc
	s_cbranch_execz .LBB279_134
; %bb.129:
	v_lshlrev_b32_e32 v62, 4, v0
	ds_read_b32 v82, v62 offset:4128
	ds_read_b64 v[76:77], v62 offset:4136
	v_and_b32_e32 v83, 3, v81
	v_cmp_ne_u32_e32 vcc, 0, v83
	s_waitcnt lgkmcnt(1)
	v_mov_b32_dpp v85, v82 row_shr:1 row_mask:0xf bank_mask:0xf
	s_waitcnt lgkmcnt(0)
	v_mov_b32_dpp v84, v76 row_shr:1 row_mask:0xf bank_mask:0xf
	v_mov_b32_dpp v86, v77 row_shr:1 row_mask:0xf bank_mask:0xf
	s_and_saveexec_b64 s[42:43], vcc
; %bb.130:
	v_cmp_eq_u32_e32 vcc, 0, v82
	v_cndmask_b32_e32 v84, 0, v84, vcc
	v_add_u32_e32 v85, v85, v82
	v_cndmask_b32_e32 v82, 0, v86, vcc
	v_add_co_u32_e32 v76, vcc, v84, v76
	v_addc_co_u32_e32 v77, vcc, v82, v77, vcc
	v_mov_b32_e32 v82, v85
; %bb.131:
	s_or_b64 exec, exec, s[42:43]
	s_nop 0
	v_mov_b32_dpp v85, v82 row_shr:2 row_mask:0xf bank_mask:0xf
	v_mov_b32_dpp v84, v76 row_shr:2 row_mask:0xf bank_mask:0xf
	;; [unrolled: 1-line block ×3, first 2 shown]
	v_cmp_lt_u32_e32 vcc, 1, v83
	s_and_saveexec_b64 s[42:43], vcc
; %bb.132:
	v_cmp_eq_u32_e32 vcc, 0, v82
	v_cndmask_b32_e32 v84, 0, v84, vcc
	v_add_u32_e32 v83, v85, v82
	v_cndmask_b32_e32 v82, 0, v86, vcc
	v_add_co_u32_e32 v76, vcc, v84, v76
	v_addc_co_u32_e32 v77, vcc, v82, v77, vcc
	v_mov_b32_e32 v82, v83
; %bb.133:
	s_or_b64 exec, exec, s[42:43]
	ds_write_b32 v62, v82 offset:4128
	ds_write_b64 v62, v[76:77] offset:4136
.LBB279_134:
	s_or_b64 exec, exec, s[26:27]
	v_cmp_gt_u32_e32 vcc, 64, v0
	v_cmp_lt_u32_e64 s[26:27], 63, v0
	v_pk_mov_b32 v[76:77], 0, 0
	v_mov_b32_e32 v62, 0
	s_waitcnt lgkmcnt(0)
	s_barrier
	s_and_saveexec_b64 s[42:43], s[26:27]
	s_cbranch_execz .LBB279_136
; %bb.135:
	ds_read_b32 v62, v80 offset:4112
	ds_read_b64 v[76:77], v80 offset:4120
	v_cmp_eq_u32_e64 s[26:27], 0, v74
	s_waitcnt lgkmcnt(1)
	v_add_u32_e32 v80, v62, v74
	s_waitcnt lgkmcnt(0)
	v_cndmask_b32_e64 v82, 0, v76, s[26:27]
	v_cndmask_b32_e64 v74, 0, v77, s[26:27]
	v_add_co_u32_e64 v78, s[26:27], v82, v78
	v_addc_co_u32_e64 v79, s[26:27], v74, v79, s[26:27]
	v_mov_b32_e32 v74, v80
.LBB279_136:
	s_or_b64 exec, exec, s[42:43]
	v_add_u32_e32 v80, -1, v81
	v_and_b32_e32 v82, 64, v81
	v_cmp_lt_i32_e64 s[26:27], v80, v82
	v_cndmask_b32_e64 v80, v80, v81, s[26:27]
	v_lshlrev_b32_e32 v80, 2, v80
	ds_bpermute_b32 v74, v80, v74
	ds_bpermute_b32 v88, v80, v78
	;; [unrolled: 1-line block ×3, first 2 shown]
	v_cmp_eq_u32_e64 s[26:27], 0, v81
	s_and_saveexec_b64 s[42:43], vcc
	s_cbranch_execz .LBB279_179
; %bb.137:
	v_mov_b32_e32 v83, 0
	ds_read_b32 v90, v83 offset:4176
	ds_read_b64 v[78:79], v83 offset:4184
	s_and_saveexec_b64 s[48:49], s[26:27]
	s_cbranch_execz .LBB279_139
; %bb.138:
	s_add_i32 s52, s6, 64
	s_mov_b32 s53, 0
	s_lshl_b64 s[54:55], s[52:53], 4
	s_add_u32 s54, s36, s54
	s_addc_u32 s55, s37, s55
	v_mov_b32_e32 v80, s52
	v_mov_b32_e32 v82, 1
	s_waitcnt lgkmcnt(1)
	global_store_dword v83, v90, s[54:55]
	s_waitcnt lgkmcnt(0)
	global_store_dwordx2 v83, v[78:79], s[54:55] offset:8
	s_waitcnt vmcnt(0)
	buffer_wbinvl1_vol
	global_store_byte v80, v82, s[40:41]
.LBB279_139:
	s_or_b64 exec, exec, s[48:49]
	v_xad_u32 v80, v81, -1, s6
	v_add_u32_e32 v82, 64, v80
	global_load_ubyte v91, v82, s[40:41] glc
	s_waitcnt vmcnt(0)
	v_cmp_eq_u16_e32 vcc, 0, v91
	s_and_saveexec_b64 s[48:49], vcc
	s_cbranch_execz .LBB279_143
; %bb.140:
	v_mov_b32_e32 v85, s41
	v_add_co_u32_e32 v84, vcc, s40, v82
	v_addc_co_u32_e32 v85, vcc, 0, v85, vcc
	s_mov_b64 s[52:53], 0
.LBB279_141:                            ; =>This Inner Loop Header: Depth=1
	global_load_ubyte v91, v[84:85], off glc
	s_waitcnt vmcnt(0)
	v_cmp_ne_u16_e32 vcc, 0, v91
	s_or_b64 s[52:53], vcc, s[52:53]
	s_andn2_b64 exec, exec, s[52:53]
	s_cbranch_execnz .LBB279_141
; %bb.142:
	s_or_b64 exec, exec, s[52:53]
.LBB279_143:
	s_or_b64 exec, exec, s[48:49]
	v_mov_b32_e32 v84, s39
	v_mov_b32_e32 v85, s37
	v_cmp_eq_u16_e32 vcc, 1, v91
	v_cndmask_b32_e32 v84, v84, v85, vcc
	v_mov_b32_e32 v85, s38
	v_mov_b32_e32 v86, s36
	v_cndmask_b32_e32 v85, v85, v86, vcc
	v_lshlrev_b64 v[82:83], 4, v[82:83]
	v_add_co_u32_e32 v82, vcc, v85, v82
	v_addc_co_u32_e32 v83, vcc, v84, v83, vcc
	s_waitcnt lgkmcnt(0)
	buffer_wbinvl1_vol
	global_load_dword v106, v[82:83], off
	global_load_dwordx2 v[86:87], v[82:83], off offset:8
	v_cmp_eq_u16_e32 vcc, 2, v91
	v_lshlrev_b64 v[82:83], v81, -1
	v_and_b32_e32 v92, 63, v81
	v_and_b32_e32 v84, vcc_hi, v83
	v_and_b32_e32 v96, vcc_lo, v82
	v_cmp_ne_u32_e32 vcc, 63, v92
	v_addc_co_u32_e32 v85, vcc, 0, v81, vcc
	v_lshlrev_b32_e32 v93, 2, v85
	v_or_b32_e32 v84, 0x80000000, v84
	v_ffbl_b32_e32 v84, v84
	v_add_u32_e32 v84, 32, v84
	v_ffbl_b32_e32 v96, v96
	v_min_u32_e32 v84, v96, v84
	v_cmp_lt_u32_e32 vcc, v92, v84
	s_waitcnt vmcnt(1)
	ds_bpermute_b32 v94, v93, v106
	s_waitcnt vmcnt(0)
	ds_bpermute_b32 v85, v93, v86
	ds_bpermute_b32 v95, v93, v87
	s_and_saveexec_b64 s[48:49], vcc
	s_cbranch_execz .LBB279_145
; %bb.144:
	v_cmp_eq_u32_e32 vcc, 0, v106
	s_waitcnt lgkmcnt(1)
	v_cndmask_b32_e32 v85, 0, v85, vcc
	v_add_u32_e32 v94, v94, v106
	s_waitcnt lgkmcnt(0)
	v_cndmask_b32_e32 v95, 0, v95, vcc
	v_add_co_u32_e32 v86, vcc, v85, v86
	v_addc_co_u32_e32 v87, vcc, v95, v87, vcc
	v_mov_b32_e32 v106, v94
.LBB279_145:
	s_or_b64 exec, exec, s[48:49]
	v_cmp_gt_u32_e32 vcc, 62, v92
	s_waitcnt lgkmcnt(1)
	v_cndmask_b32_e64 v85, 0, 1, vcc
	v_lshlrev_b32_e32 v85, 1, v85
	v_add_lshl_u32 v94, v85, v81, 2
	ds_bpermute_b32 v96, v94, v106
	ds_bpermute_b32 v85, v94, v86
	ds_bpermute_b32 v97, v94, v87
	s_waitcnt lgkmcnt(3)
	v_add_u32_e32 v95, 2, v92
	v_cmp_le_u32_e32 vcc, v95, v84
	s_and_saveexec_b64 s[48:49], vcc
	s_cbranch_execz .LBB279_147
; %bb.146:
	v_cmp_eq_u32_e32 vcc, 0, v106
	s_waitcnt lgkmcnt(1)
	v_cndmask_b32_e32 v85, 0, v85, vcc
	v_add_u32_e32 v96, v96, v106
	s_waitcnt lgkmcnt(0)
	v_cndmask_b32_e32 v97, 0, v97, vcc
	v_add_co_u32_e32 v86, vcc, v85, v86
	v_addc_co_u32_e32 v87, vcc, v97, v87, vcc
	v_mov_b32_e32 v106, v96
.LBB279_147:
	s_or_b64 exec, exec, s[48:49]
	v_cmp_gt_u32_e32 vcc, 60, v92
	s_waitcnt lgkmcnt(1)
	v_cndmask_b32_e64 v85, 0, 1, vcc
	v_lshlrev_b32_e32 v85, 2, v85
	v_add_lshl_u32 v96, v85, v81, 2
	ds_bpermute_b32 v98, v96, v106
	ds_bpermute_b32 v85, v96, v86
	ds_bpermute_b32 v99, v96, v87
	s_waitcnt lgkmcnt(3)
	v_add_u32_e32 v97, 4, v92
	v_cmp_le_u32_e32 vcc, v97, v84
	;; [unrolled: 25-line block ×4, first 2 shown]
	s_and_saveexec_b64 s[48:49], vcc
	s_cbranch_execz .LBB279_153
; %bb.152:
	v_cmp_eq_u32_e32 vcc, 0, v106
	s_waitcnt lgkmcnt(1)
	v_cndmask_b32_e32 v85, 0, v85, vcc
	v_add_u32_e32 v102, v102, v106
	s_waitcnt lgkmcnt(0)
	v_cndmask_b32_e32 v103, 0, v103, vcc
	v_add_co_u32_e32 v86, vcc, v85, v86
	v_addc_co_u32_e32 v87, vcc, v103, v87, vcc
	v_mov_b32_e32 v106, v102
.LBB279_153:
	s_or_b64 exec, exec, s[48:49]
	v_cmp_gt_u32_e32 vcc, 32, v92
	s_waitcnt lgkmcnt(1)
	v_cndmask_b32_e64 v85, 0, 1, vcc
	v_lshlrev_b32_e32 v85, 5, v85
	v_add_lshl_u32 v102, v85, v81, 2
	ds_bpermute_b32 v85, v102, v106
	ds_bpermute_b32 v81, v102, v86
	s_waitcnt lgkmcnt(2)
	ds_bpermute_b32 v103, v102, v87
	v_add_u32_e32 v104, 32, v92
	v_cmp_le_u32_e32 vcc, v104, v84
	s_and_saveexec_b64 s[48:49], vcc
	s_cbranch_execz .LBB279_155
; %bb.154:
	v_cmp_eq_u32_e32 vcc, 0, v106
	s_waitcnt lgkmcnt(1)
	v_cndmask_b32_e32 v81, 0, v81, vcc
	v_add_u32_e32 v84, v85, v106
	s_waitcnt lgkmcnt(0)
	v_cndmask_b32_e32 v85, 0, v103, vcc
	v_add_co_u32_e32 v86, vcc, v81, v86
	v_addc_co_u32_e32 v87, vcc, v85, v87, vcc
	v_mov_b32_e32 v106, v84
.LBB279_155:
	s_or_b64 exec, exec, s[48:49]
	s_waitcnt lgkmcnt(1)
	v_mov_b32_e32 v81, 0
	v_mov_b32_e32 v105, 2
	s_branch .LBB279_157
.LBB279_156:                            ;   in Loop: Header=BB279_157 Depth=1
	s_or_b64 exec, exec, s[48:49]
	v_cmp_eq_u32_e32 vcc, 0, v103
	v_cndmask_b32_e32 v86, 0, v86, vcc
	v_cndmask_b32_e32 v87, 0, v87, vcc
	v_add_co_u32_e32 v86, vcc, v86, v84
	v_subrev_u32_e32 v80, 64, v80
	v_add_u32_e32 v106, v107, v103
	v_addc_co_u32_e32 v87, vcc, v87, v85, vcc
.LBB279_157:                            ; =>This Loop Header: Depth=1
                                        ;     Child Loop BB279_160 Depth 2
	v_cmp_ne_u16_sdwa s[48:49], v91, v105 src0_sel:BYTE_0 src1_sel:DWORD
	v_pk_mov_b32 v[84:85], v[86:87], v[86:87] op_sel:[0,1]
	v_cndmask_b32_e64 v86, 0, 1, s[48:49]
	;;#ASMSTART
	;;#ASMEND
	v_cmp_ne_u32_e32 vcc, 0, v86
	s_cmp_lg_u64 vcc, exec
	s_waitcnt lgkmcnt(0)
	v_mov_b32_e32 v103, v106
	s_cbranch_scc1 .LBB279_174
; %bb.158:                              ;   in Loop: Header=BB279_157 Depth=1
	global_load_ubyte v91, v80, s[40:41] glc
	s_waitcnt vmcnt(0)
	v_cmp_eq_u16_e32 vcc, 0, v91
	s_and_saveexec_b64 s[48:49], vcc
	s_cbranch_execz .LBB279_162
; %bb.159:                              ;   in Loop: Header=BB279_157 Depth=1
	v_mov_b32_e32 v87, s41
	v_add_co_u32_e32 v86, vcc, s40, v80
	v_addc_co_u32_e32 v87, vcc, 0, v87, vcc
	s_mov_b64 s[52:53], 0
.LBB279_160:                            ;   Parent Loop BB279_157 Depth=1
                                        ; =>  This Inner Loop Header: Depth=2
	global_load_ubyte v91, v[86:87], off glc
	s_waitcnt vmcnt(0)
	v_cmp_ne_u16_e32 vcc, 0, v91
	s_or_b64 s[52:53], vcc, s[52:53]
	s_andn2_b64 exec, exec, s[52:53]
	s_cbranch_execnz .LBB279_160
; %bb.161:                              ;   in Loop: Header=BB279_157 Depth=1
	s_or_b64 exec, exec, s[52:53]
.LBB279_162:                            ;   in Loop: Header=BB279_157 Depth=1
	s_or_b64 exec, exec, s[48:49]
	v_mov_b32_e32 v86, s39
	v_mov_b32_e32 v87, s37
	v_cmp_eq_u16_e32 vcc, 1, v91
	v_cndmask_b32_e32 v106, v86, v87, vcc
	v_mov_b32_e32 v86, s38
	v_mov_b32_e32 v87, s36
	v_cndmask_b32_e32 v107, v86, v87, vcc
	v_lshlrev_b64 v[86:87], 4, v[80:81]
	v_add_co_u32_e32 v86, vcc, v107, v86
	v_addc_co_u32_e32 v87, vcc, v106, v87, vcc
	buffer_wbinvl1_vol
	global_load_dword v107, v[86:87], off
	s_nop 0
	global_load_dwordx2 v[86:87], v[86:87], off offset:8
	v_cmp_eq_u16_e32 vcc, 2, v91
	v_and_b32_e32 v106, vcc_hi, v83
	v_or_b32_e32 v106, 0x80000000, v106
	v_and_b32_e32 v115, vcc_lo, v82
	v_ffbl_b32_e32 v106, v106
	v_add_u32_e32 v106, 32, v106
	v_ffbl_b32_e32 v115, v115
	v_min_u32_e32 v106, v115, v106
	v_cmp_lt_u32_e32 vcc, v92, v106
	s_waitcnt vmcnt(1)
	ds_bpermute_b32 v109, v93, v107
	s_waitcnt vmcnt(0)
	ds_bpermute_b32 v108, v93, v86
	ds_bpermute_b32 v114, v93, v87
	s_and_saveexec_b64 s[48:49], vcc
	s_cbranch_execz .LBB279_164
; %bb.163:                              ;   in Loop: Header=BB279_157 Depth=1
	v_cmp_eq_u32_e32 vcc, 0, v107
	s_waitcnt lgkmcnt(1)
	v_cndmask_b32_e32 v108, 0, v108, vcc
	v_add_u32_e32 v109, v109, v107
	s_waitcnt lgkmcnt(0)
	v_cndmask_b32_e32 v107, 0, v114, vcc
	v_add_co_u32_e32 v86, vcc, v108, v86
	v_addc_co_u32_e32 v87, vcc, v107, v87, vcc
	v_mov_b32_e32 v107, v109
.LBB279_164:                            ;   in Loop: Header=BB279_157 Depth=1
	s_or_b64 exec, exec, s[48:49]
	s_waitcnt lgkmcnt(2)
	ds_bpermute_b32 v109, v94, v107
	s_waitcnt lgkmcnt(2)
	ds_bpermute_b32 v108, v94, v86
	s_waitcnt lgkmcnt(2)
	ds_bpermute_b32 v114, v94, v87
	v_cmp_le_u32_e32 vcc, v95, v106
	s_and_saveexec_b64 s[48:49], vcc
	s_cbranch_execz .LBB279_166
; %bb.165:                              ;   in Loop: Header=BB279_157 Depth=1
	v_cmp_eq_u32_e32 vcc, 0, v107
	s_waitcnt lgkmcnt(1)
	v_cndmask_b32_e32 v108, 0, v108, vcc
	v_add_u32_e32 v109, v109, v107
	s_waitcnt lgkmcnt(0)
	v_cndmask_b32_e32 v107, 0, v114, vcc
	v_add_co_u32_e32 v86, vcc, v108, v86
	v_addc_co_u32_e32 v87, vcc, v107, v87, vcc
	v_mov_b32_e32 v107, v109
.LBB279_166:                            ;   in Loop: Header=BB279_157 Depth=1
	s_or_b64 exec, exec, s[48:49]
	s_waitcnt lgkmcnt(2)
	ds_bpermute_b32 v109, v96, v107
	s_waitcnt lgkmcnt(2)
	ds_bpermute_b32 v108, v96, v86
	s_waitcnt lgkmcnt(2)
	ds_bpermute_b32 v114, v96, v87
	v_cmp_le_u32_e32 vcc, v97, v106
	;; [unrolled: 21-line block ×5, first 2 shown]
	s_and_saveexec_b64 s[48:49], vcc
	s_cbranch_execz .LBB279_156
; %bb.173:                              ;   in Loop: Header=BB279_157 Depth=1
	v_cmp_eq_u32_e32 vcc, 0, v107
	s_waitcnt lgkmcnt(1)
	v_cndmask_b32_e32 v108, 0, v108, vcc
	v_add_u32_e32 v106, v109, v107
	s_waitcnt lgkmcnt(0)
	v_cndmask_b32_e32 v107, 0, v114, vcc
	v_add_co_u32_e32 v86, vcc, v108, v86
	v_addc_co_u32_e32 v87, vcc, v107, v87, vcc
	v_mov_b32_e32 v107, v106
	s_branch .LBB279_156
.LBB279_174:                            ;   in Loop: Header=BB279_157 Depth=1
                                        ; implicit-def: $vgpr86_vgpr87
                                        ; implicit-def: $vgpr106
                                        ; implicit-def: $vgpr91
	s_cbranch_execz .LBB279_157
; %bb.175:
	s_and_saveexec_b64 s[36:37], s[26:27]
	s_cbranch_execz .LBB279_177
; %bb.176:
	s_mov_b32 s7, 0
	v_cmp_eq_u32_e32 vcc, 0, v90
	s_add_i32 s6, s6, 64
	v_cndmask_b32_e32 v80, 0, v84, vcc
	s_lshl_b64 s[48:49], s[6:7], 4
	v_cndmask_b32_e32 v81, 0, v85, vcc
	v_add_co_u32_e32 v80, vcc, v80, v78
	s_add_u32 s48, s38, s48
	v_add_u32_e32 v82, v103, v90
	v_addc_co_u32_e32 v81, vcc, v81, v79, vcc
	s_addc_u32 s49, s39, s49
	v_mov_b32_e32 v83, 0
	global_store_dword v83, v82, s[48:49]
	global_store_dwordx2 v83, v[80:81], s[48:49] offset:8
	v_mov_b32_e32 v80, s6
	v_mov_b32_e32 v81, 2
	s_waitcnt vmcnt(0) lgkmcnt(0)
	buffer_wbinvl1_vol
	global_store_byte v80, v81, s[40:41]
	ds_write_b32 v83, v90 offset:4096
	ds_write_b64 v83, v[78:79] offset:4104
	ds_write_b32 v83, v103 offset:4112
	ds_write_b64 v83, v[84:85] offset:4120
.LBB279_177:
	s_or_b64 exec, exec, s[36:37]
	v_cmp_eq_u32_e32 vcc, 0, v0
	s_and_b64 exec, exec, vcc
	s_cbranch_execz .LBB279_179
; %bb.178:
	v_mov_b32_e32 v78, 0
	ds_write_b32 v78, v103 offset:4176
	ds_write_b64 v78, v[84:85] offset:4184
.LBB279_179:
	s_or_b64 exec, exec, s[42:43]
	v_mov_b32_e32 v106, 0
	s_waitcnt lgkmcnt(0)
	s_barrier
	ds_read_b32 v80, v106 offset:4176
	ds_read_b64 v[78:79], v106 offset:4184
	v_cndmask_b32_e64 v62, v74, v62, s[26:27]
	v_cmp_eq_u32_e32 vcc, 0, v62
	v_cndmask_b32_e64 v76, v88, v76, s[26:27]
	v_cndmask_b32_e64 v77, v89, v77, s[26:27]
	s_waitcnt lgkmcnt(0)
	v_cndmask_b32_e32 v81, 0, v78, vcc
	v_cndmask_b32_e32 v74, 0, v79, vcc
	v_add_co_u32_e32 v76, vcc, v81, v76
	v_addc_co_u32_e32 v77, vcc, v74, v77, vcc
	v_cmp_eq_u32_e32 vcc, 0, v0
	v_cndmask_b32_e64 v62, v62, 0, vcc
	v_cndmask_b32_e32 v105, v77, v79, vcc
	v_cndmask_b32_e32 v104, v76, v78, vcc
	v_cmp_eq_u32_e32 vcc, 0, v68
	v_cndmask_b32_e32 v76, 0, v104, vcc
	v_add_u32_e32 v74, v80, v62
	v_cndmask_b32_e32 v62, 0, v105, vcc
	v_add_co_u32_e32 v80, vcc, v76, v50
	v_addc_co_u32_e32 v81, vcc, v62, v51, vcc
	v_cndmask_b32_e64 v76, 0, v80, s[24:25]
	v_cndmask_b32_e64 v62, 0, v81, s[24:25]
	v_add_co_u32_e32 v82, vcc, v76, v54
	v_addc_co_u32_e32 v83, vcc, v62, v55, vcc
	v_cndmask_b32_e64 v76, 0, v82, s[22:23]
	v_cndmask_b32_e64 v62, 0, v83, s[22:23]
	;; [unrolled: 4-line block ×11, first 2 shown]
	v_add_co_u32_e32 v102, vcc, v76, v36
	v_addc_co_u32_e32 v103, vcc, v62, v37, vcc
	s_barrier
	ds_read_b32 v62, v106 offset:4096
	ds_read_b64 v[76:77], v106 offset:4104
	ds_read_b32 v78, v106 offset:4112
	ds_read_b64 v[114:115], v106 offset:4120
	v_cndmask_b32_e64 v107, 0, v102, s[2:3]
	v_cndmask_b32_e64 v79, 0, v103, s[2:3]
	v_add_co_u32_e32 v106, vcc, v107, v30
	v_addc_co_u32_e32 v107, vcc, v79, v31, vcc
	s_waitcnt lgkmcnt(3)
	v_cmp_eq_u32_e32 vcc, 0, v62
	s_waitcnt lgkmcnt(0)
	v_cndmask_b32_e32 v114, 0, v114, vcc
	v_cndmask_b32_e32 v79, 0, v115, vcc
	v_add_co_u32_e32 v76, vcc, v114, v76
	v_cndmask_b32_e64 v109, 0, v107, s[0:1]
	v_cndmask_b32_e64 v108, 0, v106, s[0:1]
	v_addc_co_u32_e32 v77, vcc, v79, v77, vcc
	s_branch .LBB279_208
.LBB279_180:
                                        ; implicit-def: $vgpr62
                                        ; implicit-def: $vgpr76_vgpr77
                                        ; implicit-def: $vgpr78
                                        ; implicit-def: $vgpr104_vgpr105
                                        ; implicit-def: $vgpr80_vgpr81
                                        ; implicit-def: $vgpr82_vgpr83
                                        ; implicit-def: $vgpr84_vgpr85
                                        ; implicit-def: $vgpr86_vgpr87
                                        ; implicit-def: $vgpr88_vgpr89
                                        ; implicit-def: $vgpr90_vgpr91
                                        ; implicit-def: $vgpr92_vgpr93
                                        ; implicit-def: $vgpr94_vgpr95
                                        ; implicit-def: $vgpr96_vgpr97
                                        ; implicit-def: $vgpr98_vgpr99
                                        ; implicit-def: $vgpr100_vgpr101
                                        ; implicit-def: $vgpr102_vgpr103
                                        ; implicit-def: $vgpr106_vgpr107
                                        ; implicit-def: $vgpr108_vgpr109
                                        ; implicit-def: $vgpr74
	s_cbranch_execz .LBB279_208
; %bb.181:
	s_and_b64 s[0:1], s[30:31], exec
	s_cselect_b32 s1, 0, s47
	s_cselect_b32 s0, 0, s46
	s_cmp_eq_u64 s[0:1], 0
	v_pk_mov_b32 v[78:79], v[50:51], v[50:51] op_sel:[0,1]
	s_cbranch_scc1 .LBB279_183
; %bb.182:
	v_mov_b32_e32 v62, 0
	global_load_dwordx2 v[78:79], v62, s[0:1]
.LBB279_183:
	v_cmp_eq_u32_e64 s[22:23], 0, v75
	v_cndmask_b32_e64 v74, 0, v50, s[22:23]
	v_cndmask_b32_e64 v62, 0, v51, s[22:23]
	v_add_co_u32_e32 v74, vcc, v74, v54
	v_cmp_eq_u32_e64 s[20:21], 0, v72
	v_addc_co_u32_e32 v62, vcc, v62, v55, vcc
	v_cndmask_b32_e64 v74, 0, v74, s[20:21]
	v_cndmask_b32_e64 v62, 0, v62, s[20:21]
	v_add_co_u32_e32 v74, vcc, v74, v52
	v_cmp_eq_u32_e64 s[18:19], 0, v73
	v_addc_co_u32_e32 v62, vcc, v62, v53, vcc
	;; [unrolled: 5-line block ×11, first 2 shown]
	v_cndmask_b32_e64 v74, 0, v74, s[2:3]
	v_cndmask_b32_e64 v62, 0, v62, s[2:3]
	v_add_co_u32_e32 v74, vcc, v74, v30
	v_addc_co_u32_e32 v62, vcc, v62, v31, vcc
	v_cmp_eq_u32_e32 vcc, 0, v69
	v_add3_u32 v76, v113, v71, v66
	v_cndmask_b32_e32 v74, 0, v74, vcc
	v_add3_u32 v76, v76, v67, v64
	v_cndmask_b32_e32 v62, 0, v62, vcc
	v_add_co_u32_e64 v77, s[24:25], v74, v60
	v_add3_u32 v76, v76, v65, v111
	v_addc_co_u32_e64 v62, s[24:25], v62, v61, s[24:25]
	v_add3_u32 v76, v76, v63, v110
	v_cmp_eq_u32_e64 s[24:25], 0, v1
	v_add3_u32 v74, v76, v69, v1
	v_cndmask_b32_e64 v76, 0, v77, s[24:25]
	v_cndmask_b32_e64 v62, 0, v62, s[24:25]
	v_add_co_u32_e64 v32, s[24:25], v76, v32
	v_addc_co_u32_e64 v33, s[24:25], v62, v33, s[24:25]
	v_mbcnt_hi_u32_b32 v62, -1, v112
	v_and_b32_e32 v76, 15, v62
	s_waitcnt vmcnt(0) lgkmcnt(0)
	v_mov_b32_dpp v80, v74 row_shr:1 row_mask:0xf bank_mask:0xf
	v_mov_b32_dpp v77, v32 row_shr:1 row_mask:0xf bank_mask:0xf
	;; [unrolled: 1-line block ×3, first 2 shown]
	v_cmp_ne_u32_e64 s[24:25], 0, v76
	s_and_saveexec_b64 s[26:27], s[24:25]
; %bb.184:
	v_cmp_eq_u32_e64 s[24:25], 0, v74
	v_cndmask_b32_e64 v77, 0, v77, s[24:25]
	v_add_u32_e32 v80, v80, v74
	v_cndmask_b32_e64 v74, 0, v81, s[24:25]
	v_add_co_u32_e64 v32, s[24:25], v77, v32
	v_addc_co_u32_e64 v33, s[24:25], v74, v33, s[24:25]
	v_mov_b32_e32 v74, v80
; %bb.185:
	s_or_b64 exec, exec, s[26:27]
	s_nop 0
	v_mov_b32_dpp v80, v74 row_shr:2 row_mask:0xf bank_mask:0xf
	v_mov_b32_dpp v77, v32 row_shr:2 row_mask:0xf bank_mask:0xf
	v_mov_b32_dpp v81, v33 row_shr:2 row_mask:0xf bank_mask:0xf
	v_cmp_lt_u32_e64 s[24:25], 1, v76
	s_and_saveexec_b64 s[26:27], s[24:25]
; %bb.186:
	v_cmp_eq_u32_e64 s[24:25], 0, v74
	v_cndmask_b32_e64 v77, 0, v77, s[24:25]
	v_add_u32_e32 v80, v80, v74
	v_cndmask_b32_e64 v74, 0, v81, s[24:25]
	v_add_co_u32_e64 v32, s[24:25], v77, v32
	v_addc_co_u32_e64 v33, s[24:25], v74, v33, s[24:25]
	v_mov_b32_e32 v74, v80
; %bb.187:
	s_or_b64 exec, exec, s[26:27]
	s_nop 0
	v_mov_b32_dpp v80, v74 row_shr:4 row_mask:0xf bank_mask:0xf
	v_mov_b32_dpp v77, v32 row_shr:4 row_mask:0xf bank_mask:0xf
	v_mov_b32_dpp v81, v33 row_shr:4 row_mask:0xf bank_mask:0xf
	v_cmp_lt_u32_e64 s[24:25], 3, v76
	;; [unrolled: 16-line block ×3, first 2 shown]
	s_and_saveexec_b64 s[26:27], s[24:25]
; %bb.190:
	v_cmp_eq_u32_e64 s[24:25], 0, v74
	v_cndmask_b32_e64 v77, 0, v77, s[24:25]
	v_add_u32_e32 v76, v80, v74
	v_cndmask_b32_e64 v74, 0, v81, s[24:25]
	v_add_co_u32_e64 v32, s[24:25], v77, v32
	v_addc_co_u32_e64 v33, s[24:25], v74, v33, s[24:25]
	v_mov_b32_e32 v74, v76
; %bb.191:
	s_or_b64 exec, exec, s[26:27]
	v_and_b32_e32 v81, 16, v62
	v_mov_b32_dpp v77, v74 row_bcast:15 row_mask:0xf bank_mask:0xf
	v_mov_b32_dpp v76, v32 row_bcast:15 row_mask:0xf bank_mask:0xf
	;; [unrolled: 1-line block ×3, first 2 shown]
	v_cmp_ne_u32_e64 s[24:25], 0, v81
	s_and_saveexec_b64 s[26:27], s[24:25]
; %bb.192:
	v_cmp_eq_u32_e64 s[24:25], 0, v74
	v_cndmask_b32_e64 v76, 0, v76, s[24:25]
	v_add_u32_e32 v77, v77, v74
	v_cndmask_b32_e64 v74, 0, v80, s[24:25]
	v_add_co_u32_e64 v32, s[24:25], v76, v32
	v_addc_co_u32_e64 v33, s[24:25], v74, v33, s[24:25]
	v_mov_b32_e32 v74, v77
; %bb.193:
	s_or_b64 exec, exec, s[26:27]
	s_nop 0
	v_mov_b32_dpp v77, v74 row_bcast:31 row_mask:0xf bank_mask:0xf
	v_mov_b32_dpp v76, v32 row_bcast:31 row_mask:0xf bank_mask:0xf
	;; [unrolled: 1-line block ×3, first 2 shown]
	v_cmp_lt_u32_e64 s[24:25], 31, v62
	s_and_saveexec_b64 s[26:27], s[24:25]
; %bb.194:
	v_cmp_eq_u32_e64 s[24:25], 0, v74
	v_cndmask_b32_e64 v76, 0, v76, s[24:25]
	v_add_u32_e32 v77, v77, v74
	v_cndmask_b32_e64 v74, 0, v80, s[24:25]
	v_add_co_u32_e64 v32, s[24:25], v76, v32
	v_addc_co_u32_e64 v33, s[24:25], v74, v33, s[24:25]
	v_mov_b32_e32 v74, v77
; %bb.195:
	s_or_b64 exec, exec, s[26:27]
	v_lshrrev_b32_e32 v76, 6, v0
	v_or_b32_e32 v77, 63, v0
	v_cmp_eq_u32_e64 s[24:25], v77, v0
	v_lshlrev_b32_e32 v80, 4, v76
	s_and_saveexec_b64 s[26:27], s[24:25]
	s_cbranch_execz .LBB279_197
; %bb.196:
	ds_write_b32 v80, v74 offset:4128
	ds_write_b64 v80, v[32:33] offset:4136
.LBB279_197:
	s_or_b64 exec, exec, s[26:27]
	v_cmp_gt_u32_e64 s[24:25], 4, v0
	s_waitcnt lgkmcnt(0)
	s_barrier
	s_and_saveexec_b64 s[26:27], s[24:25]
	s_cbranch_execz .LBB279_203
; %bb.198:
	v_lshlrev_b32_e32 v81, 4, v0
	ds_read_b32 v82, v81 offset:4128
	ds_read_b64 v[76:77], v81 offset:4136
	v_and_b32_e32 v83, 3, v62
	v_cmp_ne_u32_e64 s[24:25], 0, v83
	s_waitcnt lgkmcnt(1)
	v_mov_b32_dpp v85, v82 row_shr:1 row_mask:0xf bank_mask:0xf
	s_waitcnt lgkmcnt(0)
	v_mov_b32_dpp v84, v76 row_shr:1 row_mask:0xf bank_mask:0xf
	v_mov_b32_dpp v86, v77 row_shr:1 row_mask:0xf bank_mask:0xf
	s_and_saveexec_b64 s[28:29], s[24:25]
; %bb.199:
	v_cmp_eq_u32_e64 s[24:25], 0, v82
	v_cndmask_b32_e64 v84, 0, v84, s[24:25]
	v_add_u32_e32 v85, v85, v82
	v_cndmask_b32_e64 v82, 0, v86, s[24:25]
	v_add_co_u32_e64 v76, s[24:25], v84, v76
	v_addc_co_u32_e64 v77, s[24:25], v82, v77, s[24:25]
	v_mov_b32_e32 v82, v85
; %bb.200:
	s_or_b64 exec, exec, s[28:29]
	s_nop 0
	v_mov_b32_dpp v85, v82 row_shr:2 row_mask:0xf bank_mask:0xf
	v_mov_b32_dpp v84, v76 row_shr:2 row_mask:0xf bank_mask:0xf
	;; [unrolled: 1-line block ×3, first 2 shown]
	v_cmp_lt_u32_e64 s[24:25], 1, v83
	s_and_saveexec_b64 s[28:29], s[24:25]
; %bb.201:
	v_cmp_eq_u32_e64 s[24:25], 0, v82
	v_cndmask_b32_e64 v84, 0, v84, s[24:25]
	v_add_u32_e32 v83, v85, v82
	v_cndmask_b32_e64 v82, 0, v86, s[24:25]
	v_add_co_u32_e64 v76, s[24:25], v84, v76
	v_addc_co_u32_e64 v77, s[24:25], v82, v77, s[24:25]
	v_mov_b32_e32 v82, v83
; %bb.202:
	s_or_b64 exec, exec, s[28:29]
	ds_write_b32 v81, v82 offset:4128
	ds_write_b64 v81, v[76:77] offset:4136
.LBB279_203:
	s_or_b64 exec, exec, s[26:27]
	v_cmp_lt_u32_e64 s[24:25], 63, v0
	v_mov_b32_e32 v112, 0
	v_mov_b32_e32 v81, 0
	v_pk_mov_b32 v[76:77], v[78:79], v[78:79] op_sel:[0,1]
	s_waitcnt lgkmcnt(0)
	s_barrier
	s_and_saveexec_b64 s[26:27], s[24:25]
	s_cbranch_execz .LBB279_205
; %bb.204:
	ds_read_b32 v81, v80 offset:4112
	ds_read_b64 v[76:77], v80 offset:4120
	s_waitcnt lgkmcnt(1)
	v_cmp_eq_u32_e64 s[24:25], 0, v81
	v_cndmask_b32_e64 v82, 0, v78, s[24:25]
	v_cndmask_b32_e64 v80, 0, v79, s[24:25]
	s_waitcnt lgkmcnt(0)
	v_add_co_u32_e64 v76, s[24:25], v82, v76
	v_addc_co_u32_e64 v77, s[24:25], v80, v77, s[24:25]
.LBB279_205:
	s_or_b64 exec, exec, s[26:27]
	v_cmp_eq_u32_e64 s[24:25], 0, v74
	v_cndmask_b32_e64 v82, 0, v76, s[24:25]
	v_add_u32_e32 v80, v81, v74
	v_cndmask_b32_e64 v74, 0, v77, s[24:25]
	v_add_co_u32_e64 v32, s[24:25], v82, v32
	v_addc_co_u32_e64 v33, s[24:25], v74, v33, s[24:25]
	v_add_u32_e32 v74, -1, v62
	v_and_b32_e32 v82, 64, v62
	v_cmp_lt_i32_e64 s[24:25], v74, v82
	v_cndmask_b32_e64 v74, v74, v62, s[24:25]
	v_lshlrev_b32_e32 v74, 2, v74
	ds_bpermute_b32 v80, v74, v80
	ds_bpermute_b32 v33, v74, v33
	;; [unrolled: 1-line block ×3, first 2 shown]
	v_cmp_eq_u32_e64 s[24:25], 0, v62
	v_cmp_eq_u32_e64 s[26:27], 0, v68
	s_waitcnt lgkmcnt(2)
	v_cndmask_b32_e64 v74, v80, v81, s[24:25]
	s_waitcnt lgkmcnt(1)
	v_cndmask_b32_e64 v105, v33, v77, s[24:25]
	;; [unrolled: 2-line block ×3, first 2 shown]
	v_cmp_eq_u32_e64 s[24:25], 0, v0
	v_cndmask_b32_e64 v32, v104, v78, s[24:25]
	v_cndmask_b32_e64 v33, v105, v79, s[24:25]
	;; [unrolled: 1-line block ×4, first 2 shown]
	v_add_co_u32_e64 v80, s[26:27], v32, v50
	v_addc_co_u32_e64 v81, s[26:27], v33, v51, s[26:27]
	v_cndmask_b32_e64 v33, 0, v80, s[22:23]
	v_cndmask_b32_e64 v32, 0, v81, s[22:23]
	v_add_co_u32_e64 v82, s[22:23], v33, v54
	v_addc_co_u32_e64 v83, s[22:23], v32, v55, s[22:23]
	v_cndmask_b32_e64 v33, 0, v82, s[20:21]
	v_cndmask_b32_e64 v32, 0, v83, s[20:21]
	;; [unrolled: 4-line block ×11, first 2 shown]
	v_add_co_u32_e64 v102, s[0:1], v33, v36
	v_addc_co_u32_e64 v103, s[0:1], v32, v37, s[0:1]
	v_cndmask_b32_e64 v33, 0, v102, s[2:3]
	ds_read_b32 v62, v112 offset:4176
	v_cndmask_b32_e64 v32, 0, v103, s[2:3]
	v_add_co_u32_e64 v106, s[0:1], v33, v30
	v_addc_co_u32_e64 v107, s[0:1], v32, v31, s[0:1]
	ds_read_b64 v[30:31], v112 offset:4184
	v_cndmask_b32_e32 v109, 0, v107, vcc
	v_cndmask_b32_e32 v108, 0, v106, vcc
	s_waitcnt lgkmcnt(1)
	v_cmp_eq_u32_e32 vcc, 0, v62
	v_cndmask_b32_e32 v33, 0, v78, vcc
	v_cndmask_b32_e32 v32, 0, v79, vcc
	s_waitcnt lgkmcnt(0)
	v_add_co_u32_e32 v76, vcc, v33, v30
	v_addc_co_u32_e32 v77, vcc, v32, v31, vcc
	s_and_saveexec_b64 s[0:1], s[24:25]
	s_cbranch_execz .LBB279_207
; %bb.206:
	v_mov_b32_e32 v74, 0
	v_mov_b32_e32 v30, 2
	v_pk_mov_b32 v[104:105], v[78:79], v[78:79] op_sel:[0,1]
	global_store_dword v74, v62, s[38:39] offset:1024
	global_store_dwordx2 v74, v[76:77], s[38:39] offset:1032
	s_waitcnt vmcnt(0)
	buffer_wbinvl1_vol
	global_store_byte v74, v30, s[40:41] offset:64
.LBB279_207:
	s_or_b64 exec, exec, s[0:1]
	v_mov_b32_e32 v78, 0
.LBB279_208:
	s_and_b64 s[0:1], s[30:31], exec
	s_cselect_b32 s1, 0, s51
	s_cselect_b32 s0, 0, s50
	s_cmp_eq_u64 s[0:1], 0
	v_pk_mov_b32 v[30:31], 0, 0
	s_waitcnt lgkmcnt(0)
	s_barrier
	s_cbranch_scc1 .LBB279_210
; %bb.209:
	v_mov_b32_e32 v30, 0
	global_load_dwordx2 v[30:31], v30, s[0:1]
.LBB279_210:
	s_waitcnt vmcnt(0)
	v_lshlrev_b64 v[32:33], 3, v[30:31]
	v_mov_b32_e32 v34, s59
	v_add_co_u32_e32 v50, vcc, s58, v32
	v_mov_b32_e32 v79, 0
	v_addc_co_u32_e32 v51, vcc, v34, v33, vcc
	v_lshlrev_b64 v[34:35], 3, v[78:79]
	v_add_co_u32_e32 v50, vcc, v50, v34
	v_addc_co_u32_e32 v51, vcc, v51, v35, vcc
	v_cmp_eq_u32_e32 vcc, 0, v68
	v_cndmask_b32_e64 v52, 1, 2, vcc
	v_cmp_eq_u32_e32 vcc, 0, v75
	v_cndmask_b32_e64 v53, 1, 2, vcc
	v_cmp_eq_u32_e32 vcc, 0, v72
	v_and_b32_e32 v52, v53, v52
	v_cndmask_b32_e64 v53, 1, 2, vcc
	v_cmp_eq_u32_e32 vcc, 0, v73
	v_add_u32_e32 v49, v74, v68
	v_and_b32_e32 v52, v52, v53
	v_cndmask_b32_e64 v53, 1, 2, vcc
	v_cmp_eq_u32_e32 vcc, 0, v70
	v_add_u32_e32 v48, v49, v75
	;; [unrolled: 4-line block ×12, first 2 shown]
	v_and_b32_e32 v52, v52, v53
	v_cndmask_b32_e64 v53, 1, 2, vcc
	s_movk_i32 s30, 0x100
	v_add_u32_e32 v37, v38, v110
	v_and_b32_e32 v52, v52, v53
	v_cmp_gt_u32_e32 vcc, s30, v62
	v_add_u32_e32 v36, v37, v69
	v_cmp_ne_u32_e64 s[28:29], 0, v68
	v_cmp_ne_u32_e64 s[26:27], 0, v75
	;; [unrolled: 1-line block ×15, first 2 shown]
	s_mov_b64 s[36:37], -1
	v_cmp_gt_i16_e64 s[30:31], 2, v52
	s_cbranch_vccz .LBB279_217
; %bb.211:
	s_and_saveexec_b64 s[36:37], s[30:31]
	s_cbranch_execz .LBB279_216
; %bb.212:
	v_cmp_ne_u16_e32 vcc, 1, v52
	s_mov_b64 s[38:39], 0
	s_and_saveexec_b64 s[30:31], vcc
	s_xor_b64 s[30:31], exec, s[30:31]
	s_cbranch_execnz .LBB279_282
; %bb.213:
	s_andn2_saveexec_b64 s[30:31], s[30:31]
	s_cbranch_execnz .LBB279_298
.LBB279_214:
	s_or_b64 exec, exec, s[30:31]
	s_and_b64 exec, exec, s[38:39]
	s_cbranch_execz .LBB279_216
.LBB279_215:
	v_sub_u32_e32 v54, v36, v78
	v_mov_b32_e32 v55, 0
	v_lshlrev_b64 v[54:55], 3, v[54:55]
	v_add_co_u32_e32 v54, vcc, v50, v54
	v_addc_co_u32_e32 v55, vcc, v51, v55, vcc
	global_store_dwordx2 v[54:55], v[58:59], off
.LBB279_216:
	s_or_b64 exec, exec, s[36:37]
	s_mov_b64 s[36:37], 0
.LBB279_217:
	s_and_b64 vcc, exec, s[36:37]
	s_cbranch_vccz .LBB279_227
; %bb.218:
	v_cmp_gt_i16_e32 vcc, 2, v52
	s_and_saveexec_b64 s[30:31], vcc
	s_cbranch_execz .LBB279_223
; %bb.219:
	v_cmp_ne_u16_e32 vcc, 1, v52
	s_mov_b64 s[38:39], 0
	s_and_saveexec_b64 s[36:37], vcc
	s_xor_b64 s[36:37], exec, s[36:37]
	s_cbranch_execnz .LBB279_299
; %bb.220:
	s_andn2_saveexec_b64 s[0:1], s[36:37]
	s_cbranch_execnz .LBB279_315
.LBB279_221:
	s_or_b64 exec, exec, s[0:1]
	s_and_b64 exec, exec, s[38:39]
	s_cbranch_execz .LBB279_223
.LBB279_222:
	v_sub_u32_e32 v2, v36, v78
	v_lshlrev_b32_e32 v2, 3, v2
	ds_write_b64 v2, v[58:59]
.LBB279_223:
	s_or_b64 exec, exec, s[30:31]
	v_cmp_lt_u32_e32 vcc, v0, v62
	s_waitcnt lgkmcnt(0)
	s_barrier
	s_and_saveexec_b64 s[0:1], vcc
	s_cbranch_execz .LBB279_226
; %bb.224:
	v_lshlrev_b32_e32 v4, 3, v0
	s_mov_b64 s[2:3], 0
	v_mov_b32_e32 v3, 0
	v_mov_b32_e32 v2, v0
.LBB279_225:                            ; =>This Inner Loop Header: Depth=1
	v_lshlrev_b64 v[6:7], 3, v[2:3]
	ds_read_b64 v[8:9], v4
	v_add_co_u32_e32 v6, vcc, v50, v6
	v_add_u32_e32 v2, 0x100, v2
	v_addc_co_u32_e32 v7, vcc, v51, v7, vcc
	v_cmp_ge_u32_e32 vcc, v2, v62
	v_add_u32_e32 v4, 0x800, v4
	s_or_b64 s[2:3], vcc, s[2:3]
	s_waitcnt lgkmcnt(0)
	global_store_dwordx2 v[6:7], v[8:9], off
	s_andn2_b64 exec, exec, s[2:3]
	s_cbranch_execnz .LBB279_225
.LBB279_226:
	s_or_b64 exec, exec, s[0:1]
.LBB279_227:
	v_add_co_u32_e32 v2, vcc, v108, v60
	s_cmpk_lg_i32 s33, 0xf00
	v_addc_co_u32_e32 v3, vcc, v109, v61, vcc
	s_cselect_b64 s[0:1], -1, 0
	v_cndmask_b32_e64 v8, 0, 1, s[44:45]
	s_and_b64 s[0:1], s[34:35], s[0:1]
	v_cmp_eq_u32_e32 vcc, 0, v0
	v_sub_u32_e32 v4, v62, v8
	v_cndmask_b32_e64 v5, 0, 1, s[0:1]
	s_and_b64 s[0:1], vcc, s[44:45]
	v_add_u32_e32 v4, v4, v5
	v_cndmask_b32_e64 v5, v68, 0, s[0:1]
	s_mul_hi_u32 s0, s33, 0x88888889
	s_lshr_b32 s0, s0, 3
	v_mad_i32_i24 v6, v0, -15, s33
	v_cmp_eq_u32_e32 vcc, s0, v0
	v_cmp_ne_u32_e64 s[0:1], 0, v6
	v_cndmask_b32_e64 v7, 1, v5, s[0:1]
	v_cmp_ne_u32_e64 s[0:1], 1, v6
	v_cndmask_b32_e64 v9, 1, v75, s[0:1]
	;; [unrolled: 2-line block ×15, first 2 shown]
	s_and_b64 vcc, s[34:35], vcc
	v_cndmask_b32_e32 v22, v1, v6, vcc
	v_cndmask_b32_e32 v21, v69, v21, vcc
	;; [unrolled: 1-line block ×15, first 2 shown]
	v_mov_b32_e32 v1, s61
	v_add_co_u32_e32 v5, vcc, s60, v32
	v_addc_co_u32_e32 v6, vcc, v1, v33, vcc
	v_add_co_u32_e32 v1, vcc, v5, v34
	v_addc_co_u32_e32 v5, vcc, v6, v35, vcc
	v_lshlrev_b32_e32 v6, 3, v8
	v_add_co_u32_e32 v6, vcc, v6, v1
	v_addc_co_u32_e32 v7, vcc, 0, v5, vcc
	v_add_co_u32_e32 v6, vcc, -8, v6
	v_addc_co_u32_e32 v7, vcc, -1, v7, vcc
	v_cmp_eq_u32_e32 vcc, 0, v23
	v_cmp_ne_u32_e64 s[28:29], 0, v23
	v_cndmask_b32_e64 v23, 1, 2, vcc
	v_cmp_eq_u32_e32 vcc, 0, v9
	v_cmp_ne_u32_e64 s[26:27], 0, v9
	v_cndmask_b32_e64 v9, 1, 2, vcc
	v_cmp_eq_u32_e32 vcc, 0, v10
	v_and_b32_e32 v9, v9, v23
	v_cmp_ne_u32_e64 s[24:25], 0, v10
	v_cndmask_b32_e64 v10, 1, 2, vcc
	v_cmp_eq_u32_e32 vcc, 0, v11
	v_and_b32_e32 v9, v9, v10
	v_cndmask_b32_e64 v10, 1, 2, vcc
	v_cmp_eq_u32_e32 vcc, 0, v12
	v_and_b32_e32 v9, v9, v10
	;; [unrolled: 3-line block ×12, first 2 shown]
	v_cndmask_b32_e64 v10, 1, 2, vcc
	s_movk_i32 s30, 0x100
	v_and_b32_e32 v9, v9, v10
	v_cmp_gt_u32_e32 vcc, s30, v4
	v_add_u32_e32 v8, v78, v8
	v_cmp_ne_u32_e64 s[22:23], 0, v11
	v_cmp_ne_u32_e64 s[20:21], 0, v12
	;; [unrolled: 1-line block ×12, first 2 shown]
	s_mov_b64 s[36:37], -1
	v_cmp_gt_i16_e64 s[30:31], 2, v9
	s_barrier
	s_cbranch_vccz .LBB279_234
; %bb.228:
	s_and_saveexec_b64 s[36:37], s[30:31]
	s_cbranch_execz .LBB279_233
; %bb.229:
	v_cmp_ne_u16_e32 vcc, 1, v9
	s_mov_b64 s[38:39], 0
	s_and_saveexec_b64 s[30:31], vcc
	s_xor_b64 s[30:31], exec, s[30:31]
	s_cbranch_execnz .LBB279_316
; %bb.230:
	s_andn2_saveexec_b64 s[30:31], s[30:31]
	s_cbranch_execnz .LBB279_332
.LBB279_231:
	s_or_b64 exec, exec, s[30:31]
	s_and_b64 exec, exec, s[38:39]
	s_cbranch_execz .LBB279_233
.LBB279_232:
	v_sub_u32_e32 v10, v36, v8
	v_mov_b32_e32 v11, 0
	v_lshlrev_b64 v[10:11], 3, v[10:11]
	v_add_co_u32_e32 v10, vcc, v6, v10
	v_addc_co_u32_e32 v11, vcc, v7, v11, vcc
	global_store_dwordx2 v[10:11], v[2:3], off
.LBB279_233:
	s_or_b64 exec, exec, s[36:37]
	s_mov_b64 s[36:37], 0
.LBB279_234:
	s_and_b64 vcc, exec, s[36:37]
	s_cbranch_vccz .LBB279_244
; %bb.235:
	v_cmp_gt_i16_e32 vcc, 2, v9
	s_and_saveexec_b64 s[30:31], vcc
	s_cbranch_execz .LBB279_240
; %bb.236:
	v_cmp_ne_u16_e32 vcc, 1, v9
	s_mov_b64 s[38:39], 0
	s_and_saveexec_b64 s[36:37], vcc
	s_xor_b64 s[36:37], exec, s[36:37]
	s_cbranch_execnz .LBB279_333
; %bb.237:
	s_andn2_saveexec_b64 s[0:1], s[36:37]
	s_cbranch_execnz .LBB279_349
.LBB279_238:
	s_or_b64 exec, exec, s[0:1]
	s_and_b64 exec, exec, s[38:39]
	s_cbranch_execz .LBB279_240
.LBB279_239:
	v_sub_u32_e32 v8, v36, v8
	v_lshlrev_b32_e32 v8, 3, v8
	ds_write_b64 v8, v[2:3]
.LBB279_240:
	s_or_b64 exec, exec, s[30:31]
	v_cmp_lt_u32_e32 vcc, v0, v4
	s_waitcnt lgkmcnt(0)
	s_barrier
	s_and_saveexec_b64 s[0:1], vcc
	s_cbranch_execz .LBB279_243
; %bb.241:
	v_lshlrev_b32_e32 v8, 3, v0
	s_mov_b64 s[2:3], 0
	v_mov_b32_e32 v3, 0
	v_mov_b32_e32 v2, v0
.LBB279_242:                            ; =>This Inner Loop Header: Depth=1
	v_lshlrev_b64 v[10:11], 3, v[2:3]
	ds_read_b64 v[12:13], v8
	v_add_co_u32_e32 v10, vcc, v6, v10
	v_add_u32_e32 v2, 0x100, v2
	v_addc_co_u32_e32 v11, vcc, v7, v11, vcc
	v_cmp_ge_u32_e32 vcc, v2, v4
	v_add_u32_e32 v8, 0x800, v8
	s_or_b64 s[2:3], vcc, s[2:3]
	s_waitcnt lgkmcnt(0)
	global_store_dwordx2 v[10:11], v[12:13], off
	s_andn2_b64 exec, exec, s[2:3]
	s_cbranch_execnz .LBB279_242
.LBB279_243:
	s_or_b64 exec, exec, s[0:1]
.LBB279_244:
	s_movk_i32 s0, 0xff
	v_cmp_eq_u32_e32 vcc, s0, v0
	s_and_b64 s[0:1], vcc, s[34:35]
	s_and_saveexec_b64 s[2:3], s[0:1]
	s_cbranch_execz .LBB279_247
; %bb.245:
	v_add_co_u32_e32 v0, vcc, v62, v78
	v_addc_co_u32_e64 v3, s[0:1], 0, 0, vcc
	v_add_co_u32_e32 v2, vcc, v0, v30
	v_mov_b32_e32 v63, 0
	v_addc_co_u32_e32 v3, vcc, v3, v31, vcc
	s_cmpk_lg_i32 s33, 0xf00
	global_store_dwordx2 v63, v[2:3], s[62:63]
	s_cbranch_scc1 .LBB279_247
; %bb.246:
	v_lshlrev_b64 v[2:3], 3, v[62:63]
	v_add_co_u32_e32 v0, vcc, v1, v2
	v_addc_co_u32_e32 v1, vcc, v5, v3, vcc
	global_store_dwordx2 v[0:1], v[76:77], off offset:-8
.LBB279_247:
	s_endpgm
.LBB279_248:
                                        ; implicit-def: $sgpr4_sgpr5
                                        ; implicit-def: $vgpr1
                                        ; implicit-def: $vgpr79
                                        ; implicit-def: $vgpr110
                                        ; implicit-def: $vgpr63
                                        ; implicit-def: $vgpr111
                                        ; implicit-def: $vgpr65
                                        ; implicit-def: $vgpr64
                                        ; implicit-def: $vgpr67
                                        ; implicit-def: $vgpr66
                                        ; implicit-def: $vgpr71
                                        ; implicit-def: $vgpr70
                                        ; implicit-def: $vgpr73
                                        ; implicit-def: $vgpr72
                                        ; implicit-def: $vgpr75
	s_cbranch_execz .LBB279_110
.LBB279_249:
	v_mov_b32_e32 v69, 0
	v_lshlrev_b32_e32 v78, 3, v0
	v_cmp_gt_u64_e32 vcc, s[2:3], v[68:69]
	v_mov_b32_e32 v1, 0
	ds_write_b64 v78, v[58:59]
	s_and_saveexec_b64 s[4:5], vcc
; %bb.250:
	s_mov_b32 s7, 0x66666667
	v_mul_hi_i32 v1, v4, s7
	v_lshrrev_b32_e32 v62, 31, v1
	v_ashrrev_i32_e32 v1, 2, v1
	v_add_u32_e32 v1, v1, v62
	v_mul_hi_i32 v62, v58, s7
	v_lshrrev_b32_e32 v63, 31, v62
	v_ashrrev_i32_e32 v62, 2, v62
	v_add_u32_e32 v62, v62, v63
	v_cmp_ne_u32_e32 vcc, v1, v62
	v_cndmask_b32_e64 v1, 0, 1, vcc
; %bb.251:
	s_or_b64 exec, exec, s[4:5]
	v_add_u32_e32 v68, 13, v76
	v_cmp_gt_u64_e32 vcc, s[2:3], v[68:69]
	s_and_saveexec_b64 s[4:5], vcc
; %bb.252:
	s_mov_b32 s7, 0x66666667
	v_mul_hi_i32 v62, v2, s7
	v_lshrrev_b32_e32 v63, 31, v62
	v_ashrrev_i32_e32 v62, 2, v62
	v_add_u32_e32 v62, v62, v63
	v_mul_hi_i32 v63, v4, s7
	v_lshrrev_b32_e32 v64, 31, v63
	v_ashrrev_i32_e32 v63, 2, v63
	v_add_u32_e32 v63, v63, v64
	v_cmp_ne_u32_e32 vcc, v62, v63
	v_cndmask_b32_e64 v69, 0, 1, vcc
; %bb.253:
	s_or_b64 exec, exec, s[4:5]
	v_add_u32_e32 v62, 12, v76
	v_mov_b32_e32 v63, 0
	v_cmp_gt_u64_e32 vcc, s[2:3], v[62:63]
	v_mov_b32_e32 v110, 0
	s_and_saveexec_b64 s[4:5], vcc
; %bb.254:
	s_mov_b32 s7, 0x66666667
	v_mul_hi_i32 v62, v8, s7
	v_lshrrev_b32_e32 v64, 31, v62
	v_ashrrev_i32_e32 v62, 2, v62
	v_add_u32_e32 v62, v62, v64
	v_mul_hi_i32 v64, v2, s7
	v_lshrrev_b32_e32 v65, 31, v64
	v_ashrrev_i32_e32 v64, 2, v64
	v_add_u32_e32 v64, v64, v65
	v_cmp_ne_u32_e32 vcc, v62, v64
	v_cndmask_b32_e64 v110, 0, 1, vcc
; %bb.255:
	s_or_b64 exec, exec, s[4:5]
	v_add_u32_e32 v62, 11, v76
	v_cmp_gt_u64_e32 vcc, s[2:3], v[62:63]
	s_and_saveexec_b64 s[4:5], vcc
; %bb.256:
	s_mov_b32 s7, 0x66666667
	v_mul_hi_i32 v62, v6, s7
	v_lshrrev_b32_e32 v63, 31, v62
	v_ashrrev_i32_e32 v62, 2, v62
	v_add_u32_e32 v62, v62, v63
	v_mul_hi_i32 v63, v8, s7
	v_lshrrev_b32_e32 v64, 31, v63
	v_ashrrev_i32_e32 v63, 2, v63
	v_add_u32_e32 v63, v63, v64
	v_cmp_ne_u32_e32 vcc, v62, v63
	v_cndmask_b32_e64 v63, 0, 1, vcc
; %bb.257:
	s_or_b64 exec, exec, s[4:5]
	v_add_u32_e32 v64, 10, v76
	v_mov_b32_e32 v65, 0
	v_cmp_gt_u64_e32 vcc, s[2:3], v[64:65]
	v_mov_b32_e32 v111, 0
	;; [unrolled: 36-line block ×6, first 2 shown]
	s_and_saveexec_b64 s[4:5], vcc
; %bb.274:
	s_mov_b32 s7, 0x66666667
	v_mul_hi_i32 v62, v28, s7
	v_lshrrev_b32_e32 v68, 31, v62
	v_ashrrev_i32_e32 v62, 2, v62
	v_add_u32_e32 v62, v62, v68
	v_mul_hi_i32 v68, v22, s7
	v_lshrrev_b32_e32 v72, 31, v68
	v_ashrrev_i32_e32 v68, 2, v68
	v_add_u32_e32 v68, v68, v72
	v_cmp_ne_u32_e32 vcc, v62, v68
	v_cndmask_b32_e64 v72, 0, 1, vcc
; %bb.275:
	s_or_b64 exec, exec, s[4:5]
	v_add_u32_e32 v74, 1, v76
	v_cmp_gt_u64_e32 vcc, s[2:3], v[74:75]
	s_and_saveexec_b64 s[4:5], vcc
; %bb.276:
	s_mov_b32 s7, 0x66666667
	v_mul_hi_i32 v62, v26, s7
	v_lshrrev_b32_e32 v68, 31, v62
	v_ashrrev_i32_e32 v62, 2, v62
	v_add_u32_e32 v62, v62, v68
	v_mul_hi_i32 v68, v28, s7
	v_lshrrev_b32_e32 v74, 31, v68
	v_ashrrev_i32_e32 v68, 2, v68
	v_add_u32_e32 v68, v68, v74
	v_cmp_ne_u32_e32 vcc, v62, v68
	v_cndmask_b32_e64 v75, 0, 1, vcc
; %bb.277:
	s_or_b64 exec, exec, s[4:5]
	v_cmp_ne_u32_e32 vcc, 0, v0
	s_waitcnt lgkmcnt(0)
	s_barrier
	s_waitcnt lgkmcnt(0)
                                        ; implicit-def: $sgpr4_sgpr5
	s_and_saveexec_b64 s[8:9], vcc
	s_cbranch_execz .LBB279_281
; %bb.278:
	v_mov_b32_e32 v77, 0
	v_cmp_gt_u64_e32 vcc, s[2:3], v[76:77]
	s_mov_b64 s[4:5], 0
	s_and_saveexec_b64 s[2:3], vcc
	s_cbranch_execz .LBB279_280
; %bb.279:
	v_add_u32_e32 v62, -8, v78
	ds_read_b32 v62, v62
	s_mov_b32 s4, 0x66666667
	v_mul_hi_i32 v68, v26, s4
	v_lshrrev_b32_e32 v74, 31, v68
	v_ashrrev_i32_e32 v68, 2, v68
	s_waitcnt lgkmcnt(0)
	v_mul_hi_i32 v62, v62, s4
	v_lshrrev_b32_e32 v76, 31, v62
	v_ashrrev_i32_e32 v62, 2, v62
	v_add_u32_e32 v62, v62, v76
	v_add_u32_e32 v68, v68, v74
	v_cmp_ne_u32_e32 vcc, v62, v68
	s_and_b64 s[4:5], vcc, exec
.LBB279_280:
	s_or_b64 exec, exec, s[2:3]
	s_and_b64 s[4:5], s[4:5], exec
	s_or_b64 s[0:1], s[0:1], exec
.LBB279_281:
	s_or_b64 exec, exec, s[8:9]
	s_mov_b32 s8, 1
	v_mov_b32_e32 v79, v69
	v_mov_b32_e32 v68, s8
	s_and_saveexec_b64 s[2:3], s[0:1]
	s_cbranch_execnz .LBB279_112
	s_branch .LBB279_113
.LBB279_282:
	s_and_saveexec_b64 s[38:39], s[28:29]
	s_cbranch_execnz .LBB279_350
; %bb.283:
	s_or_b64 exec, exec, s[38:39]
	s_and_saveexec_b64 s[38:39], s[26:27]
	s_cbranch_execnz .LBB279_351
.LBB279_284:
	s_or_b64 exec, exec, s[38:39]
	s_and_saveexec_b64 s[38:39], s[24:25]
	s_cbranch_execnz .LBB279_352
.LBB279_285:
	s_or_b64 exec, exec, s[38:39]
	s_and_saveexec_b64 s[38:39], s[22:23]
	s_cbranch_execnz .LBB279_353
.LBB279_286:
	s_or_b64 exec, exec, s[38:39]
	s_and_saveexec_b64 s[38:39], s[20:21]
	s_cbranch_execnz .LBB279_354
.LBB279_287:
	s_or_b64 exec, exec, s[38:39]
	s_and_saveexec_b64 s[38:39], s[18:19]
	s_cbranch_execnz .LBB279_355
.LBB279_288:
	s_or_b64 exec, exec, s[38:39]
	s_and_saveexec_b64 s[38:39], s[16:17]
	s_cbranch_execnz .LBB279_356
.LBB279_289:
	s_or_b64 exec, exec, s[38:39]
	s_and_saveexec_b64 s[38:39], s[14:15]
	s_cbranch_execnz .LBB279_357
.LBB279_290:
	s_or_b64 exec, exec, s[38:39]
	s_and_saveexec_b64 s[38:39], s[12:13]
	s_cbranch_execnz .LBB279_358
.LBB279_291:
	s_or_b64 exec, exec, s[38:39]
	s_and_saveexec_b64 s[38:39], s[10:11]
	s_cbranch_execnz .LBB279_359
.LBB279_292:
	s_or_b64 exec, exec, s[38:39]
	s_and_saveexec_b64 s[38:39], s[8:9]
	s_cbranch_execnz .LBB279_360
.LBB279_293:
	s_or_b64 exec, exec, s[38:39]
	s_and_saveexec_b64 s[38:39], s[6:7]
	s_cbranch_execnz .LBB279_361
.LBB279_294:
	s_or_b64 exec, exec, s[38:39]
	s_and_saveexec_b64 s[38:39], s[4:5]
	s_cbranch_execnz .LBB279_362
.LBB279_295:
	s_or_b64 exec, exec, s[38:39]
	s_and_saveexec_b64 s[38:39], s[2:3]
	s_cbranch_execz .LBB279_297
.LBB279_296:
	v_sub_u32_e32 v54, v37, v78
	v_mov_b32_e32 v55, 0
	v_lshlrev_b64 v[54:55], 3, v[54:55]
	v_add_co_u32_e32 v54, vcc, v50, v54
	v_addc_co_u32_e32 v55, vcc, v51, v55, vcc
	global_store_dwordx2 v[54:55], v[4:5], off
.LBB279_297:
	s_or_b64 exec, exec, s[38:39]
	s_and_b64 s[38:39], s[0:1], exec
	s_andn2_saveexec_b64 s[30:31], s[30:31]
	s_cbranch_execz .LBB279_214
.LBB279_298:
	v_sub_u32_e32 v54, v74, v78
	v_mov_b32_e32 v55, 0
	v_lshlrev_b64 v[56:57], 3, v[54:55]
	v_add_co_u32_e32 v56, vcc, v50, v56
	v_addc_co_u32_e32 v57, vcc, v51, v57, vcc
	v_sub_u32_e32 v54, v49, v78
	global_store_dwordx2 v[56:57], v[26:27], off
	v_lshlrev_b64 v[56:57], 3, v[54:55]
	v_add_co_u32_e32 v56, vcc, v50, v56
	v_addc_co_u32_e32 v57, vcc, v51, v57, vcc
	v_sub_u32_e32 v54, v48, v78
	global_store_dwordx2 v[56:57], v[28:29], off
	;; [unrolled: 5-line block ×12, first 2 shown]
	v_lshlrev_b64 v[56:57], 3, v[54:55]
	v_add_co_u32_e32 v56, vcc, v50, v56
	v_sub_u32_e32 v54, v37, v78
	v_addc_co_u32_e32 v57, vcc, v51, v57, vcc
	v_lshlrev_b64 v[54:55], 3, v[54:55]
	v_add_co_u32_e32 v54, vcc, v50, v54
	v_addc_co_u32_e32 v55, vcc, v51, v55, vcc
	s_or_b64 s[38:39], s[38:39], exec
	global_store_dwordx2 v[56:57], v[2:3], off
	global_store_dwordx2 v[54:55], v[4:5], off
	s_or_b64 exec, exec, s[30:31]
	s_and_b64 exec, exec, s[38:39]
	s_cbranch_execnz .LBB279_215
	s_branch .LBB279_216
.LBB279_299:
	s_and_saveexec_b64 s[38:39], s[28:29]
	s_cbranch_execnz .LBB279_363
; %bb.300:
	s_or_b64 exec, exec, s[38:39]
	s_and_saveexec_b64 s[28:29], s[26:27]
	s_cbranch_execnz .LBB279_364
.LBB279_301:
	s_or_b64 exec, exec, s[28:29]
	s_and_saveexec_b64 s[26:27], s[24:25]
	s_cbranch_execnz .LBB279_365
.LBB279_302:
	s_or_b64 exec, exec, s[26:27]
	s_and_saveexec_b64 s[24:25], s[22:23]
	s_cbranch_execnz .LBB279_366
.LBB279_303:
	s_or_b64 exec, exec, s[24:25]
	s_and_saveexec_b64 s[22:23], s[20:21]
	s_cbranch_execnz .LBB279_367
.LBB279_304:
	s_or_b64 exec, exec, s[22:23]
	s_and_saveexec_b64 s[20:21], s[18:19]
	s_cbranch_execnz .LBB279_368
.LBB279_305:
	s_or_b64 exec, exec, s[20:21]
	s_and_saveexec_b64 s[18:19], s[16:17]
	s_cbranch_execnz .LBB279_369
.LBB279_306:
	s_or_b64 exec, exec, s[18:19]
	s_and_saveexec_b64 s[16:17], s[14:15]
	s_cbranch_execnz .LBB279_370
.LBB279_307:
	s_or_b64 exec, exec, s[16:17]
	s_and_saveexec_b64 s[14:15], s[12:13]
	s_cbranch_execnz .LBB279_371
.LBB279_308:
	s_or_b64 exec, exec, s[14:15]
	s_and_saveexec_b64 s[12:13], s[10:11]
	s_cbranch_execnz .LBB279_372
.LBB279_309:
	s_or_b64 exec, exec, s[12:13]
	s_and_saveexec_b64 s[10:11], s[8:9]
	s_cbranch_execnz .LBB279_373
.LBB279_310:
	s_or_b64 exec, exec, s[10:11]
	s_and_saveexec_b64 s[8:9], s[6:7]
	s_cbranch_execnz .LBB279_374
.LBB279_311:
	s_or_b64 exec, exec, s[8:9]
	s_and_saveexec_b64 s[6:7], s[4:5]
	s_cbranch_execnz .LBB279_375
.LBB279_312:
	s_or_b64 exec, exec, s[6:7]
	s_and_saveexec_b64 s[4:5], s[2:3]
	s_cbranch_execz .LBB279_314
.LBB279_313:
	v_sub_u32_e32 v2, v37, v78
	v_lshlrev_b32_e32 v2, 3, v2
	ds_write_b64 v2, v[4:5]
.LBB279_314:
	s_or_b64 exec, exec, s[4:5]
	s_and_b64 s[38:39], s[0:1], exec
                                        ; implicit-def: $vgpr26_vgpr27_vgpr28_vgpr29
                                        ; implicit-def: $vgpr22_vgpr23_vgpr24_vgpr25
                                        ; implicit-def: $vgpr18_vgpr19_vgpr20_vgpr21
                                        ; implicit-def: $vgpr14_vgpr15_vgpr16_vgpr17
                                        ; implicit-def: $vgpr10_vgpr11_vgpr12_vgpr13
                                        ; implicit-def: $vgpr6_vgpr7_vgpr8_vgpr9
                                        ; implicit-def: $vgpr2_vgpr3_vgpr4_vgpr5
	s_andn2_saveexec_b64 s[0:1], s[36:37]
	s_cbranch_execz .LBB279_221
.LBB279_315:
	v_sub_u32_e32 v52, v74, v78
	v_lshlrev_b32_e32 v52, 3, v52
	ds_write_b64 v52, v[26:27]
	v_sub_u32_e32 v26, v49, v78
	v_lshlrev_b32_e32 v26, 3, v26
	ds_write_b64 v26, v[28:29]
	;; [unrolled: 3-line block ×13, first 2 shown]
	v_sub_u32_e32 v2, v37, v78
	v_lshlrev_b32_e32 v2, 3, v2
	s_or_b64 s[38:39], s[38:39], exec
	ds_write_b64 v2, v[4:5]
	s_or_b64 exec, exec, s[0:1]
	s_and_b64 exec, exec, s[38:39]
	s_cbranch_execnz .LBB279_222
	s_branch .LBB279_223
.LBB279_316:
	s_and_saveexec_b64 s[38:39], s[28:29]
	s_cbranch_execnz .LBB279_376
; %bb.317:
	s_or_b64 exec, exec, s[38:39]
	s_and_saveexec_b64 s[38:39], s[26:27]
	s_cbranch_execnz .LBB279_377
.LBB279_318:
	s_or_b64 exec, exec, s[38:39]
	s_and_saveexec_b64 s[38:39], s[24:25]
	s_cbranch_execnz .LBB279_378
.LBB279_319:
	s_or_b64 exec, exec, s[38:39]
	s_and_saveexec_b64 s[38:39], s[22:23]
	s_cbranch_execnz .LBB279_379
.LBB279_320:
	s_or_b64 exec, exec, s[38:39]
	s_and_saveexec_b64 s[38:39], s[20:21]
	s_cbranch_execnz .LBB279_380
.LBB279_321:
	s_or_b64 exec, exec, s[38:39]
	s_and_saveexec_b64 s[38:39], s[18:19]
	s_cbranch_execnz .LBB279_381
.LBB279_322:
	s_or_b64 exec, exec, s[38:39]
	s_and_saveexec_b64 s[38:39], s[16:17]
	s_cbranch_execnz .LBB279_382
.LBB279_323:
	s_or_b64 exec, exec, s[38:39]
	s_and_saveexec_b64 s[38:39], s[14:15]
	s_cbranch_execnz .LBB279_383
.LBB279_324:
	s_or_b64 exec, exec, s[38:39]
	s_and_saveexec_b64 s[38:39], s[12:13]
	s_cbranch_execnz .LBB279_384
.LBB279_325:
	s_or_b64 exec, exec, s[38:39]
	s_and_saveexec_b64 s[38:39], s[10:11]
	s_cbranch_execnz .LBB279_385
.LBB279_326:
	s_or_b64 exec, exec, s[38:39]
	s_and_saveexec_b64 s[38:39], s[8:9]
	s_cbranch_execnz .LBB279_386
.LBB279_327:
	s_or_b64 exec, exec, s[38:39]
	s_and_saveexec_b64 s[38:39], s[6:7]
	s_cbranch_execnz .LBB279_387
.LBB279_328:
	s_or_b64 exec, exec, s[38:39]
	s_and_saveexec_b64 s[38:39], s[4:5]
	s_cbranch_execnz .LBB279_388
.LBB279_329:
	s_or_b64 exec, exec, s[38:39]
	s_and_saveexec_b64 s[38:39], s[2:3]
	s_cbranch_execz .LBB279_331
.LBB279_330:
	v_sub_u32_e32 v10, v37, v8
	v_mov_b32_e32 v11, 0
	v_lshlrev_b64 v[10:11], 3, v[10:11]
	v_add_co_u32_e32 v10, vcc, v6, v10
	v_addc_co_u32_e32 v11, vcc, v7, v11, vcc
	global_store_dwordx2 v[10:11], v[106:107], off
.LBB279_331:
	s_or_b64 exec, exec, s[38:39]
	s_and_b64 s[38:39], s[0:1], exec
	s_andn2_saveexec_b64 s[30:31], s[30:31]
	s_cbranch_execz .LBB279_231
.LBB279_332:
	v_sub_u32_e32 v10, v74, v8
	v_mov_b32_e32 v11, 0
	v_lshlrev_b64 v[12:13], 3, v[10:11]
	v_add_co_u32_e32 v12, vcc, v6, v12
	v_addc_co_u32_e32 v13, vcc, v7, v13, vcc
	v_sub_u32_e32 v10, v49, v8
	global_store_dwordx2 v[12:13], v[104:105], off
	v_lshlrev_b64 v[12:13], 3, v[10:11]
	v_add_co_u32_e32 v12, vcc, v6, v12
	v_addc_co_u32_e32 v13, vcc, v7, v13, vcc
	v_sub_u32_e32 v10, v48, v8
	global_store_dwordx2 v[12:13], v[80:81], off
	;; [unrolled: 5-line block ×12, first 2 shown]
	v_lshlrev_b64 v[12:13], 3, v[10:11]
	v_add_co_u32_e32 v12, vcc, v6, v12
	v_sub_u32_e32 v10, v37, v8
	v_addc_co_u32_e32 v13, vcc, v7, v13, vcc
	v_lshlrev_b64 v[10:11], 3, v[10:11]
	v_add_co_u32_e32 v10, vcc, v6, v10
	v_addc_co_u32_e32 v11, vcc, v7, v11, vcc
	s_or_b64 s[38:39], s[38:39], exec
	global_store_dwordx2 v[12:13], v[102:103], off
	global_store_dwordx2 v[10:11], v[106:107], off
	s_or_b64 exec, exec, s[30:31]
	s_and_b64 exec, exec, s[38:39]
	s_cbranch_execnz .LBB279_232
	s_branch .LBB279_233
.LBB279_333:
	s_and_saveexec_b64 s[38:39], s[28:29]
	s_cbranch_execnz .LBB279_389
; %bb.334:
	s_or_b64 exec, exec, s[38:39]
	s_and_saveexec_b64 s[28:29], s[26:27]
	s_cbranch_execnz .LBB279_390
.LBB279_335:
	s_or_b64 exec, exec, s[28:29]
	s_and_saveexec_b64 s[26:27], s[24:25]
	s_cbranch_execnz .LBB279_391
.LBB279_336:
	s_or_b64 exec, exec, s[26:27]
	s_and_saveexec_b64 s[24:25], s[22:23]
	s_cbranch_execnz .LBB279_392
.LBB279_337:
	s_or_b64 exec, exec, s[24:25]
	s_and_saveexec_b64 s[22:23], s[20:21]
	s_cbranch_execnz .LBB279_393
.LBB279_338:
	s_or_b64 exec, exec, s[22:23]
	s_and_saveexec_b64 s[20:21], s[18:19]
	s_cbranch_execnz .LBB279_394
.LBB279_339:
	s_or_b64 exec, exec, s[20:21]
	s_and_saveexec_b64 s[18:19], s[16:17]
	s_cbranch_execnz .LBB279_395
.LBB279_340:
	s_or_b64 exec, exec, s[18:19]
	s_and_saveexec_b64 s[16:17], s[14:15]
	s_cbranch_execnz .LBB279_396
.LBB279_341:
	s_or_b64 exec, exec, s[16:17]
	s_and_saveexec_b64 s[14:15], s[12:13]
	s_cbranch_execnz .LBB279_397
.LBB279_342:
	s_or_b64 exec, exec, s[14:15]
	s_and_saveexec_b64 s[12:13], s[10:11]
	s_cbranch_execnz .LBB279_398
.LBB279_343:
	s_or_b64 exec, exec, s[12:13]
	s_and_saveexec_b64 s[10:11], s[8:9]
	s_cbranch_execnz .LBB279_399
.LBB279_344:
	s_or_b64 exec, exec, s[10:11]
	s_and_saveexec_b64 s[8:9], s[6:7]
	s_cbranch_execnz .LBB279_400
.LBB279_345:
	s_or_b64 exec, exec, s[8:9]
	s_and_saveexec_b64 s[6:7], s[4:5]
	s_cbranch_execnz .LBB279_401
.LBB279_346:
	s_or_b64 exec, exec, s[6:7]
	s_and_saveexec_b64 s[4:5], s[2:3]
	s_cbranch_execz .LBB279_348
.LBB279_347:
	v_sub_u32_e32 v9, v37, v8
	v_lshlrev_b32_e32 v9, 3, v9
	ds_write_b64 v9, v[106:107]
.LBB279_348:
	s_or_b64 exec, exec, s[4:5]
	s_and_b64 s[38:39], s[0:1], exec
                                        ; implicit-def: $vgpr104_vgpr105
                                        ; implicit-def: $vgpr80_vgpr81
                                        ; implicit-def: $vgpr82_vgpr83
                                        ; implicit-def: $vgpr84_vgpr85
                                        ; implicit-def: $vgpr86_vgpr87
                                        ; implicit-def: $vgpr88_vgpr89
                                        ; implicit-def: $vgpr90_vgpr91
                                        ; implicit-def: $vgpr92_vgpr93
                                        ; implicit-def: $vgpr94_vgpr95
                                        ; implicit-def: $vgpr96_vgpr97
                                        ; implicit-def: $vgpr98_vgpr99
                                        ; implicit-def: $vgpr100_vgpr101
                                        ; implicit-def: $vgpr102_vgpr103
                                        ; implicit-def: $vgpr106_vgpr107
                                        ; implicit-def: $vgpr74
                                        ; implicit-def: $vgpr49
                                        ; implicit-def: $vgpr48
                                        ; implicit-def: $vgpr47
                                        ; implicit-def: $vgpr46
                                        ; implicit-def: $vgpr45
                                        ; implicit-def: $vgpr44
                                        ; implicit-def: $vgpr43
                                        ; implicit-def: $vgpr42
                                        ; implicit-def: $vgpr41
                                        ; implicit-def: $vgpr40
                                        ; implicit-def: $vgpr39
                                        ; implicit-def: $vgpr38
                                        ; implicit-def: $vgpr37
	s_andn2_saveexec_b64 s[0:1], s[36:37]
	s_cbranch_execz .LBB279_238
.LBB279_349:
	v_sub_u32_e32 v9, v74, v8
	v_lshlrev_b32_e32 v9, 3, v9
	ds_write_b64 v9, v[104:105]
	v_sub_u32_e32 v9, v49, v8
	v_lshlrev_b32_e32 v9, 3, v9
	ds_write_b64 v9, v[80:81]
	;; [unrolled: 3-line block ×13, first 2 shown]
	v_sub_u32_e32 v9, v37, v8
	v_lshlrev_b32_e32 v9, 3, v9
	s_or_b64 s[38:39], s[38:39], exec
	ds_write_b64 v9, v[106:107]
	s_or_b64 exec, exec, s[0:1]
	s_and_b64 exec, exec, s[38:39]
	s_cbranch_execnz .LBB279_239
	s_branch .LBB279_240
.LBB279_350:
	v_sub_u32_e32 v54, v74, v78
	v_mov_b32_e32 v55, 0
	v_lshlrev_b64 v[54:55], 3, v[54:55]
	v_add_co_u32_e32 v54, vcc, v50, v54
	v_addc_co_u32_e32 v55, vcc, v51, v55, vcc
	global_store_dwordx2 v[54:55], v[26:27], off
	s_or_b64 exec, exec, s[38:39]
	s_and_saveexec_b64 s[38:39], s[26:27]
	s_cbranch_execz .LBB279_284
.LBB279_351:
	v_sub_u32_e32 v54, v49, v78
	v_mov_b32_e32 v55, 0
	v_lshlrev_b64 v[54:55], 3, v[54:55]
	v_add_co_u32_e32 v54, vcc, v50, v54
	v_addc_co_u32_e32 v55, vcc, v51, v55, vcc
	global_store_dwordx2 v[54:55], v[28:29], off
	s_or_b64 exec, exec, s[38:39]
	s_and_saveexec_b64 s[38:39], s[24:25]
	s_cbranch_execz .LBB279_285
.LBB279_352:
	v_sub_u32_e32 v54, v48, v78
	v_mov_b32_e32 v55, 0
	v_lshlrev_b64 v[54:55], 3, v[54:55]
	v_add_co_u32_e32 v54, vcc, v50, v54
	v_addc_co_u32_e32 v55, vcc, v51, v55, vcc
	global_store_dwordx2 v[54:55], v[22:23], off
	s_or_b64 exec, exec, s[38:39]
	s_and_saveexec_b64 s[38:39], s[22:23]
	s_cbranch_execz .LBB279_286
.LBB279_353:
	v_sub_u32_e32 v54, v47, v78
	v_mov_b32_e32 v55, 0
	v_lshlrev_b64 v[54:55], 3, v[54:55]
	v_add_co_u32_e32 v54, vcc, v50, v54
	v_addc_co_u32_e32 v55, vcc, v51, v55, vcc
	global_store_dwordx2 v[54:55], v[24:25], off
	s_or_b64 exec, exec, s[38:39]
	s_and_saveexec_b64 s[38:39], s[20:21]
	s_cbranch_execz .LBB279_287
.LBB279_354:
	v_sub_u32_e32 v54, v46, v78
	v_mov_b32_e32 v55, 0
	v_lshlrev_b64 v[54:55], 3, v[54:55]
	v_add_co_u32_e32 v54, vcc, v50, v54
	v_addc_co_u32_e32 v55, vcc, v51, v55, vcc
	global_store_dwordx2 v[54:55], v[18:19], off
	s_or_b64 exec, exec, s[38:39]
	s_and_saveexec_b64 s[38:39], s[18:19]
	s_cbranch_execz .LBB279_288
.LBB279_355:
	v_sub_u32_e32 v54, v45, v78
	v_mov_b32_e32 v55, 0
	v_lshlrev_b64 v[54:55], 3, v[54:55]
	v_add_co_u32_e32 v54, vcc, v50, v54
	v_addc_co_u32_e32 v55, vcc, v51, v55, vcc
	global_store_dwordx2 v[54:55], v[20:21], off
	s_or_b64 exec, exec, s[38:39]
	s_and_saveexec_b64 s[38:39], s[16:17]
	s_cbranch_execz .LBB279_289
.LBB279_356:
	v_sub_u32_e32 v54, v44, v78
	v_mov_b32_e32 v55, 0
	v_lshlrev_b64 v[54:55], 3, v[54:55]
	v_add_co_u32_e32 v54, vcc, v50, v54
	v_addc_co_u32_e32 v55, vcc, v51, v55, vcc
	global_store_dwordx2 v[54:55], v[14:15], off
	s_or_b64 exec, exec, s[38:39]
	s_and_saveexec_b64 s[38:39], s[14:15]
	s_cbranch_execz .LBB279_290
.LBB279_357:
	v_sub_u32_e32 v54, v43, v78
	v_mov_b32_e32 v55, 0
	v_lshlrev_b64 v[54:55], 3, v[54:55]
	v_add_co_u32_e32 v54, vcc, v50, v54
	v_addc_co_u32_e32 v55, vcc, v51, v55, vcc
	global_store_dwordx2 v[54:55], v[16:17], off
	s_or_b64 exec, exec, s[38:39]
	s_and_saveexec_b64 s[38:39], s[12:13]
	s_cbranch_execz .LBB279_291
.LBB279_358:
	v_sub_u32_e32 v54, v42, v78
	v_mov_b32_e32 v55, 0
	v_lshlrev_b64 v[54:55], 3, v[54:55]
	v_add_co_u32_e32 v54, vcc, v50, v54
	v_addc_co_u32_e32 v55, vcc, v51, v55, vcc
	global_store_dwordx2 v[54:55], v[10:11], off
	s_or_b64 exec, exec, s[38:39]
	s_and_saveexec_b64 s[38:39], s[10:11]
	s_cbranch_execz .LBB279_292
.LBB279_359:
	v_sub_u32_e32 v54, v41, v78
	v_mov_b32_e32 v55, 0
	v_lshlrev_b64 v[54:55], 3, v[54:55]
	v_add_co_u32_e32 v54, vcc, v50, v54
	v_addc_co_u32_e32 v55, vcc, v51, v55, vcc
	global_store_dwordx2 v[54:55], v[12:13], off
	s_or_b64 exec, exec, s[38:39]
	s_and_saveexec_b64 s[38:39], s[8:9]
	s_cbranch_execz .LBB279_293
.LBB279_360:
	v_sub_u32_e32 v54, v40, v78
	v_mov_b32_e32 v55, 0
	v_lshlrev_b64 v[54:55], 3, v[54:55]
	v_add_co_u32_e32 v54, vcc, v50, v54
	v_addc_co_u32_e32 v55, vcc, v51, v55, vcc
	global_store_dwordx2 v[54:55], v[6:7], off
	s_or_b64 exec, exec, s[38:39]
	s_and_saveexec_b64 s[38:39], s[6:7]
	s_cbranch_execz .LBB279_294
.LBB279_361:
	v_sub_u32_e32 v54, v39, v78
	v_mov_b32_e32 v55, 0
	v_lshlrev_b64 v[54:55], 3, v[54:55]
	v_add_co_u32_e32 v54, vcc, v50, v54
	v_addc_co_u32_e32 v55, vcc, v51, v55, vcc
	global_store_dwordx2 v[54:55], v[8:9], off
	s_or_b64 exec, exec, s[38:39]
	s_and_saveexec_b64 s[38:39], s[4:5]
	s_cbranch_execz .LBB279_295
.LBB279_362:
	v_sub_u32_e32 v54, v38, v78
	v_mov_b32_e32 v55, 0
	v_lshlrev_b64 v[54:55], 3, v[54:55]
	v_add_co_u32_e32 v54, vcc, v50, v54
	v_addc_co_u32_e32 v55, vcc, v51, v55, vcc
	global_store_dwordx2 v[54:55], v[2:3], off
	s_or_b64 exec, exec, s[38:39]
	s_and_saveexec_b64 s[38:39], s[2:3]
	s_cbranch_execnz .LBB279_296
	s_branch .LBB279_297
.LBB279_363:
	v_sub_u32_e32 v52, v74, v78
	v_lshlrev_b32_e32 v52, 3, v52
	ds_write_b64 v52, v[26:27]
	s_or_b64 exec, exec, s[38:39]
	s_and_saveexec_b64 s[28:29], s[26:27]
	s_cbranch_execz .LBB279_301
.LBB279_364:
	v_sub_u32_e32 v26, v49, v78
	v_lshlrev_b32_e32 v26, 3, v26
	ds_write_b64 v26, v[28:29]
	s_or_b64 exec, exec, s[28:29]
	s_and_saveexec_b64 s[26:27], s[24:25]
	s_cbranch_execz .LBB279_302
.LBB279_365:
	v_sub_u32_e32 v26, v48, v78
	v_lshlrev_b32_e32 v26, 3, v26
	ds_write_b64 v26, v[22:23]
	s_or_b64 exec, exec, s[26:27]
	s_and_saveexec_b64 s[24:25], s[22:23]
	s_cbranch_execz .LBB279_303
.LBB279_366:
	v_sub_u32_e32 v22, v47, v78
	v_lshlrev_b32_e32 v22, 3, v22
	ds_write_b64 v22, v[24:25]
	s_or_b64 exec, exec, s[24:25]
	s_and_saveexec_b64 s[22:23], s[20:21]
	s_cbranch_execz .LBB279_304
.LBB279_367:
	v_sub_u32_e32 v22, v46, v78
	v_lshlrev_b32_e32 v22, 3, v22
	ds_write_b64 v22, v[18:19]
	s_or_b64 exec, exec, s[22:23]
	s_and_saveexec_b64 s[20:21], s[18:19]
	s_cbranch_execz .LBB279_305
.LBB279_368:
	v_sub_u32_e32 v18, v45, v78
	v_lshlrev_b32_e32 v18, 3, v18
	ds_write_b64 v18, v[20:21]
	s_or_b64 exec, exec, s[20:21]
	s_and_saveexec_b64 s[18:19], s[16:17]
	s_cbranch_execz .LBB279_306
.LBB279_369:
	v_sub_u32_e32 v18, v44, v78
	v_lshlrev_b32_e32 v18, 3, v18
	ds_write_b64 v18, v[14:15]
	s_or_b64 exec, exec, s[18:19]
	s_and_saveexec_b64 s[16:17], s[14:15]
	s_cbranch_execz .LBB279_307
.LBB279_370:
	v_sub_u32_e32 v14, v43, v78
	v_lshlrev_b32_e32 v14, 3, v14
	ds_write_b64 v14, v[16:17]
	s_or_b64 exec, exec, s[16:17]
	s_and_saveexec_b64 s[14:15], s[12:13]
	s_cbranch_execz .LBB279_308
.LBB279_371:
	v_sub_u32_e32 v14, v42, v78
	v_lshlrev_b32_e32 v14, 3, v14
	ds_write_b64 v14, v[10:11]
	s_or_b64 exec, exec, s[14:15]
	s_and_saveexec_b64 s[12:13], s[10:11]
	s_cbranch_execz .LBB279_309
.LBB279_372:
	v_sub_u32_e32 v10, v41, v78
	v_lshlrev_b32_e32 v10, 3, v10
	ds_write_b64 v10, v[12:13]
	s_or_b64 exec, exec, s[12:13]
	s_and_saveexec_b64 s[10:11], s[8:9]
	s_cbranch_execz .LBB279_310
.LBB279_373:
	v_sub_u32_e32 v10, v40, v78
	v_lshlrev_b32_e32 v10, 3, v10
	ds_write_b64 v10, v[6:7]
	s_or_b64 exec, exec, s[10:11]
	s_and_saveexec_b64 s[8:9], s[6:7]
	s_cbranch_execz .LBB279_311
.LBB279_374:
	v_sub_u32_e32 v6, v39, v78
	v_lshlrev_b32_e32 v6, 3, v6
	ds_write_b64 v6, v[8:9]
	s_or_b64 exec, exec, s[8:9]
	s_and_saveexec_b64 s[6:7], s[4:5]
	s_cbranch_execz .LBB279_312
.LBB279_375:
	v_sub_u32_e32 v6, v38, v78
	v_lshlrev_b32_e32 v6, 3, v6
	ds_write_b64 v6, v[2:3]
	s_or_b64 exec, exec, s[6:7]
	s_and_saveexec_b64 s[4:5], s[2:3]
	s_cbranch_execnz .LBB279_313
	s_branch .LBB279_314
.LBB279_376:
	v_sub_u32_e32 v10, v74, v8
	v_mov_b32_e32 v11, 0
	v_lshlrev_b64 v[10:11], 3, v[10:11]
	v_add_co_u32_e32 v10, vcc, v6, v10
	v_addc_co_u32_e32 v11, vcc, v7, v11, vcc
	global_store_dwordx2 v[10:11], v[104:105], off
	s_or_b64 exec, exec, s[38:39]
	s_and_saveexec_b64 s[38:39], s[26:27]
	s_cbranch_execz .LBB279_318
.LBB279_377:
	v_sub_u32_e32 v10, v49, v8
	v_mov_b32_e32 v11, 0
	v_lshlrev_b64 v[10:11], 3, v[10:11]
	v_add_co_u32_e32 v10, vcc, v6, v10
	v_addc_co_u32_e32 v11, vcc, v7, v11, vcc
	global_store_dwordx2 v[10:11], v[80:81], off
	s_or_b64 exec, exec, s[38:39]
	s_and_saveexec_b64 s[38:39], s[24:25]
	s_cbranch_execz .LBB279_319
.LBB279_378:
	v_sub_u32_e32 v10, v48, v8
	v_mov_b32_e32 v11, 0
	v_lshlrev_b64 v[10:11], 3, v[10:11]
	v_add_co_u32_e32 v10, vcc, v6, v10
	v_addc_co_u32_e32 v11, vcc, v7, v11, vcc
	global_store_dwordx2 v[10:11], v[82:83], off
	s_or_b64 exec, exec, s[38:39]
	s_and_saveexec_b64 s[38:39], s[22:23]
	s_cbranch_execz .LBB279_320
.LBB279_379:
	v_sub_u32_e32 v10, v47, v8
	v_mov_b32_e32 v11, 0
	v_lshlrev_b64 v[10:11], 3, v[10:11]
	v_add_co_u32_e32 v10, vcc, v6, v10
	v_addc_co_u32_e32 v11, vcc, v7, v11, vcc
	global_store_dwordx2 v[10:11], v[84:85], off
	s_or_b64 exec, exec, s[38:39]
	s_and_saveexec_b64 s[38:39], s[20:21]
	s_cbranch_execz .LBB279_321
.LBB279_380:
	v_sub_u32_e32 v10, v46, v8
	v_mov_b32_e32 v11, 0
	v_lshlrev_b64 v[10:11], 3, v[10:11]
	v_add_co_u32_e32 v10, vcc, v6, v10
	v_addc_co_u32_e32 v11, vcc, v7, v11, vcc
	global_store_dwordx2 v[10:11], v[86:87], off
	s_or_b64 exec, exec, s[38:39]
	s_and_saveexec_b64 s[38:39], s[18:19]
	s_cbranch_execz .LBB279_322
.LBB279_381:
	v_sub_u32_e32 v10, v45, v8
	v_mov_b32_e32 v11, 0
	v_lshlrev_b64 v[10:11], 3, v[10:11]
	v_add_co_u32_e32 v10, vcc, v6, v10
	v_addc_co_u32_e32 v11, vcc, v7, v11, vcc
	global_store_dwordx2 v[10:11], v[88:89], off
	s_or_b64 exec, exec, s[38:39]
	s_and_saveexec_b64 s[38:39], s[16:17]
	s_cbranch_execz .LBB279_323
.LBB279_382:
	v_sub_u32_e32 v10, v44, v8
	v_mov_b32_e32 v11, 0
	v_lshlrev_b64 v[10:11], 3, v[10:11]
	v_add_co_u32_e32 v10, vcc, v6, v10
	v_addc_co_u32_e32 v11, vcc, v7, v11, vcc
	global_store_dwordx2 v[10:11], v[90:91], off
	s_or_b64 exec, exec, s[38:39]
	s_and_saveexec_b64 s[38:39], s[14:15]
	s_cbranch_execz .LBB279_324
.LBB279_383:
	v_sub_u32_e32 v10, v43, v8
	v_mov_b32_e32 v11, 0
	v_lshlrev_b64 v[10:11], 3, v[10:11]
	v_add_co_u32_e32 v10, vcc, v6, v10
	v_addc_co_u32_e32 v11, vcc, v7, v11, vcc
	global_store_dwordx2 v[10:11], v[92:93], off
	s_or_b64 exec, exec, s[38:39]
	s_and_saveexec_b64 s[38:39], s[12:13]
	s_cbranch_execz .LBB279_325
.LBB279_384:
	v_sub_u32_e32 v10, v42, v8
	v_mov_b32_e32 v11, 0
	v_lshlrev_b64 v[10:11], 3, v[10:11]
	v_add_co_u32_e32 v10, vcc, v6, v10
	v_addc_co_u32_e32 v11, vcc, v7, v11, vcc
	global_store_dwordx2 v[10:11], v[94:95], off
	s_or_b64 exec, exec, s[38:39]
	s_and_saveexec_b64 s[38:39], s[10:11]
	s_cbranch_execz .LBB279_326
.LBB279_385:
	v_sub_u32_e32 v10, v41, v8
	v_mov_b32_e32 v11, 0
	v_lshlrev_b64 v[10:11], 3, v[10:11]
	v_add_co_u32_e32 v10, vcc, v6, v10
	v_addc_co_u32_e32 v11, vcc, v7, v11, vcc
	global_store_dwordx2 v[10:11], v[96:97], off
	s_or_b64 exec, exec, s[38:39]
	s_and_saveexec_b64 s[38:39], s[8:9]
	s_cbranch_execz .LBB279_327
.LBB279_386:
	v_sub_u32_e32 v10, v40, v8
	v_mov_b32_e32 v11, 0
	v_lshlrev_b64 v[10:11], 3, v[10:11]
	v_add_co_u32_e32 v10, vcc, v6, v10
	v_addc_co_u32_e32 v11, vcc, v7, v11, vcc
	global_store_dwordx2 v[10:11], v[98:99], off
	s_or_b64 exec, exec, s[38:39]
	s_and_saveexec_b64 s[38:39], s[6:7]
	s_cbranch_execz .LBB279_328
.LBB279_387:
	v_sub_u32_e32 v10, v39, v8
	v_mov_b32_e32 v11, 0
	v_lshlrev_b64 v[10:11], 3, v[10:11]
	v_add_co_u32_e32 v10, vcc, v6, v10
	v_addc_co_u32_e32 v11, vcc, v7, v11, vcc
	global_store_dwordx2 v[10:11], v[100:101], off
	s_or_b64 exec, exec, s[38:39]
	s_and_saveexec_b64 s[38:39], s[4:5]
	s_cbranch_execz .LBB279_329
.LBB279_388:
	v_sub_u32_e32 v10, v38, v8
	v_mov_b32_e32 v11, 0
	v_lshlrev_b64 v[10:11], 3, v[10:11]
	v_add_co_u32_e32 v10, vcc, v6, v10
	v_addc_co_u32_e32 v11, vcc, v7, v11, vcc
	global_store_dwordx2 v[10:11], v[102:103], off
	s_or_b64 exec, exec, s[38:39]
	s_and_saveexec_b64 s[38:39], s[2:3]
	s_cbranch_execnz .LBB279_330
	s_branch .LBB279_331
.LBB279_389:
	v_sub_u32_e32 v9, v74, v8
	v_lshlrev_b32_e32 v9, 3, v9
	ds_write_b64 v9, v[104:105]
	s_or_b64 exec, exec, s[38:39]
	s_and_saveexec_b64 s[28:29], s[26:27]
	s_cbranch_execz .LBB279_335
.LBB279_390:
	v_sub_u32_e32 v9, v49, v8
	v_lshlrev_b32_e32 v9, 3, v9
	ds_write_b64 v9, v[80:81]
	s_or_b64 exec, exec, s[28:29]
	s_and_saveexec_b64 s[26:27], s[24:25]
	s_cbranch_execz .LBB279_336
.LBB279_391:
	v_sub_u32_e32 v9, v48, v8
	v_lshlrev_b32_e32 v9, 3, v9
	ds_write_b64 v9, v[82:83]
	s_or_b64 exec, exec, s[26:27]
	s_and_saveexec_b64 s[24:25], s[22:23]
	s_cbranch_execz .LBB279_337
.LBB279_392:
	v_sub_u32_e32 v9, v47, v8
	v_lshlrev_b32_e32 v9, 3, v9
	ds_write_b64 v9, v[84:85]
	s_or_b64 exec, exec, s[24:25]
	s_and_saveexec_b64 s[22:23], s[20:21]
	s_cbranch_execz .LBB279_338
.LBB279_393:
	v_sub_u32_e32 v9, v46, v8
	v_lshlrev_b32_e32 v9, 3, v9
	ds_write_b64 v9, v[86:87]
	s_or_b64 exec, exec, s[22:23]
	s_and_saveexec_b64 s[20:21], s[18:19]
	s_cbranch_execz .LBB279_339
.LBB279_394:
	v_sub_u32_e32 v9, v45, v8
	v_lshlrev_b32_e32 v9, 3, v9
	ds_write_b64 v9, v[88:89]
	s_or_b64 exec, exec, s[20:21]
	s_and_saveexec_b64 s[18:19], s[16:17]
	s_cbranch_execz .LBB279_340
.LBB279_395:
	v_sub_u32_e32 v9, v44, v8
	v_lshlrev_b32_e32 v9, 3, v9
	ds_write_b64 v9, v[90:91]
	s_or_b64 exec, exec, s[18:19]
	s_and_saveexec_b64 s[16:17], s[14:15]
	s_cbranch_execz .LBB279_341
.LBB279_396:
	v_sub_u32_e32 v9, v43, v8
	v_lshlrev_b32_e32 v9, 3, v9
	ds_write_b64 v9, v[92:93]
	s_or_b64 exec, exec, s[16:17]
	s_and_saveexec_b64 s[14:15], s[12:13]
	s_cbranch_execz .LBB279_342
.LBB279_397:
	v_sub_u32_e32 v9, v42, v8
	v_lshlrev_b32_e32 v9, 3, v9
	ds_write_b64 v9, v[94:95]
	s_or_b64 exec, exec, s[14:15]
	s_and_saveexec_b64 s[12:13], s[10:11]
	s_cbranch_execz .LBB279_343
.LBB279_398:
	v_sub_u32_e32 v9, v41, v8
	v_lshlrev_b32_e32 v9, 3, v9
	ds_write_b64 v9, v[96:97]
	s_or_b64 exec, exec, s[12:13]
	s_and_saveexec_b64 s[10:11], s[8:9]
	s_cbranch_execz .LBB279_344
.LBB279_399:
	v_sub_u32_e32 v9, v40, v8
	v_lshlrev_b32_e32 v9, 3, v9
	ds_write_b64 v9, v[98:99]
	s_or_b64 exec, exec, s[10:11]
	s_and_saveexec_b64 s[8:9], s[6:7]
	s_cbranch_execz .LBB279_345
.LBB279_400:
	v_sub_u32_e32 v9, v39, v8
	v_lshlrev_b32_e32 v9, 3, v9
	ds_write_b64 v9, v[100:101]
	s_or_b64 exec, exec, s[8:9]
	s_and_saveexec_b64 s[6:7], s[4:5]
	s_cbranch_execz .LBB279_346
.LBB279_401:
	v_sub_u32_e32 v9, v38, v8
	v_lshlrev_b32_e32 v9, 3, v9
	ds_write_b64 v9, v[102:103]
	s_or_b64 exec, exec, s[6:7]
	s_and_saveexec_b64 s[4:5], s[2:3]
	s_cbranch_execnz .LBB279_347
	s_branch .LBB279_348
	.section	.rodata,"a",@progbits
	.p2align	6, 0x0
	.amdhsa_kernel _ZN7rocprim17ROCPRIM_400000_NS6detail17trampoline_kernelINS0_14default_configENS1_29reduce_by_key_config_selectorIyyN6thrust23THRUST_200600_302600_NS4plusIyEEEEZZNS1_33reduce_by_key_impl_wrapped_configILNS1_25lookback_scan_determinismE0ES3_S9_NS6_6detail15normal_iteratorINS6_10device_ptrIyEEEESG_SG_SG_PmS8_22is_equal_div_10_reduceIyEEE10hipError_tPvRmT2_T3_mT4_T5_T6_T7_T8_P12ihipStream_tbENKUlT_T0_E_clISt17integral_constantIbLb0EES11_EEDaSW_SX_EUlSW_E_NS1_11comp_targetILNS1_3genE4ELNS1_11target_archE910ELNS1_3gpuE8ELNS1_3repE0EEENS1_30default_config_static_selectorELNS0_4arch9wavefront6targetE1EEEvT1_
		.amdhsa_group_segment_fixed_size 30720
		.amdhsa_private_segment_fixed_size 0
		.amdhsa_kernarg_size 136
		.amdhsa_user_sgpr_count 6
		.amdhsa_user_sgpr_private_segment_buffer 1
		.amdhsa_user_sgpr_dispatch_ptr 0
		.amdhsa_user_sgpr_queue_ptr 0
		.amdhsa_user_sgpr_kernarg_segment_ptr 1
		.amdhsa_user_sgpr_dispatch_id 0
		.amdhsa_user_sgpr_flat_scratch_init 0
		.amdhsa_user_sgpr_kernarg_preload_length 0
		.amdhsa_user_sgpr_kernarg_preload_offset 0
		.amdhsa_user_sgpr_private_segment_size 0
		.amdhsa_uses_dynamic_stack 0
		.amdhsa_system_sgpr_private_segment_wavefront_offset 0
		.amdhsa_system_sgpr_workgroup_id_x 1
		.amdhsa_system_sgpr_workgroup_id_y 0
		.amdhsa_system_sgpr_workgroup_id_z 0
		.amdhsa_system_sgpr_workgroup_info 0
		.amdhsa_system_vgpr_workitem_id 0
		.amdhsa_next_free_vgpr 116
		.amdhsa_next_free_sgpr 65
		.amdhsa_accum_offset 116
		.amdhsa_reserve_vcc 1
		.amdhsa_reserve_flat_scratch 0
		.amdhsa_float_round_mode_32 0
		.amdhsa_float_round_mode_16_64 0
		.amdhsa_float_denorm_mode_32 3
		.amdhsa_float_denorm_mode_16_64 3
		.amdhsa_dx10_clamp 1
		.amdhsa_ieee_mode 1
		.amdhsa_fp16_overflow 0
		.amdhsa_tg_split 0
		.amdhsa_exception_fp_ieee_invalid_op 0
		.amdhsa_exception_fp_denorm_src 0
		.amdhsa_exception_fp_ieee_div_zero 0
		.amdhsa_exception_fp_ieee_overflow 0
		.amdhsa_exception_fp_ieee_underflow 0
		.amdhsa_exception_fp_ieee_inexact 0
		.amdhsa_exception_int_div_zero 0
	.end_amdhsa_kernel
	.section	.text._ZN7rocprim17ROCPRIM_400000_NS6detail17trampoline_kernelINS0_14default_configENS1_29reduce_by_key_config_selectorIyyN6thrust23THRUST_200600_302600_NS4plusIyEEEEZZNS1_33reduce_by_key_impl_wrapped_configILNS1_25lookback_scan_determinismE0ES3_S9_NS6_6detail15normal_iteratorINS6_10device_ptrIyEEEESG_SG_SG_PmS8_22is_equal_div_10_reduceIyEEE10hipError_tPvRmT2_T3_mT4_T5_T6_T7_T8_P12ihipStream_tbENKUlT_T0_E_clISt17integral_constantIbLb0EES11_EEDaSW_SX_EUlSW_E_NS1_11comp_targetILNS1_3genE4ELNS1_11target_archE910ELNS1_3gpuE8ELNS1_3repE0EEENS1_30default_config_static_selectorELNS0_4arch9wavefront6targetE1EEEvT1_,"axG",@progbits,_ZN7rocprim17ROCPRIM_400000_NS6detail17trampoline_kernelINS0_14default_configENS1_29reduce_by_key_config_selectorIyyN6thrust23THRUST_200600_302600_NS4plusIyEEEEZZNS1_33reduce_by_key_impl_wrapped_configILNS1_25lookback_scan_determinismE0ES3_S9_NS6_6detail15normal_iteratorINS6_10device_ptrIyEEEESG_SG_SG_PmS8_22is_equal_div_10_reduceIyEEE10hipError_tPvRmT2_T3_mT4_T5_T6_T7_T8_P12ihipStream_tbENKUlT_T0_E_clISt17integral_constantIbLb0EES11_EEDaSW_SX_EUlSW_E_NS1_11comp_targetILNS1_3genE4ELNS1_11target_archE910ELNS1_3gpuE8ELNS1_3repE0EEENS1_30default_config_static_selectorELNS0_4arch9wavefront6targetE1EEEvT1_,comdat
.Lfunc_end279:
	.size	_ZN7rocprim17ROCPRIM_400000_NS6detail17trampoline_kernelINS0_14default_configENS1_29reduce_by_key_config_selectorIyyN6thrust23THRUST_200600_302600_NS4plusIyEEEEZZNS1_33reduce_by_key_impl_wrapped_configILNS1_25lookback_scan_determinismE0ES3_S9_NS6_6detail15normal_iteratorINS6_10device_ptrIyEEEESG_SG_SG_PmS8_22is_equal_div_10_reduceIyEEE10hipError_tPvRmT2_T3_mT4_T5_T6_T7_T8_P12ihipStream_tbENKUlT_T0_E_clISt17integral_constantIbLb0EES11_EEDaSW_SX_EUlSW_E_NS1_11comp_targetILNS1_3genE4ELNS1_11target_archE910ELNS1_3gpuE8ELNS1_3repE0EEENS1_30default_config_static_selectorELNS0_4arch9wavefront6targetE1EEEvT1_, .Lfunc_end279-_ZN7rocprim17ROCPRIM_400000_NS6detail17trampoline_kernelINS0_14default_configENS1_29reduce_by_key_config_selectorIyyN6thrust23THRUST_200600_302600_NS4plusIyEEEEZZNS1_33reduce_by_key_impl_wrapped_configILNS1_25lookback_scan_determinismE0ES3_S9_NS6_6detail15normal_iteratorINS6_10device_ptrIyEEEESG_SG_SG_PmS8_22is_equal_div_10_reduceIyEEE10hipError_tPvRmT2_T3_mT4_T5_T6_T7_T8_P12ihipStream_tbENKUlT_T0_E_clISt17integral_constantIbLb0EES11_EEDaSW_SX_EUlSW_E_NS1_11comp_targetILNS1_3genE4ELNS1_11target_archE910ELNS1_3gpuE8ELNS1_3repE0EEENS1_30default_config_static_selectorELNS0_4arch9wavefront6targetE1EEEvT1_
                                        ; -- End function
	.section	.AMDGPU.csdata,"",@progbits
; Kernel info:
; codeLenInByte = 18820
; NumSgprs: 69
; NumVgprs: 116
; NumAgprs: 0
; TotalNumVgprs: 116
; ScratchSize: 0
; MemoryBound: 0
; FloatMode: 240
; IeeeMode: 1
; LDSByteSize: 30720 bytes/workgroup (compile time only)
; SGPRBlocks: 8
; VGPRBlocks: 14
; NumSGPRsForWavesPerEU: 69
; NumVGPRsForWavesPerEU: 116
; AccumOffset: 116
; Occupancy: 2
; WaveLimiterHint : 1
; COMPUTE_PGM_RSRC2:SCRATCH_EN: 0
; COMPUTE_PGM_RSRC2:USER_SGPR: 6
; COMPUTE_PGM_RSRC2:TRAP_HANDLER: 0
; COMPUTE_PGM_RSRC2:TGID_X_EN: 1
; COMPUTE_PGM_RSRC2:TGID_Y_EN: 0
; COMPUTE_PGM_RSRC2:TGID_Z_EN: 0
; COMPUTE_PGM_RSRC2:TIDIG_COMP_CNT: 0
; COMPUTE_PGM_RSRC3_GFX90A:ACCUM_OFFSET: 28
; COMPUTE_PGM_RSRC3_GFX90A:TG_SPLIT: 0
	.section	.text._ZN7rocprim17ROCPRIM_400000_NS6detail17trampoline_kernelINS0_14default_configENS1_29reduce_by_key_config_selectorIyyN6thrust23THRUST_200600_302600_NS4plusIyEEEEZZNS1_33reduce_by_key_impl_wrapped_configILNS1_25lookback_scan_determinismE0ES3_S9_NS6_6detail15normal_iteratorINS6_10device_ptrIyEEEESG_SG_SG_PmS8_22is_equal_div_10_reduceIyEEE10hipError_tPvRmT2_T3_mT4_T5_T6_T7_T8_P12ihipStream_tbENKUlT_T0_E_clISt17integral_constantIbLb0EES11_EEDaSW_SX_EUlSW_E_NS1_11comp_targetILNS1_3genE3ELNS1_11target_archE908ELNS1_3gpuE7ELNS1_3repE0EEENS1_30default_config_static_selectorELNS0_4arch9wavefront6targetE1EEEvT1_,"axG",@progbits,_ZN7rocprim17ROCPRIM_400000_NS6detail17trampoline_kernelINS0_14default_configENS1_29reduce_by_key_config_selectorIyyN6thrust23THRUST_200600_302600_NS4plusIyEEEEZZNS1_33reduce_by_key_impl_wrapped_configILNS1_25lookback_scan_determinismE0ES3_S9_NS6_6detail15normal_iteratorINS6_10device_ptrIyEEEESG_SG_SG_PmS8_22is_equal_div_10_reduceIyEEE10hipError_tPvRmT2_T3_mT4_T5_T6_T7_T8_P12ihipStream_tbENKUlT_T0_E_clISt17integral_constantIbLb0EES11_EEDaSW_SX_EUlSW_E_NS1_11comp_targetILNS1_3genE3ELNS1_11target_archE908ELNS1_3gpuE7ELNS1_3repE0EEENS1_30default_config_static_selectorELNS0_4arch9wavefront6targetE1EEEvT1_,comdat
	.protected	_ZN7rocprim17ROCPRIM_400000_NS6detail17trampoline_kernelINS0_14default_configENS1_29reduce_by_key_config_selectorIyyN6thrust23THRUST_200600_302600_NS4plusIyEEEEZZNS1_33reduce_by_key_impl_wrapped_configILNS1_25lookback_scan_determinismE0ES3_S9_NS6_6detail15normal_iteratorINS6_10device_ptrIyEEEESG_SG_SG_PmS8_22is_equal_div_10_reduceIyEEE10hipError_tPvRmT2_T3_mT4_T5_T6_T7_T8_P12ihipStream_tbENKUlT_T0_E_clISt17integral_constantIbLb0EES11_EEDaSW_SX_EUlSW_E_NS1_11comp_targetILNS1_3genE3ELNS1_11target_archE908ELNS1_3gpuE7ELNS1_3repE0EEENS1_30default_config_static_selectorELNS0_4arch9wavefront6targetE1EEEvT1_ ; -- Begin function _ZN7rocprim17ROCPRIM_400000_NS6detail17trampoline_kernelINS0_14default_configENS1_29reduce_by_key_config_selectorIyyN6thrust23THRUST_200600_302600_NS4plusIyEEEEZZNS1_33reduce_by_key_impl_wrapped_configILNS1_25lookback_scan_determinismE0ES3_S9_NS6_6detail15normal_iteratorINS6_10device_ptrIyEEEESG_SG_SG_PmS8_22is_equal_div_10_reduceIyEEE10hipError_tPvRmT2_T3_mT4_T5_T6_T7_T8_P12ihipStream_tbENKUlT_T0_E_clISt17integral_constantIbLb0EES11_EEDaSW_SX_EUlSW_E_NS1_11comp_targetILNS1_3genE3ELNS1_11target_archE908ELNS1_3gpuE7ELNS1_3repE0EEENS1_30default_config_static_selectorELNS0_4arch9wavefront6targetE1EEEvT1_
	.globl	_ZN7rocprim17ROCPRIM_400000_NS6detail17trampoline_kernelINS0_14default_configENS1_29reduce_by_key_config_selectorIyyN6thrust23THRUST_200600_302600_NS4plusIyEEEEZZNS1_33reduce_by_key_impl_wrapped_configILNS1_25lookback_scan_determinismE0ES3_S9_NS6_6detail15normal_iteratorINS6_10device_ptrIyEEEESG_SG_SG_PmS8_22is_equal_div_10_reduceIyEEE10hipError_tPvRmT2_T3_mT4_T5_T6_T7_T8_P12ihipStream_tbENKUlT_T0_E_clISt17integral_constantIbLb0EES11_EEDaSW_SX_EUlSW_E_NS1_11comp_targetILNS1_3genE3ELNS1_11target_archE908ELNS1_3gpuE7ELNS1_3repE0EEENS1_30default_config_static_selectorELNS0_4arch9wavefront6targetE1EEEvT1_
	.p2align	8
	.type	_ZN7rocprim17ROCPRIM_400000_NS6detail17trampoline_kernelINS0_14default_configENS1_29reduce_by_key_config_selectorIyyN6thrust23THRUST_200600_302600_NS4plusIyEEEEZZNS1_33reduce_by_key_impl_wrapped_configILNS1_25lookback_scan_determinismE0ES3_S9_NS6_6detail15normal_iteratorINS6_10device_ptrIyEEEESG_SG_SG_PmS8_22is_equal_div_10_reduceIyEEE10hipError_tPvRmT2_T3_mT4_T5_T6_T7_T8_P12ihipStream_tbENKUlT_T0_E_clISt17integral_constantIbLb0EES11_EEDaSW_SX_EUlSW_E_NS1_11comp_targetILNS1_3genE3ELNS1_11target_archE908ELNS1_3gpuE7ELNS1_3repE0EEENS1_30default_config_static_selectorELNS0_4arch9wavefront6targetE1EEEvT1_,@function
_ZN7rocprim17ROCPRIM_400000_NS6detail17trampoline_kernelINS0_14default_configENS1_29reduce_by_key_config_selectorIyyN6thrust23THRUST_200600_302600_NS4plusIyEEEEZZNS1_33reduce_by_key_impl_wrapped_configILNS1_25lookback_scan_determinismE0ES3_S9_NS6_6detail15normal_iteratorINS6_10device_ptrIyEEEESG_SG_SG_PmS8_22is_equal_div_10_reduceIyEEE10hipError_tPvRmT2_T3_mT4_T5_T6_T7_T8_P12ihipStream_tbENKUlT_T0_E_clISt17integral_constantIbLb0EES11_EEDaSW_SX_EUlSW_E_NS1_11comp_targetILNS1_3genE3ELNS1_11target_archE908ELNS1_3gpuE7ELNS1_3repE0EEENS1_30default_config_static_selectorELNS0_4arch9wavefront6targetE1EEEvT1_: ; @_ZN7rocprim17ROCPRIM_400000_NS6detail17trampoline_kernelINS0_14default_configENS1_29reduce_by_key_config_selectorIyyN6thrust23THRUST_200600_302600_NS4plusIyEEEEZZNS1_33reduce_by_key_impl_wrapped_configILNS1_25lookback_scan_determinismE0ES3_S9_NS6_6detail15normal_iteratorINS6_10device_ptrIyEEEESG_SG_SG_PmS8_22is_equal_div_10_reduceIyEEE10hipError_tPvRmT2_T3_mT4_T5_T6_T7_T8_P12ihipStream_tbENKUlT_T0_E_clISt17integral_constantIbLb0EES11_EEDaSW_SX_EUlSW_E_NS1_11comp_targetILNS1_3genE3ELNS1_11target_archE908ELNS1_3gpuE7ELNS1_3repE0EEENS1_30default_config_static_selectorELNS0_4arch9wavefront6targetE1EEEvT1_
; %bb.0:
	.section	.rodata,"a",@progbits
	.p2align	6, 0x0
	.amdhsa_kernel _ZN7rocprim17ROCPRIM_400000_NS6detail17trampoline_kernelINS0_14default_configENS1_29reduce_by_key_config_selectorIyyN6thrust23THRUST_200600_302600_NS4plusIyEEEEZZNS1_33reduce_by_key_impl_wrapped_configILNS1_25lookback_scan_determinismE0ES3_S9_NS6_6detail15normal_iteratorINS6_10device_ptrIyEEEESG_SG_SG_PmS8_22is_equal_div_10_reduceIyEEE10hipError_tPvRmT2_T3_mT4_T5_T6_T7_T8_P12ihipStream_tbENKUlT_T0_E_clISt17integral_constantIbLb0EES11_EEDaSW_SX_EUlSW_E_NS1_11comp_targetILNS1_3genE3ELNS1_11target_archE908ELNS1_3gpuE7ELNS1_3repE0EEENS1_30default_config_static_selectorELNS0_4arch9wavefront6targetE1EEEvT1_
		.amdhsa_group_segment_fixed_size 0
		.amdhsa_private_segment_fixed_size 0
		.amdhsa_kernarg_size 136
		.amdhsa_user_sgpr_count 6
		.amdhsa_user_sgpr_private_segment_buffer 1
		.amdhsa_user_sgpr_dispatch_ptr 0
		.amdhsa_user_sgpr_queue_ptr 0
		.amdhsa_user_sgpr_kernarg_segment_ptr 1
		.amdhsa_user_sgpr_dispatch_id 0
		.amdhsa_user_sgpr_flat_scratch_init 0
		.amdhsa_user_sgpr_kernarg_preload_length 0
		.amdhsa_user_sgpr_kernarg_preload_offset 0
		.amdhsa_user_sgpr_private_segment_size 0
		.amdhsa_uses_dynamic_stack 0
		.amdhsa_system_sgpr_private_segment_wavefront_offset 0
		.amdhsa_system_sgpr_workgroup_id_x 1
		.amdhsa_system_sgpr_workgroup_id_y 0
		.amdhsa_system_sgpr_workgroup_id_z 0
		.amdhsa_system_sgpr_workgroup_info 0
		.amdhsa_system_vgpr_workitem_id 0
		.amdhsa_next_free_vgpr 1
		.amdhsa_next_free_sgpr 0
		.amdhsa_accum_offset 4
		.amdhsa_reserve_vcc 0
		.amdhsa_reserve_flat_scratch 0
		.amdhsa_float_round_mode_32 0
		.amdhsa_float_round_mode_16_64 0
		.amdhsa_float_denorm_mode_32 3
		.amdhsa_float_denorm_mode_16_64 3
		.amdhsa_dx10_clamp 1
		.amdhsa_ieee_mode 1
		.amdhsa_fp16_overflow 0
		.amdhsa_tg_split 0
		.amdhsa_exception_fp_ieee_invalid_op 0
		.amdhsa_exception_fp_denorm_src 0
		.amdhsa_exception_fp_ieee_div_zero 0
		.amdhsa_exception_fp_ieee_overflow 0
		.amdhsa_exception_fp_ieee_underflow 0
		.amdhsa_exception_fp_ieee_inexact 0
		.amdhsa_exception_int_div_zero 0
	.end_amdhsa_kernel
	.section	.text._ZN7rocprim17ROCPRIM_400000_NS6detail17trampoline_kernelINS0_14default_configENS1_29reduce_by_key_config_selectorIyyN6thrust23THRUST_200600_302600_NS4plusIyEEEEZZNS1_33reduce_by_key_impl_wrapped_configILNS1_25lookback_scan_determinismE0ES3_S9_NS6_6detail15normal_iteratorINS6_10device_ptrIyEEEESG_SG_SG_PmS8_22is_equal_div_10_reduceIyEEE10hipError_tPvRmT2_T3_mT4_T5_T6_T7_T8_P12ihipStream_tbENKUlT_T0_E_clISt17integral_constantIbLb0EES11_EEDaSW_SX_EUlSW_E_NS1_11comp_targetILNS1_3genE3ELNS1_11target_archE908ELNS1_3gpuE7ELNS1_3repE0EEENS1_30default_config_static_selectorELNS0_4arch9wavefront6targetE1EEEvT1_,"axG",@progbits,_ZN7rocprim17ROCPRIM_400000_NS6detail17trampoline_kernelINS0_14default_configENS1_29reduce_by_key_config_selectorIyyN6thrust23THRUST_200600_302600_NS4plusIyEEEEZZNS1_33reduce_by_key_impl_wrapped_configILNS1_25lookback_scan_determinismE0ES3_S9_NS6_6detail15normal_iteratorINS6_10device_ptrIyEEEESG_SG_SG_PmS8_22is_equal_div_10_reduceIyEEE10hipError_tPvRmT2_T3_mT4_T5_T6_T7_T8_P12ihipStream_tbENKUlT_T0_E_clISt17integral_constantIbLb0EES11_EEDaSW_SX_EUlSW_E_NS1_11comp_targetILNS1_3genE3ELNS1_11target_archE908ELNS1_3gpuE7ELNS1_3repE0EEENS1_30default_config_static_selectorELNS0_4arch9wavefront6targetE1EEEvT1_,comdat
.Lfunc_end280:
	.size	_ZN7rocprim17ROCPRIM_400000_NS6detail17trampoline_kernelINS0_14default_configENS1_29reduce_by_key_config_selectorIyyN6thrust23THRUST_200600_302600_NS4plusIyEEEEZZNS1_33reduce_by_key_impl_wrapped_configILNS1_25lookback_scan_determinismE0ES3_S9_NS6_6detail15normal_iteratorINS6_10device_ptrIyEEEESG_SG_SG_PmS8_22is_equal_div_10_reduceIyEEE10hipError_tPvRmT2_T3_mT4_T5_T6_T7_T8_P12ihipStream_tbENKUlT_T0_E_clISt17integral_constantIbLb0EES11_EEDaSW_SX_EUlSW_E_NS1_11comp_targetILNS1_3genE3ELNS1_11target_archE908ELNS1_3gpuE7ELNS1_3repE0EEENS1_30default_config_static_selectorELNS0_4arch9wavefront6targetE1EEEvT1_, .Lfunc_end280-_ZN7rocprim17ROCPRIM_400000_NS6detail17trampoline_kernelINS0_14default_configENS1_29reduce_by_key_config_selectorIyyN6thrust23THRUST_200600_302600_NS4plusIyEEEEZZNS1_33reduce_by_key_impl_wrapped_configILNS1_25lookback_scan_determinismE0ES3_S9_NS6_6detail15normal_iteratorINS6_10device_ptrIyEEEESG_SG_SG_PmS8_22is_equal_div_10_reduceIyEEE10hipError_tPvRmT2_T3_mT4_T5_T6_T7_T8_P12ihipStream_tbENKUlT_T0_E_clISt17integral_constantIbLb0EES11_EEDaSW_SX_EUlSW_E_NS1_11comp_targetILNS1_3genE3ELNS1_11target_archE908ELNS1_3gpuE7ELNS1_3repE0EEENS1_30default_config_static_selectorELNS0_4arch9wavefront6targetE1EEEvT1_
                                        ; -- End function
	.section	.AMDGPU.csdata,"",@progbits
; Kernel info:
; codeLenInByte = 0
; NumSgprs: 4
; NumVgprs: 0
; NumAgprs: 0
; TotalNumVgprs: 0
; ScratchSize: 0
; MemoryBound: 0
; FloatMode: 240
; IeeeMode: 1
; LDSByteSize: 0 bytes/workgroup (compile time only)
; SGPRBlocks: 0
; VGPRBlocks: 0
; NumSGPRsForWavesPerEU: 4
; NumVGPRsForWavesPerEU: 1
; AccumOffset: 4
; Occupancy: 8
; WaveLimiterHint : 0
; COMPUTE_PGM_RSRC2:SCRATCH_EN: 0
; COMPUTE_PGM_RSRC2:USER_SGPR: 6
; COMPUTE_PGM_RSRC2:TRAP_HANDLER: 0
; COMPUTE_PGM_RSRC2:TGID_X_EN: 1
; COMPUTE_PGM_RSRC2:TGID_Y_EN: 0
; COMPUTE_PGM_RSRC2:TGID_Z_EN: 0
; COMPUTE_PGM_RSRC2:TIDIG_COMP_CNT: 0
; COMPUTE_PGM_RSRC3_GFX90A:ACCUM_OFFSET: 0
; COMPUTE_PGM_RSRC3_GFX90A:TG_SPLIT: 0
	.section	.text._ZN7rocprim17ROCPRIM_400000_NS6detail17trampoline_kernelINS0_14default_configENS1_29reduce_by_key_config_selectorIyyN6thrust23THRUST_200600_302600_NS4plusIyEEEEZZNS1_33reduce_by_key_impl_wrapped_configILNS1_25lookback_scan_determinismE0ES3_S9_NS6_6detail15normal_iteratorINS6_10device_ptrIyEEEESG_SG_SG_PmS8_22is_equal_div_10_reduceIyEEE10hipError_tPvRmT2_T3_mT4_T5_T6_T7_T8_P12ihipStream_tbENKUlT_T0_E_clISt17integral_constantIbLb0EES11_EEDaSW_SX_EUlSW_E_NS1_11comp_targetILNS1_3genE2ELNS1_11target_archE906ELNS1_3gpuE6ELNS1_3repE0EEENS1_30default_config_static_selectorELNS0_4arch9wavefront6targetE1EEEvT1_,"axG",@progbits,_ZN7rocprim17ROCPRIM_400000_NS6detail17trampoline_kernelINS0_14default_configENS1_29reduce_by_key_config_selectorIyyN6thrust23THRUST_200600_302600_NS4plusIyEEEEZZNS1_33reduce_by_key_impl_wrapped_configILNS1_25lookback_scan_determinismE0ES3_S9_NS6_6detail15normal_iteratorINS6_10device_ptrIyEEEESG_SG_SG_PmS8_22is_equal_div_10_reduceIyEEE10hipError_tPvRmT2_T3_mT4_T5_T6_T7_T8_P12ihipStream_tbENKUlT_T0_E_clISt17integral_constantIbLb0EES11_EEDaSW_SX_EUlSW_E_NS1_11comp_targetILNS1_3genE2ELNS1_11target_archE906ELNS1_3gpuE6ELNS1_3repE0EEENS1_30default_config_static_selectorELNS0_4arch9wavefront6targetE1EEEvT1_,comdat
	.protected	_ZN7rocprim17ROCPRIM_400000_NS6detail17trampoline_kernelINS0_14default_configENS1_29reduce_by_key_config_selectorIyyN6thrust23THRUST_200600_302600_NS4plusIyEEEEZZNS1_33reduce_by_key_impl_wrapped_configILNS1_25lookback_scan_determinismE0ES3_S9_NS6_6detail15normal_iteratorINS6_10device_ptrIyEEEESG_SG_SG_PmS8_22is_equal_div_10_reduceIyEEE10hipError_tPvRmT2_T3_mT4_T5_T6_T7_T8_P12ihipStream_tbENKUlT_T0_E_clISt17integral_constantIbLb0EES11_EEDaSW_SX_EUlSW_E_NS1_11comp_targetILNS1_3genE2ELNS1_11target_archE906ELNS1_3gpuE6ELNS1_3repE0EEENS1_30default_config_static_selectorELNS0_4arch9wavefront6targetE1EEEvT1_ ; -- Begin function _ZN7rocprim17ROCPRIM_400000_NS6detail17trampoline_kernelINS0_14default_configENS1_29reduce_by_key_config_selectorIyyN6thrust23THRUST_200600_302600_NS4plusIyEEEEZZNS1_33reduce_by_key_impl_wrapped_configILNS1_25lookback_scan_determinismE0ES3_S9_NS6_6detail15normal_iteratorINS6_10device_ptrIyEEEESG_SG_SG_PmS8_22is_equal_div_10_reduceIyEEE10hipError_tPvRmT2_T3_mT4_T5_T6_T7_T8_P12ihipStream_tbENKUlT_T0_E_clISt17integral_constantIbLb0EES11_EEDaSW_SX_EUlSW_E_NS1_11comp_targetILNS1_3genE2ELNS1_11target_archE906ELNS1_3gpuE6ELNS1_3repE0EEENS1_30default_config_static_selectorELNS0_4arch9wavefront6targetE1EEEvT1_
	.globl	_ZN7rocprim17ROCPRIM_400000_NS6detail17trampoline_kernelINS0_14default_configENS1_29reduce_by_key_config_selectorIyyN6thrust23THRUST_200600_302600_NS4plusIyEEEEZZNS1_33reduce_by_key_impl_wrapped_configILNS1_25lookback_scan_determinismE0ES3_S9_NS6_6detail15normal_iteratorINS6_10device_ptrIyEEEESG_SG_SG_PmS8_22is_equal_div_10_reduceIyEEE10hipError_tPvRmT2_T3_mT4_T5_T6_T7_T8_P12ihipStream_tbENKUlT_T0_E_clISt17integral_constantIbLb0EES11_EEDaSW_SX_EUlSW_E_NS1_11comp_targetILNS1_3genE2ELNS1_11target_archE906ELNS1_3gpuE6ELNS1_3repE0EEENS1_30default_config_static_selectorELNS0_4arch9wavefront6targetE1EEEvT1_
	.p2align	8
	.type	_ZN7rocprim17ROCPRIM_400000_NS6detail17trampoline_kernelINS0_14default_configENS1_29reduce_by_key_config_selectorIyyN6thrust23THRUST_200600_302600_NS4plusIyEEEEZZNS1_33reduce_by_key_impl_wrapped_configILNS1_25lookback_scan_determinismE0ES3_S9_NS6_6detail15normal_iteratorINS6_10device_ptrIyEEEESG_SG_SG_PmS8_22is_equal_div_10_reduceIyEEE10hipError_tPvRmT2_T3_mT4_T5_T6_T7_T8_P12ihipStream_tbENKUlT_T0_E_clISt17integral_constantIbLb0EES11_EEDaSW_SX_EUlSW_E_NS1_11comp_targetILNS1_3genE2ELNS1_11target_archE906ELNS1_3gpuE6ELNS1_3repE0EEENS1_30default_config_static_selectorELNS0_4arch9wavefront6targetE1EEEvT1_,@function
_ZN7rocprim17ROCPRIM_400000_NS6detail17trampoline_kernelINS0_14default_configENS1_29reduce_by_key_config_selectorIyyN6thrust23THRUST_200600_302600_NS4plusIyEEEEZZNS1_33reduce_by_key_impl_wrapped_configILNS1_25lookback_scan_determinismE0ES3_S9_NS6_6detail15normal_iteratorINS6_10device_ptrIyEEEESG_SG_SG_PmS8_22is_equal_div_10_reduceIyEEE10hipError_tPvRmT2_T3_mT4_T5_T6_T7_T8_P12ihipStream_tbENKUlT_T0_E_clISt17integral_constantIbLb0EES11_EEDaSW_SX_EUlSW_E_NS1_11comp_targetILNS1_3genE2ELNS1_11target_archE906ELNS1_3gpuE6ELNS1_3repE0EEENS1_30default_config_static_selectorELNS0_4arch9wavefront6targetE1EEEvT1_: ; @_ZN7rocprim17ROCPRIM_400000_NS6detail17trampoline_kernelINS0_14default_configENS1_29reduce_by_key_config_selectorIyyN6thrust23THRUST_200600_302600_NS4plusIyEEEEZZNS1_33reduce_by_key_impl_wrapped_configILNS1_25lookback_scan_determinismE0ES3_S9_NS6_6detail15normal_iteratorINS6_10device_ptrIyEEEESG_SG_SG_PmS8_22is_equal_div_10_reduceIyEEE10hipError_tPvRmT2_T3_mT4_T5_T6_T7_T8_P12ihipStream_tbENKUlT_T0_E_clISt17integral_constantIbLb0EES11_EEDaSW_SX_EUlSW_E_NS1_11comp_targetILNS1_3genE2ELNS1_11target_archE906ELNS1_3gpuE6ELNS1_3repE0EEENS1_30default_config_static_selectorELNS0_4arch9wavefront6targetE1EEEvT1_
; %bb.0:
	.section	.rodata,"a",@progbits
	.p2align	6, 0x0
	.amdhsa_kernel _ZN7rocprim17ROCPRIM_400000_NS6detail17trampoline_kernelINS0_14default_configENS1_29reduce_by_key_config_selectorIyyN6thrust23THRUST_200600_302600_NS4plusIyEEEEZZNS1_33reduce_by_key_impl_wrapped_configILNS1_25lookback_scan_determinismE0ES3_S9_NS6_6detail15normal_iteratorINS6_10device_ptrIyEEEESG_SG_SG_PmS8_22is_equal_div_10_reduceIyEEE10hipError_tPvRmT2_T3_mT4_T5_T6_T7_T8_P12ihipStream_tbENKUlT_T0_E_clISt17integral_constantIbLb0EES11_EEDaSW_SX_EUlSW_E_NS1_11comp_targetILNS1_3genE2ELNS1_11target_archE906ELNS1_3gpuE6ELNS1_3repE0EEENS1_30default_config_static_selectorELNS0_4arch9wavefront6targetE1EEEvT1_
		.amdhsa_group_segment_fixed_size 0
		.amdhsa_private_segment_fixed_size 0
		.amdhsa_kernarg_size 136
		.amdhsa_user_sgpr_count 6
		.amdhsa_user_sgpr_private_segment_buffer 1
		.amdhsa_user_sgpr_dispatch_ptr 0
		.amdhsa_user_sgpr_queue_ptr 0
		.amdhsa_user_sgpr_kernarg_segment_ptr 1
		.amdhsa_user_sgpr_dispatch_id 0
		.amdhsa_user_sgpr_flat_scratch_init 0
		.amdhsa_user_sgpr_kernarg_preload_length 0
		.amdhsa_user_sgpr_kernarg_preload_offset 0
		.amdhsa_user_sgpr_private_segment_size 0
		.amdhsa_uses_dynamic_stack 0
		.amdhsa_system_sgpr_private_segment_wavefront_offset 0
		.amdhsa_system_sgpr_workgroup_id_x 1
		.amdhsa_system_sgpr_workgroup_id_y 0
		.amdhsa_system_sgpr_workgroup_id_z 0
		.amdhsa_system_sgpr_workgroup_info 0
		.amdhsa_system_vgpr_workitem_id 0
		.amdhsa_next_free_vgpr 1
		.amdhsa_next_free_sgpr 0
		.amdhsa_accum_offset 4
		.amdhsa_reserve_vcc 0
		.amdhsa_reserve_flat_scratch 0
		.amdhsa_float_round_mode_32 0
		.amdhsa_float_round_mode_16_64 0
		.amdhsa_float_denorm_mode_32 3
		.amdhsa_float_denorm_mode_16_64 3
		.amdhsa_dx10_clamp 1
		.amdhsa_ieee_mode 1
		.amdhsa_fp16_overflow 0
		.amdhsa_tg_split 0
		.amdhsa_exception_fp_ieee_invalid_op 0
		.amdhsa_exception_fp_denorm_src 0
		.amdhsa_exception_fp_ieee_div_zero 0
		.amdhsa_exception_fp_ieee_overflow 0
		.amdhsa_exception_fp_ieee_underflow 0
		.amdhsa_exception_fp_ieee_inexact 0
		.amdhsa_exception_int_div_zero 0
	.end_amdhsa_kernel
	.section	.text._ZN7rocprim17ROCPRIM_400000_NS6detail17trampoline_kernelINS0_14default_configENS1_29reduce_by_key_config_selectorIyyN6thrust23THRUST_200600_302600_NS4plusIyEEEEZZNS1_33reduce_by_key_impl_wrapped_configILNS1_25lookback_scan_determinismE0ES3_S9_NS6_6detail15normal_iteratorINS6_10device_ptrIyEEEESG_SG_SG_PmS8_22is_equal_div_10_reduceIyEEE10hipError_tPvRmT2_T3_mT4_T5_T6_T7_T8_P12ihipStream_tbENKUlT_T0_E_clISt17integral_constantIbLb0EES11_EEDaSW_SX_EUlSW_E_NS1_11comp_targetILNS1_3genE2ELNS1_11target_archE906ELNS1_3gpuE6ELNS1_3repE0EEENS1_30default_config_static_selectorELNS0_4arch9wavefront6targetE1EEEvT1_,"axG",@progbits,_ZN7rocprim17ROCPRIM_400000_NS6detail17trampoline_kernelINS0_14default_configENS1_29reduce_by_key_config_selectorIyyN6thrust23THRUST_200600_302600_NS4plusIyEEEEZZNS1_33reduce_by_key_impl_wrapped_configILNS1_25lookback_scan_determinismE0ES3_S9_NS6_6detail15normal_iteratorINS6_10device_ptrIyEEEESG_SG_SG_PmS8_22is_equal_div_10_reduceIyEEE10hipError_tPvRmT2_T3_mT4_T5_T6_T7_T8_P12ihipStream_tbENKUlT_T0_E_clISt17integral_constantIbLb0EES11_EEDaSW_SX_EUlSW_E_NS1_11comp_targetILNS1_3genE2ELNS1_11target_archE906ELNS1_3gpuE6ELNS1_3repE0EEENS1_30default_config_static_selectorELNS0_4arch9wavefront6targetE1EEEvT1_,comdat
.Lfunc_end281:
	.size	_ZN7rocprim17ROCPRIM_400000_NS6detail17trampoline_kernelINS0_14default_configENS1_29reduce_by_key_config_selectorIyyN6thrust23THRUST_200600_302600_NS4plusIyEEEEZZNS1_33reduce_by_key_impl_wrapped_configILNS1_25lookback_scan_determinismE0ES3_S9_NS6_6detail15normal_iteratorINS6_10device_ptrIyEEEESG_SG_SG_PmS8_22is_equal_div_10_reduceIyEEE10hipError_tPvRmT2_T3_mT4_T5_T6_T7_T8_P12ihipStream_tbENKUlT_T0_E_clISt17integral_constantIbLb0EES11_EEDaSW_SX_EUlSW_E_NS1_11comp_targetILNS1_3genE2ELNS1_11target_archE906ELNS1_3gpuE6ELNS1_3repE0EEENS1_30default_config_static_selectorELNS0_4arch9wavefront6targetE1EEEvT1_, .Lfunc_end281-_ZN7rocprim17ROCPRIM_400000_NS6detail17trampoline_kernelINS0_14default_configENS1_29reduce_by_key_config_selectorIyyN6thrust23THRUST_200600_302600_NS4plusIyEEEEZZNS1_33reduce_by_key_impl_wrapped_configILNS1_25lookback_scan_determinismE0ES3_S9_NS6_6detail15normal_iteratorINS6_10device_ptrIyEEEESG_SG_SG_PmS8_22is_equal_div_10_reduceIyEEE10hipError_tPvRmT2_T3_mT4_T5_T6_T7_T8_P12ihipStream_tbENKUlT_T0_E_clISt17integral_constantIbLb0EES11_EEDaSW_SX_EUlSW_E_NS1_11comp_targetILNS1_3genE2ELNS1_11target_archE906ELNS1_3gpuE6ELNS1_3repE0EEENS1_30default_config_static_selectorELNS0_4arch9wavefront6targetE1EEEvT1_
                                        ; -- End function
	.section	.AMDGPU.csdata,"",@progbits
; Kernel info:
; codeLenInByte = 0
; NumSgprs: 4
; NumVgprs: 0
; NumAgprs: 0
; TotalNumVgprs: 0
; ScratchSize: 0
; MemoryBound: 0
; FloatMode: 240
; IeeeMode: 1
; LDSByteSize: 0 bytes/workgroup (compile time only)
; SGPRBlocks: 0
; VGPRBlocks: 0
; NumSGPRsForWavesPerEU: 4
; NumVGPRsForWavesPerEU: 1
; AccumOffset: 4
; Occupancy: 8
; WaveLimiterHint : 0
; COMPUTE_PGM_RSRC2:SCRATCH_EN: 0
; COMPUTE_PGM_RSRC2:USER_SGPR: 6
; COMPUTE_PGM_RSRC2:TRAP_HANDLER: 0
; COMPUTE_PGM_RSRC2:TGID_X_EN: 1
; COMPUTE_PGM_RSRC2:TGID_Y_EN: 0
; COMPUTE_PGM_RSRC2:TGID_Z_EN: 0
; COMPUTE_PGM_RSRC2:TIDIG_COMP_CNT: 0
; COMPUTE_PGM_RSRC3_GFX90A:ACCUM_OFFSET: 0
; COMPUTE_PGM_RSRC3_GFX90A:TG_SPLIT: 0
	.section	.text._ZN7rocprim17ROCPRIM_400000_NS6detail17trampoline_kernelINS0_14default_configENS1_29reduce_by_key_config_selectorIyyN6thrust23THRUST_200600_302600_NS4plusIyEEEEZZNS1_33reduce_by_key_impl_wrapped_configILNS1_25lookback_scan_determinismE0ES3_S9_NS6_6detail15normal_iteratorINS6_10device_ptrIyEEEESG_SG_SG_PmS8_22is_equal_div_10_reduceIyEEE10hipError_tPvRmT2_T3_mT4_T5_T6_T7_T8_P12ihipStream_tbENKUlT_T0_E_clISt17integral_constantIbLb0EES11_EEDaSW_SX_EUlSW_E_NS1_11comp_targetILNS1_3genE10ELNS1_11target_archE1201ELNS1_3gpuE5ELNS1_3repE0EEENS1_30default_config_static_selectorELNS0_4arch9wavefront6targetE1EEEvT1_,"axG",@progbits,_ZN7rocprim17ROCPRIM_400000_NS6detail17trampoline_kernelINS0_14default_configENS1_29reduce_by_key_config_selectorIyyN6thrust23THRUST_200600_302600_NS4plusIyEEEEZZNS1_33reduce_by_key_impl_wrapped_configILNS1_25lookback_scan_determinismE0ES3_S9_NS6_6detail15normal_iteratorINS6_10device_ptrIyEEEESG_SG_SG_PmS8_22is_equal_div_10_reduceIyEEE10hipError_tPvRmT2_T3_mT4_T5_T6_T7_T8_P12ihipStream_tbENKUlT_T0_E_clISt17integral_constantIbLb0EES11_EEDaSW_SX_EUlSW_E_NS1_11comp_targetILNS1_3genE10ELNS1_11target_archE1201ELNS1_3gpuE5ELNS1_3repE0EEENS1_30default_config_static_selectorELNS0_4arch9wavefront6targetE1EEEvT1_,comdat
	.protected	_ZN7rocprim17ROCPRIM_400000_NS6detail17trampoline_kernelINS0_14default_configENS1_29reduce_by_key_config_selectorIyyN6thrust23THRUST_200600_302600_NS4plusIyEEEEZZNS1_33reduce_by_key_impl_wrapped_configILNS1_25lookback_scan_determinismE0ES3_S9_NS6_6detail15normal_iteratorINS6_10device_ptrIyEEEESG_SG_SG_PmS8_22is_equal_div_10_reduceIyEEE10hipError_tPvRmT2_T3_mT4_T5_T6_T7_T8_P12ihipStream_tbENKUlT_T0_E_clISt17integral_constantIbLb0EES11_EEDaSW_SX_EUlSW_E_NS1_11comp_targetILNS1_3genE10ELNS1_11target_archE1201ELNS1_3gpuE5ELNS1_3repE0EEENS1_30default_config_static_selectorELNS0_4arch9wavefront6targetE1EEEvT1_ ; -- Begin function _ZN7rocprim17ROCPRIM_400000_NS6detail17trampoline_kernelINS0_14default_configENS1_29reduce_by_key_config_selectorIyyN6thrust23THRUST_200600_302600_NS4plusIyEEEEZZNS1_33reduce_by_key_impl_wrapped_configILNS1_25lookback_scan_determinismE0ES3_S9_NS6_6detail15normal_iteratorINS6_10device_ptrIyEEEESG_SG_SG_PmS8_22is_equal_div_10_reduceIyEEE10hipError_tPvRmT2_T3_mT4_T5_T6_T7_T8_P12ihipStream_tbENKUlT_T0_E_clISt17integral_constantIbLb0EES11_EEDaSW_SX_EUlSW_E_NS1_11comp_targetILNS1_3genE10ELNS1_11target_archE1201ELNS1_3gpuE5ELNS1_3repE0EEENS1_30default_config_static_selectorELNS0_4arch9wavefront6targetE1EEEvT1_
	.globl	_ZN7rocprim17ROCPRIM_400000_NS6detail17trampoline_kernelINS0_14default_configENS1_29reduce_by_key_config_selectorIyyN6thrust23THRUST_200600_302600_NS4plusIyEEEEZZNS1_33reduce_by_key_impl_wrapped_configILNS1_25lookback_scan_determinismE0ES3_S9_NS6_6detail15normal_iteratorINS6_10device_ptrIyEEEESG_SG_SG_PmS8_22is_equal_div_10_reduceIyEEE10hipError_tPvRmT2_T3_mT4_T5_T6_T7_T8_P12ihipStream_tbENKUlT_T0_E_clISt17integral_constantIbLb0EES11_EEDaSW_SX_EUlSW_E_NS1_11comp_targetILNS1_3genE10ELNS1_11target_archE1201ELNS1_3gpuE5ELNS1_3repE0EEENS1_30default_config_static_selectorELNS0_4arch9wavefront6targetE1EEEvT1_
	.p2align	8
	.type	_ZN7rocprim17ROCPRIM_400000_NS6detail17trampoline_kernelINS0_14default_configENS1_29reduce_by_key_config_selectorIyyN6thrust23THRUST_200600_302600_NS4plusIyEEEEZZNS1_33reduce_by_key_impl_wrapped_configILNS1_25lookback_scan_determinismE0ES3_S9_NS6_6detail15normal_iteratorINS6_10device_ptrIyEEEESG_SG_SG_PmS8_22is_equal_div_10_reduceIyEEE10hipError_tPvRmT2_T3_mT4_T5_T6_T7_T8_P12ihipStream_tbENKUlT_T0_E_clISt17integral_constantIbLb0EES11_EEDaSW_SX_EUlSW_E_NS1_11comp_targetILNS1_3genE10ELNS1_11target_archE1201ELNS1_3gpuE5ELNS1_3repE0EEENS1_30default_config_static_selectorELNS0_4arch9wavefront6targetE1EEEvT1_,@function
_ZN7rocprim17ROCPRIM_400000_NS6detail17trampoline_kernelINS0_14default_configENS1_29reduce_by_key_config_selectorIyyN6thrust23THRUST_200600_302600_NS4plusIyEEEEZZNS1_33reduce_by_key_impl_wrapped_configILNS1_25lookback_scan_determinismE0ES3_S9_NS6_6detail15normal_iteratorINS6_10device_ptrIyEEEESG_SG_SG_PmS8_22is_equal_div_10_reduceIyEEE10hipError_tPvRmT2_T3_mT4_T5_T6_T7_T8_P12ihipStream_tbENKUlT_T0_E_clISt17integral_constantIbLb0EES11_EEDaSW_SX_EUlSW_E_NS1_11comp_targetILNS1_3genE10ELNS1_11target_archE1201ELNS1_3gpuE5ELNS1_3repE0EEENS1_30default_config_static_selectorELNS0_4arch9wavefront6targetE1EEEvT1_: ; @_ZN7rocprim17ROCPRIM_400000_NS6detail17trampoline_kernelINS0_14default_configENS1_29reduce_by_key_config_selectorIyyN6thrust23THRUST_200600_302600_NS4plusIyEEEEZZNS1_33reduce_by_key_impl_wrapped_configILNS1_25lookback_scan_determinismE0ES3_S9_NS6_6detail15normal_iteratorINS6_10device_ptrIyEEEESG_SG_SG_PmS8_22is_equal_div_10_reduceIyEEE10hipError_tPvRmT2_T3_mT4_T5_T6_T7_T8_P12ihipStream_tbENKUlT_T0_E_clISt17integral_constantIbLb0EES11_EEDaSW_SX_EUlSW_E_NS1_11comp_targetILNS1_3genE10ELNS1_11target_archE1201ELNS1_3gpuE5ELNS1_3repE0EEENS1_30default_config_static_selectorELNS0_4arch9wavefront6targetE1EEEvT1_
; %bb.0:
	.section	.rodata,"a",@progbits
	.p2align	6, 0x0
	.amdhsa_kernel _ZN7rocprim17ROCPRIM_400000_NS6detail17trampoline_kernelINS0_14default_configENS1_29reduce_by_key_config_selectorIyyN6thrust23THRUST_200600_302600_NS4plusIyEEEEZZNS1_33reduce_by_key_impl_wrapped_configILNS1_25lookback_scan_determinismE0ES3_S9_NS6_6detail15normal_iteratorINS6_10device_ptrIyEEEESG_SG_SG_PmS8_22is_equal_div_10_reduceIyEEE10hipError_tPvRmT2_T3_mT4_T5_T6_T7_T8_P12ihipStream_tbENKUlT_T0_E_clISt17integral_constantIbLb0EES11_EEDaSW_SX_EUlSW_E_NS1_11comp_targetILNS1_3genE10ELNS1_11target_archE1201ELNS1_3gpuE5ELNS1_3repE0EEENS1_30default_config_static_selectorELNS0_4arch9wavefront6targetE1EEEvT1_
		.amdhsa_group_segment_fixed_size 0
		.amdhsa_private_segment_fixed_size 0
		.amdhsa_kernarg_size 136
		.amdhsa_user_sgpr_count 6
		.amdhsa_user_sgpr_private_segment_buffer 1
		.amdhsa_user_sgpr_dispatch_ptr 0
		.amdhsa_user_sgpr_queue_ptr 0
		.amdhsa_user_sgpr_kernarg_segment_ptr 1
		.amdhsa_user_sgpr_dispatch_id 0
		.amdhsa_user_sgpr_flat_scratch_init 0
		.amdhsa_user_sgpr_kernarg_preload_length 0
		.amdhsa_user_sgpr_kernarg_preload_offset 0
		.amdhsa_user_sgpr_private_segment_size 0
		.amdhsa_uses_dynamic_stack 0
		.amdhsa_system_sgpr_private_segment_wavefront_offset 0
		.amdhsa_system_sgpr_workgroup_id_x 1
		.amdhsa_system_sgpr_workgroup_id_y 0
		.amdhsa_system_sgpr_workgroup_id_z 0
		.amdhsa_system_sgpr_workgroup_info 0
		.amdhsa_system_vgpr_workitem_id 0
		.amdhsa_next_free_vgpr 1
		.amdhsa_next_free_sgpr 0
		.amdhsa_accum_offset 4
		.amdhsa_reserve_vcc 0
		.amdhsa_reserve_flat_scratch 0
		.amdhsa_float_round_mode_32 0
		.amdhsa_float_round_mode_16_64 0
		.amdhsa_float_denorm_mode_32 3
		.amdhsa_float_denorm_mode_16_64 3
		.amdhsa_dx10_clamp 1
		.amdhsa_ieee_mode 1
		.amdhsa_fp16_overflow 0
		.amdhsa_tg_split 0
		.amdhsa_exception_fp_ieee_invalid_op 0
		.amdhsa_exception_fp_denorm_src 0
		.amdhsa_exception_fp_ieee_div_zero 0
		.amdhsa_exception_fp_ieee_overflow 0
		.amdhsa_exception_fp_ieee_underflow 0
		.amdhsa_exception_fp_ieee_inexact 0
		.amdhsa_exception_int_div_zero 0
	.end_amdhsa_kernel
	.section	.text._ZN7rocprim17ROCPRIM_400000_NS6detail17trampoline_kernelINS0_14default_configENS1_29reduce_by_key_config_selectorIyyN6thrust23THRUST_200600_302600_NS4plusIyEEEEZZNS1_33reduce_by_key_impl_wrapped_configILNS1_25lookback_scan_determinismE0ES3_S9_NS6_6detail15normal_iteratorINS6_10device_ptrIyEEEESG_SG_SG_PmS8_22is_equal_div_10_reduceIyEEE10hipError_tPvRmT2_T3_mT4_T5_T6_T7_T8_P12ihipStream_tbENKUlT_T0_E_clISt17integral_constantIbLb0EES11_EEDaSW_SX_EUlSW_E_NS1_11comp_targetILNS1_3genE10ELNS1_11target_archE1201ELNS1_3gpuE5ELNS1_3repE0EEENS1_30default_config_static_selectorELNS0_4arch9wavefront6targetE1EEEvT1_,"axG",@progbits,_ZN7rocprim17ROCPRIM_400000_NS6detail17trampoline_kernelINS0_14default_configENS1_29reduce_by_key_config_selectorIyyN6thrust23THRUST_200600_302600_NS4plusIyEEEEZZNS1_33reduce_by_key_impl_wrapped_configILNS1_25lookback_scan_determinismE0ES3_S9_NS6_6detail15normal_iteratorINS6_10device_ptrIyEEEESG_SG_SG_PmS8_22is_equal_div_10_reduceIyEEE10hipError_tPvRmT2_T3_mT4_T5_T6_T7_T8_P12ihipStream_tbENKUlT_T0_E_clISt17integral_constantIbLb0EES11_EEDaSW_SX_EUlSW_E_NS1_11comp_targetILNS1_3genE10ELNS1_11target_archE1201ELNS1_3gpuE5ELNS1_3repE0EEENS1_30default_config_static_selectorELNS0_4arch9wavefront6targetE1EEEvT1_,comdat
.Lfunc_end282:
	.size	_ZN7rocprim17ROCPRIM_400000_NS6detail17trampoline_kernelINS0_14default_configENS1_29reduce_by_key_config_selectorIyyN6thrust23THRUST_200600_302600_NS4plusIyEEEEZZNS1_33reduce_by_key_impl_wrapped_configILNS1_25lookback_scan_determinismE0ES3_S9_NS6_6detail15normal_iteratorINS6_10device_ptrIyEEEESG_SG_SG_PmS8_22is_equal_div_10_reduceIyEEE10hipError_tPvRmT2_T3_mT4_T5_T6_T7_T8_P12ihipStream_tbENKUlT_T0_E_clISt17integral_constantIbLb0EES11_EEDaSW_SX_EUlSW_E_NS1_11comp_targetILNS1_3genE10ELNS1_11target_archE1201ELNS1_3gpuE5ELNS1_3repE0EEENS1_30default_config_static_selectorELNS0_4arch9wavefront6targetE1EEEvT1_, .Lfunc_end282-_ZN7rocprim17ROCPRIM_400000_NS6detail17trampoline_kernelINS0_14default_configENS1_29reduce_by_key_config_selectorIyyN6thrust23THRUST_200600_302600_NS4plusIyEEEEZZNS1_33reduce_by_key_impl_wrapped_configILNS1_25lookback_scan_determinismE0ES3_S9_NS6_6detail15normal_iteratorINS6_10device_ptrIyEEEESG_SG_SG_PmS8_22is_equal_div_10_reduceIyEEE10hipError_tPvRmT2_T3_mT4_T5_T6_T7_T8_P12ihipStream_tbENKUlT_T0_E_clISt17integral_constantIbLb0EES11_EEDaSW_SX_EUlSW_E_NS1_11comp_targetILNS1_3genE10ELNS1_11target_archE1201ELNS1_3gpuE5ELNS1_3repE0EEENS1_30default_config_static_selectorELNS0_4arch9wavefront6targetE1EEEvT1_
                                        ; -- End function
	.section	.AMDGPU.csdata,"",@progbits
; Kernel info:
; codeLenInByte = 0
; NumSgprs: 4
; NumVgprs: 0
; NumAgprs: 0
; TotalNumVgprs: 0
; ScratchSize: 0
; MemoryBound: 0
; FloatMode: 240
; IeeeMode: 1
; LDSByteSize: 0 bytes/workgroup (compile time only)
; SGPRBlocks: 0
; VGPRBlocks: 0
; NumSGPRsForWavesPerEU: 4
; NumVGPRsForWavesPerEU: 1
; AccumOffset: 4
; Occupancy: 8
; WaveLimiterHint : 0
; COMPUTE_PGM_RSRC2:SCRATCH_EN: 0
; COMPUTE_PGM_RSRC2:USER_SGPR: 6
; COMPUTE_PGM_RSRC2:TRAP_HANDLER: 0
; COMPUTE_PGM_RSRC2:TGID_X_EN: 1
; COMPUTE_PGM_RSRC2:TGID_Y_EN: 0
; COMPUTE_PGM_RSRC2:TGID_Z_EN: 0
; COMPUTE_PGM_RSRC2:TIDIG_COMP_CNT: 0
; COMPUTE_PGM_RSRC3_GFX90A:ACCUM_OFFSET: 0
; COMPUTE_PGM_RSRC3_GFX90A:TG_SPLIT: 0
	.section	.text._ZN7rocprim17ROCPRIM_400000_NS6detail17trampoline_kernelINS0_14default_configENS1_29reduce_by_key_config_selectorIyyN6thrust23THRUST_200600_302600_NS4plusIyEEEEZZNS1_33reduce_by_key_impl_wrapped_configILNS1_25lookback_scan_determinismE0ES3_S9_NS6_6detail15normal_iteratorINS6_10device_ptrIyEEEESG_SG_SG_PmS8_22is_equal_div_10_reduceIyEEE10hipError_tPvRmT2_T3_mT4_T5_T6_T7_T8_P12ihipStream_tbENKUlT_T0_E_clISt17integral_constantIbLb0EES11_EEDaSW_SX_EUlSW_E_NS1_11comp_targetILNS1_3genE10ELNS1_11target_archE1200ELNS1_3gpuE4ELNS1_3repE0EEENS1_30default_config_static_selectorELNS0_4arch9wavefront6targetE1EEEvT1_,"axG",@progbits,_ZN7rocprim17ROCPRIM_400000_NS6detail17trampoline_kernelINS0_14default_configENS1_29reduce_by_key_config_selectorIyyN6thrust23THRUST_200600_302600_NS4plusIyEEEEZZNS1_33reduce_by_key_impl_wrapped_configILNS1_25lookback_scan_determinismE0ES3_S9_NS6_6detail15normal_iteratorINS6_10device_ptrIyEEEESG_SG_SG_PmS8_22is_equal_div_10_reduceIyEEE10hipError_tPvRmT2_T3_mT4_T5_T6_T7_T8_P12ihipStream_tbENKUlT_T0_E_clISt17integral_constantIbLb0EES11_EEDaSW_SX_EUlSW_E_NS1_11comp_targetILNS1_3genE10ELNS1_11target_archE1200ELNS1_3gpuE4ELNS1_3repE0EEENS1_30default_config_static_selectorELNS0_4arch9wavefront6targetE1EEEvT1_,comdat
	.protected	_ZN7rocprim17ROCPRIM_400000_NS6detail17trampoline_kernelINS0_14default_configENS1_29reduce_by_key_config_selectorIyyN6thrust23THRUST_200600_302600_NS4plusIyEEEEZZNS1_33reduce_by_key_impl_wrapped_configILNS1_25lookback_scan_determinismE0ES3_S9_NS6_6detail15normal_iteratorINS6_10device_ptrIyEEEESG_SG_SG_PmS8_22is_equal_div_10_reduceIyEEE10hipError_tPvRmT2_T3_mT4_T5_T6_T7_T8_P12ihipStream_tbENKUlT_T0_E_clISt17integral_constantIbLb0EES11_EEDaSW_SX_EUlSW_E_NS1_11comp_targetILNS1_3genE10ELNS1_11target_archE1200ELNS1_3gpuE4ELNS1_3repE0EEENS1_30default_config_static_selectorELNS0_4arch9wavefront6targetE1EEEvT1_ ; -- Begin function _ZN7rocprim17ROCPRIM_400000_NS6detail17trampoline_kernelINS0_14default_configENS1_29reduce_by_key_config_selectorIyyN6thrust23THRUST_200600_302600_NS4plusIyEEEEZZNS1_33reduce_by_key_impl_wrapped_configILNS1_25lookback_scan_determinismE0ES3_S9_NS6_6detail15normal_iteratorINS6_10device_ptrIyEEEESG_SG_SG_PmS8_22is_equal_div_10_reduceIyEEE10hipError_tPvRmT2_T3_mT4_T5_T6_T7_T8_P12ihipStream_tbENKUlT_T0_E_clISt17integral_constantIbLb0EES11_EEDaSW_SX_EUlSW_E_NS1_11comp_targetILNS1_3genE10ELNS1_11target_archE1200ELNS1_3gpuE4ELNS1_3repE0EEENS1_30default_config_static_selectorELNS0_4arch9wavefront6targetE1EEEvT1_
	.globl	_ZN7rocprim17ROCPRIM_400000_NS6detail17trampoline_kernelINS0_14default_configENS1_29reduce_by_key_config_selectorIyyN6thrust23THRUST_200600_302600_NS4plusIyEEEEZZNS1_33reduce_by_key_impl_wrapped_configILNS1_25lookback_scan_determinismE0ES3_S9_NS6_6detail15normal_iteratorINS6_10device_ptrIyEEEESG_SG_SG_PmS8_22is_equal_div_10_reduceIyEEE10hipError_tPvRmT2_T3_mT4_T5_T6_T7_T8_P12ihipStream_tbENKUlT_T0_E_clISt17integral_constantIbLb0EES11_EEDaSW_SX_EUlSW_E_NS1_11comp_targetILNS1_3genE10ELNS1_11target_archE1200ELNS1_3gpuE4ELNS1_3repE0EEENS1_30default_config_static_selectorELNS0_4arch9wavefront6targetE1EEEvT1_
	.p2align	8
	.type	_ZN7rocprim17ROCPRIM_400000_NS6detail17trampoline_kernelINS0_14default_configENS1_29reduce_by_key_config_selectorIyyN6thrust23THRUST_200600_302600_NS4plusIyEEEEZZNS1_33reduce_by_key_impl_wrapped_configILNS1_25lookback_scan_determinismE0ES3_S9_NS6_6detail15normal_iteratorINS6_10device_ptrIyEEEESG_SG_SG_PmS8_22is_equal_div_10_reduceIyEEE10hipError_tPvRmT2_T3_mT4_T5_T6_T7_T8_P12ihipStream_tbENKUlT_T0_E_clISt17integral_constantIbLb0EES11_EEDaSW_SX_EUlSW_E_NS1_11comp_targetILNS1_3genE10ELNS1_11target_archE1200ELNS1_3gpuE4ELNS1_3repE0EEENS1_30default_config_static_selectorELNS0_4arch9wavefront6targetE1EEEvT1_,@function
_ZN7rocprim17ROCPRIM_400000_NS6detail17trampoline_kernelINS0_14default_configENS1_29reduce_by_key_config_selectorIyyN6thrust23THRUST_200600_302600_NS4plusIyEEEEZZNS1_33reduce_by_key_impl_wrapped_configILNS1_25lookback_scan_determinismE0ES3_S9_NS6_6detail15normal_iteratorINS6_10device_ptrIyEEEESG_SG_SG_PmS8_22is_equal_div_10_reduceIyEEE10hipError_tPvRmT2_T3_mT4_T5_T6_T7_T8_P12ihipStream_tbENKUlT_T0_E_clISt17integral_constantIbLb0EES11_EEDaSW_SX_EUlSW_E_NS1_11comp_targetILNS1_3genE10ELNS1_11target_archE1200ELNS1_3gpuE4ELNS1_3repE0EEENS1_30default_config_static_selectorELNS0_4arch9wavefront6targetE1EEEvT1_: ; @_ZN7rocprim17ROCPRIM_400000_NS6detail17trampoline_kernelINS0_14default_configENS1_29reduce_by_key_config_selectorIyyN6thrust23THRUST_200600_302600_NS4plusIyEEEEZZNS1_33reduce_by_key_impl_wrapped_configILNS1_25lookback_scan_determinismE0ES3_S9_NS6_6detail15normal_iteratorINS6_10device_ptrIyEEEESG_SG_SG_PmS8_22is_equal_div_10_reduceIyEEE10hipError_tPvRmT2_T3_mT4_T5_T6_T7_T8_P12ihipStream_tbENKUlT_T0_E_clISt17integral_constantIbLb0EES11_EEDaSW_SX_EUlSW_E_NS1_11comp_targetILNS1_3genE10ELNS1_11target_archE1200ELNS1_3gpuE4ELNS1_3repE0EEENS1_30default_config_static_selectorELNS0_4arch9wavefront6targetE1EEEvT1_
; %bb.0:
	.section	.rodata,"a",@progbits
	.p2align	6, 0x0
	.amdhsa_kernel _ZN7rocprim17ROCPRIM_400000_NS6detail17trampoline_kernelINS0_14default_configENS1_29reduce_by_key_config_selectorIyyN6thrust23THRUST_200600_302600_NS4plusIyEEEEZZNS1_33reduce_by_key_impl_wrapped_configILNS1_25lookback_scan_determinismE0ES3_S9_NS6_6detail15normal_iteratorINS6_10device_ptrIyEEEESG_SG_SG_PmS8_22is_equal_div_10_reduceIyEEE10hipError_tPvRmT2_T3_mT4_T5_T6_T7_T8_P12ihipStream_tbENKUlT_T0_E_clISt17integral_constantIbLb0EES11_EEDaSW_SX_EUlSW_E_NS1_11comp_targetILNS1_3genE10ELNS1_11target_archE1200ELNS1_3gpuE4ELNS1_3repE0EEENS1_30default_config_static_selectorELNS0_4arch9wavefront6targetE1EEEvT1_
		.amdhsa_group_segment_fixed_size 0
		.amdhsa_private_segment_fixed_size 0
		.amdhsa_kernarg_size 136
		.amdhsa_user_sgpr_count 6
		.amdhsa_user_sgpr_private_segment_buffer 1
		.amdhsa_user_sgpr_dispatch_ptr 0
		.amdhsa_user_sgpr_queue_ptr 0
		.amdhsa_user_sgpr_kernarg_segment_ptr 1
		.amdhsa_user_sgpr_dispatch_id 0
		.amdhsa_user_sgpr_flat_scratch_init 0
		.amdhsa_user_sgpr_kernarg_preload_length 0
		.amdhsa_user_sgpr_kernarg_preload_offset 0
		.amdhsa_user_sgpr_private_segment_size 0
		.amdhsa_uses_dynamic_stack 0
		.amdhsa_system_sgpr_private_segment_wavefront_offset 0
		.amdhsa_system_sgpr_workgroup_id_x 1
		.amdhsa_system_sgpr_workgroup_id_y 0
		.amdhsa_system_sgpr_workgroup_id_z 0
		.amdhsa_system_sgpr_workgroup_info 0
		.amdhsa_system_vgpr_workitem_id 0
		.amdhsa_next_free_vgpr 1
		.amdhsa_next_free_sgpr 0
		.amdhsa_accum_offset 4
		.amdhsa_reserve_vcc 0
		.amdhsa_reserve_flat_scratch 0
		.amdhsa_float_round_mode_32 0
		.amdhsa_float_round_mode_16_64 0
		.amdhsa_float_denorm_mode_32 3
		.amdhsa_float_denorm_mode_16_64 3
		.amdhsa_dx10_clamp 1
		.amdhsa_ieee_mode 1
		.amdhsa_fp16_overflow 0
		.amdhsa_tg_split 0
		.amdhsa_exception_fp_ieee_invalid_op 0
		.amdhsa_exception_fp_denorm_src 0
		.amdhsa_exception_fp_ieee_div_zero 0
		.amdhsa_exception_fp_ieee_overflow 0
		.amdhsa_exception_fp_ieee_underflow 0
		.amdhsa_exception_fp_ieee_inexact 0
		.amdhsa_exception_int_div_zero 0
	.end_amdhsa_kernel
	.section	.text._ZN7rocprim17ROCPRIM_400000_NS6detail17trampoline_kernelINS0_14default_configENS1_29reduce_by_key_config_selectorIyyN6thrust23THRUST_200600_302600_NS4plusIyEEEEZZNS1_33reduce_by_key_impl_wrapped_configILNS1_25lookback_scan_determinismE0ES3_S9_NS6_6detail15normal_iteratorINS6_10device_ptrIyEEEESG_SG_SG_PmS8_22is_equal_div_10_reduceIyEEE10hipError_tPvRmT2_T3_mT4_T5_T6_T7_T8_P12ihipStream_tbENKUlT_T0_E_clISt17integral_constantIbLb0EES11_EEDaSW_SX_EUlSW_E_NS1_11comp_targetILNS1_3genE10ELNS1_11target_archE1200ELNS1_3gpuE4ELNS1_3repE0EEENS1_30default_config_static_selectorELNS0_4arch9wavefront6targetE1EEEvT1_,"axG",@progbits,_ZN7rocprim17ROCPRIM_400000_NS6detail17trampoline_kernelINS0_14default_configENS1_29reduce_by_key_config_selectorIyyN6thrust23THRUST_200600_302600_NS4plusIyEEEEZZNS1_33reduce_by_key_impl_wrapped_configILNS1_25lookback_scan_determinismE0ES3_S9_NS6_6detail15normal_iteratorINS6_10device_ptrIyEEEESG_SG_SG_PmS8_22is_equal_div_10_reduceIyEEE10hipError_tPvRmT2_T3_mT4_T5_T6_T7_T8_P12ihipStream_tbENKUlT_T0_E_clISt17integral_constantIbLb0EES11_EEDaSW_SX_EUlSW_E_NS1_11comp_targetILNS1_3genE10ELNS1_11target_archE1200ELNS1_3gpuE4ELNS1_3repE0EEENS1_30default_config_static_selectorELNS0_4arch9wavefront6targetE1EEEvT1_,comdat
.Lfunc_end283:
	.size	_ZN7rocprim17ROCPRIM_400000_NS6detail17trampoline_kernelINS0_14default_configENS1_29reduce_by_key_config_selectorIyyN6thrust23THRUST_200600_302600_NS4plusIyEEEEZZNS1_33reduce_by_key_impl_wrapped_configILNS1_25lookback_scan_determinismE0ES3_S9_NS6_6detail15normal_iteratorINS6_10device_ptrIyEEEESG_SG_SG_PmS8_22is_equal_div_10_reduceIyEEE10hipError_tPvRmT2_T3_mT4_T5_T6_T7_T8_P12ihipStream_tbENKUlT_T0_E_clISt17integral_constantIbLb0EES11_EEDaSW_SX_EUlSW_E_NS1_11comp_targetILNS1_3genE10ELNS1_11target_archE1200ELNS1_3gpuE4ELNS1_3repE0EEENS1_30default_config_static_selectorELNS0_4arch9wavefront6targetE1EEEvT1_, .Lfunc_end283-_ZN7rocprim17ROCPRIM_400000_NS6detail17trampoline_kernelINS0_14default_configENS1_29reduce_by_key_config_selectorIyyN6thrust23THRUST_200600_302600_NS4plusIyEEEEZZNS1_33reduce_by_key_impl_wrapped_configILNS1_25lookback_scan_determinismE0ES3_S9_NS6_6detail15normal_iteratorINS6_10device_ptrIyEEEESG_SG_SG_PmS8_22is_equal_div_10_reduceIyEEE10hipError_tPvRmT2_T3_mT4_T5_T6_T7_T8_P12ihipStream_tbENKUlT_T0_E_clISt17integral_constantIbLb0EES11_EEDaSW_SX_EUlSW_E_NS1_11comp_targetILNS1_3genE10ELNS1_11target_archE1200ELNS1_3gpuE4ELNS1_3repE0EEENS1_30default_config_static_selectorELNS0_4arch9wavefront6targetE1EEEvT1_
                                        ; -- End function
	.section	.AMDGPU.csdata,"",@progbits
; Kernel info:
; codeLenInByte = 0
; NumSgprs: 4
; NumVgprs: 0
; NumAgprs: 0
; TotalNumVgprs: 0
; ScratchSize: 0
; MemoryBound: 0
; FloatMode: 240
; IeeeMode: 1
; LDSByteSize: 0 bytes/workgroup (compile time only)
; SGPRBlocks: 0
; VGPRBlocks: 0
; NumSGPRsForWavesPerEU: 4
; NumVGPRsForWavesPerEU: 1
; AccumOffset: 4
; Occupancy: 8
; WaveLimiterHint : 0
; COMPUTE_PGM_RSRC2:SCRATCH_EN: 0
; COMPUTE_PGM_RSRC2:USER_SGPR: 6
; COMPUTE_PGM_RSRC2:TRAP_HANDLER: 0
; COMPUTE_PGM_RSRC2:TGID_X_EN: 1
; COMPUTE_PGM_RSRC2:TGID_Y_EN: 0
; COMPUTE_PGM_RSRC2:TGID_Z_EN: 0
; COMPUTE_PGM_RSRC2:TIDIG_COMP_CNT: 0
; COMPUTE_PGM_RSRC3_GFX90A:ACCUM_OFFSET: 0
; COMPUTE_PGM_RSRC3_GFX90A:TG_SPLIT: 0
	.section	.text._ZN7rocprim17ROCPRIM_400000_NS6detail17trampoline_kernelINS0_14default_configENS1_29reduce_by_key_config_selectorIyyN6thrust23THRUST_200600_302600_NS4plusIyEEEEZZNS1_33reduce_by_key_impl_wrapped_configILNS1_25lookback_scan_determinismE0ES3_S9_NS6_6detail15normal_iteratorINS6_10device_ptrIyEEEESG_SG_SG_PmS8_22is_equal_div_10_reduceIyEEE10hipError_tPvRmT2_T3_mT4_T5_T6_T7_T8_P12ihipStream_tbENKUlT_T0_E_clISt17integral_constantIbLb0EES11_EEDaSW_SX_EUlSW_E_NS1_11comp_targetILNS1_3genE9ELNS1_11target_archE1100ELNS1_3gpuE3ELNS1_3repE0EEENS1_30default_config_static_selectorELNS0_4arch9wavefront6targetE1EEEvT1_,"axG",@progbits,_ZN7rocprim17ROCPRIM_400000_NS6detail17trampoline_kernelINS0_14default_configENS1_29reduce_by_key_config_selectorIyyN6thrust23THRUST_200600_302600_NS4plusIyEEEEZZNS1_33reduce_by_key_impl_wrapped_configILNS1_25lookback_scan_determinismE0ES3_S9_NS6_6detail15normal_iteratorINS6_10device_ptrIyEEEESG_SG_SG_PmS8_22is_equal_div_10_reduceIyEEE10hipError_tPvRmT2_T3_mT4_T5_T6_T7_T8_P12ihipStream_tbENKUlT_T0_E_clISt17integral_constantIbLb0EES11_EEDaSW_SX_EUlSW_E_NS1_11comp_targetILNS1_3genE9ELNS1_11target_archE1100ELNS1_3gpuE3ELNS1_3repE0EEENS1_30default_config_static_selectorELNS0_4arch9wavefront6targetE1EEEvT1_,comdat
	.protected	_ZN7rocprim17ROCPRIM_400000_NS6detail17trampoline_kernelINS0_14default_configENS1_29reduce_by_key_config_selectorIyyN6thrust23THRUST_200600_302600_NS4plusIyEEEEZZNS1_33reduce_by_key_impl_wrapped_configILNS1_25lookback_scan_determinismE0ES3_S9_NS6_6detail15normal_iteratorINS6_10device_ptrIyEEEESG_SG_SG_PmS8_22is_equal_div_10_reduceIyEEE10hipError_tPvRmT2_T3_mT4_T5_T6_T7_T8_P12ihipStream_tbENKUlT_T0_E_clISt17integral_constantIbLb0EES11_EEDaSW_SX_EUlSW_E_NS1_11comp_targetILNS1_3genE9ELNS1_11target_archE1100ELNS1_3gpuE3ELNS1_3repE0EEENS1_30default_config_static_selectorELNS0_4arch9wavefront6targetE1EEEvT1_ ; -- Begin function _ZN7rocprim17ROCPRIM_400000_NS6detail17trampoline_kernelINS0_14default_configENS1_29reduce_by_key_config_selectorIyyN6thrust23THRUST_200600_302600_NS4plusIyEEEEZZNS1_33reduce_by_key_impl_wrapped_configILNS1_25lookback_scan_determinismE0ES3_S9_NS6_6detail15normal_iteratorINS6_10device_ptrIyEEEESG_SG_SG_PmS8_22is_equal_div_10_reduceIyEEE10hipError_tPvRmT2_T3_mT4_T5_T6_T7_T8_P12ihipStream_tbENKUlT_T0_E_clISt17integral_constantIbLb0EES11_EEDaSW_SX_EUlSW_E_NS1_11comp_targetILNS1_3genE9ELNS1_11target_archE1100ELNS1_3gpuE3ELNS1_3repE0EEENS1_30default_config_static_selectorELNS0_4arch9wavefront6targetE1EEEvT1_
	.globl	_ZN7rocprim17ROCPRIM_400000_NS6detail17trampoline_kernelINS0_14default_configENS1_29reduce_by_key_config_selectorIyyN6thrust23THRUST_200600_302600_NS4plusIyEEEEZZNS1_33reduce_by_key_impl_wrapped_configILNS1_25lookback_scan_determinismE0ES3_S9_NS6_6detail15normal_iteratorINS6_10device_ptrIyEEEESG_SG_SG_PmS8_22is_equal_div_10_reduceIyEEE10hipError_tPvRmT2_T3_mT4_T5_T6_T7_T8_P12ihipStream_tbENKUlT_T0_E_clISt17integral_constantIbLb0EES11_EEDaSW_SX_EUlSW_E_NS1_11comp_targetILNS1_3genE9ELNS1_11target_archE1100ELNS1_3gpuE3ELNS1_3repE0EEENS1_30default_config_static_selectorELNS0_4arch9wavefront6targetE1EEEvT1_
	.p2align	8
	.type	_ZN7rocprim17ROCPRIM_400000_NS6detail17trampoline_kernelINS0_14default_configENS1_29reduce_by_key_config_selectorIyyN6thrust23THRUST_200600_302600_NS4plusIyEEEEZZNS1_33reduce_by_key_impl_wrapped_configILNS1_25lookback_scan_determinismE0ES3_S9_NS6_6detail15normal_iteratorINS6_10device_ptrIyEEEESG_SG_SG_PmS8_22is_equal_div_10_reduceIyEEE10hipError_tPvRmT2_T3_mT4_T5_T6_T7_T8_P12ihipStream_tbENKUlT_T0_E_clISt17integral_constantIbLb0EES11_EEDaSW_SX_EUlSW_E_NS1_11comp_targetILNS1_3genE9ELNS1_11target_archE1100ELNS1_3gpuE3ELNS1_3repE0EEENS1_30default_config_static_selectorELNS0_4arch9wavefront6targetE1EEEvT1_,@function
_ZN7rocprim17ROCPRIM_400000_NS6detail17trampoline_kernelINS0_14default_configENS1_29reduce_by_key_config_selectorIyyN6thrust23THRUST_200600_302600_NS4plusIyEEEEZZNS1_33reduce_by_key_impl_wrapped_configILNS1_25lookback_scan_determinismE0ES3_S9_NS6_6detail15normal_iteratorINS6_10device_ptrIyEEEESG_SG_SG_PmS8_22is_equal_div_10_reduceIyEEE10hipError_tPvRmT2_T3_mT4_T5_T6_T7_T8_P12ihipStream_tbENKUlT_T0_E_clISt17integral_constantIbLb0EES11_EEDaSW_SX_EUlSW_E_NS1_11comp_targetILNS1_3genE9ELNS1_11target_archE1100ELNS1_3gpuE3ELNS1_3repE0EEENS1_30default_config_static_selectorELNS0_4arch9wavefront6targetE1EEEvT1_: ; @_ZN7rocprim17ROCPRIM_400000_NS6detail17trampoline_kernelINS0_14default_configENS1_29reduce_by_key_config_selectorIyyN6thrust23THRUST_200600_302600_NS4plusIyEEEEZZNS1_33reduce_by_key_impl_wrapped_configILNS1_25lookback_scan_determinismE0ES3_S9_NS6_6detail15normal_iteratorINS6_10device_ptrIyEEEESG_SG_SG_PmS8_22is_equal_div_10_reduceIyEEE10hipError_tPvRmT2_T3_mT4_T5_T6_T7_T8_P12ihipStream_tbENKUlT_T0_E_clISt17integral_constantIbLb0EES11_EEDaSW_SX_EUlSW_E_NS1_11comp_targetILNS1_3genE9ELNS1_11target_archE1100ELNS1_3gpuE3ELNS1_3repE0EEENS1_30default_config_static_selectorELNS0_4arch9wavefront6targetE1EEEvT1_
; %bb.0:
	.section	.rodata,"a",@progbits
	.p2align	6, 0x0
	.amdhsa_kernel _ZN7rocprim17ROCPRIM_400000_NS6detail17trampoline_kernelINS0_14default_configENS1_29reduce_by_key_config_selectorIyyN6thrust23THRUST_200600_302600_NS4plusIyEEEEZZNS1_33reduce_by_key_impl_wrapped_configILNS1_25lookback_scan_determinismE0ES3_S9_NS6_6detail15normal_iteratorINS6_10device_ptrIyEEEESG_SG_SG_PmS8_22is_equal_div_10_reduceIyEEE10hipError_tPvRmT2_T3_mT4_T5_T6_T7_T8_P12ihipStream_tbENKUlT_T0_E_clISt17integral_constantIbLb0EES11_EEDaSW_SX_EUlSW_E_NS1_11comp_targetILNS1_3genE9ELNS1_11target_archE1100ELNS1_3gpuE3ELNS1_3repE0EEENS1_30default_config_static_selectorELNS0_4arch9wavefront6targetE1EEEvT1_
		.amdhsa_group_segment_fixed_size 0
		.amdhsa_private_segment_fixed_size 0
		.amdhsa_kernarg_size 136
		.amdhsa_user_sgpr_count 6
		.amdhsa_user_sgpr_private_segment_buffer 1
		.amdhsa_user_sgpr_dispatch_ptr 0
		.amdhsa_user_sgpr_queue_ptr 0
		.amdhsa_user_sgpr_kernarg_segment_ptr 1
		.amdhsa_user_sgpr_dispatch_id 0
		.amdhsa_user_sgpr_flat_scratch_init 0
		.amdhsa_user_sgpr_kernarg_preload_length 0
		.amdhsa_user_sgpr_kernarg_preload_offset 0
		.amdhsa_user_sgpr_private_segment_size 0
		.amdhsa_uses_dynamic_stack 0
		.amdhsa_system_sgpr_private_segment_wavefront_offset 0
		.amdhsa_system_sgpr_workgroup_id_x 1
		.amdhsa_system_sgpr_workgroup_id_y 0
		.amdhsa_system_sgpr_workgroup_id_z 0
		.amdhsa_system_sgpr_workgroup_info 0
		.amdhsa_system_vgpr_workitem_id 0
		.amdhsa_next_free_vgpr 1
		.amdhsa_next_free_sgpr 0
		.amdhsa_accum_offset 4
		.amdhsa_reserve_vcc 0
		.amdhsa_reserve_flat_scratch 0
		.amdhsa_float_round_mode_32 0
		.amdhsa_float_round_mode_16_64 0
		.amdhsa_float_denorm_mode_32 3
		.amdhsa_float_denorm_mode_16_64 3
		.amdhsa_dx10_clamp 1
		.amdhsa_ieee_mode 1
		.amdhsa_fp16_overflow 0
		.amdhsa_tg_split 0
		.amdhsa_exception_fp_ieee_invalid_op 0
		.amdhsa_exception_fp_denorm_src 0
		.amdhsa_exception_fp_ieee_div_zero 0
		.amdhsa_exception_fp_ieee_overflow 0
		.amdhsa_exception_fp_ieee_underflow 0
		.amdhsa_exception_fp_ieee_inexact 0
		.amdhsa_exception_int_div_zero 0
	.end_amdhsa_kernel
	.section	.text._ZN7rocprim17ROCPRIM_400000_NS6detail17trampoline_kernelINS0_14default_configENS1_29reduce_by_key_config_selectorIyyN6thrust23THRUST_200600_302600_NS4plusIyEEEEZZNS1_33reduce_by_key_impl_wrapped_configILNS1_25lookback_scan_determinismE0ES3_S9_NS6_6detail15normal_iteratorINS6_10device_ptrIyEEEESG_SG_SG_PmS8_22is_equal_div_10_reduceIyEEE10hipError_tPvRmT2_T3_mT4_T5_T6_T7_T8_P12ihipStream_tbENKUlT_T0_E_clISt17integral_constantIbLb0EES11_EEDaSW_SX_EUlSW_E_NS1_11comp_targetILNS1_3genE9ELNS1_11target_archE1100ELNS1_3gpuE3ELNS1_3repE0EEENS1_30default_config_static_selectorELNS0_4arch9wavefront6targetE1EEEvT1_,"axG",@progbits,_ZN7rocprim17ROCPRIM_400000_NS6detail17trampoline_kernelINS0_14default_configENS1_29reduce_by_key_config_selectorIyyN6thrust23THRUST_200600_302600_NS4plusIyEEEEZZNS1_33reduce_by_key_impl_wrapped_configILNS1_25lookback_scan_determinismE0ES3_S9_NS6_6detail15normal_iteratorINS6_10device_ptrIyEEEESG_SG_SG_PmS8_22is_equal_div_10_reduceIyEEE10hipError_tPvRmT2_T3_mT4_T5_T6_T7_T8_P12ihipStream_tbENKUlT_T0_E_clISt17integral_constantIbLb0EES11_EEDaSW_SX_EUlSW_E_NS1_11comp_targetILNS1_3genE9ELNS1_11target_archE1100ELNS1_3gpuE3ELNS1_3repE0EEENS1_30default_config_static_selectorELNS0_4arch9wavefront6targetE1EEEvT1_,comdat
.Lfunc_end284:
	.size	_ZN7rocprim17ROCPRIM_400000_NS6detail17trampoline_kernelINS0_14default_configENS1_29reduce_by_key_config_selectorIyyN6thrust23THRUST_200600_302600_NS4plusIyEEEEZZNS1_33reduce_by_key_impl_wrapped_configILNS1_25lookback_scan_determinismE0ES3_S9_NS6_6detail15normal_iteratorINS6_10device_ptrIyEEEESG_SG_SG_PmS8_22is_equal_div_10_reduceIyEEE10hipError_tPvRmT2_T3_mT4_T5_T6_T7_T8_P12ihipStream_tbENKUlT_T0_E_clISt17integral_constantIbLb0EES11_EEDaSW_SX_EUlSW_E_NS1_11comp_targetILNS1_3genE9ELNS1_11target_archE1100ELNS1_3gpuE3ELNS1_3repE0EEENS1_30default_config_static_selectorELNS0_4arch9wavefront6targetE1EEEvT1_, .Lfunc_end284-_ZN7rocprim17ROCPRIM_400000_NS6detail17trampoline_kernelINS0_14default_configENS1_29reduce_by_key_config_selectorIyyN6thrust23THRUST_200600_302600_NS4plusIyEEEEZZNS1_33reduce_by_key_impl_wrapped_configILNS1_25lookback_scan_determinismE0ES3_S9_NS6_6detail15normal_iteratorINS6_10device_ptrIyEEEESG_SG_SG_PmS8_22is_equal_div_10_reduceIyEEE10hipError_tPvRmT2_T3_mT4_T5_T6_T7_T8_P12ihipStream_tbENKUlT_T0_E_clISt17integral_constantIbLb0EES11_EEDaSW_SX_EUlSW_E_NS1_11comp_targetILNS1_3genE9ELNS1_11target_archE1100ELNS1_3gpuE3ELNS1_3repE0EEENS1_30default_config_static_selectorELNS0_4arch9wavefront6targetE1EEEvT1_
                                        ; -- End function
	.section	.AMDGPU.csdata,"",@progbits
; Kernel info:
; codeLenInByte = 0
; NumSgprs: 4
; NumVgprs: 0
; NumAgprs: 0
; TotalNumVgprs: 0
; ScratchSize: 0
; MemoryBound: 0
; FloatMode: 240
; IeeeMode: 1
; LDSByteSize: 0 bytes/workgroup (compile time only)
; SGPRBlocks: 0
; VGPRBlocks: 0
; NumSGPRsForWavesPerEU: 4
; NumVGPRsForWavesPerEU: 1
; AccumOffset: 4
; Occupancy: 8
; WaveLimiterHint : 0
; COMPUTE_PGM_RSRC2:SCRATCH_EN: 0
; COMPUTE_PGM_RSRC2:USER_SGPR: 6
; COMPUTE_PGM_RSRC2:TRAP_HANDLER: 0
; COMPUTE_PGM_RSRC2:TGID_X_EN: 1
; COMPUTE_PGM_RSRC2:TGID_Y_EN: 0
; COMPUTE_PGM_RSRC2:TGID_Z_EN: 0
; COMPUTE_PGM_RSRC2:TIDIG_COMP_CNT: 0
; COMPUTE_PGM_RSRC3_GFX90A:ACCUM_OFFSET: 0
; COMPUTE_PGM_RSRC3_GFX90A:TG_SPLIT: 0
	.section	.text._ZN7rocprim17ROCPRIM_400000_NS6detail17trampoline_kernelINS0_14default_configENS1_29reduce_by_key_config_selectorIyyN6thrust23THRUST_200600_302600_NS4plusIyEEEEZZNS1_33reduce_by_key_impl_wrapped_configILNS1_25lookback_scan_determinismE0ES3_S9_NS6_6detail15normal_iteratorINS6_10device_ptrIyEEEESG_SG_SG_PmS8_22is_equal_div_10_reduceIyEEE10hipError_tPvRmT2_T3_mT4_T5_T6_T7_T8_P12ihipStream_tbENKUlT_T0_E_clISt17integral_constantIbLb0EES11_EEDaSW_SX_EUlSW_E_NS1_11comp_targetILNS1_3genE8ELNS1_11target_archE1030ELNS1_3gpuE2ELNS1_3repE0EEENS1_30default_config_static_selectorELNS0_4arch9wavefront6targetE1EEEvT1_,"axG",@progbits,_ZN7rocprim17ROCPRIM_400000_NS6detail17trampoline_kernelINS0_14default_configENS1_29reduce_by_key_config_selectorIyyN6thrust23THRUST_200600_302600_NS4plusIyEEEEZZNS1_33reduce_by_key_impl_wrapped_configILNS1_25lookback_scan_determinismE0ES3_S9_NS6_6detail15normal_iteratorINS6_10device_ptrIyEEEESG_SG_SG_PmS8_22is_equal_div_10_reduceIyEEE10hipError_tPvRmT2_T3_mT4_T5_T6_T7_T8_P12ihipStream_tbENKUlT_T0_E_clISt17integral_constantIbLb0EES11_EEDaSW_SX_EUlSW_E_NS1_11comp_targetILNS1_3genE8ELNS1_11target_archE1030ELNS1_3gpuE2ELNS1_3repE0EEENS1_30default_config_static_selectorELNS0_4arch9wavefront6targetE1EEEvT1_,comdat
	.protected	_ZN7rocprim17ROCPRIM_400000_NS6detail17trampoline_kernelINS0_14default_configENS1_29reduce_by_key_config_selectorIyyN6thrust23THRUST_200600_302600_NS4plusIyEEEEZZNS1_33reduce_by_key_impl_wrapped_configILNS1_25lookback_scan_determinismE0ES3_S9_NS6_6detail15normal_iteratorINS6_10device_ptrIyEEEESG_SG_SG_PmS8_22is_equal_div_10_reduceIyEEE10hipError_tPvRmT2_T3_mT4_T5_T6_T7_T8_P12ihipStream_tbENKUlT_T0_E_clISt17integral_constantIbLb0EES11_EEDaSW_SX_EUlSW_E_NS1_11comp_targetILNS1_3genE8ELNS1_11target_archE1030ELNS1_3gpuE2ELNS1_3repE0EEENS1_30default_config_static_selectorELNS0_4arch9wavefront6targetE1EEEvT1_ ; -- Begin function _ZN7rocprim17ROCPRIM_400000_NS6detail17trampoline_kernelINS0_14default_configENS1_29reduce_by_key_config_selectorIyyN6thrust23THRUST_200600_302600_NS4plusIyEEEEZZNS1_33reduce_by_key_impl_wrapped_configILNS1_25lookback_scan_determinismE0ES3_S9_NS6_6detail15normal_iteratorINS6_10device_ptrIyEEEESG_SG_SG_PmS8_22is_equal_div_10_reduceIyEEE10hipError_tPvRmT2_T3_mT4_T5_T6_T7_T8_P12ihipStream_tbENKUlT_T0_E_clISt17integral_constantIbLb0EES11_EEDaSW_SX_EUlSW_E_NS1_11comp_targetILNS1_3genE8ELNS1_11target_archE1030ELNS1_3gpuE2ELNS1_3repE0EEENS1_30default_config_static_selectorELNS0_4arch9wavefront6targetE1EEEvT1_
	.globl	_ZN7rocprim17ROCPRIM_400000_NS6detail17trampoline_kernelINS0_14default_configENS1_29reduce_by_key_config_selectorIyyN6thrust23THRUST_200600_302600_NS4plusIyEEEEZZNS1_33reduce_by_key_impl_wrapped_configILNS1_25lookback_scan_determinismE0ES3_S9_NS6_6detail15normal_iteratorINS6_10device_ptrIyEEEESG_SG_SG_PmS8_22is_equal_div_10_reduceIyEEE10hipError_tPvRmT2_T3_mT4_T5_T6_T7_T8_P12ihipStream_tbENKUlT_T0_E_clISt17integral_constantIbLb0EES11_EEDaSW_SX_EUlSW_E_NS1_11comp_targetILNS1_3genE8ELNS1_11target_archE1030ELNS1_3gpuE2ELNS1_3repE0EEENS1_30default_config_static_selectorELNS0_4arch9wavefront6targetE1EEEvT1_
	.p2align	8
	.type	_ZN7rocprim17ROCPRIM_400000_NS6detail17trampoline_kernelINS0_14default_configENS1_29reduce_by_key_config_selectorIyyN6thrust23THRUST_200600_302600_NS4plusIyEEEEZZNS1_33reduce_by_key_impl_wrapped_configILNS1_25lookback_scan_determinismE0ES3_S9_NS6_6detail15normal_iteratorINS6_10device_ptrIyEEEESG_SG_SG_PmS8_22is_equal_div_10_reduceIyEEE10hipError_tPvRmT2_T3_mT4_T5_T6_T7_T8_P12ihipStream_tbENKUlT_T0_E_clISt17integral_constantIbLb0EES11_EEDaSW_SX_EUlSW_E_NS1_11comp_targetILNS1_3genE8ELNS1_11target_archE1030ELNS1_3gpuE2ELNS1_3repE0EEENS1_30default_config_static_selectorELNS0_4arch9wavefront6targetE1EEEvT1_,@function
_ZN7rocprim17ROCPRIM_400000_NS6detail17trampoline_kernelINS0_14default_configENS1_29reduce_by_key_config_selectorIyyN6thrust23THRUST_200600_302600_NS4plusIyEEEEZZNS1_33reduce_by_key_impl_wrapped_configILNS1_25lookback_scan_determinismE0ES3_S9_NS6_6detail15normal_iteratorINS6_10device_ptrIyEEEESG_SG_SG_PmS8_22is_equal_div_10_reduceIyEEE10hipError_tPvRmT2_T3_mT4_T5_T6_T7_T8_P12ihipStream_tbENKUlT_T0_E_clISt17integral_constantIbLb0EES11_EEDaSW_SX_EUlSW_E_NS1_11comp_targetILNS1_3genE8ELNS1_11target_archE1030ELNS1_3gpuE2ELNS1_3repE0EEENS1_30default_config_static_selectorELNS0_4arch9wavefront6targetE1EEEvT1_: ; @_ZN7rocprim17ROCPRIM_400000_NS6detail17trampoline_kernelINS0_14default_configENS1_29reduce_by_key_config_selectorIyyN6thrust23THRUST_200600_302600_NS4plusIyEEEEZZNS1_33reduce_by_key_impl_wrapped_configILNS1_25lookback_scan_determinismE0ES3_S9_NS6_6detail15normal_iteratorINS6_10device_ptrIyEEEESG_SG_SG_PmS8_22is_equal_div_10_reduceIyEEE10hipError_tPvRmT2_T3_mT4_T5_T6_T7_T8_P12ihipStream_tbENKUlT_T0_E_clISt17integral_constantIbLb0EES11_EEDaSW_SX_EUlSW_E_NS1_11comp_targetILNS1_3genE8ELNS1_11target_archE1030ELNS1_3gpuE2ELNS1_3repE0EEENS1_30default_config_static_selectorELNS0_4arch9wavefront6targetE1EEEvT1_
; %bb.0:
	.section	.rodata,"a",@progbits
	.p2align	6, 0x0
	.amdhsa_kernel _ZN7rocprim17ROCPRIM_400000_NS6detail17trampoline_kernelINS0_14default_configENS1_29reduce_by_key_config_selectorIyyN6thrust23THRUST_200600_302600_NS4plusIyEEEEZZNS1_33reduce_by_key_impl_wrapped_configILNS1_25lookback_scan_determinismE0ES3_S9_NS6_6detail15normal_iteratorINS6_10device_ptrIyEEEESG_SG_SG_PmS8_22is_equal_div_10_reduceIyEEE10hipError_tPvRmT2_T3_mT4_T5_T6_T7_T8_P12ihipStream_tbENKUlT_T0_E_clISt17integral_constantIbLb0EES11_EEDaSW_SX_EUlSW_E_NS1_11comp_targetILNS1_3genE8ELNS1_11target_archE1030ELNS1_3gpuE2ELNS1_3repE0EEENS1_30default_config_static_selectorELNS0_4arch9wavefront6targetE1EEEvT1_
		.amdhsa_group_segment_fixed_size 0
		.amdhsa_private_segment_fixed_size 0
		.amdhsa_kernarg_size 136
		.amdhsa_user_sgpr_count 6
		.amdhsa_user_sgpr_private_segment_buffer 1
		.amdhsa_user_sgpr_dispatch_ptr 0
		.amdhsa_user_sgpr_queue_ptr 0
		.amdhsa_user_sgpr_kernarg_segment_ptr 1
		.amdhsa_user_sgpr_dispatch_id 0
		.amdhsa_user_sgpr_flat_scratch_init 0
		.amdhsa_user_sgpr_kernarg_preload_length 0
		.amdhsa_user_sgpr_kernarg_preload_offset 0
		.amdhsa_user_sgpr_private_segment_size 0
		.amdhsa_uses_dynamic_stack 0
		.amdhsa_system_sgpr_private_segment_wavefront_offset 0
		.amdhsa_system_sgpr_workgroup_id_x 1
		.amdhsa_system_sgpr_workgroup_id_y 0
		.amdhsa_system_sgpr_workgroup_id_z 0
		.amdhsa_system_sgpr_workgroup_info 0
		.amdhsa_system_vgpr_workitem_id 0
		.amdhsa_next_free_vgpr 1
		.amdhsa_next_free_sgpr 0
		.amdhsa_accum_offset 4
		.amdhsa_reserve_vcc 0
		.amdhsa_reserve_flat_scratch 0
		.amdhsa_float_round_mode_32 0
		.amdhsa_float_round_mode_16_64 0
		.amdhsa_float_denorm_mode_32 3
		.amdhsa_float_denorm_mode_16_64 3
		.amdhsa_dx10_clamp 1
		.amdhsa_ieee_mode 1
		.amdhsa_fp16_overflow 0
		.amdhsa_tg_split 0
		.amdhsa_exception_fp_ieee_invalid_op 0
		.amdhsa_exception_fp_denorm_src 0
		.amdhsa_exception_fp_ieee_div_zero 0
		.amdhsa_exception_fp_ieee_overflow 0
		.amdhsa_exception_fp_ieee_underflow 0
		.amdhsa_exception_fp_ieee_inexact 0
		.amdhsa_exception_int_div_zero 0
	.end_amdhsa_kernel
	.section	.text._ZN7rocprim17ROCPRIM_400000_NS6detail17trampoline_kernelINS0_14default_configENS1_29reduce_by_key_config_selectorIyyN6thrust23THRUST_200600_302600_NS4plusIyEEEEZZNS1_33reduce_by_key_impl_wrapped_configILNS1_25lookback_scan_determinismE0ES3_S9_NS6_6detail15normal_iteratorINS6_10device_ptrIyEEEESG_SG_SG_PmS8_22is_equal_div_10_reduceIyEEE10hipError_tPvRmT2_T3_mT4_T5_T6_T7_T8_P12ihipStream_tbENKUlT_T0_E_clISt17integral_constantIbLb0EES11_EEDaSW_SX_EUlSW_E_NS1_11comp_targetILNS1_3genE8ELNS1_11target_archE1030ELNS1_3gpuE2ELNS1_3repE0EEENS1_30default_config_static_selectorELNS0_4arch9wavefront6targetE1EEEvT1_,"axG",@progbits,_ZN7rocprim17ROCPRIM_400000_NS6detail17trampoline_kernelINS0_14default_configENS1_29reduce_by_key_config_selectorIyyN6thrust23THRUST_200600_302600_NS4plusIyEEEEZZNS1_33reduce_by_key_impl_wrapped_configILNS1_25lookback_scan_determinismE0ES3_S9_NS6_6detail15normal_iteratorINS6_10device_ptrIyEEEESG_SG_SG_PmS8_22is_equal_div_10_reduceIyEEE10hipError_tPvRmT2_T3_mT4_T5_T6_T7_T8_P12ihipStream_tbENKUlT_T0_E_clISt17integral_constantIbLb0EES11_EEDaSW_SX_EUlSW_E_NS1_11comp_targetILNS1_3genE8ELNS1_11target_archE1030ELNS1_3gpuE2ELNS1_3repE0EEENS1_30default_config_static_selectorELNS0_4arch9wavefront6targetE1EEEvT1_,comdat
.Lfunc_end285:
	.size	_ZN7rocprim17ROCPRIM_400000_NS6detail17trampoline_kernelINS0_14default_configENS1_29reduce_by_key_config_selectorIyyN6thrust23THRUST_200600_302600_NS4plusIyEEEEZZNS1_33reduce_by_key_impl_wrapped_configILNS1_25lookback_scan_determinismE0ES3_S9_NS6_6detail15normal_iteratorINS6_10device_ptrIyEEEESG_SG_SG_PmS8_22is_equal_div_10_reduceIyEEE10hipError_tPvRmT2_T3_mT4_T5_T6_T7_T8_P12ihipStream_tbENKUlT_T0_E_clISt17integral_constantIbLb0EES11_EEDaSW_SX_EUlSW_E_NS1_11comp_targetILNS1_3genE8ELNS1_11target_archE1030ELNS1_3gpuE2ELNS1_3repE0EEENS1_30default_config_static_selectorELNS0_4arch9wavefront6targetE1EEEvT1_, .Lfunc_end285-_ZN7rocprim17ROCPRIM_400000_NS6detail17trampoline_kernelINS0_14default_configENS1_29reduce_by_key_config_selectorIyyN6thrust23THRUST_200600_302600_NS4plusIyEEEEZZNS1_33reduce_by_key_impl_wrapped_configILNS1_25lookback_scan_determinismE0ES3_S9_NS6_6detail15normal_iteratorINS6_10device_ptrIyEEEESG_SG_SG_PmS8_22is_equal_div_10_reduceIyEEE10hipError_tPvRmT2_T3_mT4_T5_T6_T7_T8_P12ihipStream_tbENKUlT_T0_E_clISt17integral_constantIbLb0EES11_EEDaSW_SX_EUlSW_E_NS1_11comp_targetILNS1_3genE8ELNS1_11target_archE1030ELNS1_3gpuE2ELNS1_3repE0EEENS1_30default_config_static_selectorELNS0_4arch9wavefront6targetE1EEEvT1_
                                        ; -- End function
	.section	.AMDGPU.csdata,"",@progbits
; Kernel info:
; codeLenInByte = 0
; NumSgprs: 4
; NumVgprs: 0
; NumAgprs: 0
; TotalNumVgprs: 0
; ScratchSize: 0
; MemoryBound: 0
; FloatMode: 240
; IeeeMode: 1
; LDSByteSize: 0 bytes/workgroup (compile time only)
; SGPRBlocks: 0
; VGPRBlocks: 0
; NumSGPRsForWavesPerEU: 4
; NumVGPRsForWavesPerEU: 1
; AccumOffset: 4
; Occupancy: 8
; WaveLimiterHint : 0
; COMPUTE_PGM_RSRC2:SCRATCH_EN: 0
; COMPUTE_PGM_RSRC2:USER_SGPR: 6
; COMPUTE_PGM_RSRC2:TRAP_HANDLER: 0
; COMPUTE_PGM_RSRC2:TGID_X_EN: 1
; COMPUTE_PGM_RSRC2:TGID_Y_EN: 0
; COMPUTE_PGM_RSRC2:TGID_Z_EN: 0
; COMPUTE_PGM_RSRC2:TIDIG_COMP_CNT: 0
; COMPUTE_PGM_RSRC3_GFX90A:ACCUM_OFFSET: 0
; COMPUTE_PGM_RSRC3_GFX90A:TG_SPLIT: 0
	.section	.text._ZN7rocprim17ROCPRIM_400000_NS6detail17trampoline_kernelINS0_14default_configENS1_29reduce_by_key_config_selectorIyyN6thrust23THRUST_200600_302600_NS4plusIyEEEEZZNS1_33reduce_by_key_impl_wrapped_configILNS1_25lookback_scan_determinismE0ES3_S9_NS6_6detail15normal_iteratorINS6_10device_ptrIyEEEESG_SG_SG_PmS8_22is_equal_div_10_reduceIyEEE10hipError_tPvRmT2_T3_mT4_T5_T6_T7_T8_P12ihipStream_tbENKUlT_T0_E_clISt17integral_constantIbLb1EES11_EEDaSW_SX_EUlSW_E_NS1_11comp_targetILNS1_3genE0ELNS1_11target_archE4294967295ELNS1_3gpuE0ELNS1_3repE0EEENS1_30default_config_static_selectorELNS0_4arch9wavefront6targetE1EEEvT1_,"axG",@progbits,_ZN7rocprim17ROCPRIM_400000_NS6detail17trampoline_kernelINS0_14default_configENS1_29reduce_by_key_config_selectorIyyN6thrust23THRUST_200600_302600_NS4plusIyEEEEZZNS1_33reduce_by_key_impl_wrapped_configILNS1_25lookback_scan_determinismE0ES3_S9_NS6_6detail15normal_iteratorINS6_10device_ptrIyEEEESG_SG_SG_PmS8_22is_equal_div_10_reduceIyEEE10hipError_tPvRmT2_T3_mT4_T5_T6_T7_T8_P12ihipStream_tbENKUlT_T0_E_clISt17integral_constantIbLb1EES11_EEDaSW_SX_EUlSW_E_NS1_11comp_targetILNS1_3genE0ELNS1_11target_archE4294967295ELNS1_3gpuE0ELNS1_3repE0EEENS1_30default_config_static_selectorELNS0_4arch9wavefront6targetE1EEEvT1_,comdat
	.protected	_ZN7rocprim17ROCPRIM_400000_NS6detail17trampoline_kernelINS0_14default_configENS1_29reduce_by_key_config_selectorIyyN6thrust23THRUST_200600_302600_NS4plusIyEEEEZZNS1_33reduce_by_key_impl_wrapped_configILNS1_25lookback_scan_determinismE0ES3_S9_NS6_6detail15normal_iteratorINS6_10device_ptrIyEEEESG_SG_SG_PmS8_22is_equal_div_10_reduceIyEEE10hipError_tPvRmT2_T3_mT4_T5_T6_T7_T8_P12ihipStream_tbENKUlT_T0_E_clISt17integral_constantIbLb1EES11_EEDaSW_SX_EUlSW_E_NS1_11comp_targetILNS1_3genE0ELNS1_11target_archE4294967295ELNS1_3gpuE0ELNS1_3repE0EEENS1_30default_config_static_selectorELNS0_4arch9wavefront6targetE1EEEvT1_ ; -- Begin function _ZN7rocprim17ROCPRIM_400000_NS6detail17trampoline_kernelINS0_14default_configENS1_29reduce_by_key_config_selectorIyyN6thrust23THRUST_200600_302600_NS4plusIyEEEEZZNS1_33reduce_by_key_impl_wrapped_configILNS1_25lookback_scan_determinismE0ES3_S9_NS6_6detail15normal_iteratorINS6_10device_ptrIyEEEESG_SG_SG_PmS8_22is_equal_div_10_reduceIyEEE10hipError_tPvRmT2_T3_mT4_T5_T6_T7_T8_P12ihipStream_tbENKUlT_T0_E_clISt17integral_constantIbLb1EES11_EEDaSW_SX_EUlSW_E_NS1_11comp_targetILNS1_3genE0ELNS1_11target_archE4294967295ELNS1_3gpuE0ELNS1_3repE0EEENS1_30default_config_static_selectorELNS0_4arch9wavefront6targetE1EEEvT1_
	.globl	_ZN7rocprim17ROCPRIM_400000_NS6detail17trampoline_kernelINS0_14default_configENS1_29reduce_by_key_config_selectorIyyN6thrust23THRUST_200600_302600_NS4plusIyEEEEZZNS1_33reduce_by_key_impl_wrapped_configILNS1_25lookback_scan_determinismE0ES3_S9_NS6_6detail15normal_iteratorINS6_10device_ptrIyEEEESG_SG_SG_PmS8_22is_equal_div_10_reduceIyEEE10hipError_tPvRmT2_T3_mT4_T5_T6_T7_T8_P12ihipStream_tbENKUlT_T0_E_clISt17integral_constantIbLb1EES11_EEDaSW_SX_EUlSW_E_NS1_11comp_targetILNS1_3genE0ELNS1_11target_archE4294967295ELNS1_3gpuE0ELNS1_3repE0EEENS1_30default_config_static_selectorELNS0_4arch9wavefront6targetE1EEEvT1_
	.p2align	8
	.type	_ZN7rocprim17ROCPRIM_400000_NS6detail17trampoline_kernelINS0_14default_configENS1_29reduce_by_key_config_selectorIyyN6thrust23THRUST_200600_302600_NS4plusIyEEEEZZNS1_33reduce_by_key_impl_wrapped_configILNS1_25lookback_scan_determinismE0ES3_S9_NS6_6detail15normal_iteratorINS6_10device_ptrIyEEEESG_SG_SG_PmS8_22is_equal_div_10_reduceIyEEE10hipError_tPvRmT2_T3_mT4_T5_T6_T7_T8_P12ihipStream_tbENKUlT_T0_E_clISt17integral_constantIbLb1EES11_EEDaSW_SX_EUlSW_E_NS1_11comp_targetILNS1_3genE0ELNS1_11target_archE4294967295ELNS1_3gpuE0ELNS1_3repE0EEENS1_30default_config_static_selectorELNS0_4arch9wavefront6targetE1EEEvT1_,@function
_ZN7rocprim17ROCPRIM_400000_NS6detail17trampoline_kernelINS0_14default_configENS1_29reduce_by_key_config_selectorIyyN6thrust23THRUST_200600_302600_NS4plusIyEEEEZZNS1_33reduce_by_key_impl_wrapped_configILNS1_25lookback_scan_determinismE0ES3_S9_NS6_6detail15normal_iteratorINS6_10device_ptrIyEEEESG_SG_SG_PmS8_22is_equal_div_10_reduceIyEEE10hipError_tPvRmT2_T3_mT4_T5_T6_T7_T8_P12ihipStream_tbENKUlT_T0_E_clISt17integral_constantIbLb1EES11_EEDaSW_SX_EUlSW_E_NS1_11comp_targetILNS1_3genE0ELNS1_11target_archE4294967295ELNS1_3gpuE0ELNS1_3repE0EEENS1_30default_config_static_selectorELNS0_4arch9wavefront6targetE1EEEvT1_: ; @_ZN7rocprim17ROCPRIM_400000_NS6detail17trampoline_kernelINS0_14default_configENS1_29reduce_by_key_config_selectorIyyN6thrust23THRUST_200600_302600_NS4plusIyEEEEZZNS1_33reduce_by_key_impl_wrapped_configILNS1_25lookback_scan_determinismE0ES3_S9_NS6_6detail15normal_iteratorINS6_10device_ptrIyEEEESG_SG_SG_PmS8_22is_equal_div_10_reduceIyEEE10hipError_tPvRmT2_T3_mT4_T5_T6_T7_T8_P12ihipStream_tbENKUlT_T0_E_clISt17integral_constantIbLb1EES11_EEDaSW_SX_EUlSW_E_NS1_11comp_targetILNS1_3genE0ELNS1_11target_archE4294967295ELNS1_3gpuE0ELNS1_3repE0EEENS1_30default_config_static_selectorELNS0_4arch9wavefront6targetE1EEEvT1_
; %bb.0:
	.section	.rodata,"a",@progbits
	.p2align	6, 0x0
	.amdhsa_kernel _ZN7rocprim17ROCPRIM_400000_NS6detail17trampoline_kernelINS0_14default_configENS1_29reduce_by_key_config_selectorIyyN6thrust23THRUST_200600_302600_NS4plusIyEEEEZZNS1_33reduce_by_key_impl_wrapped_configILNS1_25lookback_scan_determinismE0ES3_S9_NS6_6detail15normal_iteratorINS6_10device_ptrIyEEEESG_SG_SG_PmS8_22is_equal_div_10_reduceIyEEE10hipError_tPvRmT2_T3_mT4_T5_T6_T7_T8_P12ihipStream_tbENKUlT_T0_E_clISt17integral_constantIbLb1EES11_EEDaSW_SX_EUlSW_E_NS1_11comp_targetILNS1_3genE0ELNS1_11target_archE4294967295ELNS1_3gpuE0ELNS1_3repE0EEENS1_30default_config_static_selectorELNS0_4arch9wavefront6targetE1EEEvT1_
		.amdhsa_group_segment_fixed_size 0
		.amdhsa_private_segment_fixed_size 0
		.amdhsa_kernarg_size 136
		.amdhsa_user_sgpr_count 6
		.amdhsa_user_sgpr_private_segment_buffer 1
		.amdhsa_user_sgpr_dispatch_ptr 0
		.amdhsa_user_sgpr_queue_ptr 0
		.amdhsa_user_sgpr_kernarg_segment_ptr 1
		.amdhsa_user_sgpr_dispatch_id 0
		.amdhsa_user_sgpr_flat_scratch_init 0
		.amdhsa_user_sgpr_kernarg_preload_length 0
		.amdhsa_user_sgpr_kernarg_preload_offset 0
		.amdhsa_user_sgpr_private_segment_size 0
		.amdhsa_uses_dynamic_stack 0
		.amdhsa_system_sgpr_private_segment_wavefront_offset 0
		.amdhsa_system_sgpr_workgroup_id_x 1
		.amdhsa_system_sgpr_workgroup_id_y 0
		.amdhsa_system_sgpr_workgroup_id_z 0
		.amdhsa_system_sgpr_workgroup_info 0
		.amdhsa_system_vgpr_workitem_id 0
		.amdhsa_next_free_vgpr 1
		.amdhsa_next_free_sgpr 0
		.amdhsa_accum_offset 4
		.amdhsa_reserve_vcc 0
		.amdhsa_reserve_flat_scratch 0
		.amdhsa_float_round_mode_32 0
		.amdhsa_float_round_mode_16_64 0
		.amdhsa_float_denorm_mode_32 3
		.amdhsa_float_denorm_mode_16_64 3
		.amdhsa_dx10_clamp 1
		.amdhsa_ieee_mode 1
		.amdhsa_fp16_overflow 0
		.amdhsa_tg_split 0
		.amdhsa_exception_fp_ieee_invalid_op 0
		.amdhsa_exception_fp_denorm_src 0
		.amdhsa_exception_fp_ieee_div_zero 0
		.amdhsa_exception_fp_ieee_overflow 0
		.amdhsa_exception_fp_ieee_underflow 0
		.amdhsa_exception_fp_ieee_inexact 0
		.amdhsa_exception_int_div_zero 0
	.end_amdhsa_kernel
	.section	.text._ZN7rocprim17ROCPRIM_400000_NS6detail17trampoline_kernelINS0_14default_configENS1_29reduce_by_key_config_selectorIyyN6thrust23THRUST_200600_302600_NS4plusIyEEEEZZNS1_33reduce_by_key_impl_wrapped_configILNS1_25lookback_scan_determinismE0ES3_S9_NS6_6detail15normal_iteratorINS6_10device_ptrIyEEEESG_SG_SG_PmS8_22is_equal_div_10_reduceIyEEE10hipError_tPvRmT2_T3_mT4_T5_T6_T7_T8_P12ihipStream_tbENKUlT_T0_E_clISt17integral_constantIbLb1EES11_EEDaSW_SX_EUlSW_E_NS1_11comp_targetILNS1_3genE0ELNS1_11target_archE4294967295ELNS1_3gpuE0ELNS1_3repE0EEENS1_30default_config_static_selectorELNS0_4arch9wavefront6targetE1EEEvT1_,"axG",@progbits,_ZN7rocprim17ROCPRIM_400000_NS6detail17trampoline_kernelINS0_14default_configENS1_29reduce_by_key_config_selectorIyyN6thrust23THRUST_200600_302600_NS4plusIyEEEEZZNS1_33reduce_by_key_impl_wrapped_configILNS1_25lookback_scan_determinismE0ES3_S9_NS6_6detail15normal_iteratorINS6_10device_ptrIyEEEESG_SG_SG_PmS8_22is_equal_div_10_reduceIyEEE10hipError_tPvRmT2_T3_mT4_T5_T6_T7_T8_P12ihipStream_tbENKUlT_T0_E_clISt17integral_constantIbLb1EES11_EEDaSW_SX_EUlSW_E_NS1_11comp_targetILNS1_3genE0ELNS1_11target_archE4294967295ELNS1_3gpuE0ELNS1_3repE0EEENS1_30default_config_static_selectorELNS0_4arch9wavefront6targetE1EEEvT1_,comdat
.Lfunc_end286:
	.size	_ZN7rocprim17ROCPRIM_400000_NS6detail17trampoline_kernelINS0_14default_configENS1_29reduce_by_key_config_selectorIyyN6thrust23THRUST_200600_302600_NS4plusIyEEEEZZNS1_33reduce_by_key_impl_wrapped_configILNS1_25lookback_scan_determinismE0ES3_S9_NS6_6detail15normal_iteratorINS6_10device_ptrIyEEEESG_SG_SG_PmS8_22is_equal_div_10_reduceIyEEE10hipError_tPvRmT2_T3_mT4_T5_T6_T7_T8_P12ihipStream_tbENKUlT_T0_E_clISt17integral_constantIbLb1EES11_EEDaSW_SX_EUlSW_E_NS1_11comp_targetILNS1_3genE0ELNS1_11target_archE4294967295ELNS1_3gpuE0ELNS1_3repE0EEENS1_30default_config_static_selectorELNS0_4arch9wavefront6targetE1EEEvT1_, .Lfunc_end286-_ZN7rocprim17ROCPRIM_400000_NS6detail17trampoline_kernelINS0_14default_configENS1_29reduce_by_key_config_selectorIyyN6thrust23THRUST_200600_302600_NS4plusIyEEEEZZNS1_33reduce_by_key_impl_wrapped_configILNS1_25lookback_scan_determinismE0ES3_S9_NS6_6detail15normal_iteratorINS6_10device_ptrIyEEEESG_SG_SG_PmS8_22is_equal_div_10_reduceIyEEE10hipError_tPvRmT2_T3_mT4_T5_T6_T7_T8_P12ihipStream_tbENKUlT_T0_E_clISt17integral_constantIbLb1EES11_EEDaSW_SX_EUlSW_E_NS1_11comp_targetILNS1_3genE0ELNS1_11target_archE4294967295ELNS1_3gpuE0ELNS1_3repE0EEENS1_30default_config_static_selectorELNS0_4arch9wavefront6targetE1EEEvT1_
                                        ; -- End function
	.section	.AMDGPU.csdata,"",@progbits
; Kernel info:
; codeLenInByte = 0
; NumSgprs: 4
; NumVgprs: 0
; NumAgprs: 0
; TotalNumVgprs: 0
; ScratchSize: 0
; MemoryBound: 0
; FloatMode: 240
; IeeeMode: 1
; LDSByteSize: 0 bytes/workgroup (compile time only)
; SGPRBlocks: 0
; VGPRBlocks: 0
; NumSGPRsForWavesPerEU: 4
; NumVGPRsForWavesPerEU: 1
; AccumOffset: 4
; Occupancy: 8
; WaveLimiterHint : 0
; COMPUTE_PGM_RSRC2:SCRATCH_EN: 0
; COMPUTE_PGM_RSRC2:USER_SGPR: 6
; COMPUTE_PGM_RSRC2:TRAP_HANDLER: 0
; COMPUTE_PGM_RSRC2:TGID_X_EN: 1
; COMPUTE_PGM_RSRC2:TGID_Y_EN: 0
; COMPUTE_PGM_RSRC2:TGID_Z_EN: 0
; COMPUTE_PGM_RSRC2:TIDIG_COMP_CNT: 0
; COMPUTE_PGM_RSRC3_GFX90A:ACCUM_OFFSET: 0
; COMPUTE_PGM_RSRC3_GFX90A:TG_SPLIT: 0
	.section	.text._ZN7rocprim17ROCPRIM_400000_NS6detail17trampoline_kernelINS0_14default_configENS1_29reduce_by_key_config_selectorIyyN6thrust23THRUST_200600_302600_NS4plusIyEEEEZZNS1_33reduce_by_key_impl_wrapped_configILNS1_25lookback_scan_determinismE0ES3_S9_NS6_6detail15normal_iteratorINS6_10device_ptrIyEEEESG_SG_SG_PmS8_22is_equal_div_10_reduceIyEEE10hipError_tPvRmT2_T3_mT4_T5_T6_T7_T8_P12ihipStream_tbENKUlT_T0_E_clISt17integral_constantIbLb1EES11_EEDaSW_SX_EUlSW_E_NS1_11comp_targetILNS1_3genE5ELNS1_11target_archE942ELNS1_3gpuE9ELNS1_3repE0EEENS1_30default_config_static_selectorELNS0_4arch9wavefront6targetE1EEEvT1_,"axG",@progbits,_ZN7rocprim17ROCPRIM_400000_NS6detail17trampoline_kernelINS0_14default_configENS1_29reduce_by_key_config_selectorIyyN6thrust23THRUST_200600_302600_NS4plusIyEEEEZZNS1_33reduce_by_key_impl_wrapped_configILNS1_25lookback_scan_determinismE0ES3_S9_NS6_6detail15normal_iteratorINS6_10device_ptrIyEEEESG_SG_SG_PmS8_22is_equal_div_10_reduceIyEEE10hipError_tPvRmT2_T3_mT4_T5_T6_T7_T8_P12ihipStream_tbENKUlT_T0_E_clISt17integral_constantIbLb1EES11_EEDaSW_SX_EUlSW_E_NS1_11comp_targetILNS1_3genE5ELNS1_11target_archE942ELNS1_3gpuE9ELNS1_3repE0EEENS1_30default_config_static_selectorELNS0_4arch9wavefront6targetE1EEEvT1_,comdat
	.protected	_ZN7rocprim17ROCPRIM_400000_NS6detail17trampoline_kernelINS0_14default_configENS1_29reduce_by_key_config_selectorIyyN6thrust23THRUST_200600_302600_NS4plusIyEEEEZZNS1_33reduce_by_key_impl_wrapped_configILNS1_25lookback_scan_determinismE0ES3_S9_NS6_6detail15normal_iteratorINS6_10device_ptrIyEEEESG_SG_SG_PmS8_22is_equal_div_10_reduceIyEEE10hipError_tPvRmT2_T3_mT4_T5_T6_T7_T8_P12ihipStream_tbENKUlT_T0_E_clISt17integral_constantIbLb1EES11_EEDaSW_SX_EUlSW_E_NS1_11comp_targetILNS1_3genE5ELNS1_11target_archE942ELNS1_3gpuE9ELNS1_3repE0EEENS1_30default_config_static_selectorELNS0_4arch9wavefront6targetE1EEEvT1_ ; -- Begin function _ZN7rocprim17ROCPRIM_400000_NS6detail17trampoline_kernelINS0_14default_configENS1_29reduce_by_key_config_selectorIyyN6thrust23THRUST_200600_302600_NS4plusIyEEEEZZNS1_33reduce_by_key_impl_wrapped_configILNS1_25lookback_scan_determinismE0ES3_S9_NS6_6detail15normal_iteratorINS6_10device_ptrIyEEEESG_SG_SG_PmS8_22is_equal_div_10_reduceIyEEE10hipError_tPvRmT2_T3_mT4_T5_T6_T7_T8_P12ihipStream_tbENKUlT_T0_E_clISt17integral_constantIbLb1EES11_EEDaSW_SX_EUlSW_E_NS1_11comp_targetILNS1_3genE5ELNS1_11target_archE942ELNS1_3gpuE9ELNS1_3repE0EEENS1_30default_config_static_selectorELNS0_4arch9wavefront6targetE1EEEvT1_
	.globl	_ZN7rocprim17ROCPRIM_400000_NS6detail17trampoline_kernelINS0_14default_configENS1_29reduce_by_key_config_selectorIyyN6thrust23THRUST_200600_302600_NS4plusIyEEEEZZNS1_33reduce_by_key_impl_wrapped_configILNS1_25lookback_scan_determinismE0ES3_S9_NS6_6detail15normal_iteratorINS6_10device_ptrIyEEEESG_SG_SG_PmS8_22is_equal_div_10_reduceIyEEE10hipError_tPvRmT2_T3_mT4_T5_T6_T7_T8_P12ihipStream_tbENKUlT_T0_E_clISt17integral_constantIbLb1EES11_EEDaSW_SX_EUlSW_E_NS1_11comp_targetILNS1_3genE5ELNS1_11target_archE942ELNS1_3gpuE9ELNS1_3repE0EEENS1_30default_config_static_selectorELNS0_4arch9wavefront6targetE1EEEvT1_
	.p2align	8
	.type	_ZN7rocprim17ROCPRIM_400000_NS6detail17trampoline_kernelINS0_14default_configENS1_29reduce_by_key_config_selectorIyyN6thrust23THRUST_200600_302600_NS4plusIyEEEEZZNS1_33reduce_by_key_impl_wrapped_configILNS1_25lookback_scan_determinismE0ES3_S9_NS6_6detail15normal_iteratorINS6_10device_ptrIyEEEESG_SG_SG_PmS8_22is_equal_div_10_reduceIyEEE10hipError_tPvRmT2_T3_mT4_T5_T6_T7_T8_P12ihipStream_tbENKUlT_T0_E_clISt17integral_constantIbLb1EES11_EEDaSW_SX_EUlSW_E_NS1_11comp_targetILNS1_3genE5ELNS1_11target_archE942ELNS1_3gpuE9ELNS1_3repE0EEENS1_30default_config_static_selectorELNS0_4arch9wavefront6targetE1EEEvT1_,@function
_ZN7rocprim17ROCPRIM_400000_NS6detail17trampoline_kernelINS0_14default_configENS1_29reduce_by_key_config_selectorIyyN6thrust23THRUST_200600_302600_NS4plusIyEEEEZZNS1_33reduce_by_key_impl_wrapped_configILNS1_25lookback_scan_determinismE0ES3_S9_NS6_6detail15normal_iteratorINS6_10device_ptrIyEEEESG_SG_SG_PmS8_22is_equal_div_10_reduceIyEEE10hipError_tPvRmT2_T3_mT4_T5_T6_T7_T8_P12ihipStream_tbENKUlT_T0_E_clISt17integral_constantIbLb1EES11_EEDaSW_SX_EUlSW_E_NS1_11comp_targetILNS1_3genE5ELNS1_11target_archE942ELNS1_3gpuE9ELNS1_3repE0EEENS1_30default_config_static_selectorELNS0_4arch9wavefront6targetE1EEEvT1_: ; @_ZN7rocprim17ROCPRIM_400000_NS6detail17trampoline_kernelINS0_14default_configENS1_29reduce_by_key_config_selectorIyyN6thrust23THRUST_200600_302600_NS4plusIyEEEEZZNS1_33reduce_by_key_impl_wrapped_configILNS1_25lookback_scan_determinismE0ES3_S9_NS6_6detail15normal_iteratorINS6_10device_ptrIyEEEESG_SG_SG_PmS8_22is_equal_div_10_reduceIyEEE10hipError_tPvRmT2_T3_mT4_T5_T6_T7_T8_P12ihipStream_tbENKUlT_T0_E_clISt17integral_constantIbLb1EES11_EEDaSW_SX_EUlSW_E_NS1_11comp_targetILNS1_3genE5ELNS1_11target_archE942ELNS1_3gpuE9ELNS1_3repE0EEENS1_30default_config_static_selectorELNS0_4arch9wavefront6targetE1EEEvT1_
; %bb.0:
	.section	.rodata,"a",@progbits
	.p2align	6, 0x0
	.amdhsa_kernel _ZN7rocprim17ROCPRIM_400000_NS6detail17trampoline_kernelINS0_14default_configENS1_29reduce_by_key_config_selectorIyyN6thrust23THRUST_200600_302600_NS4plusIyEEEEZZNS1_33reduce_by_key_impl_wrapped_configILNS1_25lookback_scan_determinismE0ES3_S9_NS6_6detail15normal_iteratorINS6_10device_ptrIyEEEESG_SG_SG_PmS8_22is_equal_div_10_reduceIyEEE10hipError_tPvRmT2_T3_mT4_T5_T6_T7_T8_P12ihipStream_tbENKUlT_T0_E_clISt17integral_constantIbLb1EES11_EEDaSW_SX_EUlSW_E_NS1_11comp_targetILNS1_3genE5ELNS1_11target_archE942ELNS1_3gpuE9ELNS1_3repE0EEENS1_30default_config_static_selectorELNS0_4arch9wavefront6targetE1EEEvT1_
		.amdhsa_group_segment_fixed_size 0
		.amdhsa_private_segment_fixed_size 0
		.amdhsa_kernarg_size 136
		.amdhsa_user_sgpr_count 6
		.amdhsa_user_sgpr_private_segment_buffer 1
		.amdhsa_user_sgpr_dispatch_ptr 0
		.amdhsa_user_sgpr_queue_ptr 0
		.amdhsa_user_sgpr_kernarg_segment_ptr 1
		.amdhsa_user_sgpr_dispatch_id 0
		.amdhsa_user_sgpr_flat_scratch_init 0
		.amdhsa_user_sgpr_kernarg_preload_length 0
		.amdhsa_user_sgpr_kernarg_preload_offset 0
		.amdhsa_user_sgpr_private_segment_size 0
		.amdhsa_uses_dynamic_stack 0
		.amdhsa_system_sgpr_private_segment_wavefront_offset 0
		.amdhsa_system_sgpr_workgroup_id_x 1
		.amdhsa_system_sgpr_workgroup_id_y 0
		.amdhsa_system_sgpr_workgroup_id_z 0
		.amdhsa_system_sgpr_workgroup_info 0
		.amdhsa_system_vgpr_workitem_id 0
		.amdhsa_next_free_vgpr 1
		.amdhsa_next_free_sgpr 0
		.amdhsa_accum_offset 4
		.amdhsa_reserve_vcc 0
		.amdhsa_reserve_flat_scratch 0
		.amdhsa_float_round_mode_32 0
		.amdhsa_float_round_mode_16_64 0
		.amdhsa_float_denorm_mode_32 3
		.amdhsa_float_denorm_mode_16_64 3
		.amdhsa_dx10_clamp 1
		.amdhsa_ieee_mode 1
		.amdhsa_fp16_overflow 0
		.amdhsa_tg_split 0
		.amdhsa_exception_fp_ieee_invalid_op 0
		.amdhsa_exception_fp_denorm_src 0
		.amdhsa_exception_fp_ieee_div_zero 0
		.amdhsa_exception_fp_ieee_overflow 0
		.amdhsa_exception_fp_ieee_underflow 0
		.amdhsa_exception_fp_ieee_inexact 0
		.amdhsa_exception_int_div_zero 0
	.end_amdhsa_kernel
	.section	.text._ZN7rocprim17ROCPRIM_400000_NS6detail17trampoline_kernelINS0_14default_configENS1_29reduce_by_key_config_selectorIyyN6thrust23THRUST_200600_302600_NS4plusIyEEEEZZNS1_33reduce_by_key_impl_wrapped_configILNS1_25lookback_scan_determinismE0ES3_S9_NS6_6detail15normal_iteratorINS6_10device_ptrIyEEEESG_SG_SG_PmS8_22is_equal_div_10_reduceIyEEE10hipError_tPvRmT2_T3_mT4_T5_T6_T7_T8_P12ihipStream_tbENKUlT_T0_E_clISt17integral_constantIbLb1EES11_EEDaSW_SX_EUlSW_E_NS1_11comp_targetILNS1_3genE5ELNS1_11target_archE942ELNS1_3gpuE9ELNS1_3repE0EEENS1_30default_config_static_selectorELNS0_4arch9wavefront6targetE1EEEvT1_,"axG",@progbits,_ZN7rocprim17ROCPRIM_400000_NS6detail17trampoline_kernelINS0_14default_configENS1_29reduce_by_key_config_selectorIyyN6thrust23THRUST_200600_302600_NS4plusIyEEEEZZNS1_33reduce_by_key_impl_wrapped_configILNS1_25lookback_scan_determinismE0ES3_S9_NS6_6detail15normal_iteratorINS6_10device_ptrIyEEEESG_SG_SG_PmS8_22is_equal_div_10_reduceIyEEE10hipError_tPvRmT2_T3_mT4_T5_T6_T7_T8_P12ihipStream_tbENKUlT_T0_E_clISt17integral_constantIbLb1EES11_EEDaSW_SX_EUlSW_E_NS1_11comp_targetILNS1_3genE5ELNS1_11target_archE942ELNS1_3gpuE9ELNS1_3repE0EEENS1_30default_config_static_selectorELNS0_4arch9wavefront6targetE1EEEvT1_,comdat
.Lfunc_end287:
	.size	_ZN7rocprim17ROCPRIM_400000_NS6detail17trampoline_kernelINS0_14default_configENS1_29reduce_by_key_config_selectorIyyN6thrust23THRUST_200600_302600_NS4plusIyEEEEZZNS1_33reduce_by_key_impl_wrapped_configILNS1_25lookback_scan_determinismE0ES3_S9_NS6_6detail15normal_iteratorINS6_10device_ptrIyEEEESG_SG_SG_PmS8_22is_equal_div_10_reduceIyEEE10hipError_tPvRmT2_T3_mT4_T5_T6_T7_T8_P12ihipStream_tbENKUlT_T0_E_clISt17integral_constantIbLb1EES11_EEDaSW_SX_EUlSW_E_NS1_11comp_targetILNS1_3genE5ELNS1_11target_archE942ELNS1_3gpuE9ELNS1_3repE0EEENS1_30default_config_static_selectorELNS0_4arch9wavefront6targetE1EEEvT1_, .Lfunc_end287-_ZN7rocprim17ROCPRIM_400000_NS6detail17trampoline_kernelINS0_14default_configENS1_29reduce_by_key_config_selectorIyyN6thrust23THRUST_200600_302600_NS4plusIyEEEEZZNS1_33reduce_by_key_impl_wrapped_configILNS1_25lookback_scan_determinismE0ES3_S9_NS6_6detail15normal_iteratorINS6_10device_ptrIyEEEESG_SG_SG_PmS8_22is_equal_div_10_reduceIyEEE10hipError_tPvRmT2_T3_mT4_T5_T6_T7_T8_P12ihipStream_tbENKUlT_T0_E_clISt17integral_constantIbLb1EES11_EEDaSW_SX_EUlSW_E_NS1_11comp_targetILNS1_3genE5ELNS1_11target_archE942ELNS1_3gpuE9ELNS1_3repE0EEENS1_30default_config_static_selectorELNS0_4arch9wavefront6targetE1EEEvT1_
                                        ; -- End function
	.section	.AMDGPU.csdata,"",@progbits
; Kernel info:
; codeLenInByte = 0
; NumSgprs: 4
; NumVgprs: 0
; NumAgprs: 0
; TotalNumVgprs: 0
; ScratchSize: 0
; MemoryBound: 0
; FloatMode: 240
; IeeeMode: 1
; LDSByteSize: 0 bytes/workgroup (compile time only)
; SGPRBlocks: 0
; VGPRBlocks: 0
; NumSGPRsForWavesPerEU: 4
; NumVGPRsForWavesPerEU: 1
; AccumOffset: 4
; Occupancy: 8
; WaveLimiterHint : 0
; COMPUTE_PGM_RSRC2:SCRATCH_EN: 0
; COMPUTE_PGM_RSRC2:USER_SGPR: 6
; COMPUTE_PGM_RSRC2:TRAP_HANDLER: 0
; COMPUTE_PGM_RSRC2:TGID_X_EN: 1
; COMPUTE_PGM_RSRC2:TGID_Y_EN: 0
; COMPUTE_PGM_RSRC2:TGID_Z_EN: 0
; COMPUTE_PGM_RSRC2:TIDIG_COMP_CNT: 0
; COMPUTE_PGM_RSRC3_GFX90A:ACCUM_OFFSET: 0
; COMPUTE_PGM_RSRC3_GFX90A:TG_SPLIT: 0
	.section	.text._ZN7rocprim17ROCPRIM_400000_NS6detail17trampoline_kernelINS0_14default_configENS1_29reduce_by_key_config_selectorIyyN6thrust23THRUST_200600_302600_NS4plusIyEEEEZZNS1_33reduce_by_key_impl_wrapped_configILNS1_25lookback_scan_determinismE0ES3_S9_NS6_6detail15normal_iteratorINS6_10device_ptrIyEEEESG_SG_SG_PmS8_22is_equal_div_10_reduceIyEEE10hipError_tPvRmT2_T3_mT4_T5_T6_T7_T8_P12ihipStream_tbENKUlT_T0_E_clISt17integral_constantIbLb1EES11_EEDaSW_SX_EUlSW_E_NS1_11comp_targetILNS1_3genE4ELNS1_11target_archE910ELNS1_3gpuE8ELNS1_3repE0EEENS1_30default_config_static_selectorELNS0_4arch9wavefront6targetE1EEEvT1_,"axG",@progbits,_ZN7rocprim17ROCPRIM_400000_NS6detail17trampoline_kernelINS0_14default_configENS1_29reduce_by_key_config_selectorIyyN6thrust23THRUST_200600_302600_NS4plusIyEEEEZZNS1_33reduce_by_key_impl_wrapped_configILNS1_25lookback_scan_determinismE0ES3_S9_NS6_6detail15normal_iteratorINS6_10device_ptrIyEEEESG_SG_SG_PmS8_22is_equal_div_10_reduceIyEEE10hipError_tPvRmT2_T3_mT4_T5_T6_T7_T8_P12ihipStream_tbENKUlT_T0_E_clISt17integral_constantIbLb1EES11_EEDaSW_SX_EUlSW_E_NS1_11comp_targetILNS1_3genE4ELNS1_11target_archE910ELNS1_3gpuE8ELNS1_3repE0EEENS1_30default_config_static_selectorELNS0_4arch9wavefront6targetE1EEEvT1_,comdat
	.protected	_ZN7rocprim17ROCPRIM_400000_NS6detail17trampoline_kernelINS0_14default_configENS1_29reduce_by_key_config_selectorIyyN6thrust23THRUST_200600_302600_NS4plusIyEEEEZZNS1_33reduce_by_key_impl_wrapped_configILNS1_25lookback_scan_determinismE0ES3_S9_NS6_6detail15normal_iteratorINS6_10device_ptrIyEEEESG_SG_SG_PmS8_22is_equal_div_10_reduceIyEEE10hipError_tPvRmT2_T3_mT4_T5_T6_T7_T8_P12ihipStream_tbENKUlT_T0_E_clISt17integral_constantIbLb1EES11_EEDaSW_SX_EUlSW_E_NS1_11comp_targetILNS1_3genE4ELNS1_11target_archE910ELNS1_3gpuE8ELNS1_3repE0EEENS1_30default_config_static_selectorELNS0_4arch9wavefront6targetE1EEEvT1_ ; -- Begin function _ZN7rocprim17ROCPRIM_400000_NS6detail17trampoline_kernelINS0_14default_configENS1_29reduce_by_key_config_selectorIyyN6thrust23THRUST_200600_302600_NS4plusIyEEEEZZNS1_33reduce_by_key_impl_wrapped_configILNS1_25lookback_scan_determinismE0ES3_S9_NS6_6detail15normal_iteratorINS6_10device_ptrIyEEEESG_SG_SG_PmS8_22is_equal_div_10_reduceIyEEE10hipError_tPvRmT2_T3_mT4_T5_T6_T7_T8_P12ihipStream_tbENKUlT_T0_E_clISt17integral_constantIbLb1EES11_EEDaSW_SX_EUlSW_E_NS1_11comp_targetILNS1_3genE4ELNS1_11target_archE910ELNS1_3gpuE8ELNS1_3repE0EEENS1_30default_config_static_selectorELNS0_4arch9wavefront6targetE1EEEvT1_
	.globl	_ZN7rocprim17ROCPRIM_400000_NS6detail17trampoline_kernelINS0_14default_configENS1_29reduce_by_key_config_selectorIyyN6thrust23THRUST_200600_302600_NS4plusIyEEEEZZNS1_33reduce_by_key_impl_wrapped_configILNS1_25lookback_scan_determinismE0ES3_S9_NS6_6detail15normal_iteratorINS6_10device_ptrIyEEEESG_SG_SG_PmS8_22is_equal_div_10_reduceIyEEE10hipError_tPvRmT2_T3_mT4_T5_T6_T7_T8_P12ihipStream_tbENKUlT_T0_E_clISt17integral_constantIbLb1EES11_EEDaSW_SX_EUlSW_E_NS1_11comp_targetILNS1_3genE4ELNS1_11target_archE910ELNS1_3gpuE8ELNS1_3repE0EEENS1_30default_config_static_selectorELNS0_4arch9wavefront6targetE1EEEvT1_
	.p2align	8
	.type	_ZN7rocprim17ROCPRIM_400000_NS6detail17trampoline_kernelINS0_14default_configENS1_29reduce_by_key_config_selectorIyyN6thrust23THRUST_200600_302600_NS4plusIyEEEEZZNS1_33reduce_by_key_impl_wrapped_configILNS1_25lookback_scan_determinismE0ES3_S9_NS6_6detail15normal_iteratorINS6_10device_ptrIyEEEESG_SG_SG_PmS8_22is_equal_div_10_reduceIyEEE10hipError_tPvRmT2_T3_mT4_T5_T6_T7_T8_P12ihipStream_tbENKUlT_T0_E_clISt17integral_constantIbLb1EES11_EEDaSW_SX_EUlSW_E_NS1_11comp_targetILNS1_3genE4ELNS1_11target_archE910ELNS1_3gpuE8ELNS1_3repE0EEENS1_30default_config_static_selectorELNS0_4arch9wavefront6targetE1EEEvT1_,@function
_ZN7rocprim17ROCPRIM_400000_NS6detail17trampoline_kernelINS0_14default_configENS1_29reduce_by_key_config_selectorIyyN6thrust23THRUST_200600_302600_NS4plusIyEEEEZZNS1_33reduce_by_key_impl_wrapped_configILNS1_25lookback_scan_determinismE0ES3_S9_NS6_6detail15normal_iteratorINS6_10device_ptrIyEEEESG_SG_SG_PmS8_22is_equal_div_10_reduceIyEEE10hipError_tPvRmT2_T3_mT4_T5_T6_T7_T8_P12ihipStream_tbENKUlT_T0_E_clISt17integral_constantIbLb1EES11_EEDaSW_SX_EUlSW_E_NS1_11comp_targetILNS1_3genE4ELNS1_11target_archE910ELNS1_3gpuE8ELNS1_3repE0EEENS1_30default_config_static_selectorELNS0_4arch9wavefront6targetE1EEEvT1_: ; @_ZN7rocprim17ROCPRIM_400000_NS6detail17trampoline_kernelINS0_14default_configENS1_29reduce_by_key_config_selectorIyyN6thrust23THRUST_200600_302600_NS4plusIyEEEEZZNS1_33reduce_by_key_impl_wrapped_configILNS1_25lookback_scan_determinismE0ES3_S9_NS6_6detail15normal_iteratorINS6_10device_ptrIyEEEESG_SG_SG_PmS8_22is_equal_div_10_reduceIyEEE10hipError_tPvRmT2_T3_mT4_T5_T6_T7_T8_P12ihipStream_tbENKUlT_T0_E_clISt17integral_constantIbLb1EES11_EEDaSW_SX_EUlSW_E_NS1_11comp_targetILNS1_3genE4ELNS1_11target_archE910ELNS1_3gpuE8ELNS1_3repE0EEENS1_30default_config_static_selectorELNS0_4arch9wavefront6targetE1EEEvT1_
; %bb.0:
	s_load_dwordx8 s[52:59], s[4:5], 0x0
	s_load_dwordx4 s[60:63], s[4:5], 0x20
	s_load_dwordx2 s[64:65], s[4:5], 0x78
	v_cmp_ne_u32_e64 s[2:3], 0, v0
	v_cmp_eq_u32_e64 s[0:1], 0, v0
	s_and_saveexec_b64 s[6:7], s[0:1]
	s_cbranch_execz .LBB288_4
; %bb.1:
	s_mov_b64 s[10:11], exec
	v_mbcnt_lo_u32_b32 v1, s10, 0
	v_mbcnt_hi_u32_b32 v1, s11, v1
	v_cmp_eq_u32_e32 vcc, 0, v1
                                        ; implicit-def: $vgpr2
	s_and_saveexec_b64 s[8:9], vcc
	s_cbranch_execz .LBB288_3
; %bb.2:
	s_load_dwordx2 s[12:13], s[4:5], 0x80
	s_bcnt1_i32_b64 s10, s[10:11]
	v_mov_b32_e32 v2, 0
	v_mov_b32_e32 v3, s10
	s_waitcnt lgkmcnt(0)
	global_atomic_add v2, v2, v3, s[12:13] glc
.LBB288_3:
	s_or_b64 exec, exec, s[8:9]
	s_waitcnt vmcnt(0)
	v_readfirstlane_b32 s8, v2
	v_add_u32_e32 v1, s8, v1
	v_mov_b32_e32 v2, 0
	ds_write_b32 v2, v1
.LBB288_4:
	s_or_b64 exec, exec, s[6:7]
	s_load_dwordx16 s[36:51], s[4:5], 0x38
	v_mov_b32_e32 v3, 0
	s_waitcnt lgkmcnt(0)
	s_lshl_b64 s[4:5], s[54:55], 3
	s_barrier
	ds_read_b32 v1, v3
	s_add_u32 s6, s52, s4
	s_addc_u32 s7, s53, s5
	s_add_u32 s4, s56, s4
	s_mul_i32 s8, s44, s43
	s_mul_hi_u32 s9, s44, s42
	s_addc_u32 s5, s57, s5
	s_add_i32 s8, s9, s8
	s_mul_i32 s9, s45, s42
	s_add_i32 s8, s8, s9
	s_mul_i32 s9, s44, s42
	s_waitcnt lgkmcnt(0)
	v_readfirstlane_b32 s56, v1
	s_movk_i32 s10, 0xf00
	v_mul_lo_u32 v2, v1, s10
	s_add_u32 s52, s9, s56
	v_lshlrev_b64 v[2:3], 3, v[2:3]
	s_addc_u32 s53, s8, 0
	v_mov_b32_e32 v1, s7
	v_add_co_u32_e32 v74, vcc, s6, v2
	s_add_u32 s6, s46, -1
	v_addc_co_u32_e32 v76, vcc, v1, v3, vcc
	s_addc_u32 s7, s47, -1
	v_mov_b32_e32 v4, s5
	v_add_co_u32_e32 v1, vcc, s4, v2
	s_cmp_eq_u64 s[52:53], s[6:7]
	v_addc_co_u32_e32 v62, vcc, v4, v3, vcc
	s_cselect_b64 s[44:45], -1, 0
	s_cmp_lg_u64 s[52:53], s[6:7]
	s_mov_b64 s[4:5], -1
	s_cselect_b64 s[54:55], -1, 0
	s_mul_i32 s33, s6, 0xfffff100
	s_and_b64 vcc, exec, s[44:45]
	s_barrier
	s_cbranch_vccnz .LBB288_6
; %bb.5:
	v_lshlrev_b32_e32 v65, 3, v0
	v_add_co_u32_e32 v2, vcc, v74, v65
	v_addc_co_u32_e32 v3, vcc, 0, v76, vcc
	v_add_co_u32_e32 v4, vcc, 0x1000, v2
	v_addc_co_u32_e32 v5, vcc, 0, v3, vcc
	flat_load_dwordx2 v[6:7], v[2:3]
	flat_load_dwordx2 v[8:9], v[2:3] offset:2048
	flat_load_dwordx2 v[10:11], v[4:5]
	flat_load_dwordx2 v[12:13], v[4:5] offset:2048
	v_add_co_u32_e32 v4, vcc, 0x2000, v2
	v_addc_co_u32_e32 v5, vcc, 0, v3, vcc
	v_add_co_u32_e32 v14, vcc, 0x3000, v2
	v_addc_co_u32_e32 v15, vcc, 0, v3, vcc
	flat_load_dwordx2 v[16:17], v[4:5]
	flat_load_dwordx2 v[18:19], v[4:5] offset:2048
	flat_load_dwordx2 v[20:21], v[14:15]
	flat_load_dwordx2 v[22:23], v[14:15] offset:2048
	v_add_co_u32_e32 v4, vcc, 0x4000, v2
	v_addc_co_u32_e32 v5, vcc, 0, v3, vcc
	v_add_co_u32_e32 v14, vcc, 0x5000, v2
	v_addc_co_u32_e32 v15, vcc, 0, v3, vcc
	flat_load_dwordx2 v[24:25], v[4:5]
	flat_load_dwordx2 v[26:27], v[4:5] offset:2048
	flat_load_dwordx2 v[28:29], v[14:15]
	flat_load_dwordx2 v[30:31], v[14:15] offset:2048
	v_add_co_u32_e32 v4, vcc, 0x6000, v2
	v_addc_co_u32_e32 v5, vcc, 0, v3, vcc
	v_add_co_u32_e32 v2, vcc, 0x7000, v2
	v_addc_co_u32_e32 v3, vcc, 0, v3, vcc
	flat_load_dwordx2 v[14:15], v[4:5]
	flat_load_dwordx2 v[32:33], v[4:5] offset:2048
	flat_load_dwordx2 v[34:35], v[2:3]
	v_add_co_u32_e32 v36, vcc, v1, v65
	s_movk_i32 s4, 0x1000
	v_addc_co_u32_e32 v37, vcc, 0, v62, vcc
	s_movk_i32 s11, 0x70
	s_movk_i32 s5, 0x2000
	v_mad_u32_u24 v63, v0, s11, v65
	s_movk_i32 s6, 0x3000
	s_movk_i32 s7, 0x4000
	;; [unrolled: 1-line block ×5, first 2 shown]
	v_mul_u32_u24_e32 v64, 15, v0
	s_waitcnt vmcnt(0) lgkmcnt(0)
	ds_write2st64_b64 v65, v[6:7], v[8:9] offset1:4
	ds_write2st64_b64 v65, v[10:11], v[12:13] offset0:8 offset1:12
	ds_write2st64_b64 v65, v[16:17], v[18:19] offset0:16 offset1:20
	;; [unrolled: 1-line block ×6, first 2 shown]
	ds_write_b64 v65, v[34:35] offset:28672
	v_add_co_u32_e32 v30, vcc, s4, v36
	v_addc_co_u32_e32 v31, vcc, 0, v37, vcc
	s_waitcnt lgkmcnt(0)
	s_barrier
	ds_read2_b64 v[26:29], v63 offset1:1
	ds_read2_b64 v[22:25], v63 offset0:2 offset1:3
	ds_read2_b64 v[18:21], v63 offset0:4 offset1:5
	;; [unrolled: 1-line block ×6, first 2 shown]
	ds_read_b64 v[58:59], v63 offset:112
	s_waitcnt lgkmcnt(0)
	s_barrier
	flat_load_dwordx2 v[32:33], v[36:37]
	flat_load_dwordx2 v[34:35], v[36:37] offset:2048
	flat_load_dwordx2 v[38:39], v[30:31]
	flat_load_dwordx2 v[40:41], v[30:31] offset:2048
	v_add_co_u32_e32 v30, vcc, s5, v36
	v_addc_co_u32_e32 v31, vcc, 0, v37, vcc
	v_add_co_u32_e32 v42, vcc, s6, v36
	v_addc_co_u32_e32 v43, vcc, 0, v37, vcc
	flat_load_dwordx2 v[44:45], v[30:31]
	flat_load_dwordx2 v[46:47], v[30:31] offset:2048
	flat_load_dwordx2 v[48:49], v[42:43]
	flat_load_dwordx2 v[50:51], v[42:43] offset:2048
	v_add_co_u32_e32 v30, vcc, s7, v36
	v_addc_co_u32_e32 v31, vcc, 0, v37, vcc
	v_add_co_u32_e32 v42, vcc, s8, v36
	v_addc_co_u32_e32 v43, vcc, 0, v37, vcc
	;; [unrolled: 8-line block ×3, first 2 shown]
	flat_load_dwordx2 v[42:43], v[30:31]
	flat_load_dwordx2 v[66:67], v[30:31] offset:2048
	flat_load_dwordx2 v[68:69], v[36:37]
	s_waitcnt vmcnt(0) lgkmcnt(0)
	ds_write2st64_b64 v65, v[32:33], v[34:35] offset1:4
	ds_write2st64_b64 v65, v[38:39], v[40:41] offset0:8 offset1:12
	ds_write2st64_b64 v65, v[44:45], v[46:47] offset0:16 offset1:20
	;; [unrolled: 1-line block ×6, first 2 shown]
	ds_write_b64 v65, v[68:69] offset:28672
	s_waitcnt lgkmcnt(0)
	s_barrier
	s_add_i32 s33, s33, s48
	s_cbranch_execz .LBB288_7
	s_branch .LBB288_54
.LBB288_6:
                                        ; implicit-def: $vgpr2_vgpr3_vgpr4_vgpr5
                                        ; implicit-def: $vgpr6_vgpr7_vgpr8_vgpr9
                                        ; implicit-def: $vgpr10_vgpr11_vgpr12_vgpr13
                                        ; implicit-def: $vgpr14_vgpr15_vgpr16_vgpr17
                                        ; implicit-def: $vgpr18_vgpr19_vgpr20_vgpr21
                                        ; implicit-def: $vgpr22_vgpr23_vgpr24_vgpr25
                                        ; implicit-def: $vgpr26_vgpr27_vgpr28_vgpr29
                                        ; implicit-def: $vgpr64
                                        ; implicit-def: $vgpr63
                                        ; implicit-def: $vgpr58_vgpr59
	s_andn2_b64 vcc, exec, s[4:5]
	s_add_i32 s33, s33, s48
	s_cbranch_vccnz .LBB288_54
.LBB288_7:
	v_cmp_gt_u32_e32 vcc, s33, v0
                                        ; implicit-def: $vgpr2_vgpr3
	s_and_saveexec_b64 s[6:7], vcc
	s_cbranch_execz .LBB288_9
; %bb.8:
	v_lshlrev_b32_e32 v2, 3, v0
	v_add_co_u32_e64 v2, s[4:5], v74, v2
	v_addc_co_u32_e64 v3, s[4:5], 0, v76, s[4:5]
	flat_load_dwordx2 v[2:3], v[2:3]
.LBB288_9:
	s_or_b64 exec, exec, s[6:7]
	v_or_b32_e32 v4, 0x100, v0
	v_cmp_gt_u32_e64 s[4:5], s33, v4
                                        ; implicit-def: $vgpr4_vgpr5
	s_and_saveexec_b64 s[8:9], s[4:5]
	s_cbranch_execz .LBB288_11
; %bb.10:
	v_lshlrev_b32_e32 v4, 3, v0
	v_add_co_u32_e64 v4, s[6:7], v74, v4
	v_addc_co_u32_e64 v5, s[6:7], 0, v76, s[6:7]
	flat_load_dwordx2 v[4:5], v[4:5] offset:2048
.LBB288_11:
	s_or_b64 exec, exec, s[8:9]
	v_or_b32_e32 v36, 0x200, v0
	v_cmp_gt_u32_e64 s[6:7], s33, v36
                                        ; implicit-def: $vgpr6_vgpr7
	s_and_saveexec_b64 s[10:11], s[6:7]
	s_cbranch_execz .LBB288_13
; %bb.12:
	v_lshlrev_b32_e32 v6, 3, v36
	v_add_co_u32_e64 v6, s[8:9], v74, v6
	v_addc_co_u32_e64 v7, s[8:9], 0, v76, s[8:9]
	flat_load_dwordx2 v[6:7], v[6:7]
.LBB288_13:
	s_or_b64 exec, exec, s[10:11]
	v_or_b32_e32 v38, 0x300, v0
	v_cmp_gt_u32_e64 s[8:9], s33, v38
                                        ; implicit-def: $vgpr8_vgpr9
	s_and_saveexec_b64 s[12:13], s[8:9]
	s_cbranch_execz .LBB288_15
; %bb.14:
	v_lshlrev_b32_e32 v8, 3, v38
	v_add_co_u32_e64 v8, s[10:11], v74, v8
	v_addc_co_u32_e64 v9, s[10:11], 0, v76, s[10:11]
	flat_load_dwordx2 v[8:9], v[8:9]
.LBB288_15:
	s_or_b64 exec, exec, s[12:13]
	v_or_b32_e32 v40, 0x400, v0
	v_cmp_gt_u32_e64 s[10:11], s33, v40
                                        ; implicit-def: $vgpr10_vgpr11
	s_and_saveexec_b64 s[14:15], s[10:11]
	s_cbranch_execz .LBB288_17
; %bb.16:
	v_lshlrev_b32_e32 v10, 3, v40
	v_add_co_u32_e64 v10, s[12:13], v74, v10
	v_addc_co_u32_e64 v11, s[12:13], 0, v76, s[12:13]
	flat_load_dwordx2 v[10:11], v[10:11]
.LBB288_17:
	s_or_b64 exec, exec, s[14:15]
	v_or_b32_e32 v42, 0x500, v0
	v_cmp_gt_u32_e64 s[12:13], s33, v42
                                        ; implicit-def: $vgpr12_vgpr13
	s_and_saveexec_b64 s[16:17], s[12:13]
	s_cbranch_execz .LBB288_19
; %bb.18:
	v_lshlrev_b32_e32 v12, 3, v42
	v_add_co_u32_e64 v12, s[14:15], v74, v12
	v_addc_co_u32_e64 v13, s[14:15], 0, v76, s[14:15]
	flat_load_dwordx2 v[12:13], v[12:13]
.LBB288_19:
	s_or_b64 exec, exec, s[16:17]
	v_or_b32_e32 v44, 0x600, v0
	v_cmp_gt_u32_e64 s[14:15], s33, v44
                                        ; implicit-def: $vgpr14_vgpr15
	s_and_saveexec_b64 s[18:19], s[14:15]
	s_cbranch_execz .LBB288_21
; %bb.20:
	v_lshlrev_b32_e32 v14, 3, v44
	v_add_co_u32_e64 v14, s[16:17], v74, v14
	v_addc_co_u32_e64 v15, s[16:17], 0, v76, s[16:17]
	flat_load_dwordx2 v[14:15], v[14:15]
.LBB288_21:
	s_or_b64 exec, exec, s[18:19]
	v_or_b32_e32 v46, 0x700, v0
	v_cmp_gt_u32_e64 s[16:17], s33, v46
                                        ; implicit-def: $vgpr16_vgpr17
	s_and_saveexec_b64 s[20:21], s[16:17]
	s_cbranch_execz .LBB288_23
; %bb.22:
	v_lshlrev_b32_e32 v16, 3, v46
	v_add_co_u32_e64 v16, s[18:19], v74, v16
	v_addc_co_u32_e64 v17, s[18:19], 0, v76, s[18:19]
	flat_load_dwordx2 v[16:17], v[16:17]
.LBB288_23:
	s_or_b64 exec, exec, s[20:21]
	v_or_b32_e32 v48, 0x800, v0
	v_cmp_gt_u32_e64 s[18:19], s33, v48
                                        ; implicit-def: $vgpr18_vgpr19
	s_and_saveexec_b64 s[22:23], s[18:19]
	s_cbranch_execz .LBB288_25
; %bb.24:
	v_lshlrev_b32_e32 v18, 3, v48
	v_add_co_u32_e64 v18, s[20:21], v74, v18
	v_addc_co_u32_e64 v19, s[20:21], 0, v76, s[20:21]
	flat_load_dwordx2 v[18:19], v[18:19]
.LBB288_25:
	s_or_b64 exec, exec, s[22:23]
	v_or_b32_e32 v50, 0x900, v0
	v_cmp_gt_u32_e64 s[20:21], s33, v50
                                        ; implicit-def: $vgpr20_vgpr21
	s_and_saveexec_b64 s[24:25], s[20:21]
	s_cbranch_execz .LBB288_27
; %bb.26:
	v_lshlrev_b32_e32 v20, 3, v50
	v_add_co_u32_e64 v20, s[22:23], v74, v20
	v_addc_co_u32_e64 v21, s[22:23], 0, v76, s[22:23]
	flat_load_dwordx2 v[20:21], v[20:21]
.LBB288_27:
	s_or_b64 exec, exec, s[24:25]
	v_or_b32_e32 v52, 0xa00, v0
	v_cmp_gt_u32_e64 s[22:23], s33, v52
                                        ; implicit-def: $vgpr22_vgpr23
	s_and_saveexec_b64 s[26:27], s[22:23]
	s_cbranch_execz .LBB288_29
; %bb.28:
	v_lshlrev_b32_e32 v22, 3, v52
	v_add_co_u32_e64 v22, s[24:25], v74, v22
	v_addc_co_u32_e64 v23, s[24:25], 0, v76, s[24:25]
	flat_load_dwordx2 v[22:23], v[22:23]
.LBB288_29:
	s_or_b64 exec, exec, s[26:27]
	v_or_b32_e32 v54, 0xb00, v0
	v_cmp_gt_u32_e64 s[24:25], s33, v54
                                        ; implicit-def: $vgpr24_vgpr25
	s_and_saveexec_b64 s[28:29], s[24:25]
	s_cbranch_execz .LBB288_31
; %bb.30:
	v_lshlrev_b32_e32 v24, 3, v54
	v_add_co_u32_e64 v24, s[26:27], v74, v24
	v_addc_co_u32_e64 v25, s[26:27], 0, v76, s[26:27]
	flat_load_dwordx2 v[24:25], v[24:25]
.LBB288_31:
	s_or_b64 exec, exec, s[28:29]
	v_or_b32_e32 v56, 0xc00, v0
	v_cmp_gt_u32_e64 s[26:27], s33, v56
                                        ; implicit-def: $vgpr26_vgpr27
	s_and_saveexec_b64 s[30:31], s[26:27]
	s_cbranch_execz .LBB288_33
; %bb.32:
	v_lshlrev_b32_e32 v26, 3, v56
	v_add_co_u32_e64 v26, s[28:29], v74, v26
	v_addc_co_u32_e64 v27, s[28:29], 0, v76, s[28:29]
	flat_load_dwordx2 v[26:27], v[26:27]
.LBB288_33:
	s_or_b64 exec, exec, s[30:31]
	v_or_b32_e32 v60, 0xd00, v0
	v_cmp_gt_u32_e64 s[28:29], s33, v60
                                        ; implicit-def: $vgpr28_vgpr29
	s_and_saveexec_b64 s[34:35], s[28:29]
	s_cbranch_execz .LBB288_35
; %bb.34:
	v_lshlrev_b32_e32 v28, 3, v60
	v_add_co_u32_e64 v28, s[30:31], v74, v28
	v_addc_co_u32_e64 v29, s[30:31], 0, v76, s[30:31]
	flat_load_dwordx2 v[28:29], v[28:29]
.LBB288_35:
	s_or_b64 exec, exec, s[34:35]
	v_or_b32_e32 v64, 0xe00, v0
	v_cmp_gt_u32_e64 s[30:31], s33, v64
                                        ; implicit-def: $vgpr30_vgpr31
	s_and_saveexec_b64 s[46:47], s[30:31]
	s_cbranch_execz .LBB288_37
; %bb.36:
	v_lshlrev_b32_e32 v30, 3, v64
	v_add_co_u32_e64 v30, s[34:35], v74, v30
	v_addc_co_u32_e64 v31, s[34:35], 0, v76, s[34:35]
	flat_load_dwordx2 v[30:31], v[30:31]
.LBB288_37:
	s_or_b64 exec, exec, s[46:47]
	v_lshlrev_b32_e32 v65, 3, v0
	s_movk_i32 s34, 0x70
	v_mad_u32_u24 v63, v0, s34, v65
	s_waitcnt vmcnt(0) lgkmcnt(0)
	ds_write2st64_b64 v65, v[2:3], v[4:5] offset1:4
	ds_write2st64_b64 v65, v[6:7], v[8:9] offset0:8 offset1:12
	ds_write2st64_b64 v65, v[10:11], v[12:13] offset0:16 offset1:20
	;; [unrolled: 1-line block ×6, first 2 shown]
	ds_write_b64 v65, v[30:31] offset:28672
	s_waitcnt lgkmcnt(0)
	s_barrier
	ds_read2_b64 v[26:29], v63 offset1:1
	ds_read2_b64 v[22:25], v63 offset0:2 offset1:3
	ds_read2_b64 v[18:21], v63 offset0:4 offset1:5
	;; [unrolled: 1-line block ×6, first 2 shown]
	ds_read_b64 v[58:59], v63 offset:112
	s_waitcnt lgkmcnt(0)
	s_barrier
	s_waitcnt lgkmcnt(0)
                                        ; implicit-def: $vgpr30_vgpr31
	s_and_saveexec_b64 s[34:35], vcc
	s_cbranch_execnz .LBB288_61
; %bb.38:
	s_or_b64 exec, exec, s[34:35]
                                        ; implicit-def: $vgpr32_vgpr33
	s_and_saveexec_b64 s[34:35], s[4:5]
	s_cbranch_execnz .LBB288_62
.LBB288_39:
	s_or_b64 exec, exec, s[34:35]
                                        ; implicit-def: $vgpr34_vgpr35
	s_and_saveexec_b64 s[4:5], s[6:7]
	s_cbranch_execnz .LBB288_63
.LBB288_40:
	s_or_b64 exec, exec, s[4:5]
                                        ; implicit-def: $vgpr36_vgpr37
	s_and_saveexec_b64 s[4:5], s[8:9]
	s_cbranch_execnz .LBB288_64
.LBB288_41:
	s_or_b64 exec, exec, s[4:5]
                                        ; implicit-def: $vgpr38_vgpr39
	s_and_saveexec_b64 s[4:5], s[10:11]
	s_cbranch_execnz .LBB288_65
.LBB288_42:
	s_or_b64 exec, exec, s[4:5]
                                        ; implicit-def: $vgpr40_vgpr41
	s_and_saveexec_b64 s[4:5], s[12:13]
	s_cbranch_execnz .LBB288_66
.LBB288_43:
	s_or_b64 exec, exec, s[4:5]
                                        ; implicit-def: $vgpr42_vgpr43
	s_and_saveexec_b64 s[4:5], s[14:15]
	s_cbranch_execnz .LBB288_67
.LBB288_44:
	s_or_b64 exec, exec, s[4:5]
                                        ; implicit-def: $vgpr44_vgpr45
	s_and_saveexec_b64 s[4:5], s[16:17]
	s_cbranch_execnz .LBB288_68
.LBB288_45:
	s_or_b64 exec, exec, s[4:5]
                                        ; implicit-def: $vgpr46_vgpr47
	s_and_saveexec_b64 s[4:5], s[18:19]
	s_cbranch_execnz .LBB288_69
.LBB288_46:
	s_or_b64 exec, exec, s[4:5]
                                        ; implicit-def: $vgpr48_vgpr49
	s_and_saveexec_b64 s[4:5], s[20:21]
	s_cbranch_execnz .LBB288_70
.LBB288_47:
	s_or_b64 exec, exec, s[4:5]
                                        ; implicit-def: $vgpr50_vgpr51
	s_and_saveexec_b64 s[4:5], s[22:23]
	s_cbranch_execnz .LBB288_71
.LBB288_48:
	s_or_b64 exec, exec, s[4:5]
                                        ; implicit-def: $vgpr52_vgpr53
	s_and_saveexec_b64 s[4:5], s[24:25]
	s_cbranch_execnz .LBB288_72
.LBB288_49:
	s_or_b64 exec, exec, s[4:5]
                                        ; implicit-def: $vgpr54_vgpr55
	s_and_saveexec_b64 s[4:5], s[26:27]
	s_cbranch_execnz .LBB288_73
.LBB288_50:
	s_or_b64 exec, exec, s[4:5]
                                        ; implicit-def: $vgpr56_vgpr57
	s_and_saveexec_b64 s[4:5], s[28:29]
	s_cbranch_execnz .LBB288_74
.LBB288_51:
	s_or_b64 exec, exec, s[4:5]
                                        ; implicit-def: $vgpr60_vgpr61
	s_and_saveexec_b64 s[4:5], s[30:31]
	s_cbranch_execz .LBB288_53
.LBB288_52:
	v_lshlrev_b32_e32 v60, 3, v64
	v_add_co_u32_e32 v60, vcc, v1, v60
	v_addc_co_u32_e32 v61, vcc, 0, v62, vcc
	flat_load_dwordx2 v[60:61], v[60:61]
.LBB288_53:
	s_or_b64 exec, exec, s[4:5]
	v_mul_u32_u24_e32 v64, 15, v0
	s_waitcnt vmcnt(0) lgkmcnt(0)
	ds_write2st64_b64 v65, v[30:31], v[32:33] offset1:4
	ds_write2st64_b64 v65, v[34:35], v[36:37] offset0:8 offset1:12
	ds_write2st64_b64 v65, v[38:39], v[40:41] offset0:16 offset1:20
	;; [unrolled: 1-line block ×6, first 2 shown]
	ds_write_b64 v65, v[60:61] offset:28672
	s_waitcnt lgkmcnt(0)
	s_barrier
.LBB288_54:
	v_lshlrev_b32_e32 v1, 3, v64
	ds_read2_b64 v[50:53], v63 offset1:2
	ds_read2_b64 v[42:45], v63 offset0:4 offset1:6
	ds_read2_b64 v[54:57], v1 offset0:1 offset1:3
	;; [unrolled: 1-line block ×6, first 2 shown]
	ds_read_b64 v[60:61], v1 offset:104
	s_cmp_eq_u64 s[52:53], 0
	s_cselect_b64 s[46:47], -1, 0
	s_cmp_lg_u64 s[52:53], 0
	s_mov_b64 s[4:5], 0
	s_cselect_b64 s[30:31], -1, 0
	s_and_b64 vcc, exec, s[54:55]
	s_waitcnt lgkmcnt(0)
	s_barrier
	s_cbranch_vccz .LBB288_60
; %bb.55:
	s_and_b64 vcc, exec, s[30:31]
	s_cbranch_vccz .LBB288_75
; %bb.56:
	v_add_co_u32_e32 v62, vcc, -8, v74
	v_addc_co_u32_e32 v63, vcc, -1, v76, vcc
	flat_load_dwordx2 v[62:63], v[62:63]
	s_mov_b32 s54, 0x66666667
	s_waitcnt vmcnt(0) lgkmcnt(0)
	v_mul_hi_i32 v63, v4, s54
	v_lshrrev_b32_e32 v64, 31, v63
	v_ashrrev_i32_e32 v63, 2, v63
	v_add_u32_e32 v63, v63, v64
	v_mul_hi_i32 v64, v58, s54
	v_lshrrev_b32_e32 v65, 31, v64
	v_ashrrev_i32_e32 v64, 2, v64
	v_add_u32_e32 v64, v64, v65
	v_cmp_ne_u32_e32 vcc, v63, v64
	v_mul_hi_i32 v64, v2, s54
	v_lshrrev_b32_e32 v65, 31, v64
	v_ashrrev_i32_e32 v64, 2, v64
	v_add_u32_e32 v64, v64, v65
	v_cmp_ne_u32_e64 s[4:5], v64, v63
	v_mul_hi_i32 v63, v8, s54
	v_lshrrev_b32_e32 v65, 31, v63
	v_ashrrev_i32_e32 v63, 2, v63
	v_add_u32_e32 v63, v63, v65
	v_cmp_ne_u32_e64 s[6:7], v63, v64
	;; [unrolled: 5-line block ×12, first 2 shown]
	v_mul_hi_i32 v64, v26, s54
	v_lshrrev_b32_e32 v65, 31, v64
	v_ashrrev_i32_e32 v64, 2, v64
	v_add_u32_e32 v77, v64, v65
	v_lshlrev_b32_e32 v1, 3, v0
	v_cmp_ne_u32_e64 s[28:29], v77, v63
	ds_write_b64 v1, v[58:59]
	s_waitcnt lgkmcnt(0)
	s_barrier
	s_and_saveexec_b64 s[34:35], s[2:3]
	s_cbranch_execz .LBB288_58
; %bb.57:
	v_add_u32_e32 v1, -8, v1
	ds_read_b64 v[62:63], v1
.LBB288_58:
	s_or_b64 exec, exec, s[34:35]
	s_waitcnt lgkmcnt(0)
	v_mul_hi_i32 v62, v62, s54
	v_lshrrev_b32_e32 v78, 31, v62
	v_ashrrev_i32_e32 v62, 2, v62
	v_add_u32_e32 v62, v62, v78
	v_cndmask_b32_e64 v1, 0, 1, vcc
	v_cndmask_b32_e64 v63, 0, 1, s[4:5]
	v_cndmask_b32_e64 v110, 0, 1, s[6:7]
	;; [unrolled: 1-line block ×13, first 2 shown]
	v_cmp_ne_u32_e64 s[8:9], v62, v77
	s_mov_b64 s[4:5], -1
.LBB288_59:
                                        ; implicit-def: $sgpr10
	s_branch .LBB288_114
.LBB288_60:
                                        ; implicit-def: $sgpr8_sgpr9
                                        ; implicit-def: $vgpr1
                                        ; implicit-def: $vgpr63
                                        ; implicit-def: $vgpr110
                                        ; implicit-def: $vgpr65
                                        ; implicit-def: $vgpr64
                                        ; implicit-def: $vgpr67
                                        ; implicit-def: $vgpr66
                                        ; implicit-def: $vgpr69
                                        ; implicit-def: $vgpr68
                                        ; implicit-def: $vgpr71
                                        ; implicit-def: $vgpr70
                                        ; implicit-def: $vgpr73
                                        ; implicit-def: $vgpr72
                                        ; implicit-def: $vgpr75
                                        ; implicit-def: $sgpr10
	s_cbranch_execnz .LBB288_79
	s_branch .LBB288_114
.LBB288_61:
	v_add_co_u32_e32 v30, vcc, v1, v65
	v_addc_co_u32_e32 v31, vcc, 0, v62, vcc
	flat_load_dwordx2 v[30:31], v[30:31]
	s_or_b64 exec, exec, s[34:35]
                                        ; implicit-def: $vgpr32_vgpr33
	s_and_saveexec_b64 s[34:35], s[4:5]
	s_cbranch_execz .LBB288_39
.LBB288_62:
	v_add_co_u32_e32 v32, vcc, v1, v65
	v_addc_co_u32_e32 v33, vcc, 0, v62, vcc
	flat_load_dwordx2 v[32:33], v[32:33] offset:2048
	s_or_b64 exec, exec, s[34:35]
                                        ; implicit-def: $vgpr34_vgpr35
	s_and_saveexec_b64 s[4:5], s[6:7]
	s_cbranch_execz .LBB288_40
.LBB288_63:
	v_lshlrev_b32_e32 v34, 3, v36
	v_add_co_u32_e32 v34, vcc, v1, v34
	v_addc_co_u32_e32 v35, vcc, 0, v62, vcc
	flat_load_dwordx2 v[34:35], v[34:35]
	s_or_b64 exec, exec, s[4:5]
                                        ; implicit-def: $vgpr36_vgpr37
	s_and_saveexec_b64 s[4:5], s[8:9]
	s_cbranch_execz .LBB288_41
.LBB288_64:
	v_lshlrev_b32_e32 v36, 3, v38
	v_add_co_u32_e32 v36, vcc, v1, v36
	v_addc_co_u32_e32 v37, vcc, 0, v62, vcc
	flat_load_dwordx2 v[36:37], v[36:37]
	s_or_b64 exec, exec, s[4:5]
                                        ; implicit-def: $vgpr38_vgpr39
	s_and_saveexec_b64 s[4:5], s[10:11]
	s_cbranch_execz .LBB288_42
.LBB288_65:
	v_lshlrev_b32_e32 v38, 3, v40
	v_add_co_u32_e32 v38, vcc, v1, v38
	v_addc_co_u32_e32 v39, vcc, 0, v62, vcc
	flat_load_dwordx2 v[38:39], v[38:39]
	s_or_b64 exec, exec, s[4:5]
                                        ; implicit-def: $vgpr40_vgpr41
	s_and_saveexec_b64 s[4:5], s[12:13]
	s_cbranch_execz .LBB288_43
.LBB288_66:
	v_lshlrev_b32_e32 v40, 3, v42
	v_add_co_u32_e32 v40, vcc, v1, v40
	v_addc_co_u32_e32 v41, vcc, 0, v62, vcc
	flat_load_dwordx2 v[40:41], v[40:41]
	s_or_b64 exec, exec, s[4:5]
                                        ; implicit-def: $vgpr42_vgpr43
	s_and_saveexec_b64 s[4:5], s[14:15]
	s_cbranch_execz .LBB288_44
.LBB288_67:
	v_lshlrev_b32_e32 v42, 3, v44
	v_add_co_u32_e32 v42, vcc, v1, v42
	v_addc_co_u32_e32 v43, vcc, 0, v62, vcc
	flat_load_dwordx2 v[42:43], v[42:43]
	s_or_b64 exec, exec, s[4:5]
                                        ; implicit-def: $vgpr44_vgpr45
	s_and_saveexec_b64 s[4:5], s[16:17]
	s_cbranch_execz .LBB288_45
.LBB288_68:
	v_lshlrev_b32_e32 v44, 3, v46
	v_add_co_u32_e32 v44, vcc, v1, v44
	v_addc_co_u32_e32 v45, vcc, 0, v62, vcc
	flat_load_dwordx2 v[44:45], v[44:45]
	s_or_b64 exec, exec, s[4:5]
                                        ; implicit-def: $vgpr46_vgpr47
	s_and_saveexec_b64 s[4:5], s[18:19]
	s_cbranch_execz .LBB288_46
.LBB288_69:
	v_lshlrev_b32_e32 v46, 3, v48
	v_add_co_u32_e32 v46, vcc, v1, v46
	v_addc_co_u32_e32 v47, vcc, 0, v62, vcc
	flat_load_dwordx2 v[46:47], v[46:47]
	s_or_b64 exec, exec, s[4:5]
                                        ; implicit-def: $vgpr48_vgpr49
	s_and_saveexec_b64 s[4:5], s[20:21]
	s_cbranch_execz .LBB288_47
.LBB288_70:
	v_lshlrev_b32_e32 v48, 3, v50
	v_add_co_u32_e32 v48, vcc, v1, v48
	v_addc_co_u32_e32 v49, vcc, 0, v62, vcc
	flat_load_dwordx2 v[48:49], v[48:49]
	s_or_b64 exec, exec, s[4:5]
                                        ; implicit-def: $vgpr50_vgpr51
	s_and_saveexec_b64 s[4:5], s[22:23]
	s_cbranch_execz .LBB288_48
.LBB288_71:
	v_lshlrev_b32_e32 v50, 3, v52
	v_add_co_u32_e32 v50, vcc, v1, v50
	v_addc_co_u32_e32 v51, vcc, 0, v62, vcc
	flat_load_dwordx2 v[50:51], v[50:51]
	s_or_b64 exec, exec, s[4:5]
                                        ; implicit-def: $vgpr52_vgpr53
	s_and_saveexec_b64 s[4:5], s[24:25]
	s_cbranch_execz .LBB288_49
.LBB288_72:
	v_lshlrev_b32_e32 v52, 3, v54
	v_add_co_u32_e32 v52, vcc, v1, v52
	v_addc_co_u32_e32 v53, vcc, 0, v62, vcc
	flat_load_dwordx2 v[52:53], v[52:53]
	s_or_b64 exec, exec, s[4:5]
                                        ; implicit-def: $vgpr54_vgpr55
	s_and_saveexec_b64 s[4:5], s[26:27]
	s_cbranch_execz .LBB288_50
.LBB288_73:
	v_lshlrev_b32_e32 v54, 3, v56
	v_add_co_u32_e32 v54, vcc, v1, v54
	v_addc_co_u32_e32 v55, vcc, 0, v62, vcc
	flat_load_dwordx2 v[54:55], v[54:55]
	s_or_b64 exec, exec, s[4:5]
                                        ; implicit-def: $vgpr56_vgpr57
	s_and_saveexec_b64 s[4:5], s[28:29]
	s_cbranch_execz .LBB288_51
.LBB288_74:
	v_lshlrev_b32_e32 v56, 3, v60
	v_add_co_u32_e32 v56, vcc, v1, v56
	v_addc_co_u32_e32 v57, vcc, 0, v62, vcc
	flat_load_dwordx2 v[56:57], v[56:57]
	s_or_b64 exec, exec, s[4:5]
                                        ; implicit-def: $vgpr60_vgpr61
	s_and_saveexec_b64 s[4:5], s[30:31]
	s_cbranch_execnz .LBB288_52
	s_branch .LBB288_53
.LBB288_75:
                                        ; implicit-def: $sgpr8_sgpr9
                                        ; implicit-def: $vgpr1
                                        ; implicit-def: $vgpr63
                                        ; implicit-def: $vgpr110
                                        ; implicit-def: $vgpr65
                                        ; implicit-def: $vgpr64
                                        ; implicit-def: $vgpr67
                                        ; implicit-def: $vgpr66
                                        ; implicit-def: $vgpr69
                                        ; implicit-def: $vgpr68
                                        ; implicit-def: $vgpr71
                                        ; implicit-def: $vgpr70
                                        ; implicit-def: $vgpr73
                                        ; implicit-def: $vgpr72
                                        ; implicit-def: $vgpr75
	s_cbranch_execz .LBB288_59
; %bb.76:
	s_mov_b32 s10, 0x66666667
	v_mul_hi_i32 v1, v4, s10
	v_lshrrev_b32_e32 v63, 31, v1
	v_ashrrev_i32_e32 v1, 2, v1
	v_add_u32_e32 v63, v1, v63
	v_mul_hi_i32 v1, v58, s10
	v_lshrrev_b32_e32 v64, 31, v1
	v_ashrrev_i32_e32 v1, 2, v1
	v_add_u32_e32 v1, v1, v64
	;; [unrolled: 4-line block ×3, first 2 shown]
	v_mul_hi_i32 v65, v8, s10
	v_cmp_ne_u32_e32 vcc, v63, v1
	v_lshrrev_b32_e32 v66, 31, v65
	v_ashrrev_i32_e32 v65, 2, v65
	v_cndmask_b32_e64 v1, 0, 1, vcc
	v_cmp_ne_u32_e32 vcc, v64, v63
	v_add_u32_e32 v65, v65, v66
	v_cndmask_b32_e64 v63, 0, 1, vcc
	v_cmp_ne_u32_e32 vcc, v65, v64
	v_mul_hi_i32 v64, v6, s10
	v_lshrrev_b32_e32 v66, 31, v64
	v_ashrrev_i32_e32 v64, 2, v64
	v_add_u32_e32 v64, v64, v66
	v_mul_hi_i32 v66, v12, s10
	v_lshrrev_b32_e32 v67, 31, v66
	v_ashrrev_i32_e32 v66, 2, v66
	v_add_u32_e32 v66, v66, v67
	v_mul_hi_i32 v67, v10, s10
	v_cndmask_b32_e64 v110, 0, 1, vcc
	v_cmp_ne_u32_e32 vcc, v64, v65
	v_lshrrev_b32_e32 v68, 31, v67
	v_ashrrev_i32_e32 v67, 2, v67
	v_cndmask_b32_e64 v65, 0, 1, vcc
	v_cmp_ne_u32_e32 vcc, v66, v64
	v_add_u32_e32 v68, v67, v68
	v_cndmask_b32_e64 v64, 0, 1, vcc
	v_cmp_ne_u32_e32 vcc, v68, v66
	v_mul_hi_i32 v66, v16, s10
	v_lshrrev_b32_e32 v69, 31, v66
	v_ashrrev_i32_e32 v66, 2, v66
	v_add_u32_e32 v69, v66, v69
	v_cndmask_b32_e64 v67, 0, 1, vcc
	v_cmp_ne_u32_e32 vcc, v69, v68
	v_mul_hi_i32 v68, v14, s10
	v_lshrrev_b32_e32 v70, 31, v68
	v_ashrrev_i32_e32 v68, 2, v68
	v_add_u32_e32 v68, v68, v70
	v_mul_hi_i32 v70, v20, s10
	v_lshrrev_b32_e32 v71, 31, v70
	v_ashrrev_i32_e32 v70, 2, v70
	v_add_u32_e32 v70, v70, v71
	v_mul_hi_i32 v71, v18, s10
	v_cndmask_b32_e64 v66, 0, 1, vcc
	v_cmp_ne_u32_e32 vcc, v68, v69
	v_lshrrev_b32_e32 v72, 31, v71
	v_ashrrev_i32_e32 v71, 2, v71
	v_cndmask_b32_e64 v69, 0, 1, vcc
	v_cmp_ne_u32_e32 vcc, v70, v68
	v_add_u32_e32 v72, v71, v72
	v_cndmask_b32_e64 v68, 0, 1, vcc
	v_cmp_ne_u32_e32 vcc, v72, v70
	v_mul_hi_i32 v70, v24, s10
	v_lshrrev_b32_e32 v73, 31, v70
	v_ashrrev_i32_e32 v70, 2, v70
	v_add_u32_e32 v73, v70, v73
	v_cndmask_b32_e64 v71, 0, 1, vcc
	v_cmp_ne_u32_e32 vcc, v73, v72
	v_mul_hi_i32 v72, v22, s10
	v_lshrrev_b32_e32 v75, 31, v72
	v_ashrrev_i32_e32 v72, 2, v72
	v_add_u32_e32 v72, v72, v75
	v_mul_hi_i32 v75, v28, s10
	v_lshrrev_b32_e32 v77, 31, v75
	v_ashrrev_i32_e32 v75, 2, v75
	v_add_u32_e32 v75, v75, v77
	v_mul_hi_i32 v77, v26, s10
	v_cndmask_b32_e64 v70, 0, 1, vcc
	v_cmp_ne_u32_e32 vcc, v72, v73
	v_lshrrev_b32_e32 v78, 31, v77
	v_ashrrev_i32_e32 v77, 2, v77
	v_cndmask_b32_e64 v73, 0, 1, vcc
	v_cmp_ne_u32_e32 vcc, v75, v72
	v_add_u32_e32 v77, v77, v78
	v_cndmask_b32_e64 v72, 0, 1, vcc
	v_cmp_ne_u32_e32 vcc, v77, v75
	v_lshlrev_b32_e32 v62, 3, v0
	v_cndmask_b32_e64 v75, 0, 1, vcc
	ds_write_b64 v62, v[58:59]
	s_waitcnt lgkmcnt(0)
	s_barrier
	s_waitcnt lgkmcnt(0)
                                        ; implicit-def: $sgpr8_sgpr9
	s_and_saveexec_b64 s[6:7], s[2:3]
	s_xor_b64 s[6:7], exec, s[6:7]
	s_cbranch_execz .LBB288_78
; %bb.77:
	v_add_u32_e32 v62, -8, v62
	ds_read_b32 v62, v62
	s_or_b64 s[4:5], s[4:5], exec
	s_waitcnt lgkmcnt(0)
	v_mul_hi_i32 v62, v62, s10
	v_lshrrev_b32_e32 v78, 31, v62
	v_ashrrev_i32_e32 v62, 2, v62
	v_add_u32_e32 v62, v62, v78
	v_cmp_ne_u32_e32 vcc, v62, v77
	s_and_b64 s[8:9], vcc, exec
.LBB288_78:
	s_or_b64 exec, exec, s[6:7]
	s_mov_b32 s10, 1
	s_branch .LBB288_114
.LBB288_79:
	s_mul_hi_u32 s7, s52, 0xfffff100
	s_mul_i32 s6, s53, 0xfffff100
	s_sub_i32 s7, s7, s52
	s_add_i32 s7, s7, s6
	s_mul_i32 s6, s52, 0xfffff100
	s_add_u32 s6, s6, s48
	s_addc_u32 s7, s7, s49
	s_and_b64 vcc, exec, s[30:31]
	s_cbranch_vccz .LBB288_255
; %bb.80:
	v_add_co_u32_e32 v62, vcc, -8, v74
	v_addc_co_u32_e32 v63, vcc, -1, v76, vcc
	flat_load_dwordx2 v[76:77], v[62:63]
	v_mad_u32_u24 v62, v0, 15, 14
	v_mov_b32_e32 v63, 0
	s_waitcnt vmcnt(0) lgkmcnt(0)
	v_lshlrev_b32_e32 v77, 3, v0
	v_mul_u32_u24_e32 v78, 15, v0
	v_cmp_gt_u64_e32 vcc, s[6:7], v[62:63]
	v_mov_b32_e32 v1, 0
	ds_write_b64 v77, v[58:59]
	s_and_saveexec_b64 s[4:5], vcc
; %bb.81:
	s_mov_b32 s8, 0x66666667
	v_mul_hi_i32 v1, v4, s8
	v_lshrrev_b32_e32 v62, 31, v1
	v_ashrrev_i32_e32 v1, 2, v1
	v_add_u32_e32 v1, v1, v62
	v_mul_hi_i32 v62, v58, s8
	v_lshrrev_b32_e32 v64, 31, v62
	v_ashrrev_i32_e32 v62, 2, v62
	v_add_u32_e32 v62, v62, v64
	v_cmp_ne_u32_e32 vcc, v1, v62
	v_cndmask_b32_e64 v1, 0, 1, vcc
; %bb.82:
	s_or_b64 exec, exec, s[4:5]
	v_add_u32_e32 v62, 13, v78
	v_cmp_gt_u64_e32 vcc, s[6:7], v[62:63]
	s_and_saveexec_b64 s[4:5], vcc
; %bb.83:
	s_mov_b32 s8, 0x66666667
	v_mul_hi_i32 v62, v2, s8
	v_lshrrev_b32_e32 v63, 31, v62
	v_ashrrev_i32_e32 v62, 2, v62
	v_add_u32_e32 v62, v62, v63
	v_mul_hi_i32 v63, v4, s8
	v_lshrrev_b32_e32 v64, 31, v63
	v_ashrrev_i32_e32 v63, 2, v63
	v_add_u32_e32 v63, v63, v64
	v_cmp_ne_u32_e32 vcc, v62, v63
	v_cndmask_b32_e64 v63, 0, 1, vcc
; %bb.84:
	s_or_b64 exec, exec, s[4:5]
	v_add_u32_e32 v64, 12, v78
	v_mov_b32_e32 v65, 0
	v_cmp_gt_u64_e32 vcc, s[6:7], v[64:65]
	v_mov_b32_e32 v110, 0
	s_and_saveexec_b64 s[4:5], vcc
; %bb.85:
	s_mov_b32 s8, 0x66666667
	v_mul_hi_i32 v62, v8, s8
	v_lshrrev_b32_e32 v64, 31, v62
	v_ashrrev_i32_e32 v62, 2, v62
	v_add_u32_e32 v62, v62, v64
	v_mul_hi_i32 v64, v2, s8
	v_lshrrev_b32_e32 v66, 31, v64
	v_ashrrev_i32_e32 v64, 2, v64
	v_add_u32_e32 v64, v64, v66
	v_cmp_ne_u32_e32 vcc, v62, v64
	v_cndmask_b32_e64 v110, 0, 1, vcc
; %bb.86:
	s_or_b64 exec, exec, s[4:5]
	v_add_u32_e32 v64, 11, v78
	v_cmp_gt_u64_e32 vcc, s[6:7], v[64:65]
	s_and_saveexec_b64 s[4:5], vcc
; %bb.87:
	s_mov_b32 s8, 0x66666667
	v_mul_hi_i32 v62, v6, s8
	v_lshrrev_b32_e32 v64, 31, v62
	v_ashrrev_i32_e32 v62, 2, v62
	v_add_u32_e32 v62, v62, v64
	v_mul_hi_i32 v64, v8, s8
	v_lshrrev_b32_e32 v65, 31, v64
	v_ashrrev_i32_e32 v64, 2, v64
	v_add_u32_e32 v64, v64, v65
	v_cmp_ne_u32_e32 vcc, v62, v64
	v_cndmask_b32_e64 v65, 0, 1, vcc
; %bb.88:
	s_or_b64 exec, exec, s[4:5]
	v_add_u32_e32 v66, 10, v78
	v_mov_b32_e32 v67, 0
	v_cmp_gt_u64_e32 vcc, s[6:7], v[66:67]
	v_mov_b32_e32 v64, 0
	;; [unrolled: 36-line block ×6, first 2 shown]
	s_and_saveexec_b64 s[4:5], vcc
; %bb.105:
	s_mov_b32 s8, 0x66666667
	v_mul_hi_i32 v62, v28, s8
	v_lshrrev_b32_e32 v72, 31, v62
	v_ashrrev_i32_e32 v62, 2, v62
	v_add_u32_e32 v62, v62, v72
	v_mul_hi_i32 v72, v22, s8
	v_lshrrev_b32_e32 v74, 31, v72
	v_ashrrev_i32_e32 v72, 2, v72
	v_add_u32_e32 v72, v72, v74
	v_cmp_ne_u32_e32 vcc, v62, v72
	v_cndmask_b32_e64 v72, 0, 1, vcc
; %bb.106:
	s_or_b64 exec, exec, s[4:5]
	v_add_u32_e32 v74, 1, v78
	v_cmp_gt_u64_e32 vcc, s[6:7], v[74:75]
	s_and_saveexec_b64 s[4:5], vcc
; %bb.107:
	s_mov_b32 s8, 0x66666667
	v_mul_hi_i32 v62, v26, s8
	v_lshrrev_b32_e32 v74, 31, v62
	v_ashrrev_i32_e32 v62, 2, v62
	v_add_u32_e32 v62, v62, v74
	v_mul_hi_i32 v74, v28, s8
	v_lshrrev_b32_e32 v75, 31, v74
	v_ashrrev_i32_e32 v74, 2, v74
	v_add_u32_e32 v74, v74, v75
	v_cmp_ne_u32_e32 vcc, v62, v74
	v_cndmask_b32_e64 v75, 0, 1, vcc
; %bb.108:
	s_or_b64 exec, exec, s[4:5]
	s_waitcnt lgkmcnt(0)
	s_barrier
	s_and_saveexec_b64 s[4:5], s[2:3]
	s_cbranch_execz .LBB288_110
; %bb.109:
	v_add_u32_e32 v62, -8, v77
	ds_read_b64 v[76:77], v62
.LBB288_110:
	s_or_b64 exec, exec, s[4:5]
	v_mov_b32_e32 v79, 0
	v_cmp_gt_u64_e32 vcc, s[6:7], v[78:79]
	s_mov_b64 s[10:11], 0
	s_mov_b64 s[8:9], 0
	s_and_saveexec_b64 s[4:5], vcc
	s_cbranch_execz .LBB288_112
; %bb.111:
	s_mov_b32 s8, 0x66666667
	s_waitcnt lgkmcnt(0)
	v_mul_hi_i32 v62, v76, s8
	v_lshrrev_b32_e32 v74, 31, v62
	v_ashrrev_i32_e32 v62, 2, v62
	v_add_u32_e32 v62, v62, v74
	v_mul_hi_i32 v74, v26, s8
	v_lshrrev_b32_e32 v76, 31, v74
	v_ashrrev_i32_e32 v74, 2, v74
	v_add_u32_e32 v74, v74, v76
	v_cmp_ne_u32_e32 vcc, v62, v74
	s_and_b64 s[8:9], vcc, exec
.LBB288_112:
	s_or_b64 exec, exec, s[4:5]
	s_mov_b64 s[4:5], -1
	s_and_b64 vcc, exec, s[10:11]
	s_cbranch_vccnz .LBB288_256
.LBB288_113:
                                        ; implicit-def: $sgpr10
.LBB288_114:
	v_mov_b32_e32 v74, s10
	s_and_saveexec_b64 s[2:3], s[4:5]
.LBB288_115:
	v_cndmask_b32_e64 v74, 0, 1, s[8:9]
.LBB288_116:
	s_or_b64 exec, exec, s[2:3]
	s_cmp_eq_u64 s[42:43], 0
	v_add3_u32 v62, v75, v74, v72
	s_cselect_b64 s[30:31], -1, 0
	s_cmp_lg_u32 s56, 0
	v_cmp_eq_u32_e64 s[26:27], 0, v75
	v_cmp_eq_u32_e64 s[24:25], 0, v72
	;; [unrolled: 1-line block ×3, first 2 shown]
	v_add3_u32 v113, v62, v73, v70
	v_cmp_eq_u32_e64 s[20:21], 0, v70
	v_cmp_eq_u32_e64 s[18:19], 0, v71
	;; [unrolled: 1-line block ×10, first 2 shown]
	v_cmp_eq_u32_e32 vcc, 0, v1
	v_mbcnt_lo_u32_b32 v112, -1, 0
	s_cbranch_scc0 .LBB288_187
; %bb.117:
	s_waitcnt lgkmcnt(0)
	v_cndmask_b32_e64 v76, 0, v50, s[26:27]
	v_cndmask_b32_e64 v62, 0, v51, s[26:27]
	v_add_co_u32_e64 v76, s[28:29], v76, v54
	v_addc_co_u32_e64 v62, s[28:29], v62, v55, s[28:29]
	v_cndmask_b32_e64 v76, 0, v76, s[24:25]
	v_cndmask_b32_e64 v62, 0, v62, s[24:25]
	v_add_co_u32_e64 v76, s[28:29], v76, v52
	v_addc_co_u32_e64 v62, s[28:29], v62, v53, s[28:29]
	;; [unrolled: 4-line block ×11, first 2 shown]
	v_cndmask_b32_e64 v76, 0, v76, s[4:5]
	v_cndmask_b32_e64 v62, 0, v62, s[4:5]
	v_add_co_u32_e64 v76, s[28:29], v76, v30
	v_add3_u32 v77, v113, v71, v68
	v_addc_co_u32_e64 v62, s[28:29], v62, v31, s[28:29]
	v_cndmask_b32_e64 v76, 0, v76, s[2:3]
	v_add3_u32 v77, v77, v69, v66
	v_cndmask_b32_e64 v62, 0, v62, s[2:3]
	v_add_co_u32_e64 v76, s[28:29], v76, v60
	v_add3_u32 v77, v77, v67, v64
	v_addc_co_u32_e64 v62, s[28:29], v62, v61, s[28:29]
	v_cndmask_b32_e32 v76, 0, v76, vcc
	v_add3_u32 v77, v77, v65, v110
	v_cndmask_b32_e32 v62, 0, v62, vcc
	v_add_co_u32_e32 v78, vcc, v76, v32
	v_mbcnt_hi_u32_b32 v81, -1, v112
	v_add3_u32 v80, v77, v63, v1
	v_addc_co_u32_e32 v79, vcc, v62, v33, vcc
	v_and_b32_e32 v62, 15, v81
	v_mov_b32_dpp v77, v80 row_shr:1 row_mask:0xf bank_mask:0xf
	v_mov_b32_dpp v76, v78 row_shr:1 row_mask:0xf bank_mask:0xf
	;; [unrolled: 1-line block ×3, first 2 shown]
	v_cmp_ne_u32_e32 vcc, 0, v62
	s_and_saveexec_b64 s[28:29], vcc
; %bb.118:
	v_cmp_eq_u32_e32 vcc, 0, v80
	v_cndmask_b32_e32 v76, 0, v76, vcc
	v_add_u32_e32 v77, v77, v80
	v_cndmask_b32_e32 v80, 0, v82, vcc
	v_add_co_u32_e32 v78, vcc, v76, v78
	v_addc_co_u32_e32 v79, vcc, v80, v79, vcc
	v_mov_b32_e32 v80, v77
; %bb.119:
	s_or_b64 exec, exec, s[28:29]
	s_nop 0
	v_mov_b32_dpp v77, v80 row_shr:2 row_mask:0xf bank_mask:0xf
	v_mov_b32_dpp v76, v78 row_shr:2 row_mask:0xf bank_mask:0xf
	v_mov_b32_dpp v82, v79 row_shr:2 row_mask:0xf bank_mask:0xf
	v_cmp_lt_u32_e32 vcc, 1, v62
	s_and_saveexec_b64 s[28:29], vcc
; %bb.120:
	v_cmp_eq_u32_e32 vcc, 0, v80
	v_cndmask_b32_e32 v76, 0, v76, vcc
	v_add_u32_e32 v77, v77, v80
	v_cndmask_b32_e32 v80, 0, v82, vcc
	v_add_co_u32_e32 v78, vcc, v76, v78
	v_addc_co_u32_e32 v79, vcc, v80, v79, vcc
	v_mov_b32_e32 v80, v77
; %bb.121:
	s_or_b64 exec, exec, s[28:29]
	s_nop 0
	v_mov_b32_dpp v77, v80 row_shr:4 row_mask:0xf bank_mask:0xf
	v_mov_b32_dpp v76, v78 row_shr:4 row_mask:0xf bank_mask:0xf
	v_mov_b32_dpp v82, v79 row_shr:4 row_mask:0xf bank_mask:0xf
	v_cmp_lt_u32_e32 vcc, 3, v62
	;; [unrolled: 16-line block ×3, first 2 shown]
	s_and_saveexec_b64 s[28:29], vcc
; %bb.124:
	v_cmp_eq_u32_e32 vcc, 0, v80
	v_cndmask_b32_e32 v76, 0, v76, vcc
	v_add_u32_e32 v62, v77, v80
	v_cndmask_b32_e32 v77, 0, v82, vcc
	v_add_co_u32_e32 v78, vcc, v76, v78
	v_addc_co_u32_e32 v79, vcc, v77, v79, vcc
	v_mov_b32_e32 v80, v62
; %bb.125:
	s_or_b64 exec, exec, s[28:29]
	v_and_b32_e32 v82, 16, v81
	v_mov_b32_dpp v76, v80 row_bcast:15 row_mask:0xf bank_mask:0xf
	v_mov_b32_dpp v62, v78 row_bcast:15 row_mask:0xf bank_mask:0xf
	v_mov_b32_dpp v77, v79 row_bcast:15 row_mask:0xf bank_mask:0xf
	v_cmp_ne_u32_e32 vcc, 0, v82
	s_and_saveexec_b64 s[28:29], vcc
; %bb.126:
	v_cmp_eq_u32_e32 vcc, 0, v80
	v_cndmask_b32_e32 v62, 0, v62, vcc
	v_add_u32_e32 v76, v76, v80
	v_cndmask_b32_e32 v77, 0, v77, vcc
	v_add_co_u32_e32 v78, vcc, v62, v78
	v_addc_co_u32_e32 v79, vcc, v77, v79, vcc
	v_mov_b32_e32 v80, v76
; %bb.127:
	s_or_b64 exec, exec, s[28:29]
	s_nop 0
	v_mov_b32_dpp v76, v80 row_bcast:31 row_mask:0xf bank_mask:0xf
	v_mov_b32_dpp v62, v78 row_bcast:31 row_mask:0xf bank_mask:0xf
	;; [unrolled: 1-line block ×3, first 2 shown]
	v_cmp_lt_u32_e32 vcc, 31, v81
	s_and_saveexec_b64 s[28:29], vcc
; %bb.128:
	v_cmp_eq_u32_e32 vcc, 0, v80
	v_cndmask_b32_e32 v62, 0, v62, vcc
	v_add_u32_e32 v76, v76, v80
	v_cndmask_b32_e32 v77, 0, v77, vcc
	v_add_co_u32_e32 v78, vcc, v62, v78
	v_addc_co_u32_e32 v79, vcc, v77, v79, vcc
	v_mov_b32_e32 v80, v76
; %bb.129:
	s_or_b64 exec, exec, s[28:29]
	v_lshrrev_b32_e32 v62, 6, v0
	v_or_b32_e32 v76, 63, v0
	v_cmp_eq_u32_e32 vcc, v76, v0
	v_lshlrev_b32_e32 v82, 4, v62
	s_and_saveexec_b64 s[28:29], vcc
	s_cbranch_execz .LBB288_131
; %bb.130:
	ds_write_b32 v82, v80 offset:4128
	ds_write_b64 v82, v[78:79] offset:4136
.LBB288_131:
	s_or_b64 exec, exec, s[28:29]
	v_cmp_gt_u32_e32 vcc, 4, v0
	s_waitcnt lgkmcnt(0)
	s_barrier
	s_and_saveexec_b64 s[28:29], vcc
	s_cbranch_execz .LBB288_137
; %bb.132:
	v_lshlrev_b32_e32 v62, 4, v0
	ds_read_b32 v83, v62 offset:4128
	ds_read_b64 v[76:77], v62 offset:4136
	v_and_b32_e32 v84, 3, v81
	v_cmp_ne_u32_e32 vcc, 0, v84
	s_waitcnt lgkmcnt(1)
	v_mov_b32_dpp v86, v83 row_shr:1 row_mask:0xf bank_mask:0xf
	s_waitcnt lgkmcnt(0)
	v_mov_b32_dpp v85, v76 row_shr:1 row_mask:0xf bank_mask:0xf
	v_mov_b32_dpp v87, v77 row_shr:1 row_mask:0xf bank_mask:0xf
	s_and_saveexec_b64 s[34:35], vcc
; %bb.133:
	v_cmp_eq_u32_e32 vcc, 0, v83
	v_cndmask_b32_e32 v85, 0, v85, vcc
	v_add_u32_e32 v86, v86, v83
	v_cndmask_b32_e32 v83, 0, v87, vcc
	v_add_co_u32_e32 v76, vcc, v85, v76
	v_addc_co_u32_e32 v77, vcc, v83, v77, vcc
	v_mov_b32_e32 v83, v86
; %bb.134:
	s_or_b64 exec, exec, s[34:35]
	s_nop 0
	v_mov_b32_dpp v86, v83 row_shr:2 row_mask:0xf bank_mask:0xf
	v_mov_b32_dpp v85, v76 row_shr:2 row_mask:0xf bank_mask:0xf
	v_mov_b32_dpp v87, v77 row_shr:2 row_mask:0xf bank_mask:0xf
	v_cmp_lt_u32_e32 vcc, 1, v84
	s_and_saveexec_b64 s[34:35], vcc
; %bb.135:
	v_cmp_eq_u32_e32 vcc, 0, v83
	v_cndmask_b32_e32 v85, 0, v85, vcc
	v_add_u32_e32 v84, v86, v83
	v_cndmask_b32_e32 v83, 0, v87, vcc
	v_add_co_u32_e32 v76, vcc, v85, v76
	v_addc_co_u32_e32 v77, vcc, v83, v77, vcc
	v_mov_b32_e32 v83, v84
; %bb.136:
	s_or_b64 exec, exec, s[34:35]
	ds_write_b32 v62, v83 offset:4128
	ds_write_b64 v62, v[76:77] offset:4136
.LBB288_137:
	s_or_b64 exec, exec, s[28:29]
	v_cmp_gt_u32_e32 vcc, 64, v0
	v_cmp_lt_u32_e64 s[28:29], 63, v0
	v_pk_mov_b32 v[76:77], 0, 0
	v_mov_b32_e32 v62, 0
	s_waitcnt lgkmcnt(0)
	s_barrier
	s_and_saveexec_b64 s[34:35], s[28:29]
	s_cbranch_execz .LBB288_139
; %bb.138:
	ds_read_b32 v62, v82 offset:4112
	ds_read_b64 v[76:77], v82 offset:4120
	v_cmp_eq_u32_e64 s[28:29], 0, v80
	s_waitcnt lgkmcnt(1)
	v_add_u32_e32 v82, v62, v80
	s_waitcnt lgkmcnt(0)
	v_cndmask_b32_e64 v83, 0, v76, s[28:29]
	v_cndmask_b32_e64 v80, 0, v77, s[28:29]
	v_add_co_u32_e64 v78, s[28:29], v83, v78
	v_addc_co_u32_e64 v79, s[28:29], v80, v79, s[28:29]
	v_mov_b32_e32 v80, v82
.LBB288_139:
	s_or_b64 exec, exec, s[34:35]
	v_add_u32_e32 v82, -1, v81
	v_and_b32_e32 v83, 64, v81
	v_cmp_lt_i32_e64 s[28:29], v82, v83
	v_cndmask_b32_e64 v82, v82, v81, s[28:29]
	v_lshlrev_b32_e32 v82, 2, v82
	ds_bpermute_b32 v88, v82, v80
	ds_bpermute_b32 v89, v82, v78
	;; [unrolled: 1-line block ×3, first 2 shown]
	v_cmp_eq_u32_e64 s[28:29], 0, v81
	s_and_saveexec_b64 s[34:35], vcc
	s_cbranch_execz .LBB288_186
; %bb.140:
	v_mov_b32_e32 v83, 0
	ds_read_b32 v91, v83 offset:4176
	ds_read_b64 v[78:79], v83 offset:4184
	s_and_saveexec_b64 s[42:43], s[28:29]
	s_cbranch_execz .LBB288_142
; %bb.141:
	s_add_i32 s48, s56, 64
	s_mov_b32 s49, 0
	s_lshl_b64 s[52:53], s[48:49], 4
	s_add_u32 s52, s36, s52
	s_addc_u32 s53, s37, s53
	v_mov_b32_e32 v80, s48
	v_mov_b32_e32 v82, 1
	s_waitcnt lgkmcnt(1)
	global_store_dword v83, v91, s[52:53]
	s_waitcnt lgkmcnt(0)
	global_store_dwordx2 v83, v[78:79], s[52:53] offset:8
	s_waitcnt vmcnt(0)
	buffer_wbinvl1_vol
	global_store_byte v80, v82, s[40:41]
.LBB288_142:
	s_or_b64 exec, exec, s[42:43]
	v_xad_u32 v80, v81, -1, s56
	v_add_u32_e32 v82, 64, v80
	global_load_ubyte v92, v82, s[40:41] glc
	s_waitcnt vmcnt(0)
	v_cmp_eq_u16_e32 vcc, 0, v92
	s_and_saveexec_b64 s[42:43], vcc
	s_cbranch_execz .LBB288_148
; %bb.143:
	v_mov_b32_e32 v85, s41
	v_add_co_u32_e32 v84, vcc, s40, v82
	v_addc_co_u32_e32 v85, vcc, 0, v85, vcc
	s_mov_b32 s52, 1
	s_mov_b64 s[48:49], 0
.LBB288_144:                            ; =>This Loop Header: Depth=1
                                        ;     Child Loop BB288_145 Depth 2
	s_max_u32 s53, s52, 1
.LBB288_145:                            ;   Parent Loop BB288_144 Depth=1
                                        ; =>  This Inner Loop Header: Depth=2
	s_add_i32 s53, s53, -1
	s_cmp_eq_u32 s53, 0
	s_sleep 1
	s_cbranch_scc0 .LBB288_145
; %bb.146:                              ;   in Loop: Header=BB288_144 Depth=1
	global_load_ubyte v92, v[84:85], off glc
	s_cmp_lt_u32 s52, 32
	s_cselect_b64 s[54:55], -1, 0
	s_cmp_lg_u64 s[54:55], 0
	s_addc_u32 s52, s52, 0
	s_waitcnt vmcnt(0)
	v_cmp_ne_u16_e32 vcc, 0, v92
	s_or_b64 s[48:49], vcc, s[48:49]
	s_andn2_b64 exec, exec, s[48:49]
	s_cbranch_execnz .LBB288_144
; %bb.147:
	s_or_b64 exec, exec, s[48:49]
.LBB288_148:
	s_or_b64 exec, exec, s[42:43]
	v_mov_b32_e32 v84, s39
	v_mov_b32_e32 v85, s37
	v_cmp_eq_u16_e32 vcc, 1, v92
	v_cndmask_b32_e32 v84, v84, v85, vcc
	v_mov_b32_e32 v85, s38
	v_mov_b32_e32 v86, s36
	v_cndmask_b32_e32 v85, v85, v86, vcc
	v_lshlrev_b64 v[82:83], 4, v[82:83]
	v_add_co_u32_e32 v82, vcc, v85, v82
	v_addc_co_u32_e32 v83, vcc, v84, v83, vcc
	s_waitcnt lgkmcnt(0)
	buffer_wbinvl1_vol
	global_load_dword v107, v[82:83], off
	global_load_dwordx2 v[86:87], v[82:83], off offset:8
	v_cmp_eq_u16_e32 vcc, 2, v92
	v_lshlrev_b64 v[82:83], v81, -1
	v_and_b32_e32 v93, 63, v81
	v_and_b32_e32 v84, vcc_hi, v83
	v_and_b32_e32 v97, vcc_lo, v82
	v_cmp_ne_u32_e32 vcc, 63, v93
	v_addc_co_u32_e32 v85, vcc, 0, v81, vcc
	v_lshlrev_b32_e32 v94, 2, v85
	v_or_b32_e32 v84, 0x80000000, v84
	v_ffbl_b32_e32 v84, v84
	v_add_u32_e32 v84, 32, v84
	v_ffbl_b32_e32 v97, v97
	v_min_u32_e32 v84, v97, v84
	v_cmp_lt_u32_e32 vcc, v93, v84
	s_waitcnt vmcnt(1)
	ds_bpermute_b32 v95, v94, v107
	s_waitcnt vmcnt(0)
	ds_bpermute_b32 v85, v94, v86
	ds_bpermute_b32 v96, v94, v87
	s_and_saveexec_b64 s[42:43], vcc
	s_cbranch_execz .LBB288_150
; %bb.149:
	v_cmp_eq_u32_e32 vcc, 0, v107
	s_waitcnt lgkmcnt(1)
	v_cndmask_b32_e32 v85, 0, v85, vcc
	v_add_u32_e32 v95, v95, v107
	s_waitcnt lgkmcnt(0)
	v_cndmask_b32_e32 v96, 0, v96, vcc
	v_add_co_u32_e32 v86, vcc, v85, v86
	v_addc_co_u32_e32 v87, vcc, v96, v87, vcc
	v_mov_b32_e32 v107, v95
.LBB288_150:
	s_or_b64 exec, exec, s[42:43]
	v_cmp_gt_u32_e32 vcc, 62, v93
	s_waitcnt lgkmcnt(1)
	v_cndmask_b32_e64 v85, 0, 1, vcc
	v_lshlrev_b32_e32 v85, 1, v85
	v_add_lshl_u32 v95, v85, v81, 2
	ds_bpermute_b32 v97, v95, v107
	ds_bpermute_b32 v85, v95, v86
	ds_bpermute_b32 v98, v95, v87
	s_waitcnt lgkmcnt(3)
	v_add_u32_e32 v96, 2, v93
	v_cmp_le_u32_e32 vcc, v96, v84
	s_and_saveexec_b64 s[42:43], vcc
	s_cbranch_execz .LBB288_152
; %bb.151:
	v_cmp_eq_u32_e32 vcc, 0, v107
	s_waitcnt lgkmcnt(1)
	v_cndmask_b32_e32 v85, 0, v85, vcc
	v_add_u32_e32 v97, v97, v107
	s_waitcnt lgkmcnt(0)
	v_cndmask_b32_e32 v98, 0, v98, vcc
	v_add_co_u32_e32 v86, vcc, v85, v86
	v_addc_co_u32_e32 v87, vcc, v98, v87, vcc
	v_mov_b32_e32 v107, v97
.LBB288_152:
	s_or_b64 exec, exec, s[42:43]
	v_cmp_gt_u32_e32 vcc, 60, v93
	s_waitcnt lgkmcnt(1)
	v_cndmask_b32_e64 v85, 0, 1, vcc
	v_lshlrev_b32_e32 v85, 2, v85
	v_add_lshl_u32 v97, v85, v81, 2
	ds_bpermute_b32 v99, v97, v107
	ds_bpermute_b32 v85, v97, v86
	ds_bpermute_b32 v100, v97, v87
	s_waitcnt lgkmcnt(3)
	v_add_u32_e32 v98, 4, v93
	v_cmp_le_u32_e32 vcc, v98, v84
	;; [unrolled: 25-line block ×4, first 2 shown]
	s_and_saveexec_b64 s[42:43], vcc
	s_cbranch_execz .LBB288_158
; %bb.157:
	v_cmp_eq_u32_e32 vcc, 0, v107
	s_waitcnt lgkmcnt(1)
	v_cndmask_b32_e32 v85, 0, v85, vcc
	v_add_u32_e32 v103, v103, v107
	s_waitcnt lgkmcnt(0)
	v_cndmask_b32_e32 v104, 0, v104, vcc
	v_add_co_u32_e32 v86, vcc, v85, v86
	v_addc_co_u32_e32 v87, vcc, v104, v87, vcc
	v_mov_b32_e32 v107, v103
.LBB288_158:
	s_or_b64 exec, exec, s[42:43]
	v_cmp_gt_u32_e32 vcc, 32, v93
	s_waitcnt lgkmcnt(1)
	v_cndmask_b32_e64 v85, 0, 1, vcc
	v_lshlrev_b32_e32 v85, 5, v85
	v_add_lshl_u32 v103, v85, v81, 2
	ds_bpermute_b32 v85, v103, v107
	ds_bpermute_b32 v81, v103, v86
	s_waitcnt lgkmcnt(2)
	ds_bpermute_b32 v104, v103, v87
	v_add_u32_e32 v105, 32, v93
	v_cmp_le_u32_e32 vcc, v105, v84
	s_and_saveexec_b64 s[42:43], vcc
	s_cbranch_execz .LBB288_160
; %bb.159:
	v_cmp_eq_u32_e32 vcc, 0, v107
	s_waitcnt lgkmcnt(1)
	v_cndmask_b32_e32 v81, 0, v81, vcc
	v_add_u32_e32 v84, v85, v107
	s_waitcnt lgkmcnt(0)
	v_cndmask_b32_e32 v85, 0, v104, vcc
	v_add_co_u32_e32 v86, vcc, v81, v86
	v_addc_co_u32_e32 v87, vcc, v85, v87, vcc
	v_mov_b32_e32 v107, v84
.LBB288_160:
	s_or_b64 exec, exec, s[42:43]
	s_waitcnt lgkmcnt(1)
	v_mov_b32_e32 v81, 0
	v_mov_b32_e32 v106, 2
	s_branch .LBB288_162
.LBB288_161:                            ;   in Loop: Header=BB288_162 Depth=1
	s_or_b64 exec, exec, s[42:43]
	v_cmp_eq_u32_e32 vcc, 0, v104
	v_cndmask_b32_e32 v86, 0, v86, vcc
	v_cndmask_b32_e32 v87, 0, v87, vcc
	v_add_co_u32_e32 v86, vcc, v86, v84
	v_subrev_u32_e32 v80, 64, v80
	v_add_u32_e32 v107, v108, v104
	v_addc_co_u32_e32 v87, vcc, v87, v85, vcc
.LBB288_162:                            ; =>This Loop Header: Depth=1
                                        ;     Child Loop BB288_165 Depth 2
                                        ;       Child Loop BB288_166 Depth 3
	v_cmp_ne_u16_sdwa s[42:43], v92, v106 src0_sel:BYTE_0 src1_sel:DWORD
	v_pk_mov_b32 v[84:85], v[86:87], v[86:87] op_sel:[0,1]
	v_cndmask_b32_e64 v86, 0, 1, s[42:43]
	;;#ASMSTART
	;;#ASMEND
	v_cmp_ne_u32_e32 vcc, 0, v86
	s_cmp_lg_u64 vcc, exec
	s_waitcnt lgkmcnt(0)
	v_mov_b32_e32 v104, v107
	s_cbranch_scc1 .LBB288_181
; %bb.163:                              ;   in Loop: Header=BB288_162 Depth=1
	global_load_ubyte v92, v80, s[40:41] glc
	s_waitcnt vmcnt(0)
	v_cmp_eq_u16_e32 vcc, 0, v92
	s_and_saveexec_b64 s[42:43], vcc
	s_cbranch_execz .LBB288_169
; %bb.164:                              ;   in Loop: Header=BB288_162 Depth=1
	v_mov_b32_e32 v87, s41
	v_add_co_u32_e32 v86, vcc, s40, v80
	v_addc_co_u32_e32 v87, vcc, 0, v87, vcc
	s_mov_b32 s52, 1
	s_mov_b64 s[48:49], 0
.LBB288_165:                            ;   Parent Loop BB288_162 Depth=1
                                        ; =>  This Loop Header: Depth=2
                                        ;       Child Loop BB288_166 Depth 3
	s_max_u32 s53, s52, 1
.LBB288_166:                            ;   Parent Loop BB288_162 Depth=1
                                        ;     Parent Loop BB288_165 Depth=2
                                        ; =>    This Inner Loop Header: Depth=3
	s_add_i32 s53, s53, -1
	s_cmp_eq_u32 s53, 0
	s_sleep 1
	s_cbranch_scc0 .LBB288_166
; %bb.167:                              ;   in Loop: Header=BB288_165 Depth=2
	global_load_ubyte v92, v[86:87], off glc
	s_cmp_lt_u32 s52, 32
	s_cselect_b64 s[54:55], -1, 0
	s_cmp_lg_u64 s[54:55], 0
	s_addc_u32 s52, s52, 0
	s_waitcnt vmcnt(0)
	v_cmp_ne_u16_e32 vcc, 0, v92
	s_or_b64 s[48:49], vcc, s[48:49]
	s_andn2_b64 exec, exec, s[48:49]
	s_cbranch_execnz .LBB288_165
; %bb.168:                              ;   in Loop: Header=BB288_162 Depth=1
	s_or_b64 exec, exec, s[48:49]
.LBB288_169:                            ;   in Loop: Header=BB288_162 Depth=1
	s_or_b64 exec, exec, s[42:43]
	v_mov_b32_e32 v86, s39
	v_mov_b32_e32 v87, s37
	v_cmp_eq_u16_e32 vcc, 1, v92
	v_cndmask_b32_e32 v107, v86, v87, vcc
	v_mov_b32_e32 v86, s38
	v_mov_b32_e32 v87, s36
	v_cndmask_b32_e32 v108, v86, v87, vcc
	v_lshlrev_b64 v[86:87], 4, v[80:81]
	v_add_co_u32_e32 v86, vcc, v108, v86
	v_addc_co_u32_e32 v87, vcc, v107, v87, vcc
	buffer_wbinvl1_vol
	global_load_dword v108, v[86:87], off
	s_nop 0
	global_load_dwordx2 v[86:87], v[86:87], off offset:8
	v_cmp_eq_u16_e32 vcc, 2, v92
	v_and_b32_e32 v107, vcc_hi, v83
	v_or_b32_e32 v107, 0x80000000, v107
	v_and_b32_e32 v115, vcc_lo, v82
	v_ffbl_b32_e32 v107, v107
	v_add_u32_e32 v107, 32, v107
	v_ffbl_b32_e32 v115, v115
	v_min_u32_e32 v107, v115, v107
	v_cmp_lt_u32_e32 vcc, v93, v107
	s_waitcnt vmcnt(1)
	ds_bpermute_b32 v111, v94, v108
	s_waitcnt vmcnt(0)
	ds_bpermute_b32 v109, v94, v86
	ds_bpermute_b32 v114, v94, v87
	s_and_saveexec_b64 s[42:43], vcc
	s_cbranch_execz .LBB288_171
; %bb.170:                              ;   in Loop: Header=BB288_162 Depth=1
	v_cmp_eq_u32_e32 vcc, 0, v108
	s_waitcnt lgkmcnt(1)
	v_cndmask_b32_e32 v109, 0, v109, vcc
	v_add_u32_e32 v111, v111, v108
	s_waitcnt lgkmcnt(0)
	v_cndmask_b32_e32 v108, 0, v114, vcc
	v_add_co_u32_e32 v86, vcc, v109, v86
	v_addc_co_u32_e32 v87, vcc, v108, v87, vcc
	v_mov_b32_e32 v108, v111
.LBB288_171:                            ;   in Loop: Header=BB288_162 Depth=1
	s_or_b64 exec, exec, s[42:43]
	s_waitcnt lgkmcnt(2)
	ds_bpermute_b32 v111, v95, v108
	s_waitcnt lgkmcnt(2)
	ds_bpermute_b32 v109, v95, v86
	s_waitcnt lgkmcnt(2)
	ds_bpermute_b32 v114, v95, v87
	v_cmp_le_u32_e32 vcc, v96, v107
	s_and_saveexec_b64 s[42:43], vcc
	s_cbranch_execz .LBB288_173
; %bb.172:                              ;   in Loop: Header=BB288_162 Depth=1
	v_cmp_eq_u32_e32 vcc, 0, v108
	s_waitcnt lgkmcnt(1)
	v_cndmask_b32_e32 v109, 0, v109, vcc
	v_add_u32_e32 v111, v111, v108
	s_waitcnt lgkmcnt(0)
	v_cndmask_b32_e32 v108, 0, v114, vcc
	v_add_co_u32_e32 v86, vcc, v109, v86
	v_addc_co_u32_e32 v87, vcc, v108, v87, vcc
	v_mov_b32_e32 v108, v111
.LBB288_173:                            ;   in Loop: Header=BB288_162 Depth=1
	s_or_b64 exec, exec, s[42:43]
	s_waitcnt lgkmcnt(2)
	ds_bpermute_b32 v111, v97, v108
	s_waitcnt lgkmcnt(2)
	ds_bpermute_b32 v109, v97, v86
	s_waitcnt lgkmcnt(2)
	ds_bpermute_b32 v114, v97, v87
	v_cmp_le_u32_e32 vcc, v98, v107
	;; [unrolled: 21-line block ×5, first 2 shown]
	s_and_saveexec_b64 s[42:43], vcc
	s_cbranch_execz .LBB288_161
; %bb.180:                              ;   in Loop: Header=BB288_162 Depth=1
	v_cmp_eq_u32_e32 vcc, 0, v108
	s_waitcnt lgkmcnt(1)
	v_cndmask_b32_e32 v109, 0, v109, vcc
	v_add_u32_e32 v107, v111, v108
	s_waitcnt lgkmcnt(0)
	v_cndmask_b32_e32 v108, 0, v114, vcc
	v_add_co_u32_e32 v86, vcc, v109, v86
	v_addc_co_u32_e32 v87, vcc, v108, v87, vcc
	v_mov_b32_e32 v108, v107
	s_branch .LBB288_161
.LBB288_181:                            ;   in Loop: Header=BB288_162 Depth=1
                                        ; implicit-def: $vgpr86_vgpr87
                                        ; implicit-def: $vgpr107
                                        ; implicit-def: $vgpr92
	s_cbranch_execz .LBB288_162
; %bb.182:
	s_and_saveexec_b64 s[36:37], s[28:29]
	s_cbranch_execz .LBB288_184
; %bb.183:
	s_mov_b32 s43, 0
	v_cmp_eq_u32_e32 vcc, 0, v91
	s_add_i32 s42, s56, 64
	v_cndmask_b32_e32 v80, 0, v84, vcc
	s_lshl_b64 s[48:49], s[42:43], 4
	v_cndmask_b32_e32 v81, 0, v85, vcc
	v_add_co_u32_e32 v80, vcc, v80, v78
	s_add_u32 s48, s38, s48
	v_add_u32_e32 v82, v104, v91
	v_addc_co_u32_e32 v81, vcc, v81, v79, vcc
	s_addc_u32 s49, s39, s49
	v_mov_b32_e32 v83, 0
	global_store_dword v83, v82, s[48:49]
	global_store_dwordx2 v83, v[80:81], s[48:49] offset:8
	v_mov_b32_e32 v80, s42
	v_mov_b32_e32 v81, 2
	s_waitcnt vmcnt(0) lgkmcnt(0)
	buffer_wbinvl1_vol
	global_store_byte v80, v81, s[40:41]
	ds_write_b32 v83, v91 offset:4096
	ds_write_b64 v83, v[78:79] offset:4104
	ds_write_b32 v83, v104 offset:4112
	ds_write_b64 v83, v[84:85] offset:4120
.LBB288_184:
	s_or_b64 exec, exec, s[36:37]
	s_and_b64 exec, exec, s[0:1]
	s_cbranch_execz .LBB288_186
; %bb.185:
	v_mov_b32_e32 v78, 0
	ds_write_b32 v78, v104 offset:4176
	ds_write_b64 v78, v[84:85] offset:4184
.LBB288_186:
	s_or_b64 exec, exec, s[34:35]
	v_mov_b32_e32 v106, 0
	s_waitcnt lgkmcnt(0)
	s_barrier
	ds_read_b32 v80, v106 offset:4176
	ds_read_b64 v[78:79], v106 offset:4184
	v_cndmask_b32_e64 v62, v88, v62, s[28:29]
	v_cmp_eq_u32_e32 vcc, 0, v62
	v_cndmask_b32_e64 v76, v89, v76, s[28:29]
	v_cndmask_b32_e64 v77, v90, v77, s[28:29]
	s_waitcnt lgkmcnt(0)
	v_cndmask_b32_e32 v82, 0, v78, vcc
	v_cndmask_b32_e32 v81, 0, v79, vcc
	v_add_co_u32_e32 v76, vcc, v82, v76
	v_addc_co_u32_e32 v77, vcc, v81, v77, vcc
	v_cndmask_b32_e64 v104, v76, v78, s[0:1]
	v_cmp_eq_u32_e32 vcc, 0, v74
	v_cndmask_b32_e64 v62, v62, 0, s[0:1]
	v_cndmask_b32_e64 v105, v77, v79, s[0:1]
	v_cndmask_b32_e32 v76, 0, v104, vcc
	v_add_u32_e32 v111, v80, v62
	v_cndmask_b32_e32 v62, 0, v105, vcc
	v_add_co_u32_e32 v80, vcc, v76, v50
	v_addc_co_u32_e32 v81, vcc, v62, v51, vcc
	v_cndmask_b32_e64 v76, 0, v80, s[26:27]
	v_cndmask_b32_e64 v62, 0, v81, s[26:27]
	v_add_co_u32_e32 v82, vcc, v76, v54
	v_addc_co_u32_e32 v83, vcc, v62, v55, vcc
	v_cndmask_b32_e64 v76, 0, v82, s[24:25]
	v_cndmask_b32_e64 v62, 0, v83, s[24:25]
	;; [unrolled: 4-line block ×11, first 2 shown]
	v_add_co_u32_e32 v102, vcc, v76, v36
	v_addc_co_u32_e32 v103, vcc, v62, v37, vcc
	s_barrier
	ds_read_b32 v62, v106 offset:4096
	ds_read_b64 v[76:77], v106 offset:4104
	ds_read_b32 v78, v106 offset:4112
	ds_read_b64 v[114:115], v106 offset:4120
	v_cndmask_b32_e64 v107, 0, v102, s[4:5]
	v_cndmask_b32_e64 v79, 0, v103, s[4:5]
	v_add_co_u32_e32 v106, vcc, v107, v30
	v_addc_co_u32_e32 v107, vcc, v79, v31, vcc
	s_waitcnt lgkmcnt(3)
	v_cmp_eq_u32_e32 vcc, 0, v62
	s_waitcnt lgkmcnt(0)
	v_cndmask_b32_e32 v114, 0, v114, vcc
	v_cndmask_b32_e32 v79, 0, v115, vcc
	v_add_co_u32_e32 v76, vcc, v114, v76
	v_cndmask_b32_e64 v109, 0, v107, s[2:3]
	v_cndmask_b32_e64 v108, 0, v106, s[2:3]
	v_addc_co_u32_e32 v77, vcc, v79, v77, vcc
	s_branch .LBB288_215
.LBB288_187:
                                        ; implicit-def: $vgpr62
                                        ; implicit-def: $vgpr76_vgpr77
                                        ; implicit-def: $vgpr78
                                        ; implicit-def: $vgpr104_vgpr105
                                        ; implicit-def: $vgpr80_vgpr81
                                        ; implicit-def: $vgpr82_vgpr83
                                        ; implicit-def: $vgpr84_vgpr85
                                        ; implicit-def: $vgpr86_vgpr87
                                        ; implicit-def: $vgpr88_vgpr89
                                        ; implicit-def: $vgpr90_vgpr91
                                        ; implicit-def: $vgpr92_vgpr93
                                        ; implicit-def: $vgpr94_vgpr95
                                        ; implicit-def: $vgpr96_vgpr97
                                        ; implicit-def: $vgpr98_vgpr99
                                        ; implicit-def: $vgpr100_vgpr101
                                        ; implicit-def: $vgpr102_vgpr103
                                        ; implicit-def: $vgpr106_vgpr107
                                        ; implicit-def: $vgpr108_vgpr109
                                        ; implicit-def: $vgpr111
	s_cbranch_execz .LBB288_215
; %bb.188:
	s_and_b64 s[2:3], s[30:31], exec
	s_cselect_b32 s3, 0, s65
	s_cselect_b32 s2, 0, s64
	s_cmp_eq_u64 s[2:3], 0
	v_pk_mov_b32 v[78:79], v[50:51], v[50:51] op_sel:[0,1]
	s_cbranch_scc1 .LBB288_190
; %bb.189:
	v_mov_b32_e32 v62, 0
	global_load_dwordx2 v[78:79], v62, s[2:3]
.LBB288_190:
	v_cmp_eq_u32_e64 s[24:25], 0, v75
	s_waitcnt lgkmcnt(0)
	v_cndmask_b32_e64 v76, 0, v50, s[24:25]
	v_cndmask_b32_e64 v62, 0, v51, s[24:25]
	v_add_co_u32_e32 v76, vcc, v76, v54
	v_cmp_eq_u32_e64 s[22:23], 0, v72
	v_addc_co_u32_e32 v62, vcc, v62, v55, vcc
	v_cndmask_b32_e64 v76, 0, v76, s[22:23]
	v_cndmask_b32_e64 v62, 0, v62, s[22:23]
	v_add_co_u32_e32 v76, vcc, v76, v52
	v_cmp_eq_u32_e64 s[20:21], 0, v73
	v_addc_co_u32_e32 v62, vcc, v62, v53, vcc
	;; [unrolled: 5-line block ×11, first 2 shown]
	v_cndmask_b32_e64 v76, 0, v76, s[4:5]
	v_cndmask_b32_e64 v62, 0, v62, s[4:5]
	v_add_co_u32_e32 v76, vcc, v76, v30
	v_addc_co_u32_e32 v62, vcc, v62, v31, vcc
	v_cmp_eq_u32_e32 vcc, 0, v63
	v_cndmask_b32_e32 v76, 0, v76, vcc
	v_cndmask_b32_e32 v62, 0, v62, vcc
	v_add_co_u32_e64 v76, s[26:27], v76, v60
	v_addc_co_u32_e64 v62, s[26:27], v62, v61, s[26:27]
	v_add3_u32 v77, v113, v71, v68
	v_cmp_eq_u32_e64 s[26:27], 0, v1
	v_add3_u32 v77, v77, v69, v66
	v_cndmask_b32_e64 v76, 0, v76, s[26:27]
	v_add3_u32 v77, v77, v67, v64
	v_cndmask_b32_e64 v62, 0, v62, s[26:27]
	v_add_co_u32_e64 v32, s[26:27], v76, v32
	v_add3_u32 v77, v77, v65, v110
	v_addc_co_u32_e64 v33, s[26:27], v62, v33, s[26:27]
	v_mbcnt_hi_u32_b32 v62, -1, v112
	v_add3_u32 v80, v77, v63, v1
	v_and_b32_e32 v76, 15, v62
	v_mov_b32_dpp v77, v32 row_shr:1 row_mask:0xf bank_mask:0xf
	v_mov_b32_dpp v81, v80 row_shr:1 row_mask:0xf bank_mask:0xf
	v_mov_b32_dpp v82, v33 row_shr:1 row_mask:0xf bank_mask:0xf
	v_cmp_ne_u32_e64 s[26:27], 0, v76
	s_and_saveexec_b64 s[28:29], s[26:27]
; %bb.191:
	v_cmp_eq_u32_e64 s[26:27], 0, v80
	v_cndmask_b32_e64 v77, 0, v77, s[26:27]
	v_add_u32_e32 v81, v81, v80
	v_cndmask_b32_e64 v80, 0, v82, s[26:27]
	v_add_co_u32_e64 v32, s[26:27], v77, v32
	v_addc_co_u32_e64 v33, s[26:27], v80, v33, s[26:27]
	v_mov_b32_e32 v80, v81
; %bb.192:
	s_or_b64 exec, exec, s[28:29]
	s_nop 0
	v_mov_b32_dpp v81, v80 row_shr:2 row_mask:0xf bank_mask:0xf
	v_mov_b32_dpp v77, v32 row_shr:2 row_mask:0xf bank_mask:0xf
	v_mov_b32_dpp v82, v33 row_shr:2 row_mask:0xf bank_mask:0xf
	v_cmp_lt_u32_e64 s[26:27], 1, v76
	s_and_saveexec_b64 s[28:29], s[26:27]
; %bb.193:
	v_cmp_eq_u32_e64 s[26:27], 0, v80
	v_cndmask_b32_e64 v77, 0, v77, s[26:27]
	v_add_u32_e32 v81, v81, v80
	v_cndmask_b32_e64 v80, 0, v82, s[26:27]
	v_add_co_u32_e64 v32, s[26:27], v77, v32
	v_addc_co_u32_e64 v33, s[26:27], v80, v33, s[26:27]
	v_mov_b32_e32 v80, v81
; %bb.194:
	s_or_b64 exec, exec, s[28:29]
	s_nop 0
	v_mov_b32_dpp v81, v80 row_shr:4 row_mask:0xf bank_mask:0xf
	v_mov_b32_dpp v77, v32 row_shr:4 row_mask:0xf bank_mask:0xf
	v_mov_b32_dpp v82, v33 row_shr:4 row_mask:0xf bank_mask:0xf
	v_cmp_lt_u32_e64 s[26:27], 3, v76
	;; [unrolled: 16-line block ×3, first 2 shown]
	s_and_saveexec_b64 s[28:29], s[26:27]
; %bb.197:
	v_cmp_eq_u32_e64 s[26:27], 0, v80
	v_cndmask_b32_e64 v77, 0, v77, s[26:27]
	v_add_u32_e32 v76, v81, v80
	v_cndmask_b32_e64 v80, 0, v82, s[26:27]
	v_add_co_u32_e64 v32, s[26:27], v77, v32
	v_addc_co_u32_e64 v33, s[26:27], v80, v33, s[26:27]
	v_mov_b32_e32 v80, v76
; %bb.198:
	s_or_b64 exec, exec, s[28:29]
	v_and_b32_e32 v82, 16, v62
	v_mov_b32_dpp v77, v80 row_bcast:15 row_mask:0xf bank_mask:0xf
	v_mov_b32_dpp v76, v32 row_bcast:15 row_mask:0xf bank_mask:0xf
	;; [unrolled: 1-line block ×3, first 2 shown]
	v_cmp_ne_u32_e64 s[26:27], 0, v82
	s_and_saveexec_b64 s[28:29], s[26:27]
; %bb.199:
	v_cmp_eq_u32_e64 s[26:27], 0, v80
	v_cndmask_b32_e64 v76, 0, v76, s[26:27]
	v_add_u32_e32 v77, v77, v80
	v_cndmask_b32_e64 v80, 0, v81, s[26:27]
	v_add_co_u32_e64 v32, s[26:27], v76, v32
	v_addc_co_u32_e64 v33, s[26:27], v80, v33, s[26:27]
	v_mov_b32_e32 v80, v77
; %bb.200:
	s_or_b64 exec, exec, s[28:29]
	s_nop 0
	v_mov_b32_dpp v77, v80 row_bcast:31 row_mask:0xf bank_mask:0xf
	v_mov_b32_dpp v76, v32 row_bcast:31 row_mask:0xf bank_mask:0xf
	;; [unrolled: 1-line block ×3, first 2 shown]
	v_cmp_lt_u32_e64 s[26:27], 31, v62
	s_and_saveexec_b64 s[28:29], s[26:27]
; %bb.201:
	v_cmp_eq_u32_e64 s[26:27], 0, v80
	v_cndmask_b32_e64 v76, 0, v76, s[26:27]
	v_add_u32_e32 v77, v77, v80
	v_cndmask_b32_e64 v80, 0, v81, s[26:27]
	v_add_co_u32_e64 v32, s[26:27], v76, v32
	v_addc_co_u32_e64 v33, s[26:27], v80, v33, s[26:27]
	v_mov_b32_e32 v80, v77
; %bb.202:
	s_or_b64 exec, exec, s[28:29]
	v_or_b32_e32 v76, 63, v0
	v_lshrrev_b32_e32 v81, 6, v0
	v_cmp_eq_u32_e64 s[26:27], v76, v0
	s_and_saveexec_b64 s[28:29], s[26:27]
	s_cbranch_execz .LBB288_204
; %bb.203:
	v_lshlrev_b32_e32 v76, 4, v81
	ds_write_b32 v76, v80 offset:4128
	ds_write_b64 v76, v[32:33] offset:4136
.LBB288_204:
	s_or_b64 exec, exec, s[28:29]
	v_cmp_gt_u32_e64 s[26:27], 4, v0
	s_waitcnt lgkmcnt(0)
	s_barrier
	s_and_saveexec_b64 s[28:29], s[26:27]
	s_cbranch_execz .LBB288_210
; %bb.205:
	v_lshlrev_b32_e32 v82, 4, v0
	ds_read_b32 v83, v82 offset:4128
	ds_read_b64 v[76:77], v82 offset:4136
	v_and_b32_e32 v84, 3, v62
	v_cmp_ne_u32_e64 s[26:27], 0, v84
	s_waitcnt lgkmcnt(1)
	v_mov_b32_dpp v86, v83 row_shr:1 row_mask:0xf bank_mask:0xf
	s_waitcnt lgkmcnt(0)
	v_mov_b32_dpp v85, v76 row_shr:1 row_mask:0xf bank_mask:0xf
	v_mov_b32_dpp v87, v77 row_shr:1 row_mask:0xf bank_mask:0xf
	s_and_saveexec_b64 s[34:35], s[26:27]
; %bb.206:
	v_cmp_eq_u32_e64 s[26:27], 0, v83
	v_cndmask_b32_e64 v85, 0, v85, s[26:27]
	v_add_u32_e32 v86, v86, v83
	v_cndmask_b32_e64 v83, 0, v87, s[26:27]
	v_add_co_u32_e64 v76, s[26:27], v85, v76
	v_addc_co_u32_e64 v77, s[26:27], v83, v77, s[26:27]
	v_mov_b32_e32 v83, v86
; %bb.207:
	s_or_b64 exec, exec, s[34:35]
	s_nop 0
	v_mov_b32_dpp v86, v83 row_shr:2 row_mask:0xf bank_mask:0xf
	v_mov_b32_dpp v85, v76 row_shr:2 row_mask:0xf bank_mask:0xf
	;; [unrolled: 1-line block ×3, first 2 shown]
	v_cmp_lt_u32_e64 s[26:27], 1, v84
	s_and_saveexec_b64 s[34:35], s[26:27]
; %bb.208:
	v_cmp_eq_u32_e64 s[26:27], 0, v83
	v_cndmask_b32_e64 v85, 0, v85, s[26:27]
	v_add_u32_e32 v84, v86, v83
	v_cndmask_b32_e64 v83, 0, v87, s[26:27]
	v_add_co_u32_e64 v76, s[26:27], v85, v76
	v_addc_co_u32_e64 v77, s[26:27], v83, v77, s[26:27]
	v_mov_b32_e32 v83, v84
; %bb.209:
	s_or_b64 exec, exec, s[34:35]
	ds_write_b32 v82, v83 offset:4128
	ds_write_b64 v82, v[76:77] offset:4136
.LBB288_210:
	s_or_b64 exec, exec, s[28:29]
	v_cmp_lt_u32_e64 s[26:27], 63, v0
	v_mov_b32_e32 v112, 0
	v_mov_b32_e32 v82, 0
	s_waitcnt vmcnt(0)
	v_pk_mov_b32 v[76:77], v[78:79], v[78:79] op_sel:[0,1]
	s_waitcnt lgkmcnt(0)
	s_barrier
	s_and_saveexec_b64 s[28:29], s[26:27]
	s_cbranch_execz .LBB288_212
; %bb.211:
	v_lshlrev_b32_e32 v76, 4, v81
	ds_read_b32 v82, v76 offset:4112
	ds_read_b64 v[76:77], v76 offset:4120
	s_waitcnt lgkmcnt(1)
	v_cmp_eq_u32_e64 s[26:27], 0, v82
	v_cndmask_b32_e64 v83, 0, v78, s[26:27]
	v_cndmask_b32_e64 v81, 0, v79, s[26:27]
	s_waitcnt lgkmcnt(0)
	v_add_co_u32_e64 v76, s[26:27], v83, v76
	v_addc_co_u32_e64 v77, s[26:27], v81, v77, s[26:27]
.LBB288_212:
	s_or_b64 exec, exec, s[28:29]
	v_cmp_eq_u32_e64 s[26:27], 0, v80
	v_cndmask_b32_e64 v83, 0, v76, s[26:27]
	v_add_u32_e32 v81, v82, v80
	v_cndmask_b32_e64 v80, 0, v77, s[26:27]
	v_add_co_u32_e64 v32, s[26:27], v83, v32
	v_addc_co_u32_e64 v33, s[26:27], v80, v33, s[26:27]
	v_add_u32_e32 v80, -1, v62
	v_and_b32_e32 v83, 64, v62
	v_cmp_lt_i32_e64 s[26:27], v80, v83
	v_cndmask_b32_e64 v80, v80, v62, s[26:27]
	v_lshlrev_b32_e32 v80, 2, v80
	ds_bpermute_b32 v32, v80, v32
	ds_bpermute_b32 v81, v80, v81
	;; [unrolled: 1-line block ×3, first 2 shown]
	v_cmp_eq_u32_e64 s[26:27], 0, v62
	ds_read_b32 v62, v112 offset:4176
	s_waitcnt lgkmcnt(3)
	v_cndmask_b32_e64 v104, v32, v76, s[26:27]
	s_waitcnt lgkmcnt(2)
	v_cndmask_b32_e64 v111, v81, v82, s[26:27]
	;; [unrolled: 2-line block ×3, first 2 shown]
	v_cndmask_b32_e64 v32, v104, v78, s[0:1]
	v_cmp_eq_u32_e64 s[26:27], 0, v74
	v_cndmask_b32_e64 v33, v105, v79, s[0:1]
	v_cndmask_b32_e64 v32, 0, v32, s[26:27]
	;; [unrolled: 1-line block ×3, first 2 shown]
	v_add_co_u32_e64 v80, s[26:27], v32, v50
	v_addc_co_u32_e64 v81, s[26:27], v33, v51, s[26:27]
	v_cndmask_b32_e64 v33, 0, v80, s[24:25]
	v_cndmask_b32_e64 v32, 0, v81, s[24:25]
	v_add_co_u32_e64 v82, s[24:25], v33, v54
	v_addc_co_u32_e64 v83, s[24:25], v32, v55, s[24:25]
	v_cndmask_b32_e64 v33, 0, v82, s[22:23]
	v_cndmask_b32_e64 v32, 0, v83, s[22:23]
	;; [unrolled: 4-line block ×12, first 2 shown]
	v_add_co_u32_e64 v106, s[2:3], v33, v30
	v_addc_co_u32_e64 v107, s[2:3], v32, v31, s[2:3]
	ds_read_b64 v[30:31], v112 offset:4184
	v_cndmask_b32_e32 v109, 0, v107, vcc
	v_cndmask_b32_e32 v108, 0, v106, vcc
	s_waitcnt lgkmcnt(1)
	v_cmp_eq_u32_e32 vcc, 0, v62
	v_cndmask_b32_e32 v33, 0, v78, vcc
	v_cndmask_b32_e32 v32, 0, v79, vcc
	s_waitcnt lgkmcnt(0)
	v_add_co_u32_e32 v76, vcc, v33, v30
	v_addc_co_u32_e32 v77, vcc, v32, v31, vcc
	s_and_saveexec_b64 s[2:3], s[0:1]
	s_cbranch_execz .LBB288_214
; %bb.213:
	v_mov_b32_e32 v111, 0
	v_mov_b32_e32 v30, 2
	v_pk_mov_b32 v[104:105], v[78:79], v[78:79] op_sel:[0,1]
	global_store_dword v111, v62, s[38:39] offset:1024
	global_store_dwordx2 v111, v[76:77], s[38:39] offset:1032
	s_waitcnt vmcnt(0)
	buffer_wbinvl1_vol
	global_store_byte v111, v30, s[40:41] offset:64
.LBB288_214:
	s_or_b64 exec, exec, s[2:3]
	v_mov_b32_e32 v78, 0
.LBB288_215:
	s_and_b64 s[2:3], s[30:31], exec
	s_cselect_b32 s3, 0, s51
	s_cselect_b32 s2, 0, s50
	s_cmp_eq_u64 s[2:3], 0
	v_pk_mov_b32 v[30:31], 0, 0
	s_waitcnt lgkmcnt(0)
	s_barrier
	s_cbranch_scc1 .LBB288_217
; %bb.216:
	v_mov_b32_e32 v30, 0
	global_load_dwordx2 v[30:31], v30, s[2:3]
.LBB288_217:
	s_waitcnt vmcnt(0)
	v_lshlrev_b64 v[32:33], 3, v[30:31]
	v_mov_b32_e32 v34, s59
	v_add_co_u32_e32 v50, vcc, s58, v32
	v_mov_b32_e32 v79, 0
	v_addc_co_u32_e32 v51, vcc, v34, v33, vcc
	v_lshlrev_b64 v[34:35], 3, v[78:79]
	v_add_co_u32_e32 v50, vcc, v50, v34
	v_addc_co_u32_e32 v51, vcc, v51, v35, vcc
	v_cmp_eq_u32_e32 vcc, 0, v74
	v_cndmask_b32_e64 v52, 1, 2, vcc
	v_cmp_eq_u32_e32 vcc, 0, v75
	v_cndmask_b32_e64 v53, 1, 2, vcc
	v_cmp_eq_u32_e32 vcc, 0, v72
	v_and_b32_e32 v52, v53, v52
	v_cndmask_b32_e64 v53, 1, 2, vcc
	v_cmp_eq_u32_e32 vcc, 0, v73
	v_add_u32_e32 v49, v111, v74
	v_and_b32_e32 v52, v52, v53
	v_cndmask_b32_e64 v53, 1, 2, vcc
	v_cmp_eq_u32_e32 vcc, 0, v70
	v_add_u32_e32 v48, v49, v75
	;; [unrolled: 4-line block ×12, first 2 shown]
	v_and_b32_e32 v52, v52, v53
	v_cndmask_b32_e64 v53, 1, 2, vcc
	s_movk_i32 s34, 0x100
	v_add_u32_e32 v37, v38, v110
	v_and_b32_e32 v52, v52, v53
	v_cmp_gt_u32_e32 vcc, s34, v62
	v_add_u32_e32 v36, v37, v63
	v_cmp_ne_u32_e64 s[30:31], 0, v74
	v_cmp_ne_u32_e64 s[28:29], 0, v75
	;; [unrolled: 1-line block ×15, first 2 shown]
	s_mov_b64 s[36:37], -1
	v_cmp_gt_i16_e64 s[34:35], 2, v52
	s_cbranch_vccz .LBB288_224
; %bb.218:
	s_and_saveexec_b64 s[36:37], s[34:35]
	s_cbranch_execz .LBB288_223
; %bb.219:
	v_cmp_ne_u16_e32 vcc, 1, v52
	s_mov_b64 s[38:39], 0
	s_and_saveexec_b64 s[34:35], vcc
	s_xor_b64 s[34:35], exec, s[34:35]
	s_cbranch_execnz .LBB288_289
; %bb.220:
	s_andn2_saveexec_b64 s[34:35], s[34:35]
	s_cbranch_execnz .LBB288_305
.LBB288_221:
	s_or_b64 exec, exec, s[34:35]
	s_and_b64 exec, exec, s[38:39]
	s_cbranch_execz .LBB288_223
.LBB288_222:
	v_sub_u32_e32 v54, v36, v78
	v_mov_b32_e32 v55, 0
	v_lshlrev_b64 v[54:55], 3, v[54:55]
	v_add_co_u32_e32 v54, vcc, v50, v54
	v_addc_co_u32_e32 v55, vcc, v51, v55, vcc
	global_store_dwordx2 v[54:55], v[58:59], off
.LBB288_223:
	s_or_b64 exec, exec, s[36:37]
	s_mov_b64 s[36:37], 0
.LBB288_224:
	s_and_b64 vcc, exec, s[36:37]
	s_cbranch_vccz .LBB288_234
; %bb.225:
	v_cmp_gt_i16_e32 vcc, 2, v52
	s_and_saveexec_b64 s[34:35], vcc
	s_cbranch_execz .LBB288_230
; %bb.226:
	v_cmp_ne_u16_e32 vcc, 1, v52
	s_mov_b64 s[38:39], 0
	s_and_saveexec_b64 s[36:37], vcc
	s_xor_b64 s[36:37], exec, s[36:37]
	s_cbranch_execnz .LBB288_306
; %bb.227:
	s_andn2_saveexec_b64 s[2:3], s[36:37]
	s_cbranch_execnz .LBB288_322
.LBB288_228:
	s_or_b64 exec, exec, s[2:3]
	s_and_b64 exec, exec, s[38:39]
	s_cbranch_execz .LBB288_230
.LBB288_229:
	v_sub_u32_e32 v2, v36, v78
	v_lshlrev_b32_e32 v2, 3, v2
	ds_write_b64 v2, v[58:59]
.LBB288_230:
	s_or_b64 exec, exec, s[34:35]
	v_cmp_lt_u32_e32 vcc, v0, v62
	s_waitcnt lgkmcnt(0)
	s_barrier
	s_and_saveexec_b64 s[2:3], vcc
	s_cbranch_execz .LBB288_233
; %bb.231:
	v_lshlrev_b32_e32 v4, 3, v0
	s_mov_b64 s[4:5], 0
	v_mov_b32_e32 v3, 0
	v_mov_b32_e32 v2, v0
.LBB288_232:                            ; =>This Inner Loop Header: Depth=1
	v_lshlrev_b64 v[6:7], 3, v[2:3]
	ds_read_b64 v[8:9], v4
	v_add_co_u32_e32 v6, vcc, v50, v6
	v_add_u32_e32 v2, 0x100, v2
	v_addc_co_u32_e32 v7, vcc, v51, v7, vcc
	v_cmp_ge_u32_e32 vcc, v2, v62
	v_add_u32_e32 v4, 0x800, v4
	s_or_b64 s[4:5], vcc, s[4:5]
	s_waitcnt lgkmcnt(0)
	global_store_dwordx2 v[6:7], v[8:9], off
	s_andn2_b64 exec, exec, s[4:5]
	s_cbranch_execnz .LBB288_232
.LBB288_233:
	s_or_b64 exec, exec, s[2:3]
.LBB288_234:
	s_cmpk_lg_i32 s33, 0xf00
	s_cselect_b64 s[2:3], -1, 0
	v_cndmask_b32_e64 v8, 0, 1, s[46:47]
	s_and_b64 s[2:3], s[2:3], s[44:45]
	v_sub_u32_e32 v4, v62, v8
	v_cndmask_b32_e64 v5, 0, 1, s[2:3]
	s_and_b64 s[0:1], s[0:1], s[46:47]
	v_add_co_u32_e32 v2, vcc, v108, v60
	v_add_u32_e32 v4, v4, v5
	v_cndmask_b32_e64 v5, v74, 0, s[0:1]
	s_mul_hi_u32 s0, s33, 0x88888889
	v_addc_co_u32_e32 v3, vcc, v109, v61, vcc
	s_lshr_b32 s0, s0, 3
	v_mad_i32_i24 v6, v0, -15, s33
	v_cmp_eq_u32_e32 vcc, s0, v0
	v_cmp_ne_u32_e64 s[0:1], 0, v6
	v_cndmask_b32_e64 v7, 1, v5, s[0:1]
	v_cmp_ne_u32_e64 s[0:1], 1, v6
	v_cndmask_b32_e64 v9, 1, v75, s[0:1]
	;; [unrolled: 2-line block ×15, first 2 shown]
	s_and_b64 vcc, vcc, s[44:45]
	v_cndmask_b32_e32 v22, v1, v6, vcc
	v_cndmask_b32_e32 v21, v63, v21, vcc
	;; [unrolled: 1-line block ×15, first 2 shown]
	v_mov_b32_e32 v1, s61
	v_add_co_u32_e32 v5, vcc, s60, v32
	v_addc_co_u32_e32 v6, vcc, v1, v33, vcc
	v_add_co_u32_e32 v1, vcc, v5, v34
	v_addc_co_u32_e32 v5, vcc, v6, v35, vcc
	v_lshlrev_b32_e32 v6, 3, v8
	v_add_co_u32_e32 v6, vcc, v6, v1
	v_addc_co_u32_e32 v7, vcc, 0, v5, vcc
	v_add_co_u32_e32 v6, vcc, -8, v6
	v_addc_co_u32_e32 v7, vcc, -1, v7, vcc
	v_cmp_eq_u32_e32 vcc, 0, v23
	v_cmp_ne_u32_e64 s[28:29], 0, v23
	v_cndmask_b32_e64 v23, 1, 2, vcc
	v_cmp_eq_u32_e32 vcc, 0, v9
	v_cmp_ne_u32_e64 s[26:27], 0, v9
	v_cndmask_b32_e64 v9, 1, 2, vcc
	v_cmp_eq_u32_e32 vcc, 0, v10
	v_and_b32_e32 v9, v9, v23
	v_cmp_ne_u32_e64 s[24:25], 0, v10
	v_cndmask_b32_e64 v10, 1, 2, vcc
	v_cmp_eq_u32_e32 vcc, 0, v11
	v_and_b32_e32 v9, v9, v10
	v_cndmask_b32_e64 v10, 1, 2, vcc
	v_cmp_eq_u32_e32 vcc, 0, v12
	v_and_b32_e32 v9, v9, v10
	;; [unrolled: 3-line block ×12, first 2 shown]
	v_cndmask_b32_e64 v10, 1, 2, vcc
	s_movk_i32 s30, 0x100
	v_and_b32_e32 v9, v9, v10
	v_cmp_gt_u32_e32 vcc, s30, v4
	v_add_u32_e32 v8, v78, v8
	v_cmp_ne_u32_e64 s[22:23], 0, v11
	v_cmp_ne_u32_e64 s[20:21], 0, v12
	;; [unrolled: 1-line block ×12, first 2 shown]
	s_mov_b64 s[34:35], -1
	v_cmp_gt_i16_e64 s[30:31], 2, v9
	s_barrier
	s_cbranch_vccz .LBB288_241
; %bb.235:
	s_and_saveexec_b64 s[34:35], s[30:31]
	s_cbranch_execz .LBB288_240
; %bb.236:
	v_cmp_ne_u16_e32 vcc, 1, v9
	s_mov_b64 s[36:37], 0
	s_and_saveexec_b64 s[30:31], vcc
	s_xor_b64 s[30:31], exec, s[30:31]
	s_cbranch_execnz .LBB288_323
; %bb.237:
	s_andn2_saveexec_b64 s[30:31], s[30:31]
	s_cbranch_execnz .LBB288_339
.LBB288_238:
	s_or_b64 exec, exec, s[30:31]
	s_and_b64 exec, exec, s[36:37]
	s_cbranch_execz .LBB288_240
.LBB288_239:
	v_sub_u32_e32 v10, v36, v8
	v_mov_b32_e32 v11, 0
	v_lshlrev_b64 v[10:11], 3, v[10:11]
	v_add_co_u32_e32 v10, vcc, v6, v10
	v_addc_co_u32_e32 v11, vcc, v7, v11, vcc
	global_store_dwordx2 v[10:11], v[2:3], off
.LBB288_240:
	s_or_b64 exec, exec, s[34:35]
	s_mov_b64 s[34:35], 0
.LBB288_241:
	s_and_b64 vcc, exec, s[34:35]
	s_cbranch_vccz .LBB288_251
; %bb.242:
	v_cmp_gt_i16_e32 vcc, 2, v9
	s_and_saveexec_b64 s[30:31], vcc
	s_cbranch_execz .LBB288_247
; %bb.243:
	v_cmp_ne_u16_e32 vcc, 1, v9
	s_mov_b64 s[36:37], 0
	s_and_saveexec_b64 s[34:35], vcc
	s_xor_b64 s[34:35], exec, s[34:35]
	s_cbranch_execnz .LBB288_340
; %bb.244:
	s_andn2_saveexec_b64 s[0:1], s[34:35]
	s_cbranch_execnz .LBB288_356
.LBB288_245:
	s_or_b64 exec, exec, s[0:1]
	s_and_b64 exec, exec, s[36:37]
	s_cbranch_execz .LBB288_247
.LBB288_246:
	v_sub_u32_e32 v8, v36, v8
	v_lshlrev_b32_e32 v8, 3, v8
	ds_write_b64 v8, v[2:3]
.LBB288_247:
	s_or_b64 exec, exec, s[30:31]
	v_cmp_lt_u32_e32 vcc, v0, v4
	s_waitcnt lgkmcnt(0)
	s_barrier
	s_and_saveexec_b64 s[0:1], vcc
	s_cbranch_execz .LBB288_250
; %bb.248:
	v_lshlrev_b32_e32 v8, 3, v0
	s_mov_b64 s[2:3], 0
	v_mov_b32_e32 v3, 0
	v_mov_b32_e32 v2, v0
.LBB288_249:                            ; =>This Inner Loop Header: Depth=1
	v_lshlrev_b64 v[10:11], 3, v[2:3]
	ds_read_b64 v[12:13], v8
	v_add_co_u32_e32 v10, vcc, v6, v10
	v_add_u32_e32 v2, 0x100, v2
	v_addc_co_u32_e32 v11, vcc, v7, v11, vcc
	v_cmp_ge_u32_e32 vcc, v2, v4
	v_add_u32_e32 v8, 0x800, v8
	s_or_b64 s[2:3], vcc, s[2:3]
	s_waitcnt lgkmcnt(0)
	global_store_dwordx2 v[10:11], v[12:13], off
	s_andn2_b64 exec, exec, s[2:3]
	s_cbranch_execnz .LBB288_249
.LBB288_250:
	s_or_b64 exec, exec, s[0:1]
.LBB288_251:
	s_movk_i32 s0, 0xff
	v_cmp_eq_u32_e32 vcc, s0, v0
	s_and_b64 s[0:1], vcc, s[44:45]
	s_and_saveexec_b64 s[2:3], s[0:1]
	s_cbranch_execz .LBB288_254
; %bb.252:
	v_add_co_u32_e32 v0, vcc, v62, v78
	v_addc_co_u32_e64 v3, s[0:1], 0, 0, vcc
	v_add_co_u32_e32 v2, vcc, v0, v30
	v_mov_b32_e32 v63, 0
	v_addc_co_u32_e32 v3, vcc, v3, v31, vcc
	s_cmpk_lg_i32 s33, 0xf00
	global_store_dwordx2 v63, v[2:3], s[62:63]
	s_cbranch_scc1 .LBB288_254
; %bb.253:
	v_lshlrev_b64 v[2:3], 3, v[62:63]
	v_add_co_u32_e32 v0, vcc, v1, v2
	v_addc_co_u32_e32 v1, vcc, v5, v3, vcc
	global_store_dwordx2 v[0:1], v[76:77], off offset:-8
.LBB288_254:
	s_endpgm
.LBB288_255:
                                        ; implicit-def: $sgpr8_sgpr9
                                        ; implicit-def: $vgpr1
                                        ; implicit-def: $vgpr63
                                        ; implicit-def: $vgpr110
                                        ; implicit-def: $vgpr65
                                        ; implicit-def: $vgpr64
                                        ; implicit-def: $vgpr67
                                        ; implicit-def: $vgpr66
                                        ; implicit-def: $vgpr69
                                        ; implicit-def: $vgpr68
                                        ; implicit-def: $vgpr71
                                        ; implicit-def: $vgpr70
                                        ; implicit-def: $vgpr73
                                        ; implicit-def: $vgpr72
                                        ; implicit-def: $vgpr75
	s_cbranch_execz .LBB288_113
.LBB288_256:
	v_mad_u32_u24 v62, v0, 15, 14
	v_mov_b32_e32 v63, 0
	v_lshlrev_b32_e32 v78, 3, v0
	s_waitcnt lgkmcnt(0)
	v_mul_u32_u24_e32 v76, 15, v0
	v_cmp_gt_u64_e32 vcc, s[6:7], v[62:63]
	v_mov_b32_e32 v1, 0
	ds_write_b64 v78, v[58:59]
	s_and_saveexec_b64 s[8:9], vcc
; %bb.257:
	s_mov_b32 s10, 0x66666667
	v_mul_hi_i32 v1, v4, s10
	v_lshrrev_b32_e32 v62, 31, v1
	v_ashrrev_i32_e32 v1, 2, v1
	v_add_u32_e32 v1, v1, v62
	v_mul_hi_i32 v62, v58, s10
	v_lshrrev_b32_e32 v64, 31, v62
	v_ashrrev_i32_e32 v62, 2, v62
	v_add_u32_e32 v62, v62, v64
	v_cmp_ne_u32_e32 vcc, v1, v62
	v_cndmask_b32_e64 v1, 0, 1, vcc
; %bb.258:
	s_or_b64 exec, exec, s[8:9]
	v_add_u32_e32 v62, 13, v76
	v_cmp_gt_u64_e32 vcc, s[6:7], v[62:63]
	s_and_saveexec_b64 s[8:9], vcc
; %bb.259:
	s_mov_b32 s10, 0x66666667
	v_mul_hi_i32 v62, v2, s10
	v_lshrrev_b32_e32 v63, 31, v62
	v_ashrrev_i32_e32 v62, 2, v62
	v_add_u32_e32 v62, v62, v63
	v_mul_hi_i32 v63, v4, s10
	v_lshrrev_b32_e32 v64, 31, v63
	v_ashrrev_i32_e32 v63, 2, v63
	v_add_u32_e32 v63, v63, v64
	v_cmp_ne_u32_e32 vcc, v62, v63
	v_cndmask_b32_e64 v63, 0, 1, vcc
; %bb.260:
	s_or_b64 exec, exec, s[8:9]
	v_add_u32_e32 v64, 12, v76
	v_mov_b32_e32 v65, 0
	v_cmp_gt_u64_e32 vcc, s[6:7], v[64:65]
	v_mov_b32_e32 v110, 0
	s_and_saveexec_b64 s[8:9], vcc
; %bb.261:
	s_mov_b32 s10, 0x66666667
	v_mul_hi_i32 v62, v8, s10
	v_lshrrev_b32_e32 v64, 31, v62
	v_ashrrev_i32_e32 v62, 2, v62
	v_add_u32_e32 v62, v62, v64
	v_mul_hi_i32 v64, v2, s10
	v_lshrrev_b32_e32 v66, 31, v64
	v_ashrrev_i32_e32 v64, 2, v64
	v_add_u32_e32 v64, v64, v66
	v_cmp_ne_u32_e32 vcc, v62, v64
	v_cndmask_b32_e64 v110, 0, 1, vcc
; %bb.262:
	s_or_b64 exec, exec, s[8:9]
	v_add_u32_e32 v64, 11, v76
	v_cmp_gt_u64_e32 vcc, s[6:7], v[64:65]
	s_and_saveexec_b64 s[8:9], vcc
; %bb.263:
	s_mov_b32 s10, 0x66666667
	v_mul_hi_i32 v62, v6, s10
	v_lshrrev_b32_e32 v64, 31, v62
	v_ashrrev_i32_e32 v62, 2, v62
	v_add_u32_e32 v62, v62, v64
	v_mul_hi_i32 v64, v8, s10
	v_lshrrev_b32_e32 v65, 31, v64
	v_ashrrev_i32_e32 v64, 2, v64
	v_add_u32_e32 v64, v64, v65
	v_cmp_ne_u32_e32 vcc, v62, v64
	v_cndmask_b32_e64 v65, 0, 1, vcc
; %bb.264:
	s_or_b64 exec, exec, s[8:9]
	v_add_u32_e32 v66, 10, v76
	v_mov_b32_e32 v67, 0
	v_cmp_gt_u64_e32 vcc, s[6:7], v[66:67]
	v_mov_b32_e32 v64, 0
	;; [unrolled: 36-line block ×6, first 2 shown]
	s_and_saveexec_b64 s[8:9], vcc
; %bb.281:
	s_mov_b32 s10, 0x66666667
	v_mul_hi_i32 v62, v28, s10
	v_lshrrev_b32_e32 v72, 31, v62
	v_ashrrev_i32_e32 v62, 2, v62
	v_add_u32_e32 v62, v62, v72
	v_mul_hi_i32 v72, v22, s10
	v_lshrrev_b32_e32 v74, 31, v72
	v_ashrrev_i32_e32 v72, 2, v72
	v_add_u32_e32 v72, v72, v74
	v_cmp_ne_u32_e32 vcc, v62, v72
	v_cndmask_b32_e64 v72, 0, 1, vcc
; %bb.282:
	s_or_b64 exec, exec, s[8:9]
	v_add_u32_e32 v74, 1, v76
	v_cmp_gt_u64_e32 vcc, s[6:7], v[74:75]
	s_and_saveexec_b64 s[8:9], vcc
; %bb.283:
	s_mov_b32 s10, 0x66666667
	v_mul_hi_i32 v62, v26, s10
	v_lshrrev_b32_e32 v74, 31, v62
	v_ashrrev_i32_e32 v62, 2, v62
	v_add_u32_e32 v62, v62, v74
	v_mul_hi_i32 v74, v28, s10
	v_lshrrev_b32_e32 v75, 31, v74
	v_ashrrev_i32_e32 v74, 2, v74
	v_add_u32_e32 v74, v74, v75
	v_cmp_ne_u32_e32 vcc, v62, v74
	v_cndmask_b32_e64 v75, 0, 1, vcc
; %bb.284:
	s_or_b64 exec, exec, s[8:9]
	s_waitcnt lgkmcnt(0)
	s_barrier
	s_waitcnt lgkmcnt(0)
                                        ; implicit-def: $sgpr8_sgpr9
	s_and_saveexec_b64 s[10:11], s[2:3]
	s_cbranch_execz .LBB288_288
; %bb.285:
	v_mov_b32_e32 v77, 0
	v_cmp_gt_u64_e32 vcc, s[6:7], v[76:77]
	s_mov_b64 s[6:7], 0
	s_and_saveexec_b64 s[2:3], vcc
	s_cbranch_execz .LBB288_287
; %bb.286:
	v_add_u32_e32 v62, -8, v78
	ds_read_b32 v62, v62
	s_mov_b32 s6, 0x66666667
	v_mul_hi_i32 v74, v26, s6
	v_lshrrev_b32_e32 v76, 31, v74
	v_ashrrev_i32_e32 v74, 2, v74
	s_waitcnt lgkmcnt(0)
	v_mul_hi_i32 v62, v62, s6
	v_lshrrev_b32_e32 v77, 31, v62
	v_ashrrev_i32_e32 v62, 2, v62
	v_add_u32_e32 v62, v62, v77
	v_add_u32_e32 v74, v74, v76
	v_cmp_ne_u32_e32 vcc, v62, v74
	s_and_b64 s[6:7], vcc, exec
.LBB288_287:
	s_or_b64 exec, exec, s[2:3]
	s_and_b64 s[8:9], s[6:7], exec
	s_or_b64 s[4:5], s[4:5], exec
.LBB288_288:
	s_or_b64 exec, exec, s[10:11]
	s_mov_b32 s10, 1
	v_mov_b32_e32 v74, s10
	s_and_saveexec_b64 s[2:3], s[4:5]
	s_cbranch_execnz .LBB288_115
	s_branch .LBB288_116
.LBB288_289:
	s_and_saveexec_b64 s[38:39], s[30:31]
	s_cbranch_execnz .LBB288_357
; %bb.290:
	s_or_b64 exec, exec, s[38:39]
	s_and_saveexec_b64 s[38:39], s[28:29]
	s_cbranch_execnz .LBB288_358
.LBB288_291:
	s_or_b64 exec, exec, s[38:39]
	s_and_saveexec_b64 s[38:39], s[26:27]
	s_cbranch_execnz .LBB288_359
.LBB288_292:
	s_or_b64 exec, exec, s[38:39]
	s_and_saveexec_b64 s[38:39], s[24:25]
	s_cbranch_execnz .LBB288_360
.LBB288_293:
	s_or_b64 exec, exec, s[38:39]
	s_and_saveexec_b64 s[38:39], s[22:23]
	s_cbranch_execnz .LBB288_361
.LBB288_294:
	s_or_b64 exec, exec, s[38:39]
	s_and_saveexec_b64 s[38:39], s[20:21]
	s_cbranch_execnz .LBB288_362
.LBB288_295:
	s_or_b64 exec, exec, s[38:39]
	s_and_saveexec_b64 s[38:39], s[18:19]
	s_cbranch_execnz .LBB288_363
.LBB288_296:
	s_or_b64 exec, exec, s[38:39]
	s_and_saveexec_b64 s[38:39], s[16:17]
	s_cbranch_execnz .LBB288_364
.LBB288_297:
	s_or_b64 exec, exec, s[38:39]
	s_and_saveexec_b64 s[38:39], s[14:15]
	s_cbranch_execnz .LBB288_365
.LBB288_298:
	s_or_b64 exec, exec, s[38:39]
	s_and_saveexec_b64 s[38:39], s[12:13]
	s_cbranch_execnz .LBB288_366
.LBB288_299:
	s_or_b64 exec, exec, s[38:39]
	s_and_saveexec_b64 s[38:39], s[10:11]
	s_cbranch_execnz .LBB288_367
.LBB288_300:
	s_or_b64 exec, exec, s[38:39]
	s_and_saveexec_b64 s[38:39], s[8:9]
	s_cbranch_execnz .LBB288_368
.LBB288_301:
	s_or_b64 exec, exec, s[38:39]
	s_and_saveexec_b64 s[38:39], s[6:7]
	s_cbranch_execnz .LBB288_369
.LBB288_302:
	s_or_b64 exec, exec, s[38:39]
	s_and_saveexec_b64 s[38:39], s[4:5]
	s_cbranch_execz .LBB288_304
.LBB288_303:
	v_sub_u32_e32 v54, v37, v78
	v_mov_b32_e32 v55, 0
	v_lshlrev_b64 v[54:55], 3, v[54:55]
	v_add_co_u32_e32 v54, vcc, v50, v54
	v_addc_co_u32_e32 v55, vcc, v51, v55, vcc
	global_store_dwordx2 v[54:55], v[4:5], off
.LBB288_304:
	s_or_b64 exec, exec, s[38:39]
	s_and_b64 s[38:39], s[2:3], exec
	s_andn2_saveexec_b64 s[34:35], s[34:35]
	s_cbranch_execz .LBB288_221
.LBB288_305:
	v_sub_u32_e32 v54, v111, v78
	v_mov_b32_e32 v55, 0
	v_lshlrev_b64 v[56:57], 3, v[54:55]
	v_add_co_u32_e32 v56, vcc, v50, v56
	v_addc_co_u32_e32 v57, vcc, v51, v57, vcc
	v_sub_u32_e32 v54, v49, v78
	global_store_dwordx2 v[56:57], v[26:27], off
	v_lshlrev_b64 v[56:57], 3, v[54:55]
	v_add_co_u32_e32 v56, vcc, v50, v56
	v_addc_co_u32_e32 v57, vcc, v51, v57, vcc
	v_sub_u32_e32 v54, v48, v78
	global_store_dwordx2 v[56:57], v[28:29], off
	;; [unrolled: 5-line block ×12, first 2 shown]
	v_lshlrev_b64 v[56:57], 3, v[54:55]
	v_add_co_u32_e32 v56, vcc, v50, v56
	v_sub_u32_e32 v54, v37, v78
	v_addc_co_u32_e32 v57, vcc, v51, v57, vcc
	v_lshlrev_b64 v[54:55], 3, v[54:55]
	v_add_co_u32_e32 v54, vcc, v50, v54
	v_addc_co_u32_e32 v55, vcc, v51, v55, vcc
	s_or_b64 s[38:39], s[38:39], exec
	global_store_dwordx2 v[56:57], v[2:3], off
	global_store_dwordx2 v[54:55], v[4:5], off
	s_or_b64 exec, exec, s[34:35]
	s_and_b64 exec, exec, s[38:39]
	s_cbranch_execnz .LBB288_222
	s_branch .LBB288_223
.LBB288_306:
	s_and_saveexec_b64 s[38:39], s[30:31]
	s_cbranch_execnz .LBB288_370
; %bb.307:
	s_or_b64 exec, exec, s[38:39]
	s_and_saveexec_b64 s[30:31], s[28:29]
	s_cbranch_execnz .LBB288_371
.LBB288_308:
	s_or_b64 exec, exec, s[30:31]
	s_and_saveexec_b64 s[28:29], s[26:27]
	s_cbranch_execnz .LBB288_372
.LBB288_309:
	s_or_b64 exec, exec, s[28:29]
	s_and_saveexec_b64 s[26:27], s[24:25]
	s_cbranch_execnz .LBB288_373
.LBB288_310:
	s_or_b64 exec, exec, s[26:27]
	s_and_saveexec_b64 s[24:25], s[22:23]
	s_cbranch_execnz .LBB288_374
.LBB288_311:
	s_or_b64 exec, exec, s[24:25]
	s_and_saveexec_b64 s[22:23], s[20:21]
	s_cbranch_execnz .LBB288_375
.LBB288_312:
	s_or_b64 exec, exec, s[22:23]
	s_and_saveexec_b64 s[20:21], s[18:19]
	s_cbranch_execnz .LBB288_376
.LBB288_313:
	s_or_b64 exec, exec, s[20:21]
	s_and_saveexec_b64 s[18:19], s[16:17]
	s_cbranch_execnz .LBB288_377
.LBB288_314:
	s_or_b64 exec, exec, s[18:19]
	s_and_saveexec_b64 s[16:17], s[14:15]
	s_cbranch_execnz .LBB288_378
.LBB288_315:
	s_or_b64 exec, exec, s[16:17]
	s_and_saveexec_b64 s[14:15], s[12:13]
	s_cbranch_execnz .LBB288_379
.LBB288_316:
	s_or_b64 exec, exec, s[14:15]
	s_and_saveexec_b64 s[12:13], s[10:11]
	s_cbranch_execnz .LBB288_380
.LBB288_317:
	s_or_b64 exec, exec, s[12:13]
	s_and_saveexec_b64 s[10:11], s[8:9]
	s_cbranch_execnz .LBB288_381
.LBB288_318:
	s_or_b64 exec, exec, s[10:11]
	s_and_saveexec_b64 s[8:9], s[6:7]
	s_cbranch_execnz .LBB288_382
.LBB288_319:
	s_or_b64 exec, exec, s[8:9]
	s_and_saveexec_b64 s[6:7], s[4:5]
	s_cbranch_execz .LBB288_321
.LBB288_320:
	v_sub_u32_e32 v2, v37, v78
	v_lshlrev_b32_e32 v2, 3, v2
	ds_write_b64 v2, v[4:5]
.LBB288_321:
	s_or_b64 exec, exec, s[6:7]
	s_and_b64 s[38:39], s[2:3], exec
                                        ; implicit-def: $vgpr26_vgpr27_vgpr28_vgpr29
                                        ; implicit-def: $vgpr22_vgpr23_vgpr24_vgpr25
                                        ; implicit-def: $vgpr18_vgpr19_vgpr20_vgpr21
                                        ; implicit-def: $vgpr14_vgpr15_vgpr16_vgpr17
                                        ; implicit-def: $vgpr10_vgpr11_vgpr12_vgpr13
                                        ; implicit-def: $vgpr6_vgpr7_vgpr8_vgpr9
                                        ; implicit-def: $vgpr2_vgpr3_vgpr4_vgpr5
	s_andn2_saveexec_b64 s[2:3], s[36:37]
	s_cbranch_execz .LBB288_228
.LBB288_322:
	v_sub_u32_e32 v52, v111, v78
	v_lshlrev_b32_e32 v52, 3, v52
	ds_write_b64 v52, v[26:27]
	v_sub_u32_e32 v26, v49, v78
	v_lshlrev_b32_e32 v26, 3, v26
	ds_write_b64 v26, v[28:29]
	;; [unrolled: 3-line block ×13, first 2 shown]
	v_sub_u32_e32 v2, v37, v78
	v_lshlrev_b32_e32 v2, 3, v2
	s_or_b64 s[38:39], s[38:39], exec
	ds_write_b64 v2, v[4:5]
	s_or_b64 exec, exec, s[2:3]
	s_and_b64 exec, exec, s[38:39]
	s_cbranch_execnz .LBB288_229
	s_branch .LBB288_230
.LBB288_323:
	s_and_saveexec_b64 s[36:37], s[28:29]
	s_cbranch_execnz .LBB288_383
; %bb.324:
	s_or_b64 exec, exec, s[36:37]
	s_and_saveexec_b64 s[36:37], s[26:27]
	s_cbranch_execnz .LBB288_384
.LBB288_325:
	s_or_b64 exec, exec, s[36:37]
	s_and_saveexec_b64 s[36:37], s[24:25]
	s_cbranch_execnz .LBB288_385
.LBB288_326:
	s_or_b64 exec, exec, s[36:37]
	s_and_saveexec_b64 s[36:37], s[22:23]
	s_cbranch_execnz .LBB288_386
.LBB288_327:
	s_or_b64 exec, exec, s[36:37]
	s_and_saveexec_b64 s[36:37], s[20:21]
	s_cbranch_execnz .LBB288_387
.LBB288_328:
	s_or_b64 exec, exec, s[36:37]
	s_and_saveexec_b64 s[36:37], s[18:19]
	s_cbranch_execnz .LBB288_388
.LBB288_329:
	s_or_b64 exec, exec, s[36:37]
	s_and_saveexec_b64 s[36:37], s[16:17]
	s_cbranch_execnz .LBB288_389
.LBB288_330:
	s_or_b64 exec, exec, s[36:37]
	s_and_saveexec_b64 s[36:37], s[14:15]
	s_cbranch_execnz .LBB288_390
.LBB288_331:
	s_or_b64 exec, exec, s[36:37]
	s_and_saveexec_b64 s[36:37], s[12:13]
	s_cbranch_execnz .LBB288_391
.LBB288_332:
	s_or_b64 exec, exec, s[36:37]
	s_and_saveexec_b64 s[36:37], s[10:11]
	s_cbranch_execnz .LBB288_392
.LBB288_333:
	s_or_b64 exec, exec, s[36:37]
	s_and_saveexec_b64 s[36:37], s[8:9]
	s_cbranch_execnz .LBB288_393
.LBB288_334:
	s_or_b64 exec, exec, s[36:37]
	s_and_saveexec_b64 s[36:37], s[6:7]
	s_cbranch_execnz .LBB288_394
.LBB288_335:
	s_or_b64 exec, exec, s[36:37]
	s_and_saveexec_b64 s[36:37], s[4:5]
	s_cbranch_execnz .LBB288_395
.LBB288_336:
	s_or_b64 exec, exec, s[36:37]
	s_and_saveexec_b64 s[36:37], s[2:3]
	s_cbranch_execz .LBB288_338
.LBB288_337:
	v_sub_u32_e32 v10, v37, v8
	v_mov_b32_e32 v11, 0
	v_lshlrev_b64 v[10:11], 3, v[10:11]
	v_add_co_u32_e32 v10, vcc, v6, v10
	v_addc_co_u32_e32 v11, vcc, v7, v11, vcc
	global_store_dwordx2 v[10:11], v[106:107], off
.LBB288_338:
	s_or_b64 exec, exec, s[36:37]
	s_and_b64 s[36:37], s[0:1], exec
	s_andn2_saveexec_b64 s[30:31], s[30:31]
	s_cbranch_execz .LBB288_238
.LBB288_339:
	v_sub_u32_e32 v10, v111, v8
	v_mov_b32_e32 v11, 0
	v_lshlrev_b64 v[12:13], 3, v[10:11]
	v_add_co_u32_e32 v12, vcc, v6, v12
	v_addc_co_u32_e32 v13, vcc, v7, v13, vcc
	v_sub_u32_e32 v10, v49, v8
	global_store_dwordx2 v[12:13], v[104:105], off
	v_lshlrev_b64 v[12:13], 3, v[10:11]
	v_add_co_u32_e32 v12, vcc, v6, v12
	v_addc_co_u32_e32 v13, vcc, v7, v13, vcc
	v_sub_u32_e32 v10, v48, v8
	global_store_dwordx2 v[12:13], v[80:81], off
	v_lshlrev_b64 v[12:13], 3, v[10:11]
	v_add_co_u32_e32 v12, vcc, v6, v12
	v_addc_co_u32_e32 v13, vcc, v7, v13, vcc
	v_sub_u32_e32 v10, v47, v8
	global_store_dwordx2 v[12:13], v[82:83], off
	v_lshlrev_b64 v[12:13], 3, v[10:11]
	v_add_co_u32_e32 v12, vcc, v6, v12
	v_addc_co_u32_e32 v13, vcc, v7, v13, vcc
	v_sub_u32_e32 v10, v46, v8
	global_store_dwordx2 v[12:13], v[84:85], off
	v_lshlrev_b64 v[12:13], 3, v[10:11]
	v_add_co_u32_e32 v12, vcc, v6, v12
	v_addc_co_u32_e32 v13, vcc, v7, v13, vcc
	v_sub_u32_e32 v10, v45, v8
	global_store_dwordx2 v[12:13], v[86:87], off
	v_lshlrev_b64 v[12:13], 3, v[10:11]
	v_add_co_u32_e32 v12, vcc, v6, v12
	v_addc_co_u32_e32 v13, vcc, v7, v13, vcc
	v_sub_u32_e32 v10, v44, v8
	global_store_dwordx2 v[12:13], v[88:89], off
	v_lshlrev_b64 v[12:13], 3, v[10:11]
	v_add_co_u32_e32 v12, vcc, v6, v12
	v_addc_co_u32_e32 v13, vcc, v7, v13, vcc
	v_sub_u32_e32 v10, v43, v8
	global_store_dwordx2 v[12:13], v[90:91], off
	v_lshlrev_b64 v[12:13], 3, v[10:11]
	v_add_co_u32_e32 v12, vcc, v6, v12
	v_addc_co_u32_e32 v13, vcc, v7, v13, vcc
	v_sub_u32_e32 v10, v42, v8
	global_store_dwordx2 v[12:13], v[92:93], off
	v_lshlrev_b64 v[12:13], 3, v[10:11]
	v_add_co_u32_e32 v12, vcc, v6, v12
	v_addc_co_u32_e32 v13, vcc, v7, v13, vcc
	v_sub_u32_e32 v10, v41, v8
	global_store_dwordx2 v[12:13], v[94:95], off
	v_lshlrev_b64 v[12:13], 3, v[10:11]
	v_add_co_u32_e32 v12, vcc, v6, v12
	v_addc_co_u32_e32 v13, vcc, v7, v13, vcc
	v_sub_u32_e32 v10, v40, v8
	global_store_dwordx2 v[12:13], v[96:97], off
	v_lshlrev_b64 v[12:13], 3, v[10:11]
	v_add_co_u32_e32 v12, vcc, v6, v12
	v_addc_co_u32_e32 v13, vcc, v7, v13, vcc
	v_sub_u32_e32 v10, v39, v8
	global_store_dwordx2 v[12:13], v[98:99], off
	v_lshlrev_b64 v[12:13], 3, v[10:11]
	v_add_co_u32_e32 v12, vcc, v6, v12
	v_addc_co_u32_e32 v13, vcc, v7, v13, vcc
	v_sub_u32_e32 v10, v38, v8
	global_store_dwordx2 v[12:13], v[100:101], off
	v_lshlrev_b64 v[12:13], 3, v[10:11]
	v_add_co_u32_e32 v12, vcc, v6, v12
	v_sub_u32_e32 v10, v37, v8
	v_addc_co_u32_e32 v13, vcc, v7, v13, vcc
	v_lshlrev_b64 v[10:11], 3, v[10:11]
	v_add_co_u32_e32 v10, vcc, v6, v10
	v_addc_co_u32_e32 v11, vcc, v7, v11, vcc
	s_or_b64 s[36:37], s[36:37], exec
	global_store_dwordx2 v[12:13], v[102:103], off
	global_store_dwordx2 v[10:11], v[106:107], off
	s_or_b64 exec, exec, s[30:31]
	s_and_b64 exec, exec, s[36:37]
	s_cbranch_execnz .LBB288_239
	s_branch .LBB288_240
.LBB288_340:
	s_and_saveexec_b64 s[36:37], s[28:29]
	s_cbranch_execnz .LBB288_396
; %bb.341:
	s_or_b64 exec, exec, s[36:37]
	s_and_saveexec_b64 s[28:29], s[26:27]
	s_cbranch_execnz .LBB288_397
.LBB288_342:
	s_or_b64 exec, exec, s[28:29]
	s_and_saveexec_b64 s[26:27], s[24:25]
	s_cbranch_execnz .LBB288_398
.LBB288_343:
	s_or_b64 exec, exec, s[26:27]
	s_and_saveexec_b64 s[24:25], s[22:23]
	s_cbranch_execnz .LBB288_399
.LBB288_344:
	s_or_b64 exec, exec, s[24:25]
	s_and_saveexec_b64 s[22:23], s[20:21]
	s_cbranch_execnz .LBB288_400
.LBB288_345:
	s_or_b64 exec, exec, s[22:23]
	s_and_saveexec_b64 s[20:21], s[18:19]
	s_cbranch_execnz .LBB288_401
.LBB288_346:
	s_or_b64 exec, exec, s[20:21]
	s_and_saveexec_b64 s[18:19], s[16:17]
	s_cbranch_execnz .LBB288_402
.LBB288_347:
	s_or_b64 exec, exec, s[18:19]
	s_and_saveexec_b64 s[16:17], s[14:15]
	s_cbranch_execnz .LBB288_403
.LBB288_348:
	s_or_b64 exec, exec, s[16:17]
	s_and_saveexec_b64 s[14:15], s[12:13]
	s_cbranch_execnz .LBB288_404
.LBB288_349:
	s_or_b64 exec, exec, s[14:15]
	s_and_saveexec_b64 s[12:13], s[10:11]
	s_cbranch_execnz .LBB288_405
.LBB288_350:
	s_or_b64 exec, exec, s[12:13]
	s_and_saveexec_b64 s[10:11], s[8:9]
	s_cbranch_execnz .LBB288_406
.LBB288_351:
	s_or_b64 exec, exec, s[10:11]
	s_and_saveexec_b64 s[8:9], s[6:7]
	s_cbranch_execnz .LBB288_407
.LBB288_352:
	s_or_b64 exec, exec, s[8:9]
	s_and_saveexec_b64 s[6:7], s[4:5]
	s_cbranch_execnz .LBB288_408
.LBB288_353:
	s_or_b64 exec, exec, s[6:7]
	s_and_saveexec_b64 s[4:5], s[2:3]
	s_cbranch_execz .LBB288_355
.LBB288_354:
	v_sub_u32_e32 v9, v37, v8
	v_lshlrev_b32_e32 v9, 3, v9
	ds_write_b64 v9, v[106:107]
.LBB288_355:
	s_or_b64 exec, exec, s[4:5]
	s_and_b64 s[36:37], s[0:1], exec
                                        ; implicit-def: $vgpr104_vgpr105
                                        ; implicit-def: $vgpr80_vgpr81
                                        ; implicit-def: $vgpr82_vgpr83
                                        ; implicit-def: $vgpr84_vgpr85
                                        ; implicit-def: $vgpr86_vgpr87
                                        ; implicit-def: $vgpr88_vgpr89
                                        ; implicit-def: $vgpr90_vgpr91
                                        ; implicit-def: $vgpr92_vgpr93
                                        ; implicit-def: $vgpr94_vgpr95
                                        ; implicit-def: $vgpr96_vgpr97
                                        ; implicit-def: $vgpr98_vgpr99
                                        ; implicit-def: $vgpr100_vgpr101
                                        ; implicit-def: $vgpr102_vgpr103
                                        ; implicit-def: $vgpr106_vgpr107
                                        ; implicit-def: $vgpr111
                                        ; implicit-def: $vgpr49
                                        ; implicit-def: $vgpr48
                                        ; implicit-def: $vgpr47
                                        ; implicit-def: $vgpr46
                                        ; implicit-def: $vgpr45
                                        ; implicit-def: $vgpr44
                                        ; implicit-def: $vgpr43
                                        ; implicit-def: $vgpr42
                                        ; implicit-def: $vgpr41
                                        ; implicit-def: $vgpr40
                                        ; implicit-def: $vgpr39
                                        ; implicit-def: $vgpr38
                                        ; implicit-def: $vgpr37
	s_andn2_saveexec_b64 s[0:1], s[34:35]
	s_cbranch_execz .LBB288_245
.LBB288_356:
	v_sub_u32_e32 v9, v111, v8
	v_lshlrev_b32_e32 v9, 3, v9
	ds_write_b64 v9, v[104:105]
	v_sub_u32_e32 v9, v49, v8
	v_lshlrev_b32_e32 v9, 3, v9
	ds_write_b64 v9, v[80:81]
	;; [unrolled: 3-line block ×13, first 2 shown]
	v_sub_u32_e32 v9, v37, v8
	v_lshlrev_b32_e32 v9, 3, v9
	s_or_b64 s[36:37], s[36:37], exec
	ds_write_b64 v9, v[106:107]
	s_or_b64 exec, exec, s[0:1]
	s_and_b64 exec, exec, s[36:37]
	s_cbranch_execnz .LBB288_246
	s_branch .LBB288_247
.LBB288_357:
	v_sub_u32_e32 v54, v111, v78
	v_mov_b32_e32 v55, 0
	v_lshlrev_b64 v[54:55], 3, v[54:55]
	v_add_co_u32_e32 v54, vcc, v50, v54
	v_addc_co_u32_e32 v55, vcc, v51, v55, vcc
	global_store_dwordx2 v[54:55], v[26:27], off
	s_or_b64 exec, exec, s[38:39]
	s_and_saveexec_b64 s[38:39], s[28:29]
	s_cbranch_execz .LBB288_291
.LBB288_358:
	v_sub_u32_e32 v54, v49, v78
	v_mov_b32_e32 v55, 0
	v_lshlrev_b64 v[54:55], 3, v[54:55]
	v_add_co_u32_e32 v54, vcc, v50, v54
	v_addc_co_u32_e32 v55, vcc, v51, v55, vcc
	global_store_dwordx2 v[54:55], v[28:29], off
	s_or_b64 exec, exec, s[38:39]
	s_and_saveexec_b64 s[38:39], s[26:27]
	s_cbranch_execz .LBB288_292
.LBB288_359:
	v_sub_u32_e32 v54, v48, v78
	v_mov_b32_e32 v55, 0
	v_lshlrev_b64 v[54:55], 3, v[54:55]
	v_add_co_u32_e32 v54, vcc, v50, v54
	v_addc_co_u32_e32 v55, vcc, v51, v55, vcc
	global_store_dwordx2 v[54:55], v[22:23], off
	s_or_b64 exec, exec, s[38:39]
	s_and_saveexec_b64 s[38:39], s[24:25]
	s_cbranch_execz .LBB288_293
.LBB288_360:
	v_sub_u32_e32 v54, v47, v78
	v_mov_b32_e32 v55, 0
	v_lshlrev_b64 v[54:55], 3, v[54:55]
	v_add_co_u32_e32 v54, vcc, v50, v54
	v_addc_co_u32_e32 v55, vcc, v51, v55, vcc
	global_store_dwordx2 v[54:55], v[24:25], off
	s_or_b64 exec, exec, s[38:39]
	s_and_saveexec_b64 s[38:39], s[22:23]
	s_cbranch_execz .LBB288_294
.LBB288_361:
	v_sub_u32_e32 v54, v46, v78
	v_mov_b32_e32 v55, 0
	v_lshlrev_b64 v[54:55], 3, v[54:55]
	v_add_co_u32_e32 v54, vcc, v50, v54
	v_addc_co_u32_e32 v55, vcc, v51, v55, vcc
	global_store_dwordx2 v[54:55], v[18:19], off
	s_or_b64 exec, exec, s[38:39]
	s_and_saveexec_b64 s[38:39], s[20:21]
	s_cbranch_execz .LBB288_295
.LBB288_362:
	v_sub_u32_e32 v54, v45, v78
	v_mov_b32_e32 v55, 0
	v_lshlrev_b64 v[54:55], 3, v[54:55]
	v_add_co_u32_e32 v54, vcc, v50, v54
	v_addc_co_u32_e32 v55, vcc, v51, v55, vcc
	global_store_dwordx2 v[54:55], v[20:21], off
	s_or_b64 exec, exec, s[38:39]
	s_and_saveexec_b64 s[38:39], s[18:19]
	s_cbranch_execz .LBB288_296
.LBB288_363:
	v_sub_u32_e32 v54, v44, v78
	v_mov_b32_e32 v55, 0
	v_lshlrev_b64 v[54:55], 3, v[54:55]
	v_add_co_u32_e32 v54, vcc, v50, v54
	v_addc_co_u32_e32 v55, vcc, v51, v55, vcc
	global_store_dwordx2 v[54:55], v[14:15], off
	s_or_b64 exec, exec, s[38:39]
	s_and_saveexec_b64 s[38:39], s[16:17]
	s_cbranch_execz .LBB288_297
.LBB288_364:
	v_sub_u32_e32 v54, v43, v78
	v_mov_b32_e32 v55, 0
	v_lshlrev_b64 v[54:55], 3, v[54:55]
	v_add_co_u32_e32 v54, vcc, v50, v54
	v_addc_co_u32_e32 v55, vcc, v51, v55, vcc
	global_store_dwordx2 v[54:55], v[16:17], off
	s_or_b64 exec, exec, s[38:39]
	s_and_saveexec_b64 s[38:39], s[14:15]
	s_cbranch_execz .LBB288_298
.LBB288_365:
	v_sub_u32_e32 v54, v42, v78
	v_mov_b32_e32 v55, 0
	v_lshlrev_b64 v[54:55], 3, v[54:55]
	v_add_co_u32_e32 v54, vcc, v50, v54
	v_addc_co_u32_e32 v55, vcc, v51, v55, vcc
	global_store_dwordx2 v[54:55], v[10:11], off
	s_or_b64 exec, exec, s[38:39]
	s_and_saveexec_b64 s[38:39], s[12:13]
	s_cbranch_execz .LBB288_299
.LBB288_366:
	v_sub_u32_e32 v54, v41, v78
	v_mov_b32_e32 v55, 0
	v_lshlrev_b64 v[54:55], 3, v[54:55]
	v_add_co_u32_e32 v54, vcc, v50, v54
	v_addc_co_u32_e32 v55, vcc, v51, v55, vcc
	global_store_dwordx2 v[54:55], v[12:13], off
	s_or_b64 exec, exec, s[38:39]
	s_and_saveexec_b64 s[38:39], s[10:11]
	s_cbranch_execz .LBB288_300
.LBB288_367:
	v_sub_u32_e32 v54, v40, v78
	v_mov_b32_e32 v55, 0
	v_lshlrev_b64 v[54:55], 3, v[54:55]
	v_add_co_u32_e32 v54, vcc, v50, v54
	v_addc_co_u32_e32 v55, vcc, v51, v55, vcc
	global_store_dwordx2 v[54:55], v[6:7], off
	s_or_b64 exec, exec, s[38:39]
	s_and_saveexec_b64 s[38:39], s[8:9]
	s_cbranch_execz .LBB288_301
.LBB288_368:
	v_sub_u32_e32 v54, v39, v78
	v_mov_b32_e32 v55, 0
	v_lshlrev_b64 v[54:55], 3, v[54:55]
	v_add_co_u32_e32 v54, vcc, v50, v54
	v_addc_co_u32_e32 v55, vcc, v51, v55, vcc
	global_store_dwordx2 v[54:55], v[8:9], off
	s_or_b64 exec, exec, s[38:39]
	s_and_saveexec_b64 s[38:39], s[6:7]
	s_cbranch_execz .LBB288_302
.LBB288_369:
	v_sub_u32_e32 v54, v38, v78
	v_mov_b32_e32 v55, 0
	v_lshlrev_b64 v[54:55], 3, v[54:55]
	v_add_co_u32_e32 v54, vcc, v50, v54
	v_addc_co_u32_e32 v55, vcc, v51, v55, vcc
	global_store_dwordx2 v[54:55], v[2:3], off
	s_or_b64 exec, exec, s[38:39]
	s_and_saveexec_b64 s[38:39], s[4:5]
	s_cbranch_execnz .LBB288_303
	s_branch .LBB288_304
.LBB288_370:
	v_sub_u32_e32 v52, v111, v78
	v_lshlrev_b32_e32 v52, 3, v52
	ds_write_b64 v52, v[26:27]
	s_or_b64 exec, exec, s[38:39]
	s_and_saveexec_b64 s[30:31], s[28:29]
	s_cbranch_execz .LBB288_308
.LBB288_371:
	v_sub_u32_e32 v26, v49, v78
	v_lshlrev_b32_e32 v26, 3, v26
	ds_write_b64 v26, v[28:29]
	s_or_b64 exec, exec, s[30:31]
	s_and_saveexec_b64 s[28:29], s[26:27]
	s_cbranch_execz .LBB288_309
.LBB288_372:
	v_sub_u32_e32 v26, v48, v78
	v_lshlrev_b32_e32 v26, 3, v26
	ds_write_b64 v26, v[22:23]
	s_or_b64 exec, exec, s[28:29]
	s_and_saveexec_b64 s[26:27], s[24:25]
	s_cbranch_execz .LBB288_310
.LBB288_373:
	v_sub_u32_e32 v22, v47, v78
	v_lshlrev_b32_e32 v22, 3, v22
	ds_write_b64 v22, v[24:25]
	s_or_b64 exec, exec, s[26:27]
	s_and_saveexec_b64 s[24:25], s[22:23]
	s_cbranch_execz .LBB288_311
.LBB288_374:
	v_sub_u32_e32 v22, v46, v78
	v_lshlrev_b32_e32 v22, 3, v22
	ds_write_b64 v22, v[18:19]
	s_or_b64 exec, exec, s[24:25]
	s_and_saveexec_b64 s[22:23], s[20:21]
	s_cbranch_execz .LBB288_312
.LBB288_375:
	v_sub_u32_e32 v18, v45, v78
	v_lshlrev_b32_e32 v18, 3, v18
	ds_write_b64 v18, v[20:21]
	s_or_b64 exec, exec, s[22:23]
	s_and_saveexec_b64 s[20:21], s[18:19]
	s_cbranch_execz .LBB288_313
.LBB288_376:
	v_sub_u32_e32 v18, v44, v78
	v_lshlrev_b32_e32 v18, 3, v18
	ds_write_b64 v18, v[14:15]
	s_or_b64 exec, exec, s[20:21]
	s_and_saveexec_b64 s[18:19], s[16:17]
	s_cbranch_execz .LBB288_314
.LBB288_377:
	v_sub_u32_e32 v14, v43, v78
	v_lshlrev_b32_e32 v14, 3, v14
	ds_write_b64 v14, v[16:17]
	s_or_b64 exec, exec, s[18:19]
	s_and_saveexec_b64 s[16:17], s[14:15]
	s_cbranch_execz .LBB288_315
.LBB288_378:
	v_sub_u32_e32 v14, v42, v78
	v_lshlrev_b32_e32 v14, 3, v14
	ds_write_b64 v14, v[10:11]
	s_or_b64 exec, exec, s[16:17]
	s_and_saveexec_b64 s[14:15], s[12:13]
	s_cbranch_execz .LBB288_316
.LBB288_379:
	v_sub_u32_e32 v10, v41, v78
	v_lshlrev_b32_e32 v10, 3, v10
	ds_write_b64 v10, v[12:13]
	s_or_b64 exec, exec, s[14:15]
	s_and_saveexec_b64 s[12:13], s[10:11]
	s_cbranch_execz .LBB288_317
.LBB288_380:
	v_sub_u32_e32 v10, v40, v78
	v_lshlrev_b32_e32 v10, 3, v10
	ds_write_b64 v10, v[6:7]
	s_or_b64 exec, exec, s[12:13]
	s_and_saveexec_b64 s[10:11], s[8:9]
	s_cbranch_execz .LBB288_318
.LBB288_381:
	v_sub_u32_e32 v6, v39, v78
	v_lshlrev_b32_e32 v6, 3, v6
	ds_write_b64 v6, v[8:9]
	s_or_b64 exec, exec, s[10:11]
	s_and_saveexec_b64 s[8:9], s[6:7]
	s_cbranch_execz .LBB288_319
.LBB288_382:
	v_sub_u32_e32 v6, v38, v78
	v_lshlrev_b32_e32 v6, 3, v6
	ds_write_b64 v6, v[2:3]
	s_or_b64 exec, exec, s[8:9]
	s_and_saveexec_b64 s[6:7], s[4:5]
	s_cbranch_execnz .LBB288_320
	s_branch .LBB288_321
.LBB288_383:
	v_sub_u32_e32 v10, v111, v8
	v_mov_b32_e32 v11, 0
	v_lshlrev_b64 v[10:11], 3, v[10:11]
	v_add_co_u32_e32 v10, vcc, v6, v10
	v_addc_co_u32_e32 v11, vcc, v7, v11, vcc
	global_store_dwordx2 v[10:11], v[104:105], off
	s_or_b64 exec, exec, s[36:37]
	s_and_saveexec_b64 s[36:37], s[26:27]
	s_cbranch_execz .LBB288_325
.LBB288_384:
	v_sub_u32_e32 v10, v49, v8
	v_mov_b32_e32 v11, 0
	v_lshlrev_b64 v[10:11], 3, v[10:11]
	v_add_co_u32_e32 v10, vcc, v6, v10
	v_addc_co_u32_e32 v11, vcc, v7, v11, vcc
	global_store_dwordx2 v[10:11], v[80:81], off
	s_or_b64 exec, exec, s[36:37]
	s_and_saveexec_b64 s[36:37], s[24:25]
	s_cbranch_execz .LBB288_326
.LBB288_385:
	v_sub_u32_e32 v10, v48, v8
	v_mov_b32_e32 v11, 0
	v_lshlrev_b64 v[10:11], 3, v[10:11]
	v_add_co_u32_e32 v10, vcc, v6, v10
	v_addc_co_u32_e32 v11, vcc, v7, v11, vcc
	global_store_dwordx2 v[10:11], v[82:83], off
	s_or_b64 exec, exec, s[36:37]
	s_and_saveexec_b64 s[36:37], s[22:23]
	s_cbranch_execz .LBB288_327
.LBB288_386:
	v_sub_u32_e32 v10, v47, v8
	v_mov_b32_e32 v11, 0
	v_lshlrev_b64 v[10:11], 3, v[10:11]
	v_add_co_u32_e32 v10, vcc, v6, v10
	v_addc_co_u32_e32 v11, vcc, v7, v11, vcc
	global_store_dwordx2 v[10:11], v[84:85], off
	s_or_b64 exec, exec, s[36:37]
	s_and_saveexec_b64 s[36:37], s[20:21]
	s_cbranch_execz .LBB288_328
.LBB288_387:
	v_sub_u32_e32 v10, v46, v8
	v_mov_b32_e32 v11, 0
	v_lshlrev_b64 v[10:11], 3, v[10:11]
	v_add_co_u32_e32 v10, vcc, v6, v10
	v_addc_co_u32_e32 v11, vcc, v7, v11, vcc
	global_store_dwordx2 v[10:11], v[86:87], off
	s_or_b64 exec, exec, s[36:37]
	s_and_saveexec_b64 s[36:37], s[18:19]
	s_cbranch_execz .LBB288_329
.LBB288_388:
	v_sub_u32_e32 v10, v45, v8
	v_mov_b32_e32 v11, 0
	v_lshlrev_b64 v[10:11], 3, v[10:11]
	v_add_co_u32_e32 v10, vcc, v6, v10
	v_addc_co_u32_e32 v11, vcc, v7, v11, vcc
	global_store_dwordx2 v[10:11], v[88:89], off
	s_or_b64 exec, exec, s[36:37]
	s_and_saveexec_b64 s[36:37], s[16:17]
	s_cbranch_execz .LBB288_330
.LBB288_389:
	v_sub_u32_e32 v10, v44, v8
	v_mov_b32_e32 v11, 0
	v_lshlrev_b64 v[10:11], 3, v[10:11]
	v_add_co_u32_e32 v10, vcc, v6, v10
	v_addc_co_u32_e32 v11, vcc, v7, v11, vcc
	global_store_dwordx2 v[10:11], v[90:91], off
	s_or_b64 exec, exec, s[36:37]
	s_and_saveexec_b64 s[36:37], s[14:15]
	s_cbranch_execz .LBB288_331
.LBB288_390:
	v_sub_u32_e32 v10, v43, v8
	v_mov_b32_e32 v11, 0
	v_lshlrev_b64 v[10:11], 3, v[10:11]
	v_add_co_u32_e32 v10, vcc, v6, v10
	v_addc_co_u32_e32 v11, vcc, v7, v11, vcc
	global_store_dwordx2 v[10:11], v[92:93], off
	s_or_b64 exec, exec, s[36:37]
	s_and_saveexec_b64 s[36:37], s[12:13]
	s_cbranch_execz .LBB288_332
.LBB288_391:
	v_sub_u32_e32 v10, v42, v8
	v_mov_b32_e32 v11, 0
	v_lshlrev_b64 v[10:11], 3, v[10:11]
	v_add_co_u32_e32 v10, vcc, v6, v10
	v_addc_co_u32_e32 v11, vcc, v7, v11, vcc
	global_store_dwordx2 v[10:11], v[94:95], off
	s_or_b64 exec, exec, s[36:37]
	s_and_saveexec_b64 s[36:37], s[10:11]
	s_cbranch_execz .LBB288_333
.LBB288_392:
	v_sub_u32_e32 v10, v41, v8
	v_mov_b32_e32 v11, 0
	v_lshlrev_b64 v[10:11], 3, v[10:11]
	v_add_co_u32_e32 v10, vcc, v6, v10
	v_addc_co_u32_e32 v11, vcc, v7, v11, vcc
	global_store_dwordx2 v[10:11], v[96:97], off
	s_or_b64 exec, exec, s[36:37]
	s_and_saveexec_b64 s[36:37], s[8:9]
	s_cbranch_execz .LBB288_334
.LBB288_393:
	v_sub_u32_e32 v10, v40, v8
	v_mov_b32_e32 v11, 0
	v_lshlrev_b64 v[10:11], 3, v[10:11]
	v_add_co_u32_e32 v10, vcc, v6, v10
	v_addc_co_u32_e32 v11, vcc, v7, v11, vcc
	global_store_dwordx2 v[10:11], v[98:99], off
	s_or_b64 exec, exec, s[36:37]
	s_and_saveexec_b64 s[36:37], s[6:7]
	s_cbranch_execz .LBB288_335
.LBB288_394:
	v_sub_u32_e32 v10, v39, v8
	v_mov_b32_e32 v11, 0
	v_lshlrev_b64 v[10:11], 3, v[10:11]
	v_add_co_u32_e32 v10, vcc, v6, v10
	v_addc_co_u32_e32 v11, vcc, v7, v11, vcc
	global_store_dwordx2 v[10:11], v[100:101], off
	s_or_b64 exec, exec, s[36:37]
	s_and_saveexec_b64 s[36:37], s[4:5]
	s_cbranch_execz .LBB288_336
.LBB288_395:
	v_sub_u32_e32 v10, v38, v8
	v_mov_b32_e32 v11, 0
	v_lshlrev_b64 v[10:11], 3, v[10:11]
	v_add_co_u32_e32 v10, vcc, v6, v10
	v_addc_co_u32_e32 v11, vcc, v7, v11, vcc
	global_store_dwordx2 v[10:11], v[102:103], off
	s_or_b64 exec, exec, s[36:37]
	s_and_saveexec_b64 s[36:37], s[2:3]
	s_cbranch_execnz .LBB288_337
	s_branch .LBB288_338
.LBB288_396:
	v_sub_u32_e32 v9, v111, v8
	v_lshlrev_b32_e32 v9, 3, v9
	ds_write_b64 v9, v[104:105]
	s_or_b64 exec, exec, s[36:37]
	s_and_saveexec_b64 s[28:29], s[26:27]
	s_cbranch_execz .LBB288_342
.LBB288_397:
	v_sub_u32_e32 v9, v49, v8
	v_lshlrev_b32_e32 v9, 3, v9
	ds_write_b64 v9, v[80:81]
	s_or_b64 exec, exec, s[28:29]
	s_and_saveexec_b64 s[26:27], s[24:25]
	s_cbranch_execz .LBB288_343
.LBB288_398:
	v_sub_u32_e32 v9, v48, v8
	v_lshlrev_b32_e32 v9, 3, v9
	ds_write_b64 v9, v[82:83]
	s_or_b64 exec, exec, s[26:27]
	s_and_saveexec_b64 s[24:25], s[22:23]
	s_cbranch_execz .LBB288_344
.LBB288_399:
	v_sub_u32_e32 v9, v47, v8
	v_lshlrev_b32_e32 v9, 3, v9
	ds_write_b64 v9, v[84:85]
	s_or_b64 exec, exec, s[24:25]
	s_and_saveexec_b64 s[22:23], s[20:21]
	s_cbranch_execz .LBB288_345
.LBB288_400:
	v_sub_u32_e32 v9, v46, v8
	v_lshlrev_b32_e32 v9, 3, v9
	ds_write_b64 v9, v[86:87]
	s_or_b64 exec, exec, s[22:23]
	s_and_saveexec_b64 s[20:21], s[18:19]
	s_cbranch_execz .LBB288_346
.LBB288_401:
	v_sub_u32_e32 v9, v45, v8
	v_lshlrev_b32_e32 v9, 3, v9
	ds_write_b64 v9, v[88:89]
	s_or_b64 exec, exec, s[20:21]
	s_and_saveexec_b64 s[18:19], s[16:17]
	s_cbranch_execz .LBB288_347
.LBB288_402:
	v_sub_u32_e32 v9, v44, v8
	v_lshlrev_b32_e32 v9, 3, v9
	ds_write_b64 v9, v[90:91]
	s_or_b64 exec, exec, s[18:19]
	s_and_saveexec_b64 s[16:17], s[14:15]
	s_cbranch_execz .LBB288_348
.LBB288_403:
	v_sub_u32_e32 v9, v43, v8
	v_lshlrev_b32_e32 v9, 3, v9
	ds_write_b64 v9, v[92:93]
	s_or_b64 exec, exec, s[16:17]
	s_and_saveexec_b64 s[14:15], s[12:13]
	s_cbranch_execz .LBB288_349
.LBB288_404:
	v_sub_u32_e32 v9, v42, v8
	v_lshlrev_b32_e32 v9, 3, v9
	ds_write_b64 v9, v[94:95]
	s_or_b64 exec, exec, s[14:15]
	s_and_saveexec_b64 s[12:13], s[10:11]
	s_cbranch_execz .LBB288_350
.LBB288_405:
	v_sub_u32_e32 v9, v41, v8
	v_lshlrev_b32_e32 v9, 3, v9
	ds_write_b64 v9, v[96:97]
	s_or_b64 exec, exec, s[12:13]
	s_and_saveexec_b64 s[10:11], s[8:9]
	s_cbranch_execz .LBB288_351
.LBB288_406:
	v_sub_u32_e32 v9, v40, v8
	v_lshlrev_b32_e32 v9, 3, v9
	ds_write_b64 v9, v[98:99]
	s_or_b64 exec, exec, s[10:11]
	s_and_saveexec_b64 s[8:9], s[6:7]
	s_cbranch_execz .LBB288_352
.LBB288_407:
	v_sub_u32_e32 v9, v39, v8
	v_lshlrev_b32_e32 v9, 3, v9
	ds_write_b64 v9, v[100:101]
	s_or_b64 exec, exec, s[8:9]
	s_and_saveexec_b64 s[6:7], s[4:5]
	s_cbranch_execz .LBB288_353
.LBB288_408:
	v_sub_u32_e32 v9, v38, v8
	v_lshlrev_b32_e32 v9, 3, v9
	ds_write_b64 v9, v[102:103]
	s_or_b64 exec, exec, s[6:7]
	s_and_saveexec_b64 s[4:5], s[2:3]
	s_cbranch_execnz .LBB288_354
	s_branch .LBB288_355
	.section	.rodata,"a",@progbits
	.p2align	6, 0x0
	.amdhsa_kernel _ZN7rocprim17ROCPRIM_400000_NS6detail17trampoline_kernelINS0_14default_configENS1_29reduce_by_key_config_selectorIyyN6thrust23THRUST_200600_302600_NS4plusIyEEEEZZNS1_33reduce_by_key_impl_wrapped_configILNS1_25lookback_scan_determinismE0ES3_S9_NS6_6detail15normal_iteratorINS6_10device_ptrIyEEEESG_SG_SG_PmS8_22is_equal_div_10_reduceIyEEE10hipError_tPvRmT2_T3_mT4_T5_T6_T7_T8_P12ihipStream_tbENKUlT_T0_E_clISt17integral_constantIbLb1EES11_EEDaSW_SX_EUlSW_E_NS1_11comp_targetILNS1_3genE4ELNS1_11target_archE910ELNS1_3gpuE8ELNS1_3repE0EEENS1_30default_config_static_selectorELNS0_4arch9wavefront6targetE1EEEvT1_
		.amdhsa_group_segment_fixed_size 30720
		.amdhsa_private_segment_fixed_size 0
		.amdhsa_kernarg_size 136
		.amdhsa_user_sgpr_count 6
		.amdhsa_user_sgpr_private_segment_buffer 1
		.amdhsa_user_sgpr_dispatch_ptr 0
		.amdhsa_user_sgpr_queue_ptr 0
		.amdhsa_user_sgpr_kernarg_segment_ptr 1
		.amdhsa_user_sgpr_dispatch_id 0
		.amdhsa_user_sgpr_flat_scratch_init 0
		.amdhsa_user_sgpr_kernarg_preload_length 0
		.amdhsa_user_sgpr_kernarg_preload_offset 0
		.amdhsa_user_sgpr_private_segment_size 0
		.amdhsa_uses_dynamic_stack 0
		.amdhsa_system_sgpr_private_segment_wavefront_offset 0
		.amdhsa_system_sgpr_workgroup_id_x 1
		.amdhsa_system_sgpr_workgroup_id_y 0
		.amdhsa_system_sgpr_workgroup_id_z 0
		.amdhsa_system_sgpr_workgroup_info 0
		.amdhsa_system_vgpr_workitem_id 0
		.amdhsa_next_free_vgpr 116
		.amdhsa_next_free_sgpr 66
		.amdhsa_accum_offset 116
		.amdhsa_reserve_vcc 1
		.amdhsa_reserve_flat_scratch 0
		.amdhsa_float_round_mode_32 0
		.amdhsa_float_round_mode_16_64 0
		.amdhsa_float_denorm_mode_32 3
		.amdhsa_float_denorm_mode_16_64 3
		.amdhsa_dx10_clamp 1
		.amdhsa_ieee_mode 1
		.amdhsa_fp16_overflow 0
		.amdhsa_tg_split 0
		.amdhsa_exception_fp_ieee_invalid_op 0
		.amdhsa_exception_fp_denorm_src 0
		.amdhsa_exception_fp_ieee_div_zero 0
		.amdhsa_exception_fp_ieee_overflow 0
		.amdhsa_exception_fp_ieee_underflow 0
		.amdhsa_exception_fp_ieee_inexact 0
		.amdhsa_exception_int_div_zero 0
	.end_amdhsa_kernel
	.section	.text._ZN7rocprim17ROCPRIM_400000_NS6detail17trampoline_kernelINS0_14default_configENS1_29reduce_by_key_config_selectorIyyN6thrust23THRUST_200600_302600_NS4plusIyEEEEZZNS1_33reduce_by_key_impl_wrapped_configILNS1_25lookback_scan_determinismE0ES3_S9_NS6_6detail15normal_iteratorINS6_10device_ptrIyEEEESG_SG_SG_PmS8_22is_equal_div_10_reduceIyEEE10hipError_tPvRmT2_T3_mT4_T5_T6_T7_T8_P12ihipStream_tbENKUlT_T0_E_clISt17integral_constantIbLb1EES11_EEDaSW_SX_EUlSW_E_NS1_11comp_targetILNS1_3genE4ELNS1_11target_archE910ELNS1_3gpuE8ELNS1_3repE0EEENS1_30default_config_static_selectorELNS0_4arch9wavefront6targetE1EEEvT1_,"axG",@progbits,_ZN7rocprim17ROCPRIM_400000_NS6detail17trampoline_kernelINS0_14default_configENS1_29reduce_by_key_config_selectorIyyN6thrust23THRUST_200600_302600_NS4plusIyEEEEZZNS1_33reduce_by_key_impl_wrapped_configILNS1_25lookback_scan_determinismE0ES3_S9_NS6_6detail15normal_iteratorINS6_10device_ptrIyEEEESG_SG_SG_PmS8_22is_equal_div_10_reduceIyEEE10hipError_tPvRmT2_T3_mT4_T5_T6_T7_T8_P12ihipStream_tbENKUlT_T0_E_clISt17integral_constantIbLb1EES11_EEDaSW_SX_EUlSW_E_NS1_11comp_targetILNS1_3genE4ELNS1_11target_archE910ELNS1_3gpuE8ELNS1_3repE0EEENS1_30default_config_static_selectorELNS0_4arch9wavefront6targetE1EEEvT1_,comdat
.Lfunc_end288:
	.size	_ZN7rocprim17ROCPRIM_400000_NS6detail17trampoline_kernelINS0_14default_configENS1_29reduce_by_key_config_selectorIyyN6thrust23THRUST_200600_302600_NS4plusIyEEEEZZNS1_33reduce_by_key_impl_wrapped_configILNS1_25lookback_scan_determinismE0ES3_S9_NS6_6detail15normal_iteratorINS6_10device_ptrIyEEEESG_SG_SG_PmS8_22is_equal_div_10_reduceIyEEE10hipError_tPvRmT2_T3_mT4_T5_T6_T7_T8_P12ihipStream_tbENKUlT_T0_E_clISt17integral_constantIbLb1EES11_EEDaSW_SX_EUlSW_E_NS1_11comp_targetILNS1_3genE4ELNS1_11target_archE910ELNS1_3gpuE8ELNS1_3repE0EEENS1_30default_config_static_selectorELNS0_4arch9wavefront6targetE1EEEvT1_, .Lfunc_end288-_ZN7rocprim17ROCPRIM_400000_NS6detail17trampoline_kernelINS0_14default_configENS1_29reduce_by_key_config_selectorIyyN6thrust23THRUST_200600_302600_NS4plusIyEEEEZZNS1_33reduce_by_key_impl_wrapped_configILNS1_25lookback_scan_determinismE0ES3_S9_NS6_6detail15normal_iteratorINS6_10device_ptrIyEEEESG_SG_SG_PmS8_22is_equal_div_10_reduceIyEEE10hipError_tPvRmT2_T3_mT4_T5_T6_T7_T8_P12ihipStream_tbENKUlT_T0_E_clISt17integral_constantIbLb1EES11_EEDaSW_SX_EUlSW_E_NS1_11comp_targetILNS1_3genE4ELNS1_11target_archE910ELNS1_3gpuE8ELNS1_3repE0EEENS1_30default_config_static_selectorELNS0_4arch9wavefront6targetE1EEEvT1_
                                        ; -- End function
	.section	.AMDGPU.csdata,"",@progbits
; Kernel info:
; codeLenInByte = 18932
; NumSgprs: 70
; NumVgprs: 116
; NumAgprs: 0
; TotalNumVgprs: 116
; ScratchSize: 0
; MemoryBound: 0
; FloatMode: 240
; IeeeMode: 1
; LDSByteSize: 30720 bytes/workgroup (compile time only)
; SGPRBlocks: 8
; VGPRBlocks: 14
; NumSGPRsForWavesPerEU: 70
; NumVGPRsForWavesPerEU: 116
; AccumOffset: 116
; Occupancy: 2
; WaveLimiterHint : 1
; COMPUTE_PGM_RSRC2:SCRATCH_EN: 0
; COMPUTE_PGM_RSRC2:USER_SGPR: 6
; COMPUTE_PGM_RSRC2:TRAP_HANDLER: 0
; COMPUTE_PGM_RSRC2:TGID_X_EN: 1
; COMPUTE_PGM_RSRC2:TGID_Y_EN: 0
; COMPUTE_PGM_RSRC2:TGID_Z_EN: 0
; COMPUTE_PGM_RSRC2:TIDIG_COMP_CNT: 0
; COMPUTE_PGM_RSRC3_GFX90A:ACCUM_OFFSET: 28
; COMPUTE_PGM_RSRC3_GFX90A:TG_SPLIT: 0
	.section	.text._ZN7rocprim17ROCPRIM_400000_NS6detail17trampoline_kernelINS0_14default_configENS1_29reduce_by_key_config_selectorIyyN6thrust23THRUST_200600_302600_NS4plusIyEEEEZZNS1_33reduce_by_key_impl_wrapped_configILNS1_25lookback_scan_determinismE0ES3_S9_NS6_6detail15normal_iteratorINS6_10device_ptrIyEEEESG_SG_SG_PmS8_22is_equal_div_10_reduceIyEEE10hipError_tPvRmT2_T3_mT4_T5_T6_T7_T8_P12ihipStream_tbENKUlT_T0_E_clISt17integral_constantIbLb1EES11_EEDaSW_SX_EUlSW_E_NS1_11comp_targetILNS1_3genE3ELNS1_11target_archE908ELNS1_3gpuE7ELNS1_3repE0EEENS1_30default_config_static_selectorELNS0_4arch9wavefront6targetE1EEEvT1_,"axG",@progbits,_ZN7rocprim17ROCPRIM_400000_NS6detail17trampoline_kernelINS0_14default_configENS1_29reduce_by_key_config_selectorIyyN6thrust23THRUST_200600_302600_NS4plusIyEEEEZZNS1_33reduce_by_key_impl_wrapped_configILNS1_25lookback_scan_determinismE0ES3_S9_NS6_6detail15normal_iteratorINS6_10device_ptrIyEEEESG_SG_SG_PmS8_22is_equal_div_10_reduceIyEEE10hipError_tPvRmT2_T3_mT4_T5_T6_T7_T8_P12ihipStream_tbENKUlT_T0_E_clISt17integral_constantIbLb1EES11_EEDaSW_SX_EUlSW_E_NS1_11comp_targetILNS1_3genE3ELNS1_11target_archE908ELNS1_3gpuE7ELNS1_3repE0EEENS1_30default_config_static_selectorELNS0_4arch9wavefront6targetE1EEEvT1_,comdat
	.protected	_ZN7rocprim17ROCPRIM_400000_NS6detail17trampoline_kernelINS0_14default_configENS1_29reduce_by_key_config_selectorIyyN6thrust23THRUST_200600_302600_NS4plusIyEEEEZZNS1_33reduce_by_key_impl_wrapped_configILNS1_25lookback_scan_determinismE0ES3_S9_NS6_6detail15normal_iteratorINS6_10device_ptrIyEEEESG_SG_SG_PmS8_22is_equal_div_10_reduceIyEEE10hipError_tPvRmT2_T3_mT4_T5_T6_T7_T8_P12ihipStream_tbENKUlT_T0_E_clISt17integral_constantIbLb1EES11_EEDaSW_SX_EUlSW_E_NS1_11comp_targetILNS1_3genE3ELNS1_11target_archE908ELNS1_3gpuE7ELNS1_3repE0EEENS1_30default_config_static_selectorELNS0_4arch9wavefront6targetE1EEEvT1_ ; -- Begin function _ZN7rocprim17ROCPRIM_400000_NS6detail17trampoline_kernelINS0_14default_configENS1_29reduce_by_key_config_selectorIyyN6thrust23THRUST_200600_302600_NS4plusIyEEEEZZNS1_33reduce_by_key_impl_wrapped_configILNS1_25lookback_scan_determinismE0ES3_S9_NS6_6detail15normal_iteratorINS6_10device_ptrIyEEEESG_SG_SG_PmS8_22is_equal_div_10_reduceIyEEE10hipError_tPvRmT2_T3_mT4_T5_T6_T7_T8_P12ihipStream_tbENKUlT_T0_E_clISt17integral_constantIbLb1EES11_EEDaSW_SX_EUlSW_E_NS1_11comp_targetILNS1_3genE3ELNS1_11target_archE908ELNS1_3gpuE7ELNS1_3repE0EEENS1_30default_config_static_selectorELNS0_4arch9wavefront6targetE1EEEvT1_
	.globl	_ZN7rocprim17ROCPRIM_400000_NS6detail17trampoline_kernelINS0_14default_configENS1_29reduce_by_key_config_selectorIyyN6thrust23THRUST_200600_302600_NS4plusIyEEEEZZNS1_33reduce_by_key_impl_wrapped_configILNS1_25lookback_scan_determinismE0ES3_S9_NS6_6detail15normal_iteratorINS6_10device_ptrIyEEEESG_SG_SG_PmS8_22is_equal_div_10_reduceIyEEE10hipError_tPvRmT2_T3_mT4_T5_T6_T7_T8_P12ihipStream_tbENKUlT_T0_E_clISt17integral_constantIbLb1EES11_EEDaSW_SX_EUlSW_E_NS1_11comp_targetILNS1_3genE3ELNS1_11target_archE908ELNS1_3gpuE7ELNS1_3repE0EEENS1_30default_config_static_selectorELNS0_4arch9wavefront6targetE1EEEvT1_
	.p2align	8
	.type	_ZN7rocprim17ROCPRIM_400000_NS6detail17trampoline_kernelINS0_14default_configENS1_29reduce_by_key_config_selectorIyyN6thrust23THRUST_200600_302600_NS4plusIyEEEEZZNS1_33reduce_by_key_impl_wrapped_configILNS1_25lookback_scan_determinismE0ES3_S9_NS6_6detail15normal_iteratorINS6_10device_ptrIyEEEESG_SG_SG_PmS8_22is_equal_div_10_reduceIyEEE10hipError_tPvRmT2_T3_mT4_T5_T6_T7_T8_P12ihipStream_tbENKUlT_T0_E_clISt17integral_constantIbLb1EES11_EEDaSW_SX_EUlSW_E_NS1_11comp_targetILNS1_3genE3ELNS1_11target_archE908ELNS1_3gpuE7ELNS1_3repE0EEENS1_30default_config_static_selectorELNS0_4arch9wavefront6targetE1EEEvT1_,@function
_ZN7rocprim17ROCPRIM_400000_NS6detail17trampoline_kernelINS0_14default_configENS1_29reduce_by_key_config_selectorIyyN6thrust23THRUST_200600_302600_NS4plusIyEEEEZZNS1_33reduce_by_key_impl_wrapped_configILNS1_25lookback_scan_determinismE0ES3_S9_NS6_6detail15normal_iteratorINS6_10device_ptrIyEEEESG_SG_SG_PmS8_22is_equal_div_10_reduceIyEEE10hipError_tPvRmT2_T3_mT4_T5_T6_T7_T8_P12ihipStream_tbENKUlT_T0_E_clISt17integral_constantIbLb1EES11_EEDaSW_SX_EUlSW_E_NS1_11comp_targetILNS1_3genE3ELNS1_11target_archE908ELNS1_3gpuE7ELNS1_3repE0EEENS1_30default_config_static_selectorELNS0_4arch9wavefront6targetE1EEEvT1_: ; @_ZN7rocprim17ROCPRIM_400000_NS6detail17trampoline_kernelINS0_14default_configENS1_29reduce_by_key_config_selectorIyyN6thrust23THRUST_200600_302600_NS4plusIyEEEEZZNS1_33reduce_by_key_impl_wrapped_configILNS1_25lookback_scan_determinismE0ES3_S9_NS6_6detail15normal_iteratorINS6_10device_ptrIyEEEESG_SG_SG_PmS8_22is_equal_div_10_reduceIyEEE10hipError_tPvRmT2_T3_mT4_T5_T6_T7_T8_P12ihipStream_tbENKUlT_T0_E_clISt17integral_constantIbLb1EES11_EEDaSW_SX_EUlSW_E_NS1_11comp_targetILNS1_3genE3ELNS1_11target_archE908ELNS1_3gpuE7ELNS1_3repE0EEENS1_30default_config_static_selectorELNS0_4arch9wavefront6targetE1EEEvT1_
; %bb.0:
	.section	.rodata,"a",@progbits
	.p2align	6, 0x0
	.amdhsa_kernel _ZN7rocprim17ROCPRIM_400000_NS6detail17trampoline_kernelINS0_14default_configENS1_29reduce_by_key_config_selectorIyyN6thrust23THRUST_200600_302600_NS4plusIyEEEEZZNS1_33reduce_by_key_impl_wrapped_configILNS1_25lookback_scan_determinismE0ES3_S9_NS6_6detail15normal_iteratorINS6_10device_ptrIyEEEESG_SG_SG_PmS8_22is_equal_div_10_reduceIyEEE10hipError_tPvRmT2_T3_mT4_T5_T6_T7_T8_P12ihipStream_tbENKUlT_T0_E_clISt17integral_constantIbLb1EES11_EEDaSW_SX_EUlSW_E_NS1_11comp_targetILNS1_3genE3ELNS1_11target_archE908ELNS1_3gpuE7ELNS1_3repE0EEENS1_30default_config_static_selectorELNS0_4arch9wavefront6targetE1EEEvT1_
		.amdhsa_group_segment_fixed_size 0
		.amdhsa_private_segment_fixed_size 0
		.amdhsa_kernarg_size 136
		.amdhsa_user_sgpr_count 6
		.amdhsa_user_sgpr_private_segment_buffer 1
		.amdhsa_user_sgpr_dispatch_ptr 0
		.amdhsa_user_sgpr_queue_ptr 0
		.amdhsa_user_sgpr_kernarg_segment_ptr 1
		.amdhsa_user_sgpr_dispatch_id 0
		.amdhsa_user_sgpr_flat_scratch_init 0
		.amdhsa_user_sgpr_kernarg_preload_length 0
		.amdhsa_user_sgpr_kernarg_preload_offset 0
		.amdhsa_user_sgpr_private_segment_size 0
		.amdhsa_uses_dynamic_stack 0
		.amdhsa_system_sgpr_private_segment_wavefront_offset 0
		.amdhsa_system_sgpr_workgroup_id_x 1
		.amdhsa_system_sgpr_workgroup_id_y 0
		.amdhsa_system_sgpr_workgroup_id_z 0
		.amdhsa_system_sgpr_workgroup_info 0
		.amdhsa_system_vgpr_workitem_id 0
		.amdhsa_next_free_vgpr 1
		.amdhsa_next_free_sgpr 0
		.amdhsa_accum_offset 4
		.amdhsa_reserve_vcc 0
		.amdhsa_reserve_flat_scratch 0
		.amdhsa_float_round_mode_32 0
		.amdhsa_float_round_mode_16_64 0
		.amdhsa_float_denorm_mode_32 3
		.amdhsa_float_denorm_mode_16_64 3
		.amdhsa_dx10_clamp 1
		.amdhsa_ieee_mode 1
		.amdhsa_fp16_overflow 0
		.amdhsa_tg_split 0
		.amdhsa_exception_fp_ieee_invalid_op 0
		.amdhsa_exception_fp_denorm_src 0
		.amdhsa_exception_fp_ieee_div_zero 0
		.amdhsa_exception_fp_ieee_overflow 0
		.amdhsa_exception_fp_ieee_underflow 0
		.amdhsa_exception_fp_ieee_inexact 0
		.amdhsa_exception_int_div_zero 0
	.end_amdhsa_kernel
	.section	.text._ZN7rocprim17ROCPRIM_400000_NS6detail17trampoline_kernelINS0_14default_configENS1_29reduce_by_key_config_selectorIyyN6thrust23THRUST_200600_302600_NS4plusIyEEEEZZNS1_33reduce_by_key_impl_wrapped_configILNS1_25lookback_scan_determinismE0ES3_S9_NS6_6detail15normal_iteratorINS6_10device_ptrIyEEEESG_SG_SG_PmS8_22is_equal_div_10_reduceIyEEE10hipError_tPvRmT2_T3_mT4_T5_T6_T7_T8_P12ihipStream_tbENKUlT_T0_E_clISt17integral_constantIbLb1EES11_EEDaSW_SX_EUlSW_E_NS1_11comp_targetILNS1_3genE3ELNS1_11target_archE908ELNS1_3gpuE7ELNS1_3repE0EEENS1_30default_config_static_selectorELNS0_4arch9wavefront6targetE1EEEvT1_,"axG",@progbits,_ZN7rocprim17ROCPRIM_400000_NS6detail17trampoline_kernelINS0_14default_configENS1_29reduce_by_key_config_selectorIyyN6thrust23THRUST_200600_302600_NS4plusIyEEEEZZNS1_33reduce_by_key_impl_wrapped_configILNS1_25lookback_scan_determinismE0ES3_S9_NS6_6detail15normal_iteratorINS6_10device_ptrIyEEEESG_SG_SG_PmS8_22is_equal_div_10_reduceIyEEE10hipError_tPvRmT2_T3_mT4_T5_T6_T7_T8_P12ihipStream_tbENKUlT_T0_E_clISt17integral_constantIbLb1EES11_EEDaSW_SX_EUlSW_E_NS1_11comp_targetILNS1_3genE3ELNS1_11target_archE908ELNS1_3gpuE7ELNS1_3repE0EEENS1_30default_config_static_selectorELNS0_4arch9wavefront6targetE1EEEvT1_,comdat
.Lfunc_end289:
	.size	_ZN7rocprim17ROCPRIM_400000_NS6detail17trampoline_kernelINS0_14default_configENS1_29reduce_by_key_config_selectorIyyN6thrust23THRUST_200600_302600_NS4plusIyEEEEZZNS1_33reduce_by_key_impl_wrapped_configILNS1_25lookback_scan_determinismE0ES3_S9_NS6_6detail15normal_iteratorINS6_10device_ptrIyEEEESG_SG_SG_PmS8_22is_equal_div_10_reduceIyEEE10hipError_tPvRmT2_T3_mT4_T5_T6_T7_T8_P12ihipStream_tbENKUlT_T0_E_clISt17integral_constantIbLb1EES11_EEDaSW_SX_EUlSW_E_NS1_11comp_targetILNS1_3genE3ELNS1_11target_archE908ELNS1_3gpuE7ELNS1_3repE0EEENS1_30default_config_static_selectorELNS0_4arch9wavefront6targetE1EEEvT1_, .Lfunc_end289-_ZN7rocprim17ROCPRIM_400000_NS6detail17trampoline_kernelINS0_14default_configENS1_29reduce_by_key_config_selectorIyyN6thrust23THRUST_200600_302600_NS4plusIyEEEEZZNS1_33reduce_by_key_impl_wrapped_configILNS1_25lookback_scan_determinismE0ES3_S9_NS6_6detail15normal_iteratorINS6_10device_ptrIyEEEESG_SG_SG_PmS8_22is_equal_div_10_reduceIyEEE10hipError_tPvRmT2_T3_mT4_T5_T6_T7_T8_P12ihipStream_tbENKUlT_T0_E_clISt17integral_constantIbLb1EES11_EEDaSW_SX_EUlSW_E_NS1_11comp_targetILNS1_3genE3ELNS1_11target_archE908ELNS1_3gpuE7ELNS1_3repE0EEENS1_30default_config_static_selectorELNS0_4arch9wavefront6targetE1EEEvT1_
                                        ; -- End function
	.section	.AMDGPU.csdata,"",@progbits
; Kernel info:
; codeLenInByte = 0
; NumSgprs: 4
; NumVgprs: 0
; NumAgprs: 0
; TotalNumVgprs: 0
; ScratchSize: 0
; MemoryBound: 0
; FloatMode: 240
; IeeeMode: 1
; LDSByteSize: 0 bytes/workgroup (compile time only)
; SGPRBlocks: 0
; VGPRBlocks: 0
; NumSGPRsForWavesPerEU: 4
; NumVGPRsForWavesPerEU: 1
; AccumOffset: 4
; Occupancy: 8
; WaveLimiterHint : 0
; COMPUTE_PGM_RSRC2:SCRATCH_EN: 0
; COMPUTE_PGM_RSRC2:USER_SGPR: 6
; COMPUTE_PGM_RSRC2:TRAP_HANDLER: 0
; COMPUTE_PGM_RSRC2:TGID_X_EN: 1
; COMPUTE_PGM_RSRC2:TGID_Y_EN: 0
; COMPUTE_PGM_RSRC2:TGID_Z_EN: 0
; COMPUTE_PGM_RSRC2:TIDIG_COMP_CNT: 0
; COMPUTE_PGM_RSRC3_GFX90A:ACCUM_OFFSET: 0
; COMPUTE_PGM_RSRC3_GFX90A:TG_SPLIT: 0
	.section	.text._ZN7rocprim17ROCPRIM_400000_NS6detail17trampoline_kernelINS0_14default_configENS1_29reduce_by_key_config_selectorIyyN6thrust23THRUST_200600_302600_NS4plusIyEEEEZZNS1_33reduce_by_key_impl_wrapped_configILNS1_25lookback_scan_determinismE0ES3_S9_NS6_6detail15normal_iteratorINS6_10device_ptrIyEEEESG_SG_SG_PmS8_22is_equal_div_10_reduceIyEEE10hipError_tPvRmT2_T3_mT4_T5_T6_T7_T8_P12ihipStream_tbENKUlT_T0_E_clISt17integral_constantIbLb1EES11_EEDaSW_SX_EUlSW_E_NS1_11comp_targetILNS1_3genE2ELNS1_11target_archE906ELNS1_3gpuE6ELNS1_3repE0EEENS1_30default_config_static_selectorELNS0_4arch9wavefront6targetE1EEEvT1_,"axG",@progbits,_ZN7rocprim17ROCPRIM_400000_NS6detail17trampoline_kernelINS0_14default_configENS1_29reduce_by_key_config_selectorIyyN6thrust23THRUST_200600_302600_NS4plusIyEEEEZZNS1_33reduce_by_key_impl_wrapped_configILNS1_25lookback_scan_determinismE0ES3_S9_NS6_6detail15normal_iteratorINS6_10device_ptrIyEEEESG_SG_SG_PmS8_22is_equal_div_10_reduceIyEEE10hipError_tPvRmT2_T3_mT4_T5_T6_T7_T8_P12ihipStream_tbENKUlT_T0_E_clISt17integral_constantIbLb1EES11_EEDaSW_SX_EUlSW_E_NS1_11comp_targetILNS1_3genE2ELNS1_11target_archE906ELNS1_3gpuE6ELNS1_3repE0EEENS1_30default_config_static_selectorELNS0_4arch9wavefront6targetE1EEEvT1_,comdat
	.protected	_ZN7rocprim17ROCPRIM_400000_NS6detail17trampoline_kernelINS0_14default_configENS1_29reduce_by_key_config_selectorIyyN6thrust23THRUST_200600_302600_NS4plusIyEEEEZZNS1_33reduce_by_key_impl_wrapped_configILNS1_25lookback_scan_determinismE0ES3_S9_NS6_6detail15normal_iteratorINS6_10device_ptrIyEEEESG_SG_SG_PmS8_22is_equal_div_10_reduceIyEEE10hipError_tPvRmT2_T3_mT4_T5_T6_T7_T8_P12ihipStream_tbENKUlT_T0_E_clISt17integral_constantIbLb1EES11_EEDaSW_SX_EUlSW_E_NS1_11comp_targetILNS1_3genE2ELNS1_11target_archE906ELNS1_3gpuE6ELNS1_3repE0EEENS1_30default_config_static_selectorELNS0_4arch9wavefront6targetE1EEEvT1_ ; -- Begin function _ZN7rocprim17ROCPRIM_400000_NS6detail17trampoline_kernelINS0_14default_configENS1_29reduce_by_key_config_selectorIyyN6thrust23THRUST_200600_302600_NS4plusIyEEEEZZNS1_33reduce_by_key_impl_wrapped_configILNS1_25lookback_scan_determinismE0ES3_S9_NS6_6detail15normal_iteratorINS6_10device_ptrIyEEEESG_SG_SG_PmS8_22is_equal_div_10_reduceIyEEE10hipError_tPvRmT2_T3_mT4_T5_T6_T7_T8_P12ihipStream_tbENKUlT_T0_E_clISt17integral_constantIbLb1EES11_EEDaSW_SX_EUlSW_E_NS1_11comp_targetILNS1_3genE2ELNS1_11target_archE906ELNS1_3gpuE6ELNS1_3repE0EEENS1_30default_config_static_selectorELNS0_4arch9wavefront6targetE1EEEvT1_
	.globl	_ZN7rocprim17ROCPRIM_400000_NS6detail17trampoline_kernelINS0_14default_configENS1_29reduce_by_key_config_selectorIyyN6thrust23THRUST_200600_302600_NS4plusIyEEEEZZNS1_33reduce_by_key_impl_wrapped_configILNS1_25lookback_scan_determinismE0ES3_S9_NS6_6detail15normal_iteratorINS6_10device_ptrIyEEEESG_SG_SG_PmS8_22is_equal_div_10_reduceIyEEE10hipError_tPvRmT2_T3_mT4_T5_T6_T7_T8_P12ihipStream_tbENKUlT_T0_E_clISt17integral_constantIbLb1EES11_EEDaSW_SX_EUlSW_E_NS1_11comp_targetILNS1_3genE2ELNS1_11target_archE906ELNS1_3gpuE6ELNS1_3repE0EEENS1_30default_config_static_selectorELNS0_4arch9wavefront6targetE1EEEvT1_
	.p2align	8
	.type	_ZN7rocprim17ROCPRIM_400000_NS6detail17trampoline_kernelINS0_14default_configENS1_29reduce_by_key_config_selectorIyyN6thrust23THRUST_200600_302600_NS4plusIyEEEEZZNS1_33reduce_by_key_impl_wrapped_configILNS1_25lookback_scan_determinismE0ES3_S9_NS6_6detail15normal_iteratorINS6_10device_ptrIyEEEESG_SG_SG_PmS8_22is_equal_div_10_reduceIyEEE10hipError_tPvRmT2_T3_mT4_T5_T6_T7_T8_P12ihipStream_tbENKUlT_T0_E_clISt17integral_constantIbLb1EES11_EEDaSW_SX_EUlSW_E_NS1_11comp_targetILNS1_3genE2ELNS1_11target_archE906ELNS1_3gpuE6ELNS1_3repE0EEENS1_30default_config_static_selectorELNS0_4arch9wavefront6targetE1EEEvT1_,@function
_ZN7rocprim17ROCPRIM_400000_NS6detail17trampoline_kernelINS0_14default_configENS1_29reduce_by_key_config_selectorIyyN6thrust23THRUST_200600_302600_NS4plusIyEEEEZZNS1_33reduce_by_key_impl_wrapped_configILNS1_25lookback_scan_determinismE0ES3_S9_NS6_6detail15normal_iteratorINS6_10device_ptrIyEEEESG_SG_SG_PmS8_22is_equal_div_10_reduceIyEEE10hipError_tPvRmT2_T3_mT4_T5_T6_T7_T8_P12ihipStream_tbENKUlT_T0_E_clISt17integral_constantIbLb1EES11_EEDaSW_SX_EUlSW_E_NS1_11comp_targetILNS1_3genE2ELNS1_11target_archE906ELNS1_3gpuE6ELNS1_3repE0EEENS1_30default_config_static_selectorELNS0_4arch9wavefront6targetE1EEEvT1_: ; @_ZN7rocprim17ROCPRIM_400000_NS6detail17trampoline_kernelINS0_14default_configENS1_29reduce_by_key_config_selectorIyyN6thrust23THRUST_200600_302600_NS4plusIyEEEEZZNS1_33reduce_by_key_impl_wrapped_configILNS1_25lookback_scan_determinismE0ES3_S9_NS6_6detail15normal_iteratorINS6_10device_ptrIyEEEESG_SG_SG_PmS8_22is_equal_div_10_reduceIyEEE10hipError_tPvRmT2_T3_mT4_T5_T6_T7_T8_P12ihipStream_tbENKUlT_T0_E_clISt17integral_constantIbLb1EES11_EEDaSW_SX_EUlSW_E_NS1_11comp_targetILNS1_3genE2ELNS1_11target_archE906ELNS1_3gpuE6ELNS1_3repE0EEENS1_30default_config_static_selectorELNS0_4arch9wavefront6targetE1EEEvT1_
; %bb.0:
	.section	.rodata,"a",@progbits
	.p2align	6, 0x0
	.amdhsa_kernel _ZN7rocprim17ROCPRIM_400000_NS6detail17trampoline_kernelINS0_14default_configENS1_29reduce_by_key_config_selectorIyyN6thrust23THRUST_200600_302600_NS4plusIyEEEEZZNS1_33reduce_by_key_impl_wrapped_configILNS1_25lookback_scan_determinismE0ES3_S9_NS6_6detail15normal_iteratorINS6_10device_ptrIyEEEESG_SG_SG_PmS8_22is_equal_div_10_reduceIyEEE10hipError_tPvRmT2_T3_mT4_T5_T6_T7_T8_P12ihipStream_tbENKUlT_T0_E_clISt17integral_constantIbLb1EES11_EEDaSW_SX_EUlSW_E_NS1_11comp_targetILNS1_3genE2ELNS1_11target_archE906ELNS1_3gpuE6ELNS1_3repE0EEENS1_30default_config_static_selectorELNS0_4arch9wavefront6targetE1EEEvT1_
		.amdhsa_group_segment_fixed_size 0
		.amdhsa_private_segment_fixed_size 0
		.amdhsa_kernarg_size 136
		.amdhsa_user_sgpr_count 6
		.amdhsa_user_sgpr_private_segment_buffer 1
		.amdhsa_user_sgpr_dispatch_ptr 0
		.amdhsa_user_sgpr_queue_ptr 0
		.amdhsa_user_sgpr_kernarg_segment_ptr 1
		.amdhsa_user_sgpr_dispatch_id 0
		.amdhsa_user_sgpr_flat_scratch_init 0
		.amdhsa_user_sgpr_kernarg_preload_length 0
		.amdhsa_user_sgpr_kernarg_preload_offset 0
		.amdhsa_user_sgpr_private_segment_size 0
		.amdhsa_uses_dynamic_stack 0
		.amdhsa_system_sgpr_private_segment_wavefront_offset 0
		.amdhsa_system_sgpr_workgroup_id_x 1
		.amdhsa_system_sgpr_workgroup_id_y 0
		.amdhsa_system_sgpr_workgroup_id_z 0
		.amdhsa_system_sgpr_workgroup_info 0
		.amdhsa_system_vgpr_workitem_id 0
		.amdhsa_next_free_vgpr 1
		.amdhsa_next_free_sgpr 0
		.amdhsa_accum_offset 4
		.amdhsa_reserve_vcc 0
		.amdhsa_reserve_flat_scratch 0
		.amdhsa_float_round_mode_32 0
		.amdhsa_float_round_mode_16_64 0
		.amdhsa_float_denorm_mode_32 3
		.amdhsa_float_denorm_mode_16_64 3
		.amdhsa_dx10_clamp 1
		.amdhsa_ieee_mode 1
		.amdhsa_fp16_overflow 0
		.amdhsa_tg_split 0
		.amdhsa_exception_fp_ieee_invalid_op 0
		.amdhsa_exception_fp_denorm_src 0
		.amdhsa_exception_fp_ieee_div_zero 0
		.amdhsa_exception_fp_ieee_overflow 0
		.amdhsa_exception_fp_ieee_underflow 0
		.amdhsa_exception_fp_ieee_inexact 0
		.amdhsa_exception_int_div_zero 0
	.end_amdhsa_kernel
	.section	.text._ZN7rocprim17ROCPRIM_400000_NS6detail17trampoline_kernelINS0_14default_configENS1_29reduce_by_key_config_selectorIyyN6thrust23THRUST_200600_302600_NS4plusIyEEEEZZNS1_33reduce_by_key_impl_wrapped_configILNS1_25lookback_scan_determinismE0ES3_S9_NS6_6detail15normal_iteratorINS6_10device_ptrIyEEEESG_SG_SG_PmS8_22is_equal_div_10_reduceIyEEE10hipError_tPvRmT2_T3_mT4_T5_T6_T7_T8_P12ihipStream_tbENKUlT_T0_E_clISt17integral_constantIbLb1EES11_EEDaSW_SX_EUlSW_E_NS1_11comp_targetILNS1_3genE2ELNS1_11target_archE906ELNS1_3gpuE6ELNS1_3repE0EEENS1_30default_config_static_selectorELNS0_4arch9wavefront6targetE1EEEvT1_,"axG",@progbits,_ZN7rocprim17ROCPRIM_400000_NS6detail17trampoline_kernelINS0_14default_configENS1_29reduce_by_key_config_selectorIyyN6thrust23THRUST_200600_302600_NS4plusIyEEEEZZNS1_33reduce_by_key_impl_wrapped_configILNS1_25lookback_scan_determinismE0ES3_S9_NS6_6detail15normal_iteratorINS6_10device_ptrIyEEEESG_SG_SG_PmS8_22is_equal_div_10_reduceIyEEE10hipError_tPvRmT2_T3_mT4_T5_T6_T7_T8_P12ihipStream_tbENKUlT_T0_E_clISt17integral_constantIbLb1EES11_EEDaSW_SX_EUlSW_E_NS1_11comp_targetILNS1_3genE2ELNS1_11target_archE906ELNS1_3gpuE6ELNS1_3repE0EEENS1_30default_config_static_selectorELNS0_4arch9wavefront6targetE1EEEvT1_,comdat
.Lfunc_end290:
	.size	_ZN7rocprim17ROCPRIM_400000_NS6detail17trampoline_kernelINS0_14default_configENS1_29reduce_by_key_config_selectorIyyN6thrust23THRUST_200600_302600_NS4plusIyEEEEZZNS1_33reduce_by_key_impl_wrapped_configILNS1_25lookback_scan_determinismE0ES3_S9_NS6_6detail15normal_iteratorINS6_10device_ptrIyEEEESG_SG_SG_PmS8_22is_equal_div_10_reduceIyEEE10hipError_tPvRmT2_T3_mT4_T5_T6_T7_T8_P12ihipStream_tbENKUlT_T0_E_clISt17integral_constantIbLb1EES11_EEDaSW_SX_EUlSW_E_NS1_11comp_targetILNS1_3genE2ELNS1_11target_archE906ELNS1_3gpuE6ELNS1_3repE0EEENS1_30default_config_static_selectorELNS0_4arch9wavefront6targetE1EEEvT1_, .Lfunc_end290-_ZN7rocprim17ROCPRIM_400000_NS6detail17trampoline_kernelINS0_14default_configENS1_29reduce_by_key_config_selectorIyyN6thrust23THRUST_200600_302600_NS4plusIyEEEEZZNS1_33reduce_by_key_impl_wrapped_configILNS1_25lookback_scan_determinismE0ES3_S9_NS6_6detail15normal_iteratorINS6_10device_ptrIyEEEESG_SG_SG_PmS8_22is_equal_div_10_reduceIyEEE10hipError_tPvRmT2_T3_mT4_T5_T6_T7_T8_P12ihipStream_tbENKUlT_T0_E_clISt17integral_constantIbLb1EES11_EEDaSW_SX_EUlSW_E_NS1_11comp_targetILNS1_3genE2ELNS1_11target_archE906ELNS1_3gpuE6ELNS1_3repE0EEENS1_30default_config_static_selectorELNS0_4arch9wavefront6targetE1EEEvT1_
                                        ; -- End function
	.section	.AMDGPU.csdata,"",@progbits
; Kernel info:
; codeLenInByte = 0
; NumSgprs: 4
; NumVgprs: 0
; NumAgprs: 0
; TotalNumVgprs: 0
; ScratchSize: 0
; MemoryBound: 0
; FloatMode: 240
; IeeeMode: 1
; LDSByteSize: 0 bytes/workgroup (compile time only)
; SGPRBlocks: 0
; VGPRBlocks: 0
; NumSGPRsForWavesPerEU: 4
; NumVGPRsForWavesPerEU: 1
; AccumOffset: 4
; Occupancy: 8
; WaveLimiterHint : 0
; COMPUTE_PGM_RSRC2:SCRATCH_EN: 0
; COMPUTE_PGM_RSRC2:USER_SGPR: 6
; COMPUTE_PGM_RSRC2:TRAP_HANDLER: 0
; COMPUTE_PGM_RSRC2:TGID_X_EN: 1
; COMPUTE_PGM_RSRC2:TGID_Y_EN: 0
; COMPUTE_PGM_RSRC2:TGID_Z_EN: 0
; COMPUTE_PGM_RSRC2:TIDIG_COMP_CNT: 0
; COMPUTE_PGM_RSRC3_GFX90A:ACCUM_OFFSET: 0
; COMPUTE_PGM_RSRC3_GFX90A:TG_SPLIT: 0
	.section	.text._ZN7rocprim17ROCPRIM_400000_NS6detail17trampoline_kernelINS0_14default_configENS1_29reduce_by_key_config_selectorIyyN6thrust23THRUST_200600_302600_NS4plusIyEEEEZZNS1_33reduce_by_key_impl_wrapped_configILNS1_25lookback_scan_determinismE0ES3_S9_NS6_6detail15normal_iteratorINS6_10device_ptrIyEEEESG_SG_SG_PmS8_22is_equal_div_10_reduceIyEEE10hipError_tPvRmT2_T3_mT4_T5_T6_T7_T8_P12ihipStream_tbENKUlT_T0_E_clISt17integral_constantIbLb1EES11_EEDaSW_SX_EUlSW_E_NS1_11comp_targetILNS1_3genE10ELNS1_11target_archE1201ELNS1_3gpuE5ELNS1_3repE0EEENS1_30default_config_static_selectorELNS0_4arch9wavefront6targetE1EEEvT1_,"axG",@progbits,_ZN7rocprim17ROCPRIM_400000_NS6detail17trampoline_kernelINS0_14default_configENS1_29reduce_by_key_config_selectorIyyN6thrust23THRUST_200600_302600_NS4plusIyEEEEZZNS1_33reduce_by_key_impl_wrapped_configILNS1_25lookback_scan_determinismE0ES3_S9_NS6_6detail15normal_iteratorINS6_10device_ptrIyEEEESG_SG_SG_PmS8_22is_equal_div_10_reduceIyEEE10hipError_tPvRmT2_T3_mT4_T5_T6_T7_T8_P12ihipStream_tbENKUlT_T0_E_clISt17integral_constantIbLb1EES11_EEDaSW_SX_EUlSW_E_NS1_11comp_targetILNS1_3genE10ELNS1_11target_archE1201ELNS1_3gpuE5ELNS1_3repE0EEENS1_30default_config_static_selectorELNS0_4arch9wavefront6targetE1EEEvT1_,comdat
	.protected	_ZN7rocprim17ROCPRIM_400000_NS6detail17trampoline_kernelINS0_14default_configENS1_29reduce_by_key_config_selectorIyyN6thrust23THRUST_200600_302600_NS4plusIyEEEEZZNS1_33reduce_by_key_impl_wrapped_configILNS1_25lookback_scan_determinismE0ES3_S9_NS6_6detail15normal_iteratorINS6_10device_ptrIyEEEESG_SG_SG_PmS8_22is_equal_div_10_reduceIyEEE10hipError_tPvRmT2_T3_mT4_T5_T6_T7_T8_P12ihipStream_tbENKUlT_T0_E_clISt17integral_constantIbLb1EES11_EEDaSW_SX_EUlSW_E_NS1_11comp_targetILNS1_3genE10ELNS1_11target_archE1201ELNS1_3gpuE5ELNS1_3repE0EEENS1_30default_config_static_selectorELNS0_4arch9wavefront6targetE1EEEvT1_ ; -- Begin function _ZN7rocprim17ROCPRIM_400000_NS6detail17trampoline_kernelINS0_14default_configENS1_29reduce_by_key_config_selectorIyyN6thrust23THRUST_200600_302600_NS4plusIyEEEEZZNS1_33reduce_by_key_impl_wrapped_configILNS1_25lookback_scan_determinismE0ES3_S9_NS6_6detail15normal_iteratorINS6_10device_ptrIyEEEESG_SG_SG_PmS8_22is_equal_div_10_reduceIyEEE10hipError_tPvRmT2_T3_mT4_T5_T6_T7_T8_P12ihipStream_tbENKUlT_T0_E_clISt17integral_constantIbLb1EES11_EEDaSW_SX_EUlSW_E_NS1_11comp_targetILNS1_3genE10ELNS1_11target_archE1201ELNS1_3gpuE5ELNS1_3repE0EEENS1_30default_config_static_selectorELNS0_4arch9wavefront6targetE1EEEvT1_
	.globl	_ZN7rocprim17ROCPRIM_400000_NS6detail17trampoline_kernelINS0_14default_configENS1_29reduce_by_key_config_selectorIyyN6thrust23THRUST_200600_302600_NS4plusIyEEEEZZNS1_33reduce_by_key_impl_wrapped_configILNS1_25lookback_scan_determinismE0ES3_S9_NS6_6detail15normal_iteratorINS6_10device_ptrIyEEEESG_SG_SG_PmS8_22is_equal_div_10_reduceIyEEE10hipError_tPvRmT2_T3_mT4_T5_T6_T7_T8_P12ihipStream_tbENKUlT_T0_E_clISt17integral_constantIbLb1EES11_EEDaSW_SX_EUlSW_E_NS1_11comp_targetILNS1_3genE10ELNS1_11target_archE1201ELNS1_3gpuE5ELNS1_3repE0EEENS1_30default_config_static_selectorELNS0_4arch9wavefront6targetE1EEEvT1_
	.p2align	8
	.type	_ZN7rocprim17ROCPRIM_400000_NS6detail17trampoline_kernelINS0_14default_configENS1_29reduce_by_key_config_selectorIyyN6thrust23THRUST_200600_302600_NS4plusIyEEEEZZNS1_33reduce_by_key_impl_wrapped_configILNS1_25lookback_scan_determinismE0ES3_S9_NS6_6detail15normal_iteratorINS6_10device_ptrIyEEEESG_SG_SG_PmS8_22is_equal_div_10_reduceIyEEE10hipError_tPvRmT2_T3_mT4_T5_T6_T7_T8_P12ihipStream_tbENKUlT_T0_E_clISt17integral_constantIbLb1EES11_EEDaSW_SX_EUlSW_E_NS1_11comp_targetILNS1_3genE10ELNS1_11target_archE1201ELNS1_3gpuE5ELNS1_3repE0EEENS1_30default_config_static_selectorELNS0_4arch9wavefront6targetE1EEEvT1_,@function
_ZN7rocprim17ROCPRIM_400000_NS6detail17trampoline_kernelINS0_14default_configENS1_29reduce_by_key_config_selectorIyyN6thrust23THRUST_200600_302600_NS4plusIyEEEEZZNS1_33reduce_by_key_impl_wrapped_configILNS1_25lookback_scan_determinismE0ES3_S9_NS6_6detail15normal_iteratorINS6_10device_ptrIyEEEESG_SG_SG_PmS8_22is_equal_div_10_reduceIyEEE10hipError_tPvRmT2_T3_mT4_T5_T6_T7_T8_P12ihipStream_tbENKUlT_T0_E_clISt17integral_constantIbLb1EES11_EEDaSW_SX_EUlSW_E_NS1_11comp_targetILNS1_3genE10ELNS1_11target_archE1201ELNS1_3gpuE5ELNS1_3repE0EEENS1_30default_config_static_selectorELNS0_4arch9wavefront6targetE1EEEvT1_: ; @_ZN7rocprim17ROCPRIM_400000_NS6detail17trampoline_kernelINS0_14default_configENS1_29reduce_by_key_config_selectorIyyN6thrust23THRUST_200600_302600_NS4plusIyEEEEZZNS1_33reduce_by_key_impl_wrapped_configILNS1_25lookback_scan_determinismE0ES3_S9_NS6_6detail15normal_iteratorINS6_10device_ptrIyEEEESG_SG_SG_PmS8_22is_equal_div_10_reduceIyEEE10hipError_tPvRmT2_T3_mT4_T5_T6_T7_T8_P12ihipStream_tbENKUlT_T0_E_clISt17integral_constantIbLb1EES11_EEDaSW_SX_EUlSW_E_NS1_11comp_targetILNS1_3genE10ELNS1_11target_archE1201ELNS1_3gpuE5ELNS1_3repE0EEENS1_30default_config_static_selectorELNS0_4arch9wavefront6targetE1EEEvT1_
; %bb.0:
	.section	.rodata,"a",@progbits
	.p2align	6, 0x0
	.amdhsa_kernel _ZN7rocprim17ROCPRIM_400000_NS6detail17trampoline_kernelINS0_14default_configENS1_29reduce_by_key_config_selectorIyyN6thrust23THRUST_200600_302600_NS4plusIyEEEEZZNS1_33reduce_by_key_impl_wrapped_configILNS1_25lookback_scan_determinismE0ES3_S9_NS6_6detail15normal_iteratorINS6_10device_ptrIyEEEESG_SG_SG_PmS8_22is_equal_div_10_reduceIyEEE10hipError_tPvRmT2_T3_mT4_T5_T6_T7_T8_P12ihipStream_tbENKUlT_T0_E_clISt17integral_constantIbLb1EES11_EEDaSW_SX_EUlSW_E_NS1_11comp_targetILNS1_3genE10ELNS1_11target_archE1201ELNS1_3gpuE5ELNS1_3repE0EEENS1_30default_config_static_selectorELNS0_4arch9wavefront6targetE1EEEvT1_
		.amdhsa_group_segment_fixed_size 0
		.amdhsa_private_segment_fixed_size 0
		.amdhsa_kernarg_size 136
		.amdhsa_user_sgpr_count 6
		.amdhsa_user_sgpr_private_segment_buffer 1
		.amdhsa_user_sgpr_dispatch_ptr 0
		.amdhsa_user_sgpr_queue_ptr 0
		.amdhsa_user_sgpr_kernarg_segment_ptr 1
		.amdhsa_user_sgpr_dispatch_id 0
		.amdhsa_user_sgpr_flat_scratch_init 0
		.amdhsa_user_sgpr_kernarg_preload_length 0
		.amdhsa_user_sgpr_kernarg_preload_offset 0
		.amdhsa_user_sgpr_private_segment_size 0
		.amdhsa_uses_dynamic_stack 0
		.amdhsa_system_sgpr_private_segment_wavefront_offset 0
		.amdhsa_system_sgpr_workgroup_id_x 1
		.amdhsa_system_sgpr_workgroup_id_y 0
		.amdhsa_system_sgpr_workgroup_id_z 0
		.amdhsa_system_sgpr_workgroup_info 0
		.amdhsa_system_vgpr_workitem_id 0
		.amdhsa_next_free_vgpr 1
		.amdhsa_next_free_sgpr 0
		.amdhsa_accum_offset 4
		.amdhsa_reserve_vcc 0
		.amdhsa_reserve_flat_scratch 0
		.amdhsa_float_round_mode_32 0
		.amdhsa_float_round_mode_16_64 0
		.amdhsa_float_denorm_mode_32 3
		.amdhsa_float_denorm_mode_16_64 3
		.amdhsa_dx10_clamp 1
		.amdhsa_ieee_mode 1
		.amdhsa_fp16_overflow 0
		.amdhsa_tg_split 0
		.amdhsa_exception_fp_ieee_invalid_op 0
		.amdhsa_exception_fp_denorm_src 0
		.amdhsa_exception_fp_ieee_div_zero 0
		.amdhsa_exception_fp_ieee_overflow 0
		.amdhsa_exception_fp_ieee_underflow 0
		.amdhsa_exception_fp_ieee_inexact 0
		.amdhsa_exception_int_div_zero 0
	.end_amdhsa_kernel
	.section	.text._ZN7rocprim17ROCPRIM_400000_NS6detail17trampoline_kernelINS0_14default_configENS1_29reduce_by_key_config_selectorIyyN6thrust23THRUST_200600_302600_NS4plusIyEEEEZZNS1_33reduce_by_key_impl_wrapped_configILNS1_25lookback_scan_determinismE0ES3_S9_NS6_6detail15normal_iteratorINS6_10device_ptrIyEEEESG_SG_SG_PmS8_22is_equal_div_10_reduceIyEEE10hipError_tPvRmT2_T3_mT4_T5_T6_T7_T8_P12ihipStream_tbENKUlT_T0_E_clISt17integral_constantIbLb1EES11_EEDaSW_SX_EUlSW_E_NS1_11comp_targetILNS1_3genE10ELNS1_11target_archE1201ELNS1_3gpuE5ELNS1_3repE0EEENS1_30default_config_static_selectorELNS0_4arch9wavefront6targetE1EEEvT1_,"axG",@progbits,_ZN7rocprim17ROCPRIM_400000_NS6detail17trampoline_kernelINS0_14default_configENS1_29reduce_by_key_config_selectorIyyN6thrust23THRUST_200600_302600_NS4plusIyEEEEZZNS1_33reduce_by_key_impl_wrapped_configILNS1_25lookback_scan_determinismE0ES3_S9_NS6_6detail15normal_iteratorINS6_10device_ptrIyEEEESG_SG_SG_PmS8_22is_equal_div_10_reduceIyEEE10hipError_tPvRmT2_T3_mT4_T5_T6_T7_T8_P12ihipStream_tbENKUlT_T0_E_clISt17integral_constantIbLb1EES11_EEDaSW_SX_EUlSW_E_NS1_11comp_targetILNS1_3genE10ELNS1_11target_archE1201ELNS1_3gpuE5ELNS1_3repE0EEENS1_30default_config_static_selectorELNS0_4arch9wavefront6targetE1EEEvT1_,comdat
.Lfunc_end291:
	.size	_ZN7rocprim17ROCPRIM_400000_NS6detail17trampoline_kernelINS0_14default_configENS1_29reduce_by_key_config_selectorIyyN6thrust23THRUST_200600_302600_NS4plusIyEEEEZZNS1_33reduce_by_key_impl_wrapped_configILNS1_25lookback_scan_determinismE0ES3_S9_NS6_6detail15normal_iteratorINS6_10device_ptrIyEEEESG_SG_SG_PmS8_22is_equal_div_10_reduceIyEEE10hipError_tPvRmT2_T3_mT4_T5_T6_T7_T8_P12ihipStream_tbENKUlT_T0_E_clISt17integral_constantIbLb1EES11_EEDaSW_SX_EUlSW_E_NS1_11comp_targetILNS1_3genE10ELNS1_11target_archE1201ELNS1_3gpuE5ELNS1_3repE0EEENS1_30default_config_static_selectorELNS0_4arch9wavefront6targetE1EEEvT1_, .Lfunc_end291-_ZN7rocprim17ROCPRIM_400000_NS6detail17trampoline_kernelINS0_14default_configENS1_29reduce_by_key_config_selectorIyyN6thrust23THRUST_200600_302600_NS4plusIyEEEEZZNS1_33reduce_by_key_impl_wrapped_configILNS1_25lookback_scan_determinismE0ES3_S9_NS6_6detail15normal_iteratorINS6_10device_ptrIyEEEESG_SG_SG_PmS8_22is_equal_div_10_reduceIyEEE10hipError_tPvRmT2_T3_mT4_T5_T6_T7_T8_P12ihipStream_tbENKUlT_T0_E_clISt17integral_constantIbLb1EES11_EEDaSW_SX_EUlSW_E_NS1_11comp_targetILNS1_3genE10ELNS1_11target_archE1201ELNS1_3gpuE5ELNS1_3repE0EEENS1_30default_config_static_selectorELNS0_4arch9wavefront6targetE1EEEvT1_
                                        ; -- End function
	.section	.AMDGPU.csdata,"",@progbits
; Kernel info:
; codeLenInByte = 0
; NumSgprs: 4
; NumVgprs: 0
; NumAgprs: 0
; TotalNumVgprs: 0
; ScratchSize: 0
; MemoryBound: 0
; FloatMode: 240
; IeeeMode: 1
; LDSByteSize: 0 bytes/workgroup (compile time only)
; SGPRBlocks: 0
; VGPRBlocks: 0
; NumSGPRsForWavesPerEU: 4
; NumVGPRsForWavesPerEU: 1
; AccumOffset: 4
; Occupancy: 8
; WaveLimiterHint : 0
; COMPUTE_PGM_RSRC2:SCRATCH_EN: 0
; COMPUTE_PGM_RSRC2:USER_SGPR: 6
; COMPUTE_PGM_RSRC2:TRAP_HANDLER: 0
; COMPUTE_PGM_RSRC2:TGID_X_EN: 1
; COMPUTE_PGM_RSRC2:TGID_Y_EN: 0
; COMPUTE_PGM_RSRC2:TGID_Z_EN: 0
; COMPUTE_PGM_RSRC2:TIDIG_COMP_CNT: 0
; COMPUTE_PGM_RSRC3_GFX90A:ACCUM_OFFSET: 0
; COMPUTE_PGM_RSRC3_GFX90A:TG_SPLIT: 0
	.section	.text._ZN7rocprim17ROCPRIM_400000_NS6detail17trampoline_kernelINS0_14default_configENS1_29reduce_by_key_config_selectorIyyN6thrust23THRUST_200600_302600_NS4plusIyEEEEZZNS1_33reduce_by_key_impl_wrapped_configILNS1_25lookback_scan_determinismE0ES3_S9_NS6_6detail15normal_iteratorINS6_10device_ptrIyEEEESG_SG_SG_PmS8_22is_equal_div_10_reduceIyEEE10hipError_tPvRmT2_T3_mT4_T5_T6_T7_T8_P12ihipStream_tbENKUlT_T0_E_clISt17integral_constantIbLb1EES11_EEDaSW_SX_EUlSW_E_NS1_11comp_targetILNS1_3genE10ELNS1_11target_archE1200ELNS1_3gpuE4ELNS1_3repE0EEENS1_30default_config_static_selectorELNS0_4arch9wavefront6targetE1EEEvT1_,"axG",@progbits,_ZN7rocprim17ROCPRIM_400000_NS6detail17trampoline_kernelINS0_14default_configENS1_29reduce_by_key_config_selectorIyyN6thrust23THRUST_200600_302600_NS4plusIyEEEEZZNS1_33reduce_by_key_impl_wrapped_configILNS1_25lookback_scan_determinismE0ES3_S9_NS6_6detail15normal_iteratorINS6_10device_ptrIyEEEESG_SG_SG_PmS8_22is_equal_div_10_reduceIyEEE10hipError_tPvRmT2_T3_mT4_T5_T6_T7_T8_P12ihipStream_tbENKUlT_T0_E_clISt17integral_constantIbLb1EES11_EEDaSW_SX_EUlSW_E_NS1_11comp_targetILNS1_3genE10ELNS1_11target_archE1200ELNS1_3gpuE4ELNS1_3repE0EEENS1_30default_config_static_selectorELNS0_4arch9wavefront6targetE1EEEvT1_,comdat
	.protected	_ZN7rocprim17ROCPRIM_400000_NS6detail17trampoline_kernelINS0_14default_configENS1_29reduce_by_key_config_selectorIyyN6thrust23THRUST_200600_302600_NS4plusIyEEEEZZNS1_33reduce_by_key_impl_wrapped_configILNS1_25lookback_scan_determinismE0ES3_S9_NS6_6detail15normal_iteratorINS6_10device_ptrIyEEEESG_SG_SG_PmS8_22is_equal_div_10_reduceIyEEE10hipError_tPvRmT2_T3_mT4_T5_T6_T7_T8_P12ihipStream_tbENKUlT_T0_E_clISt17integral_constantIbLb1EES11_EEDaSW_SX_EUlSW_E_NS1_11comp_targetILNS1_3genE10ELNS1_11target_archE1200ELNS1_3gpuE4ELNS1_3repE0EEENS1_30default_config_static_selectorELNS0_4arch9wavefront6targetE1EEEvT1_ ; -- Begin function _ZN7rocprim17ROCPRIM_400000_NS6detail17trampoline_kernelINS0_14default_configENS1_29reduce_by_key_config_selectorIyyN6thrust23THRUST_200600_302600_NS4plusIyEEEEZZNS1_33reduce_by_key_impl_wrapped_configILNS1_25lookback_scan_determinismE0ES3_S9_NS6_6detail15normal_iteratorINS6_10device_ptrIyEEEESG_SG_SG_PmS8_22is_equal_div_10_reduceIyEEE10hipError_tPvRmT2_T3_mT4_T5_T6_T7_T8_P12ihipStream_tbENKUlT_T0_E_clISt17integral_constantIbLb1EES11_EEDaSW_SX_EUlSW_E_NS1_11comp_targetILNS1_3genE10ELNS1_11target_archE1200ELNS1_3gpuE4ELNS1_3repE0EEENS1_30default_config_static_selectorELNS0_4arch9wavefront6targetE1EEEvT1_
	.globl	_ZN7rocprim17ROCPRIM_400000_NS6detail17trampoline_kernelINS0_14default_configENS1_29reduce_by_key_config_selectorIyyN6thrust23THRUST_200600_302600_NS4plusIyEEEEZZNS1_33reduce_by_key_impl_wrapped_configILNS1_25lookback_scan_determinismE0ES3_S9_NS6_6detail15normal_iteratorINS6_10device_ptrIyEEEESG_SG_SG_PmS8_22is_equal_div_10_reduceIyEEE10hipError_tPvRmT2_T3_mT4_T5_T6_T7_T8_P12ihipStream_tbENKUlT_T0_E_clISt17integral_constantIbLb1EES11_EEDaSW_SX_EUlSW_E_NS1_11comp_targetILNS1_3genE10ELNS1_11target_archE1200ELNS1_3gpuE4ELNS1_3repE0EEENS1_30default_config_static_selectorELNS0_4arch9wavefront6targetE1EEEvT1_
	.p2align	8
	.type	_ZN7rocprim17ROCPRIM_400000_NS6detail17trampoline_kernelINS0_14default_configENS1_29reduce_by_key_config_selectorIyyN6thrust23THRUST_200600_302600_NS4plusIyEEEEZZNS1_33reduce_by_key_impl_wrapped_configILNS1_25lookback_scan_determinismE0ES3_S9_NS6_6detail15normal_iteratorINS6_10device_ptrIyEEEESG_SG_SG_PmS8_22is_equal_div_10_reduceIyEEE10hipError_tPvRmT2_T3_mT4_T5_T6_T7_T8_P12ihipStream_tbENKUlT_T0_E_clISt17integral_constantIbLb1EES11_EEDaSW_SX_EUlSW_E_NS1_11comp_targetILNS1_3genE10ELNS1_11target_archE1200ELNS1_3gpuE4ELNS1_3repE0EEENS1_30default_config_static_selectorELNS0_4arch9wavefront6targetE1EEEvT1_,@function
_ZN7rocprim17ROCPRIM_400000_NS6detail17trampoline_kernelINS0_14default_configENS1_29reduce_by_key_config_selectorIyyN6thrust23THRUST_200600_302600_NS4plusIyEEEEZZNS1_33reduce_by_key_impl_wrapped_configILNS1_25lookback_scan_determinismE0ES3_S9_NS6_6detail15normal_iteratorINS6_10device_ptrIyEEEESG_SG_SG_PmS8_22is_equal_div_10_reduceIyEEE10hipError_tPvRmT2_T3_mT4_T5_T6_T7_T8_P12ihipStream_tbENKUlT_T0_E_clISt17integral_constantIbLb1EES11_EEDaSW_SX_EUlSW_E_NS1_11comp_targetILNS1_3genE10ELNS1_11target_archE1200ELNS1_3gpuE4ELNS1_3repE0EEENS1_30default_config_static_selectorELNS0_4arch9wavefront6targetE1EEEvT1_: ; @_ZN7rocprim17ROCPRIM_400000_NS6detail17trampoline_kernelINS0_14default_configENS1_29reduce_by_key_config_selectorIyyN6thrust23THRUST_200600_302600_NS4plusIyEEEEZZNS1_33reduce_by_key_impl_wrapped_configILNS1_25lookback_scan_determinismE0ES3_S9_NS6_6detail15normal_iteratorINS6_10device_ptrIyEEEESG_SG_SG_PmS8_22is_equal_div_10_reduceIyEEE10hipError_tPvRmT2_T3_mT4_T5_T6_T7_T8_P12ihipStream_tbENKUlT_T0_E_clISt17integral_constantIbLb1EES11_EEDaSW_SX_EUlSW_E_NS1_11comp_targetILNS1_3genE10ELNS1_11target_archE1200ELNS1_3gpuE4ELNS1_3repE0EEENS1_30default_config_static_selectorELNS0_4arch9wavefront6targetE1EEEvT1_
; %bb.0:
	.section	.rodata,"a",@progbits
	.p2align	6, 0x0
	.amdhsa_kernel _ZN7rocprim17ROCPRIM_400000_NS6detail17trampoline_kernelINS0_14default_configENS1_29reduce_by_key_config_selectorIyyN6thrust23THRUST_200600_302600_NS4plusIyEEEEZZNS1_33reduce_by_key_impl_wrapped_configILNS1_25lookback_scan_determinismE0ES3_S9_NS6_6detail15normal_iteratorINS6_10device_ptrIyEEEESG_SG_SG_PmS8_22is_equal_div_10_reduceIyEEE10hipError_tPvRmT2_T3_mT4_T5_T6_T7_T8_P12ihipStream_tbENKUlT_T0_E_clISt17integral_constantIbLb1EES11_EEDaSW_SX_EUlSW_E_NS1_11comp_targetILNS1_3genE10ELNS1_11target_archE1200ELNS1_3gpuE4ELNS1_3repE0EEENS1_30default_config_static_selectorELNS0_4arch9wavefront6targetE1EEEvT1_
		.amdhsa_group_segment_fixed_size 0
		.amdhsa_private_segment_fixed_size 0
		.amdhsa_kernarg_size 136
		.amdhsa_user_sgpr_count 6
		.amdhsa_user_sgpr_private_segment_buffer 1
		.amdhsa_user_sgpr_dispatch_ptr 0
		.amdhsa_user_sgpr_queue_ptr 0
		.amdhsa_user_sgpr_kernarg_segment_ptr 1
		.amdhsa_user_sgpr_dispatch_id 0
		.amdhsa_user_sgpr_flat_scratch_init 0
		.amdhsa_user_sgpr_kernarg_preload_length 0
		.amdhsa_user_sgpr_kernarg_preload_offset 0
		.amdhsa_user_sgpr_private_segment_size 0
		.amdhsa_uses_dynamic_stack 0
		.amdhsa_system_sgpr_private_segment_wavefront_offset 0
		.amdhsa_system_sgpr_workgroup_id_x 1
		.amdhsa_system_sgpr_workgroup_id_y 0
		.amdhsa_system_sgpr_workgroup_id_z 0
		.amdhsa_system_sgpr_workgroup_info 0
		.amdhsa_system_vgpr_workitem_id 0
		.amdhsa_next_free_vgpr 1
		.amdhsa_next_free_sgpr 0
		.amdhsa_accum_offset 4
		.amdhsa_reserve_vcc 0
		.amdhsa_reserve_flat_scratch 0
		.amdhsa_float_round_mode_32 0
		.amdhsa_float_round_mode_16_64 0
		.amdhsa_float_denorm_mode_32 3
		.amdhsa_float_denorm_mode_16_64 3
		.amdhsa_dx10_clamp 1
		.amdhsa_ieee_mode 1
		.amdhsa_fp16_overflow 0
		.amdhsa_tg_split 0
		.amdhsa_exception_fp_ieee_invalid_op 0
		.amdhsa_exception_fp_denorm_src 0
		.amdhsa_exception_fp_ieee_div_zero 0
		.amdhsa_exception_fp_ieee_overflow 0
		.amdhsa_exception_fp_ieee_underflow 0
		.amdhsa_exception_fp_ieee_inexact 0
		.amdhsa_exception_int_div_zero 0
	.end_amdhsa_kernel
	.section	.text._ZN7rocprim17ROCPRIM_400000_NS6detail17trampoline_kernelINS0_14default_configENS1_29reduce_by_key_config_selectorIyyN6thrust23THRUST_200600_302600_NS4plusIyEEEEZZNS1_33reduce_by_key_impl_wrapped_configILNS1_25lookback_scan_determinismE0ES3_S9_NS6_6detail15normal_iteratorINS6_10device_ptrIyEEEESG_SG_SG_PmS8_22is_equal_div_10_reduceIyEEE10hipError_tPvRmT2_T3_mT4_T5_T6_T7_T8_P12ihipStream_tbENKUlT_T0_E_clISt17integral_constantIbLb1EES11_EEDaSW_SX_EUlSW_E_NS1_11comp_targetILNS1_3genE10ELNS1_11target_archE1200ELNS1_3gpuE4ELNS1_3repE0EEENS1_30default_config_static_selectorELNS0_4arch9wavefront6targetE1EEEvT1_,"axG",@progbits,_ZN7rocprim17ROCPRIM_400000_NS6detail17trampoline_kernelINS0_14default_configENS1_29reduce_by_key_config_selectorIyyN6thrust23THRUST_200600_302600_NS4plusIyEEEEZZNS1_33reduce_by_key_impl_wrapped_configILNS1_25lookback_scan_determinismE0ES3_S9_NS6_6detail15normal_iteratorINS6_10device_ptrIyEEEESG_SG_SG_PmS8_22is_equal_div_10_reduceIyEEE10hipError_tPvRmT2_T3_mT4_T5_T6_T7_T8_P12ihipStream_tbENKUlT_T0_E_clISt17integral_constantIbLb1EES11_EEDaSW_SX_EUlSW_E_NS1_11comp_targetILNS1_3genE10ELNS1_11target_archE1200ELNS1_3gpuE4ELNS1_3repE0EEENS1_30default_config_static_selectorELNS0_4arch9wavefront6targetE1EEEvT1_,comdat
.Lfunc_end292:
	.size	_ZN7rocprim17ROCPRIM_400000_NS6detail17trampoline_kernelINS0_14default_configENS1_29reduce_by_key_config_selectorIyyN6thrust23THRUST_200600_302600_NS4plusIyEEEEZZNS1_33reduce_by_key_impl_wrapped_configILNS1_25lookback_scan_determinismE0ES3_S9_NS6_6detail15normal_iteratorINS6_10device_ptrIyEEEESG_SG_SG_PmS8_22is_equal_div_10_reduceIyEEE10hipError_tPvRmT2_T3_mT4_T5_T6_T7_T8_P12ihipStream_tbENKUlT_T0_E_clISt17integral_constantIbLb1EES11_EEDaSW_SX_EUlSW_E_NS1_11comp_targetILNS1_3genE10ELNS1_11target_archE1200ELNS1_3gpuE4ELNS1_3repE0EEENS1_30default_config_static_selectorELNS0_4arch9wavefront6targetE1EEEvT1_, .Lfunc_end292-_ZN7rocprim17ROCPRIM_400000_NS6detail17trampoline_kernelINS0_14default_configENS1_29reduce_by_key_config_selectorIyyN6thrust23THRUST_200600_302600_NS4plusIyEEEEZZNS1_33reduce_by_key_impl_wrapped_configILNS1_25lookback_scan_determinismE0ES3_S9_NS6_6detail15normal_iteratorINS6_10device_ptrIyEEEESG_SG_SG_PmS8_22is_equal_div_10_reduceIyEEE10hipError_tPvRmT2_T3_mT4_T5_T6_T7_T8_P12ihipStream_tbENKUlT_T0_E_clISt17integral_constantIbLb1EES11_EEDaSW_SX_EUlSW_E_NS1_11comp_targetILNS1_3genE10ELNS1_11target_archE1200ELNS1_3gpuE4ELNS1_3repE0EEENS1_30default_config_static_selectorELNS0_4arch9wavefront6targetE1EEEvT1_
                                        ; -- End function
	.section	.AMDGPU.csdata,"",@progbits
; Kernel info:
; codeLenInByte = 0
; NumSgprs: 4
; NumVgprs: 0
; NumAgprs: 0
; TotalNumVgprs: 0
; ScratchSize: 0
; MemoryBound: 0
; FloatMode: 240
; IeeeMode: 1
; LDSByteSize: 0 bytes/workgroup (compile time only)
; SGPRBlocks: 0
; VGPRBlocks: 0
; NumSGPRsForWavesPerEU: 4
; NumVGPRsForWavesPerEU: 1
; AccumOffset: 4
; Occupancy: 8
; WaveLimiterHint : 0
; COMPUTE_PGM_RSRC2:SCRATCH_EN: 0
; COMPUTE_PGM_RSRC2:USER_SGPR: 6
; COMPUTE_PGM_RSRC2:TRAP_HANDLER: 0
; COMPUTE_PGM_RSRC2:TGID_X_EN: 1
; COMPUTE_PGM_RSRC2:TGID_Y_EN: 0
; COMPUTE_PGM_RSRC2:TGID_Z_EN: 0
; COMPUTE_PGM_RSRC2:TIDIG_COMP_CNT: 0
; COMPUTE_PGM_RSRC3_GFX90A:ACCUM_OFFSET: 0
; COMPUTE_PGM_RSRC3_GFX90A:TG_SPLIT: 0
	.section	.text._ZN7rocprim17ROCPRIM_400000_NS6detail17trampoline_kernelINS0_14default_configENS1_29reduce_by_key_config_selectorIyyN6thrust23THRUST_200600_302600_NS4plusIyEEEEZZNS1_33reduce_by_key_impl_wrapped_configILNS1_25lookback_scan_determinismE0ES3_S9_NS6_6detail15normal_iteratorINS6_10device_ptrIyEEEESG_SG_SG_PmS8_22is_equal_div_10_reduceIyEEE10hipError_tPvRmT2_T3_mT4_T5_T6_T7_T8_P12ihipStream_tbENKUlT_T0_E_clISt17integral_constantIbLb1EES11_EEDaSW_SX_EUlSW_E_NS1_11comp_targetILNS1_3genE9ELNS1_11target_archE1100ELNS1_3gpuE3ELNS1_3repE0EEENS1_30default_config_static_selectorELNS0_4arch9wavefront6targetE1EEEvT1_,"axG",@progbits,_ZN7rocprim17ROCPRIM_400000_NS6detail17trampoline_kernelINS0_14default_configENS1_29reduce_by_key_config_selectorIyyN6thrust23THRUST_200600_302600_NS4plusIyEEEEZZNS1_33reduce_by_key_impl_wrapped_configILNS1_25lookback_scan_determinismE0ES3_S9_NS6_6detail15normal_iteratorINS6_10device_ptrIyEEEESG_SG_SG_PmS8_22is_equal_div_10_reduceIyEEE10hipError_tPvRmT2_T3_mT4_T5_T6_T7_T8_P12ihipStream_tbENKUlT_T0_E_clISt17integral_constantIbLb1EES11_EEDaSW_SX_EUlSW_E_NS1_11comp_targetILNS1_3genE9ELNS1_11target_archE1100ELNS1_3gpuE3ELNS1_3repE0EEENS1_30default_config_static_selectorELNS0_4arch9wavefront6targetE1EEEvT1_,comdat
	.protected	_ZN7rocprim17ROCPRIM_400000_NS6detail17trampoline_kernelINS0_14default_configENS1_29reduce_by_key_config_selectorIyyN6thrust23THRUST_200600_302600_NS4plusIyEEEEZZNS1_33reduce_by_key_impl_wrapped_configILNS1_25lookback_scan_determinismE0ES3_S9_NS6_6detail15normal_iteratorINS6_10device_ptrIyEEEESG_SG_SG_PmS8_22is_equal_div_10_reduceIyEEE10hipError_tPvRmT2_T3_mT4_T5_T6_T7_T8_P12ihipStream_tbENKUlT_T0_E_clISt17integral_constantIbLb1EES11_EEDaSW_SX_EUlSW_E_NS1_11comp_targetILNS1_3genE9ELNS1_11target_archE1100ELNS1_3gpuE3ELNS1_3repE0EEENS1_30default_config_static_selectorELNS0_4arch9wavefront6targetE1EEEvT1_ ; -- Begin function _ZN7rocprim17ROCPRIM_400000_NS6detail17trampoline_kernelINS0_14default_configENS1_29reduce_by_key_config_selectorIyyN6thrust23THRUST_200600_302600_NS4plusIyEEEEZZNS1_33reduce_by_key_impl_wrapped_configILNS1_25lookback_scan_determinismE0ES3_S9_NS6_6detail15normal_iteratorINS6_10device_ptrIyEEEESG_SG_SG_PmS8_22is_equal_div_10_reduceIyEEE10hipError_tPvRmT2_T3_mT4_T5_T6_T7_T8_P12ihipStream_tbENKUlT_T0_E_clISt17integral_constantIbLb1EES11_EEDaSW_SX_EUlSW_E_NS1_11comp_targetILNS1_3genE9ELNS1_11target_archE1100ELNS1_3gpuE3ELNS1_3repE0EEENS1_30default_config_static_selectorELNS0_4arch9wavefront6targetE1EEEvT1_
	.globl	_ZN7rocprim17ROCPRIM_400000_NS6detail17trampoline_kernelINS0_14default_configENS1_29reduce_by_key_config_selectorIyyN6thrust23THRUST_200600_302600_NS4plusIyEEEEZZNS1_33reduce_by_key_impl_wrapped_configILNS1_25lookback_scan_determinismE0ES3_S9_NS6_6detail15normal_iteratorINS6_10device_ptrIyEEEESG_SG_SG_PmS8_22is_equal_div_10_reduceIyEEE10hipError_tPvRmT2_T3_mT4_T5_T6_T7_T8_P12ihipStream_tbENKUlT_T0_E_clISt17integral_constantIbLb1EES11_EEDaSW_SX_EUlSW_E_NS1_11comp_targetILNS1_3genE9ELNS1_11target_archE1100ELNS1_3gpuE3ELNS1_3repE0EEENS1_30default_config_static_selectorELNS0_4arch9wavefront6targetE1EEEvT1_
	.p2align	8
	.type	_ZN7rocprim17ROCPRIM_400000_NS6detail17trampoline_kernelINS0_14default_configENS1_29reduce_by_key_config_selectorIyyN6thrust23THRUST_200600_302600_NS4plusIyEEEEZZNS1_33reduce_by_key_impl_wrapped_configILNS1_25lookback_scan_determinismE0ES3_S9_NS6_6detail15normal_iteratorINS6_10device_ptrIyEEEESG_SG_SG_PmS8_22is_equal_div_10_reduceIyEEE10hipError_tPvRmT2_T3_mT4_T5_T6_T7_T8_P12ihipStream_tbENKUlT_T0_E_clISt17integral_constantIbLb1EES11_EEDaSW_SX_EUlSW_E_NS1_11comp_targetILNS1_3genE9ELNS1_11target_archE1100ELNS1_3gpuE3ELNS1_3repE0EEENS1_30default_config_static_selectorELNS0_4arch9wavefront6targetE1EEEvT1_,@function
_ZN7rocprim17ROCPRIM_400000_NS6detail17trampoline_kernelINS0_14default_configENS1_29reduce_by_key_config_selectorIyyN6thrust23THRUST_200600_302600_NS4plusIyEEEEZZNS1_33reduce_by_key_impl_wrapped_configILNS1_25lookback_scan_determinismE0ES3_S9_NS6_6detail15normal_iteratorINS6_10device_ptrIyEEEESG_SG_SG_PmS8_22is_equal_div_10_reduceIyEEE10hipError_tPvRmT2_T3_mT4_T5_T6_T7_T8_P12ihipStream_tbENKUlT_T0_E_clISt17integral_constantIbLb1EES11_EEDaSW_SX_EUlSW_E_NS1_11comp_targetILNS1_3genE9ELNS1_11target_archE1100ELNS1_3gpuE3ELNS1_3repE0EEENS1_30default_config_static_selectorELNS0_4arch9wavefront6targetE1EEEvT1_: ; @_ZN7rocprim17ROCPRIM_400000_NS6detail17trampoline_kernelINS0_14default_configENS1_29reduce_by_key_config_selectorIyyN6thrust23THRUST_200600_302600_NS4plusIyEEEEZZNS1_33reduce_by_key_impl_wrapped_configILNS1_25lookback_scan_determinismE0ES3_S9_NS6_6detail15normal_iteratorINS6_10device_ptrIyEEEESG_SG_SG_PmS8_22is_equal_div_10_reduceIyEEE10hipError_tPvRmT2_T3_mT4_T5_T6_T7_T8_P12ihipStream_tbENKUlT_T0_E_clISt17integral_constantIbLb1EES11_EEDaSW_SX_EUlSW_E_NS1_11comp_targetILNS1_3genE9ELNS1_11target_archE1100ELNS1_3gpuE3ELNS1_3repE0EEENS1_30default_config_static_selectorELNS0_4arch9wavefront6targetE1EEEvT1_
; %bb.0:
	.section	.rodata,"a",@progbits
	.p2align	6, 0x0
	.amdhsa_kernel _ZN7rocprim17ROCPRIM_400000_NS6detail17trampoline_kernelINS0_14default_configENS1_29reduce_by_key_config_selectorIyyN6thrust23THRUST_200600_302600_NS4plusIyEEEEZZNS1_33reduce_by_key_impl_wrapped_configILNS1_25lookback_scan_determinismE0ES3_S9_NS6_6detail15normal_iteratorINS6_10device_ptrIyEEEESG_SG_SG_PmS8_22is_equal_div_10_reduceIyEEE10hipError_tPvRmT2_T3_mT4_T5_T6_T7_T8_P12ihipStream_tbENKUlT_T0_E_clISt17integral_constantIbLb1EES11_EEDaSW_SX_EUlSW_E_NS1_11comp_targetILNS1_3genE9ELNS1_11target_archE1100ELNS1_3gpuE3ELNS1_3repE0EEENS1_30default_config_static_selectorELNS0_4arch9wavefront6targetE1EEEvT1_
		.amdhsa_group_segment_fixed_size 0
		.amdhsa_private_segment_fixed_size 0
		.amdhsa_kernarg_size 136
		.amdhsa_user_sgpr_count 6
		.amdhsa_user_sgpr_private_segment_buffer 1
		.amdhsa_user_sgpr_dispatch_ptr 0
		.amdhsa_user_sgpr_queue_ptr 0
		.amdhsa_user_sgpr_kernarg_segment_ptr 1
		.amdhsa_user_sgpr_dispatch_id 0
		.amdhsa_user_sgpr_flat_scratch_init 0
		.amdhsa_user_sgpr_kernarg_preload_length 0
		.amdhsa_user_sgpr_kernarg_preload_offset 0
		.amdhsa_user_sgpr_private_segment_size 0
		.amdhsa_uses_dynamic_stack 0
		.amdhsa_system_sgpr_private_segment_wavefront_offset 0
		.amdhsa_system_sgpr_workgroup_id_x 1
		.amdhsa_system_sgpr_workgroup_id_y 0
		.amdhsa_system_sgpr_workgroup_id_z 0
		.amdhsa_system_sgpr_workgroup_info 0
		.amdhsa_system_vgpr_workitem_id 0
		.amdhsa_next_free_vgpr 1
		.amdhsa_next_free_sgpr 0
		.amdhsa_accum_offset 4
		.amdhsa_reserve_vcc 0
		.amdhsa_reserve_flat_scratch 0
		.amdhsa_float_round_mode_32 0
		.amdhsa_float_round_mode_16_64 0
		.amdhsa_float_denorm_mode_32 3
		.amdhsa_float_denorm_mode_16_64 3
		.amdhsa_dx10_clamp 1
		.amdhsa_ieee_mode 1
		.amdhsa_fp16_overflow 0
		.amdhsa_tg_split 0
		.amdhsa_exception_fp_ieee_invalid_op 0
		.amdhsa_exception_fp_denorm_src 0
		.amdhsa_exception_fp_ieee_div_zero 0
		.amdhsa_exception_fp_ieee_overflow 0
		.amdhsa_exception_fp_ieee_underflow 0
		.amdhsa_exception_fp_ieee_inexact 0
		.amdhsa_exception_int_div_zero 0
	.end_amdhsa_kernel
	.section	.text._ZN7rocprim17ROCPRIM_400000_NS6detail17trampoline_kernelINS0_14default_configENS1_29reduce_by_key_config_selectorIyyN6thrust23THRUST_200600_302600_NS4plusIyEEEEZZNS1_33reduce_by_key_impl_wrapped_configILNS1_25lookback_scan_determinismE0ES3_S9_NS6_6detail15normal_iteratorINS6_10device_ptrIyEEEESG_SG_SG_PmS8_22is_equal_div_10_reduceIyEEE10hipError_tPvRmT2_T3_mT4_T5_T6_T7_T8_P12ihipStream_tbENKUlT_T0_E_clISt17integral_constantIbLb1EES11_EEDaSW_SX_EUlSW_E_NS1_11comp_targetILNS1_3genE9ELNS1_11target_archE1100ELNS1_3gpuE3ELNS1_3repE0EEENS1_30default_config_static_selectorELNS0_4arch9wavefront6targetE1EEEvT1_,"axG",@progbits,_ZN7rocprim17ROCPRIM_400000_NS6detail17trampoline_kernelINS0_14default_configENS1_29reduce_by_key_config_selectorIyyN6thrust23THRUST_200600_302600_NS4plusIyEEEEZZNS1_33reduce_by_key_impl_wrapped_configILNS1_25lookback_scan_determinismE0ES3_S9_NS6_6detail15normal_iteratorINS6_10device_ptrIyEEEESG_SG_SG_PmS8_22is_equal_div_10_reduceIyEEE10hipError_tPvRmT2_T3_mT4_T5_T6_T7_T8_P12ihipStream_tbENKUlT_T0_E_clISt17integral_constantIbLb1EES11_EEDaSW_SX_EUlSW_E_NS1_11comp_targetILNS1_3genE9ELNS1_11target_archE1100ELNS1_3gpuE3ELNS1_3repE0EEENS1_30default_config_static_selectorELNS0_4arch9wavefront6targetE1EEEvT1_,comdat
.Lfunc_end293:
	.size	_ZN7rocprim17ROCPRIM_400000_NS6detail17trampoline_kernelINS0_14default_configENS1_29reduce_by_key_config_selectorIyyN6thrust23THRUST_200600_302600_NS4plusIyEEEEZZNS1_33reduce_by_key_impl_wrapped_configILNS1_25lookback_scan_determinismE0ES3_S9_NS6_6detail15normal_iteratorINS6_10device_ptrIyEEEESG_SG_SG_PmS8_22is_equal_div_10_reduceIyEEE10hipError_tPvRmT2_T3_mT4_T5_T6_T7_T8_P12ihipStream_tbENKUlT_T0_E_clISt17integral_constantIbLb1EES11_EEDaSW_SX_EUlSW_E_NS1_11comp_targetILNS1_3genE9ELNS1_11target_archE1100ELNS1_3gpuE3ELNS1_3repE0EEENS1_30default_config_static_selectorELNS0_4arch9wavefront6targetE1EEEvT1_, .Lfunc_end293-_ZN7rocprim17ROCPRIM_400000_NS6detail17trampoline_kernelINS0_14default_configENS1_29reduce_by_key_config_selectorIyyN6thrust23THRUST_200600_302600_NS4plusIyEEEEZZNS1_33reduce_by_key_impl_wrapped_configILNS1_25lookback_scan_determinismE0ES3_S9_NS6_6detail15normal_iteratorINS6_10device_ptrIyEEEESG_SG_SG_PmS8_22is_equal_div_10_reduceIyEEE10hipError_tPvRmT2_T3_mT4_T5_T6_T7_T8_P12ihipStream_tbENKUlT_T0_E_clISt17integral_constantIbLb1EES11_EEDaSW_SX_EUlSW_E_NS1_11comp_targetILNS1_3genE9ELNS1_11target_archE1100ELNS1_3gpuE3ELNS1_3repE0EEENS1_30default_config_static_selectorELNS0_4arch9wavefront6targetE1EEEvT1_
                                        ; -- End function
	.section	.AMDGPU.csdata,"",@progbits
; Kernel info:
; codeLenInByte = 0
; NumSgprs: 4
; NumVgprs: 0
; NumAgprs: 0
; TotalNumVgprs: 0
; ScratchSize: 0
; MemoryBound: 0
; FloatMode: 240
; IeeeMode: 1
; LDSByteSize: 0 bytes/workgroup (compile time only)
; SGPRBlocks: 0
; VGPRBlocks: 0
; NumSGPRsForWavesPerEU: 4
; NumVGPRsForWavesPerEU: 1
; AccumOffset: 4
; Occupancy: 8
; WaveLimiterHint : 0
; COMPUTE_PGM_RSRC2:SCRATCH_EN: 0
; COMPUTE_PGM_RSRC2:USER_SGPR: 6
; COMPUTE_PGM_RSRC2:TRAP_HANDLER: 0
; COMPUTE_PGM_RSRC2:TGID_X_EN: 1
; COMPUTE_PGM_RSRC2:TGID_Y_EN: 0
; COMPUTE_PGM_RSRC2:TGID_Z_EN: 0
; COMPUTE_PGM_RSRC2:TIDIG_COMP_CNT: 0
; COMPUTE_PGM_RSRC3_GFX90A:ACCUM_OFFSET: 0
; COMPUTE_PGM_RSRC3_GFX90A:TG_SPLIT: 0
	.section	.text._ZN7rocprim17ROCPRIM_400000_NS6detail17trampoline_kernelINS0_14default_configENS1_29reduce_by_key_config_selectorIyyN6thrust23THRUST_200600_302600_NS4plusIyEEEEZZNS1_33reduce_by_key_impl_wrapped_configILNS1_25lookback_scan_determinismE0ES3_S9_NS6_6detail15normal_iteratorINS6_10device_ptrIyEEEESG_SG_SG_PmS8_22is_equal_div_10_reduceIyEEE10hipError_tPvRmT2_T3_mT4_T5_T6_T7_T8_P12ihipStream_tbENKUlT_T0_E_clISt17integral_constantIbLb1EES11_EEDaSW_SX_EUlSW_E_NS1_11comp_targetILNS1_3genE8ELNS1_11target_archE1030ELNS1_3gpuE2ELNS1_3repE0EEENS1_30default_config_static_selectorELNS0_4arch9wavefront6targetE1EEEvT1_,"axG",@progbits,_ZN7rocprim17ROCPRIM_400000_NS6detail17trampoline_kernelINS0_14default_configENS1_29reduce_by_key_config_selectorIyyN6thrust23THRUST_200600_302600_NS4plusIyEEEEZZNS1_33reduce_by_key_impl_wrapped_configILNS1_25lookback_scan_determinismE0ES3_S9_NS6_6detail15normal_iteratorINS6_10device_ptrIyEEEESG_SG_SG_PmS8_22is_equal_div_10_reduceIyEEE10hipError_tPvRmT2_T3_mT4_T5_T6_T7_T8_P12ihipStream_tbENKUlT_T0_E_clISt17integral_constantIbLb1EES11_EEDaSW_SX_EUlSW_E_NS1_11comp_targetILNS1_3genE8ELNS1_11target_archE1030ELNS1_3gpuE2ELNS1_3repE0EEENS1_30default_config_static_selectorELNS0_4arch9wavefront6targetE1EEEvT1_,comdat
	.protected	_ZN7rocprim17ROCPRIM_400000_NS6detail17trampoline_kernelINS0_14default_configENS1_29reduce_by_key_config_selectorIyyN6thrust23THRUST_200600_302600_NS4plusIyEEEEZZNS1_33reduce_by_key_impl_wrapped_configILNS1_25lookback_scan_determinismE0ES3_S9_NS6_6detail15normal_iteratorINS6_10device_ptrIyEEEESG_SG_SG_PmS8_22is_equal_div_10_reduceIyEEE10hipError_tPvRmT2_T3_mT4_T5_T6_T7_T8_P12ihipStream_tbENKUlT_T0_E_clISt17integral_constantIbLb1EES11_EEDaSW_SX_EUlSW_E_NS1_11comp_targetILNS1_3genE8ELNS1_11target_archE1030ELNS1_3gpuE2ELNS1_3repE0EEENS1_30default_config_static_selectorELNS0_4arch9wavefront6targetE1EEEvT1_ ; -- Begin function _ZN7rocprim17ROCPRIM_400000_NS6detail17trampoline_kernelINS0_14default_configENS1_29reduce_by_key_config_selectorIyyN6thrust23THRUST_200600_302600_NS4plusIyEEEEZZNS1_33reduce_by_key_impl_wrapped_configILNS1_25lookback_scan_determinismE0ES3_S9_NS6_6detail15normal_iteratorINS6_10device_ptrIyEEEESG_SG_SG_PmS8_22is_equal_div_10_reduceIyEEE10hipError_tPvRmT2_T3_mT4_T5_T6_T7_T8_P12ihipStream_tbENKUlT_T0_E_clISt17integral_constantIbLb1EES11_EEDaSW_SX_EUlSW_E_NS1_11comp_targetILNS1_3genE8ELNS1_11target_archE1030ELNS1_3gpuE2ELNS1_3repE0EEENS1_30default_config_static_selectorELNS0_4arch9wavefront6targetE1EEEvT1_
	.globl	_ZN7rocprim17ROCPRIM_400000_NS6detail17trampoline_kernelINS0_14default_configENS1_29reduce_by_key_config_selectorIyyN6thrust23THRUST_200600_302600_NS4plusIyEEEEZZNS1_33reduce_by_key_impl_wrapped_configILNS1_25lookback_scan_determinismE0ES3_S9_NS6_6detail15normal_iteratorINS6_10device_ptrIyEEEESG_SG_SG_PmS8_22is_equal_div_10_reduceIyEEE10hipError_tPvRmT2_T3_mT4_T5_T6_T7_T8_P12ihipStream_tbENKUlT_T0_E_clISt17integral_constantIbLb1EES11_EEDaSW_SX_EUlSW_E_NS1_11comp_targetILNS1_3genE8ELNS1_11target_archE1030ELNS1_3gpuE2ELNS1_3repE0EEENS1_30default_config_static_selectorELNS0_4arch9wavefront6targetE1EEEvT1_
	.p2align	8
	.type	_ZN7rocprim17ROCPRIM_400000_NS6detail17trampoline_kernelINS0_14default_configENS1_29reduce_by_key_config_selectorIyyN6thrust23THRUST_200600_302600_NS4plusIyEEEEZZNS1_33reduce_by_key_impl_wrapped_configILNS1_25lookback_scan_determinismE0ES3_S9_NS6_6detail15normal_iteratorINS6_10device_ptrIyEEEESG_SG_SG_PmS8_22is_equal_div_10_reduceIyEEE10hipError_tPvRmT2_T3_mT4_T5_T6_T7_T8_P12ihipStream_tbENKUlT_T0_E_clISt17integral_constantIbLb1EES11_EEDaSW_SX_EUlSW_E_NS1_11comp_targetILNS1_3genE8ELNS1_11target_archE1030ELNS1_3gpuE2ELNS1_3repE0EEENS1_30default_config_static_selectorELNS0_4arch9wavefront6targetE1EEEvT1_,@function
_ZN7rocprim17ROCPRIM_400000_NS6detail17trampoline_kernelINS0_14default_configENS1_29reduce_by_key_config_selectorIyyN6thrust23THRUST_200600_302600_NS4plusIyEEEEZZNS1_33reduce_by_key_impl_wrapped_configILNS1_25lookback_scan_determinismE0ES3_S9_NS6_6detail15normal_iteratorINS6_10device_ptrIyEEEESG_SG_SG_PmS8_22is_equal_div_10_reduceIyEEE10hipError_tPvRmT2_T3_mT4_T5_T6_T7_T8_P12ihipStream_tbENKUlT_T0_E_clISt17integral_constantIbLb1EES11_EEDaSW_SX_EUlSW_E_NS1_11comp_targetILNS1_3genE8ELNS1_11target_archE1030ELNS1_3gpuE2ELNS1_3repE0EEENS1_30default_config_static_selectorELNS0_4arch9wavefront6targetE1EEEvT1_: ; @_ZN7rocprim17ROCPRIM_400000_NS6detail17trampoline_kernelINS0_14default_configENS1_29reduce_by_key_config_selectorIyyN6thrust23THRUST_200600_302600_NS4plusIyEEEEZZNS1_33reduce_by_key_impl_wrapped_configILNS1_25lookback_scan_determinismE0ES3_S9_NS6_6detail15normal_iteratorINS6_10device_ptrIyEEEESG_SG_SG_PmS8_22is_equal_div_10_reduceIyEEE10hipError_tPvRmT2_T3_mT4_T5_T6_T7_T8_P12ihipStream_tbENKUlT_T0_E_clISt17integral_constantIbLb1EES11_EEDaSW_SX_EUlSW_E_NS1_11comp_targetILNS1_3genE8ELNS1_11target_archE1030ELNS1_3gpuE2ELNS1_3repE0EEENS1_30default_config_static_selectorELNS0_4arch9wavefront6targetE1EEEvT1_
; %bb.0:
	.section	.rodata,"a",@progbits
	.p2align	6, 0x0
	.amdhsa_kernel _ZN7rocprim17ROCPRIM_400000_NS6detail17trampoline_kernelINS0_14default_configENS1_29reduce_by_key_config_selectorIyyN6thrust23THRUST_200600_302600_NS4plusIyEEEEZZNS1_33reduce_by_key_impl_wrapped_configILNS1_25lookback_scan_determinismE0ES3_S9_NS6_6detail15normal_iteratorINS6_10device_ptrIyEEEESG_SG_SG_PmS8_22is_equal_div_10_reduceIyEEE10hipError_tPvRmT2_T3_mT4_T5_T6_T7_T8_P12ihipStream_tbENKUlT_T0_E_clISt17integral_constantIbLb1EES11_EEDaSW_SX_EUlSW_E_NS1_11comp_targetILNS1_3genE8ELNS1_11target_archE1030ELNS1_3gpuE2ELNS1_3repE0EEENS1_30default_config_static_selectorELNS0_4arch9wavefront6targetE1EEEvT1_
		.amdhsa_group_segment_fixed_size 0
		.amdhsa_private_segment_fixed_size 0
		.amdhsa_kernarg_size 136
		.amdhsa_user_sgpr_count 6
		.amdhsa_user_sgpr_private_segment_buffer 1
		.amdhsa_user_sgpr_dispatch_ptr 0
		.amdhsa_user_sgpr_queue_ptr 0
		.amdhsa_user_sgpr_kernarg_segment_ptr 1
		.amdhsa_user_sgpr_dispatch_id 0
		.amdhsa_user_sgpr_flat_scratch_init 0
		.amdhsa_user_sgpr_kernarg_preload_length 0
		.amdhsa_user_sgpr_kernarg_preload_offset 0
		.amdhsa_user_sgpr_private_segment_size 0
		.amdhsa_uses_dynamic_stack 0
		.amdhsa_system_sgpr_private_segment_wavefront_offset 0
		.amdhsa_system_sgpr_workgroup_id_x 1
		.amdhsa_system_sgpr_workgroup_id_y 0
		.amdhsa_system_sgpr_workgroup_id_z 0
		.amdhsa_system_sgpr_workgroup_info 0
		.amdhsa_system_vgpr_workitem_id 0
		.amdhsa_next_free_vgpr 1
		.amdhsa_next_free_sgpr 0
		.amdhsa_accum_offset 4
		.amdhsa_reserve_vcc 0
		.amdhsa_reserve_flat_scratch 0
		.amdhsa_float_round_mode_32 0
		.amdhsa_float_round_mode_16_64 0
		.amdhsa_float_denorm_mode_32 3
		.amdhsa_float_denorm_mode_16_64 3
		.amdhsa_dx10_clamp 1
		.amdhsa_ieee_mode 1
		.amdhsa_fp16_overflow 0
		.amdhsa_tg_split 0
		.amdhsa_exception_fp_ieee_invalid_op 0
		.amdhsa_exception_fp_denorm_src 0
		.amdhsa_exception_fp_ieee_div_zero 0
		.amdhsa_exception_fp_ieee_overflow 0
		.amdhsa_exception_fp_ieee_underflow 0
		.amdhsa_exception_fp_ieee_inexact 0
		.amdhsa_exception_int_div_zero 0
	.end_amdhsa_kernel
	.section	.text._ZN7rocprim17ROCPRIM_400000_NS6detail17trampoline_kernelINS0_14default_configENS1_29reduce_by_key_config_selectorIyyN6thrust23THRUST_200600_302600_NS4plusIyEEEEZZNS1_33reduce_by_key_impl_wrapped_configILNS1_25lookback_scan_determinismE0ES3_S9_NS6_6detail15normal_iteratorINS6_10device_ptrIyEEEESG_SG_SG_PmS8_22is_equal_div_10_reduceIyEEE10hipError_tPvRmT2_T3_mT4_T5_T6_T7_T8_P12ihipStream_tbENKUlT_T0_E_clISt17integral_constantIbLb1EES11_EEDaSW_SX_EUlSW_E_NS1_11comp_targetILNS1_3genE8ELNS1_11target_archE1030ELNS1_3gpuE2ELNS1_3repE0EEENS1_30default_config_static_selectorELNS0_4arch9wavefront6targetE1EEEvT1_,"axG",@progbits,_ZN7rocprim17ROCPRIM_400000_NS6detail17trampoline_kernelINS0_14default_configENS1_29reduce_by_key_config_selectorIyyN6thrust23THRUST_200600_302600_NS4plusIyEEEEZZNS1_33reduce_by_key_impl_wrapped_configILNS1_25lookback_scan_determinismE0ES3_S9_NS6_6detail15normal_iteratorINS6_10device_ptrIyEEEESG_SG_SG_PmS8_22is_equal_div_10_reduceIyEEE10hipError_tPvRmT2_T3_mT4_T5_T6_T7_T8_P12ihipStream_tbENKUlT_T0_E_clISt17integral_constantIbLb1EES11_EEDaSW_SX_EUlSW_E_NS1_11comp_targetILNS1_3genE8ELNS1_11target_archE1030ELNS1_3gpuE2ELNS1_3repE0EEENS1_30default_config_static_selectorELNS0_4arch9wavefront6targetE1EEEvT1_,comdat
.Lfunc_end294:
	.size	_ZN7rocprim17ROCPRIM_400000_NS6detail17trampoline_kernelINS0_14default_configENS1_29reduce_by_key_config_selectorIyyN6thrust23THRUST_200600_302600_NS4plusIyEEEEZZNS1_33reduce_by_key_impl_wrapped_configILNS1_25lookback_scan_determinismE0ES3_S9_NS6_6detail15normal_iteratorINS6_10device_ptrIyEEEESG_SG_SG_PmS8_22is_equal_div_10_reduceIyEEE10hipError_tPvRmT2_T3_mT4_T5_T6_T7_T8_P12ihipStream_tbENKUlT_T0_E_clISt17integral_constantIbLb1EES11_EEDaSW_SX_EUlSW_E_NS1_11comp_targetILNS1_3genE8ELNS1_11target_archE1030ELNS1_3gpuE2ELNS1_3repE0EEENS1_30default_config_static_selectorELNS0_4arch9wavefront6targetE1EEEvT1_, .Lfunc_end294-_ZN7rocprim17ROCPRIM_400000_NS6detail17trampoline_kernelINS0_14default_configENS1_29reduce_by_key_config_selectorIyyN6thrust23THRUST_200600_302600_NS4plusIyEEEEZZNS1_33reduce_by_key_impl_wrapped_configILNS1_25lookback_scan_determinismE0ES3_S9_NS6_6detail15normal_iteratorINS6_10device_ptrIyEEEESG_SG_SG_PmS8_22is_equal_div_10_reduceIyEEE10hipError_tPvRmT2_T3_mT4_T5_T6_T7_T8_P12ihipStream_tbENKUlT_T0_E_clISt17integral_constantIbLb1EES11_EEDaSW_SX_EUlSW_E_NS1_11comp_targetILNS1_3genE8ELNS1_11target_archE1030ELNS1_3gpuE2ELNS1_3repE0EEENS1_30default_config_static_selectorELNS0_4arch9wavefront6targetE1EEEvT1_
                                        ; -- End function
	.section	.AMDGPU.csdata,"",@progbits
; Kernel info:
; codeLenInByte = 0
; NumSgprs: 4
; NumVgprs: 0
; NumAgprs: 0
; TotalNumVgprs: 0
; ScratchSize: 0
; MemoryBound: 0
; FloatMode: 240
; IeeeMode: 1
; LDSByteSize: 0 bytes/workgroup (compile time only)
; SGPRBlocks: 0
; VGPRBlocks: 0
; NumSGPRsForWavesPerEU: 4
; NumVGPRsForWavesPerEU: 1
; AccumOffset: 4
; Occupancy: 8
; WaveLimiterHint : 0
; COMPUTE_PGM_RSRC2:SCRATCH_EN: 0
; COMPUTE_PGM_RSRC2:USER_SGPR: 6
; COMPUTE_PGM_RSRC2:TRAP_HANDLER: 0
; COMPUTE_PGM_RSRC2:TGID_X_EN: 1
; COMPUTE_PGM_RSRC2:TGID_Y_EN: 0
; COMPUTE_PGM_RSRC2:TGID_Z_EN: 0
; COMPUTE_PGM_RSRC2:TIDIG_COMP_CNT: 0
; COMPUTE_PGM_RSRC3_GFX90A:ACCUM_OFFSET: 0
; COMPUTE_PGM_RSRC3_GFX90A:TG_SPLIT: 0
	.section	.text._ZN7rocprim17ROCPRIM_400000_NS6detail17trampoline_kernelINS0_14default_configENS1_29reduce_by_key_config_selectorIyyN6thrust23THRUST_200600_302600_NS4plusIyEEEEZZNS1_33reduce_by_key_impl_wrapped_configILNS1_25lookback_scan_determinismE0ES3_S9_NS6_6detail15normal_iteratorINS6_10device_ptrIyEEEESG_SG_SG_PmS8_22is_equal_div_10_reduceIyEEE10hipError_tPvRmT2_T3_mT4_T5_T6_T7_T8_P12ihipStream_tbENKUlT_T0_E_clISt17integral_constantIbLb1EES10_IbLb0EEEEDaSW_SX_EUlSW_E_NS1_11comp_targetILNS1_3genE0ELNS1_11target_archE4294967295ELNS1_3gpuE0ELNS1_3repE0EEENS1_30default_config_static_selectorELNS0_4arch9wavefront6targetE1EEEvT1_,"axG",@progbits,_ZN7rocprim17ROCPRIM_400000_NS6detail17trampoline_kernelINS0_14default_configENS1_29reduce_by_key_config_selectorIyyN6thrust23THRUST_200600_302600_NS4plusIyEEEEZZNS1_33reduce_by_key_impl_wrapped_configILNS1_25lookback_scan_determinismE0ES3_S9_NS6_6detail15normal_iteratorINS6_10device_ptrIyEEEESG_SG_SG_PmS8_22is_equal_div_10_reduceIyEEE10hipError_tPvRmT2_T3_mT4_T5_T6_T7_T8_P12ihipStream_tbENKUlT_T0_E_clISt17integral_constantIbLb1EES10_IbLb0EEEEDaSW_SX_EUlSW_E_NS1_11comp_targetILNS1_3genE0ELNS1_11target_archE4294967295ELNS1_3gpuE0ELNS1_3repE0EEENS1_30default_config_static_selectorELNS0_4arch9wavefront6targetE1EEEvT1_,comdat
	.protected	_ZN7rocprim17ROCPRIM_400000_NS6detail17trampoline_kernelINS0_14default_configENS1_29reduce_by_key_config_selectorIyyN6thrust23THRUST_200600_302600_NS4plusIyEEEEZZNS1_33reduce_by_key_impl_wrapped_configILNS1_25lookback_scan_determinismE0ES3_S9_NS6_6detail15normal_iteratorINS6_10device_ptrIyEEEESG_SG_SG_PmS8_22is_equal_div_10_reduceIyEEE10hipError_tPvRmT2_T3_mT4_T5_T6_T7_T8_P12ihipStream_tbENKUlT_T0_E_clISt17integral_constantIbLb1EES10_IbLb0EEEEDaSW_SX_EUlSW_E_NS1_11comp_targetILNS1_3genE0ELNS1_11target_archE4294967295ELNS1_3gpuE0ELNS1_3repE0EEENS1_30default_config_static_selectorELNS0_4arch9wavefront6targetE1EEEvT1_ ; -- Begin function _ZN7rocprim17ROCPRIM_400000_NS6detail17trampoline_kernelINS0_14default_configENS1_29reduce_by_key_config_selectorIyyN6thrust23THRUST_200600_302600_NS4plusIyEEEEZZNS1_33reduce_by_key_impl_wrapped_configILNS1_25lookback_scan_determinismE0ES3_S9_NS6_6detail15normal_iteratorINS6_10device_ptrIyEEEESG_SG_SG_PmS8_22is_equal_div_10_reduceIyEEE10hipError_tPvRmT2_T3_mT4_T5_T6_T7_T8_P12ihipStream_tbENKUlT_T0_E_clISt17integral_constantIbLb1EES10_IbLb0EEEEDaSW_SX_EUlSW_E_NS1_11comp_targetILNS1_3genE0ELNS1_11target_archE4294967295ELNS1_3gpuE0ELNS1_3repE0EEENS1_30default_config_static_selectorELNS0_4arch9wavefront6targetE1EEEvT1_
	.globl	_ZN7rocprim17ROCPRIM_400000_NS6detail17trampoline_kernelINS0_14default_configENS1_29reduce_by_key_config_selectorIyyN6thrust23THRUST_200600_302600_NS4plusIyEEEEZZNS1_33reduce_by_key_impl_wrapped_configILNS1_25lookback_scan_determinismE0ES3_S9_NS6_6detail15normal_iteratorINS6_10device_ptrIyEEEESG_SG_SG_PmS8_22is_equal_div_10_reduceIyEEE10hipError_tPvRmT2_T3_mT4_T5_T6_T7_T8_P12ihipStream_tbENKUlT_T0_E_clISt17integral_constantIbLb1EES10_IbLb0EEEEDaSW_SX_EUlSW_E_NS1_11comp_targetILNS1_3genE0ELNS1_11target_archE4294967295ELNS1_3gpuE0ELNS1_3repE0EEENS1_30default_config_static_selectorELNS0_4arch9wavefront6targetE1EEEvT1_
	.p2align	8
	.type	_ZN7rocprim17ROCPRIM_400000_NS6detail17trampoline_kernelINS0_14default_configENS1_29reduce_by_key_config_selectorIyyN6thrust23THRUST_200600_302600_NS4plusIyEEEEZZNS1_33reduce_by_key_impl_wrapped_configILNS1_25lookback_scan_determinismE0ES3_S9_NS6_6detail15normal_iteratorINS6_10device_ptrIyEEEESG_SG_SG_PmS8_22is_equal_div_10_reduceIyEEE10hipError_tPvRmT2_T3_mT4_T5_T6_T7_T8_P12ihipStream_tbENKUlT_T0_E_clISt17integral_constantIbLb1EES10_IbLb0EEEEDaSW_SX_EUlSW_E_NS1_11comp_targetILNS1_3genE0ELNS1_11target_archE4294967295ELNS1_3gpuE0ELNS1_3repE0EEENS1_30default_config_static_selectorELNS0_4arch9wavefront6targetE1EEEvT1_,@function
_ZN7rocprim17ROCPRIM_400000_NS6detail17trampoline_kernelINS0_14default_configENS1_29reduce_by_key_config_selectorIyyN6thrust23THRUST_200600_302600_NS4plusIyEEEEZZNS1_33reduce_by_key_impl_wrapped_configILNS1_25lookback_scan_determinismE0ES3_S9_NS6_6detail15normal_iteratorINS6_10device_ptrIyEEEESG_SG_SG_PmS8_22is_equal_div_10_reduceIyEEE10hipError_tPvRmT2_T3_mT4_T5_T6_T7_T8_P12ihipStream_tbENKUlT_T0_E_clISt17integral_constantIbLb1EES10_IbLb0EEEEDaSW_SX_EUlSW_E_NS1_11comp_targetILNS1_3genE0ELNS1_11target_archE4294967295ELNS1_3gpuE0ELNS1_3repE0EEENS1_30default_config_static_selectorELNS0_4arch9wavefront6targetE1EEEvT1_: ; @_ZN7rocprim17ROCPRIM_400000_NS6detail17trampoline_kernelINS0_14default_configENS1_29reduce_by_key_config_selectorIyyN6thrust23THRUST_200600_302600_NS4plusIyEEEEZZNS1_33reduce_by_key_impl_wrapped_configILNS1_25lookback_scan_determinismE0ES3_S9_NS6_6detail15normal_iteratorINS6_10device_ptrIyEEEESG_SG_SG_PmS8_22is_equal_div_10_reduceIyEEE10hipError_tPvRmT2_T3_mT4_T5_T6_T7_T8_P12ihipStream_tbENKUlT_T0_E_clISt17integral_constantIbLb1EES10_IbLb0EEEEDaSW_SX_EUlSW_E_NS1_11comp_targetILNS1_3genE0ELNS1_11target_archE4294967295ELNS1_3gpuE0ELNS1_3repE0EEENS1_30default_config_static_selectorELNS0_4arch9wavefront6targetE1EEEvT1_
; %bb.0:
	.section	.rodata,"a",@progbits
	.p2align	6, 0x0
	.amdhsa_kernel _ZN7rocprim17ROCPRIM_400000_NS6detail17trampoline_kernelINS0_14default_configENS1_29reduce_by_key_config_selectorIyyN6thrust23THRUST_200600_302600_NS4plusIyEEEEZZNS1_33reduce_by_key_impl_wrapped_configILNS1_25lookback_scan_determinismE0ES3_S9_NS6_6detail15normal_iteratorINS6_10device_ptrIyEEEESG_SG_SG_PmS8_22is_equal_div_10_reduceIyEEE10hipError_tPvRmT2_T3_mT4_T5_T6_T7_T8_P12ihipStream_tbENKUlT_T0_E_clISt17integral_constantIbLb1EES10_IbLb0EEEEDaSW_SX_EUlSW_E_NS1_11comp_targetILNS1_3genE0ELNS1_11target_archE4294967295ELNS1_3gpuE0ELNS1_3repE0EEENS1_30default_config_static_selectorELNS0_4arch9wavefront6targetE1EEEvT1_
		.amdhsa_group_segment_fixed_size 0
		.amdhsa_private_segment_fixed_size 0
		.amdhsa_kernarg_size 136
		.amdhsa_user_sgpr_count 6
		.amdhsa_user_sgpr_private_segment_buffer 1
		.amdhsa_user_sgpr_dispatch_ptr 0
		.amdhsa_user_sgpr_queue_ptr 0
		.amdhsa_user_sgpr_kernarg_segment_ptr 1
		.amdhsa_user_sgpr_dispatch_id 0
		.amdhsa_user_sgpr_flat_scratch_init 0
		.amdhsa_user_sgpr_kernarg_preload_length 0
		.amdhsa_user_sgpr_kernarg_preload_offset 0
		.amdhsa_user_sgpr_private_segment_size 0
		.amdhsa_uses_dynamic_stack 0
		.amdhsa_system_sgpr_private_segment_wavefront_offset 0
		.amdhsa_system_sgpr_workgroup_id_x 1
		.amdhsa_system_sgpr_workgroup_id_y 0
		.amdhsa_system_sgpr_workgroup_id_z 0
		.amdhsa_system_sgpr_workgroup_info 0
		.amdhsa_system_vgpr_workitem_id 0
		.amdhsa_next_free_vgpr 1
		.amdhsa_next_free_sgpr 0
		.amdhsa_accum_offset 4
		.amdhsa_reserve_vcc 0
		.amdhsa_reserve_flat_scratch 0
		.amdhsa_float_round_mode_32 0
		.amdhsa_float_round_mode_16_64 0
		.amdhsa_float_denorm_mode_32 3
		.amdhsa_float_denorm_mode_16_64 3
		.amdhsa_dx10_clamp 1
		.amdhsa_ieee_mode 1
		.amdhsa_fp16_overflow 0
		.amdhsa_tg_split 0
		.amdhsa_exception_fp_ieee_invalid_op 0
		.amdhsa_exception_fp_denorm_src 0
		.amdhsa_exception_fp_ieee_div_zero 0
		.amdhsa_exception_fp_ieee_overflow 0
		.amdhsa_exception_fp_ieee_underflow 0
		.amdhsa_exception_fp_ieee_inexact 0
		.amdhsa_exception_int_div_zero 0
	.end_amdhsa_kernel
	.section	.text._ZN7rocprim17ROCPRIM_400000_NS6detail17trampoline_kernelINS0_14default_configENS1_29reduce_by_key_config_selectorIyyN6thrust23THRUST_200600_302600_NS4plusIyEEEEZZNS1_33reduce_by_key_impl_wrapped_configILNS1_25lookback_scan_determinismE0ES3_S9_NS6_6detail15normal_iteratorINS6_10device_ptrIyEEEESG_SG_SG_PmS8_22is_equal_div_10_reduceIyEEE10hipError_tPvRmT2_T3_mT4_T5_T6_T7_T8_P12ihipStream_tbENKUlT_T0_E_clISt17integral_constantIbLb1EES10_IbLb0EEEEDaSW_SX_EUlSW_E_NS1_11comp_targetILNS1_3genE0ELNS1_11target_archE4294967295ELNS1_3gpuE0ELNS1_3repE0EEENS1_30default_config_static_selectorELNS0_4arch9wavefront6targetE1EEEvT1_,"axG",@progbits,_ZN7rocprim17ROCPRIM_400000_NS6detail17trampoline_kernelINS0_14default_configENS1_29reduce_by_key_config_selectorIyyN6thrust23THRUST_200600_302600_NS4plusIyEEEEZZNS1_33reduce_by_key_impl_wrapped_configILNS1_25lookback_scan_determinismE0ES3_S9_NS6_6detail15normal_iteratorINS6_10device_ptrIyEEEESG_SG_SG_PmS8_22is_equal_div_10_reduceIyEEE10hipError_tPvRmT2_T3_mT4_T5_T6_T7_T8_P12ihipStream_tbENKUlT_T0_E_clISt17integral_constantIbLb1EES10_IbLb0EEEEDaSW_SX_EUlSW_E_NS1_11comp_targetILNS1_3genE0ELNS1_11target_archE4294967295ELNS1_3gpuE0ELNS1_3repE0EEENS1_30default_config_static_selectorELNS0_4arch9wavefront6targetE1EEEvT1_,comdat
.Lfunc_end295:
	.size	_ZN7rocprim17ROCPRIM_400000_NS6detail17trampoline_kernelINS0_14default_configENS1_29reduce_by_key_config_selectorIyyN6thrust23THRUST_200600_302600_NS4plusIyEEEEZZNS1_33reduce_by_key_impl_wrapped_configILNS1_25lookback_scan_determinismE0ES3_S9_NS6_6detail15normal_iteratorINS6_10device_ptrIyEEEESG_SG_SG_PmS8_22is_equal_div_10_reduceIyEEE10hipError_tPvRmT2_T3_mT4_T5_T6_T7_T8_P12ihipStream_tbENKUlT_T0_E_clISt17integral_constantIbLb1EES10_IbLb0EEEEDaSW_SX_EUlSW_E_NS1_11comp_targetILNS1_3genE0ELNS1_11target_archE4294967295ELNS1_3gpuE0ELNS1_3repE0EEENS1_30default_config_static_selectorELNS0_4arch9wavefront6targetE1EEEvT1_, .Lfunc_end295-_ZN7rocprim17ROCPRIM_400000_NS6detail17trampoline_kernelINS0_14default_configENS1_29reduce_by_key_config_selectorIyyN6thrust23THRUST_200600_302600_NS4plusIyEEEEZZNS1_33reduce_by_key_impl_wrapped_configILNS1_25lookback_scan_determinismE0ES3_S9_NS6_6detail15normal_iteratorINS6_10device_ptrIyEEEESG_SG_SG_PmS8_22is_equal_div_10_reduceIyEEE10hipError_tPvRmT2_T3_mT4_T5_T6_T7_T8_P12ihipStream_tbENKUlT_T0_E_clISt17integral_constantIbLb1EES10_IbLb0EEEEDaSW_SX_EUlSW_E_NS1_11comp_targetILNS1_3genE0ELNS1_11target_archE4294967295ELNS1_3gpuE0ELNS1_3repE0EEENS1_30default_config_static_selectorELNS0_4arch9wavefront6targetE1EEEvT1_
                                        ; -- End function
	.section	.AMDGPU.csdata,"",@progbits
; Kernel info:
; codeLenInByte = 0
; NumSgprs: 4
; NumVgprs: 0
; NumAgprs: 0
; TotalNumVgprs: 0
; ScratchSize: 0
; MemoryBound: 0
; FloatMode: 240
; IeeeMode: 1
; LDSByteSize: 0 bytes/workgroup (compile time only)
; SGPRBlocks: 0
; VGPRBlocks: 0
; NumSGPRsForWavesPerEU: 4
; NumVGPRsForWavesPerEU: 1
; AccumOffset: 4
; Occupancy: 8
; WaveLimiterHint : 0
; COMPUTE_PGM_RSRC2:SCRATCH_EN: 0
; COMPUTE_PGM_RSRC2:USER_SGPR: 6
; COMPUTE_PGM_RSRC2:TRAP_HANDLER: 0
; COMPUTE_PGM_RSRC2:TGID_X_EN: 1
; COMPUTE_PGM_RSRC2:TGID_Y_EN: 0
; COMPUTE_PGM_RSRC2:TGID_Z_EN: 0
; COMPUTE_PGM_RSRC2:TIDIG_COMP_CNT: 0
; COMPUTE_PGM_RSRC3_GFX90A:ACCUM_OFFSET: 0
; COMPUTE_PGM_RSRC3_GFX90A:TG_SPLIT: 0
	.section	.text._ZN7rocprim17ROCPRIM_400000_NS6detail17trampoline_kernelINS0_14default_configENS1_29reduce_by_key_config_selectorIyyN6thrust23THRUST_200600_302600_NS4plusIyEEEEZZNS1_33reduce_by_key_impl_wrapped_configILNS1_25lookback_scan_determinismE0ES3_S9_NS6_6detail15normal_iteratorINS6_10device_ptrIyEEEESG_SG_SG_PmS8_22is_equal_div_10_reduceIyEEE10hipError_tPvRmT2_T3_mT4_T5_T6_T7_T8_P12ihipStream_tbENKUlT_T0_E_clISt17integral_constantIbLb1EES10_IbLb0EEEEDaSW_SX_EUlSW_E_NS1_11comp_targetILNS1_3genE5ELNS1_11target_archE942ELNS1_3gpuE9ELNS1_3repE0EEENS1_30default_config_static_selectorELNS0_4arch9wavefront6targetE1EEEvT1_,"axG",@progbits,_ZN7rocprim17ROCPRIM_400000_NS6detail17trampoline_kernelINS0_14default_configENS1_29reduce_by_key_config_selectorIyyN6thrust23THRUST_200600_302600_NS4plusIyEEEEZZNS1_33reduce_by_key_impl_wrapped_configILNS1_25lookback_scan_determinismE0ES3_S9_NS6_6detail15normal_iteratorINS6_10device_ptrIyEEEESG_SG_SG_PmS8_22is_equal_div_10_reduceIyEEE10hipError_tPvRmT2_T3_mT4_T5_T6_T7_T8_P12ihipStream_tbENKUlT_T0_E_clISt17integral_constantIbLb1EES10_IbLb0EEEEDaSW_SX_EUlSW_E_NS1_11comp_targetILNS1_3genE5ELNS1_11target_archE942ELNS1_3gpuE9ELNS1_3repE0EEENS1_30default_config_static_selectorELNS0_4arch9wavefront6targetE1EEEvT1_,comdat
	.protected	_ZN7rocprim17ROCPRIM_400000_NS6detail17trampoline_kernelINS0_14default_configENS1_29reduce_by_key_config_selectorIyyN6thrust23THRUST_200600_302600_NS4plusIyEEEEZZNS1_33reduce_by_key_impl_wrapped_configILNS1_25lookback_scan_determinismE0ES3_S9_NS6_6detail15normal_iteratorINS6_10device_ptrIyEEEESG_SG_SG_PmS8_22is_equal_div_10_reduceIyEEE10hipError_tPvRmT2_T3_mT4_T5_T6_T7_T8_P12ihipStream_tbENKUlT_T0_E_clISt17integral_constantIbLb1EES10_IbLb0EEEEDaSW_SX_EUlSW_E_NS1_11comp_targetILNS1_3genE5ELNS1_11target_archE942ELNS1_3gpuE9ELNS1_3repE0EEENS1_30default_config_static_selectorELNS0_4arch9wavefront6targetE1EEEvT1_ ; -- Begin function _ZN7rocprim17ROCPRIM_400000_NS6detail17trampoline_kernelINS0_14default_configENS1_29reduce_by_key_config_selectorIyyN6thrust23THRUST_200600_302600_NS4plusIyEEEEZZNS1_33reduce_by_key_impl_wrapped_configILNS1_25lookback_scan_determinismE0ES3_S9_NS6_6detail15normal_iteratorINS6_10device_ptrIyEEEESG_SG_SG_PmS8_22is_equal_div_10_reduceIyEEE10hipError_tPvRmT2_T3_mT4_T5_T6_T7_T8_P12ihipStream_tbENKUlT_T0_E_clISt17integral_constantIbLb1EES10_IbLb0EEEEDaSW_SX_EUlSW_E_NS1_11comp_targetILNS1_3genE5ELNS1_11target_archE942ELNS1_3gpuE9ELNS1_3repE0EEENS1_30default_config_static_selectorELNS0_4arch9wavefront6targetE1EEEvT1_
	.globl	_ZN7rocprim17ROCPRIM_400000_NS6detail17trampoline_kernelINS0_14default_configENS1_29reduce_by_key_config_selectorIyyN6thrust23THRUST_200600_302600_NS4plusIyEEEEZZNS1_33reduce_by_key_impl_wrapped_configILNS1_25lookback_scan_determinismE0ES3_S9_NS6_6detail15normal_iteratorINS6_10device_ptrIyEEEESG_SG_SG_PmS8_22is_equal_div_10_reduceIyEEE10hipError_tPvRmT2_T3_mT4_T5_T6_T7_T8_P12ihipStream_tbENKUlT_T0_E_clISt17integral_constantIbLb1EES10_IbLb0EEEEDaSW_SX_EUlSW_E_NS1_11comp_targetILNS1_3genE5ELNS1_11target_archE942ELNS1_3gpuE9ELNS1_3repE0EEENS1_30default_config_static_selectorELNS0_4arch9wavefront6targetE1EEEvT1_
	.p2align	8
	.type	_ZN7rocprim17ROCPRIM_400000_NS6detail17trampoline_kernelINS0_14default_configENS1_29reduce_by_key_config_selectorIyyN6thrust23THRUST_200600_302600_NS4plusIyEEEEZZNS1_33reduce_by_key_impl_wrapped_configILNS1_25lookback_scan_determinismE0ES3_S9_NS6_6detail15normal_iteratorINS6_10device_ptrIyEEEESG_SG_SG_PmS8_22is_equal_div_10_reduceIyEEE10hipError_tPvRmT2_T3_mT4_T5_T6_T7_T8_P12ihipStream_tbENKUlT_T0_E_clISt17integral_constantIbLb1EES10_IbLb0EEEEDaSW_SX_EUlSW_E_NS1_11comp_targetILNS1_3genE5ELNS1_11target_archE942ELNS1_3gpuE9ELNS1_3repE0EEENS1_30default_config_static_selectorELNS0_4arch9wavefront6targetE1EEEvT1_,@function
_ZN7rocprim17ROCPRIM_400000_NS6detail17trampoline_kernelINS0_14default_configENS1_29reduce_by_key_config_selectorIyyN6thrust23THRUST_200600_302600_NS4plusIyEEEEZZNS1_33reduce_by_key_impl_wrapped_configILNS1_25lookback_scan_determinismE0ES3_S9_NS6_6detail15normal_iteratorINS6_10device_ptrIyEEEESG_SG_SG_PmS8_22is_equal_div_10_reduceIyEEE10hipError_tPvRmT2_T3_mT4_T5_T6_T7_T8_P12ihipStream_tbENKUlT_T0_E_clISt17integral_constantIbLb1EES10_IbLb0EEEEDaSW_SX_EUlSW_E_NS1_11comp_targetILNS1_3genE5ELNS1_11target_archE942ELNS1_3gpuE9ELNS1_3repE0EEENS1_30default_config_static_selectorELNS0_4arch9wavefront6targetE1EEEvT1_: ; @_ZN7rocprim17ROCPRIM_400000_NS6detail17trampoline_kernelINS0_14default_configENS1_29reduce_by_key_config_selectorIyyN6thrust23THRUST_200600_302600_NS4plusIyEEEEZZNS1_33reduce_by_key_impl_wrapped_configILNS1_25lookback_scan_determinismE0ES3_S9_NS6_6detail15normal_iteratorINS6_10device_ptrIyEEEESG_SG_SG_PmS8_22is_equal_div_10_reduceIyEEE10hipError_tPvRmT2_T3_mT4_T5_T6_T7_T8_P12ihipStream_tbENKUlT_T0_E_clISt17integral_constantIbLb1EES10_IbLb0EEEEDaSW_SX_EUlSW_E_NS1_11comp_targetILNS1_3genE5ELNS1_11target_archE942ELNS1_3gpuE9ELNS1_3repE0EEENS1_30default_config_static_selectorELNS0_4arch9wavefront6targetE1EEEvT1_
; %bb.0:
	.section	.rodata,"a",@progbits
	.p2align	6, 0x0
	.amdhsa_kernel _ZN7rocprim17ROCPRIM_400000_NS6detail17trampoline_kernelINS0_14default_configENS1_29reduce_by_key_config_selectorIyyN6thrust23THRUST_200600_302600_NS4plusIyEEEEZZNS1_33reduce_by_key_impl_wrapped_configILNS1_25lookback_scan_determinismE0ES3_S9_NS6_6detail15normal_iteratorINS6_10device_ptrIyEEEESG_SG_SG_PmS8_22is_equal_div_10_reduceIyEEE10hipError_tPvRmT2_T3_mT4_T5_T6_T7_T8_P12ihipStream_tbENKUlT_T0_E_clISt17integral_constantIbLb1EES10_IbLb0EEEEDaSW_SX_EUlSW_E_NS1_11comp_targetILNS1_3genE5ELNS1_11target_archE942ELNS1_3gpuE9ELNS1_3repE0EEENS1_30default_config_static_selectorELNS0_4arch9wavefront6targetE1EEEvT1_
		.amdhsa_group_segment_fixed_size 0
		.amdhsa_private_segment_fixed_size 0
		.amdhsa_kernarg_size 136
		.amdhsa_user_sgpr_count 6
		.amdhsa_user_sgpr_private_segment_buffer 1
		.amdhsa_user_sgpr_dispatch_ptr 0
		.amdhsa_user_sgpr_queue_ptr 0
		.amdhsa_user_sgpr_kernarg_segment_ptr 1
		.amdhsa_user_sgpr_dispatch_id 0
		.amdhsa_user_sgpr_flat_scratch_init 0
		.amdhsa_user_sgpr_kernarg_preload_length 0
		.amdhsa_user_sgpr_kernarg_preload_offset 0
		.amdhsa_user_sgpr_private_segment_size 0
		.amdhsa_uses_dynamic_stack 0
		.amdhsa_system_sgpr_private_segment_wavefront_offset 0
		.amdhsa_system_sgpr_workgroup_id_x 1
		.amdhsa_system_sgpr_workgroup_id_y 0
		.amdhsa_system_sgpr_workgroup_id_z 0
		.amdhsa_system_sgpr_workgroup_info 0
		.amdhsa_system_vgpr_workitem_id 0
		.amdhsa_next_free_vgpr 1
		.amdhsa_next_free_sgpr 0
		.amdhsa_accum_offset 4
		.amdhsa_reserve_vcc 0
		.amdhsa_reserve_flat_scratch 0
		.amdhsa_float_round_mode_32 0
		.amdhsa_float_round_mode_16_64 0
		.amdhsa_float_denorm_mode_32 3
		.amdhsa_float_denorm_mode_16_64 3
		.amdhsa_dx10_clamp 1
		.amdhsa_ieee_mode 1
		.amdhsa_fp16_overflow 0
		.amdhsa_tg_split 0
		.amdhsa_exception_fp_ieee_invalid_op 0
		.amdhsa_exception_fp_denorm_src 0
		.amdhsa_exception_fp_ieee_div_zero 0
		.amdhsa_exception_fp_ieee_overflow 0
		.amdhsa_exception_fp_ieee_underflow 0
		.amdhsa_exception_fp_ieee_inexact 0
		.amdhsa_exception_int_div_zero 0
	.end_amdhsa_kernel
	.section	.text._ZN7rocprim17ROCPRIM_400000_NS6detail17trampoline_kernelINS0_14default_configENS1_29reduce_by_key_config_selectorIyyN6thrust23THRUST_200600_302600_NS4plusIyEEEEZZNS1_33reduce_by_key_impl_wrapped_configILNS1_25lookback_scan_determinismE0ES3_S9_NS6_6detail15normal_iteratorINS6_10device_ptrIyEEEESG_SG_SG_PmS8_22is_equal_div_10_reduceIyEEE10hipError_tPvRmT2_T3_mT4_T5_T6_T7_T8_P12ihipStream_tbENKUlT_T0_E_clISt17integral_constantIbLb1EES10_IbLb0EEEEDaSW_SX_EUlSW_E_NS1_11comp_targetILNS1_3genE5ELNS1_11target_archE942ELNS1_3gpuE9ELNS1_3repE0EEENS1_30default_config_static_selectorELNS0_4arch9wavefront6targetE1EEEvT1_,"axG",@progbits,_ZN7rocprim17ROCPRIM_400000_NS6detail17trampoline_kernelINS0_14default_configENS1_29reduce_by_key_config_selectorIyyN6thrust23THRUST_200600_302600_NS4plusIyEEEEZZNS1_33reduce_by_key_impl_wrapped_configILNS1_25lookback_scan_determinismE0ES3_S9_NS6_6detail15normal_iteratorINS6_10device_ptrIyEEEESG_SG_SG_PmS8_22is_equal_div_10_reduceIyEEE10hipError_tPvRmT2_T3_mT4_T5_T6_T7_T8_P12ihipStream_tbENKUlT_T0_E_clISt17integral_constantIbLb1EES10_IbLb0EEEEDaSW_SX_EUlSW_E_NS1_11comp_targetILNS1_3genE5ELNS1_11target_archE942ELNS1_3gpuE9ELNS1_3repE0EEENS1_30default_config_static_selectorELNS0_4arch9wavefront6targetE1EEEvT1_,comdat
.Lfunc_end296:
	.size	_ZN7rocprim17ROCPRIM_400000_NS6detail17trampoline_kernelINS0_14default_configENS1_29reduce_by_key_config_selectorIyyN6thrust23THRUST_200600_302600_NS4plusIyEEEEZZNS1_33reduce_by_key_impl_wrapped_configILNS1_25lookback_scan_determinismE0ES3_S9_NS6_6detail15normal_iteratorINS6_10device_ptrIyEEEESG_SG_SG_PmS8_22is_equal_div_10_reduceIyEEE10hipError_tPvRmT2_T3_mT4_T5_T6_T7_T8_P12ihipStream_tbENKUlT_T0_E_clISt17integral_constantIbLb1EES10_IbLb0EEEEDaSW_SX_EUlSW_E_NS1_11comp_targetILNS1_3genE5ELNS1_11target_archE942ELNS1_3gpuE9ELNS1_3repE0EEENS1_30default_config_static_selectorELNS0_4arch9wavefront6targetE1EEEvT1_, .Lfunc_end296-_ZN7rocprim17ROCPRIM_400000_NS6detail17trampoline_kernelINS0_14default_configENS1_29reduce_by_key_config_selectorIyyN6thrust23THRUST_200600_302600_NS4plusIyEEEEZZNS1_33reduce_by_key_impl_wrapped_configILNS1_25lookback_scan_determinismE0ES3_S9_NS6_6detail15normal_iteratorINS6_10device_ptrIyEEEESG_SG_SG_PmS8_22is_equal_div_10_reduceIyEEE10hipError_tPvRmT2_T3_mT4_T5_T6_T7_T8_P12ihipStream_tbENKUlT_T0_E_clISt17integral_constantIbLb1EES10_IbLb0EEEEDaSW_SX_EUlSW_E_NS1_11comp_targetILNS1_3genE5ELNS1_11target_archE942ELNS1_3gpuE9ELNS1_3repE0EEENS1_30default_config_static_selectorELNS0_4arch9wavefront6targetE1EEEvT1_
                                        ; -- End function
	.section	.AMDGPU.csdata,"",@progbits
; Kernel info:
; codeLenInByte = 0
; NumSgprs: 4
; NumVgprs: 0
; NumAgprs: 0
; TotalNumVgprs: 0
; ScratchSize: 0
; MemoryBound: 0
; FloatMode: 240
; IeeeMode: 1
; LDSByteSize: 0 bytes/workgroup (compile time only)
; SGPRBlocks: 0
; VGPRBlocks: 0
; NumSGPRsForWavesPerEU: 4
; NumVGPRsForWavesPerEU: 1
; AccumOffset: 4
; Occupancy: 8
; WaveLimiterHint : 0
; COMPUTE_PGM_RSRC2:SCRATCH_EN: 0
; COMPUTE_PGM_RSRC2:USER_SGPR: 6
; COMPUTE_PGM_RSRC2:TRAP_HANDLER: 0
; COMPUTE_PGM_RSRC2:TGID_X_EN: 1
; COMPUTE_PGM_RSRC2:TGID_Y_EN: 0
; COMPUTE_PGM_RSRC2:TGID_Z_EN: 0
; COMPUTE_PGM_RSRC2:TIDIG_COMP_CNT: 0
; COMPUTE_PGM_RSRC3_GFX90A:ACCUM_OFFSET: 0
; COMPUTE_PGM_RSRC3_GFX90A:TG_SPLIT: 0
	.section	.text._ZN7rocprim17ROCPRIM_400000_NS6detail17trampoline_kernelINS0_14default_configENS1_29reduce_by_key_config_selectorIyyN6thrust23THRUST_200600_302600_NS4plusIyEEEEZZNS1_33reduce_by_key_impl_wrapped_configILNS1_25lookback_scan_determinismE0ES3_S9_NS6_6detail15normal_iteratorINS6_10device_ptrIyEEEESG_SG_SG_PmS8_22is_equal_div_10_reduceIyEEE10hipError_tPvRmT2_T3_mT4_T5_T6_T7_T8_P12ihipStream_tbENKUlT_T0_E_clISt17integral_constantIbLb1EES10_IbLb0EEEEDaSW_SX_EUlSW_E_NS1_11comp_targetILNS1_3genE4ELNS1_11target_archE910ELNS1_3gpuE8ELNS1_3repE0EEENS1_30default_config_static_selectorELNS0_4arch9wavefront6targetE1EEEvT1_,"axG",@progbits,_ZN7rocprim17ROCPRIM_400000_NS6detail17trampoline_kernelINS0_14default_configENS1_29reduce_by_key_config_selectorIyyN6thrust23THRUST_200600_302600_NS4plusIyEEEEZZNS1_33reduce_by_key_impl_wrapped_configILNS1_25lookback_scan_determinismE0ES3_S9_NS6_6detail15normal_iteratorINS6_10device_ptrIyEEEESG_SG_SG_PmS8_22is_equal_div_10_reduceIyEEE10hipError_tPvRmT2_T3_mT4_T5_T6_T7_T8_P12ihipStream_tbENKUlT_T0_E_clISt17integral_constantIbLb1EES10_IbLb0EEEEDaSW_SX_EUlSW_E_NS1_11comp_targetILNS1_3genE4ELNS1_11target_archE910ELNS1_3gpuE8ELNS1_3repE0EEENS1_30default_config_static_selectorELNS0_4arch9wavefront6targetE1EEEvT1_,comdat
	.protected	_ZN7rocprim17ROCPRIM_400000_NS6detail17trampoline_kernelINS0_14default_configENS1_29reduce_by_key_config_selectorIyyN6thrust23THRUST_200600_302600_NS4plusIyEEEEZZNS1_33reduce_by_key_impl_wrapped_configILNS1_25lookback_scan_determinismE0ES3_S9_NS6_6detail15normal_iteratorINS6_10device_ptrIyEEEESG_SG_SG_PmS8_22is_equal_div_10_reduceIyEEE10hipError_tPvRmT2_T3_mT4_T5_T6_T7_T8_P12ihipStream_tbENKUlT_T0_E_clISt17integral_constantIbLb1EES10_IbLb0EEEEDaSW_SX_EUlSW_E_NS1_11comp_targetILNS1_3genE4ELNS1_11target_archE910ELNS1_3gpuE8ELNS1_3repE0EEENS1_30default_config_static_selectorELNS0_4arch9wavefront6targetE1EEEvT1_ ; -- Begin function _ZN7rocprim17ROCPRIM_400000_NS6detail17trampoline_kernelINS0_14default_configENS1_29reduce_by_key_config_selectorIyyN6thrust23THRUST_200600_302600_NS4plusIyEEEEZZNS1_33reduce_by_key_impl_wrapped_configILNS1_25lookback_scan_determinismE0ES3_S9_NS6_6detail15normal_iteratorINS6_10device_ptrIyEEEESG_SG_SG_PmS8_22is_equal_div_10_reduceIyEEE10hipError_tPvRmT2_T3_mT4_T5_T6_T7_T8_P12ihipStream_tbENKUlT_T0_E_clISt17integral_constantIbLb1EES10_IbLb0EEEEDaSW_SX_EUlSW_E_NS1_11comp_targetILNS1_3genE4ELNS1_11target_archE910ELNS1_3gpuE8ELNS1_3repE0EEENS1_30default_config_static_selectorELNS0_4arch9wavefront6targetE1EEEvT1_
	.globl	_ZN7rocprim17ROCPRIM_400000_NS6detail17trampoline_kernelINS0_14default_configENS1_29reduce_by_key_config_selectorIyyN6thrust23THRUST_200600_302600_NS4plusIyEEEEZZNS1_33reduce_by_key_impl_wrapped_configILNS1_25lookback_scan_determinismE0ES3_S9_NS6_6detail15normal_iteratorINS6_10device_ptrIyEEEESG_SG_SG_PmS8_22is_equal_div_10_reduceIyEEE10hipError_tPvRmT2_T3_mT4_T5_T6_T7_T8_P12ihipStream_tbENKUlT_T0_E_clISt17integral_constantIbLb1EES10_IbLb0EEEEDaSW_SX_EUlSW_E_NS1_11comp_targetILNS1_3genE4ELNS1_11target_archE910ELNS1_3gpuE8ELNS1_3repE0EEENS1_30default_config_static_selectorELNS0_4arch9wavefront6targetE1EEEvT1_
	.p2align	8
	.type	_ZN7rocprim17ROCPRIM_400000_NS6detail17trampoline_kernelINS0_14default_configENS1_29reduce_by_key_config_selectorIyyN6thrust23THRUST_200600_302600_NS4plusIyEEEEZZNS1_33reduce_by_key_impl_wrapped_configILNS1_25lookback_scan_determinismE0ES3_S9_NS6_6detail15normal_iteratorINS6_10device_ptrIyEEEESG_SG_SG_PmS8_22is_equal_div_10_reduceIyEEE10hipError_tPvRmT2_T3_mT4_T5_T6_T7_T8_P12ihipStream_tbENKUlT_T0_E_clISt17integral_constantIbLb1EES10_IbLb0EEEEDaSW_SX_EUlSW_E_NS1_11comp_targetILNS1_3genE4ELNS1_11target_archE910ELNS1_3gpuE8ELNS1_3repE0EEENS1_30default_config_static_selectorELNS0_4arch9wavefront6targetE1EEEvT1_,@function
_ZN7rocprim17ROCPRIM_400000_NS6detail17trampoline_kernelINS0_14default_configENS1_29reduce_by_key_config_selectorIyyN6thrust23THRUST_200600_302600_NS4plusIyEEEEZZNS1_33reduce_by_key_impl_wrapped_configILNS1_25lookback_scan_determinismE0ES3_S9_NS6_6detail15normal_iteratorINS6_10device_ptrIyEEEESG_SG_SG_PmS8_22is_equal_div_10_reduceIyEEE10hipError_tPvRmT2_T3_mT4_T5_T6_T7_T8_P12ihipStream_tbENKUlT_T0_E_clISt17integral_constantIbLb1EES10_IbLb0EEEEDaSW_SX_EUlSW_E_NS1_11comp_targetILNS1_3genE4ELNS1_11target_archE910ELNS1_3gpuE8ELNS1_3repE0EEENS1_30default_config_static_selectorELNS0_4arch9wavefront6targetE1EEEvT1_: ; @_ZN7rocprim17ROCPRIM_400000_NS6detail17trampoline_kernelINS0_14default_configENS1_29reduce_by_key_config_selectorIyyN6thrust23THRUST_200600_302600_NS4plusIyEEEEZZNS1_33reduce_by_key_impl_wrapped_configILNS1_25lookback_scan_determinismE0ES3_S9_NS6_6detail15normal_iteratorINS6_10device_ptrIyEEEESG_SG_SG_PmS8_22is_equal_div_10_reduceIyEEE10hipError_tPvRmT2_T3_mT4_T5_T6_T7_T8_P12ihipStream_tbENKUlT_T0_E_clISt17integral_constantIbLb1EES10_IbLb0EEEEDaSW_SX_EUlSW_E_NS1_11comp_targetILNS1_3genE4ELNS1_11target_archE910ELNS1_3gpuE8ELNS1_3repE0EEENS1_30default_config_static_selectorELNS0_4arch9wavefront6targetE1EEEvT1_
; %bb.0:
	s_load_dwordx8 s[52:59], s[4:5], 0x0
	s_load_dwordx4 s[60:63], s[4:5], 0x20
	s_load_dwordx16 s[36:51], s[4:5], 0x38
	s_waitcnt lgkmcnt(0)
	s_lshl_b64 s[0:1], s[54:55], 3
	s_add_u32 s2, s52, s0
	s_addc_u32 s3, s53, s1
	s_add_u32 s8, s56, s0
	s_addc_u32 s9, s57, s1
	s_mul_i32 s0, s44, s43
	s_mul_hi_u32 s1, s44, s42
	s_add_i32 s0, s1, s0
	s_mul_i32 s1, s45, s42
	s_add_i32 s10, s0, s1
	s_mul_i32 s0, s6, 0xf00
	s_mov_b32 s1, 0
	s_lshl_b64 s[0:1], s[0:1], 3
	s_add_u32 s7, s2, s0
	s_addc_u32 s56, s3, s1
	s_add_u32 s57, s8, s0
	s_mul_i32 s11, s44, s42
	s_addc_u32 s64, s9, s1
	s_add_u32 s52, s11, s6
	s_addc_u32 s53, s10, 0
	s_add_u32 s2, s46, -1
	s_addc_u32 s3, s47, -1
	s_cmp_eq_u64 s[52:53], s[2:3]
	s_cselect_b64 s[34:35], -1, 0
	s_cmp_lg_u64 s[52:53], s[2:3]
	s_mov_b64 s[0:1], -1
	s_cselect_b64 s[54:55], -1, 0
	s_mul_i32 s33, s2, 0xfffff100
	s_and_b64 vcc, exec, s[34:35]
	s_cbranch_vccnz .LBB297_2
; %bb.1:
	v_lshlrev_b32_e32 v63, 3, v0
	v_mov_b32_e32 v1, s56
	v_add_co_u32_e32 v2, vcc, s7, v63
	v_addc_co_u32_e32 v3, vcc, 0, v1, vcc
	v_add_co_u32_e32 v4, vcc, 0x1000, v2
	v_addc_co_u32_e32 v5, vcc, 0, v3, vcc
	flat_load_dwordx2 v[6:7], v[2:3]
	flat_load_dwordx2 v[8:9], v[2:3] offset:2048
	flat_load_dwordx2 v[10:11], v[4:5]
	flat_load_dwordx2 v[12:13], v[4:5] offset:2048
	v_add_co_u32_e32 v4, vcc, 0x2000, v2
	v_addc_co_u32_e32 v5, vcc, 0, v3, vcc
	v_add_co_u32_e32 v14, vcc, 0x3000, v2
	v_addc_co_u32_e32 v15, vcc, 0, v3, vcc
	flat_load_dwordx2 v[16:17], v[4:5]
	flat_load_dwordx2 v[18:19], v[4:5] offset:2048
	flat_load_dwordx2 v[20:21], v[14:15]
	flat_load_dwordx2 v[22:23], v[14:15] offset:2048
	;; [unrolled: 8-line block ×3, first 2 shown]
	v_add_co_u32_e32 v4, vcc, 0x6000, v2
	v_addc_co_u32_e32 v5, vcc, 0, v3, vcc
	v_add_co_u32_e32 v2, vcc, 0x7000, v2
	v_addc_co_u32_e32 v3, vcc, 0, v3, vcc
	flat_load_dwordx2 v[14:15], v[4:5]
	flat_load_dwordx2 v[32:33], v[4:5] offset:2048
	flat_load_dwordx2 v[34:35], v[2:3]
	v_mov_b32_e32 v36, s64
	s_movk_i32 s0, 0x1000
	s_movk_i32 s11, 0x70
	;; [unrolled: 1-line block ×3, first 2 shown]
	v_mad_u32_u24 v1, v0, s11, v63
	s_movk_i32 s2, 0x3000
	s_movk_i32 s3, 0x4000
	;; [unrolled: 1-line block ×5, first 2 shown]
	v_mul_u32_u24_e32 v62, 15, v0
	s_waitcnt vmcnt(0) lgkmcnt(0)
	ds_write2st64_b64 v63, v[6:7], v[8:9] offset1:4
	ds_write2st64_b64 v63, v[10:11], v[12:13] offset0:8 offset1:12
	ds_write2st64_b64 v63, v[16:17], v[18:19] offset0:16 offset1:20
	;; [unrolled: 1-line block ×6, first 2 shown]
	ds_write_b64 v63, v[34:35] offset:28672
	v_add_co_u32_e32 v30, vcc, s57, v63
	v_addc_co_u32_e32 v31, vcc, 0, v36, vcc
	v_add_co_u32_e32 v32, vcc, s0, v30
	v_addc_co_u32_e32 v33, vcc, 0, v31, vcc
	s_waitcnt lgkmcnt(0)
	s_barrier
	ds_read2_b64 v[26:29], v1 offset1:1
	ds_read2_b64 v[22:25], v1 offset0:2 offset1:3
	ds_read2_b64 v[18:21], v1 offset0:4 offset1:5
	;; [unrolled: 1-line block ×6, first 2 shown]
	ds_read_b64 v[58:59], v1 offset:112
	s_waitcnt lgkmcnt(0)
	s_barrier
	flat_load_dwordx2 v[34:35], v[30:31]
	flat_load_dwordx2 v[36:37], v[30:31] offset:2048
	flat_load_dwordx2 v[38:39], v[32:33]
	flat_load_dwordx2 v[40:41], v[32:33] offset:2048
	v_add_co_u32_e32 v32, vcc, s1, v30
	v_addc_co_u32_e32 v33, vcc, 0, v31, vcc
	v_add_co_u32_e32 v42, vcc, s2, v30
	v_addc_co_u32_e32 v43, vcc, 0, v31, vcc
	flat_load_dwordx2 v[44:45], v[32:33]
	flat_load_dwordx2 v[46:47], v[32:33] offset:2048
	flat_load_dwordx2 v[48:49], v[42:43]
	flat_load_dwordx2 v[50:51], v[42:43] offset:2048
	v_add_co_u32_e32 v32, vcc, s3, v30
	v_addc_co_u32_e32 v33, vcc, 0, v31, vcc
	v_add_co_u32_e32 v42, vcc, s8, v30
	v_addc_co_u32_e32 v43, vcc, 0, v31, vcc
	;; [unrolled: 8-line block ×3, first 2 shown]
	flat_load_dwordx2 v[42:43], v[32:33]
	flat_load_dwordx2 v[64:65], v[32:33] offset:2048
	flat_load_dwordx2 v[66:67], v[30:31]
	s_waitcnt vmcnt(0) lgkmcnt(0)
	ds_write2st64_b64 v63, v[34:35], v[36:37] offset1:4
	ds_write2st64_b64 v63, v[38:39], v[40:41] offset0:8 offset1:12
	ds_write2st64_b64 v63, v[44:45], v[46:47] offset0:16 offset1:20
	;; [unrolled: 1-line block ×6, first 2 shown]
	ds_write_b64 v63, v[66:67] offset:28672
	s_waitcnt lgkmcnt(0)
	s_barrier
	s_load_dwordx2 s[46:47], s[4:5], 0x78
	s_add_i32 s33, s33, s48
	s_cbranch_execz .LBB297_3
	s_branch .LBB297_50
.LBB297_2:
                                        ; implicit-def: $vgpr2_vgpr3_vgpr4_vgpr5
                                        ; implicit-def: $vgpr6_vgpr7_vgpr8_vgpr9
                                        ; implicit-def: $vgpr10_vgpr11_vgpr12_vgpr13
                                        ; implicit-def: $vgpr14_vgpr15_vgpr16_vgpr17
                                        ; implicit-def: $vgpr18_vgpr19_vgpr20_vgpr21
                                        ; implicit-def: $vgpr22_vgpr23_vgpr24_vgpr25
                                        ; implicit-def: $vgpr26_vgpr27_vgpr28_vgpr29
                                        ; implicit-def: $vgpr62
                                        ; implicit-def: $vgpr1
                                        ; implicit-def: $vgpr58_vgpr59
	s_load_dwordx2 s[46:47], s[4:5], 0x78
	s_andn2_b64 vcc, exec, s[0:1]
	s_add_i32 s33, s33, s48
	s_cbranch_vccnz .LBB297_50
.LBB297_3:
	v_cmp_gt_u32_e32 vcc, s33, v0
                                        ; implicit-def: $vgpr2_vgpr3
	s_and_saveexec_b64 s[2:3], vcc
	s_cbranch_execz .LBB297_5
; %bb.4:
	v_lshlrev_b32_e32 v1, 3, v0
	v_mov_b32_e32 v3, s56
	v_add_co_u32_e64 v2, s[0:1], s7, v1
	v_addc_co_u32_e64 v3, s[0:1], 0, v3, s[0:1]
	flat_load_dwordx2 v[2:3], v[2:3]
.LBB297_5:
	s_or_b64 exec, exec, s[2:3]
	v_or_b32_e32 v1, 0x100, v0
	v_cmp_gt_u32_e64 s[0:1], s33, v1
                                        ; implicit-def: $vgpr4_vgpr5
	s_and_saveexec_b64 s[4:5], s[0:1]
	s_cbranch_execz .LBB297_7
; %bb.6:
	v_lshlrev_b32_e32 v1, 3, v0
	v_mov_b32_e32 v5, s56
	v_add_co_u32_e64 v4, s[2:3], s7, v1
	v_addc_co_u32_e64 v5, s[2:3], 0, v5, s[2:3]
	flat_load_dwordx2 v[4:5], v[4:5] offset:2048
.LBB297_7:
	s_or_b64 exec, exec, s[4:5]
	v_or_b32_e32 v36, 0x200, v0
	v_cmp_gt_u32_e64 s[2:3], s33, v36
                                        ; implicit-def: $vgpr6_vgpr7
	s_and_saveexec_b64 s[8:9], s[2:3]
	s_cbranch_execz .LBB297_9
; %bb.8:
	v_lshlrev_b32_e32 v1, 3, v36
	v_mov_b32_e32 v7, s56
	v_add_co_u32_e64 v6, s[4:5], s7, v1
	v_addc_co_u32_e64 v7, s[4:5], 0, v7, s[4:5]
	flat_load_dwordx2 v[6:7], v[6:7]
.LBB297_9:
	s_or_b64 exec, exec, s[8:9]
	v_or_b32_e32 v38, 0x300, v0
	v_cmp_gt_u32_e64 s[4:5], s33, v38
                                        ; implicit-def: $vgpr8_vgpr9
	s_and_saveexec_b64 s[10:11], s[4:5]
	s_cbranch_execz .LBB297_11
; %bb.10:
	v_lshlrev_b32_e32 v1, 3, v38
	v_mov_b32_e32 v9, s56
	v_add_co_u32_e64 v8, s[8:9], s7, v1
	v_addc_co_u32_e64 v9, s[8:9], 0, v9, s[8:9]
	flat_load_dwordx2 v[8:9], v[8:9]
.LBB297_11:
	s_or_b64 exec, exec, s[10:11]
	v_or_b32_e32 v40, 0x400, v0
	v_cmp_gt_u32_e64 s[28:29], s33, v40
                                        ; implicit-def: $vgpr10_vgpr11
	s_and_saveexec_b64 s[10:11], s[28:29]
	s_cbranch_execz .LBB297_13
; %bb.12:
	v_lshlrev_b32_e32 v1, 3, v40
	v_mov_b32_e32 v11, s56
	v_add_co_u32_e64 v10, s[8:9], s7, v1
	v_addc_co_u32_e64 v11, s[8:9], 0, v11, s[8:9]
	flat_load_dwordx2 v[10:11], v[10:11]
.LBB297_13:
	s_or_b64 exec, exec, s[10:11]
	v_or_b32_e32 v42, 0x500, v0
	v_cmp_gt_u32_e64 s[8:9], s33, v42
                                        ; implicit-def: $vgpr12_vgpr13
	s_and_saveexec_b64 s[12:13], s[8:9]
	s_cbranch_execz .LBB297_15
; %bb.14:
	v_lshlrev_b32_e32 v1, 3, v42
	v_mov_b32_e32 v13, s56
	v_add_co_u32_e64 v12, s[10:11], s7, v1
	v_addc_co_u32_e64 v13, s[10:11], 0, v13, s[10:11]
	flat_load_dwordx2 v[12:13], v[12:13]
.LBB297_15:
	s_or_b64 exec, exec, s[12:13]
	v_or_b32_e32 v44, 0x600, v0
	v_cmp_gt_u32_e64 s[10:11], s33, v44
                                        ; implicit-def: $vgpr14_vgpr15
	s_and_saveexec_b64 s[14:15], s[10:11]
	s_cbranch_execz .LBB297_17
; %bb.16:
	v_lshlrev_b32_e32 v1, 3, v44
	v_mov_b32_e32 v15, s56
	v_add_co_u32_e64 v14, s[12:13], s7, v1
	v_addc_co_u32_e64 v15, s[12:13], 0, v15, s[12:13]
	flat_load_dwordx2 v[14:15], v[14:15]
.LBB297_17:
	s_or_b64 exec, exec, s[14:15]
	v_or_b32_e32 v46, 0x700, v0
	v_cmp_gt_u32_e64 s[12:13], s33, v46
                                        ; implicit-def: $vgpr16_vgpr17
	s_and_saveexec_b64 s[16:17], s[12:13]
	s_cbranch_execz .LBB297_19
; %bb.18:
	v_lshlrev_b32_e32 v1, 3, v46
	v_mov_b32_e32 v17, s56
	v_add_co_u32_e64 v16, s[14:15], s7, v1
	v_addc_co_u32_e64 v17, s[14:15], 0, v17, s[14:15]
	flat_load_dwordx2 v[16:17], v[16:17]
.LBB297_19:
	s_or_b64 exec, exec, s[16:17]
	v_or_b32_e32 v48, 0x800, v0
	v_cmp_gt_u32_e64 s[14:15], s33, v48
                                        ; implicit-def: $vgpr18_vgpr19
	s_and_saveexec_b64 s[18:19], s[14:15]
	s_cbranch_execz .LBB297_21
; %bb.20:
	v_lshlrev_b32_e32 v1, 3, v48
	v_mov_b32_e32 v19, s56
	v_add_co_u32_e64 v18, s[16:17], s7, v1
	v_addc_co_u32_e64 v19, s[16:17], 0, v19, s[16:17]
	flat_load_dwordx2 v[18:19], v[18:19]
.LBB297_21:
	s_or_b64 exec, exec, s[18:19]
	v_or_b32_e32 v50, 0x900, v0
	v_cmp_gt_u32_e64 s[16:17], s33, v50
                                        ; implicit-def: $vgpr20_vgpr21
	s_and_saveexec_b64 s[20:21], s[16:17]
	s_cbranch_execz .LBB297_23
; %bb.22:
	v_lshlrev_b32_e32 v1, 3, v50
	v_mov_b32_e32 v21, s56
	v_add_co_u32_e64 v20, s[18:19], s7, v1
	v_addc_co_u32_e64 v21, s[18:19], 0, v21, s[18:19]
	flat_load_dwordx2 v[20:21], v[20:21]
.LBB297_23:
	s_or_b64 exec, exec, s[20:21]
	v_or_b32_e32 v52, 0xa00, v0
	v_cmp_gt_u32_e64 s[18:19], s33, v52
                                        ; implicit-def: $vgpr22_vgpr23
	s_and_saveexec_b64 s[22:23], s[18:19]
	s_cbranch_execz .LBB297_25
; %bb.24:
	v_lshlrev_b32_e32 v1, 3, v52
	v_mov_b32_e32 v23, s56
	v_add_co_u32_e64 v22, s[20:21], s7, v1
	v_addc_co_u32_e64 v23, s[20:21], 0, v23, s[20:21]
	flat_load_dwordx2 v[22:23], v[22:23]
.LBB297_25:
	s_or_b64 exec, exec, s[22:23]
	v_or_b32_e32 v54, 0xb00, v0
	v_cmp_gt_u32_e64 s[20:21], s33, v54
                                        ; implicit-def: $vgpr24_vgpr25
	s_and_saveexec_b64 s[24:25], s[20:21]
	s_cbranch_execz .LBB297_27
; %bb.26:
	v_lshlrev_b32_e32 v1, 3, v54
	v_mov_b32_e32 v25, s56
	v_add_co_u32_e64 v24, s[22:23], s7, v1
	v_addc_co_u32_e64 v25, s[22:23], 0, v25, s[22:23]
	flat_load_dwordx2 v[24:25], v[24:25]
.LBB297_27:
	s_or_b64 exec, exec, s[24:25]
	v_or_b32_e32 v56, 0xc00, v0
	v_cmp_gt_u32_e64 s[22:23], s33, v56
                                        ; implicit-def: $vgpr26_vgpr27
	s_and_saveexec_b64 s[26:27], s[22:23]
	s_cbranch_execz .LBB297_29
; %bb.28:
	v_lshlrev_b32_e32 v1, 3, v56
	v_mov_b32_e32 v27, s56
	v_add_co_u32_e64 v26, s[24:25], s7, v1
	v_addc_co_u32_e64 v27, s[24:25], 0, v27, s[24:25]
	flat_load_dwordx2 v[26:27], v[26:27]
.LBB297_29:
	s_or_b64 exec, exec, s[26:27]
	v_or_b32_e32 v60, 0xd00, v0
	v_cmp_gt_u32_e64 s[24:25], s33, v60
                                        ; implicit-def: $vgpr28_vgpr29
	s_and_saveexec_b64 s[30:31], s[24:25]
	s_cbranch_execz .LBB297_31
; %bb.30:
	v_lshlrev_b32_e32 v1, 3, v60
	v_mov_b32_e32 v29, s56
	v_add_co_u32_e64 v28, s[26:27], s7, v1
	v_addc_co_u32_e64 v29, s[26:27], 0, v29, s[26:27]
	flat_load_dwordx2 v[28:29], v[28:29]
.LBB297_31:
	s_or_b64 exec, exec, s[30:31]
	v_or_b32_e32 v62, 0xe00, v0
	v_cmp_gt_u32_e64 s[26:27], s33, v62
                                        ; implicit-def: $vgpr30_vgpr31
	s_and_saveexec_b64 s[44:45], s[26:27]
	s_cbranch_execz .LBB297_33
; %bb.32:
	v_lshlrev_b32_e32 v1, 3, v62
	v_mov_b32_e32 v31, s56
	v_add_co_u32_e64 v30, s[30:31], s7, v1
	v_addc_co_u32_e64 v31, s[30:31], 0, v31, s[30:31]
	flat_load_dwordx2 v[30:31], v[30:31]
.LBB297_33:
	s_or_b64 exec, exec, s[44:45]
	v_lshlrev_b32_e32 v63, 3, v0
	s_movk_i32 s30, 0x70
	v_mad_u32_u24 v1, v0, s30, v63
	s_waitcnt vmcnt(0) lgkmcnt(0)
	ds_write2st64_b64 v63, v[2:3], v[4:5] offset1:4
	ds_write2st64_b64 v63, v[6:7], v[8:9] offset0:8 offset1:12
	ds_write2st64_b64 v63, v[10:11], v[12:13] offset0:16 offset1:20
	;; [unrolled: 1-line block ×6, first 2 shown]
	ds_write_b64 v63, v[30:31] offset:28672
	s_waitcnt lgkmcnt(0)
	s_barrier
	ds_read2_b64 v[26:29], v1 offset1:1
	ds_read2_b64 v[22:25], v1 offset0:2 offset1:3
	ds_read2_b64 v[18:21], v1 offset0:4 offset1:5
	ds_read2_b64 v[14:17], v1 offset0:6 offset1:7
	ds_read2_b64 v[10:13], v1 offset0:8 offset1:9
	ds_read2_b64 v[6:9], v1 offset0:10 offset1:11
	ds_read2_b64 v[2:5], v1 offset0:12 offset1:13
	ds_read_b64 v[58:59], v1 offset:112
	s_waitcnt lgkmcnt(0)
	s_barrier
	s_waitcnt lgkmcnt(0)
                                        ; implicit-def: $vgpr30_vgpr31
	s_and_saveexec_b64 s[30:31], vcc
	s_cbranch_execnz .LBB297_57
; %bb.34:
	s_or_b64 exec, exec, s[30:31]
                                        ; implicit-def: $vgpr32_vgpr33
	s_and_saveexec_b64 s[30:31], s[0:1]
	s_cbranch_execnz .LBB297_58
.LBB297_35:
	s_or_b64 exec, exec, s[30:31]
                                        ; implicit-def: $vgpr34_vgpr35
	s_and_saveexec_b64 s[0:1], s[2:3]
	s_cbranch_execnz .LBB297_59
.LBB297_36:
	s_or_b64 exec, exec, s[0:1]
                                        ; implicit-def: $vgpr36_vgpr37
	s_and_saveexec_b64 s[0:1], s[4:5]
	s_cbranch_execnz .LBB297_60
.LBB297_37:
	s_or_b64 exec, exec, s[0:1]
                                        ; implicit-def: $vgpr38_vgpr39
	s_and_saveexec_b64 s[0:1], s[28:29]
	s_cbranch_execnz .LBB297_61
.LBB297_38:
	s_or_b64 exec, exec, s[0:1]
                                        ; implicit-def: $vgpr40_vgpr41
	s_and_saveexec_b64 s[0:1], s[8:9]
	s_cbranch_execnz .LBB297_62
.LBB297_39:
	s_or_b64 exec, exec, s[0:1]
                                        ; implicit-def: $vgpr42_vgpr43
	s_and_saveexec_b64 s[0:1], s[10:11]
	s_cbranch_execnz .LBB297_63
.LBB297_40:
	s_or_b64 exec, exec, s[0:1]
                                        ; implicit-def: $vgpr44_vgpr45
	s_and_saveexec_b64 s[0:1], s[12:13]
	s_cbranch_execnz .LBB297_64
.LBB297_41:
	s_or_b64 exec, exec, s[0:1]
                                        ; implicit-def: $vgpr46_vgpr47
	s_and_saveexec_b64 s[0:1], s[14:15]
	s_cbranch_execnz .LBB297_65
.LBB297_42:
	s_or_b64 exec, exec, s[0:1]
                                        ; implicit-def: $vgpr48_vgpr49
	s_and_saveexec_b64 s[0:1], s[16:17]
	s_cbranch_execnz .LBB297_66
.LBB297_43:
	s_or_b64 exec, exec, s[0:1]
                                        ; implicit-def: $vgpr50_vgpr51
	s_and_saveexec_b64 s[0:1], s[18:19]
	s_cbranch_execnz .LBB297_67
.LBB297_44:
	s_or_b64 exec, exec, s[0:1]
                                        ; implicit-def: $vgpr52_vgpr53
	s_and_saveexec_b64 s[0:1], s[20:21]
	s_cbranch_execnz .LBB297_68
.LBB297_45:
	s_or_b64 exec, exec, s[0:1]
                                        ; implicit-def: $vgpr54_vgpr55
	s_and_saveexec_b64 s[0:1], s[22:23]
	s_cbranch_execnz .LBB297_69
.LBB297_46:
	s_or_b64 exec, exec, s[0:1]
                                        ; implicit-def: $vgpr56_vgpr57
	s_and_saveexec_b64 s[0:1], s[24:25]
	s_cbranch_execnz .LBB297_70
.LBB297_47:
	s_or_b64 exec, exec, s[0:1]
                                        ; implicit-def: $vgpr60_vgpr61
	s_and_saveexec_b64 s[0:1], s[26:27]
	s_cbranch_execz .LBB297_49
.LBB297_48:
	v_lshlrev_b32_e32 v60, 3, v62
	v_mov_b32_e32 v61, s64
	v_add_co_u32_e32 v60, vcc, s57, v60
	v_addc_co_u32_e32 v61, vcc, 0, v61, vcc
	flat_load_dwordx2 v[60:61], v[60:61]
.LBB297_49:
	s_or_b64 exec, exec, s[0:1]
	v_mul_u32_u24_e32 v62, 15, v0
	s_waitcnt vmcnt(0) lgkmcnt(0)
	ds_write2st64_b64 v63, v[30:31], v[32:33] offset1:4
	ds_write2st64_b64 v63, v[34:35], v[36:37] offset0:8 offset1:12
	ds_write2st64_b64 v63, v[38:39], v[40:41] offset0:16 offset1:20
	;; [unrolled: 1-line block ×6, first 2 shown]
	ds_write_b64 v63, v[60:61] offset:28672
	s_waitcnt lgkmcnt(0)
	s_barrier
.LBB297_50:
	v_lshlrev_b32_e32 v60, 3, v62
	s_waitcnt lgkmcnt(0)
	ds_read2_b64 v[50:53], v1 offset1:2
	ds_read2_b64 v[42:45], v1 offset0:4 offset1:6
	ds_read2_b64 v[54:57], v60 offset0:1 offset1:3
	;; [unrolled: 1-line block ×6, first 2 shown]
	ds_read_b64 v[60:61], v60 offset:104
	s_cmp_eq_u64 s[52:53], 0
	s_cselect_b64 s[44:45], -1, 0
	s_cmp_lg_u64 s[52:53], 0
	s_mov_b64 s[0:1], 0
	s_cselect_b64 s[30:31], -1, 0
	s_and_b64 vcc, exec, s[54:55]
	s_waitcnt lgkmcnt(0)
	s_barrier
	s_cbranch_vccz .LBB297_56
; %bb.51:
	s_and_b64 vcc, exec, s[30:31]
	s_cbranch_vccz .LBB297_71
; %bb.52:
	v_mov_b32_e32 v1, s56
	v_add_co_u32_e64 v62, vcc, -8, s7
	v_addc_co_u32_e32 v63, vcc, -1, v1, vcc
	flat_load_dwordx2 v[62:63], v[62:63]
	s_mov_b32 s57, 0x66666667
	s_waitcnt vmcnt(0) lgkmcnt(0)
	v_mul_hi_i32 v63, v4, s57
	v_lshrrev_b32_e32 v64, 31, v63
	v_ashrrev_i32_e32 v63, 2, v63
	v_add_u32_e32 v63, v63, v64
	v_mul_hi_i32 v64, v58, s57
	v_lshrrev_b32_e32 v65, 31, v64
	v_ashrrev_i32_e32 v64, 2, v64
	v_add_u32_e32 v64, v64, v65
	v_cmp_ne_u32_e32 vcc, v63, v64
	v_mul_hi_i32 v64, v2, s57
	v_lshrrev_b32_e32 v65, 31, v64
	v_ashrrev_i32_e32 v64, 2, v64
	v_add_u32_e32 v64, v64, v65
	v_cmp_ne_u32_e64 s[0:1], v64, v63
	v_mul_hi_i32 v63, v8, s57
	v_lshrrev_b32_e32 v65, 31, v63
	v_ashrrev_i32_e32 v63, 2, v63
	v_add_u32_e32 v63, v63, v65
	v_cmp_ne_u32_e64 s[2:3], v63, v64
	;; [unrolled: 5-line block ×12, first 2 shown]
	v_mul_hi_i32 v64, v26, s57
	v_lshrrev_b32_e32 v65, 31, v64
	v_ashrrev_i32_e32 v64, 2, v64
	v_add_u32_e32 v74, v64, v65
	v_lshlrev_b32_e32 v1, 3, v0
	v_cmp_ne_u32_e64 s[24:25], v74, v63
	v_cmp_ne_u32_e64 s[28:29], 0, v0
	ds_write_b64 v1, v[58:59]
	s_waitcnt lgkmcnt(0)
	s_barrier
	s_and_saveexec_b64 s[54:55], s[28:29]
	s_cbranch_execz .LBB297_54
; %bb.53:
	v_add_u32_e32 v1, -8, v1
	ds_read_b64 v[62:63], v1
.LBB297_54:
	s_or_b64 exec, exec, s[54:55]
	s_waitcnt lgkmcnt(0)
	v_mul_hi_i32 v62, v62, s57
	v_lshrrev_b32_e32 v76, 31, v62
	v_ashrrev_i32_e32 v62, 2, v62
	v_add_u32_e32 v62, v62, v76
	v_cndmask_b32_e64 v1, 0, 1, vcc
	v_cndmask_b32_e64 v63, 0, 1, s[0:1]
	v_cndmask_b32_e64 v110, 0, 1, s[2:3]
	;; [unrolled: 1-line block ×13, first 2 shown]
	v_cmp_ne_u32_e64 s[4:5], v62, v74
	s_mov_b64 s[0:1], -1
.LBB297_55:
                                        ; implicit-def: $sgpr8
	s_branch .LBB297_110
.LBB297_56:
                                        ; implicit-def: $sgpr4_sgpr5
                                        ; implicit-def: $vgpr1
                                        ; implicit-def: $vgpr63
                                        ; implicit-def: $vgpr110
                                        ; implicit-def: $vgpr65
                                        ; implicit-def: $vgpr64
                                        ; implicit-def: $vgpr67
                                        ; implicit-def: $vgpr66
                                        ; implicit-def: $vgpr69
                                        ; implicit-def: $vgpr68
                                        ; implicit-def: $vgpr71
                                        ; implicit-def: $vgpr70
                                        ; implicit-def: $vgpr73
                                        ; implicit-def: $vgpr72
                                        ; implicit-def: $vgpr75
                                        ; implicit-def: $sgpr8
	s_cbranch_execnz .LBB297_75
	s_branch .LBB297_110
.LBB297_57:
	v_mov_b32_e32 v31, s64
	v_add_co_u32_e32 v30, vcc, s57, v63
	v_addc_co_u32_e32 v31, vcc, 0, v31, vcc
	flat_load_dwordx2 v[30:31], v[30:31]
	s_or_b64 exec, exec, s[30:31]
                                        ; implicit-def: $vgpr32_vgpr33
	s_and_saveexec_b64 s[30:31], s[0:1]
	s_cbranch_execz .LBB297_35
.LBB297_58:
	v_mov_b32_e32 v33, s64
	v_add_co_u32_e32 v32, vcc, s57, v63
	v_addc_co_u32_e32 v33, vcc, 0, v33, vcc
	flat_load_dwordx2 v[32:33], v[32:33] offset:2048
	s_or_b64 exec, exec, s[30:31]
                                        ; implicit-def: $vgpr34_vgpr35
	s_and_saveexec_b64 s[0:1], s[2:3]
	s_cbranch_execz .LBB297_36
.LBB297_59:
	v_lshlrev_b32_e32 v34, 3, v36
	v_mov_b32_e32 v35, s64
	v_add_co_u32_e32 v34, vcc, s57, v34
	v_addc_co_u32_e32 v35, vcc, 0, v35, vcc
	flat_load_dwordx2 v[34:35], v[34:35]
	s_or_b64 exec, exec, s[0:1]
                                        ; implicit-def: $vgpr36_vgpr37
	s_and_saveexec_b64 s[0:1], s[4:5]
	s_cbranch_execz .LBB297_37
.LBB297_60:
	v_lshlrev_b32_e32 v36, 3, v38
	v_mov_b32_e32 v37, s64
	v_add_co_u32_e32 v36, vcc, s57, v36
	v_addc_co_u32_e32 v37, vcc, 0, v37, vcc
	flat_load_dwordx2 v[36:37], v[36:37]
	s_or_b64 exec, exec, s[0:1]
                                        ; implicit-def: $vgpr38_vgpr39
	s_and_saveexec_b64 s[0:1], s[28:29]
	s_cbranch_execz .LBB297_38
.LBB297_61:
	v_lshlrev_b32_e32 v38, 3, v40
	v_mov_b32_e32 v39, s64
	v_add_co_u32_e32 v38, vcc, s57, v38
	v_addc_co_u32_e32 v39, vcc, 0, v39, vcc
	flat_load_dwordx2 v[38:39], v[38:39]
	s_or_b64 exec, exec, s[0:1]
                                        ; implicit-def: $vgpr40_vgpr41
	s_and_saveexec_b64 s[0:1], s[8:9]
	s_cbranch_execz .LBB297_39
.LBB297_62:
	v_lshlrev_b32_e32 v40, 3, v42
	v_mov_b32_e32 v41, s64
	v_add_co_u32_e32 v40, vcc, s57, v40
	v_addc_co_u32_e32 v41, vcc, 0, v41, vcc
	flat_load_dwordx2 v[40:41], v[40:41]
	s_or_b64 exec, exec, s[0:1]
                                        ; implicit-def: $vgpr42_vgpr43
	s_and_saveexec_b64 s[0:1], s[10:11]
	s_cbranch_execz .LBB297_40
.LBB297_63:
	v_lshlrev_b32_e32 v42, 3, v44
	v_mov_b32_e32 v43, s64
	v_add_co_u32_e32 v42, vcc, s57, v42
	v_addc_co_u32_e32 v43, vcc, 0, v43, vcc
	flat_load_dwordx2 v[42:43], v[42:43]
	s_or_b64 exec, exec, s[0:1]
                                        ; implicit-def: $vgpr44_vgpr45
	s_and_saveexec_b64 s[0:1], s[12:13]
	s_cbranch_execz .LBB297_41
.LBB297_64:
	v_lshlrev_b32_e32 v44, 3, v46
	v_mov_b32_e32 v45, s64
	v_add_co_u32_e32 v44, vcc, s57, v44
	v_addc_co_u32_e32 v45, vcc, 0, v45, vcc
	flat_load_dwordx2 v[44:45], v[44:45]
	s_or_b64 exec, exec, s[0:1]
                                        ; implicit-def: $vgpr46_vgpr47
	s_and_saveexec_b64 s[0:1], s[14:15]
	s_cbranch_execz .LBB297_42
.LBB297_65:
	v_lshlrev_b32_e32 v46, 3, v48
	v_mov_b32_e32 v47, s64
	v_add_co_u32_e32 v46, vcc, s57, v46
	v_addc_co_u32_e32 v47, vcc, 0, v47, vcc
	flat_load_dwordx2 v[46:47], v[46:47]
	s_or_b64 exec, exec, s[0:1]
                                        ; implicit-def: $vgpr48_vgpr49
	s_and_saveexec_b64 s[0:1], s[16:17]
	s_cbranch_execz .LBB297_43
.LBB297_66:
	v_lshlrev_b32_e32 v48, 3, v50
	v_mov_b32_e32 v49, s64
	v_add_co_u32_e32 v48, vcc, s57, v48
	v_addc_co_u32_e32 v49, vcc, 0, v49, vcc
	flat_load_dwordx2 v[48:49], v[48:49]
	s_or_b64 exec, exec, s[0:1]
                                        ; implicit-def: $vgpr50_vgpr51
	s_and_saveexec_b64 s[0:1], s[18:19]
	s_cbranch_execz .LBB297_44
.LBB297_67:
	v_lshlrev_b32_e32 v50, 3, v52
	v_mov_b32_e32 v51, s64
	v_add_co_u32_e32 v50, vcc, s57, v50
	v_addc_co_u32_e32 v51, vcc, 0, v51, vcc
	flat_load_dwordx2 v[50:51], v[50:51]
	s_or_b64 exec, exec, s[0:1]
                                        ; implicit-def: $vgpr52_vgpr53
	s_and_saveexec_b64 s[0:1], s[20:21]
	s_cbranch_execz .LBB297_45
.LBB297_68:
	v_lshlrev_b32_e32 v52, 3, v54
	v_mov_b32_e32 v53, s64
	v_add_co_u32_e32 v52, vcc, s57, v52
	v_addc_co_u32_e32 v53, vcc, 0, v53, vcc
	flat_load_dwordx2 v[52:53], v[52:53]
	s_or_b64 exec, exec, s[0:1]
                                        ; implicit-def: $vgpr54_vgpr55
	s_and_saveexec_b64 s[0:1], s[22:23]
	s_cbranch_execz .LBB297_46
.LBB297_69:
	v_lshlrev_b32_e32 v54, 3, v56
	v_mov_b32_e32 v55, s64
	v_add_co_u32_e32 v54, vcc, s57, v54
	v_addc_co_u32_e32 v55, vcc, 0, v55, vcc
	flat_load_dwordx2 v[54:55], v[54:55]
	s_or_b64 exec, exec, s[0:1]
                                        ; implicit-def: $vgpr56_vgpr57
	s_and_saveexec_b64 s[0:1], s[24:25]
	s_cbranch_execz .LBB297_47
.LBB297_70:
	v_lshlrev_b32_e32 v56, 3, v60
	v_mov_b32_e32 v57, s64
	v_add_co_u32_e32 v56, vcc, s57, v56
	v_addc_co_u32_e32 v57, vcc, 0, v57, vcc
	flat_load_dwordx2 v[56:57], v[56:57]
	s_or_b64 exec, exec, s[0:1]
                                        ; implicit-def: $vgpr60_vgpr61
	s_and_saveexec_b64 s[0:1], s[26:27]
	s_cbranch_execnz .LBB297_48
	s_branch .LBB297_49
.LBB297_71:
                                        ; implicit-def: $sgpr4_sgpr5
                                        ; implicit-def: $vgpr1
                                        ; implicit-def: $vgpr63
                                        ; implicit-def: $vgpr110
                                        ; implicit-def: $vgpr65
                                        ; implicit-def: $vgpr64
                                        ; implicit-def: $vgpr67
                                        ; implicit-def: $vgpr66
                                        ; implicit-def: $vgpr69
                                        ; implicit-def: $vgpr68
                                        ; implicit-def: $vgpr71
                                        ; implicit-def: $vgpr70
                                        ; implicit-def: $vgpr73
                                        ; implicit-def: $vgpr72
                                        ; implicit-def: $vgpr75
	s_cbranch_execz .LBB297_55
; %bb.72:
	s_mov_b32 s8, 0x66666667
	v_mul_hi_i32 v1, v4, s8
	v_lshrrev_b32_e32 v63, 31, v1
	v_ashrrev_i32_e32 v1, 2, v1
	v_add_u32_e32 v63, v1, v63
	v_mul_hi_i32 v1, v58, s8
	v_lshrrev_b32_e32 v64, 31, v1
	v_ashrrev_i32_e32 v1, 2, v1
	v_add_u32_e32 v1, v1, v64
	;; [unrolled: 4-line block ×3, first 2 shown]
	v_mul_hi_i32 v65, v8, s8
	v_cmp_ne_u32_e32 vcc, v63, v1
	v_lshrrev_b32_e32 v66, 31, v65
	v_ashrrev_i32_e32 v65, 2, v65
	v_cndmask_b32_e64 v1, 0, 1, vcc
	v_cmp_ne_u32_e32 vcc, v64, v63
	v_add_u32_e32 v65, v65, v66
	v_cndmask_b32_e64 v63, 0, 1, vcc
	v_cmp_ne_u32_e32 vcc, v65, v64
	v_mul_hi_i32 v64, v6, s8
	v_lshrrev_b32_e32 v66, 31, v64
	v_ashrrev_i32_e32 v64, 2, v64
	v_add_u32_e32 v64, v64, v66
	v_mul_hi_i32 v66, v12, s8
	v_lshrrev_b32_e32 v67, 31, v66
	v_ashrrev_i32_e32 v66, 2, v66
	v_add_u32_e32 v66, v66, v67
	v_mul_hi_i32 v67, v10, s8
	v_cndmask_b32_e64 v110, 0, 1, vcc
	v_cmp_ne_u32_e32 vcc, v64, v65
	v_lshrrev_b32_e32 v68, 31, v67
	v_ashrrev_i32_e32 v67, 2, v67
	v_cndmask_b32_e64 v65, 0, 1, vcc
	v_cmp_ne_u32_e32 vcc, v66, v64
	v_add_u32_e32 v68, v67, v68
	v_cndmask_b32_e64 v64, 0, 1, vcc
	v_cmp_ne_u32_e32 vcc, v68, v66
	v_mul_hi_i32 v66, v16, s8
	v_lshrrev_b32_e32 v69, 31, v66
	v_ashrrev_i32_e32 v66, 2, v66
	v_add_u32_e32 v69, v66, v69
	v_cndmask_b32_e64 v67, 0, 1, vcc
	v_cmp_ne_u32_e32 vcc, v69, v68
	v_mul_hi_i32 v68, v14, s8
	v_lshrrev_b32_e32 v70, 31, v68
	v_ashrrev_i32_e32 v68, 2, v68
	v_add_u32_e32 v68, v68, v70
	v_mul_hi_i32 v70, v20, s8
	v_lshrrev_b32_e32 v71, 31, v70
	v_ashrrev_i32_e32 v70, 2, v70
	v_add_u32_e32 v70, v70, v71
	v_mul_hi_i32 v71, v18, s8
	v_cndmask_b32_e64 v66, 0, 1, vcc
	v_cmp_ne_u32_e32 vcc, v68, v69
	v_lshrrev_b32_e32 v72, 31, v71
	v_ashrrev_i32_e32 v71, 2, v71
	v_cndmask_b32_e64 v69, 0, 1, vcc
	v_cmp_ne_u32_e32 vcc, v70, v68
	v_add_u32_e32 v72, v71, v72
	v_cndmask_b32_e64 v68, 0, 1, vcc
	v_cmp_ne_u32_e32 vcc, v72, v70
	v_mul_hi_i32 v70, v24, s8
	v_lshrrev_b32_e32 v73, 31, v70
	v_ashrrev_i32_e32 v70, 2, v70
	v_add_u32_e32 v73, v70, v73
	v_cndmask_b32_e64 v71, 0, 1, vcc
	v_cmp_ne_u32_e32 vcc, v73, v72
	v_mul_hi_i32 v72, v22, s8
	v_lshrrev_b32_e32 v74, 31, v72
	v_ashrrev_i32_e32 v72, 2, v72
	v_add_u32_e32 v72, v72, v74
	v_mul_hi_i32 v74, v28, s8
	v_lshrrev_b32_e32 v75, 31, v74
	v_ashrrev_i32_e32 v74, 2, v74
	v_add_u32_e32 v75, v74, v75
	v_mul_hi_i32 v74, v26, s8
	v_cndmask_b32_e64 v70, 0, 1, vcc
	v_cmp_ne_u32_e32 vcc, v72, v73
	v_lshrrev_b32_e32 v76, 31, v74
	v_ashrrev_i32_e32 v74, 2, v74
	v_cndmask_b32_e64 v73, 0, 1, vcc
	v_cmp_ne_u32_e32 vcc, v75, v72
	v_add_u32_e32 v74, v74, v76
	v_cndmask_b32_e64 v72, 0, 1, vcc
	v_cmp_ne_u32_e32 vcc, v74, v75
	v_lshlrev_b32_e32 v62, 3, v0
	v_cndmask_b32_e64 v75, 0, 1, vcc
	v_cmp_ne_u32_e32 vcc, 0, v0
	ds_write_b64 v62, v[58:59]
	s_waitcnt lgkmcnt(0)
	s_barrier
	s_waitcnt lgkmcnt(0)
                                        ; implicit-def: $sgpr4_sgpr5
	s_and_saveexec_b64 s[2:3], vcc
	s_xor_b64 s[2:3], exec, s[2:3]
	s_cbranch_execz .LBB297_74
; %bb.73:
	v_add_u32_e32 v62, -8, v62
	ds_read_b32 v62, v62
	s_or_b64 s[0:1], s[0:1], exec
	s_waitcnt lgkmcnt(0)
	v_mul_hi_i32 v62, v62, s8
	v_lshrrev_b32_e32 v76, 31, v62
	v_ashrrev_i32_e32 v62, 2, v62
	v_add_u32_e32 v62, v62, v76
	v_cmp_ne_u32_e32 vcc, v62, v74
	s_and_b64 s[4:5], vcc, exec
.LBB297_74:
	s_or_b64 exec, exec, s[2:3]
	s_mov_b32 s8, 1
	s_branch .LBB297_110
.LBB297_75:
	s_mul_hi_u32 s3, s52, 0xfffff100
	s_mul_i32 s2, s53, 0xfffff100
	s_sub_i32 s3, s3, s52
	s_add_i32 s3, s3, s2
	s_mul_i32 s2, s52, 0xfffff100
	s_add_u32 s2, s2, s48
	s_addc_u32 s3, s3, s49
	s_and_b64 vcc, exec, s[30:31]
	s_cbranch_vccz .LBB297_251
; %bb.76:
	v_mov_b32_e32 v1, s56
	v_add_co_u32_e64 v62, vcc, -8, s7
	v_addc_co_u32_e32 v63, vcc, -1, v1, vcc
	flat_load_dwordx2 v[76:77], v[62:63]
	v_mad_u32_u24 v62, v0, 15, 14
	v_mov_b32_e32 v63, 0
	s_waitcnt vmcnt(0) lgkmcnt(0)
	v_lshlrev_b32_e32 v77, 3, v0
	v_mul_u32_u24_e32 v78, 15, v0
	v_cmp_gt_u64_e32 vcc, s[2:3], v[62:63]
	v_mov_b32_e32 v1, 0
	ds_write_b64 v77, v[58:59]
	s_and_saveexec_b64 s[0:1], vcc
; %bb.77:
	s_mov_b32 s4, 0x66666667
	v_mul_hi_i32 v1, v4, s4
	v_lshrrev_b32_e32 v62, 31, v1
	v_ashrrev_i32_e32 v1, 2, v1
	v_add_u32_e32 v1, v1, v62
	v_mul_hi_i32 v62, v58, s4
	v_lshrrev_b32_e32 v64, 31, v62
	v_ashrrev_i32_e32 v62, 2, v62
	v_add_u32_e32 v62, v62, v64
	v_cmp_ne_u32_e32 vcc, v1, v62
	v_cndmask_b32_e64 v1, 0, 1, vcc
; %bb.78:
	s_or_b64 exec, exec, s[0:1]
	v_add_u32_e32 v62, 13, v78
	v_cmp_gt_u64_e32 vcc, s[2:3], v[62:63]
	s_and_saveexec_b64 s[0:1], vcc
; %bb.79:
	s_mov_b32 s4, 0x66666667
	v_mul_hi_i32 v62, v2, s4
	v_lshrrev_b32_e32 v63, 31, v62
	v_ashrrev_i32_e32 v62, 2, v62
	v_add_u32_e32 v62, v62, v63
	v_mul_hi_i32 v63, v4, s4
	v_lshrrev_b32_e32 v64, 31, v63
	v_ashrrev_i32_e32 v63, 2, v63
	v_add_u32_e32 v63, v63, v64
	v_cmp_ne_u32_e32 vcc, v62, v63
	v_cndmask_b32_e64 v63, 0, 1, vcc
; %bb.80:
	s_or_b64 exec, exec, s[0:1]
	v_add_u32_e32 v64, 12, v78
	v_mov_b32_e32 v65, 0
	v_cmp_gt_u64_e32 vcc, s[2:3], v[64:65]
	v_mov_b32_e32 v110, 0
	s_and_saveexec_b64 s[0:1], vcc
; %bb.81:
	s_mov_b32 s4, 0x66666667
	v_mul_hi_i32 v62, v8, s4
	v_lshrrev_b32_e32 v64, 31, v62
	v_ashrrev_i32_e32 v62, 2, v62
	v_add_u32_e32 v62, v62, v64
	v_mul_hi_i32 v64, v2, s4
	v_lshrrev_b32_e32 v66, 31, v64
	v_ashrrev_i32_e32 v64, 2, v64
	v_add_u32_e32 v64, v64, v66
	v_cmp_ne_u32_e32 vcc, v62, v64
	v_cndmask_b32_e64 v110, 0, 1, vcc
; %bb.82:
	s_or_b64 exec, exec, s[0:1]
	v_add_u32_e32 v64, 11, v78
	v_cmp_gt_u64_e32 vcc, s[2:3], v[64:65]
	s_and_saveexec_b64 s[0:1], vcc
; %bb.83:
	s_mov_b32 s4, 0x66666667
	v_mul_hi_i32 v62, v6, s4
	v_lshrrev_b32_e32 v64, 31, v62
	v_ashrrev_i32_e32 v62, 2, v62
	v_add_u32_e32 v62, v62, v64
	v_mul_hi_i32 v64, v8, s4
	v_lshrrev_b32_e32 v65, 31, v64
	v_ashrrev_i32_e32 v64, 2, v64
	v_add_u32_e32 v64, v64, v65
	v_cmp_ne_u32_e32 vcc, v62, v64
	v_cndmask_b32_e64 v65, 0, 1, vcc
; %bb.84:
	s_or_b64 exec, exec, s[0:1]
	v_add_u32_e32 v66, 10, v78
	v_mov_b32_e32 v67, 0
	v_cmp_gt_u64_e32 vcc, s[2:3], v[66:67]
	v_mov_b32_e32 v64, 0
	;; [unrolled: 36-line block ×6, first 2 shown]
	s_and_saveexec_b64 s[0:1], vcc
; %bb.101:
	s_mov_b32 s4, 0x66666667
	v_mul_hi_i32 v62, v28, s4
	v_lshrrev_b32_e32 v72, 31, v62
	v_ashrrev_i32_e32 v62, 2, v62
	v_add_u32_e32 v62, v62, v72
	v_mul_hi_i32 v72, v22, s4
	v_lshrrev_b32_e32 v74, 31, v72
	v_ashrrev_i32_e32 v72, 2, v72
	v_add_u32_e32 v72, v72, v74
	v_cmp_ne_u32_e32 vcc, v62, v72
	v_cndmask_b32_e64 v72, 0, 1, vcc
; %bb.102:
	s_or_b64 exec, exec, s[0:1]
	v_add_u32_e32 v74, 1, v78
	v_cmp_gt_u64_e32 vcc, s[2:3], v[74:75]
	s_and_saveexec_b64 s[0:1], vcc
; %bb.103:
	s_mov_b32 s4, 0x66666667
	v_mul_hi_i32 v62, v26, s4
	v_lshrrev_b32_e32 v74, 31, v62
	v_ashrrev_i32_e32 v62, 2, v62
	v_add_u32_e32 v62, v62, v74
	v_mul_hi_i32 v74, v28, s4
	v_lshrrev_b32_e32 v75, 31, v74
	v_ashrrev_i32_e32 v74, 2, v74
	v_add_u32_e32 v74, v74, v75
	v_cmp_ne_u32_e32 vcc, v62, v74
	v_cndmask_b32_e64 v75, 0, 1, vcc
; %bb.104:
	s_or_b64 exec, exec, s[0:1]
	v_cmp_ne_u32_e32 vcc, 0, v0
	s_waitcnt lgkmcnt(0)
	s_barrier
	s_and_saveexec_b64 s[0:1], vcc
	s_cbranch_execz .LBB297_106
; %bb.105:
	v_add_u32_e32 v62, -8, v77
	ds_read_b64 v[76:77], v62
.LBB297_106:
	s_or_b64 exec, exec, s[0:1]
	v_mov_b32_e32 v79, 0
	v_cmp_gt_u64_e32 vcc, s[2:3], v[78:79]
	s_mov_b64 s[8:9], 0
	s_mov_b64 s[4:5], 0
	s_and_saveexec_b64 s[0:1], vcc
	s_cbranch_execz .LBB297_108
; %bb.107:
	s_mov_b32 s4, 0x66666667
	s_waitcnt lgkmcnt(0)
	v_mul_hi_i32 v62, v76, s4
	v_lshrrev_b32_e32 v74, 31, v62
	v_ashrrev_i32_e32 v62, 2, v62
	v_add_u32_e32 v62, v62, v74
	v_mul_hi_i32 v74, v26, s4
	v_lshrrev_b32_e32 v76, 31, v74
	v_ashrrev_i32_e32 v74, 2, v74
	v_add_u32_e32 v74, v74, v76
	v_cmp_ne_u32_e32 vcc, v62, v74
	s_and_b64 s[4:5], vcc, exec
.LBB297_108:
	s_or_b64 exec, exec, s[0:1]
	s_mov_b64 s[0:1], -1
	s_and_b64 vcc, exec, s[8:9]
	s_cbranch_vccnz .LBB297_252
.LBB297_109:
                                        ; implicit-def: $sgpr8
.LBB297_110:
	v_mov_b32_e32 v74, s8
	s_and_saveexec_b64 s[2:3], s[0:1]
.LBB297_111:
	v_cndmask_b32_e64 v74, 0, 1, s[4:5]
.LBB297_112:
	s_or_b64 exec, exec, s[2:3]
	s_cmp_eq_u64 s[42:43], 0
	v_add3_u32 v62, v75, v74, v72
	s_cselect_b64 s[30:31], -1, 0
	s_cmp_lg_u32 s6, 0
	v_cmp_eq_u32_e64 s[24:25], 0, v75
	v_cmp_eq_u32_e64 s[22:23], 0, v72
	;; [unrolled: 1-line block ×3, first 2 shown]
	v_add3_u32 v113, v62, v73, v70
	v_cmp_eq_u32_e64 s[18:19], 0, v70
	v_cmp_eq_u32_e64 s[16:17], 0, v71
	;; [unrolled: 1-line block ×10, first 2 shown]
	v_cmp_eq_u32_e32 vcc, 0, v1
	v_mbcnt_lo_u32_b32 v112, -1, 0
	s_cbranch_scc0 .LBB297_183
; %bb.113:
	s_waitcnt lgkmcnt(0)
	v_cndmask_b32_e64 v76, 0, v50, s[24:25]
	v_cndmask_b32_e64 v62, 0, v51, s[24:25]
	v_add_co_u32_e64 v76, s[26:27], v76, v54
	v_addc_co_u32_e64 v62, s[26:27], v62, v55, s[26:27]
	v_cndmask_b32_e64 v76, 0, v76, s[22:23]
	v_cndmask_b32_e64 v62, 0, v62, s[22:23]
	v_add_co_u32_e64 v76, s[26:27], v76, v52
	v_addc_co_u32_e64 v62, s[26:27], v62, v53, s[26:27]
	;; [unrolled: 4-line block ×11, first 2 shown]
	v_cndmask_b32_e64 v76, 0, v76, s[2:3]
	v_cndmask_b32_e64 v62, 0, v62, s[2:3]
	v_add_co_u32_e64 v76, s[26:27], v76, v30
	v_add3_u32 v77, v113, v71, v68
	v_addc_co_u32_e64 v62, s[26:27], v62, v31, s[26:27]
	v_cndmask_b32_e64 v76, 0, v76, s[0:1]
	v_add3_u32 v77, v77, v69, v66
	v_cndmask_b32_e64 v62, 0, v62, s[0:1]
	v_add_co_u32_e64 v76, s[26:27], v76, v60
	v_add3_u32 v77, v77, v67, v64
	v_addc_co_u32_e64 v62, s[26:27], v62, v61, s[26:27]
	v_cndmask_b32_e32 v76, 0, v76, vcc
	v_add3_u32 v77, v77, v65, v110
	v_cndmask_b32_e32 v62, 0, v62, vcc
	v_add_co_u32_e32 v78, vcc, v76, v32
	v_mbcnt_hi_u32_b32 v81, -1, v112
	v_add3_u32 v80, v77, v63, v1
	v_addc_co_u32_e32 v79, vcc, v62, v33, vcc
	v_and_b32_e32 v62, 15, v81
	v_mov_b32_dpp v77, v80 row_shr:1 row_mask:0xf bank_mask:0xf
	v_mov_b32_dpp v76, v78 row_shr:1 row_mask:0xf bank_mask:0xf
	;; [unrolled: 1-line block ×3, first 2 shown]
	v_cmp_ne_u32_e32 vcc, 0, v62
	s_and_saveexec_b64 s[26:27], vcc
; %bb.114:
	v_cmp_eq_u32_e32 vcc, 0, v80
	v_cndmask_b32_e32 v76, 0, v76, vcc
	v_add_u32_e32 v77, v77, v80
	v_cndmask_b32_e32 v80, 0, v82, vcc
	v_add_co_u32_e32 v78, vcc, v76, v78
	v_addc_co_u32_e32 v79, vcc, v80, v79, vcc
	v_mov_b32_e32 v80, v77
; %bb.115:
	s_or_b64 exec, exec, s[26:27]
	s_nop 0
	v_mov_b32_dpp v77, v80 row_shr:2 row_mask:0xf bank_mask:0xf
	v_mov_b32_dpp v76, v78 row_shr:2 row_mask:0xf bank_mask:0xf
	v_mov_b32_dpp v82, v79 row_shr:2 row_mask:0xf bank_mask:0xf
	v_cmp_lt_u32_e32 vcc, 1, v62
	s_and_saveexec_b64 s[26:27], vcc
; %bb.116:
	v_cmp_eq_u32_e32 vcc, 0, v80
	v_cndmask_b32_e32 v76, 0, v76, vcc
	v_add_u32_e32 v77, v77, v80
	v_cndmask_b32_e32 v80, 0, v82, vcc
	v_add_co_u32_e32 v78, vcc, v76, v78
	v_addc_co_u32_e32 v79, vcc, v80, v79, vcc
	v_mov_b32_e32 v80, v77
; %bb.117:
	s_or_b64 exec, exec, s[26:27]
	s_nop 0
	v_mov_b32_dpp v77, v80 row_shr:4 row_mask:0xf bank_mask:0xf
	v_mov_b32_dpp v76, v78 row_shr:4 row_mask:0xf bank_mask:0xf
	v_mov_b32_dpp v82, v79 row_shr:4 row_mask:0xf bank_mask:0xf
	v_cmp_lt_u32_e32 vcc, 3, v62
	s_and_saveexec_b64 s[26:27], vcc
; %bb.118:
	v_cmp_eq_u32_e32 vcc, 0, v80
	v_cndmask_b32_e32 v76, 0, v76, vcc
	v_add_u32_e32 v77, v77, v80
	v_cndmask_b32_e32 v80, 0, v82, vcc
	v_add_co_u32_e32 v78, vcc, v76, v78
	v_addc_co_u32_e32 v79, vcc, v80, v79, vcc
	v_mov_b32_e32 v80, v77
; %bb.119:
	s_or_b64 exec, exec, s[26:27]
	s_nop 0
	v_mov_b32_dpp v77, v80 row_shr:8 row_mask:0xf bank_mask:0xf
	v_mov_b32_dpp v76, v78 row_shr:8 row_mask:0xf bank_mask:0xf
	v_mov_b32_dpp v82, v79 row_shr:8 row_mask:0xf bank_mask:0xf
	v_cmp_lt_u32_e32 vcc, 7, v62
	s_and_saveexec_b64 s[26:27], vcc
; %bb.120:
	v_cmp_eq_u32_e32 vcc, 0, v80
	v_cndmask_b32_e32 v76, 0, v76, vcc
	v_add_u32_e32 v62, v77, v80
	v_cndmask_b32_e32 v77, 0, v82, vcc
	v_add_co_u32_e32 v78, vcc, v76, v78
	v_addc_co_u32_e32 v79, vcc, v77, v79, vcc
	v_mov_b32_e32 v80, v62
; %bb.121:
	s_or_b64 exec, exec, s[26:27]
	v_and_b32_e32 v82, 16, v81
	v_mov_b32_dpp v76, v80 row_bcast:15 row_mask:0xf bank_mask:0xf
	v_mov_b32_dpp v62, v78 row_bcast:15 row_mask:0xf bank_mask:0xf
	;; [unrolled: 1-line block ×3, first 2 shown]
	v_cmp_ne_u32_e32 vcc, 0, v82
	s_and_saveexec_b64 s[26:27], vcc
; %bb.122:
	v_cmp_eq_u32_e32 vcc, 0, v80
	v_cndmask_b32_e32 v62, 0, v62, vcc
	v_add_u32_e32 v76, v76, v80
	v_cndmask_b32_e32 v77, 0, v77, vcc
	v_add_co_u32_e32 v78, vcc, v62, v78
	v_addc_co_u32_e32 v79, vcc, v77, v79, vcc
	v_mov_b32_e32 v80, v76
; %bb.123:
	s_or_b64 exec, exec, s[26:27]
	s_nop 0
	v_mov_b32_dpp v76, v80 row_bcast:31 row_mask:0xf bank_mask:0xf
	v_mov_b32_dpp v62, v78 row_bcast:31 row_mask:0xf bank_mask:0xf
	;; [unrolled: 1-line block ×3, first 2 shown]
	v_cmp_lt_u32_e32 vcc, 31, v81
	s_and_saveexec_b64 s[26:27], vcc
; %bb.124:
	v_cmp_eq_u32_e32 vcc, 0, v80
	v_cndmask_b32_e32 v62, 0, v62, vcc
	v_add_u32_e32 v76, v76, v80
	v_cndmask_b32_e32 v77, 0, v77, vcc
	v_add_co_u32_e32 v78, vcc, v62, v78
	v_addc_co_u32_e32 v79, vcc, v77, v79, vcc
	v_mov_b32_e32 v80, v76
; %bb.125:
	s_or_b64 exec, exec, s[26:27]
	v_lshrrev_b32_e32 v62, 6, v0
	v_or_b32_e32 v76, 63, v0
	v_cmp_eq_u32_e32 vcc, v76, v0
	v_lshlrev_b32_e32 v82, 4, v62
	s_and_saveexec_b64 s[26:27], vcc
	s_cbranch_execz .LBB297_127
; %bb.126:
	ds_write_b32 v82, v80 offset:4128
	ds_write_b64 v82, v[78:79] offset:4136
.LBB297_127:
	s_or_b64 exec, exec, s[26:27]
	v_cmp_gt_u32_e32 vcc, 4, v0
	s_waitcnt lgkmcnt(0)
	s_barrier
	s_and_saveexec_b64 s[26:27], vcc
	s_cbranch_execz .LBB297_133
; %bb.128:
	v_lshlrev_b32_e32 v62, 4, v0
	ds_read_b32 v83, v62 offset:4128
	ds_read_b64 v[76:77], v62 offset:4136
	v_and_b32_e32 v84, 3, v81
	v_cmp_ne_u32_e32 vcc, 0, v84
	s_waitcnt lgkmcnt(1)
	v_mov_b32_dpp v86, v83 row_shr:1 row_mask:0xf bank_mask:0xf
	s_waitcnt lgkmcnt(0)
	v_mov_b32_dpp v85, v76 row_shr:1 row_mask:0xf bank_mask:0xf
	v_mov_b32_dpp v87, v77 row_shr:1 row_mask:0xf bank_mask:0xf
	s_and_saveexec_b64 s[42:43], vcc
; %bb.129:
	v_cmp_eq_u32_e32 vcc, 0, v83
	v_cndmask_b32_e32 v85, 0, v85, vcc
	v_add_u32_e32 v86, v86, v83
	v_cndmask_b32_e32 v83, 0, v87, vcc
	v_add_co_u32_e32 v76, vcc, v85, v76
	v_addc_co_u32_e32 v77, vcc, v83, v77, vcc
	v_mov_b32_e32 v83, v86
; %bb.130:
	s_or_b64 exec, exec, s[42:43]
	s_nop 0
	v_mov_b32_dpp v86, v83 row_shr:2 row_mask:0xf bank_mask:0xf
	v_mov_b32_dpp v85, v76 row_shr:2 row_mask:0xf bank_mask:0xf
	;; [unrolled: 1-line block ×3, first 2 shown]
	v_cmp_lt_u32_e32 vcc, 1, v84
	s_and_saveexec_b64 s[42:43], vcc
; %bb.131:
	v_cmp_eq_u32_e32 vcc, 0, v83
	v_cndmask_b32_e32 v85, 0, v85, vcc
	v_add_u32_e32 v84, v86, v83
	v_cndmask_b32_e32 v83, 0, v87, vcc
	v_add_co_u32_e32 v76, vcc, v85, v76
	v_addc_co_u32_e32 v77, vcc, v83, v77, vcc
	v_mov_b32_e32 v83, v84
; %bb.132:
	s_or_b64 exec, exec, s[42:43]
	ds_write_b32 v62, v83 offset:4128
	ds_write_b64 v62, v[76:77] offset:4136
.LBB297_133:
	s_or_b64 exec, exec, s[26:27]
	v_cmp_gt_u32_e32 vcc, 64, v0
	v_cmp_lt_u32_e64 s[26:27], 63, v0
	v_pk_mov_b32 v[76:77], 0, 0
	v_mov_b32_e32 v62, 0
	s_waitcnt lgkmcnt(0)
	s_barrier
	s_and_saveexec_b64 s[42:43], s[26:27]
	s_cbranch_execz .LBB297_135
; %bb.134:
	ds_read_b32 v62, v82 offset:4112
	ds_read_b64 v[76:77], v82 offset:4120
	v_cmp_eq_u32_e64 s[26:27], 0, v80
	s_waitcnt lgkmcnt(1)
	v_add_u32_e32 v82, v62, v80
	s_waitcnt lgkmcnt(0)
	v_cndmask_b32_e64 v83, 0, v76, s[26:27]
	v_cndmask_b32_e64 v80, 0, v77, s[26:27]
	v_add_co_u32_e64 v78, s[26:27], v83, v78
	v_addc_co_u32_e64 v79, s[26:27], v80, v79, s[26:27]
	v_mov_b32_e32 v80, v82
.LBB297_135:
	s_or_b64 exec, exec, s[42:43]
	v_add_u32_e32 v82, -1, v81
	v_and_b32_e32 v83, 64, v81
	v_cmp_lt_i32_e64 s[26:27], v82, v83
	v_cndmask_b32_e64 v82, v82, v81, s[26:27]
	v_lshlrev_b32_e32 v82, 2, v82
	ds_bpermute_b32 v88, v82, v80
	ds_bpermute_b32 v89, v82, v78
	ds_bpermute_b32 v90, v82, v79
	v_cmp_eq_u32_e64 s[26:27], 0, v81
	s_and_saveexec_b64 s[42:43], vcc
	s_cbranch_execz .LBB297_182
; %bb.136:
	v_mov_b32_e32 v83, 0
	ds_read_b32 v91, v83 offset:4176
	ds_read_b64 v[78:79], v83 offset:4184
	s_and_saveexec_b64 s[48:49], s[26:27]
	s_cbranch_execz .LBB297_138
; %bb.137:
	s_add_i32 s52, s6, 64
	s_mov_b32 s53, 0
	s_lshl_b64 s[54:55], s[52:53], 4
	s_add_u32 s54, s36, s54
	s_addc_u32 s55, s37, s55
	v_mov_b32_e32 v80, s52
	v_mov_b32_e32 v82, 1
	s_waitcnt lgkmcnt(1)
	global_store_dword v83, v91, s[54:55]
	s_waitcnt lgkmcnt(0)
	global_store_dwordx2 v83, v[78:79], s[54:55] offset:8
	s_waitcnt vmcnt(0)
	buffer_wbinvl1_vol
	global_store_byte v80, v82, s[40:41]
.LBB297_138:
	s_or_b64 exec, exec, s[48:49]
	v_xad_u32 v80, v81, -1, s6
	v_add_u32_e32 v82, 64, v80
	global_load_ubyte v92, v82, s[40:41] glc
	s_waitcnt vmcnt(0)
	v_cmp_eq_u16_e32 vcc, 0, v92
	s_and_saveexec_b64 s[48:49], vcc
	s_cbranch_execz .LBB297_144
; %bb.139:
	v_mov_b32_e32 v85, s41
	v_add_co_u32_e32 v84, vcc, s40, v82
	v_addc_co_u32_e32 v85, vcc, 0, v85, vcc
	s_mov_b32 s7, 1
	s_mov_b64 s[52:53], 0
.LBB297_140:                            ; =>This Loop Header: Depth=1
                                        ;     Child Loop BB297_141 Depth 2
	s_max_u32 s54, s7, 1
.LBB297_141:                            ;   Parent Loop BB297_140 Depth=1
                                        ; =>  This Inner Loop Header: Depth=2
	s_add_i32 s54, s54, -1
	s_cmp_eq_u32 s54, 0
	s_sleep 1
	s_cbranch_scc0 .LBB297_141
; %bb.142:                              ;   in Loop: Header=BB297_140 Depth=1
	global_load_ubyte v92, v[84:85], off glc
	s_cmp_lt_u32 s7, 32
	s_cselect_b64 s[54:55], -1, 0
	s_cmp_lg_u64 s[54:55], 0
	s_addc_u32 s7, s7, 0
	s_waitcnt vmcnt(0)
	v_cmp_ne_u16_e32 vcc, 0, v92
	s_or_b64 s[52:53], vcc, s[52:53]
	s_andn2_b64 exec, exec, s[52:53]
	s_cbranch_execnz .LBB297_140
; %bb.143:
	s_or_b64 exec, exec, s[52:53]
.LBB297_144:
	s_or_b64 exec, exec, s[48:49]
	v_mov_b32_e32 v84, s39
	v_mov_b32_e32 v85, s37
	v_cmp_eq_u16_e32 vcc, 1, v92
	v_cndmask_b32_e32 v84, v84, v85, vcc
	v_mov_b32_e32 v85, s38
	v_mov_b32_e32 v86, s36
	v_cndmask_b32_e32 v85, v85, v86, vcc
	v_lshlrev_b64 v[82:83], 4, v[82:83]
	v_add_co_u32_e32 v82, vcc, v85, v82
	v_addc_co_u32_e32 v83, vcc, v84, v83, vcc
	s_waitcnt lgkmcnt(0)
	buffer_wbinvl1_vol
	global_load_dword v107, v[82:83], off
	global_load_dwordx2 v[86:87], v[82:83], off offset:8
	v_cmp_eq_u16_e32 vcc, 2, v92
	v_lshlrev_b64 v[82:83], v81, -1
	v_and_b32_e32 v93, 63, v81
	v_and_b32_e32 v84, vcc_hi, v83
	v_and_b32_e32 v97, vcc_lo, v82
	v_cmp_ne_u32_e32 vcc, 63, v93
	v_addc_co_u32_e32 v85, vcc, 0, v81, vcc
	v_lshlrev_b32_e32 v94, 2, v85
	v_or_b32_e32 v84, 0x80000000, v84
	v_ffbl_b32_e32 v84, v84
	v_add_u32_e32 v84, 32, v84
	v_ffbl_b32_e32 v97, v97
	v_min_u32_e32 v84, v97, v84
	v_cmp_lt_u32_e32 vcc, v93, v84
	s_waitcnt vmcnt(1)
	ds_bpermute_b32 v95, v94, v107
	s_waitcnt vmcnt(0)
	ds_bpermute_b32 v85, v94, v86
	ds_bpermute_b32 v96, v94, v87
	s_and_saveexec_b64 s[48:49], vcc
	s_cbranch_execz .LBB297_146
; %bb.145:
	v_cmp_eq_u32_e32 vcc, 0, v107
	s_waitcnt lgkmcnt(1)
	v_cndmask_b32_e32 v85, 0, v85, vcc
	v_add_u32_e32 v95, v95, v107
	s_waitcnt lgkmcnt(0)
	v_cndmask_b32_e32 v96, 0, v96, vcc
	v_add_co_u32_e32 v86, vcc, v85, v86
	v_addc_co_u32_e32 v87, vcc, v96, v87, vcc
	v_mov_b32_e32 v107, v95
.LBB297_146:
	s_or_b64 exec, exec, s[48:49]
	v_cmp_gt_u32_e32 vcc, 62, v93
	s_waitcnt lgkmcnt(1)
	v_cndmask_b32_e64 v85, 0, 1, vcc
	v_lshlrev_b32_e32 v85, 1, v85
	v_add_lshl_u32 v95, v85, v81, 2
	ds_bpermute_b32 v97, v95, v107
	ds_bpermute_b32 v85, v95, v86
	ds_bpermute_b32 v98, v95, v87
	s_waitcnt lgkmcnt(3)
	v_add_u32_e32 v96, 2, v93
	v_cmp_le_u32_e32 vcc, v96, v84
	s_and_saveexec_b64 s[48:49], vcc
	s_cbranch_execz .LBB297_148
; %bb.147:
	v_cmp_eq_u32_e32 vcc, 0, v107
	s_waitcnt lgkmcnt(1)
	v_cndmask_b32_e32 v85, 0, v85, vcc
	v_add_u32_e32 v97, v97, v107
	s_waitcnt lgkmcnt(0)
	v_cndmask_b32_e32 v98, 0, v98, vcc
	v_add_co_u32_e32 v86, vcc, v85, v86
	v_addc_co_u32_e32 v87, vcc, v98, v87, vcc
	v_mov_b32_e32 v107, v97
.LBB297_148:
	s_or_b64 exec, exec, s[48:49]
	v_cmp_gt_u32_e32 vcc, 60, v93
	s_waitcnt lgkmcnt(1)
	v_cndmask_b32_e64 v85, 0, 1, vcc
	v_lshlrev_b32_e32 v85, 2, v85
	v_add_lshl_u32 v97, v85, v81, 2
	ds_bpermute_b32 v99, v97, v107
	ds_bpermute_b32 v85, v97, v86
	ds_bpermute_b32 v100, v97, v87
	s_waitcnt lgkmcnt(3)
	v_add_u32_e32 v98, 4, v93
	v_cmp_le_u32_e32 vcc, v98, v84
	;; [unrolled: 25-line block ×4, first 2 shown]
	s_and_saveexec_b64 s[48:49], vcc
	s_cbranch_execz .LBB297_154
; %bb.153:
	v_cmp_eq_u32_e32 vcc, 0, v107
	s_waitcnt lgkmcnt(1)
	v_cndmask_b32_e32 v85, 0, v85, vcc
	v_add_u32_e32 v103, v103, v107
	s_waitcnt lgkmcnt(0)
	v_cndmask_b32_e32 v104, 0, v104, vcc
	v_add_co_u32_e32 v86, vcc, v85, v86
	v_addc_co_u32_e32 v87, vcc, v104, v87, vcc
	v_mov_b32_e32 v107, v103
.LBB297_154:
	s_or_b64 exec, exec, s[48:49]
	v_cmp_gt_u32_e32 vcc, 32, v93
	s_waitcnt lgkmcnt(1)
	v_cndmask_b32_e64 v85, 0, 1, vcc
	v_lshlrev_b32_e32 v85, 5, v85
	v_add_lshl_u32 v103, v85, v81, 2
	ds_bpermute_b32 v85, v103, v107
	ds_bpermute_b32 v81, v103, v86
	s_waitcnt lgkmcnt(2)
	ds_bpermute_b32 v104, v103, v87
	v_add_u32_e32 v105, 32, v93
	v_cmp_le_u32_e32 vcc, v105, v84
	s_and_saveexec_b64 s[48:49], vcc
	s_cbranch_execz .LBB297_156
; %bb.155:
	v_cmp_eq_u32_e32 vcc, 0, v107
	s_waitcnt lgkmcnt(1)
	v_cndmask_b32_e32 v81, 0, v81, vcc
	v_add_u32_e32 v84, v85, v107
	s_waitcnt lgkmcnt(0)
	v_cndmask_b32_e32 v85, 0, v104, vcc
	v_add_co_u32_e32 v86, vcc, v81, v86
	v_addc_co_u32_e32 v87, vcc, v85, v87, vcc
	v_mov_b32_e32 v107, v84
.LBB297_156:
	s_or_b64 exec, exec, s[48:49]
	s_waitcnt lgkmcnt(1)
	v_mov_b32_e32 v81, 0
	v_mov_b32_e32 v106, 2
	s_branch .LBB297_158
.LBB297_157:                            ;   in Loop: Header=BB297_158 Depth=1
	s_or_b64 exec, exec, s[48:49]
	v_cmp_eq_u32_e32 vcc, 0, v104
	v_cndmask_b32_e32 v86, 0, v86, vcc
	v_cndmask_b32_e32 v87, 0, v87, vcc
	v_add_co_u32_e32 v86, vcc, v86, v84
	v_subrev_u32_e32 v80, 64, v80
	v_add_u32_e32 v107, v108, v104
	v_addc_co_u32_e32 v87, vcc, v87, v85, vcc
.LBB297_158:                            ; =>This Loop Header: Depth=1
                                        ;     Child Loop BB297_161 Depth 2
                                        ;       Child Loop BB297_162 Depth 3
	v_cmp_ne_u16_sdwa s[48:49], v92, v106 src0_sel:BYTE_0 src1_sel:DWORD
	v_pk_mov_b32 v[84:85], v[86:87], v[86:87] op_sel:[0,1]
	v_cndmask_b32_e64 v86, 0, 1, s[48:49]
	;;#ASMSTART
	;;#ASMEND
	v_cmp_ne_u32_e32 vcc, 0, v86
	s_cmp_lg_u64 vcc, exec
	s_waitcnt lgkmcnt(0)
	v_mov_b32_e32 v104, v107
	s_cbranch_scc1 .LBB297_177
; %bb.159:                              ;   in Loop: Header=BB297_158 Depth=1
	global_load_ubyte v92, v80, s[40:41] glc
	s_waitcnt vmcnt(0)
	v_cmp_eq_u16_e32 vcc, 0, v92
	s_and_saveexec_b64 s[48:49], vcc
	s_cbranch_execz .LBB297_165
; %bb.160:                              ;   in Loop: Header=BB297_158 Depth=1
	v_mov_b32_e32 v87, s41
	v_add_co_u32_e32 v86, vcc, s40, v80
	v_addc_co_u32_e32 v87, vcc, 0, v87, vcc
	s_mov_b32 s7, 1
	s_mov_b64 s[52:53], 0
.LBB297_161:                            ;   Parent Loop BB297_158 Depth=1
                                        ; =>  This Loop Header: Depth=2
                                        ;       Child Loop BB297_162 Depth 3
	s_max_u32 s54, s7, 1
.LBB297_162:                            ;   Parent Loop BB297_158 Depth=1
                                        ;     Parent Loop BB297_161 Depth=2
                                        ; =>    This Inner Loop Header: Depth=3
	s_add_i32 s54, s54, -1
	s_cmp_eq_u32 s54, 0
	s_sleep 1
	s_cbranch_scc0 .LBB297_162
; %bb.163:                              ;   in Loop: Header=BB297_161 Depth=2
	global_load_ubyte v92, v[86:87], off glc
	s_cmp_lt_u32 s7, 32
	s_cselect_b64 s[54:55], -1, 0
	s_cmp_lg_u64 s[54:55], 0
	s_addc_u32 s7, s7, 0
	s_waitcnt vmcnt(0)
	v_cmp_ne_u16_e32 vcc, 0, v92
	s_or_b64 s[52:53], vcc, s[52:53]
	s_andn2_b64 exec, exec, s[52:53]
	s_cbranch_execnz .LBB297_161
; %bb.164:                              ;   in Loop: Header=BB297_158 Depth=1
	s_or_b64 exec, exec, s[52:53]
.LBB297_165:                            ;   in Loop: Header=BB297_158 Depth=1
	s_or_b64 exec, exec, s[48:49]
	v_mov_b32_e32 v86, s39
	v_mov_b32_e32 v87, s37
	v_cmp_eq_u16_e32 vcc, 1, v92
	v_cndmask_b32_e32 v107, v86, v87, vcc
	v_mov_b32_e32 v86, s38
	v_mov_b32_e32 v87, s36
	v_cndmask_b32_e32 v108, v86, v87, vcc
	v_lshlrev_b64 v[86:87], 4, v[80:81]
	v_add_co_u32_e32 v86, vcc, v108, v86
	v_addc_co_u32_e32 v87, vcc, v107, v87, vcc
	buffer_wbinvl1_vol
	global_load_dword v108, v[86:87], off
	s_nop 0
	global_load_dwordx2 v[86:87], v[86:87], off offset:8
	v_cmp_eq_u16_e32 vcc, 2, v92
	v_and_b32_e32 v107, vcc_hi, v83
	v_or_b32_e32 v107, 0x80000000, v107
	v_and_b32_e32 v115, vcc_lo, v82
	v_ffbl_b32_e32 v107, v107
	v_add_u32_e32 v107, 32, v107
	v_ffbl_b32_e32 v115, v115
	v_min_u32_e32 v107, v115, v107
	v_cmp_lt_u32_e32 vcc, v93, v107
	s_waitcnt vmcnt(1)
	ds_bpermute_b32 v111, v94, v108
	s_waitcnt vmcnt(0)
	ds_bpermute_b32 v109, v94, v86
	ds_bpermute_b32 v114, v94, v87
	s_and_saveexec_b64 s[48:49], vcc
	s_cbranch_execz .LBB297_167
; %bb.166:                              ;   in Loop: Header=BB297_158 Depth=1
	v_cmp_eq_u32_e32 vcc, 0, v108
	s_waitcnt lgkmcnt(1)
	v_cndmask_b32_e32 v109, 0, v109, vcc
	v_add_u32_e32 v111, v111, v108
	s_waitcnt lgkmcnt(0)
	v_cndmask_b32_e32 v108, 0, v114, vcc
	v_add_co_u32_e32 v86, vcc, v109, v86
	v_addc_co_u32_e32 v87, vcc, v108, v87, vcc
	v_mov_b32_e32 v108, v111
.LBB297_167:                            ;   in Loop: Header=BB297_158 Depth=1
	s_or_b64 exec, exec, s[48:49]
	s_waitcnt lgkmcnt(2)
	ds_bpermute_b32 v111, v95, v108
	s_waitcnt lgkmcnt(2)
	ds_bpermute_b32 v109, v95, v86
	s_waitcnt lgkmcnt(2)
	ds_bpermute_b32 v114, v95, v87
	v_cmp_le_u32_e32 vcc, v96, v107
	s_and_saveexec_b64 s[48:49], vcc
	s_cbranch_execz .LBB297_169
; %bb.168:                              ;   in Loop: Header=BB297_158 Depth=1
	v_cmp_eq_u32_e32 vcc, 0, v108
	s_waitcnt lgkmcnt(1)
	v_cndmask_b32_e32 v109, 0, v109, vcc
	v_add_u32_e32 v111, v111, v108
	s_waitcnt lgkmcnt(0)
	v_cndmask_b32_e32 v108, 0, v114, vcc
	v_add_co_u32_e32 v86, vcc, v109, v86
	v_addc_co_u32_e32 v87, vcc, v108, v87, vcc
	v_mov_b32_e32 v108, v111
.LBB297_169:                            ;   in Loop: Header=BB297_158 Depth=1
	s_or_b64 exec, exec, s[48:49]
	s_waitcnt lgkmcnt(2)
	ds_bpermute_b32 v111, v97, v108
	s_waitcnt lgkmcnt(2)
	ds_bpermute_b32 v109, v97, v86
	s_waitcnt lgkmcnt(2)
	ds_bpermute_b32 v114, v97, v87
	v_cmp_le_u32_e32 vcc, v98, v107
	;; [unrolled: 21-line block ×5, first 2 shown]
	s_and_saveexec_b64 s[48:49], vcc
	s_cbranch_execz .LBB297_157
; %bb.176:                              ;   in Loop: Header=BB297_158 Depth=1
	v_cmp_eq_u32_e32 vcc, 0, v108
	s_waitcnt lgkmcnt(1)
	v_cndmask_b32_e32 v109, 0, v109, vcc
	v_add_u32_e32 v107, v111, v108
	s_waitcnt lgkmcnt(0)
	v_cndmask_b32_e32 v108, 0, v114, vcc
	v_add_co_u32_e32 v86, vcc, v109, v86
	v_addc_co_u32_e32 v87, vcc, v108, v87, vcc
	v_mov_b32_e32 v108, v107
	s_branch .LBB297_157
.LBB297_177:                            ;   in Loop: Header=BB297_158 Depth=1
                                        ; implicit-def: $vgpr86_vgpr87
                                        ; implicit-def: $vgpr107
                                        ; implicit-def: $vgpr92
	s_cbranch_execz .LBB297_158
; %bb.178:
	s_and_saveexec_b64 s[36:37], s[26:27]
	s_cbranch_execz .LBB297_180
; %bb.179:
	s_mov_b32 s7, 0
	v_cmp_eq_u32_e32 vcc, 0, v91
	s_add_i32 s6, s6, 64
	v_cndmask_b32_e32 v80, 0, v84, vcc
	s_lshl_b64 s[48:49], s[6:7], 4
	v_cndmask_b32_e32 v81, 0, v85, vcc
	v_add_co_u32_e32 v80, vcc, v80, v78
	s_add_u32 s48, s38, s48
	v_add_u32_e32 v82, v104, v91
	v_addc_co_u32_e32 v81, vcc, v81, v79, vcc
	s_addc_u32 s49, s39, s49
	v_mov_b32_e32 v83, 0
	global_store_dword v83, v82, s[48:49]
	global_store_dwordx2 v83, v[80:81], s[48:49] offset:8
	v_mov_b32_e32 v80, s6
	v_mov_b32_e32 v81, 2
	s_waitcnt vmcnt(0) lgkmcnt(0)
	buffer_wbinvl1_vol
	global_store_byte v80, v81, s[40:41]
	ds_write_b32 v83, v91 offset:4096
	ds_write_b64 v83, v[78:79] offset:4104
	ds_write_b32 v83, v104 offset:4112
	ds_write_b64 v83, v[84:85] offset:4120
.LBB297_180:
	s_or_b64 exec, exec, s[36:37]
	v_cmp_eq_u32_e32 vcc, 0, v0
	s_and_b64 exec, exec, vcc
	s_cbranch_execz .LBB297_182
; %bb.181:
	v_mov_b32_e32 v78, 0
	ds_write_b32 v78, v104 offset:4176
	ds_write_b64 v78, v[84:85] offset:4184
.LBB297_182:
	s_or_b64 exec, exec, s[42:43]
	v_mov_b32_e32 v106, 0
	s_waitcnt lgkmcnt(0)
	s_barrier
	ds_read_b32 v80, v106 offset:4176
	ds_read_b64 v[78:79], v106 offset:4184
	v_cndmask_b32_e64 v62, v88, v62, s[26:27]
	v_cmp_eq_u32_e32 vcc, 0, v62
	v_cndmask_b32_e64 v76, v89, v76, s[26:27]
	v_cndmask_b32_e64 v77, v90, v77, s[26:27]
	s_waitcnt lgkmcnt(0)
	v_cndmask_b32_e32 v82, 0, v78, vcc
	v_cndmask_b32_e32 v81, 0, v79, vcc
	v_add_co_u32_e32 v76, vcc, v82, v76
	v_addc_co_u32_e32 v77, vcc, v81, v77, vcc
	v_cmp_eq_u32_e32 vcc, 0, v0
	v_cndmask_b32_e64 v62, v62, 0, vcc
	v_cndmask_b32_e32 v105, v77, v79, vcc
	v_cndmask_b32_e32 v104, v76, v78, vcc
	v_cmp_eq_u32_e32 vcc, 0, v74
	v_cndmask_b32_e32 v76, 0, v104, vcc
	v_add_u32_e32 v111, v80, v62
	v_cndmask_b32_e32 v62, 0, v105, vcc
	v_add_co_u32_e32 v80, vcc, v76, v50
	v_addc_co_u32_e32 v81, vcc, v62, v51, vcc
	v_cndmask_b32_e64 v76, 0, v80, s[24:25]
	v_cndmask_b32_e64 v62, 0, v81, s[24:25]
	v_add_co_u32_e32 v82, vcc, v76, v54
	v_addc_co_u32_e32 v83, vcc, v62, v55, vcc
	v_cndmask_b32_e64 v76, 0, v82, s[22:23]
	v_cndmask_b32_e64 v62, 0, v83, s[22:23]
	;; [unrolled: 4-line block ×11, first 2 shown]
	v_add_co_u32_e32 v102, vcc, v76, v36
	v_addc_co_u32_e32 v103, vcc, v62, v37, vcc
	s_barrier
	ds_read_b32 v62, v106 offset:4096
	ds_read_b64 v[76:77], v106 offset:4104
	ds_read_b32 v78, v106 offset:4112
	ds_read_b64 v[114:115], v106 offset:4120
	v_cndmask_b32_e64 v107, 0, v102, s[2:3]
	v_cndmask_b32_e64 v79, 0, v103, s[2:3]
	v_add_co_u32_e32 v106, vcc, v107, v30
	v_addc_co_u32_e32 v107, vcc, v79, v31, vcc
	s_waitcnt lgkmcnt(3)
	v_cmp_eq_u32_e32 vcc, 0, v62
	s_waitcnt lgkmcnt(0)
	v_cndmask_b32_e32 v114, 0, v114, vcc
	v_cndmask_b32_e32 v79, 0, v115, vcc
	v_add_co_u32_e32 v76, vcc, v114, v76
	v_cndmask_b32_e64 v109, 0, v107, s[0:1]
	v_cndmask_b32_e64 v108, 0, v106, s[0:1]
	v_addc_co_u32_e32 v77, vcc, v79, v77, vcc
	s_branch .LBB297_211
.LBB297_183:
                                        ; implicit-def: $vgpr62
                                        ; implicit-def: $vgpr76_vgpr77
                                        ; implicit-def: $vgpr78
                                        ; implicit-def: $vgpr104_vgpr105
                                        ; implicit-def: $vgpr80_vgpr81
                                        ; implicit-def: $vgpr82_vgpr83
                                        ; implicit-def: $vgpr84_vgpr85
                                        ; implicit-def: $vgpr86_vgpr87
                                        ; implicit-def: $vgpr88_vgpr89
                                        ; implicit-def: $vgpr90_vgpr91
                                        ; implicit-def: $vgpr92_vgpr93
                                        ; implicit-def: $vgpr94_vgpr95
                                        ; implicit-def: $vgpr96_vgpr97
                                        ; implicit-def: $vgpr98_vgpr99
                                        ; implicit-def: $vgpr100_vgpr101
                                        ; implicit-def: $vgpr102_vgpr103
                                        ; implicit-def: $vgpr106_vgpr107
                                        ; implicit-def: $vgpr108_vgpr109
                                        ; implicit-def: $vgpr111
	s_cbranch_execz .LBB297_211
; %bb.184:
	s_and_b64 s[0:1], s[30:31], exec
	s_cselect_b32 s1, 0, s47
	s_cselect_b32 s0, 0, s46
	s_cmp_eq_u64 s[0:1], 0
	v_pk_mov_b32 v[78:79], v[50:51], v[50:51] op_sel:[0,1]
	s_cbranch_scc1 .LBB297_186
; %bb.185:
	v_mov_b32_e32 v62, 0
	global_load_dwordx2 v[78:79], v62, s[0:1]
.LBB297_186:
	v_cmp_eq_u32_e64 s[22:23], 0, v75
	s_waitcnt lgkmcnt(0)
	v_cndmask_b32_e64 v76, 0, v50, s[22:23]
	v_cndmask_b32_e64 v62, 0, v51, s[22:23]
	v_add_co_u32_e32 v76, vcc, v76, v54
	v_cmp_eq_u32_e64 s[20:21], 0, v72
	v_addc_co_u32_e32 v62, vcc, v62, v55, vcc
	v_cndmask_b32_e64 v76, 0, v76, s[20:21]
	v_cndmask_b32_e64 v62, 0, v62, s[20:21]
	v_add_co_u32_e32 v76, vcc, v76, v52
	v_cmp_eq_u32_e64 s[18:19], 0, v73
	v_addc_co_u32_e32 v62, vcc, v62, v53, vcc
	;; [unrolled: 5-line block ×11, first 2 shown]
	v_cndmask_b32_e64 v76, 0, v76, s[2:3]
	v_cndmask_b32_e64 v62, 0, v62, s[2:3]
	v_add_co_u32_e32 v76, vcc, v76, v30
	v_addc_co_u32_e32 v62, vcc, v62, v31, vcc
	v_cmp_eq_u32_e32 vcc, 0, v63
	v_cndmask_b32_e32 v76, 0, v76, vcc
	v_cndmask_b32_e32 v62, 0, v62, vcc
	v_add_co_u32_e64 v76, s[24:25], v76, v60
	v_addc_co_u32_e64 v62, s[24:25], v62, v61, s[24:25]
	v_add3_u32 v77, v113, v71, v68
	v_cmp_eq_u32_e64 s[24:25], 0, v1
	v_add3_u32 v77, v77, v69, v66
	v_cndmask_b32_e64 v76, 0, v76, s[24:25]
	v_add3_u32 v77, v77, v67, v64
	v_cndmask_b32_e64 v62, 0, v62, s[24:25]
	v_add_co_u32_e64 v32, s[24:25], v76, v32
	v_add3_u32 v77, v77, v65, v110
	v_addc_co_u32_e64 v33, s[24:25], v62, v33, s[24:25]
	v_mbcnt_hi_u32_b32 v62, -1, v112
	v_add3_u32 v80, v77, v63, v1
	v_and_b32_e32 v76, 15, v62
	v_mov_b32_dpp v77, v32 row_shr:1 row_mask:0xf bank_mask:0xf
	v_mov_b32_dpp v81, v80 row_shr:1 row_mask:0xf bank_mask:0xf
	;; [unrolled: 1-line block ×3, first 2 shown]
	v_cmp_ne_u32_e64 s[24:25], 0, v76
	s_and_saveexec_b64 s[26:27], s[24:25]
; %bb.187:
	v_cmp_eq_u32_e64 s[24:25], 0, v80
	v_cndmask_b32_e64 v77, 0, v77, s[24:25]
	v_add_u32_e32 v81, v81, v80
	v_cndmask_b32_e64 v80, 0, v82, s[24:25]
	v_add_co_u32_e64 v32, s[24:25], v77, v32
	v_addc_co_u32_e64 v33, s[24:25], v80, v33, s[24:25]
	v_mov_b32_e32 v80, v81
; %bb.188:
	s_or_b64 exec, exec, s[26:27]
	s_nop 0
	v_mov_b32_dpp v81, v80 row_shr:2 row_mask:0xf bank_mask:0xf
	v_mov_b32_dpp v77, v32 row_shr:2 row_mask:0xf bank_mask:0xf
	v_mov_b32_dpp v82, v33 row_shr:2 row_mask:0xf bank_mask:0xf
	v_cmp_lt_u32_e64 s[24:25], 1, v76
	s_and_saveexec_b64 s[26:27], s[24:25]
; %bb.189:
	v_cmp_eq_u32_e64 s[24:25], 0, v80
	v_cndmask_b32_e64 v77, 0, v77, s[24:25]
	v_add_u32_e32 v81, v81, v80
	v_cndmask_b32_e64 v80, 0, v82, s[24:25]
	v_add_co_u32_e64 v32, s[24:25], v77, v32
	v_addc_co_u32_e64 v33, s[24:25], v80, v33, s[24:25]
	v_mov_b32_e32 v80, v81
; %bb.190:
	s_or_b64 exec, exec, s[26:27]
	s_nop 0
	v_mov_b32_dpp v81, v80 row_shr:4 row_mask:0xf bank_mask:0xf
	v_mov_b32_dpp v77, v32 row_shr:4 row_mask:0xf bank_mask:0xf
	v_mov_b32_dpp v82, v33 row_shr:4 row_mask:0xf bank_mask:0xf
	v_cmp_lt_u32_e64 s[24:25], 3, v76
	;; [unrolled: 16-line block ×3, first 2 shown]
	s_and_saveexec_b64 s[26:27], s[24:25]
; %bb.193:
	v_cmp_eq_u32_e64 s[24:25], 0, v80
	v_cndmask_b32_e64 v77, 0, v77, s[24:25]
	v_add_u32_e32 v76, v81, v80
	v_cndmask_b32_e64 v80, 0, v82, s[24:25]
	v_add_co_u32_e64 v32, s[24:25], v77, v32
	v_addc_co_u32_e64 v33, s[24:25], v80, v33, s[24:25]
	v_mov_b32_e32 v80, v76
; %bb.194:
	s_or_b64 exec, exec, s[26:27]
	v_and_b32_e32 v82, 16, v62
	v_mov_b32_dpp v77, v80 row_bcast:15 row_mask:0xf bank_mask:0xf
	v_mov_b32_dpp v76, v32 row_bcast:15 row_mask:0xf bank_mask:0xf
	;; [unrolled: 1-line block ×3, first 2 shown]
	v_cmp_ne_u32_e64 s[24:25], 0, v82
	s_and_saveexec_b64 s[26:27], s[24:25]
; %bb.195:
	v_cmp_eq_u32_e64 s[24:25], 0, v80
	v_cndmask_b32_e64 v76, 0, v76, s[24:25]
	v_add_u32_e32 v77, v77, v80
	v_cndmask_b32_e64 v80, 0, v81, s[24:25]
	v_add_co_u32_e64 v32, s[24:25], v76, v32
	v_addc_co_u32_e64 v33, s[24:25], v80, v33, s[24:25]
	v_mov_b32_e32 v80, v77
; %bb.196:
	s_or_b64 exec, exec, s[26:27]
	s_nop 0
	v_mov_b32_dpp v77, v80 row_bcast:31 row_mask:0xf bank_mask:0xf
	v_mov_b32_dpp v76, v32 row_bcast:31 row_mask:0xf bank_mask:0xf
	;; [unrolled: 1-line block ×3, first 2 shown]
	v_cmp_lt_u32_e64 s[24:25], 31, v62
	s_and_saveexec_b64 s[26:27], s[24:25]
; %bb.197:
	v_cmp_eq_u32_e64 s[24:25], 0, v80
	v_cndmask_b32_e64 v76, 0, v76, s[24:25]
	v_add_u32_e32 v77, v77, v80
	v_cndmask_b32_e64 v80, 0, v81, s[24:25]
	v_add_co_u32_e64 v32, s[24:25], v76, v32
	v_addc_co_u32_e64 v33, s[24:25], v80, v33, s[24:25]
	v_mov_b32_e32 v80, v77
; %bb.198:
	s_or_b64 exec, exec, s[26:27]
	v_or_b32_e32 v76, 63, v0
	v_lshrrev_b32_e32 v81, 6, v0
	v_cmp_eq_u32_e64 s[24:25], v76, v0
	s_and_saveexec_b64 s[26:27], s[24:25]
	s_cbranch_execz .LBB297_200
; %bb.199:
	v_lshlrev_b32_e32 v76, 4, v81
	ds_write_b32 v76, v80 offset:4128
	ds_write_b64 v76, v[32:33] offset:4136
.LBB297_200:
	s_or_b64 exec, exec, s[26:27]
	v_cmp_gt_u32_e64 s[24:25], 4, v0
	s_waitcnt lgkmcnt(0)
	s_barrier
	s_and_saveexec_b64 s[26:27], s[24:25]
	s_cbranch_execz .LBB297_206
; %bb.201:
	v_lshlrev_b32_e32 v82, 4, v0
	ds_read_b32 v83, v82 offset:4128
	ds_read_b64 v[76:77], v82 offset:4136
	v_and_b32_e32 v84, 3, v62
	v_cmp_ne_u32_e64 s[24:25], 0, v84
	s_waitcnt lgkmcnt(1)
	v_mov_b32_dpp v86, v83 row_shr:1 row_mask:0xf bank_mask:0xf
	s_waitcnt lgkmcnt(0)
	v_mov_b32_dpp v85, v76 row_shr:1 row_mask:0xf bank_mask:0xf
	v_mov_b32_dpp v87, v77 row_shr:1 row_mask:0xf bank_mask:0xf
	s_and_saveexec_b64 s[28:29], s[24:25]
; %bb.202:
	v_cmp_eq_u32_e64 s[24:25], 0, v83
	v_cndmask_b32_e64 v85, 0, v85, s[24:25]
	v_add_u32_e32 v86, v86, v83
	v_cndmask_b32_e64 v83, 0, v87, s[24:25]
	v_add_co_u32_e64 v76, s[24:25], v85, v76
	v_addc_co_u32_e64 v77, s[24:25], v83, v77, s[24:25]
	v_mov_b32_e32 v83, v86
; %bb.203:
	s_or_b64 exec, exec, s[28:29]
	s_nop 0
	v_mov_b32_dpp v86, v83 row_shr:2 row_mask:0xf bank_mask:0xf
	v_mov_b32_dpp v85, v76 row_shr:2 row_mask:0xf bank_mask:0xf
	v_mov_b32_dpp v87, v77 row_shr:2 row_mask:0xf bank_mask:0xf
	v_cmp_lt_u32_e64 s[24:25], 1, v84
	s_and_saveexec_b64 s[28:29], s[24:25]
; %bb.204:
	v_cmp_eq_u32_e64 s[24:25], 0, v83
	v_cndmask_b32_e64 v85, 0, v85, s[24:25]
	v_add_u32_e32 v84, v86, v83
	v_cndmask_b32_e64 v83, 0, v87, s[24:25]
	v_add_co_u32_e64 v76, s[24:25], v85, v76
	v_addc_co_u32_e64 v77, s[24:25], v83, v77, s[24:25]
	v_mov_b32_e32 v83, v84
; %bb.205:
	s_or_b64 exec, exec, s[28:29]
	ds_write_b32 v82, v83 offset:4128
	ds_write_b64 v82, v[76:77] offset:4136
.LBB297_206:
	s_or_b64 exec, exec, s[26:27]
	v_cmp_lt_u32_e64 s[24:25], 63, v0
	v_mov_b32_e32 v112, 0
	v_mov_b32_e32 v82, 0
	s_waitcnt vmcnt(0)
	v_pk_mov_b32 v[76:77], v[78:79], v[78:79] op_sel:[0,1]
	s_waitcnt lgkmcnt(0)
	s_barrier
	s_and_saveexec_b64 s[26:27], s[24:25]
	s_cbranch_execz .LBB297_208
; %bb.207:
	v_lshlrev_b32_e32 v76, 4, v81
	ds_read_b32 v82, v76 offset:4112
	ds_read_b64 v[76:77], v76 offset:4120
	s_waitcnt lgkmcnt(1)
	v_cmp_eq_u32_e64 s[24:25], 0, v82
	v_cndmask_b32_e64 v83, 0, v78, s[24:25]
	v_cndmask_b32_e64 v81, 0, v79, s[24:25]
	s_waitcnt lgkmcnt(0)
	v_add_co_u32_e64 v76, s[24:25], v83, v76
	v_addc_co_u32_e64 v77, s[24:25], v81, v77, s[24:25]
.LBB297_208:
	s_or_b64 exec, exec, s[26:27]
	v_cmp_eq_u32_e64 s[24:25], 0, v80
	v_cndmask_b32_e64 v83, 0, v76, s[24:25]
	v_add_u32_e32 v81, v82, v80
	v_cndmask_b32_e64 v80, 0, v77, s[24:25]
	v_add_co_u32_e64 v32, s[24:25], v83, v32
	v_addc_co_u32_e64 v33, s[24:25], v80, v33, s[24:25]
	v_add_u32_e32 v80, -1, v62
	v_and_b32_e32 v83, 64, v62
	v_cmp_lt_i32_e64 s[24:25], v80, v83
	v_cndmask_b32_e64 v80, v80, v62, s[24:25]
	v_lshlrev_b32_e32 v80, 2, v80
	ds_bpermute_b32 v81, v80, v81
	ds_bpermute_b32 v33, v80, v33
	;; [unrolled: 1-line block ×3, first 2 shown]
	v_cmp_eq_u32_e64 s[24:25], 0, v62
	v_cmp_eq_u32_e64 s[26:27], 0, v74
	s_waitcnt lgkmcnt(2)
	v_cndmask_b32_e64 v111, v81, v82, s[24:25]
	s_waitcnt lgkmcnt(1)
	v_cndmask_b32_e64 v105, v33, v77, s[24:25]
	;; [unrolled: 2-line block ×3, first 2 shown]
	v_cmp_eq_u32_e64 s[24:25], 0, v0
	v_cndmask_b32_e64 v32, v104, v78, s[24:25]
	v_cndmask_b32_e64 v33, v105, v79, s[24:25]
	;; [unrolled: 1-line block ×4, first 2 shown]
	v_add_co_u32_e64 v80, s[26:27], v32, v50
	v_addc_co_u32_e64 v81, s[26:27], v33, v51, s[26:27]
	v_cndmask_b32_e64 v33, 0, v80, s[22:23]
	v_cndmask_b32_e64 v32, 0, v81, s[22:23]
	v_add_co_u32_e64 v82, s[22:23], v33, v54
	v_addc_co_u32_e64 v83, s[22:23], v32, v55, s[22:23]
	v_cndmask_b32_e64 v33, 0, v82, s[20:21]
	v_cndmask_b32_e64 v32, 0, v83, s[20:21]
	v_add_co_u32_e64 v84, s[20:21], v33, v52
	v_addc_co_u32_e64 v85, s[20:21], v32, v53, s[20:21]
	v_cndmask_b32_e64 v33, 0, v84, s[18:19]
	v_cndmask_b32_e64 v32, 0, v85, s[18:19]
	v_add_co_u32_e64 v86, s[18:19], v33, v56
	v_addc_co_u32_e64 v87, s[18:19], v32, v57, s[18:19]
	v_cndmask_b32_e64 v33, 0, v86, s[16:17]
	v_cndmask_b32_e64 v32, 0, v87, s[16:17]
	v_add_co_u32_e64 v88, s[16:17], v33, v42
	v_addc_co_u32_e64 v89, s[16:17], v32, v43, s[16:17]
	v_cndmask_b32_e64 v33, 0, v88, s[12:13]
	v_cndmask_b32_e64 v32, 0, v89, s[12:13]
	v_add_co_u32_e64 v90, s[12:13], v33, v46
	v_addc_co_u32_e64 v91, s[12:13], v32, v47, s[12:13]
	v_cndmask_b32_e64 v33, 0, v90, s[14:15]
	v_cndmask_b32_e64 v32, 0, v91, s[14:15]
	v_add_co_u32_e64 v92, s[12:13], v33, v44
	v_addc_co_u32_e64 v93, s[12:13], v32, v45, s[12:13]
	v_cndmask_b32_e64 v33, 0, v92, s[8:9]
	v_cndmask_b32_e64 v32, 0, v93, s[8:9]
	v_add_co_u32_e64 v94, s[8:9], v33, v48
	v_addc_co_u32_e64 v95, s[8:9], v32, v49, s[8:9]
	v_cndmask_b32_e64 v33, 0, v94, s[10:11]
	v_cndmask_b32_e64 v32, 0, v95, s[10:11]
	v_add_co_u32_e64 v96, s[8:9], v33, v38
	v_addc_co_u32_e64 v97, s[8:9], v32, v39, s[8:9]
	v_cndmask_b32_e64 v33, 0, v96, s[4:5]
	v_cndmask_b32_e64 v32, 0, v97, s[4:5]
	v_add_co_u32_e64 v98, s[4:5], v33, v34
	v_addc_co_u32_e64 v99, s[4:5], v32, v35, s[4:5]
	v_cndmask_b32_e64 v33, 0, v98, s[6:7]
	v_cndmask_b32_e64 v32, 0, v99, s[6:7]
	v_add_co_u32_e64 v100, s[4:5], v33, v40
	v_addc_co_u32_e64 v101, s[4:5], v32, v41, s[4:5]
	v_cndmask_b32_e64 v33, 0, v100, s[0:1]
	v_cndmask_b32_e64 v32, 0, v101, s[0:1]
	v_add_co_u32_e64 v102, s[0:1], v33, v36
	v_addc_co_u32_e64 v103, s[0:1], v32, v37, s[0:1]
	v_cndmask_b32_e64 v33, 0, v102, s[2:3]
	ds_read_b32 v62, v112 offset:4176
	v_cndmask_b32_e64 v32, 0, v103, s[2:3]
	v_add_co_u32_e64 v106, s[0:1], v33, v30
	v_addc_co_u32_e64 v107, s[0:1], v32, v31, s[0:1]
	ds_read_b64 v[30:31], v112 offset:4184
	v_cndmask_b32_e32 v109, 0, v107, vcc
	v_cndmask_b32_e32 v108, 0, v106, vcc
	s_waitcnt lgkmcnt(1)
	v_cmp_eq_u32_e32 vcc, 0, v62
	v_cndmask_b32_e32 v33, 0, v78, vcc
	v_cndmask_b32_e32 v32, 0, v79, vcc
	s_waitcnt lgkmcnt(0)
	v_add_co_u32_e32 v76, vcc, v33, v30
	v_addc_co_u32_e32 v77, vcc, v32, v31, vcc
	s_and_saveexec_b64 s[0:1], s[24:25]
	s_cbranch_execz .LBB297_210
; %bb.209:
	v_mov_b32_e32 v111, 0
	v_mov_b32_e32 v30, 2
	v_pk_mov_b32 v[104:105], v[78:79], v[78:79] op_sel:[0,1]
	global_store_dword v111, v62, s[38:39] offset:1024
	global_store_dwordx2 v111, v[76:77], s[38:39] offset:1032
	s_waitcnt vmcnt(0)
	buffer_wbinvl1_vol
	global_store_byte v111, v30, s[40:41] offset:64
.LBB297_210:
	s_or_b64 exec, exec, s[0:1]
	v_mov_b32_e32 v78, 0
.LBB297_211:
	s_and_b64 s[0:1], s[30:31], exec
	s_cselect_b32 s1, 0, s51
	s_cselect_b32 s0, 0, s50
	s_cmp_eq_u64 s[0:1], 0
	v_pk_mov_b32 v[30:31], 0, 0
	s_waitcnt lgkmcnt(0)
	s_barrier
	s_cbranch_scc1 .LBB297_213
; %bb.212:
	v_mov_b32_e32 v30, 0
	global_load_dwordx2 v[30:31], v30, s[0:1]
.LBB297_213:
	s_waitcnt vmcnt(0)
	v_lshlrev_b64 v[32:33], 3, v[30:31]
	v_mov_b32_e32 v34, s59
	v_add_co_u32_e32 v50, vcc, s58, v32
	v_mov_b32_e32 v79, 0
	v_addc_co_u32_e32 v51, vcc, v34, v33, vcc
	v_lshlrev_b64 v[34:35], 3, v[78:79]
	v_add_co_u32_e32 v50, vcc, v50, v34
	v_addc_co_u32_e32 v51, vcc, v51, v35, vcc
	v_cmp_eq_u32_e32 vcc, 0, v74
	v_cndmask_b32_e64 v52, 1, 2, vcc
	v_cmp_eq_u32_e32 vcc, 0, v75
	v_cndmask_b32_e64 v53, 1, 2, vcc
	v_cmp_eq_u32_e32 vcc, 0, v72
	v_and_b32_e32 v52, v53, v52
	v_cndmask_b32_e64 v53, 1, 2, vcc
	v_cmp_eq_u32_e32 vcc, 0, v73
	v_add_u32_e32 v49, v111, v74
	v_and_b32_e32 v52, v52, v53
	v_cndmask_b32_e64 v53, 1, 2, vcc
	v_cmp_eq_u32_e32 vcc, 0, v70
	v_add_u32_e32 v48, v49, v75
	v_and_b32_e32 v52, v52, v53
	v_cndmask_b32_e64 v53, 1, 2, vcc
	v_cmp_eq_u32_e32 vcc, 0, v71
	v_add_u32_e32 v47, v48, v72
	v_and_b32_e32 v52, v52, v53
	v_cndmask_b32_e64 v53, 1, 2, vcc
	v_cmp_eq_u32_e32 vcc, 0, v68
	v_add_u32_e32 v46, v47, v73
	v_and_b32_e32 v52, v52, v53
	v_cndmask_b32_e64 v53, 1, 2, vcc
	v_cmp_eq_u32_e32 vcc, 0, v69
	v_add_u32_e32 v45, v46, v70
	v_and_b32_e32 v52, v52, v53
	v_cndmask_b32_e64 v53, 1, 2, vcc
	v_cmp_eq_u32_e32 vcc, 0, v66
	v_add_u32_e32 v44, v45, v71
	v_and_b32_e32 v52, v52, v53
	v_cndmask_b32_e64 v53, 1, 2, vcc
	v_cmp_eq_u32_e32 vcc, 0, v67
	v_add_u32_e32 v43, v44, v68
	v_and_b32_e32 v52, v52, v53
	v_cndmask_b32_e64 v53, 1, 2, vcc
	v_cmp_eq_u32_e32 vcc, 0, v64
	v_add_u32_e32 v42, v43, v69
	v_and_b32_e32 v52, v52, v53
	v_cndmask_b32_e64 v53, 1, 2, vcc
	v_cmp_eq_u32_e32 vcc, 0, v65
	v_add_u32_e32 v41, v42, v66
	v_and_b32_e32 v52, v52, v53
	v_cndmask_b32_e64 v53, 1, 2, vcc
	v_cmp_eq_u32_e32 vcc, 0, v110
	v_add_u32_e32 v40, v41, v67
	v_and_b32_e32 v52, v52, v53
	v_cndmask_b32_e64 v53, 1, 2, vcc
	v_cmp_eq_u32_e32 vcc, 0, v63
	v_add_u32_e32 v39, v40, v64
	v_and_b32_e32 v52, v52, v53
	v_cndmask_b32_e64 v53, 1, 2, vcc
	v_cmp_eq_u32_e32 vcc, 0, v1
	v_add_u32_e32 v38, v39, v65
	v_and_b32_e32 v52, v52, v53
	v_cndmask_b32_e64 v53, 1, 2, vcc
	s_movk_i32 s30, 0x100
	v_add_u32_e32 v37, v38, v110
	v_and_b32_e32 v52, v52, v53
	v_cmp_gt_u32_e32 vcc, s30, v62
	v_add_u32_e32 v36, v37, v63
	v_cmp_ne_u32_e64 s[28:29], 0, v74
	v_cmp_ne_u32_e64 s[26:27], 0, v75
	;; [unrolled: 1-line block ×15, first 2 shown]
	s_mov_b64 s[36:37], -1
	v_cmp_gt_i16_e64 s[30:31], 2, v52
	s_cbranch_vccz .LBB297_220
; %bb.214:
	s_and_saveexec_b64 s[36:37], s[30:31]
	s_cbranch_execz .LBB297_219
; %bb.215:
	v_cmp_ne_u16_e32 vcc, 1, v52
	s_mov_b64 s[38:39], 0
	s_and_saveexec_b64 s[30:31], vcc
	s_xor_b64 s[30:31], exec, s[30:31]
	s_cbranch_execnz .LBB297_285
; %bb.216:
	s_andn2_saveexec_b64 s[30:31], s[30:31]
	s_cbranch_execnz .LBB297_301
.LBB297_217:
	s_or_b64 exec, exec, s[30:31]
	s_and_b64 exec, exec, s[38:39]
	s_cbranch_execz .LBB297_219
.LBB297_218:
	v_sub_u32_e32 v54, v36, v78
	v_mov_b32_e32 v55, 0
	v_lshlrev_b64 v[54:55], 3, v[54:55]
	v_add_co_u32_e32 v54, vcc, v50, v54
	v_addc_co_u32_e32 v55, vcc, v51, v55, vcc
	global_store_dwordx2 v[54:55], v[58:59], off
.LBB297_219:
	s_or_b64 exec, exec, s[36:37]
	s_mov_b64 s[36:37], 0
.LBB297_220:
	s_and_b64 vcc, exec, s[36:37]
	s_cbranch_vccz .LBB297_230
; %bb.221:
	v_cmp_gt_i16_e32 vcc, 2, v52
	s_and_saveexec_b64 s[30:31], vcc
	s_cbranch_execz .LBB297_226
; %bb.222:
	v_cmp_ne_u16_e32 vcc, 1, v52
	s_mov_b64 s[38:39], 0
	s_and_saveexec_b64 s[36:37], vcc
	s_xor_b64 s[36:37], exec, s[36:37]
	s_cbranch_execnz .LBB297_302
; %bb.223:
	s_andn2_saveexec_b64 s[0:1], s[36:37]
	s_cbranch_execnz .LBB297_318
.LBB297_224:
	s_or_b64 exec, exec, s[0:1]
	s_and_b64 exec, exec, s[38:39]
	s_cbranch_execz .LBB297_226
.LBB297_225:
	v_sub_u32_e32 v2, v36, v78
	v_lshlrev_b32_e32 v2, 3, v2
	ds_write_b64 v2, v[58:59]
.LBB297_226:
	s_or_b64 exec, exec, s[30:31]
	v_cmp_lt_u32_e32 vcc, v0, v62
	s_waitcnt lgkmcnt(0)
	s_barrier
	s_and_saveexec_b64 s[0:1], vcc
	s_cbranch_execz .LBB297_229
; %bb.227:
	v_lshlrev_b32_e32 v4, 3, v0
	s_mov_b64 s[2:3], 0
	v_mov_b32_e32 v3, 0
	v_mov_b32_e32 v2, v0
.LBB297_228:                            ; =>This Inner Loop Header: Depth=1
	v_lshlrev_b64 v[6:7], 3, v[2:3]
	ds_read_b64 v[8:9], v4
	v_add_co_u32_e32 v6, vcc, v50, v6
	v_add_u32_e32 v2, 0x100, v2
	v_addc_co_u32_e32 v7, vcc, v51, v7, vcc
	v_cmp_ge_u32_e32 vcc, v2, v62
	v_add_u32_e32 v4, 0x800, v4
	s_or_b64 s[2:3], vcc, s[2:3]
	s_waitcnt lgkmcnt(0)
	global_store_dwordx2 v[6:7], v[8:9], off
	s_andn2_b64 exec, exec, s[2:3]
	s_cbranch_execnz .LBB297_228
.LBB297_229:
	s_or_b64 exec, exec, s[0:1]
.LBB297_230:
	v_add_co_u32_e32 v2, vcc, v108, v60
	s_cmpk_lg_i32 s33, 0xf00
	v_addc_co_u32_e32 v3, vcc, v109, v61, vcc
	s_cselect_b64 s[0:1], -1, 0
	v_cndmask_b32_e64 v8, 0, 1, s[44:45]
	s_and_b64 s[0:1], s[34:35], s[0:1]
	v_cmp_eq_u32_e32 vcc, 0, v0
	v_sub_u32_e32 v4, v62, v8
	v_cndmask_b32_e64 v5, 0, 1, s[0:1]
	s_and_b64 s[0:1], vcc, s[44:45]
	v_add_u32_e32 v4, v4, v5
	v_cndmask_b32_e64 v5, v74, 0, s[0:1]
	s_mul_hi_u32 s0, s33, 0x88888889
	s_lshr_b32 s0, s0, 3
	v_mad_i32_i24 v6, v0, -15, s33
	v_cmp_eq_u32_e32 vcc, s0, v0
	v_cmp_ne_u32_e64 s[0:1], 0, v6
	v_cndmask_b32_e64 v7, 1, v5, s[0:1]
	v_cmp_ne_u32_e64 s[0:1], 1, v6
	v_cndmask_b32_e64 v9, 1, v75, s[0:1]
	;; [unrolled: 2-line block ×15, first 2 shown]
	s_and_b64 vcc, s[34:35], vcc
	v_cndmask_b32_e32 v22, v1, v6, vcc
	v_cndmask_b32_e32 v21, v63, v21, vcc
	;; [unrolled: 1-line block ×15, first 2 shown]
	v_mov_b32_e32 v1, s61
	v_add_co_u32_e32 v5, vcc, s60, v32
	v_addc_co_u32_e32 v6, vcc, v1, v33, vcc
	v_add_co_u32_e32 v1, vcc, v5, v34
	v_addc_co_u32_e32 v5, vcc, v6, v35, vcc
	v_lshlrev_b32_e32 v6, 3, v8
	v_add_co_u32_e32 v6, vcc, v6, v1
	v_addc_co_u32_e32 v7, vcc, 0, v5, vcc
	v_add_co_u32_e32 v6, vcc, -8, v6
	v_addc_co_u32_e32 v7, vcc, -1, v7, vcc
	v_cmp_eq_u32_e32 vcc, 0, v23
	v_cmp_ne_u32_e64 s[28:29], 0, v23
	v_cndmask_b32_e64 v23, 1, 2, vcc
	v_cmp_eq_u32_e32 vcc, 0, v9
	v_cmp_ne_u32_e64 s[26:27], 0, v9
	v_cndmask_b32_e64 v9, 1, 2, vcc
	v_cmp_eq_u32_e32 vcc, 0, v10
	v_and_b32_e32 v9, v9, v23
	v_cmp_ne_u32_e64 s[24:25], 0, v10
	v_cndmask_b32_e64 v10, 1, 2, vcc
	v_cmp_eq_u32_e32 vcc, 0, v11
	v_and_b32_e32 v9, v9, v10
	v_cndmask_b32_e64 v10, 1, 2, vcc
	v_cmp_eq_u32_e32 vcc, 0, v12
	v_and_b32_e32 v9, v9, v10
	;; [unrolled: 3-line block ×12, first 2 shown]
	v_cndmask_b32_e64 v10, 1, 2, vcc
	s_movk_i32 s30, 0x100
	v_and_b32_e32 v9, v9, v10
	v_cmp_gt_u32_e32 vcc, s30, v4
	v_add_u32_e32 v8, v78, v8
	v_cmp_ne_u32_e64 s[22:23], 0, v11
	v_cmp_ne_u32_e64 s[20:21], 0, v12
	;; [unrolled: 1-line block ×12, first 2 shown]
	s_mov_b64 s[36:37], -1
	v_cmp_gt_i16_e64 s[30:31], 2, v9
	s_barrier
	s_cbranch_vccz .LBB297_237
; %bb.231:
	s_and_saveexec_b64 s[36:37], s[30:31]
	s_cbranch_execz .LBB297_236
; %bb.232:
	v_cmp_ne_u16_e32 vcc, 1, v9
	s_mov_b64 s[38:39], 0
	s_and_saveexec_b64 s[30:31], vcc
	s_xor_b64 s[30:31], exec, s[30:31]
	s_cbranch_execnz .LBB297_319
; %bb.233:
	s_andn2_saveexec_b64 s[30:31], s[30:31]
	s_cbranch_execnz .LBB297_335
.LBB297_234:
	s_or_b64 exec, exec, s[30:31]
	s_and_b64 exec, exec, s[38:39]
	s_cbranch_execz .LBB297_236
.LBB297_235:
	v_sub_u32_e32 v10, v36, v8
	v_mov_b32_e32 v11, 0
	v_lshlrev_b64 v[10:11], 3, v[10:11]
	v_add_co_u32_e32 v10, vcc, v6, v10
	v_addc_co_u32_e32 v11, vcc, v7, v11, vcc
	global_store_dwordx2 v[10:11], v[2:3], off
.LBB297_236:
	s_or_b64 exec, exec, s[36:37]
	s_mov_b64 s[36:37], 0
.LBB297_237:
	s_and_b64 vcc, exec, s[36:37]
	s_cbranch_vccz .LBB297_247
; %bb.238:
	v_cmp_gt_i16_e32 vcc, 2, v9
	s_and_saveexec_b64 s[30:31], vcc
	s_cbranch_execz .LBB297_243
; %bb.239:
	v_cmp_ne_u16_e32 vcc, 1, v9
	s_mov_b64 s[38:39], 0
	s_and_saveexec_b64 s[36:37], vcc
	s_xor_b64 s[36:37], exec, s[36:37]
	s_cbranch_execnz .LBB297_336
; %bb.240:
	s_andn2_saveexec_b64 s[0:1], s[36:37]
	s_cbranch_execnz .LBB297_352
.LBB297_241:
	s_or_b64 exec, exec, s[0:1]
	s_and_b64 exec, exec, s[38:39]
	s_cbranch_execz .LBB297_243
.LBB297_242:
	v_sub_u32_e32 v8, v36, v8
	v_lshlrev_b32_e32 v8, 3, v8
	ds_write_b64 v8, v[2:3]
.LBB297_243:
	s_or_b64 exec, exec, s[30:31]
	v_cmp_lt_u32_e32 vcc, v0, v4
	s_waitcnt lgkmcnt(0)
	s_barrier
	s_and_saveexec_b64 s[0:1], vcc
	s_cbranch_execz .LBB297_246
; %bb.244:
	v_lshlrev_b32_e32 v8, 3, v0
	s_mov_b64 s[2:3], 0
	v_mov_b32_e32 v3, 0
	v_mov_b32_e32 v2, v0
.LBB297_245:                            ; =>This Inner Loop Header: Depth=1
	v_lshlrev_b64 v[10:11], 3, v[2:3]
	ds_read_b64 v[12:13], v8
	v_add_co_u32_e32 v10, vcc, v6, v10
	v_add_u32_e32 v2, 0x100, v2
	v_addc_co_u32_e32 v11, vcc, v7, v11, vcc
	v_cmp_ge_u32_e32 vcc, v2, v4
	v_add_u32_e32 v8, 0x800, v8
	s_or_b64 s[2:3], vcc, s[2:3]
	s_waitcnt lgkmcnt(0)
	global_store_dwordx2 v[10:11], v[12:13], off
	s_andn2_b64 exec, exec, s[2:3]
	s_cbranch_execnz .LBB297_245
.LBB297_246:
	s_or_b64 exec, exec, s[0:1]
.LBB297_247:
	s_movk_i32 s0, 0xff
	v_cmp_eq_u32_e32 vcc, s0, v0
	s_and_b64 s[0:1], vcc, s[34:35]
	s_and_saveexec_b64 s[2:3], s[0:1]
	s_cbranch_execz .LBB297_250
; %bb.248:
	v_add_co_u32_e32 v0, vcc, v62, v78
	v_addc_co_u32_e64 v3, s[0:1], 0, 0, vcc
	v_add_co_u32_e32 v2, vcc, v0, v30
	v_mov_b32_e32 v63, 0
	v_addc_co_u32_e32 v3, vcc, v3, v31, vcc
	s_cmpk_lg_i32 s33, 0xf00
	global_store_dwordx2 v63, v[2:3], s[62:63]
	s_cbranch_scc1 .LBB297_250
; %bb.249:
	v_lshlrev_b64 v[2:3], 3, v[62:63]
	v_add_co_u32_e32 v0, vcc, v1, v2
	v_addc_co_u32_e32 v1, vcc, v5, v3, vcc
	global_store_dwordx2 v[0:1], v[76:77], off offset:-8
.LBB297_250:
	s_endpgm
.LBB297_251:
                                        ; implicit-def: $sgpr4_sgpr5
                                        ; implicit-def: $vgpr1
                                        ; implicit-def: $vgpr63
                                        ; implicit-def: $vgpr110
                                        ; implicit-def: $vgpr65
                                        ; implicit-def: $vgpr64
                                        ; implicit-def: $vgpr67
                                        ; implicit-def: $vgpr66
                                        ; implicit-def: $vgpr69
                                        ; implicit-def: $vgpr68
                                        ; implicit-def: $vgpr71
                                        ; implicit-def: $vgpr70
                                        ; implicit-def: $vgpr73
                                        ; implicit-def: $vgpr72
                                        ; implicit-def: $vgpr75
	s_cbranch_execz .LBB297_109
.LBB297_252:
	v_mad_u32_u24 v62, v0, 15, 14
	v_mov_b32_e32 v63, 0
	v_lshlrev_b32_e32 v78, 3, v0
	s_waitcnt lgkmcnt(0)
	v_mul_u32_u24_e32 v76, 15, v0
	v_cmp_gt_u64_e32 vcc, s[2:3], v[62:63]
	v_mov_b32_e32 v1, 0
	ds_write_b64 v78, v[58:59]
	s_and_saveexec_b64 s[4:5], vcc
; %bb.253:
	s_mov_b32 s7, 0x66666667
	v_mul_hi_i32 v1, v4, s7
	v_lshrrev_b32_e32 v62, 31, v1
	v_ashrrev_i32_e32 v1, 2, v1
	v_add_u32_e32 v1, v1, v62
	v_mul_hi_i32 v62, v58, s7
	v_lshrrev_b32_e32 v64, 31, v62
	v_ashrrev_i32_e32 v62, 2, v62
	v_add_u32_e32 v62, v62, v64
	v_cmp_ne_u32_e32 vcc, v1, v62
	v_cndmask_b32_e64 v1, 0, 1, vcc
; %bb.254:
	s_or_b64 exec, exec, s[4:5]
	v_add_u32_e32 v62, 13, v76
	v_cmp_gt_u64_e32 vcc, s[2:3], v[62:63]
	s_and_saveexec_b64 s[4:5], vcc
; %bb.255:
	s_mov_b32 s7, 0x66666667
	v_mul_hi_i32 v62, v2, s7
	v_lshrrev_b32_e32 v63, 31, v62
	v_ashrrev_i32_e32 v62, 2, v62
	v_add_u32_e32 v62, v62, v63
	v_mul_hi_i32 v63, v4, s7
	v_lshrrev_b32_e32 v64, 31, v63
	v_ashrrev_i32_e32 v63, 2, v63
	v_add_u32_e32 v63, v63, v64
	v_cmp_ne_u32_e32 vcc, v62, v63
	v_cndmask_b32_e64 v63, 0, 1, vcc
; %bb.256:
	s_or_b64 exec, exec, s[4:5]
	v_add_u32_e32 v64, 12, v76
	v_mov_b32_e32 v65, 0
	v_cmp_gt_u64_e32 vcc, s[2:3], v[64:65]
	v_mov_b32_e32 v110, 0
	s_and_saveexec_b64 s[4:5], vcc
; %bb.257:
	s_mov_b32 s7, 0x66666667
	v_mul_hi_i32 v62, v8, s7
	v_lshrrev_b32_e32 v64, 31, v62
	v_ashrrev_i32_e32 v62, 2, v62
	v_add_u32_e32 v62, v62, v64
	v_mul_hi_i32 v64, v2, s7
	v_lshrrev_b32_e32 v66, 31, v64
	v_ashrrev_i32_e32 v64, 2, v64
	v_add_u32_e32 v64, v64, v66
	v_cmp_ne_u32_e32 vcc, v62, v64
	v_cndmask_b32_e64 v110, 0, 1, vcc
; %bb.258:
	s_or_b64 exec, exec, s[4:5]
	v_add_u32_e32 v64, 11, v76
	v_cmp_gt_u64_e32 vcc, s[2:3], v[64:65]
	s_and_saveexec_b64 s[4:5], vcc
; %bb.259:
	s_mov_b32 s7, 0x66666667
	v_mul_hi_i32 v62, v6, s7
	v_lshrrev_b32_e32 v64, 31, v62
	v_ashrrev_i32_e32 v62, 2, v62
	v_add_u32_e32 v62, v62, v64
	v_mul_hi_i32 v64, v8, s7
	v_lshrrev_b32_e32 v65, 31, v64
	v_ashrrev_i32_e32 v64, 2, v64
	v_add_u32_e32 v64, v64, v65
	v_cmp_ne_u32_e32 vcc, v62, v64
	v_cndmask_b32_e64 v65, 0, 1, vcc
; %bb.260:
	s_or_b64 exec, exec, s[4:5]
	v_add_u32_e32 v66, 10, v76
	v_mov_b32_e32 v67, 0
	v_cmp_gt_u64_e32 vcc, s[2:3], v[66:67]
	v_mov_b32_e32 v64, 0
	;; [unrolled: 36-line block ×6, first 2 shown]
	s_and_saveexec_b64 s[4:5], vcc
; %bb.277:
	s_mov_b32 s7, 0x66666667
	v_mul_hi_i32 v62, v28, s7
	v_lshrrev_b32_e32 v72, 31, v62
	v_ashrrev_i32_e32 v62, 2, v62
	v_add_u32_e32 v62, v62, v72
	v_mul_hi_i32 v72, v22, s7
	v_lshrrev_b32_e32 v74, 31, v72
	v_ashrrev_i32_e32 v72, 2, v72
	v_add_u32_e32 v72, v72, v74
	v_cmp_ne_u32_e32 vcc, v62, v72
	v_cndmask_b32_e64 v72, 0, 1, vcc
; %bb.278:
	s_or_b64 exec, exec, s[4:5]
	v_add_u32_e32 v74, 1, v76
	v_cmp_gt_u64_e32 vcc, s[2:3], v[74:75]
	s_and_saveexec_b64 s[4:5], vcc
; %bb.279:
	s_mov_b32 s7, 0x66666667
	v_mul_hi_i32 v62, v26, s7
	v_lshrrev_b32_e32 v74, 31, v62
	v_ashrrev_i32_e32 v62, 2, v62
	v_add_u32_e32 v62, v62, v74
	v_mul_hi_i32 v74, v28, s7
	v_lshrrev_b32_e32 v75, 31, v74
	v_ashrrev_i32_e32 v74, 2, v74
	v_add_u32_e32 v74, v74, v75
	v_cmp_ne_u32_e32 vcc, v62, v74
	v_cndmask_b32_e64 v75, 0, 1, vcc
; %bb.280:
	s_or_b64 exec, exec, s[4:5]
	v_cmp_ne_u32_e32 vcc, 0, v0
	s_waitcnt lgkmcnt(0)
	s_barrier
	s_waitcnt lgkmcnt(0)
                                        ; implicit-def: $sgpr4_sgpr5
	s_and_saveexec_b64 s[8:9], vcc
	s_cbranch_execz .LBB297_284
; %bb.281:
	v_mov_b32_e32 v77, 0
	v_cmp_gt_u64_e32 vcc, s[2:3], v[76:77]
	s_mov_b64 s[4:5], 0
	s_and_saveexec_b64 s[2:3], vcc
	s_cbranch_execz .LBB297_283
; %bb.282:
	v_add_u32_e32 v62, -8, v78
	ds_read_b32 v62, v62
	s_mov_b32 s4, 0x66666667
	v_mul_hi_i32 v74, v26, s4
	v_lshrrev_b32_e32 v76, 31, v74
	v_ashrrev_i32_e32 v74, 2, v74
	s_waitcnt lgkmcnt(0)
	v_mul_hi_i32 v62, v62, s4
	v_lshrrev_b32_e32 v77, 31, v62
	v_ashrrev_i32_e32 v62, 2, v62
	v_add_u32_e32 v62, v62, v77
	v_add_u32_e32 v74, v74, v76
	v_cmp_ne_u32_e32 vcc, v62, v74
	s_and_b64 s[4:5], vcc, exec
.LBB297_283:
	s_or_b64 exec, exec, s[2:3]
	s_and_b64 s[4:5], s[4:5], exec
	s_or_b64 s[0:1], s[0:1], exec
.LBB297_284:
	s_or_b64 exec, exec, s[8:9]
	s_mov_b32 s8, 1
	v_mov_b32_e32 v74, s8
	s_and_saveexec_b64 s[2:3], s[0:1]
	s_cbranch_execnz .LBB297_111
	s_branch .LBB297_112
.LBB297_285:
	s_and_saveexec_b64 s[38:39], s[28:29]
	s_cbranch_execnz .LBB297_353
; %bb.286:
	s_or_b64 exec, exec, s[38:39]
	s_and_saveexec_b64 s[38:39], s[26:27]
	s_cbranch_execnz .LBB297_354
.LBB297_287:
	s_or_b64 exec, exec, s[38:39]
	s_and_saveexec_b64 s[38:39], s[24:25]
	s_cbranch_execnz .LBB297_355
.LBB297_288:
	s_or_b64 exec, exec, s[38:39]
	s_and_saveexec_b64 s[38:39], s[22:23]
	s_cbranch_execnz .LBB297_356
.LBB297_289:
	s_or_b64 exec, exec, s[38:39]
	s_and_saveexec_b64 s[38:39], s[20:21]
	s_cbranch_execnz .LBB297_357
.LBB297_290:
	s_or_b64 exec, exec, s[38:39]
	s_and_saveexec_b64 s[38:39], s[18:19]
	s_cbranch_execnz .LBB297_358
.LBB297_291:
	s_or_b64 exec, exec, s[38:39]
	s_and_saveexec_b64 s[38:39], s[16:17]
	s_cbranch_execnz .LBB297_359
.LBB297_292:
	s_or_b64 exec, exec, s[38:39]
	s_and_saveexec_b64 s[38:39], s[14:15]
	s_cbranch_execnz .LBB297_360
.LBB297_293:
	s_or_b64 exec, exec, s[38:39]
	s_and_saveexec_b64 s[38:39], s[12:13]
	s_cbranch_execnz .LBB297_361
.LBB297_294:
	s_or_b64 exec, exec, s[38:39]
	s_and_saveexec_b64 s[38:39], s[10:11]
	s_cbranch_execnz .LBB297_362
.LBB297_295:
	s_or_b64 exec, exec, s[38:39]
	s_and_saveexec_b64 s[38:39], s[8:9]
	s_cbranch_execnz .LBB297_363
.LBB297_296:
	s_or_b64 exec, exec, s[38:39]
	s_and_saveexec_b64 s[38:39], s[6:7]
	s_cbranch_execnz .LBB297_364
.LBB297_297:
	s_or_b64 exec, exec, s[38:39]
	s_and_saveexec_b64 s[38:39], s[4:5]
	s_cbranch_execnz .LBB297_365
.LBB297_298:
	s_or_b64 exec, exec, s[38:39]
	s_and_saveexec_b64 s[38:39], s[2:3]
	s_cbranch_execz .LBB297_300
.LBB297_299:
	v_sub_u32_e32 v54, v37, v78
	v_mov_b32_e32 v55, 0
	v_lshlrev_b64 v[54:55], 3, v[54:55]
	v_add_co_u32_e32 v54, vcc, v50, v54
	v_addc_co_u32_e32 v55, vcc, v51, v55, vcc
	global_store_dwordx2 v[54:55], v[4:5], off
.LBB297_300:
	s_or_b64 exec, exec, s[38:39]
	s_and_b64 s[38:39], s[0:1], exec
	s_andn2_saveexec_b64 s[30:31], s[30:31]
	s_cbranch_execz .LBB297_217
.LBB297_301:
	v_sub_u32_e32 v54, v111, v78
	v_mov_b32_e32 v55, 0
	v_lshlrev_b64 v[56:57], 3, v[54:55]
	v_add_co_u32_e32 v56, vcc, v50, v56
	v_addc_co_u32_e32 v57, vcc, v51, v57, vcc
	v_sub_u32_e32 v54, v49, v78
	global_store_dwordx2 v[56:57], v[26:27], off
	v_lshlrev_b64 v[56:57], 3, v[54:55]
	v_add_co_u32_e32 v56, vcc, v50, v56
	v_addc_co_u32_e32 v57, vcc, v51, v57, vcc
	v_sub_u32_e32 v54, v48, v78
	global_store_dwordx2 v[56:57], v[28:29], off
	;; [unrolled: 5-line block ×12, first 2 shown]
	v_lshlrev_b64 v[56:57], 3, v[54:55]
	v_add_co_u32_e32 v56, vcc, v50, v56
	v_sub_u32_e32 v54, v37, v78
	v_addc_co_u32_e32 v57, vcc, v51, v57, vcc
	v_lshlrev_b64 v[54:55], 3, v[54:55]
	v_add_co_u32_e32 v54, vcc, v50, v54
	v_addc_co_u32_e32 v55, vcc, v51, v55, vcc
	s_or_b64 s[38:39], s[38:39], exec
	global_store_dwordx2 v[56:57], v[2:3], off
	global_store_dwordx2 v[54:55], v[4:5], off
	s_or_b64 exec, exec, s[30:31]
	s_and_b64 exec, exec, s[38:39]
	s_cbranch_execnz .LBB297_218
	s_branch .LBB297_219
.LBB297_302:
	s_and_saveexec_b64 s[38:39], s[28:29]
	s_cbranch_execnz .LBB297_366
; %bb.303:
	s_or_b64 exec, exec, s[38:39]
	s_and_saveexec_b64 s[28:29], s[26:27]
	s_cbranch_execnz .LBB297_367
.LBB297_304:
	s_or_b64 exec, exec, s[28:29]
	s_and_saveexec_b64 s[26:27], s[24:25]
	s_cbranch_execnz .LBB297_368
.LBB297_305:
	s_or_b64 exec, exec, s[26:27]
	s_and_saveexec_b64 s[24:25], s[22:23]
	s_cbranch_execnz .LBB297_369
.LBB297_306:
	s_or_b64 exec, exec, s[24:25]
	s_and_saveexec_b64 s[22:23], s[20:21]
	s_cbranch_execnz .LBB297_370
.LBB297_307:
	s_or_b64 exec, exec, s[22:23]
	s_and_saveexec_b64 s[20:21], s[18:19]
	s_cbranch_execnz .LBB297_371
.LBB297_308:
	s_or_b64 exec, exec, s[20:21]
	s_and_saveexec_b64 s[18:19], s[16:17]
	s_cbranch_execnz .LBB297_372
.LBB297_309:
	s_or_b64 exec, exec, s[18:19]
	s_and_saveexec_b64 s[16:17], s[14:15]
	s_cbranch_execnz .LBB297_373
.LBB297_310:
	s_or_b64 exec, exec, s[16:17]
	s_and_saveexec_b64 s[14:15], s[12:13]
	s_cbranch_execnz .LBB297_374
.LBB297_311:
	s_or_b64 exec, exec, s[14:15]
	s_and_saveexec_b64 s[12:13], s[10:11]
	s_cbranch_execnz .LBB297_375
.LBB297_312:
	s_or_b64 exec, exec, s[12:13]
	s_and_saveexec_b64 s[10:11], s[8:9]
	s_cbranch_execnz .LBB297_376
.LBB297_313:
	s_or_b64 exec, exec, s[10:11]
	s_and_saveexec_b64 s[8:9], s[6:7]
	s_cbranch_execnz .LBB297_377
.LBB297_314:
	s_or_b64 exec, exec, s[8:9]
	s_and_saveexec_b64 s[6:7], s[4:5]
	s_cbranch_execnz .LBB297_378
.LBB297_315:
	s_or_b64 exec, exec, s[6:7]
	s_and_saveexec_b64 s[4:5], s[2:3]
	s_cbranch_execz .LBB297_317
.LBB297_316:
	v_sub_u32_e32 v2, v37, v78
	v_lshlrev_b32_e32 v2, 3, v2
	ds_write_b64 v2, v[4:5]
.LBB297_317:
	s_or_b64 exec, exec, s[4:5]
	s_and_b64 s[38:39], s[0:1], exec
                                        ; implicit-def: $vgpr26_vgpr27_vgpr28_vgpr29
                                        ; implicit-def: $vgpr22_vgpr23_vgpr24_vgpr25
                                        ; implicit-def: $vgpr18_vgpr19_vgpr20_vgpr21
                                        ; implicit-def: $vgpr14_vgpr15_vgpr16_vgpr17
                                        ; implicit-def: $vgpr10_vgpr11_vgpr12_vgpr13
                                        ; implicit-def: $vgpr6_vgpr7_vgpr8_vgpr9
                                        ; implicit-def: $vgpr2_vgpr3_vgpr4_vgpr5
	s_andn2_saveexec_b64 s[0:1], s[36:37]
	s_cbranch_execz .LBB297_224
.LBB297_318:
	v_sub_u32_e32 v52, v111, v78
	v_lshlrev_b32_e32 v52, 3, v52
	ds_write_b64 v52, v[26:27]
	v_sub_u32_e32 v26, v49, v78
	v_lshlrev_b32_e32 v26, 3, v26
	ds_write_b64 v26, v[28:29]
	;; [unrolled: 3-line block ×13, first 2 shown]
	v_sub_u32_e32 v2, v37, v78
	v_lshlrev_b32_e32 v2, 3, v2
	s_or_b64 s[38:39], s[38:39], exec
	ds_write_b64 v2, v[4:5]
	s_or_b64 exec, exec, s[0:1]
	s_and_b64 exec, exec, s[38:39]
	s_cbranch_execnz .LBB297_225
	s_branch .LBB297_226
.LBB297_319:
	s_and_saveexec_b64 s[38:39], s[28:29]
	s_cbranch_execnz .LBB297_379
; %bb.320:
	s_or_b64 exec, exec, s[38:39]
	s_and_saveexec_b64 s[38:39], s[26:27]
	s_cbranch_execnz .LBB297_380
.LBB297_321:
	s_or_b64 exec, exec, s[38:39]
	s_and_saveexec_b64 s[38:39], s[24:25]
	s_cbranch_execnz .LBB297_381
.LBB297_322:
	s_or_b64 exec, exec, s[38:39]
	s_and_saveexec_b64 s[38:39], s[22:23]
	s_cbranch_execnz .LBB297_382
.LBB297_323:
	s_or_b64 exec, exec, s[38:39]
	s_and_saveexec_b64 s[38:39], s[20:21]
	s_cbranch_execnz .LBB297_383
.LBB297_324:
	s_or_b64 exec, exec, s[38:39]
	s_and_saveexec_b64 s[38:39], s[18:19]
	s_cbranch_execnz .LBB297_384
.LBB297_325:
	s_or_b64 exec, exec, s[38:39]
	s_and_saveexec_b64 s[38:39], s[16:17]
	s_cbranch_execnz .LBB297_385
.LBB297_326:
	s_or_b64 exec, exec, s[38:39]
	s_and_saveexec_b64 s[38:39], s[14:15]
	s_cbranch_execnz .LBB297_386
.LBB297_327:
	s_or_b64 exec, exec, s[38:39]
	s_and_saveexec_b64 s[38:39], s[12:13]
	s_cbranch_execnz .LBB297_387
.LBB297_328:
	s_or_b64 exec, exec, s[38:39]
	s_and_saveexec_b64 s[38:39], s[10:11]
	s_cbranch_execnz .LBB297_388
.LBB297_329:
	s_or_b64 exec, exec, s[38:39]
	s_and_saveexec_b64 s[38:39], s[8:9]
	s_cbranch_execnz .LBB297_389
.LBB297_330:
	s_or_b64 exec, exec, s[38:39]
	s_and_saveexec_b64 s[38:39], s[6:7]
	s_cbranch_execnz .LBB297_390
.LBB297_331:
	s_or_b64 exec, exec, s[38:39]
	s_and_saveexec_b64 s[38:39], s[4:5]
	s_cbranch_execnz .LBB297_391
.LBB297_332:
	s_or_b64 exec, exec, s[38:39]
	s_and_saveexec_b64 s[38:39], s[2:3]
	s_cbranch_execz .LBB297_334
.LBB297_333:
	v_sub_u32_e32 v10, v37, v8
	v_mov_b32_e32 v11, 0
	v_lshlrev_b64 v[10:11], 3, v[10:11]
	v_add_co_u32_e32 v10, vcc, v6, v10
	v_addc_co_u32_e32 v11, vcc, v7, v11, vcc
	global_store_dwordx2 v[10:11], v[106:107], off
.LBB297_334:
	s_or_b64 exec, exec, s[38:39]
	s_and_b64 s[38:39], s[0:1], exec
	s_andn2_saveexec_b64 s[30:31], s[30:31]
	s_cbranch_execz .LBB297_234
.LBB297_335:
	v_sub_u32_e32 v10, v111, v8
	v_mov_b32_e32 v11, 0
	v_lshlrev_b64 v[12:13], 3, v[10:11]
	v_add_co_u32_e32 v12, vcc, v6, v12
	v_addc_co_u32_e32 v13, vcc, v7, v13, vcc
	v_sub_u32_e32 v10, v49, v8
	global_store_dwordx2 v[12:13], v[104:105], off
	v_lshlrev_b64 v[12:13], 3, v[10:11]
	v_add_co_u32_e32 v12, vcc, v6, v12
	v_addc_co_u32_e32 v13, vcc, v7, v13, vcc
	v_sub_u32_e32 v10, v48, v8
	global_store_dwordx2 v[12:13], v[80:81], off
	;; [unrolled: 5-line block ×12, first 2 shown]
	v_lshlrev_b64 v[12:13], 3, v[10:11]
	v_add_co_u32_e32 v12, vcc, v6, v12
	v_sub_u32_e32 v10, v37, v8
	v_addc_co_u32_e32 v13, vcc, v7, v13, vcc
	v_lshlrev_b64 v[10:11], 3, v[10:11]
	v_add_co_u32_e32 v10, vcc, v6, v10
	v_addc_co_u32_e32 v11, vcc, v7, v11, vcc
	s_or_b64 s[38:39], s[38:39], exec
	global_store_dwordx2 v[12:13], v[102:103], off
	global_store_dwordx2 v[10:11], v[106:107], off
	s_or_b64 exec, exec, s[30:31]
	s_and_b64 exec, exec, s[38:39]
	s_cbranch_execnz .LBB297_235
	s_branch .LBB297_236
.LBB297_336:
	s_and_saveexec_b64 s[38:39], s[28:29]
	s_cbranch_execnz .LBB297_392
; %bb.337:
	s_or_b64 exec, exec, s[38:39]
	s_and_saveexec_b64 s[28:29], s[26:27]
	s_cbranch_execnz .LBB297_393
.LBB297_338:
	s_or_b64 exec, exec, s[28:29]
	s_and_saveexec_b64 s[26:27], s[24:25]
	s_cbranch_execnz .LBB297_394
.LBB297_339:
	s_or_b64 exec, exec, s[26:27]
	s_and_saveexec_b64 s[24:25], s[22:23]
	s_cbranch_execnz .LBB297_395
.LBB297_340:
	s_or_b64 exec, exec, s[24:25]
	s_and_saveexec_b64 s[22:23], s[20:21]
	s_cbranch_execnz .LBB297_396
.LBB297_341:
	s_or_b64 exec, exec, s[22:23]
	s_and_saveexec_b64 s[20:21], s[18:19]
	s_cbranch_execnz .LBB297_397
.LBB297_342:
	s_or_b64 exec, exec, s[20:21]
	s_and_saveexec_b64 s[18:19], s[16:17]
	s_cbranch_execnz .LBB297_398
.LBB297_343:
	s_or_b64 exec, exec, s[18:19]
	s_and_saveexec_b64 s[16:17], s[14:15]
	s_cbranch_execnz .LBB297_399
.LBB297_344:
	s_or_b64 exec, exec, s[16:17]
	s_and_saveexec_b64 s[14:15], s[12:13]
	s_cbranch_execnz .LBB297_400
.LBB297_345:
	s_or_b64 exec, exec, s[14:15]
	s_and_saveexec_b64 s[12:13], s[10:11]
	s_cbranch_execnz .LBB297_401
.LBB297_346:
	s_or_b64 exec, exec, s[12:13]
	s_and_saveexec_b64 s[10:11], s[8:9]
	s_cbranch_execnz .LBB297_402
.LBB297_347:
	s_or_b64 exec, exec, s[10:11]
	s_and_saveexec_b64 s[8:9], s[6:7]
	s_cbranch_execnz .LBB297_403
.LBB297_348:
	s_or_b64 exec, exec, s[8:9]
	s_and_saveexec_b64 s[6:7], s[4:5]
	s_cbranch_execnz .LBB297_404
.LBB297_349:
	s_or_b64 exec, exec, s[6:7]
	s_and_saveexec_b64 s[4:5], s[2:3]
	s_cbranch_execz .LBB297_351
.LBB297_350:
	v_sub_u32_e32 v9, v37, v8
	v_lshlrev_b32_e32 v9, 3, v9
	ds_write_b64 v9, v[106:107]
.LBB297_351:
	s_or_b64 exec, exec, s[4:5]
	s_and_b64 s[38:39], s[0:1], exec
                                        ; implicit-def: $vgpr104_vgpr105
                                        ; implicit-def: $vgpr80_vgpr81
                                        ; implicit-def: $vgpr82_vgpr83
                                        ; implicit-def: $vgpr84_vgpr85
                                        ; implicit-def: $vgpr86_vgpr87
                                        ; implicit-def: $vgpr88_vgpr89
                                        ; implicit-def: $vgpr90_vgpr91
                                        ; implicit-def: $vgpr92_vgpr93
                                        ; implicit-def: $vgpr94_vgpr95
                                        ; implicit-def: $vgpr96_vgpr97
                                        ; implicit-def: $vgpr98_vgpr99
                                        ; implicit-def: $vgpr100_vgpr101
                                        ; implicit-def: $vgpr102_vgpr103
                                        ; implicit-def: $vgpr106_vgpr107
                                        ; implicit-def: $vgpr111
                                        ; implicit-def: $vgpr49
                                        ; implicit-def: $vgpr48
                                        ; implicit-def: $vgpr47
                                        ; implicit-def: $vgpr46
                                        ; implicit-def: $vgpr45
                                        ; implicit-def: $vgpr44
                                        ; implicit-def: $vgpr43
                                        ; implicit-def: $vgpr42
                                        ; implicit-def: $vgpr41
                                        ; implicit-def: $vgpr40
                                        ; implicit-def: $vgpr39
                                        ; implicit-def: $vgpr38
                                        ; implicit-def: $vgpr37
	s_andn2_saveexec_b64 s[0:1], s[36:37]
	s_cbranch_execz .LBB297_241
.LBB297_352:
	v_sub_u32_e32 v9, v111, v8
	v_lshlrev_b32_e32 v9, 3, v9
	ds_write_b64 v9, v[104:105]
	v_sub_u32_e32 v9, v49, v8
	v_lshlrev_b32_e32 v9, 3, v9
	ds_write_b64 v9, v[80:81]
	;; [unrolled: 3-line block ×13, first 2 shown]
	v_sub_u32_e32 v9, v37, v8
	v_lshlrev_b32_e32 v9, 3, v9
	s_or_b64 s[38:39], s[38:39], exec
	ds_write_b64 v9, v[106:107]
	s_or_b64 exec, exec, s[0:1]
	s_and_b64 exec, exec, s[38:39]
	s_cbranch_execnz .LBB297_242
	s_branch .LBB297_243
.LBB297_353:
	v_sub_u32_e32 v54, v111, v78
	v_mov_b32_e32 v55, 0
	v_lshlrev_b64 v[54:55], 3, v[54:55]
	v_add_co_u32_e32 v54, vcc, v50, v54
	v_addc_co_u32_e32 v55, vcc, v51, v55, vcc
	global_store_dwordx2 v[54:55], v[26:27], off
	s_or_b64 exec, exec, s[38:39]
	s_and_saveexec_b64 s[38:39], s[26:27]
	s_cbranch_execz .LBB297_287
.LBB297_354:
	v_sub_u32_e32 v54, v49, v78
	v_mov_b32_e32 v55, 0
	v_lshlrev_b64 v[54:55], 3, v[54:55]
	v_add_co_u32_e32 v54, vcc, v50, v54
	v_addc_co_u32_e32 v55, vcc, v51, v55, vcc
	global_store_dwordx2 v[54:55], v[28:29], off
	s_or_b64 exec, exec, s[38:39]
	s_and_saveexec_b64 s[38:39], s[24:25]
	s_cbranch_execz .LBB297_288
.LBB297_355:
	v_sub_u32_e32 v54, v48, v78
	v_mov_b32_e32 v55, 0
	v_lshlrev_b64 v[54:55], 3, v[54:55]
	v_add_co_u32_e32 v54, vcc, v50, v54
	v_addc_co_u32_e32 v55, vcc, v51, v55, vcc
	global_store_dwordx2 v[54:55], v[22:23], off
	s_or_b64 exec, exec, s[38:39]
	s_and_saveexec_b64 s[38:39], s[22:23]
	s_cbranch_execz .LBB297_289
.LBB297_356:
	v_sub_u32_e32 v54, v47, v78
	v_mov_b32_e32 v55, 0
	v_lshlrev_b64 v[54:55], 3, v[54:55]
	v_add_co_u32_e32 v54, vcc, v50, v54
	v_addc_co_u32_e32 v55, vcc, v51, v55, vcc
	global_store_dwordx2 v[54:55], v[24:25], off
	s_or_b64 exec, exec, s[38:39]
	s_and_saveexec_b64 s[38:39], s[20:21]
	s_cbranch_execz .LBB297_290
.LBB297_357:
	v_sub_u32_e32 v54, v46, v78
	v_mov_b32_e32 v55, 0
	v_lshlrev_b64 v[54:55], 3, v[54:55]
	v_add_co_u32_e32 v54, vcc, v50, v54
	v_addc_co_u32_e32 v55, vcc, v51, v55, vcc
	global_store_dwordx2 v[54:55], v[18:19], off
	s_or_b64 exec, exec, s[38:39]
	s_and_saveexec_b64 s[38:39], s[18:19]
	s_cbranch_execz .LBB297_291
.LBB297_358:
	v_sub_u32_e32 v54, v45, v78
	v_mov_b32_e32 v55, 0
	v_lshlrev_b64 v[54:55], 3, v[54:55]
	v_add_co_u32_e32 v54, vcc, v50, v54
	v_addc_co_u32_e32 v55, vcc, v51, v55, vcc
	global_store_dwordx2 v[54:55], v[20:21], off
	s_or_b64 exec, exec, s[38:39]
	s_and_saveexec_b64 s[38:39], s[16:17]
	s_cbranch_execz .LBB297_292
.LBB297_359:
	v_sub_u32_e32 v54, v44, v78
	v_mov_b32_e32 v55, 0
	v_lshlrev_b64 v[54:55], 3, v[54:55]
	v_add_co_u32_e32 v54, vcc, v50, v54
	v_addc_co_u32_e32 v55, vcc, v51, v55, vcc
	global_store_dwordx2 v[54:55], v[14:15], off
	s_or_b64 exec, exec, s[38:39]
	s_and_saveexec_b64 s[38:39], s[14:15]
	s_cbranch_execz .LBB297_293
.LBB297_360:
	v_sub_u32_e32 v54, v43, v78
	v_mov_b32_e32 v55, 0
	v_lshlrev_b64 v[54:55], 3, v[54:55]
	v_add_co_u32_e32 v54, vcc, v50, v54
	v_addc_co_u32_e32 v55, vcc, v51, v55, vcc
	global_store_dwordx2 v[54:55], v[16:17], off
	s_or_b64 exec, exec, s[38:39]
	s_and_saveexec_b64 s[38:39], s[12:13]
	s_cbranch_execz .LBB297_294
.LBB297_361:
	v_sub_u32_e32 v54, v42, v78
	v_mov_b32_e32 v55, 0
	v_lshlrev_b64 v[54:55], 3, v[54:55]
	v_add_co_u32_e32 v54, vcc, v50, v54
	v_addc_co_u32_e32 v55, vcc, v51, v55, vcc
	global_store_dwordx2 v[54:55], v[10:11], off
	s_or_b64 exec, exec, s[38:39]
	s_and_saveexec_b64 s[38:39], s[10:11]
	s_cbranch_execz .LBB297_295
.LBB297_362:
	v_sub_u32_e32 v54, v41, v78
	v_mov_b32_e32 v55, 0
	v_lshlrev_b64 v[54:55], 3, v[54:55]
	v_add_co_u32_e32 v54, vcc, v50, v54
	v_addc_co_u32_e32 v55, vcc, v51, v55, vcc
	global_store_dwordx2 v[54:55], v[12:13], off
	s_or_b64 exec, exec, s[38:39]
	s_and_saveexec_b64 s[38:39], s[8:9]
	s_cbranch_execz .LBB297_296
.LBB297_363:
	v_sub_u32_e32 v54, v40, v78
	v_mov_b32_e32 v55, 0
	v_lshlrev_b64 v[54:55], 3, v[54:55]
	v_add_co_u32_e32 v54, vcc, v50, v54
	v_addc_co_u32_e32 v55, vcc, v51, v55, vcc
	global_store_dwordx2 v[54:55], v[6:7], off
	s_or_b64 exec, exec, s[38:39]
	s_and_saveexec_b64 s[38:39], s[6:7]
	s_cbranch_execz .LBB297_297
.LBB297_364:
	v_sub_u32_e32 v54, v39, v78
	v_mov_b32_e32 v55, 0
	v_lshlrev_b64 v[54:55], 3, v[54:55]
	v_add_co_u32_e32 v54, vcc, v50, v54
	v_addc_co_u32_e32 v55, vcc, v51, v55, vcc
	global_store_dwordx2 v[54:55], v[8:9], off
	s_or_b64 exec, exec, s[38:39]
	s_and_saveexec_b64 s[38:39], s[4:5]
	s_cbranch_execz .LBB297_298
.LBB297_365:
	v_sub_u32_e32 v54, v38, v78
	v_mov_b32_e32 v55, 0
	v_lshlrev_b64 v[54:55], 3, v[54:55]
	v_add_co_u32_e32 v54, vcc, v50, v54
	v_addc_co_u32_e32 v55, vcc, v51, v55, vcc
	global_store_dwordx2 v[54:55], v[2:3], off
	s_or_b64 exec, exec, s[38:39]
	s_and_saveexec_b64 s[38:39], s[2:3]
	s_cbranch_execnz .LBB297_299
	s_branch .LBB297_300
.LBB297_366:
	v_sub_u32_e32 v52, v111, v78
	v_lshlrev_b32_e32 v52, 3, v52
	ds_write_b64 v52, v[26:27]
	s_or_b64 exec, exec, s[38:39]
	s_and_saveexec_b64 s[28:29], s[26:27]
	s_cbranch_execz .LBB297_304
.LBB297_367:
	v_sub_u32_e32 v26, v49, v78
	v_lshlrev_b32_e32 v26, 3, v26
	ds_write_b64 v26, v[28:29]
	s_or_b64 exec, exec, s[28:29]
	s_and_saveexec_b64 s[26:27], s[24:25]
	s_cbranch_execz .LBB297_305
.LBB297_368:
	v_sub_u32_e32 v26, v48, v78
	v_lshlrev_b32_e32 v26, 3, v26
	ds_write_b64 v26, v[22:23]
	s_or_b64 exec, exec, s[26:27]
	s_and_saveexec_b64 s[24:25], s[22:23]
	s_cbranch_execz .LBB297_306
.LBB297_369:
	v_sub_u32_e32 v22, v47, v78
	v_lshlrev_b32_e32 v22, 3, v22
	ds_write_b64 v22, v[24:25]
	s_or_b64 exec, exec, s[24:25]
	s_and_saveexec_b64 s[22:23], s[20:21]
	s_cbranch_execz .LBB297_307
.LBB297_370:
	v_sub_u32_e32 v22, v46, v78
	v_lshlrev_b32_e32 v22, 3, v22
	ds_write_b64 v22, v[18:19]
	s_or_b64 exec, exec, s[22:23]
	s_and_saveexec_b64 s[20:21], s[18:19]
	s_cbranch_execz .LBB297_308
.LBB297_371:
	v_sub_u32_e32 v18, v45, v78
	v_lshlrev_b32_e32 v18, 3, v18
	ds_write_b64 v18, v[20:21]
	s_or_b64 exec, exec, s[20:21]
	s_and_saveexec_b64 s[18:19], s[16:17]
	s_cbranch_execz .LBB297_309
.LBB297_372:
	v_sub_u32_e32 v18, v44, v78
	v_lshlrev_b32_e32 v18, 3, v18
	ds_write_b64 v18, v[14:15]
	s_or_b64 exec, exec, s[18:19]
	s_and_saveexec_b64 s[16:17], s[14:15]
	s_cbranch_execz .LBB297_310
.LBB297_373:
	v_sub_u32_e32 v14, v43, v78
	v_lshlrev_b32_e32 v14, 3, v14
	ds_write_b64 v14, v[16:17]
	s_or_b64 exec, exec, s[16:17]
	s_and_saveexec_b64 s[14:15], s[12:13]
	s_cbranch_execz .LBB297_311
.LBB297_374:
	v_sub_u32_e32 v14, v42, v78
	v_lshlrev_b32_e32 v14, 3, v14
	ds_write_b64 v14, v[10:11]
	s_or_b64 exec, exec, s[14:15]
	s_and_saveexec_b64 s[12:13], s[10:11]
	s_cbranch_execz .LBB297_312
.LBB297_375:
	v_sub_u32_e32 v10, v41, v78
	v_lshlrev_b32_e32 v10, 3, v10
	ds_write_b64 v10, v[12:13]
	s_or_b64 exec, exec, s[12:13]
	s_and_saveexec_b64 s[10:11], s[8:9]
	s_cbranch_execz .LBB297_313
.LBB297_376:
	v_sub_u32_e32 v10, v40, v78
	v_lshlrev_b32_e32 v10, 3, v10
	ds_write_b64 v10, v[6:7]
	s_or_b64 exec, exec, s[10:11]
	s_and_saveexec_b64 s[8:9], s[6:7]
	s_cbranch_execz .LBB297_314
.LBB297_377:
	v_sub_u32_e32 v6, v39, v78
	v_lshlrev_b32_e32 v6, 3, v6
	ds_write_b64 v6, v[8:9]
	s_or_b64 exec, exec, s[8:9]
	s_and_saveexec_b64 s[6:7], s[4:5]
	s_cbranch_execz .LBB297_315
.LBB297_378:
	v_sub_u32_e32 v6, v38, v78
	v_lshlrev_b32_e32 v6, 3, v6
	ds_write_b64 v6, v[2:3]
	s_or_b64 exec, exec, s[6:7]
	s_and_saveexec_b64 s[4:5], s[2:3]
	s_cbranch_execnz .LBB297_316
	s_branch .LBB297_317
.LBB297_379:
	v_sub_u32_e32 v10, v111, v8
	v_mov_b32_e32 v11, 0
	v_lshlrev_b64 v[10:11], 3, v[10:11]
	v_add_co_u32_e32 v10, vcc, v6, v10
	v_addc_co_u32_e32 v11, vcc, v7, v11, vcc
	global_store_dwordx2 v[10:11], v[104:105], off
	s_or_b64 exec, exec, s[38:39]
	s_and_saveexec_b64 s[38:39], s[26:27]
	s_cbranch_execz .LBB297_321
.LBB297_380:
	v_sub_u32_e32 v10, v49, v8
	v_mov_b32_e32 v11, 0
	v_lshlrev_b64 v[10:11], 3, v[10:11]
	v_add_co_u32_e32 v10, vcc, v6, v10
	v_addc_co_u32_e32 v11, vcc, v7, v11, vcc
	global_store_dwordx2 v[10:11], v[80:81], off
	s_or_b64 exec, exec, s[38:39]
	s_and_saveexec_b64 s[38:39], s[24:25]
	s_cbranch_execz .LBB297_322
.LBB297_381:
	v_sub_u32_e32 v10, v48, v8
	v_mov_b32_e32 v11, 0
	v_lshlrev_b64 v[10:11], 3, v[10:11]
	v_add_co_u32_e32 v10, vcc, v6, v10
	v_addc_co_u32_e32 v11, vcc, v7, v11, vcc
	global_store_dwordx2 v[10:11], v[82:83], off
	s_or_b64 exec, exec, s[38:39]
	s_and_saveexec_b64 s[38:39], s[22:23]
	s_cbranch_execz .LBB297_323
.LBB297_382:
	v_sub_u32_e32 v10, v47, v8
	v_mov_b32_e32 v11, 0
	v_lshlrev_b64 v[10:11], 3, v[10:11]
	v_add_co_u32_e32 v10, vcc, v6, v10
	v_addc_co_u32_e32 v11, vcc, v7, v11, vcc
	global_store_dwordx2 v[10:11], v[84:85], off
	s_or_b64 exec, exec, s[38:39]
	s_and_saveexec_b64 s[38:39], s[20:21]
	s_cbranch_execz .LBB297_324
.LBB297_383:
	v_sub_u32_e32 v10, v46, v8
	v_mov_b32_e32 v11, 0
	v_lshlrev_b64 v[10:11], 3, v[10:11]
	v_add_co_u32_e32 v10, vcc, v6, v10
	v_addc_co_u32_e32 v11, vcc, v7, v11, vcc
	global_store_dwordx2 v[10:11], v[86:87], off
	s_or_b64 exec, exec, s[38:39]
	s_and_saveexec_b64 s[38:39], s[18:19]
	s_cbranch_execz .LBB297_325
.LBB297_384:
	v_sub_u32_e32 v10, v45, v8
	v_mov_b32_e32 v11, 0
	v_lshlrev_b64 v[10:11], 3, v[10:11]
	v_add_co_u32_e32 v10, vcc, v6, v10
	v_addc_co_u32_e32 v11, vcc, v7, v11, vcc
	global_store_dwordx2 v[10:11], v[88:89], off
	s_or_b64 exec, exec, s[38:39]
	s_and_saveexec_b64 s[38:39], s[16:17]
	s_cbranch_execz .LBB297_326
.LBB297_385:
	v_sub_u32_e32 v10, v44, v8
	v_mov_b32_e32 v11, 0
	v_lshlrev_b64 v[10:11], 3, v[10:11]
	v_add_co_u32_e32 v10, vcc, v6, v10
	v_addc_co_u32_e32 v11, vcc, v7, v11, vcc
	global_store_dwordx2 v[10:11], v[90:91], off
	s_or_b64 exec, exec, s[38:39]
	s_and_saveexec_b64 s[38:39], s[14:15]
	s_cbranch_execz .LBB297_327
.LBB297_386:
	v_sub_u32_e32 v10, v43, v8
	v_mov_b32_e32 v11, 0
	v_lshlrev_b64 v[10:11], 3, v[10:11]
	v_add_co_u32_e32 v10, vcc, v6, v10
	v_addc_co_u32_e32 v11, vcc, v7, v11, vcc
	global_store_dwordx2 v[10:11], v[92:93], off
	s_or_b64 exec, exec, s[38:39]
	s_and_saveexec_b64 s[38:39], s[12:13]
	s_cbranch_execz .LBB297_328
.LBB297_387:
	v_sub_u32_e32 v10, v42, v8
	v_mov_b32_e32 v11, 0
	v_lshlrev_b64 v[10:11], 3, v[10:11]
	v_add_co_u32_e32 v10, vcc, v6, v10
	v_addc_co_u32_e32 v11, vcc, v7, v11, vcc
	global_store_dwordx2 v[10:11], v[94:95], off
	s_or_b64 exec, exec, s[38:39]
	s_and_saveexec_b64 s[38:39], s[10:11]
	s_cbranch_execz .LBB297_329
.LBB297_388:
	v_sub_u32_e32 v10, v41, v8
	v_mov_b32_e32 v11, 0
	v_lshlrev_b64 v[10:11], 3, v[10:11]
	v_add_co_u32_e32 v10, vcc, v6, v10
	v_addc_co_u32_e32 v11, vcc, v7, v11, vcc
	global_store_dwordx2 v[10:11], v[96:97], off
	s_or_b64 exec, exec, s[38:39]
	s_and_saveexec_b64 s[38:39], s[8:9]
	s_cbranch_execz .LBB297_330
.LBB297_389:
	v_sub_u32_e32 v10, v40, v8
	v_mov_b32_e32 v11, 0
	v_lshlrev_b64 v[10:11], 3, v[10:11]
	v_add_co_u32_e32 v10, vcc, v6, v10
	v_addc_co_u32_e32 v11, vcc, v7, v11, vcc
	global_store_dwordx2 v[10:11], v[98:99], off
	s_or_b64 exec, exec, s[38:39]
	s_and_saveexec_b64 s[38:39], s[6:7]
	s_cbranch_execz .LBB297_331
.LBB297_390:
	v_sub_u32_e32 v10, v39, v8
	v_mov_b32_e32 v11, 0
	v_lshlrev_b64 v[10:11], 3, v[10:11]
	v_add_co_u32_e32 v10, vcc, v6, v10
	v_addc_co_u32_e32 v11, vcc, v7, v11, vcc
	global_store_dwordx2 v[10:11], v[100:101], off
	s_or_b64 exec, exec, s[38:39]
	s_and_saveexec_b64 s[38:39], s[4:5]
	s_cbranch_execz .LBB297_332
.LBB297_391:
	v_sub_u32_e32 v10, v38, v8
	v_mov_b32_e32 v11, 0
	v_lshlrev_b64 v[10:11], 3, v[10:11]
	v_add_co_u32_e32 v10, vcc, v6, v10
	v_addc_co_u32_e32 v11, vcc, v7, v11, vcc
	global_store_dwordx2 v[10:11], v[102:103], off
	s_or_b64 exec, exec, s[38:39]
	s_and_saveexec_b64 s[38:39], s[2:3]
	s_cbranch_execnz .LBB297_333
	s_branch .LBB297_334
.LBB297_392:
	v_sub_u32_e32 v9, v111, v8
	v_lshlrev_b32_e32 v9, 3, v9
	ds_write_b64 v9, v[104:105]
	s_or_b64 exec, exec, s[38:39]
	s_and_saveexec_b64 s[28:29], s[26:27]
	s_cbranch_execz .LBB297_338
.LBB297_393:
	v_sub_u32_e32 v9, v49, v8
	v_lshlrev_b32_e32 v9, 3, v9
	ds_write_b64 v9, v[80:81]
	s_or_b64 exec, exec, s[28:29]
	s_and_saveexec_b64 s[26:27], s[24:25]
	s_cbranch_execz .LBB297_339
.LBB297_394:
	v_sub_u32_e32 v9, v48, v8
	v_lshlrev_b32_e32 v9, 3, v9
	ds_write_b64 v9, v[82:83]
	s_or_b64 exec, exec, s[26:27]
	s_and_saveexec_b64 s[24:25], s[22:23]
	s_cbranch_execz .LBB297_340
.LBB297_395:
	v_sub_u32_e32 v9, v47, v8
	v_lshlrev_b32_e32 v9, 3, v9
	ds_write_b64 v9, v[84:85]
	s_or_b64 exec, exec, s[24:25]
	s_and_saveexec_b64 s[22:23], s[20:21]
	s_cbranch_execz .LBB297_341
.LBB297_396:
	v_sub_u32_e32 v9, v46, v8
	v_lshlrev_b32_e32 v9, 3, v9
	ds_write_b64 v9, v[86:87]
	s_or_b64 exec, exec, s[22:23]
	s_and_saveexec_b64 s[20:21], s[18:19]
	s_cbranch_execz .LBB297_342
.LBB297_397:
	v_sub_u32_e32 v9, v45, v8
	v_lshlrev_b32_e32 v9, 3, v9
	ds_write_b64 v9, v[88:89]
	s_or_b64 exec, exec, s[20:21]
	s_and_saveexec_b64 s[18:19], s[16:17]
	s_cbranch_execz .LBB297_343
.LBB297_398:
	v_sub_u32_e32 v9, v44, v8
	v_lshlrev_b32_e32 v9, 3, v9
	ds_write_b64 v9, v[90:91]
	s_or_b64 exec, exec, s[18:19]
	s_and_saveexec_b64 s[16:17], s[14:15]
	s_cbranch_execz .LBB297_344
.LBB297_399:
	v_sub_u32_e32 v9, v43, v8
	v_lshlrev_b32_e32 v9, 3, v9
	ds_write_b64 v9, v[92:93]
	s_or_b64 exec, exec, s[16:17]
	s_and_saveexec_b64 s[14:15], s[12:13]
	s_cbranch_execz .LBB297_345
.LBB297_400:
	v_sub_u32_e32 v9, v42, v8
	v_lshlrev_b32_e32 v9, 3, v9
	ds_write_b64 v9, v[94:95]
	s_or_b64 exec, exec, s[14:15]
	s_and_saveexec_b64 s[12:13], s[10:11]
	s_cbranch_execz .LBB297_346
.LBB297_401:
	v_sub_u32_e32 v9, v41, v8
	v_lshlrev_b32_e32 v9, 3, v9
	ds_write_b64 v9, v[96:97]
	s_or_b64 exec, exec, s[12:13]
	s_and_saveexec_b64 s[10:11], s[8:9]
	s_cbranch_execz .LBB297_347
.LBB297_402:
	v_sub_u32_e32 v9, v40, v8
	v_lshlrev_b32_e32 v9, 3, v9
	ds_write_b64 v9, v[98:99]
	s_or_b64 exec, exec, s[10:11]
	s_and_saveexec_b64 s[8:9], s[6:7]
	s_cbranch_execz .LBB297_348
.LBB297_403:
	v_sub_u32_e32 v9, v39, v8
	v_lshlrev_b32_e32 v9, 3, v9
	ds_write_b64 v9, v[100:101]
	s_or_b64 exec, exec, s[8:9]
	s_and_saveexec_b64 s[6:7], s[4:5]
	s_cbranch_execz .LBB297_349
.LBB297_404:
	v_sub_u32_e32 v9, v38, v8
	v_lshlrev_b32_e32 v9, 3, v9
	ds_write_b64 v9, v[102:103]
	s_or_b64 exec, exec, s[6:7]
	s_and_saveexec_b64 s[4:5], s[2:3]
	s_cbranch_execnz .LBB297_350
	s_branch .LBB297_351
	.section	.rodata,"a",@progbits
	.p2align	6, 0x0
	.amdhsa_kernel _ZN7rocprim17ROCPRIM_400000_NS6detail17trampoline_kernelINS0_14default_configENS1_29reduce_by_key_config_selectorIyyN6thrust23THRUST_200600_302600_NS4plusIyEEEEZZNS1_33reduce_by_key_impl_wrapped_configILNS1_25lookback_scan_determinismE0ES3_S9_NS6_6detail15normal_iteratorINS6_10device_ptrIyEEEESG_SG_SG_PmS8_22is_equal_div_10_reduceIyEEE10hipError_tPvRmT2_T3_mT4_T5_T6_T7_T8_P12ihipStream_tbENKUlT_T0_E_clISt17integral_constantIbLb1EES10_IbLb0EEEEDaSW_SX_EUlSW_E_NS1_11comp_targetILNS1_3genE4ELNS1_11target_archE910ELNS1_3gpuE8ELNS1_3repE0EEENS1_30default_config_static_selectorELNS0_4arch9wavefront6targetE1EEEvT1_
		.amdhsa_group_segment_fixed_size 30720
		.amdhsa_private_segment_fixed_size 0
		.amdhsa_kernarg_size 136
		.amdhsa_user_sgpr_count 6
		.amdhsa_user_sgpr_private_segment_buffer 1
		.amdhsa_user_sgpr_dispatch_ptr 0
		.amdhsa_user_sgpr_queue_ptr 0
		.amdhsa_user_sgpr_kernarg_segment_ptr 1
		.amdhsa_user_sgpr_dispatch_id 0
		.amdhsa_user_sgpr_flat_scratch_init 0
		.amdhsa_user_sgpr_kernarg_preload_length 0
		.amdhsa_user_sgpr_kernarg_preload_offset 0
		.amdhsa_user_sgpr_private_segment_size 0
		.amdhsa_uses_dynamic_stack 0
		.amdhsa_system_sgpr_private_segment_wavefront_offset 0
		.amdhsa_system_sgpr_workgroup_id_x 1
		.amdhsa_system_sgpr_workgroup_id_y 0
		.amdhsa_system_sgpr_workgroup_id_z 0
		.amdhsa_system_sgpr_workgroup_info 0
		.amdhsa_system_vgpr_workitem_id 0
		.amdhsa_next_free_vgpr 116
		.amdhsa_next_free_sgpr 65
		.amdhsa_accum_offset 116
		.amdhsa_reserve_vcc 1
		.amdhsa_reserve_flat_scratch 0
		.amdhsa_float_round_mode_32 0
		.amdhsa_float_round_mode_16_64 0
		.amdhsa_float_denorm_mode_32 3
		.amdhsa_float_denorm_mode_16_64 3
		.amdhsa_dx10_clamp 1
		.amdhsa_ieee_mode 1
		.amdhsa_fp16_overflow 0
		.amdhsa_tg_split 0
		.amdhsa_exception_fp_ieee_invalid_op 0
		.amdhsa_exception_fp_denorm_src 0
		.amdhsa_exception_fp_ieee_div_zero 0
		.amdhsa_exception_fp_ieee_overflow 0
		.amdhsa_exception_fp_ieee_underflow 0
		.amdhsa_exception_fp_ieee_inexact 0
		.amdhsa_exception_int_div_zero 0
	.end_amdhsa_kernel
	.section	.text._ZN7rocprim17ROCPRIM_400000_NS6detail17trampoline_kernelINS0_14default_configENS1_29reduce_by_key_config_selectorIyyN6thrust23THRUST_200600_302600_NS4plusIyEEEEZZNS1_33reduce_by_key_impl_wrapped_configILNS1_25lookback_scan_determinismE0ES3_S9_NS6_6detail15normal_iteratorINS6_10device_ptrIyEEEESG_SG_SG_PmS8_22is_equal_div_10_reduceIyEEE10hipError_tPvRmT2_T3_mT4_T5_T6_T7_T8_P12ihipStream_tbENKUlT_T0_E_clISt17integral_constantIbLb1EES10_IbLb0EEEEDaSW_SX_EUlSW_E_NS1_11comp_targetILNS1_3genE4ELNS1_11target_archE910ELNS1_3gpuE8ELNS1_3repE0EEENS1_30default_config_static_selectorELNS0_4arch9wavefront6targetE1EEEvT1_,"axG",@progbits,_ZN7rocprim17ROCPRIM_400000_NS6detail17trampoline_kernelINS0_14default_configENS1_29reduce_by_key_config_selectorIyyN6thrust23THRUST_200600_302600_NS4plusIyEEEEZZNS1_33reduce_by_key_impl_wrapped_configILNS1_25lookback_scan_determinismE0ES3_S9_NS6_6detail15normal_iteratorINS6_10device_ptrIyEEEESG_SG_SG_PmS8_22is_equal_div_10_reduceIyEEE10hipError_tPvRmT2_T3_mT4_T5_T6_T7_T8_P12ihipStream_tbENKUlT_T0_E_clISt17integral_constantIbLb1EES10_IbLb0EEEEDaSW_SX_EUlSW_E_NS1_11comp_targetILNS1_3genE4ELNS1_11target_archE910ELNS1_3gpuE8ELNS1_3repE0EEENS1_30default_config_static_selectorELNS0_4arch9wavefront6targetE1EEEvT1_,comdat
.Lfunc_end297:
	.size	_ZN7rocprim17ROCPRIM_400000_NS6detail17trampoline_kernelINS0_14default_configENS1_29reduce_by_key_config_selectorIyyN6thrust23THRUST_200600_302600_NS4plusIyEEEEZZNS1_33reduce_by_key_impl_wrapped_configILNS1_25lookback_scan_determinismE0ES3_S9_NS6_6detail15normal_iteratorINS6_10device_ptrIyEEEESG_SG_SG_PmS8_22is_equal_div_10_reduceIyEEE10hipError_tPvRmT2_T3_mT4_T5_T6_T7_T8_P12ihipStream_tbENKUlT_T0_E_clISt17integral_constantIbLb1EES10_IbLb0EEEEDaSW_SX_EUlSW_E_NS1_11comp_targetILNS1_3genE4ELNS1_11target_archE910ELNS1_3gpuE8ELNS1_3repE0EEENS1_30default_config_static_selectorELNS0_4arch9wavefront6targetE1EEEvT1_, .Lfunc_end297-_ZN7rocprim17ROCPRIM_400000_NS6detail17trampoline_kernelINS0_14default_configENS1_29reduce_by_key_config_selectorIyyN6thrust23THRUST_200600_302600_NS4plusIyEEEEZZNS1_33reduce_by_key_impl_wrapped_configILNS1_25lookback_scan_determinismE0ES3_S9_NS6_6detail15normal_iteratorINS6_10device_ptrIyEEEESG_SG_SG_PmS8_22is_equal_div_10_reduceIyEEE10hipError_tPvRmT2_T3_mT4_T5_T6_T7_T8_P12ihipStream_tbENKUlT_T0_E_clISt17integral_constantIbLb1EES10_IbLb0EEEEDaSW_SX_EUlSW_E_NS1_11comp_targetILNS1_3genE4ELNS1_11target_archE910ELNS1_3gpuE8ELNS1_3repE0EEENS1_30default_config_static_selectorELNS0_4arch9wavefront6targetE1EEEvT1_
                                        ; -- End function
	.section	.AMDGPU.csdata,"",@progbits
; Kernel info:
; codeLenInByte = 18960
; NumSgprs: 69
; NumVgprs: 116
; NumAgprs: 0
; TotalNumVgprs: 116
; ScratchSize: 0
; MemoryBound: 0
; FloatMode: 240
; IeeeMode: 1
; LDSByteSize: 30720 bytes/workgroup (compile time only)
; SGPRBlocks: 8
; VGPRBlocks: 14
; NumSGPRsForWavesPerEU: 69
; NumVGPRsForWavesPerEU: 116
; AccumOffset: 116
; Occupancy: 2
; WaveLimiterHint : 1
; COMPUTE_PGM_RSRC2:SCRATCH_EN: 0
; COMPUTE_PGM_RSRC2:USER_SGPR: 6
; COMPUTE_PGM_RSRC2:TRAP_HANDLER: 0
; COMPUTE_PGM_RSRC2:TGID_X_EN: 1
; COMPUTE_PGM_RSRC2:TGID_Y_EN: 0
; COMPUTE_PGM_RSRC2:TGID_Z_EN: 0
; COMPUTE_PGM_RSRC2:TIDIG_COMP_CNT: 0
; COMPUTE_PGM_RSRC3_GFX90A:ACCUM_OFFSET: 28
; COMPUTE_PGM_RSRC3_GFX90A:TG_SPLIT: 0
	.section	.text._ZN7rocprim17ROCPRIM_400000_NS6detail17trampoline_kernelINS0_14default_configENS1_29reduce_by_key_config_selectorIyyN6thrust23THRUST_200600_302600_NS4plusIyEEEEZZNS1_33reduce_by_key_impl_wrapped_configILNS1_25lookback_scan_determinismE0ES3_S9_NS6_6detail15normal_iteratorINS6_10device_ptrIyEEEESG_SG_SG_PmS8_22is_equal_div_10_reduceIyEEE10hipError_tPvRmT2_T3_mT4_T5_T6_T7_T8_P12ihipStream_tbENKUlT_T0_E_clISt17integral_constantIbLb1EES10_IbLb0EEEEDaSW_SX_EUlSW_E_NS1_11comp_targetILNS1_3genE3ELNS1_11target_archE908ELNS1_3gpuE7ELNS1_3repE0EEENS1_30default_config_static_selectorELNS0_4arch9wavefront6targetE1EEEvT1_,"axG",@progbits,_ZN7rocprim17ROCPRIM_400000_NS6detail17trampoline_kernelINS0_14default_configENS1_29reduce_by_key_config_selectorIyyN6thrust23THRUST_200600_302600_NS4plusIyEEEEZZNS1_33reduce_by_key_impl_wrapped_configILNS1_25lookback_scan_determinismE0ES3_S9_NS6_6detail15normal_iteratorINS6_10device_ptrIyEEEESG_SG_SG_PmS8_22is_equal_div_10_reduceIyEEE10hipError_tPvRmT2_T3_mT4_T5_T6_T7_T8_P12ihipStream_tbENKUlT_T0_E_clISt17integral_constantIbLb1EES10_IbLb0EEEEDaSW_SX_EUlSW_E_NS1_11comp_targetILNS1_3genE3ELNS1_11target_archE908ELNS1_3gpuE7ELNS1_3repE0EEENS1_30default_config_static_selectorELNS0_4arch9wavefront6targetE1EEEvT1_,comdat
	.protected	_ZN7rocprim17ROCPRIM_400000_NS6detail17trampoline_kernelINS0_14default_configENS1_29reduce_by_key_config_selectorIyyN6thrust23THRUST_200600_302600_NS4plusIyEEEEZZNS1_33reduce_by_key_impl_wrapped_configILNS1_25lookback_scan_determinismE0ES3_S9_NS6_6detail15normal_iteratorINS6_10device_ptrIyEEEESG_SG_SG_PmS8_22is_equal_div_10_reduceIyEEE10hipError_tPvRmT2_T3_mT4_T5_T6_T7_T8_P12ihipStream_tbENKUlT_T0_E_clISt17integral_constantIbLb1EES10_IbLb0EEEEDaSW_SX_EUlSW_E_NS1_11comp_targetILNS1_3genE3ELNS1_11target_archE908ELNS1_3gpuE7ELNS1_3repE0EEENS1_30default_config_static_selectorELNS0_4arch9wavefront6targetE1EEEvT1_ ; -- Begin function _ZN7rocprim17ROCPRIM_400000_NS6detail17trampoline_kernelINS0_14default_configENS1_29reduce_by_key_config_selectorIyyN6thrust23THRUST_200600_302600_NS4plusIyEEEEZZNS1_33reduce_by_key_impl_wrapped_configILNS1_25lookback_scan_determinismE0ES3_S9_NS6_6detail15normal_iteratorINS6_10device_ptrIyEEEESG_SG_SG_PmS8_22is_equal_div_10_reduceIyEEE10hipError_tPvRmT2_T3_mT4_T5_T6_T7_T8_P12ihipStream_tbENKUlT_T0_E_clISt17integral_constantIbLb1EES10_IbLb0EEEEDaSW_SX_EUlSW_E_NS1_11comp_targetILNS1_3genE3ELNS1_11target_archE908ELNS1_3gpuE7ELNS1_3repE0EEENS1_30default_config_static_selectorELNS0_4arch9wavefront6targetE1EEEvT1_
	.globl	_ZN7rocprim17ROCPRIM_400000_NS6detail17trampoline_kernelINS0_14default_configENS1_29reduce_by_key_config_selectorIyyN6thrust23THRUST_200600_302600_NS4plusIyEEEEZZNS1_33reduce_by_key_impl_wrapped_configILNS1_25lookback_scan_determinismE0ES3_S9_NS6_6detail15normal_iteratorINS6_10device_ptrIyEEEESG_SG_SG_PmS8_22is_equal_div_10_reduceIyEEE10hipError_tPvRmT2_T3_mT4_T5_T6_T7_T8_P12ihipStream_tbENKUlT_T0_E_clISt17integral_constantIbLb1EES10_IbLb0EEEEDaSW_SX_EUlSW_E_NS1_11comp_targetILNS1_3genE3ELNS1_11target_archE908ELNS1_3gpuE7ELNS1_3repE0EEENS1_30default_config_static_selectorELNS0_4arch9wavefront6targetE1EEEvT1_
	.p2align	8
	.type	_ZN7rocprim17ROCPRIM_400000_NS6detail17trampoline_kernelINS0_14default_configENS1_29reduce_by_key_config_selectorIyyN6thrust23THRUST_200600_302600_NS4plusIyEEEEZZNS1_33reduce_by_key_impl_wrapped_configILNS1_25lookback_scan_determinismE0ES3_S9_NS6_6detail15normal_iteratorINS6_10device_ptrIyEEEESG_SG_SG_PmS8_22is_equal_div_10_reduceIyEEE10hipError_tPvRmT2_T3_mT4_T5_T6_T7_T8_P12ihipStream_tbENKUlT_T0_E_clISt17integral_constantIbLb1EES10_IbLb0EEEEDaSW_SX_EUlSW_E_NS1_11comp_targetILNS1_3genE3ELNS1_11target_archE908ELNS1_3gpuE7ELNS1_3repE0EEENS1_30default_config_static_selectorELNS0_4arch9wavefront6targetE1EEEvT1_,@function
_ZN7rocprim17ROCPRIM_400000_NS6detail17trampoline_kernelINS0_14default_configENS1_29reduce_by_key_config_selectorIyyN6thrust23THRUST_200600_302600_NS4plusIyEEEEZZNS1_33reduce_by_key_impl_wrapped_configILNS1_25lookback_scan_determinismE0ES3_S9_NS6_6detail15normal_iteratorINS6_10device_ptrIyEEEESG_SG_SG_PmS8_22is_equal_div_10_reduceIyEEE10hipError_tPvRmT2_T3_mT4_T5_T6_T7_T8_P12ihipStream_tbENKUlT_T0_E_clISt17integral_constantIbLb1EES10_IbLb0EEEEDaSW_SX_EUlSW_E_NS1_11comp_targetILNS1_3genE3ELNS1_11target_archE908ELNS1_3gpuE7ELNS1_3repE0EEENS1_30default_config_static_selectorELNS0_4arch9wavefront6targetE1EEEvT1_: ; @_ZN7rocprim17ROCPRIM_400000_NS6detail17trampoline_kernelINS0_14default_configENS1_29reduce_by_key_config_selectorIyyN6thrust23THRUST_200600_302600_NS4plusIyEEEEZZNS1_33reduce_by_key_impl_wrapped_configILNS1_25lookback_scan_determinismE0ES3_S9_NS6_6detail15normal_iteratorINS6_10device_ptrIyEEEESG_SG_SG_PmS8_22is_equal_div_10_reduceIyEEE10hipError_tPvRmT2_T3_mT4_T5_T6_T7_T8_P12ihipStream_tbENKUlT_T0_E_clISt17integral_constantIbLb1EES10_IbLb0EEEEDaSW_SX_EUlSW_E_NS1_11comp_targetILNS1_3genE3ELNS1_11target_archE908ELNS1_3gpuE7ELNS1_3repE0EEENS1_30default_config_static_selectorELNS0_4arch9wavefront6targetE1EEEvT1_
; %bb.0:
	.section	.rodata,"a",@progbits
	.p2align	6, 0x0
	.amdhsa_kernel _ZN7rocprim17ROCPRIM_400000_NS6detail17trampoline_kernelINS0_14default_configENS1_29reduce_by_key_config_selectorIyyN6thrust23THRUST_200600_302600_NS4plusIyEEEEZZNS1_33reduce_by_key_impl_wrapped_configILNS1_25lookback_scan_determinismE0ES3_S9_NS6_6detail15normal_iteratorINS6_10device_ptrIyEEEESG_SG_SG_PmS8_22is_equal_div_10_reduceIyEEE10hipError_tPvRmT2_T3_mT4_T5_T6_T7_T8_P12ihipStream_tbENKUlT_T0_E_clISt17integral_constantIbLb1EES10_IbLb0EEEEDaSW_SX_EUlSW_E_NS1_11comp_targetILNS1_3genE3ELNS1_11target_archE908ELNS1_3gpuE7ELNS1_3repE0EEENS1_30default_config_static_selectorELNS0_4arch9wavefront6targetE1EEEvT1_
		.amdhsa_group_segment_fixed_size 0
		.amdhsa_private_segment_fixed_size 0
		.amdhsa_kernarg_size 136
		.amdhsa_user_sgpr_count 6
		.amdhsa_user_sgpr_private_segment_buffer 1
		.amdhsa_user_sgpr_dispatch_ptr 0
		.amdhsa_user_sgpr_queue_ptr 0
		.amdhsa_user_sgpr_kernarg_segment_ptr 1
		.amdhsa_user_sgpr_dispatch_id 0
		.amdhsa_user_sgpr_flat_scratch_init 0
		.amdhsa_user_sgpr_kernarg_preload_length 0
		.amdhsa_user_sgpr_kernarg_preload_offset 0
		.amdhsa_user_sgpr_private_segment_size 0
		.amdhsa_uses_dynamic_stack 0
		.amdhsa_system_sgpr_private_segment_wavefront_offset 0
		.amdhsa_system_sgpr_workgroup_id_x 1
		.amdhsa_system_sgpr_workgroup_id_y 0
		.amdhsa_system_sgpr_workgroup_id_z 0
		.amdhsa_system_sgpr_workgroup_info 0
		.amdhsa_system_vgpr_workitem_id 0
		.amdhsa_next_free_vgpr 1
		.amdhsa_next_free_sgpr 0
		.amdhsa_accum_offset 4
		.amdhsa_reserve_vcc 0
		.amdhsa_reserve_flat_scratch 0
		.amdhsa_float_round_mode_32 0
		.amdhsa_float_round_mode_16_64 0
		.amdhsa_float_denorm_mode_32 3
		.amdhsa_float_denorm_mode_16_64 3
		.amdhsa_dx10_clamp 1
		.amdhsa_ieee_mode 1
		.amdhsa_fp16_overflow 0
		.amdhsa_tg_split 0
		.amdhsa_exception_fp_ieee_invalid_op 0
		.amdhsa_exception_fp_denorm_src 0
		.amdhsa_exception_fp_ieee_div_zero 0
		.amdhsa_exception_fp_ieee_overflow 0
		.amdhsa_exception_fp_ieee_underflow 0
		.amdhsa_exception_fp_ieee_inexact 0
		.amdhsa_exception_int_div_zero 0
	.end_amdhsa_kernel
	.section	.text._ZN7rocprim17ROCPRIM_400000_NS6detail17trampoline_kernelINS0_14default_configENS1_29reduce_by_key_config_selectorIyyN6thrust23THRUST_200600_302600_NS4plusIyEEEEZZNS1_33reduce_by_key_impl_wrapped_configILNS1_25lookback_scan_determinismE0ES3_S9_NS6_6detail15normal_iteratorINS6_10device_ptrIyEEEESG_SG_SG_PmS8_22is_equal_div_10_reduceIyEEE10hipError_tPvRmT2_T3_mT4_T5_T6_T7_T8_P12ihipStream_tbENKUlT_T0_E_clISt17integral_constantIbLb1EES10_IbLb0EEEEDaSW_SX_EUlSW_E_NS1_11comp_targetILNS1_3genE3ELNS1_11target_archE908ELNS1_3gpuE7ELNS1_3repE0EEENS1_30default_config_static_selectorELNS0_4arch9wavefront6targetE1EEEvT1_,"axG",@progbits,_ZN7rocprim17ROCPRIM_400000_NS6detail17trampoline_kernelINS0_14default_configENS1_29reduce_by_key_config_selectorIyyN6thrust23THRUST_200600_302600_NS4plusIyEEEEZZNS1_33reduce_by_key_impl_wrapped_configILNS1_25lookback_scan_determinismE0ES3_S9_NS6_6detail15normal_iteratorINS6_10device_ptrIyEEEESG_SG_SG_PmS8_22is_equal_div_10_reduceIyEEE10hipError_tPvRmT2_T3_mT4_T5_T6_T7_T8_P12ihipStream_tbENKUlT_T0_E_clISt17integral_constantIbLb1EES10_IbLb0EEEEDaSW_SX_EUlSW_E_NS1_11comp_targetILNS1_3genE3ELNS1_11target_archE908ELNS1_3gpuE7ELNS1_3repE0EEENS1_30default_config_static_selectorELNS0_4arch9wavefront6targetE1EEEvT1_,comdat
.Lfunc_end298:
	.size	_ZN7rocprim17ROCPRIM_400000_NS6detail17trampoline_kernelINS0_14default_configENS1_29reduce_by_key_config_selectorIyyN6thrust23THRUST_200600_302600_NS4plusIyEEEEZZNS1_33reduce_by_key_impl_wrapped_configILNS1_25lookback_scan_determinismE0ES3_S9_NS6_6detail15normal_iteratorINS6_10device_ptrIyEEEESG_SG_SG_PmS8_22is_equal_div_10_reduceIyEEE10hipError_tPvRmT2_T3_mT4_T5_T6_T7_T8_P12ihipStream_tbENKUlT_T0_E_clISt17integral_constantIbLb1EES10_IbLb0EEEEDaSW_SX_EUlSW_E_NS1_11comp_targetILNS1_3genE3ELNS1_11target_archE908ELNS1_3gpuE7ELNS1_3repE0EEENS1_30default_config_static_selectorELNS0_4arch9wavefront6targetE1EEEvT1_, .Lfunc_end298-_ZN7rocprim17ROCPRIM_400000_NS6detail17trampoline_kernelINS0_14default_configENS1_29reduce_by_key_config_selectorIyyN6thrust23THRUST_200600_302600_NS4plusIyEEEEZZNS1_33reduce_by_key_impl_wrapped_configILNS1_25lookback_scan_determinismE0ES3_S9_NS6_6detail15normal_iteratorINS6_10device_ptrIyEEEESG_SG_SG_PmS8_22is_equal_div_10_reduceIyEEE10hipError_tPvRmT2_T3_mT4_T5_T6_T7_T8_P12ihipStream_tbENKUlT_T0_E_clISt17integral_constantIbLb1EES10_IbLb0EEEEDaSW_SX_EUlSW_E_NS1_11comp_targetILNS1_3genE3ELNS1_11target_archE908ELNS1_3gpuE7ELNS1_3repE0EEENS1_30default_config_static_selectorELNS0_4arch9wavefront6targetE1EEEvT1_
                                        ; -- End function
	.section	.AMDGPU.csdata,"",@progbits
; Kernel info:
; codeLenInByte = 0
; NumSgprs: 4
; NumVgprs: 0
; NumAgprs: 0
; TotalNumVgprs: 0
; ScratchSize: 0
; MemoryBound: 0
; FloatMode: 240
; IeeeMode: 1
; LDSByteSize: 0 bytes/workgroup (compile time only)
; SGPRBlocks: 0
; VGPRBlocks: 0
; NumSGPRsForWavesPerEU: 4
; NumVGPRsForWavesPerEU: 1
; AccumOffset: 4
; Occupancy: 8
; WaveLimiterHint : 0
; COMPUTE_PGM_RSRC2:SCRATCH_EN: 0
; COMPUTE_PGM_RSRC2:USER_SGPR: 6
; COMPUTE_PGM_RSRC2:TRAP_HANDLER: 0
; COMPUTE_PGM_RSRC2:TGID_X_EN: 1
; COMPUTE_PGM_RSRC2:TGID_Y_EN: 0
; COMPUTE_PGM_RSRC2:TGID_Z_EN: 0
; COMPUTE_PGM_RSRC2:TIDIG_COMP_CNT: 0
; COMPUTE_PGM_RSRC3_GFX90A:ACCUM_OFFSET: 0
; COMPUTE_PGM_RSRC3_GFX90A:TG_SPLIT: 0
	.section	.text._ZN7rocprim17ROCPRIM_400000_NS6detail17trampoline_kernelINS0_14default_configENS1_29reduce_by_key_config_selectorIyyN6thrust23THRUST_200600_302600_NS4plusIyEEEEZZNS1_33reduce_by_key_impl_wrapped_configILNS1_25lookback_scan_determinismE0ES3_S9_NS6_6detail15normal_iteratorINS6_10device_ptrIyEEEESG_SG_SG_PmS8_22is_equal_div_10_reduceIyEEE10hipError_tPvRmT2_T3_mT4_T5_T6_T7_T8_P12ihipStream_tbENKUlT_T0_E_clISt17integral_constantIbLb1EES10_IbLb0EEEEDaSW_SX_EUlSW_E_NS1_11comp_targetILNS1_3genE2ELNS1_11target_archE906ELNS1_3gpuE6ELNS1_3repE0EEENS1_30default_config_static_selectorELNS0_4arch9wavefront6targetE1EEEvT1_,"axG",@progbits,_ZN7rocprim17ROCPRIM_400000_NS6detail17trampoline_kernelINS0_14default_configENS1_29reduce_by_key_config_selectorIyyN6thrust23THRUST_200600_302600_NS4plusIyEEEEZZNS1_33reduce_by_key_impl_wrapped_configILNS1_25lookback_scan_determinismE0ES3_S9_NS6_6detail15normal_iteratorINS6_10device_ptrIyEEEESG_SG_SG_PmS8_22is_equal_div_10_reduceIyEEE10hipError_tPvRmT2_T3_mT4_T5_T6_T7_T8_P12ihipStream_tbENKUlT_T0_E_clISt17integral_constantIbLb1EES10_IbLb0EEEEDaSW_SX_EUlSW_E_NS1_11comp_targetILNS1_3genE2ELNS1_11target_archE906ELNS1_3gpuE6ELNS1_3repE0EEENS1_30default_config_static_selectorELNS0_4arch9wavefront6targetE1EEEvT1_,comdat
	.protected	_ZN7rocprim17ROCPRIM_400000_NS6detail17trampoline_kernelINS0_14default_configENS1_29reduce_by_key_config_selectorIyyN6thrust23THRUST_200600_302600_NS4plusIyEEEEZZNS1_33reduce_by_key_impl_wrapped_configILNS1_25lookback_scan_determinismE0ES3_S9_NS6_6detail15normal_iteratorINS6_10device_ptrIyEEEESG_SG_SG_PmS8_22is_equal_div_10_reduceIyEEE10hipError_tPvRmT2_T3_mT4_T5_T6_T7_T8_P12ihipStream_tbENKUlT_T0_E_clISt17integral_constantIbLb1EES10_IbLb0EEEEDaSW_SX_EUlSW_E_NS1_11comp_targetILNS1_3genE2ELNS1_11target_archE906ELNS1_3gpuE6ELNS1_3repE0EEENS1_30default_config_static_selectorELNS0_4arch9wavefront6targetE1EEEvT1_ ; -- Begin function _ZN7rocprim17ROCPRIM_400000_NS6detail17trampoline_kernelINS0_14default_configENS1_29reduce_by_key_config_selectorIyyN6thrust23THRUST_200600_302600_NS4plusIyEEEEZZNS1_33reduce_by_key_impl_wrapped_configILNS1_25lookback_scan_determinismE0ES3_S9_NS6_6detail15normal_iteratorINS6_10device_ptrIyEEEESG_SG_SG_PmS8_22is_equal_div_10_reduceIyEEE10hipError_tPvRmT2_T3_mT4_T5_T6_T7_T8_P12ihipStream_tbENKUlT_T0_E_clISt17integral_constantIbLb1EES10_IbLb0EEEEDaSW_SX_EUlSW_E_NS1_11comp_targetILNS1_3genE2ELNS1_11target_archE906ELNS1_3gpuE6ELNS1_3repE0EEENS1_30default_config_static_selectorELNS0_4arch9wavefront6targetE1EEEvT1_
	.globl	_ZN7rocprim17ROCPRIM_400000_NS6detail17trampoline_kernelINS0_14default_configENS1_29reduce_by_key_config_selectorIyyN6thrust23THRUST_200600_302600_NS4plusIyEEEEZZNS1_33reduce_by_key_impl_wrapped_configILNS1_25lookback_scan_determinismE0ES3_S9_NS6_6detail15normal_iteratorINS6_10device_ptrIyEEEESG_SG_SG_PmS8_22is_equal_div_10_reduceIyEEE10hipError_tPvRmT2_T3_mT4_T5_T6_T7_T8_P12ihipStream_tbENKUlT_T0_E_clISt17integral_constantIbLb1EES10_IbLb0EEEEDaSW_SX_EUlSW_E_NS1_11comp_targetILNS1_3genE2ELNS1_11target_archE906ELNS1_3gpuE6ELNS1_3repE0EEENS1_30default_config_static_selectorELNS0_4arch9wavefront6targetE1EEEvT1_
	.p2align	8
	.type	_ZN7rocprim17ROCPRIM_400000_NS6detail17trampoline_kernelINS0_14default_configENS1_29reduce_by_key_config_selectorIyyN6thrust23THRUST_200600_302600_NS4plusIyEEEEZZNS1_33reduce_by_key_impl_wrapped_configILNS1_25lookback_scan_determinismE0ES3_S9_NS6_6detail15normal_iteratorINS6_10device_ptrIyEEEESG_SG_SG_PmS8_22is_equal_div_10_reduceIyEEE10hipError_tPvRmT2_T3_mT4_T5_T6_T7_T8_P12ihipStream_tbENKUlT_T0_E_clISt17integral_constantIbLb1EES10_IbLb0EEEEDaSW_SX_EUlSW_E_NS1_11comp_targetILNS1_3genE2ELNS1_11target_archE906ELNS1_3gpuE6ELNS1_3repE0EEENS1_30default_config_static_selectorELNS0_4arch9wavefront6targetE1EEEvT1_,@function
_ZN7rocprim17ROCPRIM_400000_NS6detail17trampoline_kernelINS0_14default_configENS1_29reduce_by_key_config_selectorIyyN6thrust23THRUST_200600_302600_NS4plusIyEEEEZZNS1_33reduce_by_key_impl_wrapped_configILNS1_25lookback_scan_determinismE0ES3_S9_NS6_6detail15normal_iteratorINS6_10device_ptrIyEEEESG_SG_SG_PmS8_22is_equal_div_10_reduceIyEEE10hipError_tPvRmT2_T3_mT4_T5_T6_T7_T8_P12ihipStream_tbENKUlT_T0_E_clISt17integral_constantIbLb1EES10_IbLb0EEEEDaSW_SX_EUlSW_E_NS1_11comp_targetILNS1_3genE2ELNS1_11target_archE906ELNS1_3gpuE6ELNS1_3repE0EEENS1_30default_config_static_selectorELNS0_4arch9wavefront6targetE1EEEvT1_: ; @_ZN7rocprim17ROCPRIM_400000_NS6detail17trampoline_kernelINS0_14default_configENS1_29reduce_by_key_config_selectorIyyN6thrust23THRUST_200600_302600_NS4plusIyEEEEZZNS1_33reduce_by_key_impl_wrapped_configILNS1_25lookback_scan_determinismE0ES3_S9_NS6_6detail15normal_iteratorINS6_10device_ptrIyEEEESG_SG_SG_PmS8_22is_equal_div_10_reduceIyEEE10hipError_tPvRmT2_T3_mT4_T5_T6_T7_T8_P12ihipStream_tbENKUlT_T0_E_clISt17integral_constantIbLb1EES10_IbLb0EEEEDaSW_SX_EUlSW_E_NS1_11comp_targetILNS1_3genE2ELNS1_11target_archE906ELNS1_3gpuE6ELNS1_3repE0EEENS1_30default_config_static_selectorELNS0_4arch9wavefront6targetE1EEEvT1_
; %bb.0:
	.section	.rodata,"a",@progbits
	.p2align	6, 0x0
	.amdhsa_kernel _ZN7rocprim17ROCPRIM_400000_NS6detail17trampoline_kernelINS0_14default_configENS1_29reduce_by_key_config_selectorIyyN6thrust23THRUST_200600_302600_NS4plusIyEEEEZZNS1_33reduce_by_key_impl_wrapped_configILNS1_25lookback_scan_determinismE0ES3_S9_NS6_6detail15normal_iteratorINS6_10device_ptrIyEEEESG_SG_SG_PmS8_22is_equal_div_10_reduceIyEEE10hipError_tPvRmT2_T3_mT4_T5_T6_T7_T8_P12ihipStream_tbENKUlT_T0_E_clISt17integral_constantIbLb1EES10_IbLb0EEEEDaSW_SX_EUlSW_E_NS1_11comp_targetILNS1_3genE2ELNS1_11target_archE906ELNS1_3gpuE6ELNS1_3repE0EEENS1_30default_config_static_selectorELNS0_4arch9wavefront6targetE1EEEvT1_
		.amdhsa_group_segment_fixed_size 0
		.amdhsa_private_segment_fixed_size 0
		.amdhsa_kernarg_size 136
		.amdhsa_user_sgpr_count 6
		.amdhsa_user_sgpr_private_segment_buffer 1
		.amdhsa_user_sgpr_dispatch_ptr 0
		.amdhsa_user_sgpr_queue_ptr 0
		.amdhsa_user_sgpr_kernarg_segment_ptr 1
		.amdhsa_user_sgpr_dispatch_id 0
		.amdhsa_user_sgpr_flat_scratch_init 0
		.amdhsa_user_sgpr_kernarg_preload_length 0
		.amdhsa_user_sgpr_kernarg_preload_offset 0
		.amdhsa_user_sgpr_private_segment_size 0
		.amdhsa_uses_dynamic_stack 0
		.amdhsa_system_sgpr_private_segment_wavefront_offset 0
		.amdhsa_system_sgpr_workgroup_id_x 1
		.amdhsa_system_sgpr_workgroup_id_y 0
		.amdhsa_system_sgpr_workgroup_id_z 0
		.amdhsa_system_sgpr_workgroup_info 0
		.amdhsa_system_vgpr_workitem_id 0
		.amdhsa_next_free_vgpr 1
		.amdhsa_next_free_sgpr 0
		.amdhsa_accum_offset 4
		.amdhsa_reserve_vcc 0
		.amdhsa_reserve_flat_scratch 0
		.amdhsa_float_round_mode_32 0
		.amdhsa_float_round_mode_16_64 0
		.amdhsa_float_denorm_mode_32 3
		.amdhsa_float_denorm_mode_16_64 3
		.amdhsa_dx10_clamp 1
		.amdhsa_ieee_mode 1
		.amdhsa_fp16_overflow 0
		.amdhsa_tg_split 0
		.amdhsa_exception_fp_ieee_invalid_op 0
		.amdhsa_exception_fp_denorm_src 0
		.amdhsa_exception_fp_ieee_div_zero 0
		.amdhsa_exception_fp_ieee_overflow 0
		.amdhsa_exception_fp_ieee_underflow 0
		.amdhsa_exception_fp_ieee_inexact 0
		.amdhsa_exception_int_div_zero 0
	.end_amdhsa_kernel
	.section	.text._ZN7rocprim17ROCPRIM_400000_NS6detail17trampoline_kernelINS0_14default_configENS1_29reduce_by_key_config_selectorIyyN6thrust23THRUST_200600_302600_NS4plusIyEEEEZZNS1_33reduce_by_key_impl_wrapped_configILNS1_25lookback_scan_determinismE0ES3_S9_NS6_6detail15normal_iteratorINS6_10device_ptrIyEEEESG_SG_SG_PmS8_22is_equal_div_10_reduceIyEEE10hipError_tPvRmT2_T3_mT4_T5_T6_T7_T8_P12ihipStream_tbENKUlT_T0_E_clISt17integral_constantIbLb1EES10_IbLb0EEEEDaSW_SX_EUlSW_E_NS1_11comp_targetILNS1_3genE2ELNS1_11target_archE906ELNS1_3gpuE6ELNS1_3repE0EEENS1_30default_config_static_selectorELNS0_4arch9wavefront6targetE1EEEvT1_,"axG",@progbits,_ZN7rocprim17ROCPRIM_400000_NS6detail17trampoline_kernelINS0_14default_configENS1_29reduce_by_key_config_selectorIyyN6thrust23THRUST_200600_302600_NS4plusIyEEEEZZNS1_33reduce_by_key_impl_wrapped_configILNS1_25lookback_scan_determinismE0ES3_S9_NS6_6detail15normal_iteratorINS6_10device_ptrIyEEEESG_SG_SG_PmS8_22is_equal_div_10_reduceIyEEE10hipError_tPvRmT2_T3_mT4_T5_T6_T7_T8_P12ihipStream_tbENKUlT_T0_E_clISt17integral_constantIbLb1EES10_IbLb0EEEEDaSW_SX_EUlSW_E_NS1_11comp_targetILNS1_3genE2ELNS1_11target_archE906ELNS1_3gpuE6ELNS1_3repE0EEENS1_30default_config_static_selectorELNS0_4arch9wavefront6targetE1EEEvT1_,comdat
.Lfunc_end299:
	.size	_ZN7rocprim17ROCPRIM_400000_NS6detail17trampoline_kernelINS0_14default_configENS1_29reduce_by_key_config_selectorIyyN6thrust23THRUST_200600_302600_NS4plusIyEEEEZZNS1_33reduce_by_key_impl_wrapped_configILNS1_25lookback_scan_determinismE0ES3_S9_NS6_6detail15normal_iteratorINS6_10device_ptrIyEEEESG_SG_SG_PmS8_22is_equal_div_10_reduceIyEEE10hipError_tPvRmT2_T3_mT4_T5_T6_T7_T8_P12ihipStream_tbENKUlT_T0_E_clISt17integral_constantIbLb1EES10_IbLb0EEEEDaSW_SX_EUlSW_E_NS1_11comp_targetILNS1_3genE2ELNS1_11target_archE906ELNS1_3gpuE6ELNS1_3repE0EEENS1_30default_config_static_selectorELNS0_4arch9wavefront6targetE1EEEvT1_, .Lfunc_end299-_ZN7rocprim17ROCPRIM_400000_NS6detail17trampoline_kernelINS0_14default_configENS1_29reduce_by_key_config_selectorIyyN6thrust23THRUST_200600_302600_NS4plusIyEEEEZZNS1_33reduce_by_key_impl_wrapped_configILNS1_25lookback_scan_determinismE0ES3_S9_NS6_6detail15normal_iteratorINS6_10device_ptrIyEEEESG_SG_SG_PmS8_22is_equal_div_10_reduceIyEEE10hipError_tPvRmT2_T3_mT4_T5_T6_T7_T8_P12ihipStream_tbENKUlT_T0_E_clISt17integral_constantIbLb1EES10_IbLb0EEEEDaSW_SX_EUlSW_E_NS1_11comp_targetILNS1_3genE2ELNS1_11target_archE906ELNS1_3gpuE6ELNS1_3repE0EEENS1_30default_config_static_selectorELNS0_4arch9wavefront6targetE1EEEvT1_
                                        ; -- End function
	.section	.AMDGPU.csdata,"",@progbits
; Kernel info:
; codeLenInByte = 0
; NumSgprs: 4
; NumVgprs: 0
; NumAgprs: 0
; TotalNumVgprs: 0
; ScratchSize: 0
; MemoryBound: 0
; FloatMode: 240
; IeeeMode: 1
; LDSByteSize: 0 bytes/workgroup (compile time only)
; SGPRBlocks: 0
; VGPRBlocks: 0
; NumSGPRsForWavesPerEU: 4
; NumVGPRsForWavesPerEU: 1
; AccumOffset: 4
; Occupancy: 8
; WaveLimiterHint : 0
; COMPUTE_PGM_RSRC2:SCRATCH_EN: 0
; COMPUTE_PGM_RSRC2:USER_SGPR: 6
; COMPUTE_PGM_RSRC2:TRAP_HANDLER: 0
; COMPUTE_PGM_RSRC2:TGID_X_EN: 1
; COMPUTE_PGM_RSRC2:TGID_Y_EN: 0
; COMPUTE_PGM_RSRC2:TGID_Z_EN: 0
; COMPUTE_PGM_RSRC2:TIDIG_COMP_CNT: 0
; COMPUTE_PGM_RSRC3_GFX90A:ACCUM_OFFSET: 0
; COMPUTE_PGM_RSRC3_GFX90A:TG_SPLIT: 0
	.section	.text._ZN7rocprim17ROCPRIM_400000_NS6detail17trampoline_kernelINS0_14default_configENS1_29reduce_by_key_config_selectorIyyN6thrust23THRUST_200600_302600_NS4plusIyEEEEZZNS1_33reduce_by_key_impl_wrapped_configILNS1_25lookback_scan_determinismE0ES3_S9_NS6_6detail15normal_iteratorINS6_10device_ptrIyEEEESG_SG_SG_PmS8_22is_equal_div_10_reduceIyEEE10hipError_tPvRmT2_T3_mT4_T5_T6_T7_T8_P12ihipStream_tbENKUlT_T0_E_clISt17integral_constantIbLb1EES10_IbLb0EEEEDaSW_SX_EUlSW_E_NS1_11comp_targetILNS1_3genE10ELNS1_11target_archE1201ELNS1_3gpuE5ELNS1_3repE0EEENS1_30default_config_static_selectorELNS0_4arch9wavefront6targetE1EEEvT1_,"axG",@progbits,_ZN7rocprim17ROCPRIM_400000_NS6detail17trampoline_kernelINS0_14default_configENS1_29reduce_by_key_config_selectorIyyN6thrust23THRUST_200600_302600_NS4plusIyEEEEZZNS1_33reduce_by_key_impl_wrapped_configILNS1_25lookback_scan_determinismE0ES3_S9_NS6_6detail15normal_iteratorINS6_10device_ptrIyEEEESG_SG_SG_PmS8_22is_equal_div_10_reduceIyEEE10hipError_tPvRmT2_T3_mT4_T5_T6_T7_T8_P12ihipStream_tbENKUlT_T0_E_clISt17integral_constantIbLb1EES10_IbLb0EEEEDaSW_SX_EUlSW_E_NS1_11comp_targetILNS1_3genE10ELNS1_11target_archE1201ELNS1_3gpuE5ELNS1_3repE0EEENS1_30default_config_static_selectorELNS0_4arch9wavefront6targetE1EEEvT1_,comdat
	.protected	_ZN7rocprim17ROCPRIM_400000_NS6detail17trampoline_kernelINS0_14default_configENS1_29reduce_by_key_config_selectorIyyN6thrust23THRUST_200600_302600_NS4plusIyEEEEZZNS1_33reduce_by_key_impl_wrapped_configILNS1_25lookback_scan_determinismE0ES3_S9_NS6_6detail15normal_iteratorINS6_10device_ptrIyEEEESG_SG_SG_PmS8_22is_equal_div_10_reduceIyEEE10hipError_tPvRmT2_T3_mT4_T5_T6_T7_T8_P12ihipStream_tbENKUlT_T0_E_clISt17integral_constantIbLb1EES10_IbLb0EEEEDaSW_SX_EUlSW_E_NS1_11comp_targetILNS1_3genE10ELNS1_11target_archE1201ELNS1_3gpuE5ELNS1_3repE0EEENS1_30default_config_static_selectorELNS0_4arch9wavefront6targetE1EEEvT1_ ; -- Begin function _ZN7rocprim17ROCPRIM_400000_NS6detail17trampoline_kernelINS0_14default_configENS1_29reduce_by_key_config_selectorIyyN6thrust23THRUST_200600_302600_NS4plusIyEEEEZZNS1_33reduce_by_key_impl_wrapped_configILNS1_25lookback_scan_determinismE0ES3_S9_NS6_6detail15normal_iteratorINS6_10device_ptrIyEEEESG_SG_SG_PmS8_22is_equal_div_10_reduceIyEEE10hipError_tPvRmT2_T3_mT4_T5_T6_T7_T8_P12ihipStream_tbENKUlT_T0_E_clISt17integral_constantIbLb1EES10_IbLb0EEEEDaSW_SX_EUlSW_E_NS1_11comp_targetILNS1_3genE10ELNS1_11target_archE1201ELNS1_3gpuE5ELNS1_3repE0EEENS1_30default_config_static_selectorELNS0_4arch9wavefront6targetE1EEEvT1_
	.globl	_ZN7rocprim17ROCPRIM_400000_NS6detail17trampoline_kernelINS0_14default_configENS1_29reduce_by_key_config_selectorIyyN6thrust23THRUST_200600_302600_NS4plusIyEEEEZZNS1_33reduce_by_key_impl_wrapped_configILNS1_25lookback_scan_determinismE0ES3_S9_NS6_6detail15normal_iteratorINS6_10device_ptrIyEEEESG_SG_SG_PmS8_22is_equal_div_10_reduceIyEEE10hipError_tPvRmT2_T3_mT4_T5_T6_T7_T8_P12ihipStream_tbENKUlT_T0_E_clISt17integral_constantIbLb1EES10_IbLb0EEEEDaSW_SX_EUlSW_E_NS1_11comp_targetILNS1_3genE10ELNS1_11target_archE1201ELNS1_3gpuE5ELNS1_3repE0EEENS1_30default_config_static_selectorELNS0_4arch9wavefront6targetE1EEEvT1_
	.p2align	8
	.type	_ZN7rocprim17ROCPRIM_400000_NS6detail17trampoline_kernelINS0_14default_configENS1_29reduce_by_key_config_selectorIyyN6thrust23THRUST_200600_302600_NS4plusIyEEEEZZNS1_33reduce_by_key_impl_wrapped_configILNS1_25lookback_scan_determinismE0ES3_S9_NS6_6detail15normal_iteratorINS6_10device_ptrIyEEEESG_SG_SG_PmS8_22is_equal_div_10_reduceIyEEE10hipError_tPvRmT2_T3_mT4_T5_T6_T7_T8_P12ihipStream_tbENKUlT_T0_E_clISt17integral_constantIbLb1EES10_IbLb0EEEEDaSW_SX_EUlSW_E_NS1_11comp_targetILNS1_3genE10ELNS1_11target_archE1201ELNS1_3gpuE5ELNS1_3repE0EEENS1_30default_config_static_selectorELNS0_4arch9wavefront6targetE1EEEvT1_,@function
_ZN7rocprim17ROCPRIM_400000_NS6detail17trampoline_kernelINS0_14default_configENS1_29reduce_by_key_config_selectorIyyN6thrust23THRUST_200600_302600_NS4plusIyEEEEZZNS1_33reduce_by_key_impl_wrapped_configILNS1_25lookback_scan_determinismE0ES3_S9_NS6_6detail15normal_iteratorINS6_10device_ptrIyEEEESG_SG_SG_PmS8_22is_equal_div_10_reduceIyEEE10hipError_tPvRmT2_T3_mT4_T5_T6_T7_T8_P12ihipStream_tbENKUlT_T0_E_clISt17integral_constantIbLb1EES10_IbLb0EEEEDaSW_SX_EUlSW_E_NS1_11comp_targetILNS1_3genE10ELNS1_11target_archE1201ELNS1_3gpuE5ELNS1_3repE0EEENS1_30default_config_static_selectorELNS0_4arch9wavefront6targetE1EEEvT1_: ; @_ZN7rocprim17ROCPRIM_400000_NS6detail17trampoline_kernelINS0_14default_configENS1_29reduce_by_key_config_selectorIyyN6thrust23THRUST_200600_302600_NS4plusIyEEEEZZNS1_33reduce_by_key_impl_wrapped_configILNS1_25lookback_scan_determinismE0ES3_S9_NS6_6detail15normal_iteratorINS6_10device_ptrIyEEEESG_SG_SG_PmS8_22is_equal_div_10_reduceIyEEE10hipError_tPvRmT2_T3_mT4_T5_T6_T7_T8_P12ihipStream_tbENKUlT_T0_E_clISt17integral_constantIbLb1EES10_IbLb0EEEEDaSW_SX_EUlSW_E_NS1_11comp_targetILNS1_3genE10ELNS1_11target_archE1201ELNS1_3gpuE5ELNS1_3repE0EEENS1_30default_config_static_selectorELNS0_4arch9wavefront6targetE1EEEvT1_
; %bb.0:
	.section	.rodata,"a",@progbits
	.p2align	6, 0x0
	.amdhsa_kernel _ZN7rocprim17ROCPRIM_400000_NS6detail17trampoline_kernelINS0_14default_configENS1_29reduce_by_key_config_selectorIyyN6thrust23THRUST_200600_302600_NS4plusIyEEEEZZNS1_33reduce_by_key_impl_wrapped_configILNS1_25lookback_scan_determinismE0ES3_S9_NS6_6detail15normal_iteratorINS6_10device_ptrIyEEEESG_SG_SG_PmS8_22is_equal_div_10_reduceIyEEE10hipError_tPvRmT2_T3_mT4_T5_T6_T7_T8_P12ihipStream_tbENKUlT_T0_E_clISt17integral_constantIbLb1EES10_IbLb0EEEEDaSW_SX_EUlSW_E_NS1_11comp_targetILNS1_3genE10ELNS1_11target_archE1201ELNS1_3gpuE5ELNS1_3repE0EEENS1_30default_config_static_selectorELNS0_4arch9wavefront6targetE1EEEvT1_
		.amdhsa_group_segment_fixed_size 0
		.amdhsa_private_segment_fixed_size 0
		.amdhsa_kernarg_size 136
		.amdhsa_user_sgpr_count 6
		.amdhsa_user_sgpr_private_segment_buffer 1
		.amdhsa_user_sgpr_dispatch_ptr 0
		.amdhsa_user_sgpr_queue_ptr 0
		.amdhsa_user_sgpr_kernarg_segment_ptr 1
		.amdhsa_user_sgpr_dispatch_id 0
		.amdhsa_user_sgpr_flat_scratch_init 0
		.amdhsa_user_sgpr_kernarg_preload_length 0
		.amdhsa_user_sgpr_kernarg_preload_offset 0
		.amdhsa_user_sgpr_private_segment_size 0
		.amdhsa_uses_dynamic_stack 0
		.amdhsa_system_sgpr_private_segment_wavefront_offset 0
		.amdhsa_system_sgpr_workgroup_id_x 1
		.amdhsa_system_sgpr_workgroup_id_y 0
		.amdhsa_system_sgpr_workgroup_id_z 0
		.amdhsa_system_sgpr_workgroup_info 0
		.amdhsa_system_vgpr_workitem_id 0
		.amdhsa_next_free_vgpr 1
		.amdhsa_next_free_sgpr 0
		.amdhsa_accum_offset 4
		.amdhsa_reserve_vcc 0
		.amdhsa_reserve_flat_scratch 0
		.amdhsa_float_round_mode_32 0
		.amdhsa_float_round_mode_16_64 0
		.amdhsa_float_denorm_mode_32 3
		.amdhsa_float_denorm_mode_16_64 3
		.amdhsa_dx10_clamp 1
		.amdhsa_ieee_mode 1
		.amdhsa_fp16_overflow 0
		.amdhsa_tg_split 0
		.amdhsa_exception_fp_ieee_invalid_op 0
		.amdhsa_exception_fp_denorm_src 0
		.amdhsa_exception_fp_ieee_div_zero 0
		.amdhsa_exception_fp_ieee_overflow 0
		.amdhsa_exception_fp_ieee_underflow 0
		.amdhsa_exception_fp_ieee_inexact 0
		.amdhsa_exception_int_div_zero 0
	.end_amdhsa_kernel
	.section	.text._ZN7rocprim17ROCPRIM_400000_NS6detail17trampoline_kernelINS0_14default_configENS1_29reduce_by_key_config_selectorIyyN6thrust23THRUST_200600_302600_NS4plusIyEEEEZZNS1_33reduce_by_key_impl_wrapped_configILNS1_25lookback_scan_determinismE0ES3_S9_NS6_6detail15normal_iteratorINS6_10device_ptrIyEEEESG_SG_SG_PmS8_22is_equal_div_10_reduceIyEEE10hipError_tPvRmT2_T3_mT4_T5_T6_T7_T8_P12ihipStream_tbENKUlT_T0_E_clISt17integral_constantIbLb1EES10_IbLb0EEEEDaSW_SX_EUlSW_E_NS1_11comp_targetILNS1_3genE10ELNS1_11target_archE1201ELNS1_3gpuE5ELNS1_3repE0EEENS1_30default_config_static_selectorELNS0_4arch9wavefront6targetE1EEEvT1_,"axG",@progbits,_ZN7rocprim17ROCPRIM_400000_NS6detail17trampoline_kernelINS0_14default_configENS1_29reduce_by_key_config_selectorIyyN6thrust23THRUST_200600_302600_NS4plusIyEEEEZZNS1_33reduce_by_key_impl_wrapped_configILNS1_25lookback_scan_determinismE0ES3_S9_NS6_6detail15normal_iteratorINS6_10device_ptrIyEEEESG_SG_SG_PmS8_22is_equal_div_10_reduceIyEEE10hipError_tPvRmT2_T3_mT4_T5_T6_T7_T8_P12ihipStream_tbENKUlT_T0_E_clISt17integral_constantIbLb1EES10_IbLb0EEEEDaSW_SX_EUlSW_E_NS1_11comp_targetILNS1_3genE10ELNS1_11target_archE1201ELNS1_3gpuE5ELNS1_3repE0EEENS1_30default_config_static_selectorELNS0_4arch9wavefront6targetE1EEEvT1_,comdat
.Lfunc_end300:
	.size	_ZN7rocprim17ROCPRIM_400000_NS6detail17trampoline_kernelINS0_14default_configENS1_29reduce_by_key_config_selectorIyyN6thrust23THRUST_200600_302600_NS4plusIyEEEEZZNS1_33reduce_by_key_impl_wrapped_configILNS1_25lookback_scan_determinismE0ES3_S9_NS6_6detail15normal_iteratorINS6_10device_ptrIyEEEESG_SG_SG_PmS8_22is_equal_div_10_reduceIyEEE10hipError_tPvRmT2_T3_mT4_T5_T6_T7_T8_P12ihipStream_tbENKUlT_T0_E_clISt17integral_constantIbLb1EES10_IbLb0EEEEDaSW_SX_EUlSW_E_NS1_11comp_targetILNS1_3genE10ELNS1_11target_archE1201ELNS1_3gpuE5ELNS1_3repE0EEENS1_30default_config_static_selectorELNS0_4arch9wavefront6targetE1EEEvT1_, .Lfunc_end300-_ZN7rocprim17ROCPRIM_400000_NS6detail17trampoline_kernelINS0_14default_configENS1_29reduce_by_key_config_selectorIyyN6thrust23THRUST_200600_302600_NS4plusIyEEEEZZNS1_33reduce_by_key_impl_wrapped_configILNS1_25lookback_scan_determinismE0ES3_S9_NS6_6detail15normal_iteratorINS6_10device_ptrIyEEEESG_SG_SG_PmS8_22is_equal_div_10_reduceIyEEE10hipError_tPvRmT2_T3_mT4_T5_T6_T7_T8_P12ihipStream_tbENKUlT_T0_E_clISt17integral_constantIbLb1EES10_IbLb0EEEEDaSW_SX_EUlSW_E_NS1_11comp_targetILNS1_3genE10ELNS1_11target_archE1201ELNS1_3gpuE5ELNS1_3repE0EEENS1_30default_config_static_selectorELNS0_4arch9wavefront6targetE1EEEvT1_
                                        ; -- End function
	.section	.AMDGPU.csdata,"",@progbits
; Kernel info:
; codeLenInByte = 0
; NumSgprs: 4
; NumVgprs: 0
; NumAgprs: 0
; TotalNumVgprs: 0
; ScratchSize: 0
; MemoryBound: 0
; FloatMode: 240
; IeeeMode: 1
; LDSByteSize: 0 bytes/workgroup (compile time only)
; SGPRBlocks: 0
; VGPRBlocks: 0
; NumSGPRsForWavesPerEU: 4
; NumVGPRsForWavesPerEU: 1
; AccumOffset: 4
; Occupancy: 8
; WaveLimiterHint : 0
; COMPUTE_PGM_RSRC2:SCRATCH_EN: 0
; COMPUTE_PGM_RSRC2:USER_SGPR: 6
; COMPUTE_PGM_RSRC2:TRAP_HANDLER: 0
; COMPUTE_PGM_RSRC2:TGID_X_EN: 1
; COMPUTE_PGM_RSRC2:TGID_Y_EN: 0
; COMPUTE_PGM_RSRC2:TGID_Z_EN: 0
; COMPUTE_PGM_RSRC2:TIDIG_COMP_CNT: 0
; COMPUTE_PGM_RSRC3_GFX90A:ACCUM_OFFSET: 0
; COMPUTE_PGM_RSRC3_GFX90A:TG_SPLIT: 0
	.section	.text._ZN7rocprim17ROCPRIM_400000_NS6detail17trampoline_kernelINS0_14default_configENS1_29reduce_by_key_config_selectorIyyN6thrust23THRUST_200600_302600_NS4plusIyEEEEZZNS1_33reduce_by_key_impl_wrapped_configILNS1_25lookback_scan_determinismE0ES3_S9_NS6_6detail15normal_iteratorINS6_10device_ptrIyEEEESG_SG_SG_PmS8_22is_equal_div_10_reduceIyEEE10hipError_tPvRmT2_T3_mT4_T5_T6_T7_T8_P12ihipStream_tbENKUlT_T0_E_clISt17integral_constantIbLb1EES10_IbLb0EEEEDaSW_SX_EUlSW_E_NS1_11comp_targetILNS1_3genE10ELNS1_11target_archE1200ELNS1_3gpuE4ELNS1_3repE0EEENS1_30default_config_static_selectorELNS0_4arch9wavefront6targetE1EEEvT1_,"axG",@progbits,_ZN7rocprim17ROCPRIM_400000_NS6detail17trampoline_kernelINS0_14default_configENS1_29reduce_by_key_config_selectorIyyN6thrust23THRUST_200600_302600_NS4plusIyEEEEZZNS1_33reduce_by_key_impl_wrapped_configILNS1_25lookback_scan_determinismE0ES3_S9_NS6_6detail15normal_iteratorINS6_10device_ptrIyEEEESG_SG_SG_PmS8_22is_equal_div_10_reduceIyEEE10hipError_tPvRmT2_T3_mT4_T5_T6_T7_T8_P12ihipStream_tbENKUlT_T0_E_clISt17integral_constantIbLb1EES10_IbLb0EEEEDaSW_SX_EUlSW_E_NS1_11comp_targetILNS1_3genE10ELNS1_11target_archE1200ELNS1_3gpuE4ELNS1_3repE0EEENS1_30default_config_static_selectorELNS0_4arch9wavefront6targetE1EEEvT1_,comdat
	.protected	_ZN7rocprim17ROCPRIM_400000_NS6detail17trampoline_kernelINS0_14default_configENS1_29reduce_by_key_config_selectorIyyN6thrust23THRUST_200600_302600_NS4plusIyEEEEZZNS1_33reduce_by_key_impl_wrapped_configILNS1_25lookback_scan_determinismE0ES3_S9_NS6_6detail15normal_iteratorINS6_10device_ptrIyEEEESG_SG_SG_PmS8_22is_equal_div_10_reduceIyEEE10hipError_tPvRmT2_T3_mT4_T5_T6_T7_T8_P12ihipStream_tbENKUlT_T0_E_clISt17integral_constantIbLb1EES10_IbLb0EEEEDaSW_SX_EUlSW_E_NS1_11comp_targetILNS1_3genE10ELNS1_11target_archE1200ELNS1_3gpuE4ELNS1_3repE0EEENS1_30default_config_static_selectorELNS0_4arch9wavefront6targetE1EEEvT1_ ; -- Begin function _ZN7rocprim17ROCPRIM_400000_NS6detail17trampoline_kernelINS0_14default_configENS1_29reduce_by_key_config_selectorIyyN6thrust23THRUST_200600_302600_NS4plusIyEEEEZZNS1_33reduce_by_key_impl_wrapped_configILNS1_25lookback_scan_determinismE0ES3_S9_NS6_6detail15normal_iteratorINS6_10device_ptrIyEEEESG_SG_SG_PmS8_22is_equal_div_10_reduceIyEEE10hipError_tPvRmT2_T3_mT4_T5_T6_T7_T8_P12ihipStream_tbENKUlT_T0_E_clISt17integral_constantIbLb1EES10_IbLb0EEEEDaSW_SX_EUlSW_E_NS1_11comp_targetILNS1_3genE10ELNS1_11target_archE1200ELNS1_3gpuE4ELNS1_3repE0EEENS1_30default_config_static_selectorELNS0_4arch9wavefront6targetE1EEEvT1_
	.globl	_ZN7rocprim17ROCPRIM_400000_NS6detail17trampoline_kernelINS0_14default_configENS1_29reduce_by_key_config_selectorIyyN6thrust23THRUST_200600_302600_NS4plusIyEEEEZZNS1_33reduce_by_key_impl_wrapped_configILNS1_25lookback_scan_determinismE0ES3_S9_NS6_6detail15normal_iteratorINS6_10device_ptrIyEEEESG_SG_SG_PmS8_22is_equal_div_10_reduceIyEEE10hipError_tPvRmT2_T3_mT4_T5_T6_T7_T8_P12ihipStream_tbENKUlT_T0_E_clISt17integral_constantIbLb1EES10_IbLb0EEEEDaSW_SX_EUlSW_E_NS1_11comp_targetILNS1_3genE10ELNS1_11target_archE1200ELNS1_3gpuE4ELNS1_3repE0EEENS1_30default_config_static_selectorELNS0_4arch9wavefront6targetE1EEEvT1_
	.p2align	8
	.type	_ZN7rocprim17ROCPRIM_400000_NS6detail17trampoline_kernelINS0_14default_configENS1_29reduce_by_key_config_selectorIyyN6thrust23THRUST_200600_302600_NS4plusIyEEEEZZNS1_33reduce_by_key_impl_wrapped_configILNS1_25lookback_scan_determinismE0ES3_S9_NS6_6detail15normal_iteratorINS6_10device_ptrIyEEEESG_SG_SG_PmS8_22is_equal_div_10_reduceIyEEE10hipError_tPvRmT2_T3_mT4_T5_T6_T7_T8_P12ihipStream_tbENKUlT_T0_E_clISt17integral_constantIbLb1EES10_IbLb0EEEEDaSW_SX_EUlSW_E_NS1_11comp_targetILNS1_3genE10ELNS1_11target_archE1200ELNS1_3gpuE4ELNS1_3repE0EEENS1_30default_config_static_selectorELNS0_4arch9wavefront6targetE1EEEvT1_,@function
_ZN7rocprim17ROCPRIM_400000_NS6detail17trampoline_kernelINS0_14default_configENS1_29reduce_by_key_config_selectorIyyN6thrust23THRUST_200600_302600_NS4plusIyEEEEZZNS1_33reduce_by_key_impl_wrapped_configILNS1_25lookback_scan_determinismE0ES3_S9_NS6_6detail15normal_iteratorINS6_10device_ptrIyEEEESG_SG_SG_PmS8_22is_equal_div_10_reduceIyEEE10hipError_tPvRmT2_T3_mT4_T5_T6_T7_T8_P12ihipStream_tbENKUlT_T0_E_clISt17integral_constantIbLb1EES10_IbLb0EEEEDaSW_SX_EUlSW_E_NS1_11comp_targetILNS1_3genE10ELNS1_11target_archE1200ELNS1_3gpuE4ELNS1_3repE0EEENS1_30default_config_static_selectorELNS0_4arch9wavefront6targetE1EEEvT1_: ; @_ZN7rocprim17ROCPRIM_400000_NS6detail17trampoline_kernelINS0_14default_configENS1_29reduce_by_key_config_selectorIyyN6thrust23THRUST_200600_302600_NS4plusIyEEEEZZNS1_33reduce_by_key_impl_wrapped_configILNS1_25lookback_scan_determinismE0ES3_S9_NS6_6detail15normal_iteratorINS6_10device_ptrIyEEEESG_SG_SG_PmS8_22is_equal_div_10_reduceIyEEE10hipError_tPvRmT2_T3_mT4_T5_T6_T7_T8_P12ihipStream_tbENKUlT_T0_E_clISt17integral_constantIbLb1EES10_IbLb0EEEEDaSW_SX_EUlSW_E_NS1_11comp_targetILNS1_3genE10ELNS1_11target_archE1200ELNS1_3gpuE4ELNS1_3repE0EEENS1_30default_config_static_selectorELNS0_4arch9wavefront6targetE1EEEvT1_
; %bb.0:
	.section	.rodata,"a",@progbits
	.p2align	6, 0x0
	.amdhsa_kernel _ZN7rocprim17ROCPRIM_400000_NS6detail17trampoline_kernelINS0_14default_configENS1_29reduce_by_key_config_selectorIyyN6thrust23THRUST_200600_302600_NS4plusIyEEEEZZNS1_33reduce_by_key_impl_wrapped_configILNS1_25lookback_scan_determinismE0ES3_S9_NS6_6detail15normal_iteratorINS6_10device_ptrIyEEEESG_SG_SG_PmS8_22is_equal_div_10_reduceIyEEE10hipError_tPvRmT2_T3_mT4_T5_T6_T7_T8_P12ihipStream_tbENKUlT_T0_E_clISt17integral_constantIbLb1EES10_IbLb0EEEEDaSW_SX_EUlSW_E_NS1_11comp_targetILNS1_3genE10ELNS1_11target_archE1200ELNS1_3gpuE4ELNS1_3repE0EEENS1_30default_config_static_selectorELNS0_4arch9wavefront6targetE1EEEvT1_
		.amdhsa_group_segment_fixed_size 0
		.amdhsa_private_segment_fixed_size 0
		.amdhsa_kernarg_size 136
		.amdhsa_user_sgpr_count 6
		.amdhsa_user_sgpr_private_segment_buffer 1
		.amdhsa_user_sgpr_dispatch_ptr 0
		.amdhsa_user_sgpr_queue_ptr 0
		.amdhsa_user_sgpr_kernarg_segment_ptr 1
		.amdhsa_user_sgpr_dispatch_id 0
		.amdhsa_user_sgpr_flat_scratch_init 0
		.amdhsa_user_sgpr_kernarg_preload_length 0
		.amdhsa_user_sgpr_kernarg_preload_offset 0
		.amdhsa_user_sgpr_private_segment_size 0
		.amdhsa_uses_dynamic_stack 0
		.amdhsa_system_sgpr_private_segment_wavefront_offset 0
		.amdhsa_system_sgpr_workgroup_id_x 1
		.amdhsa_system_sgpr_workgroup_id_y 0
		.amdhsa_system_sgpr_workgroup_id_z 0
		.amdhsa_system_sgpr_workgroup_info 0
		.amdhsa_system_vgpr_workitem_id 0
		.amdhsa_next_free_vgpr 1
		.amdhsa_next_free_sgpr 0
		.amdhsa_accum_offset 4
		.amdhsa_reserve_vcc 0
		.amdhsa_reserve_flat_scratch 0
		.amdhsa_float_round_mode_32 0
		.amdhsa_float_round_mode_16_64 0
		.amdhsa_float_denorm_mode_32 3
		.amdhsa_float_denorm_mode_16_64 3
		.amdhsa_dx10_clamp 1
		.amdhsa_ieee_mode 1
		.amdhsa_fp16_overflow 0
		.amdhsa_tg_split 0
		.amdhsa_exception_fp_ieee_invalid_op 0
		.amdhsa_exception_fp_denorm_src 0
		.amdhsa_exception_fp_ieee_div_zero 0
		.amdhsa_exception_fp_ieee_overflow 0
		.amdhsa_exception_fp_ieee_underflow 0
		.amdhsa_exception_fp_ieee_inexact 0
		.amdhsa_exception_int_div_zero 0
	.end_amdhsa_kernel
	.section	.text._ZN7rocprim17ROCPRIM_400000_NS6detail17trampoline_kernelINS0_14default_configENS1_29reduce_by_key_config_selectorIyyN6thrust23THRUST_200600_302600_NS4plusIyEEEEZZNS1_33reduce_by_key_impl_wrapped_configILNS1_25lookback_scan_determinismE0ES3_S9_NS6_6detail15normal_iteratorINS6_10device_ptrIyEEEESG_SG_SG_PmS8_22is_equal_div_10_reduceIyEEE10hipError_tPvRmT2_T3_mT4_T5_T6_T7_T8_P12ihipStream_tbENKUlT_T0_E_clISt17integral_constantIbLb1EES10_IbLb0EEEEDaSW_SX_EUlSW_E_NS1_11comp_targetILNS1_3genE10ELNS1_11target_archE1200ELNS1_3gpuE4ELNS1_3repE0EEENS1_30default_config_static_selectorELNS0_4arch9wavefront6targetE1EEEvT1_,"axG",@progbits,_ZN7rocprim17ROCPRIM_400000_NS6detail17trampoline_kernelINS0_14default_configENS1_29reduce_by_key_config_selectorIyyN6thrust23THRUST_200600_302600_NS4plusIyEEEEZZNS1_33reduce_by_key_impl_wrapped_configILNS1_25lookback_scan_determinismE0ES3_S9_NS6_6detail15normal_iteratorINS6_10device_ptrIyEEEESG_SG_SG_PmS8_22is_equal_div_10_reduceIyEEE10hipError_tPvRmT2_T3_mT4_T5_T6_T7_T8_P12ihipStream_tbENKUlT_T0_E_clISt17integral_constantIbLb1EES10_IbLb0EEEEDaSW_SX_EUlSW_E_NS1_11comp_targetILNS1_3genE10ELNS1_11target_archE1200ELNS1_3gpuE4ELNS1_3repE0EEENS1_30default_config_static_selectorELNS0_4arch9wavefront6targetE1EEEvT1_,comdat
.Lfunc_end301:
	.size	_ZN7rocprim17ROCPRIM_400000_NS6detail17trampoline_kernelINS0_14default_configENS1_29reduce_by_key_config_selectorIyyN6thrust23THRUST_200600_302600_NS4plusIyEEEEZZNS1_33reduce_by_key_impl_wrapped_configILNS1_25lookback_scan_determinismE0ES3_S9_NS6_6detail15normal_iteratorINS6_10device_ptrIyEEEESG_SG_SG_PmS8_22is_equal_div_10_reduceIyEEE10hipError_tPvRmT2_T3_mT4_T5_T6_T7_T8_P12ihipStream_tbENKUlT_T0_E_clISt17integral_constantIbLb1EES10_IbLb0EEEEDaSW_SX_EUlSW_E_NS1_11comp_targetILNS1_3genE10ELNS1_11target_archE1200ELNS1_3gpuE4ELNS1_3repE0EEENS1_30default_config_static_selectorELNS0_4arch9wavefront6targetE1EEEvT1_, .Lfunc_end301-_ZN7rocprim17ROCPRIM_400000_NS6detail17trampoline_kernelINS0_14default_configENS1_29reduce_by_key_config_selectorIyyN6thrust23THRUST_200600_302600_NS4plusIyEEEEZZNS1_33reduce_by_key_impl_wrapped_configILNS1_25lookback_scan_determinismE0ES3_S9_NS6_6detail15normal_iteratorINS6_10device_ptrIyEEEESG_SG_SG_PmS8_22is_equal_div_10_reduceIyEEE10hipError_tPvRmT2_T3_mT4_T5_T6_T7_T8_P12ihipStream_tbENKUlT_T0_E_clISt17integral_constantIbLb1EES10_IbLb0EEEEDaSW_SX_EUlSW_E_NS1_11comp_targetILNS1_3genE10ELNS1_11target_archE1200ELNS1_3gpuE4ELNS1_3repE0EEENS1_30default_config_static_selectorELNS0_4arch9wavefront6targetE1EEEvT1_
                                        ; -- End function
	.section	.AMDGPU.csdata,"",@progbits
; Kernel info:
; codeLenInByte = 0
; NumSgprs: 4
; NumVgprs: 0
; NumAgprs: 0
; TotalNumVgprs: 0
; ScratchSize: 0
; MemoryBound: 0
; FloatMode: 240
; IeeeMode: 1
; LDSByteSize: 0 bytes/workgroup (compile time only)
; SGPRBlocks: 0
; VGPRBlocks: 0
; NumSGPRsForWavesPerEU: 4
; NumVGPRsForWavesPerEU: 1
; AccumOffset: 4
; Occupancy: 8
; WaveLimiterHint : 0
; COMPUTE_PGM_RSRC2:SCRATCH_EN: 0
; COMPUTE_PGM_RSRC2:USER_SGPR: 6
; COMPUTE_PGM_RSRC2:TRAP_HANDLER: 0
; COMPUTE_PGM_RSRC2:TGID_X_EN: 1
; COMPUTE_PGM_RSRC2:TGID_Y_EN: 0
; COMPUTE_PGM_RSRC2:TGID_Z_EN: 0
; COMPUTE_PGM_RSRC2:TIDIG_COMP_CNT: 0
; COMPUTE_PGM_RSRC3_GFX90A:ACCUM_OFFSET: 0
; COMPUTE_PGM_RSRC3_GFX90A:TG_SPLIT: 0
	.section	.text._ZN7rocprim17ROCPRIM_400000_NS6detail17trampoline_kernelINS0_14default_configENS1_29reduce_by_key_config_selectorIyyN6thrust23THRUST_200600_302600_NS4plusIyEEEEZZNS1_33reduce_by_key_impl_wrapped_configILNS1_25lookback_scan_determinismE0ES3_S9_NS6_6detail15normal_iteratorINS6_10device_ptrIyEEEESG_SG_SG_PmS8_22is_equal_div_10_reduceIyEEE10hipError_tPvRmT2_T3_mT4_T5_T6_T7_T8_P12ihipStream_tbENKUlT_T0_E_clISt17integral_constantIbLb1EES10_IbLb0EEEEDaSW_SX_EUlSW_E_NS1_11comp_targetILNS1_3genE9ELNS1_11target_archE1100ELNS1_3gpuE3ELNS1_3repE0EEENS1_30default_config_static_selectorELNS0_4arch9wavefront6targetE1EEEvT1_,"axG",@progbits,_ZN7rocprim17ROCPRIM_400000_NS6detail17trampoline_kernelINS0_14default_configENS1_29reduce_by_key_config_selectorIyyN6thrust23THRUST_200600_302600_NS4plusIyEEEEZZNS1_33reduce_by_key_impl_wrapped_configILNS1_25lookback_scan_determinismE0ES3_S9_NS6_6detail15normal_iteratorINS6_10device_ptrIyEEEESG_SG_SG_PmS8_22is_equal_div_10_reduceIyEEE10hipError_tPvRmT2_T3_mT4_T5_T6_T7_T8_P12ihipStream_tbENKUlT_T0_E_clISt17integral_constantIbLb1EES10_IbLb0EEEEDaSW_SX_EUlSW_E_NS1_11comp_targetILNS1_3genE9ELNS1_11target_archE1100ELNS1_3gpuE3ELNS1_3repE0EEENS1_30default_config_static_selectorELNS0_4arch9wavefront6targetE1EEEvT1_,comdat
	.protected	_ZN7rocprim17ROCPRIM_400000_NS6detail17trampoline_kernelINS0_14default_configENS1_29reduce_by_key_config_selectorIyyN6thrust23THRUST_200600_302600_NS4plusIyEEEEZZNS1_33reduce_by_key_impl_wrapped_configILNS1_25lookback_scan_determinismE0ES3_S9_NS6_6detail15normal_iteratorINS6_10device_ptrIyEEEESG_SG_SG_PmS8_22is_equal_div_10_reduceIyEEE10hipError_tPvRmT2_T3_mT4_T5_T6_T7_T8_P12ihipStream_tbENKUlT_T0_E_clISt17integral_constantIbLb1EES10_IbLb0EEEEDaSW_SX_EUlSW_E_NS1_11comp_targetILNS1_3genE9ELNS1_11target_archE1100ELNS1_3gpuE3ELNS1_3repE0EEENS1_30default_config_static_selectorELNS0_4arch9wavefront6targetE1EEEvT1_ ; -- Begin function _ZN7rocprim17ROCPRIM_400000_NS6detail17trampoline_kernelINS0_14default_configENS1_29reduce_by_key_config_selectorIyyN6thrust23THRUST_200600_302600_NS4plusIyEEEEZZNS1_33reduce_by_key_impl_wrapped_configILNS1_25lookback_scan_determinismE0ES3_S9_NS6_6detail15normal_iteratorINS6_10device_ptrIyEEEESG_SG_SG_PmS8_22is_equal_div_10_reduceIyEEE10hipError_tPvRmT2_T3_mT4_T5_T6_T7_T8_P12ihipStream_tbENKUlT_T0_E_clISt17integral_constantIbLb1EES10_IbLb0EEEEDaSW_SX_EUlSW_E_NS1_11comp_targetILNS1_3genE9ELNS1_11target_archE1100ELNS1_3gpuE3ELNS1_3repE0EEENS1_30default_config_static_selectorELNS0_4arch9wavefront6targetE1EEEvT1_
	.globl	_ZN7rocprim17ROCPRIM_400000_NS6detail17trampoline_kernelINS0_14default_configENS1_29reduce_by_key_config_selectorIyyN6thrust23THRUST_200600_302600_NS4plusIyEEEEZZNS1_33reduce_by_key_impl_wrapped_configILNS1_25lookback_scan_determinismE0ES3_S9_NS6_6detail15normal_iteratorINS6_10device_ptrIyEEEESG_SG_SG_PmS8_22is_equal_div_10_reduceIyEEE10hipError_tPvRmT2_T3_mT4_T5_T6_T7_T8_P12ihipStream_tbENKUlT_T0_E_clISt17integral_constantIbLb1EES10_IbLb0EEEEDaSW_SX_EUlSW_E_NS1_11comp_targetILNS1_3genE9ELNS1_11target_archE1100ELNS1_3gpuE3ELNS1_3repE0EEENS1_30default_config_static_selectorELNS0_4arch9wavefront6targetE1EEEvT1_
	.p2align	8
	.type	_ZN7rocprim17ROCPRIM_400000_NS6detail17trampoline_kernelINS0_14default_configENS1_29reduce_by_key_config_selectorIyyN6thrust23THRUST_200600_302600_NS4plusIyEEEEZZNS1_33reduce_by_key_impl_wrapped_configILNS1_25lookback_scan_determinismE0ES3_S9_NS6_6detail15normal_iteratorINS6_10device_ptrIyEEEESG_SG_SG_PmS8_22is_equal_div_10_reduceIyEEE10hipError_tPvRmT2_T3_mT4_T5_T6_T7_T8_P12ihipStream_tbENKUlT_T0_E_clISt17integral_constantIbLb1EES10_IbLb0EEEEDaSW_SX_EUlSW_E_NS1_11comp_targetILNS1_3genE9ELNS1_11target_archE1100ELNS1_3gpuE3ELNS1_3repE0EEENS1_30default_config_static_selectorELNS0_4arch9wavefront6targetE1EEEvT1_,@function
_ZN7rocprim17ROCPRIM_400000_NS6detail17trampoline_kernelINS0_14default_configENS1_29reduce_by_key_config_selectorIyyN6thrust23THRUST_200600_302600_NS4plusIyEEEEZZNS1_33reduce_by_key_impl_wrapped_configILNS1_25lookback_scan_determinismE0ES3_S9_NS6_6detail15normal_iteratorINS6_10device_ptrIyEEEESG_SG_SG_PmS8_22is_equal_div_10_reduceIyEEE10hipError_tPvRmT2_T3_mT4_T5_T6_T7_T8_P12ihipStream_tbENKUlT_T0_E_clISt17integral_constantIbLb1EES10_IbLb0EEEEDaSW_SX_EUlSW_E_NS1_11comp_targetILNS1_3genE9ELNS1_11target_archE1100ELNS1_3gpuE3ELNS1_3repE0EEENS1_30default_config_static_selectorELNS0_4arch9wavefront6targetE1EEEvT1_: ; @_ZN7rocprim17ROCPRIM_400000_NS6detail17trampoline_kernelINS0_14default_configENS1_29reduce_by_key_config_selectorIyyN6thrust23THRUST_200600_302600_NS4plusIyEEEEZZNS1_33reduce_by_key_impl_wrapped_configILNS1_25lookback_scan_determinismE0ES3_S9_NS6_6detail15normal_iteratorINS6_10device_ptrIyEEEESG_SG_SG_PmS8_22is_equal_div_10_reduceIyEEE10hipError_tPvRmT2_T3_mT4_T5_T6_T7_T8_P12ihipStream_tbENKUlT_T0_E_clISt17integral_constantIbLb1EES10_IbLb0EEEEDaSW_SX_EUlSW_E_NS1_11comp_targetILNS1_3genE9ELNS1_11target_archE1100ELNS1_3gpuE3ELNS1_3repE0EEENS1_30default_config_static_selectorELNS0_4arch9wavefront6targetE1EEEvT1_
; %bb.0:
	.section	.rodata,"a",@progbits
	.p2align	6, 0x0
	.amdhsa_kernel _ZN7rocprim17ROCPRIM_400000_NS6detail17trampoline_kernelINS0_14default_configENS1_29reduce_by_key_config_selectorIyyN6thrust23THRUST_200600_302600_NS4plusIyEEEEZZNS1_33reduce_by_key_impl_wrapped_configILNS1_25lookback_scan_determinismE0ES3_S9_NS6_6detail15normal_iteratorINS6_10device_ptrIyEEEESG_SG_SG_PmS8_22is_equal_div_10_reduceIyEEE10hipError_tPvRmT2_T3_mT4_T5_T6_T7_T8_P12ihipStream_tbENKUlT_T0_E_clISt17integral_constantIbLb1EES10_IbLb0EEEEDaSW_SX_EUlSW_E_NS1_11comp_targetILNS1_3genE9ELNS1_11target_archE1100ELNS1_3gpuE3ELNS1_3repE0EEENS1_30default_config_static_selectorELNS0_4arch9wavefront6targetE1EEEvT1_
		.amdhsa_group_segment_fixed_size 0
		.amdhsa_private_segment_fixed_size 0
		.amdhsa_kernarg_size 136
		.amdhsa_user_sgpr_count 6
		.amdhsa_user_sgpr_private_segment_buffer 1
		.amdhsa_user_sgpr_dispatch_ptr 0
		.amdhsa_user_sgpr_queue_ptr 0
		.amdhsa_user_sgpr_kernarg_segment_ptr 1
		.amdhsa_user_sgpr_dispatch_id 0
		.amdhsa_user_sgpr_flat_scratch_init 0
		.amdhsa_user_sgpr_kernarg_preload_length 0
		.amdhsa_user_sgpr_kernarg_preload_offset 0
		.amdhsa_user_sgpr_private_segment_size 0
		.amdhsa_uses_dynamic_stack 0
		.amdhsa_system_sgpr_private_segment_wavefront_offset 0
		.amdhsa_system_sgpr_workgroup_id_x 1
		.amdhsa_system_sgpr_workgroup_id_y 0
		.amdhsa_system_sgpr_workgroup_id_z 0
		.amdhsa_system_sgpr_workgroup_info 0
		.amdhsa_system_vgpr_workitem_id 0
		.amdhsa_next_free_vgpr 1
		.amdhsa_next_free_sgpr 0
		.amdhsa_accum_offset 4
		.amdhsa_reserve_vcc 0
		.amdhsa_reserve_flat_scratch 0
		.amdhsa_float_round_mode_32 0
		.amdhsa_float_round_mode_16_64 0
		.amdhsa_float_denorm_mode_32 3
		.amdhsa_float_denorm_mode_16_64 3
		.amdhsa_dx10_clamp 1
		.amdhsa_ieee_mode 1
		.amdhsa_fp16_overflow 0
		.amdhsa_tg_split 0
		.amdhsa_exception_fp_ieee_invalid_op 0
		.amdhsa_exception_fp_denorm_src 0
		.amdhsa_exception_fp_ieee_div_zero 0
		.amdhsa_exception_fp_ieee_overflow 0
		.amdhsa_exception_fp_ieee_underflow 0
		.amdhsa_exception_fp_ieee_inexact 0
		.amdhsa_exception_int_div_zero 0
	.end_amdhsa_kernel
	.section	.text._ZN7rocprim17ROCPRIM_400000_NS6detail17trampoline_kernelINS0_14default_configENS1_29reduce_by_key_config_selectorIyyN6thrust23THRUST_200600_302600_NS4plusIyEEEEZZNS1_33reduce_by_key_impl_wrapped_configILNS1_25lookback_scan_determinismE0ES3_S9_NS6_6detail15normal_iteratorINS6_10device_ptrIyEEEESG_SG_SG_PmS8_22is_equal_div_10_reduceIyEEE10hipError_tPvRmT2_T3_mT4_T5_T6_T7_T8_P12ihipStream_tbENKUlT_T0_E_clISt17integral_constantIbLb1EES10_IbLb0EEEEDaSW_SX_EUlSW_E_NS1_11comp_targetILNS1_3genE9ELNS1_11target_archE1100ELNS1_3gpuE3ELNS1_3repE0EEENS1_30default_config_static_selectorELNS0_4arch9wavefront6targetE1EEEvT1_,"axG",@progbits,_ZN7rocprim17ROCPRIM_400000_NS6detail17trampoline_kernelINS0_14default_configENS1_29reduce_by_key_config_selectorIyyN6thrust23THRUST_200600_302600_NS4plusIyEEEEZZNS1_33reduce_by_key_impl_wrapped_configILNS1_25lookback_scan_determinismE0ES3_S9_NS6_6detail15normal_iteratorINS6_10device_ptrIyEEEESG_SG_SG_PmS8_22is_equal_div_10_reduceIyEEE10hipError_tPvRmT2_T3_mT4_T5_T6_T7_T8_P12ihipStream_tbENKUlT_T0_E_clISt17integral_constantIbLb1EES10_IbLb0EEEEDaSW_SX_EUlSW_E_NS1_11comp_targetILNS1_3genE9ELNS1_11target_archE1100ELNS1_3gpuE3ELNS1_3repE0EEENS1_30default_config_static_selectorELNS0_4arch9wavefront6targetE1EEEvT1_,comdat
.Lfunc_end302:
	.size	_ZN7rocprim17ROCPRIM_400000_NS6detail17trampoline_kernelINS0_14default_configENS1_29reduce_by_key_config_selectorIyyN6thrust23THRUST_200600_302600_NS4plusIyEEEEZZNS1_33reduce_by_key_impl_wrapped_configILNS1_25lookback_scan_determinismE0ES3_S9_NS6_6detail15normal_iteratorINS6_10device_ptrIyEEEESG_SG_SG_PmS8_22is_equal_div_10_reduceIyEEE10hipError_tPvRmT2_T3_mT4_T5_T6_T7_T8_P12ihipStream_tbENKUlT_T0_E_clISt17integral_constantIbLb1EES10_IbLb0EEEEDaSW_SX_EUlSW_E_NS1_11comp_targetILNS1_3genE9ELNS1_11target_archE1100ELNS1_3gpuE3ELNS1_3repE0EEENS1_30default_config_static_selectorELNS0_4arch9wavefront6targetE1EEEvT1_, .Lfunc_end302-_ZN7rocprim17ROCPRIM_400000_NS6detail17trampoline_kernelINS0_14default_configENS1_29reduce_by_key_config_selectorIyyN6thrust23THRUST_200600_302600_NS4plusIyEEEEZZNS1_33reduce_by_key_impl_wrapped_configILNS1_25lookback_scan_determinismE0ES3_S9_NS6_6detail15normal_iteratorINS6_10device_ptrIyEEEESG_SG_SG_PmS8_22is_equal_div_10_reduceIyEEE10hipError_tPvRmT2_T3_mT4_T5_T6_T7_T8_P12ihipStream_tbENKUlT_T0_E_clISt17integral_constantIbLb1EES10_IbLb0EEEEDaSW_SX_EUlSW_E_NS1_11comp_targetILNS1_3genE9ELNS1_11target_archE1100ELNS1_3gpuE3ELNS1_3repE0EEENS1_30default_config_static_selectorELNS0_4arch9wavefront6targetE1EEEvT1_
                                        ; -- End function
	.section	.AMDGPU.csdata,"",@progbits
; Kernel info:
; codeLenInByte = 0
; NumSgprs: 4
; NumVgprs: 0
; NumAgprs: 0
; TotalNumVgprs: 0
; ScratchSize: 0
; MemoryBound: 0
; FloatMode: 240
; IeeeMode: 1
; LDSByteSize: 0 bytes/workgroup (compile time only)
; SGPRBlocks: 0
; VGPRBlocks: 0
; NumSGPRsForWavesPerEU: 4
; NumVGPRsForWavesPerEU: 1
; AccumOffset: 4
; Occupancy: 8
; WaveLimiterHint : 0
; COMPUTE_PGM_RSRC2:SCRATCH_EN: 0
; COMPUTE_PGM_RSRC2:USER_SGPR: 6
; COMPUTE_PGM_RSRC2:TRAP_HANDLER: 0
; COMPUTE_PGM_RSRC2:TGID_X_EN: 1
; COMPUTE_PGM_RSRC2:TGID_Y_EN: 0
; COMPUTE_PGM_RSRC2:TGID_Z_EN: 0
; COMPUTE_PGM_RSRC2:TIDIG_COMP_CNT: 0
; COMPUTE_PGM_RSRC3_GFX90A:ACCUM_OFFSET: 0
; COMPUTE_PGM_RSRC3_GFX90A:TG_SPLIT: 0
	.section	.text._ZN7rocprim17ROCPRIM_400000_NS6detail17trampoline_kernelINS0_14default_configENS1_29reduce_by_key_config_selectorIyyN6thrust23THRUST_200600_302600_NS4plusIyEEEEZZNS1_33reduce_by_key_impl_wrapped_configILNS1_25lookback_scan_determinismE0ES3_S9_NS6_6detail15normal_iteratorINS6_10device_ptrIyEEEESG_SG_SG_PmS8_22is_equal_div_10_reduceIyEEE10hipError_tPvRmT2_T3_mT4_T5_T6_T7_T8_P12ihipStream_tbENKUlT_T0_E_clISt17integral_constantIbLb1EES10_IbLb0EEEEDaSW_SX_EUlSW_E_NS1_11comp_targetILNS1_3genE8ELNS1_11target_archE1030ELNS1_3gpuE2ELNS1_3repE0EEENS1_30default_config_static_selectorELNS0_4arch9wavefront6targetE1EEEvT1_,"axG",@progbits,_ZN7rocprim17ROCPRIM_400000_NS6detail17trampoline_kernelINS0_14default_configENS1_29reduce_by_key_config_selectorIyyN6thrust23THRUST_200600_302600_NS4plusIyEEEEZZNS1_33reduce_by_key_impl_wrapped_configILNS1_25lookback_scan_determinismE0ES3_S9_NS6_6detail15normal_iteratorINS6_10device_ptrIyEEEESG_SG_SG_PmS8_22is_equal_div_10_reduceIyEEE10hipError_tPvRmT2_T3_mT4_T5_T6_T7_T8_P12ihipStream_tbENKUlT_T0_E_clISt17integral_constantIbLb1EES10_IbLb0EEEEDaSW_SX_EUlSW_E_NS1_11comp_targetILNS1_3genE8ELNS1_11target_archE1030ELNS1_3gpuE2ELNS1_3repE0EEENS1_30default_config_static_selectorELNS0_4arch9wavefront6targetE1EEEvT1_,comdat
	.protected	_ZN7rocprim17ROCPRIM_400000_NS6detail17trampoline_kernelINS0_14default_configENS1_29reduce_by_key_config_selectorIyyN6thrust23THRUST_200600_302600_NS4plusIyEEEEZZNS1_33reduce_by_key_impl_wrapped_configILNS1_25lookback_scan_determinismE0ES3_S9_NS6_6detail15normal_iteratorINS6_10device_ptrIyEEEESG_SG_SG_PmS8_22is_equal_div_10_reduceIyEEE10hipError_tPvRmT2_T3_mT4_T5_T6_T7_T8_P12ihipStream_tbENKUlT_T0_E_clISt17integral_constantIbLb1EES10_IbLb0EEEEDaSW_SX_EUlSW_E_NS1_11comp_targetILNS1_3genE8ELNS1_11target_archE1030ELNS1_3gpuE2ELNS1_3repE0EEENS1_30default_config_static_selectorELNS0_4arch9wavefront6targetE1EEEvT1_ ; -- Begin function _ZN7rocprim17ROCPRIM_400000_NS6detail17trampoline_kernelINS0_14default_configENS1_29reduce_by_key_config_selectorIyyN6thrust23THRUST_200600_302600_NS4plusIyEEEEZZNS1_33reduce_by_key_impl_wrapped_configILNS1_25lookback_scan_determinismE0ES3_S9_NS6_6detail15normal_iteratorINS6_10device_ptrIyEEEESG_SG_SG_PmS8_22is_equal_div_10_reduceIyEEE10hipError_tPvRmT2_T3_mT4_T5_T6_T7_T8_P12ihipStream_tbENKUlT_T0_E_clISt17integral_constantIbLb1EES10_IbLb0EEEEDaSW_SX_EUlSW_E_NS1_11comp_targetILNS1_3genE8ELNS1_11target_archE1030ELNS1_3gpuE2ELNS1_3repE0EEENS1_30default_config_static_selectorELNS0_4arch9wavefront6targetE1EEEvT1_
	.globl	_ZN7rocprim17ROCPRIM_400000_NS6detail17trampoline_kernelINS0_14default_configENS1_29reduce_by_key_config_selectorIyyN6thrust23THRUST_200600_302600_NS4plusIyEEEEZZNS1_33reduce_by_key_impl_wrapped_configILNS1_25lookback_scan_determinismE0ES3_S9_NS6_6detail15normal_iteratorINS6_10device_ptrIyEEEESG_SG_SG_PmS8_22is_equal_div_10_reduceIyEEE10hipError_tPvRmT2_T3_mT4_T5_T6_T7_T8_P12ihipStream_tbENKUlT_T0_E_clISt17integral_constantIbLb1EES10_IbLb0EEEEDaSW_SX_EUlSW_E_NS1_11comp_targetILNS1_3genE8ELNS1_11target_archE1030ELNS1_3gpuE2ELNS1_3repE0EEENS1_30default_config_static_selectorELNS0_4arch9wavefront6targetE1EEEvT1_
	.p2align	8
	.type	_ZN7rocprim17ROCPRIM_400000_NS6detail17trampoline_kernelINS0_14default_configENS1_29reduce_by_key_config_selectorIyyN6thrust23THRUST_200600_302600_NS4plusIyEEEEZZNS1_33reduce_by_key_impl_wrapped_configILNS1_25lookback_scan_determinismE0ES3_S9_NS6_6detail15normal_iteratorINS6_10device_ptrIyEEEESG_SG_SG_PmS8_22is_equal_div_10_reduceIyEEE10hipError_tPvRmT2_T3_mT4_T5_T6_T7_T8_P12ihipStream_tbENKUlT_T0_E_clISt17integral_constantIbLb1EES10_IbLb0EEEEDaSW_SX_EUlSW_E_NS1_11comp_targetILNS1_3genE8ELNS1_11target_archE1030ELNS1_3gpuE2ELNS1_3repE0EEENS1_30default_config_static_selectorELNS0_4arch9wavefront6targetE1EEEvT1_,@function
_ZN7rocprim17ROCPRIM_400000_NS6detail17trampoline_kernelINS0_14default_configENS1_29reduce_by_key_config_selectorIyyN6thrust23THRUST_200600_302600_NS4plusIyEEEEZZNS1_33reduce_by_key_impl_wrapped_configILNS1_25lookback_scan_determinismE0ES3_S9_NS6_6detail15normal_iteratorINS6_10device_ptrIyEEEESG_SG_SG_PmS8_22is_equal_div_10_reduceIyEEE10hipError_tPvRmT2_T3_mT4_T5_T6_T7_T8_P12ihipStream_tbENKUlT_T0_E_clISt17integral_constantIbLb1EES10_IbLb0EEEEDaSW_SX_EUlSW_E_NS1_11comp_targetILNS1_3genE8ELNS1_11target_archE1030ELNS1_3gpuE2ELNS1_3repE0EEENS1_30default_config_static_selectorELNS0_4arch9wavefront6targetE1EEEvT1_: ; @_ZN7rocprim17ROCPRIM_400000_NS6detail17trampoline_kernelINS0_14default_configENS1_29reduce_by_key_config_selectorIyyN6thrust23THRUST_200600_302600_NS4plusIyEEEEZZNS1_33reduce_by_key_impl_wrapped_configILNS1_25lookback_scan_determinismE0ES3_S9_NS6_6detail15normal_iteratorINS6_10device_ptrIyEEEESG_SG_SG_PmS8_22is_equal_div_10_reduceIyEEE10hipError_tPvRmT2_T3_mT4_T5_T6_T7_T8_P12ihipStream_tbENKUlT_T0_E_clISt17integral_constantIbLb1EES10_IbLb0EEEEDaSW_SX_EUlSW_E_NS1_11comp_targetILNS1_3genE8ELNS1_11target_archE1030ELNS1_3gpuE2ELNS1_3repE0EEENS1_30default_config_static_selectorELNS0_4arch9wavefront6targetE1EEEvT1_
; %bb.0:
	.section	.rodata,"a",@progbits
	.p2align	6, 0x0
	.amdhsa_kernel _ZN7rocprim17ROCPRIM_400000_NS6detail17trampoline_kernelINS0_14default_configENS1_29reduce_by_key_config_selectorIyyN6thrust23THRUST_200600_302600_NS4plusIyEEEEZZNS1_33reduce_by_key_impl_wrapped_configILNS1_25lookback_scan_determinismE0ES3_S9_NS6_6detail15normal_iteratorINS6_10device_ptrIyEEEESG_SG_SG_PmS8_22is_equal_div_10_reduceIyEEE10hipError_tPvRmT2_T3_mT4_T5_T6_T7_T8_P12ihipStream_tbENKUlT_T0_E_clISt17integral_constantIbLb1EES10_IbLb0EEEEDaSW_SX_EUlSW_E_NS1_11comp_targetILNS1_3genE8ELNS1_11target_archE1030ELNS1_3gpuE2ELNS1_3repE0EEENS1_30default_config_static_selectorELNS0_4arch9wavefront6targetE1EEEvT1_
		.amdhsa_group_segment_fixed_size 0
		.amdhsa_private_segment_fixed_size 0
		.amdhsa_kernarg_size 136
		.amdhsa_user_sgpr_count 6
		.amdhsa_user_sgpr_private_segment_buffer 1
		.amdhsa_user_sgpr_dispatch_ptr 0
		.amdhsa_user_sgpr_queue_ptr 0
		.amdhsa_user_sgpr_kernarg_segment_ptr 1
		.amdhsa_user_sgpr_dispatch_id 0
		.amdhsa_user_sgpr_flat_scratch_init 0
		.amdhsa_user_sgpr_kernarg_preload_length 0
		.amdhsa_user_sgpr_kernarg_preload_offset 0
		.amdhsa_user_sgpr_private_segment_size 0
		.amdhsa_uses_dynamic_stack 0
		.amdhsa_system_sgpr_private_segment_wavefront_offset 0
		.amdhsa_system_sgpr_workgroup_id_x 1
		.amdhsa_system_sgpr_workgroup_id_y 0
		.amdhsa_system_sgpr_workgroup_id_z 0
		.amdhsa_system_sgpr_workgroup_info 0
		.amdhsa_system_vgpr_workitem_id 0
		.amdhsa_next_free_vgpr 1
		.amdhsa_next_free_sgpr 0
		.amdhsa_accum_offset 4
		.amdhsa_reserve_vcc 0
		.amdhsa_reserve_flat_scratch 0
		.amdhsa_float_round_mode_32 0
		.amdhsa_float_round_mode_16_64 0
		.amdhsa_float_denorm_mode_32 3
		.amdhsa_float_denorm_mode_16_64 3
		.amdhsa_dx10_clamp 1
		.amdhsa_ieee_mode 1
		.amdhsa_fp16_overflow 0
		.amdhsa_tg_split 0
		.amdhsa_exception_fp_ieee_invalid_op 0
		.amdhsa_exception_fp_denorm_src 0
		.amdhsa_exception_fp_ieee_div_zero 0
		.amdhsa_exception_fp_ieee_overflow 0
		.amdhsa_exception_fp_ieee_underflow 0
		.amdhsa_exception_fp_ieee_inexact 0
		.amdhsa_exception_int_div_zero 0
	.end_amdhsa_kernel
	.section	.text._ZN7rocprim17ROCPRIM_400000_NS6detail17trampoline_kernelINS0_14default_configENS1_29reduce_by_key_config_selectorIyyN6thrust23THRUST_200600_302600_NS4plusIyEEEEZZNS1_33reduce_by_key_impl_wrapped_configILNS1_25lookback_scan_determinismE0ES3_S9_NS6_6detail15normal_iteratorINS6_10device_ptrIyEEEESG_SG_SG_PmS8_22is_equal_div_10_reduceIyEEE10hipError_tPvRmT2_T3_mT4_T5_T6_T7_T8_P12ihipStream_tbENKUlT_T0_E_clISt17integral_constantIbLb1EES10_IbLb0EEEEDaSW_SX_EUlSW_E_NS1_11comp_targetILNS1_3genE8ELNS1_11target_archE1030ELNS1_3gpuE2ELNS1_3repE0EEENS1_30default_config_static_selectorELNS0_4arch9wavefront6targetE1EEEvT1_,"axG",@progbits,_ZN7rocprim17ROCPRIM_400000_NS6detail17trampoline_kernelINS0_14default_configENS1_29reduce_by_key_config_selectorIyyN6thrust23THRUST_200600_302600_NS4plusIyEEEEZZNS1_33reduce_by_key_impl_wrapped_configILNS1_25lookback_scan_determinismE0ES3_S9_NS6_6detail15normal_iteratorINS6_10device_ptrIyEEEESG_SG_SG_PmS8_22is_equal_div_10_reduceIyEEE10hipError_tPvRmT2_T3_mT4_T5_T6_T7_T8_P12ihipStream_tbENKUlT_T0_E_clISt17integral_constantIbLb1EES10_IbLb0EEEEDaSW_SX_EUlSW_E_NS1_11comp_targetILNS1_3genE8ELNS1_11target_archE1030ELNS1_3gpuE2ELNS1_3repE0EEENS1_30default_config_static_selectorELNS0_4arch9wavefront6targetE1EEEvT1_,comdat
.Lfunc_end303:
	.size	_ZN7rocprim17ROCPRIM_400000_NS6detail17trampoline_kernelINS0_14default_configENS1_29reduce_by_key_config_selectorIyyN6thrust23THRUST_200600_302600_NS4plusIyEEEEZZNS1_33reduce_by_key_impl_wrapped_configILNS1_25lookback_scan_determinismE0ES3_S9_NS6_6detail15normal_iteratorINS6_10device_ptrIyEEEESG_SG_SG_PmS8_22is_equal_div_10_reduceIyEEE10hipError_tPvRmT2_T3_mT4_T5_T6_T7_T8_P12ihipStream_tbENKUlT_T0_E_clISt17integral_constantIbLb1EES10_IbLb0EEEEDaSW_SX_EUlSW_E_NS1_11comp_targetILNS1_3genE8ELNS1_11target_archE1030ELNS1_3gpuE2ELNS1_3repE0EEENS1_30default_config_static_selectorELNS0_4arch9wavefront6targetE1EEEvT1_, .Lfunc_end303-_ZN7rocprim17ROCPRIM_400000_NS6detail17trampoline_kernelINS0_14default_configENS1_29reduce_by_key_config_selectorIyyN6thrust23THRUST_200600_302600_NS4plusIyEEEEZZNS1_33reduce_by_key_impl_wrapped_configILNS1_25lookback_scan_determinismE0ES3_S9_NS6_6detail15normal_iteratorINS6_10device_ptrIyEEEESG_SG_SG_PmS8_22is_equal_div_10_reduceIyEEE10hipError_tPvRmT2_T3_mT4_T5_T6_T7_T8_P12ihipStream_tbENKUlT_T0_E_clISt17integral_constantIbLb1EES10_IbLb0EEEEDaSW_SX_EUlSW_E_NS1_11comp_targetILNS1_3genE8ELNS1_11target_archE1030ELNS1_3gpuE2ELNS1_3repE0EEENS1_30default_config_static_selectorELNS0_4arch9wavefront6targetE1EEEvT1_
                                        ; -- End function
	.section	.AMDGPU.csdata,"",@progbits
; Kernel info:
; codeLenInByte = 0
; NumSgprs: 4
; NumVgprs: 0
; NumAgprs: 0
; TotalNumVgprs: 0
; ScratchSize: 0
; MemoryBound: 0
; FloatMode: 240
; IeeeMode: 1
; LDSByteSize: 0 bytes/workgroup (compile time only)
; SGPRBlocks: 0
; VGPRBlocks: 0
; NumSGPRsForWavesPerEU: 4
; NumVGPRsForWavesPerEU: 1
; AccumOffset: 4
; Occupancy: 8
; WaveLimiterHint : 0
; COMPUTE_PGM_RSRC2:SCRATCH_EN: 0
; COMPUTE_PGM_RSRC2:USER_SGPR: 6
; COMPUTE_PGM_RSRC2:TRAP_HANDLER: 0
; COMPUTE_PGM_RSRC2:TGID_X_EN: 1
; COMPUTE_PGM_RSRC2:TGID_Y_EN: 0
; COMPUTE_PGM_RSRC2:TGID_Z_EN: 0
; COMPUTE_PGM_RSRC2:TIDIG_COMP_CNT: 0
; COMPUTE_PGM_RSRC3_GFX90A:ACCUM_OFFSET: 0
; COMPUTE_PGM_RSRC3_GFX90A:TG_SPLIT: 0
	.section	.text._ZN7rocprim17ROCPRIM_400000_NS6detail17trampoline_kernelINS0_14default_configENS1_29reduce_by_key_config_selectorIyyN6thrust23THRUST_200600_302600_NS4plusIyEEEEZZNS1_33reduce_by_key_impl_wrapped_configILNS1_25lookback_scan_determinismE0ES3_S9_NS6_6detail15normal_iteratorINS6_10device_ptrIyEEEESG_SG_SG_PmS8_22is_equal_div_10_reduceIyEEE10hipError_tPvRmT2_T3_mT4_T5_T6_T7_T8_P12ihipStream_tbENKUlT_T0_E_clISt17integral_constantIbLb0EES10_IbLb1EEEEDaSW_SX_EUlSW_E_NS1_11comp_targetILNS1_3genE0ELNS1_11target_archE4294967295ELNS1_3gpuE0ELNS1_3repE0EEENS1_30default_config_static_selectorELNS0_4arch9wavefront6targetE1EEEvT1_,"axG",@progbits,_ZN7rocprim17ROCPRIM_400000_NS6detail17trampoline_kernelINS0_14default_configENS1_29reduce_by_key_config_selectorIyyN6thrust23THRUST_200600_302600_NS4plusIyEEEEZZNS1_33reduce_by_key_impl_wrapped_configILNS1_25lookback_scan_determinismE0ES3_S9_NS6_6detail15normal_iteratorINS6_10device_ptrIyEEEESG_SG_SG_PmS8_22is_equal_div_10_reduceIyEEE10hipError_tPvRmT2_T3_mT4_T5_T6_T7_T8_P12ihipStream_tbENKUlT_T0_E_clISt17integral_constantIbLb0EES10_IbLb1EEEEDaSW_SX_EUlSW_E_NS1_11comp_targetILNS1_3genE0ELNS1_11target_archE4294967295ELNS1_3gpuE0ELNS1_3repE0EEENS1_30default_config_static_selectorELNS0_4arch9wavefront6targetE1EEEvT1_,comdat
	.protected	_ZN7rocprim17ROCPRIM_400000_NS6detail17trampoline_kernelINS0_14default_configENS1_29reduce_by_key_config_selectorIyyN6thrust23THRUST_200600_302600_NS4plusIyEEEEZZNS1_33reduce_by_key_impl_wrapped_configILNS1_25lookback_scan_determinismE0ES3_S9_NS6_6detail15normal_iteratorINS6_10device_ptrIyEEEESG_SG_SG_PmS8_22is_equal_div_10_reduceIyEEE10hipError_tPvRmT2_T3_mT4_T5_T6_T7_T8_P12ihipStream_tbENKUlT_T0_E_clISt17integral_constantIbLb0EES10_IbLb1EEEEDaSW_SX_EUlSW_E_NS1_11comp_targetILNS1_3genE0ELNS1_11target_archE4294967295ELNS1_3gpuE0ELNS1_3repE0EEENS1_30default_config_static_selectorELNS0_4arch9wavefront6targetE1EEEvT1_ ; -- Begin function _ZN7rocprim17ROCPRIM_400000_NS6detail17trampoline_kernelINS0_14default_configENS1_29reduce_by_key_config_selectorIyyN6thrust23THRUST_200600_302600_NS4plusIyEEEEZZNS1_33reduce_by_key_impl_wrapped_configILNS1_25lookback_scan_determinismE0ES3_S9_NS6_6detail15normal_iteratorINS6_10device_ptrIyEEEESG_SG_SG_PmS8_22is_equal_div_10_reduceIyEEE10hipError_tPvRmT2_T3_mT4_T5_T6_T7_T8_P12ihipStream_tbENKUlT_T0_E_clISt17integral_constantIbLb0EES10_IbLb1EEEEDaSW_SX_EUlSW_E_NS1_11comp_targetILNS1_3genE0ELNS1_11target_archE4294967295ELNS1_3gpuE0ELNS1_3repE0EEENS1_30default_config_static_selectorELNS0_4arch9wavefront6targetE1EEEvT1_
	.globl	_ZN7rocprim17ROCPRIM_400000_NS6detail17trampoline_kernelINS0_14default_configENS1_29reduce_by_key_config_selectorIyyN6thrust23THRUST_200600_302600_NS4plusIyEEEEZZNS1_33reduce_by_key_impl_wrapped_configILNS1_25lookback_scan_determinismE0ES3_S9_NS6_6detail15normal_iteratorINS6_10device_ptrIyEEEESG_SG_SG_PmS8_22is_equal_div_10_reduceIyEEE10hipError_tPvRmT2_T3_mT4_T5_T6_T7_T8_P12ihipStream_tbENKUlT_T0_E_clISt17integral_constantIbLb0EES10_IbLb1EEEEDaSW_SX_EUlSW_E_NS1_11comp_targetILNS1_3genE0ELNS1_11target_archE4294967295ELNS1_3gpuE0ELNS1_3repE0EEENS1_30default_config_static_selectorELNS0_4arch9wavefront6targetE1EEEvT1_
	.p2align	8
	.type	_ZN7rocprim17ROCPRIM_400000_NS6detail17trampoline_kernelINS0_14default_configENS1_29reduce_by_key_config_selectorIyyN6thrust23THRUST_200600_302600_NS4plusIyEEEEZZNS1_33reduce_by_key_impl_wrapped_configILNS1_25lookback_scan_determinismE0ES3_S9_NS6_6detail15normal_iteratorINS6_10device_ptrIyEEEESG_SG_SG_PmS8_22is_equal_div_10_reduceIyEEE10hipError_tPvRmT2_T3_mT4_T5_T6_T7_T8_P12ihipStream_tbENKUlT_T0_E_clISt17integral_constantIbLb0EES10_IbLb1EEEEDaSW_SX_EUlSW_E_NS1_11comp_targetILNS1_3genE0ELNS1_11target_archE4294967295ELNS1_3gpuE0ELNS1_3repE0EEENS1_30default_config_static_selectorELNS0_4arch9wavefront6targetE1EEEvT1_,@function
_ZN7rocprim17ROCPRIM_400000_NS6detail17trampoline_kernelINS0_14default_configENS1_29reduce_by_key_config_selectorIyyN6thrust23THRUST_200600_302600_NS4plusIyEEEEZZNS1_33reduce_by_key_impl_wrapped_configILNS1_25lookback_scan_determinismE0ES3_S9_NS6_6detail15normal_iteratorINS6_10device_ptrIyEEEESG_SG_SG_PmS8_22is_equal_div_10_reduceIyEEE10hipError_tPvRmT2_T3_mT4_T5_T6_T7_T8_P12ihipStream_tbENKUlT_T0_E_clISt17integral_constantIbLb0EES10_IbLb1EEEEDaSW_SX_EUlSW_E_NS1_11comp_targetILNS1_3genE0ELNS1_11target_archE4294967295ELNS1_3gpuE0ELNS1_3repE0EEENS1_30default_config_static_selectorELNS0_4arch9wavefront6targetE1EEEvT1_: ; @_ZN7rocprim17ROCPRIM_400000_NS6detail17trampoline_kernelINS0_14default_configENS1_29reduce_by_key_config_selectorIyyN6thrust23THRUST_200600_302600_NS4plusIyEEEEZZNS1_33reduce_by_key_impl_wrapped_configILNS1_25lookback_scan_determinismE0ES3_S9_NS6_6detail15normal_iteratorINS6_10device_ptrIyEEEESG_SG_SG_PmS8_22is_equal_div_10_reduceIyEEE10hipError_tPvRmT2_T3_mT4_T5_T6_T7_T8_P12ihipStream_tbENKUlT_T0_E_clISt17integral_constantIbLb0EES10_IbLb1EEEEDaSW_SX_EUlSW_E_NS1_11comp_targetILNS1_3genE0ELNS1_11target_archE4294967295ELNS1_3gpuE0ELNS1_3repE0EEENS1_30default_config_static_selectorELNS0_4arch9wavefront6targetE1EEEvT1_
; %bb.0:
	.section	.rodata,"a",@progbits
	.p2align	6, 0x0
	.amdhsa_kernel _ZN7rocprim17ROCPRIM_400000_NS6detail17trampoline_kernelINS0_14default_configENS1_29reduce_by_key_config_selectorIyyN6thrust23THRUST_200600_302600_NS4plusIyEEEEZZNS1_33reduce_by_key_impl_wrapped_configILNS1_25lookback_scan_determinismE0ES3_S9_NS6_6detail15normal_iteratorINS6_10device_ptrIyEEEESG_SG_SG_PmS8_22is_equal_div_10_reduceIyEEE10hipError_tPvRmT2_T3_mT4_T5_T6_T7_T8_P12ihipStream_tbENKUlT_T0_E_clISt17integral_constantIbLb0EES10_IbLb1EEEEDaSW_SX_EUlSW_E_NS1_11comp_targetILNS1_3genE0ELNS1_11target_archE4294967295ELNS1_3gpuE0ELNS1_3repE0EEENS1_30default_config_static_selectorELNS0_4arch9wavefront6targetE1EEEvT1_
		.amdhsa_group_segment_fixed_size 0
		.amdhsa_private_segment_fixed_size 0
		.amdhsa_kernarg_size 136
		.amdhsa_user_sgpr_count 6
		.amdhsa_user_sgpr_private_segment_buffer 1
		.amdhsa_user_sgpr_dispatch_ptr 0
		.amdhsa_user_sgpr_queue_ptr 0
		.amdhsa_user_sgpr_kernarg_segment_ptr 1
		.amdhsa_user_sgpr_dispatch_id 0
		.amdhsa_user_sgpr_flat_scratch_init 0
		.amdhsa_user_sgpr_kernarg_preload_length 0
		.amdhsa_user_sgpr_kernarg_preload_offset 0
		.amdhsa_user_sgpr_private_segment_size 0
		.amdhsa_uses_dynamic_stack 0
		.amdhsa_system_sgpr_private_segment_wavefront_offset 0
		.amdhsa_system_sgpr_workgroup_id_x 1
		.amdhsa_system_sgpr_workgroup_id_y 0
		.amdhsa_system_sgpr_workgroup_id_z 0
		.amdhsa_system_sgpr_workgroup_info 0
		.amdhsa_system_vgpr_workitem_id 0
		.amdhsa_next_free_vgpr 1
		.amdhsa_next_free_sgpr 0
		.amdhsa_accum_offset 4
		.amdhsa_reserve_vcc 0
		.amdhsa_reserve_flat_scratch 0
		.amdhsa_float_round_mode_32 0
		.amdhsa_float_round_mode_16_64 0
		.amdhsa_float_denorm_mode_32 3
		.amdhsa_float_denorm_mode_16_64 3
		.amdhsa_dx10_clamp 1
		.amdhsa_ieee_mode 1
		.amdhsa_fp16_overflow 0
		.amdhsa_tg_split 0
		.amdhsa_exception_fp_ieee_invalid_op 0
		.amdhsa_exception_fp_denorm_src 0
		.amdhsa_exception_fp_ieee_div_zero 0
		.amdhsa_exception_fp_ieee_overflow 0
		.amdhsa_exception_fp_ieee_underflow 0
		.amdhsa_exception_fp_ieee_inexact 0
		.amdhsa_exception_int_div_zero 0
	.end_amdhsa_kernel
	.section	.text._ZN7rocprim17ROCPRIM_400000_NS6detail17trampoline_kernelINS0_14default_configENS1_29reduce_by_key_config_selectorIyyN6thrust23THRUST_200600_302600_NS4plusIyEEEEZZNS1_33reduce_by_key_impl_wrapped_configILNS1_25lookback_scan_determinismE0ES3_S9_NS6_6detail15normal_iteratorINS6_10device_ptrIyEEEESG_SG_SG_PmS8_22is_equal_div_10_reduceIyEEE10hipError_tPvRmT2_T3_mT4_T5_T6_T7_T8_P12ihipStream_tbENKUlT_T0_E_clISt17integral_constantIbLb0EES10_IbLb1EEEEDaSW_SX_EUlSW_E_NS1_11comp_targetILNS1_3genE0ELNS1_11target_archE4294967295ELNS1_3gpuE0ELNS1_3repE0EEENS1_30default_config_static_selectorELNS0_4arch9wavefront6targetE1EEEvT1_,"axG",@progbits,_ZN7rocprim17ROCPRIM_400000_NS6detail17trampoline_kernelINS0_14default_configENS1_29reduce_by_key_config_selectorIyyN6thrust23THRUST_200600_302600_NS4plusIyEEEEZZNS1_33reduce_by_key_impl_wrapped_configILNS1_25lookback_scan_determinismE0ES3_S9_NS6_6detail15normal_iteratorINS6_10device_ptrIyEEEESG_SG_SG_PmS8_22is_equal_div_10_reduceIyEEE10hipError_tPvRmT2_T3_mT4_T5_T6_T7_T8_P12ihipStream_tbENKUlT_T0_E_clISt17integral_constantIbLb0EES10_IbLb1EEEEDaSW_SX_EUlSW_E_NS1_11comp_targetILNS1_3genE0ELNS1_11target_archE4294967295ELNS1_3gpuE0ELNS1_3repE0EEENS1_30default_config_static_selectorELNS0_4arch9wavefront6targetE1EEEvT1_,comdat
.Lfunc_end304:
	.size	_ZN7rocprim17ROCPRIM_400000_NS6detail17trampoline_kernelINS0_14default_configENS1_29reduce_by_key_config_selectorIyyN6thrust23THRUST_200600_302600_NS4plusIyEEEEZZNS1_33reduce_by_key_impl_wrapped_configILNS1_25lookback_scan_determinismE0ES3_S9_NS6_6detail15normal_iteratorINS6_10device_ptrIyEEEESG_SG_SG_PmS8_22is_equal_div_10_reduceIyEEE10hipError_tPvRmT2_T3_mT4_T5_T6_T7_T8_P12ihipStream_tbENKUlT_T0_E_clISt17integral_constantIbLb0EES10_IbLb1EEEEDaSW_SX_EUlSW_E_NS1_11comp_targetILNS1_3genE0ELNS1_11target_archE4294967295ELNS1_3gpuE0ELNS1_3repE0EEENS1_30default_config_static_selectorELNS0_4arch9wavefront6targetE1EEEvT1_, .Lfunc_end304-_ZN7rocprim17ROCPRIM_400000_NS6detail17trampoline_kernelINS0_14default_configENS1_29reduce_by_key_config_selectorIyyN6thrust23THRUST_200600_302600_NS4plusIyEEEEZZNS1_33reduce_by_key_impl_wrapped_configILNS1_25lookback_scan_determinismE0ES3_S9_NS6_6detail15normal_iteratorINS6_10device_ptrIyEEEESG_SG_SG_PmS8_22is_equal_div_10_reduceIyEEE10hipError_tPvRmT2_T3_mT4_T5_T6_T7_T8_P12ihipStream_tbENKUlT_T0_E_clISt17integral_constantIbLb0EES10_IbLb1EEEEDaSW_SX_EUlSW_E_NS1_11comp_targetILNS1_3genE0ELNS1_11target_archE4294967295ELNS1_3gpuE0ELNS1_3repE0EEENS1_30default_config_static_selectorELNS0_4arch9wavefront6targetE1EEEvT1_
                                        ; -- End function
	.section	.AMDGPU.csdata,"",@progbits
; Kernel info:
; codeLenInByte = 0
; NumSgprs: 4
; NumVgprs: 0
; NumAgprs: 0
; TotalNumVgprs: 0
; ScratchSize: 0
; MemoryBound: 0
; FloatMode: 240
; IeeeMode: 1
; LDSByteSize: 0 bytes/workgroup (compile time only)
; SGPRBlocks: 0
; VGPRBlocks: 0
; NumSGPRsForWavesPerEU: 4
; NumVGPRsForWavesPerEU: 1
; AccumOffset: 4
; Occupancy: 8
; WaveLimiterHint : 0
; COMPUTE_PGM_RSRC2:SCRATCH_EN: 0
; COMPUTE_PGM_RSRC2:USER_SGPR: 6
; COMPUTE_PGM_RSRC2:TRAP_HANDLER: 0
; COMPUTE_PGM_RSRC2:TGID_X_EN: 1
; COMPUTE_PGM_RSRC2:TGID_Y_EN: 0
; COMPUTE_PGM_RSRC2:TGID_Z_EN: 0
; COMPUTE_PGM_RSRC2:TIDIG_COMP_CNT: 0
; COMPUTE_PGM_RSRC3_GFX90A:ACCUM_OFFSET: 0
; COMPUTE_PGM_RSRC3_GFX90A:TG_SPLIT: 0
	.section	.text._ZN7rocprim17ROCPRIM_400000_NS6detail17trampoline_kernelINS0_14default_configENS1_29reduce_by_key_config_selectorIyyN6thrust23THRUST_200600_302600_NS4plusIyEEEEZZNS1_33reduce_by_key_impl_wrapped_configILNS1_25lookback_scan_determinismE0ES3_S9_NS6_6detail15normal_iteratorINS6_10device_ptrIyEEEESG_SG_SG_PmS8_22is_equal_div_10_reduceIyEEE10hipError_tPvRmT2_T3_mT4_T5_T6_T7_T8_P12ihipStream_tbENKUlT_T0_E_clISt17integral_constantIbLb0EES10_IbLb1EEEEDaSW_SX_EUlSW_E_NS1_11comp_targetILNS1_3genE5ELNS1_11target_archE942ELNS1_3gpuE9ELNS1_3repE0EEENS1_30default_config_static_selectorELNS0_4arch9wavefront6targetE1EEEvT1_,"axG",@progbits,_ZN7rocprim17ROCPRIM_400000_NS6detail17trampoline_kernelINS0_14default_configENS1_29reduce_by_key_config_selectorIyyN6thrust23THRUST_200600_302600_NS4plusIyEEEEZZNS1_33reduce_by_key_impl_wrapped_configILNS1_25lookback_scan_determinismE0ES3_S9_NS6_6detail15normal_iteratorINS6_10device_ptrIyEEEESG_SG_SG_PmS8_22is_equal_div_10_reduceIyEEE10hipError_tPvRmT2_T3_mT4_T5_T6_T7_T8_P12ihipStream_tbENKUlT_T0_E_clISt17integral_constantIbLb0EES10_IbLb1EEEEDaSW_SX_EUlSW_E_NS1_11comp_targetILNS1_3genE5ELNS1_11target_archE942ELNS1_3gpuE9ELNS1_3repE0EEENS1_30default_config_static_selectorELNS0_4arch9wavefront6targetE1EEEvT1_,comdat
	.protected	_ZN7rocprim17ROCPRIM_400000_NS6detail17trampoline_kernelINS0_14default_configENS1_29reduce_by_key_config_selectorIyyN6thrust23THRUST_200600_302600_NS4plusIyEEEEZZNS1_33reduce_by_key_impl_wrapped_configILNS1_25lookback_scan_determinismE0ES3_S9_NS6_6detail15normal_iteratorINS6_10device_ptrIyEEEESG_SG_SG_PmS8_22is_equal_div_10_reduceIyEEE10hipError_tPvRmT2_T3_mT4_T5_T6_T7_T8_P12ihipStream_tbENKUlT_T0_E_clISt17integral_constantIbLb0EES10_IbLb1EEEEDaSW_SX_EUlSW_E_NS1_11comp_targetILNS1_3genE5ELNS1_11target_archE942ELNS1_3gpuE9ELNS1_3repE0EEENS1_30default_config_static_selectorELNS0_4arch9wavefront6targetE1EEEvT1_ ; -- Begin function _ZN7rocprim17ROCPRIM_400000_NS6detail17trampoline_kernelINS0_14default_configENS1_29reduce_by_key_config_selectorIyyN6thrust23THRUST_200600_302600_NS4plusIyEEEEZZNS1_33reduce_by_key_impl_wrapped_configILNS1_25lookback_scan_determinismE0ES3_S9_NS6_6detail15normal_iteratorINS6_10device_ptrIyEEEESG_SG_SG_PmS8_22is_equal_div_10_reduceIyEEE10hipError_tPvRmT2_T3_mT4_T5_T6_T7_T8_P12ihipStream_tbENKUlT_T0_E_clISt17integral_constantIbLb0EES10_IbLb1EEEEDaSW_SX_EUlSW_E_NS1_11comp_targetILNS1_3genE5ELNS1_11target_archE942ELNS1_3gpuE9ELNS1_3repE0EEENS1_30default_config_static_selectorELNS0_4arch9wavefront6targetE1EEEvT1_
	.globl	_ZN7rocprim17ROCPRIM_400000_NS6detail17trampoline_kernelINS0_14default_configENS1_29reduce_by_key_config_selectorIyyN6thrust23THRUST_200600_302600_NS4plusIyEEEEZZNS1_33reduce_by_key_impl_wrapped_configILNS1_25lookback_scan_determinismE0ES3_S9_NS6_6detail15normal_iteratorINS6_10device_ptrIyEEEESG_SG_SG_PmS8_22is_equal_div_10_reduceIyEEE10hipError_tPvRmT2_T3_mT4_T5_T6_T7_T8_P12ihipStream_tbENKUlT_T0_E_clISt17integral_constantIbLb0EES10_IbLb1EEEEDaSW_SX_EUlSW_E_NS1_11comp_targetILNS1_3genE5ELNS1_11target_archE942ELNS1_3gpuE9ELNS1_3repE0EEENS1_30default_config_static_selectorELNS0_4arch9wavefront6targetE1EEEvT1_
	.p2align	8
	.type	_ZN7rocprim17ROCPRIM_400000_NS6detail17trampoline_kernelINS0_14default_configENS1_29reduce_by_key_config_selectorIyyN6thrust23THRUST_200600_302600_NS4plusIyEEEEZZNS1_33reduce_by_key_impl_wrapped_configILNS1_25lookback_scan_determinismE0ES3_S9_NS6_6detail15normal_iteratorINS6_10device_ptrIyEEEESG_SG_SG_PmS8_22is_equal_div_10_reduceIyEEE10hipError_tPvRmT2_T3_mT4_T5_T6_T7_T8_P12ihipStream_tbENKUlT_T0_E_clISt17integral_constantIbLb0EES10_IbLb1EEEEDaSW_SX_EUlSW_E_NS1_11comp_targetILNS1_3genE5ELNS1_11target_archE942ELNS1_3gpuE9ELNS1_3repE0EEENS1_30default_config_static_selectorELNS0_4arch9wavefront6targetE1EEEvT1_,@function
_ZN7rocprim17ROCPRIM_400000_NS6detail17trampoline_kernelINS0_14default_configENS1_29reduce_by_key_config_selectorIyyN6thrust23THRUST_200600_302600_NS4plusIyEEEEZZNS1_33reduce_by_key_impl_wrapped_configILNS1_25lookback_scan_determinismE0ES3_S9_NS6_6detail15normal_iteratorINS6_10device_ptrIyEEEESG_SG_SG_PmS8_22is_equal_div_10_reduceIyEEE10hipError_tPvRmT2_T3_mT4_T5_T6_T7_T8_P12ihipStream_tbENKUlT_T0_E_clISt17integral_constantIbLb0EES10_IbLb1EEEEDaSW_SX_EUlSW_E_NS1_11comp_targetILNS1_3genE5ELNS1_11target_archE942ELNS1_3gpuE9ELNS1_3repE0EEENS1_30default_config_static_selectorELNS0_4arch9wavefront6targetE1EEEvT1_: ; @_ZN7rocprim17ROCPRIM_400000_NS6detail17trampoline_kernelINS0_14default_configENS1_29reduce_by_key_config_selectorIyyN6thrust23THRUST_200600_302600_NS4plusIyEEEEZZNS1_33reduce_by_key_impl_wrapped_configILNS1_25lookback_scan_determinismE0ES3_S9_NS6_6detail15normal_iteratorINS6_10device_ptrIyEEEESG_SG_SG_PmS8_22is_equal_div_10_reduceIyEEE10hipError_tPvRmT2_T3_mT4_T5_T6_T7_T8_P12ihipStream_tbENKUlT_T0_E_clISt17integral_constantIbLb0EES10_IbLb1EEEEDaSW_SX_EUlSW_E_NS1_11comp_targetILNS1_3genE5ELNS1_11target_archE942ELNS1_3gpuE9ELNS1_3repE0EEENS1_30default_config_static_selectorELNS0_4arch9wavefront6targetE1EEEvT1_
; %bb.0:
	.section	.rodata,"a",@progbits
	.p2align	6, 0x0
	.amdhsa_kernel _ZN7rocprim17ROCPRIM_400000_NS6detail17trampoline_kernelINS0_14default_configENS1_29reduce_by_key_config_selectorIyyN6thrust23THRUST_200600_302600_NS4plusIyEEEEZZNS1_33reduce_by_key_impl_wrapped_configILNS1_25lookback_scan_determinismE0ES3_S9_NS6_6detail15normal_iteratorINS6_10device_ptrIyEEEESG_SG_SG_PmS8_22is_equal_div_10_reduceIyEEE10hipError_tPvRmT2_T3_mT4_T5_T6_T7_T8_P12ihipStream_tbENKUlT_T0_E_clISt17integral_constantIbLb0EES10_IbLb1EEEEDaSW_SX_EUlSW_E_NS1_11comp_targetILNS1_3genE5ELNS1_11target_archE942ELNS1_3gpuE9ELNS1_3repE0EEENS1_30default_config_static_selectorELNS0_4arch9wavefront6targetE1EEEvT1_
		.amdhsa_group_segment_fixed_size 0
		.amdhsa_private_segment_fixed_size 0
		.amdhsa_kernarg_size 136
		.amdhsa_user_sgpr_count 6
		.amdhsa_user_sgpr_private_segment_buffer 1
		.amdhsa_user_sgpr_dispatch_ptr 0
		.amdhsa_user_sgpr_queue_ptr 0
		.amdhsa_user_sgpr_kernarg_segment_ptr 1
		.amdhsa_user_sgpr_dispatch_id 0
		.amdhsa_user_sgpr_flat_scratch_init 0
		.amdhsa_user_sgpr_kernarg_preload_length 0
		.amdhsa_user_sgpr_kernarg_preload_offset 0
		.amdhsa_user_sgpr_private_segment_size 0
		.amdhsa_uses_dynamic_stack 0
		.amdhsa_system_sgpr_private_segment_wavefront_offset 0
		.amdhsa_system_sgpr_workgroup_id_x 1
		.amdhsa_system_sgpr_workgroup_id_y 0
		.amdhsa_system_sgpr_workgroup_id_z 0
		.amdhsa_system_sgpr_workgroup_info 0
		.amdhsa_system_vgpr_workitem_id 0
		.amdhsa_next_free_vgpr 1
		.amdhsa_next_free_sgpr 0
		.amdhsa_accum_offset 4
		.amdhsa_reserve_vcc 0
		.amdhsa_reserve_flat_scratch 0
		.amdhsa_float_round_mode_32 0
		.amdhsa_float_round_mode_16_64 0
		.amdhsa_float_denorm_mode_32 3
		.amdhsa_float_denorm_mode_16_64 3
		.amdhsa_dx10_clamp 1
		.amdhsa_ieee_mode 1
		.amdhsa_fp16_overflow 0
		.amdhsa_tg_split 0
		.amdhsa_exception_fp_ieee_invalid_op 0
		.amdhsa_exception_fp_denorm_src 0
		.amdhsa_exception_fp_ieee_div_zero 0
		.amdhsa_exception_fp_ieee_overflow 0
		.amdhsa_exception_fp_ieee_underflow 0
		.amdhsa_exception_fp_ieee_inexact 0
		.amdhsa_exception_int_div_zero 0
	.end_amdhsa_kernel
	.section	.text._ZN7rocprim17ROCPRIM_400000_NS6detail17trampoline_kernelINS0_14default_configENS1_29reduce_by_key_config_selectorIyyN6thrust23THRUST_200600_302600_NS4plusIyEEEEZZNS1_33reduce_by_key_impl_wrapped_configILNS1_25lookback_scan_determinismE0ES3_S9_NS6_6detail15normal_iteratorINS6_10device_ptrIyEEEESG_SG_SG_PmS8_22is_equal_div_10_reduceIyEEE10hipError_tPvRmT2_T3_mT4_T5_T6_T7_T8_P12ihipStream_tbENKUlT_T0_E_clISt17integral_constantIbLb0EES10_IbLb1EEEEDaSW_SX_EUlSW_E_NS1_11comp_targetILNS1_3genE5ELNS1_11target_archE942ELNS1_3gpuE9ELNS1_3repE0EEENS1_30default_config_static_selectorELNS0_4arch9wavefront6targetE1EEEvT1_,"axG",@progbits,_ZN7rocprim17ROCPRIM_400000_NS6detail17trampoline_kernelINS0_14default_configENS1_29reduce_by_key_config_selectorIyyN6thrust23THRUST_200600_302600_NS4plusIyEEEEZZNS1_33reduce_by_key_impl_wrapped_configILNS1_25lookback_scan_determinismE0ES3_S9_NS6_6detail15normal_iteratorINS6_10device_ptrIyEEEESG_SG_SG_PmS8_22is_equal_div_10_reduceIyEEE10hipError_tPvRmT2_T3_mT4_T5_T6_T7_T8_P12ihipStream_tbENKUlT_T0_E_clISt17integral_constantIbLb0EES10_IbLb1EEEEDaSW_SX_EUlSW_E_NS1_11comp_targetILNS1_3genE5ELNS1_11target_archE942ELNS1_3gpuE9ELNS1_3repE0EEENS1_30default_config_static_selectorELNS0_4arch9wavefront6targetE1EEEvT1_,comdat
.Lfunc_end305:
	.size	_ZN7rocprim17ROCPRIM_400000_NS6detail17trampoline_kernelINS0_14default_configENS1_29reduce_by_key_config_selectorIyyN6thrust23THRUST_200600_302600_NS4plusIyEEEEZZNS1_33reduce_by_key_impl_wrapped_configILNS1_25lookback_scan_determinismE0ES3_S9_NS6_6detail15normal_iteratorINS6_10device_ptrIyEEEESG_SG_SG_PmS8_22is_equal_div_10_reduceIyEEE10hipError_tPvRmT2_T3_mT4_T5_T6_T7_T8_P12ihipStream_tbENKUlT_T0_E_clISt17integral_constantIbLb0EES10_IbLb1EEEEDaSW_SX_EUlSW_E_NS1_11comp_targetILNS1_3genE5ELNS1_11target_archE942ELNS1_3gpuE9ELNS1_3repE0EEENS1_30default_config_static_selectorELNS0_4arch9wavefront6targetE1EEEvT1_, .Lfunc_end305-_ZN7rocprim17ROCPRIM_400000_NS6detail17trampoline_kernelINS0_14default_configENS1_29reduce_by_key_config_selectorIyyN6thrust23THRUST_200600_302600_NS4plusIyEEEEZZNS1_33reduce_by_key_impl_wrapped_configILNS1_25lookback_scan_determinismE0ES3_S9_NS6_6detail15normal_iteratorINS6_10device_ptrIyEEEESG_SG_SG_PmS8_22is_equal_div_10_reduceIyEEE10hipError_tPvRmT2_T3_mT4_T5_T6_T7_T8_P12ihipStream_tbENKUlT_T0_E_clISt17integral_constantIbLb0EES10_IbLb1EEEEDaSW_SX_EUlSW_E_NS1_11comp_targetILNS1_3genE5ELNS1_11target_archE942ELNS1_3gpuE9ELNS1_3repE0EEENS1_30default_config_static_selectorELNS0_4arch9wavefront6targetE1EEEvT1_
                                        ; -- End function
	.section	.AMDGPU.csdata,"",@progbits
; Kernel info:
; codeLenInByte = 0
; NumSgprs: 4
; NumVgprs: 0
; NumAgprs: 0
; TotalNumVgprs: 0
; ScratchSize: 0
; MemoryBound: 0
; FloatMode: 240
; IeeeMode: 1
; LDSByteSize: 0 bytes/workgroup (compile time only)
; SGPRBlocks: 0
; VGPRBlocks: 0
; NumSGPRsForWavesPerEU: 4
; NumVGPRsForWavesPerEU: 1
; AccumOffset: 4
; Occupancy: 8
; WaveLimiterHint : 0
; COMPUTE_PGM_RSRC2:SCRATCH_EN: 0
; COMPUTE_PGM_RSRC2:USER_SGPR: 6
; COMPUTE_PGM_RSRC2:TRAP_HANDLER: 0
; COMPUTE_PGM_RSRC2:TGID_X_EN: 1
; COMPUTE_PGM_RSRC2:TGID_Y_EN: 0
; COMPUTE_PGM_RSRC2:TGID_Z_EN: 0
; COMPUTE_PGM_RSRC2:TIDIG_COMP_CNT: 0
; COMPUTE_PGM_RSRC3_GFX90A:ACCUM_OFFSET: 0
; COMPUTE_PGM_RSRC3_GFX90A:TG_SPLIT: 0
	.section	.text._ZN7rocprim17ROCPRIM_400000_NS6detail17trampoline_kernelINS0_14default_configENS1_29reduce_by_key_config_selectorIyyN6thrust23THRUST_200600_302600_NS4plusIyEEEEZZNS1_33reduce_by_key_impl_wrapped_configILNS1_25lookback_scan_determinismE0ES3_S9_NS6_6detail15normal_iteratorINS6_10device_ptrIyEEEESG_SG_SG_PmS8_22is_equal_div_10_reduceIyEEE10hipError_tPvRmT2_T3_mT4_T5_T6_T7_T8_P12ihipStream_tbENKUlT_T0_E_clISt17integral_constantIbLb0EES10_IbLb1EEEEDaSW_SX_EUlSW_E_NS1_11comp_targetILNS1_3genE4ELNS1_11target_archE910ELNS1_3gpuE8ELNS1_3repE0EEENS1_30default_config_static_selectorELNS0_4arch9wavefront6targetE1EEEvT1_,"axG",@progbits,_ZN7rocprim17ROCPRIM_400000_NS6detail17trampoline_kernelINS0_14default_configENS1_29reduce_by_key_config_selectorIyyN6thrust23THRUST_200600_302600_NS4plusIyEEEEZZNS1_33reduce_by_key_impl_wrapped_configILNS1_25lookback_scan_determinismE0ES3_S9_NS6_6detail15normal_iteratorINS6_10device_ptrIyEEEESG_SG_SG_PmS8_22is_equal_div_10_reduceIyEEE10hipError_tPvRmT2_T3_mT4_T5_T6_T7_T8_P12ihipStream_tbENKUlT_T0_E_clISt17integral_constantIbLb0EES10_IbLb1EEEEDaSW_SX_EUlSW_E_NS1_11comp_targetILNS1_3genE4ELNS1_11target_archE910ELNS1_3gpuE8ELNS1_3repE0EEENS1_30default_config_static_selectorELNS0_4arch9wavefront6targetE1EEEvT1_,comdat
	.protected	_ZN7rocprim17ROCPRIM_400000_NS6detail17trampoline_kernelINS0_14default_configENS1_29reduce_by_key_config_selectorIyyN6thrust23THRUST_200600_302600_NS4plusIyEEEEZZNS1_33reduce_by_key_impl_wrapped_configILNS1_25lookback_scan_determinismE0ES3_S9_NS6_6detail15normal_iteratorINS6_10device_ptrIyEEEESG_SG_SG_PmS8_22is_equal_div_10_reduceIyEEE10hipError_tPvRmT2_T3_mT4_T5_T6_T7_T8_P12ihipStream_tbENKUlT_T0_E_clISt17integral_constantIbLb0EES10_IbLb1EEEEDaSW_SX_EUlSW_E_NS1_11comp_targetILNS1_3genE4ELNS1_11target_archE910ELNS1_3gpuE8ELNS1_3repE0EEENS1_30default_config_static_selectorELNS0_4arch9wavefront6targetE1EEEvT1_ ; -- Begin function _ZN7rocprim17ROCPRIM_400000_NS6detail17trampoline_kernelINS0_14default_configENS1_29reduce_by_key_config_selectorIyyN6thrust23THRUST_200600_302600_NS4plusIyEEEEZZNS1_33reduce_by_key_impl_wrapped_configILNS1_25lookback_scan_determinismE0ES3_S9_NS6_6detail15normal_iteratorINS6_10device_ptrIyEEEESG_SG_SG_PmS8_22is_equal_div_10_reduceIyEEE10hipError_tPvRmT2_T3_mT4_T5_T6_T7_T8_P12ihipStream_tbENKUlT_T0_E_clISt17integral_constantIbLb0EES10_IbLb1EEEEDaSW_SX_EUlSW_E_NS1_11comp_targetILNS1_3genE4ELNS1_11target_archE910ELNS1_3gpuE8ELNS1_3repE0EEENS1_30default_config_static_selectorELNS0_4arch9wavefront6targetE1EEEvT1_
	.globl	_ZN7rocprim17ROCPRIM_400000_NS6detail17trampoline_kernelINS0_14default_configENS1_29reduce_by_key_config_selectorIyyN6thrust23THRUST_200600_302600_NS4plusIyEEEEZZNS1_33reduce_by_key_impl_wrapped_configILNS1_25lookback_scan_determinismE0ES3_S9_NS6_6detail15normal_iteratorINS6_10device_ptrIyEEEESG_SG_SG_PmS8_22is_equal_div_10_reduceIyEEE10hipError_tPvRmT2_T3_mT4_T5_T6_T7_T8_P12ihipStream_tbENKUlT_T0_E_clISt17integral_constantIbLb0EES10_IbLb1EEEEDaSW_SX_EUlSW_E_NS1_11comp_targetILNS1_3genE4ELNS1_11target_archE910ELNS1_3gpuE8ELNS1_3repE0EEENS1_30default_config_static_selectorELNS0_4arch9wavefront6targetE1EEEvT1_
	.p2align	8
	.type	_ZN7rocprim17ROCPRIM_400000_NS6detail17trampoline_kernelINS0_14default_configENS1_29reduce_by_key_config_selectorIyyN6thrust23THRUST_200600_302600_NS4plusIyEEEEZZNS1_33reduce_by_key_impl_wrapped_configILNS1_25lookback_scan_determinismE0ES3_S9_NS6_6detail15normal_iteratorINS6_10device_ptrIyEEEESG_SG_SG_PmS8_22is_equal_div_10_reduceIyEEE10hipError_tPvRmT2_T3_mT4_T5_T6_T7_T8_P12ihipStream_tbENKUlT_T0_E_clISt17integral_constantIbLb0EES10_IbLb1EEEEDaSW_SX_EUlSW_E_NS1_11comp_targetILNS1_3genE4ELNS1_11target_archE910ELNS1_3gpuE8ELNS1_3repE0EEENS1_30default_config_static_selectorELNS0_4arch9wavefront6targetE1EEEvT1_,@function
_ZN7rocprim17ROCPRIM_400000_NS6detail17trampoline_kernelINS0_14default_configENS1_29reduce_by_key_config_selectorIyyN6thrust23THRUST_200600_302600_NS4plusIyEEEEZZNS1_33reduce_by_key_impl_wrapped_configILNS1_25lookback_scan_determinismE0ES3_S9_NS6_6detail15normal_iteratorINS6_10device_ptrIyEEEESG_SG_SG_PmS8_22is_equal_div_10_reduceIyEEE10hipError_tPvRmT2_T3_mT4_T5_T6_T7_T8_P12ihipStream_tbENKUlT_T0_E_clISt17integral_constantIbLb0EES10_IbLb1EEEEDaSW_SX_EUlSW_E_NS1_11comp_targetILNS1_3genE4ELNS1_11target_archE910ELNS1_3gpuE8ELNS1_3repE0EEENS1_30default_config_static_selectorELNS0_4arch9wavefront6targetE1EEEvT1_: ; @_ZN7rocprim17ROCPRIM_400000_NS6detail17trampoline_kernelINS0_14default_configENS1_29reduce_by_key_config_selectorIyyN6thrust23THRUST_200600_302600_NS4plusIyEEEEZZNS1_33reduce_by_key_impl_wrapped_configILNS1_25lookback_scan_determinismE0ES3_S9_NS6_6detail15normal_iteratorINS6_10device_ptrIyEEEESG_SG_SG_PmS8_22is_equal_div_10_reduceIyEEE10hipError_tPvRmT2_T3_mT4_T5_T6_T7_T8_P12ihipStream_tbENKUlT_T0_E_clISt17integral_constantIbLb0EES10_IbLb1EEEEDaSW_SX_EUlSW_E_NS1_11comp_targetILNS1_3genE4ELNS1_11target_archE910ELNS1_3gpuE8ELNS1_3repE0EEENS1_30default_config_static_selectorELNS0_4arch9wavefront6targetE1EEEvT1_
; %bb.0:
	s_load_dwordx8 s[52:59], s[4:5], 0x0
	s_load_dwordx4 s[60:63], s[4:5], 0x20
	s_load_dwordx2 s[64:65], s[4:5], 0x78
	v_cmp_ne_u32_e64 s[2:3], 0, v0
	v_cmp_eq_u32_e64 s[0:1], 0, v0
	s_and_saveexec_b64 s[6:7], s[0:1]
	s_cbranch_execz .LBB306_4
; %bb.1:
	s_mov_b64 s[10:11], exec
	v_mbcnt_lo_u32_b32 v1, s10, 0
	v_mbcnt_hi_u32_b32 v1, s11, v1
	v_cmp_eq_u32_e32 vcc, 0, v1
                                        ; implicit-def: $vgpr2
	s_and_saveexec_b64 s[8:9], vcc
	s_cbranch_execz .LBB306_3
; %bb.2:
	s_load_dwordx2 s[12:13], s[4:5], 0x80
	s_bcnt1_i32_b64 s10, s[10:11]
	v_mov_b32_e32 v2, 0
	v_mov_b32_e32 v3, s10
	s_waitcnt lgkmcnt(0)
	global_atomic_add v2, v2, v3, s[12:13] glc
.LBB306_3:
	s_or_b64 exec, exec, s[8:9]
	s_waitcnt vmcnt(0)
	v_readfirstlane_b32 s8, v2
	v_add_u32_e32 v1, s8, v1
	v_mov_b32_e32 v2, 0
	ds_write_b32 v2, v1
.LBB306_4:
	s_or_b64 exec, exec, s[6:7]
	s_load_dwordx16 s[36:51], s[4:5], 0x38
	v_mov_b32_e32 v3, 0
	s_waitcnt lgkmcnt(0)
	s_lshl_b64 s[4:5], s[54:55], 3
	s_barrier
	ds_read_b32 v1, v3
	s_add_u32 s6, s52, s4
	s_addc_u32 s7, s53, s5
	s_add_u32 s4, s56, s4
	s_mul_i32 s8, s44, s43
	s_mul_hi_u32 s9, s44, s42
	s_addc_u32 s5, s57, s5
	s_add_i32 s8, s9, s8
	s_mul_i32 s9, s45, s42
	s_add_i32 s8, s8, s9
	s_mul_i32 s9, s44, s42
	s_waitcnt lgkmcnt(0)
	v_readfirstlane_b32 s56, v1
	s_movk_i32 s10, 0xf00
	v_mul_lo_u32 v2, v1, s10
	s_add_u32 s52, s9, s56
	v_lshlrev_b64 v[2:3], 3, v[2:3]
	s_addc_u32 s53, s8, 0
	v_mov_b32_e32 v1, s7
	v_add_co_u32_e32 v74, vcc, s6, v2
	s_add_u32 s6, s46, -1
	v_addc_co_u32_e32 v77, vcc, v1, v3, vcc
	s_addc_u32 s7, s47, -1
	v_mov_b32_e32 v4, s5
	v_add_co_u32_e32 v1, vcc, s4, v2
	s_cmp_eq_u64 s[52:53], s[6:7]
	v_addc_co_u32_e32 v62, vcc, v4, v3, vcc
	s_cselect_b64 s[44:45], -1, 0
	s_cmp_lg_u64 s[52:53], s[6:7]
	s_mov_b64 s[4:5], -1
	s_cselect_b64 s[54:55], -1, 0
	s_mul_i32 s33, s6, 0xfffff100
	s_and_b64 vcc, exec, s[44:45]
	v_mul_u32_u24_e32 v76, 15, v0
	s_barrier
	s_cbranch_vccnz .LBB306_6
; %bb.5:
	v_lshlrev_b32_e32 v68, 3, v0
	v_add_co_u32_e32 v2, vcc, v74, v68
	v_addc_co_u32_e32 v3, vcc, 0, v77, vcc
	v_add_co_u32_e32 v4, vcc, 0x1000, v2
	v_addc_co_u32_e32 v5, vcc, 0, v3, vcc
	flat_load_dwordx2 v[6:7], v[2:3]
	flat_load_dwordx2 v[8:9], v[2:3] offset:2048
	flat_load_dwordx2 v[10:11], v[4:5]
	flat_load_dwordx2 v[12:13], v[4:5] offset:2048
	v_add_co_u32_e32 v4, vcc, 0x2000, v2
	v_addc_co_u32_e32 v5, vcc, 0, v3, vcc
	v_add_co_u32_e32 v14, vcc, 0x3000, v2
	v_addc_co_u32_e32 v15, vcc, 0, v3, vcc
	flat_load_dwordx2 v[16:17], v[4:5]
	flat_load_dwordx2 v[18:19], v[4:5] offset:2048
	flat_load_dwordx2 v[20:21], v[14:15]
	flat_load_dwordx2 v[22:23], v[14:15] offset:2048
	;; [unrolled: 8-line block ×3, first 2 shown]
	v_add_co_u32_e32 v4, vcc, 0x6000, v2
	v_addc_co_u32_e32 v5, vcc, 0, v3, vcc
	v_add_co_u32_e32 v2, vcc, 0x7000, v2
	v_addc_co_u32_e32 v3, vcc, 0, v3, vcc
	flat_load_dwordx2 v[14:15], v[4:5]
	flat_load_dwordx2 v[32:33], v[4:5] offset:2048
	flat_load_dwordx2 v[34:35], v[2:3]
	v_add_co_u32_e32 v36, vcc, v1, v68
	s_movk_i32 s4, 0x1000
	v_addc_co_u32_e32 v37, vcc, 0, v62, vcc
	s_movk_i32 s11, 0x70
	s_movk_i32 s5, 0x2000
	v_mad_u32_u24 v63, v0, s11, v68
	s_movk_i32 s6, 0x3000
	s_movk_i32 s7, 0x4000
	;; [unrolled: 1-line block ×5, first 2 shown]
	s_waitcnt vmcnt(0) lgkmcnt(0)
	ds_write2st64_b64 v68, v[6:7], v[8:9] offset1:4
	ds_write2st64_b64 v68, v[10:11], v[12:13] offset0:8 offset1:12
	ds_write2st64_b64 v68, v[16:17], v[18:19] offset0:16 offset1:20
	;; [unrolled: 1-line block ×6, first 2 shown]
	ds_write_b64 v68, v[34:35] offset:28672
	v_add_co_u32_e32 v30, vcc, s4, v36
	v_addc_co_u32_e32 v31, vcc, 0, v37, vcc
	s_waitcnt lgkmcnt(0)
	s_barrier
	ds_read2_b64 v[26:29], v63 offset1:1
	ds_read2_b64 v[22:25], v63 offset0:2 offset1:3
	ds_read2_b64 v[18:21], v63 offset0:4 offset1:5
	;; [unrolled: 1-line block ×6, first 2 shown]
	ds_read_b64 v[58:59], v63 offset:112
	s_waitcnt lgkmcnt(0)
	s_barrier
	flat_load_dwordx2 v[32:33], v[36:37]
	flat_load_dwordx2 v[34:35], v[36:37] offset:2048
	flat_load_dwordx2 v[38:39], v[30:31]
	flat_load_dwordx2 v[40:41], v[30:31] offset:2048
	v_add_co_u32_e32 v30, vcc, s5, v36
	v_addc_co_u32_e32 v31, vcc, 0, v37, vcc
	v_add_co_u32_e32 v42, vcc, s6, v36
	v_addc_co_u32_e32 v43, vcc, 0, v37, vcc
	flat_load_dwordx2 v[44:45], v[30:31]
	flat_load_dwordx2 v[46:47], v[30:31] offset:2048
	flat_load_dwordx2 v[48:49], v[42:43]
	flat_load_dwordx2 v[50:51], v[42:43] offset:2048
	v_add_co_u32_e32 v30, vcc, s7, v36
	v_addc_co_u32_e32 v31, vcc, 0, v37, vcc
	v_add_co_u32_e32 v42, vcc, s8, v36
	v_addc_co_u32_e32 v43, vcc, 0, v37, vcc
	;; [unrolled: 8-line block ×3, first 2 shown]
	flat_load_dwordx2 v[42:43], v[30:31]
	flat_load_dwordx2 v[64:65], v[30:31] offset:2048
	flat_load_dwordx2 v[66:67], v[36:37]
	v_mul_u32_u24_e32 v30, 15, v0
	s_waitcnt vmcnt(0) lgkmcnt(0)
	ds_write2st64_b64 v68, v[32:33], v[34:35] offset1:4
	ds_write2st64_b64 v68, v[38:39], v[40:41] offset0:8 offset1:12
	ds_write2st64_b64 v68, v[44:45], v[46:47] offset0:16 offset1:20
	;; [unrolled: 1-line block ×6, first 2 shown]
	ds_write_b64 v68, v[66:67] offset:28672
	s_waitcnt lgkmcnt(0)
	s_barrier
	s_add_i32 s33, s33, s48
	s_cbranch_execz .LBB306_7
	s_branch .LBB306_54
.LBB306_6:
                                        ; implicit-def: $vgpr2_vgpr3_vgpr4_vgpr5
                                        ; implicit-def: $vgpr6_vgpr7_vgpr8_vgpr9
                                        ; implicit-def: $vgpr10_vgpr11_vgpr12_vgpr13
                                        ; implicit-def: $vgpr14_vgpr15_vgpr16_vgpr17
                                        ; implicit-def: $vgpr18_vgpr19_vgpr20_vgpr21
                                        ; implicit-def: $vgpr22_vgpr23_vgpr24_vgpr25
                                        ; implicit-def: $vgpr26_vgpr27_vgpr28_vgpr29
                                        ; implicit-def: $vgpr30
                                        ; implicit-def: $vgpr63
                                        ; implicit-def: $vgpr58_vgpr59
	s_andn2_b64 vcc, exec, s[4:5]
	s_add_i32 s33, s33, s48
	s_cbranch_vccnz .LBB306_54
.LBB306_7:
	v_cmp_gt_u32_e32 vcc, s33, v0
                                        ; implicit-def: $vgpr2_vgpr3
	s_and_saveexec_b64 s[6:7], vcc
	s_cbranch_execz .LBB306_9
; %bb.8:
	v_lshlrev_b32_e32 v2, 3, v0
	v_add_co_u32_e64 v2, s[4:5], v74, v2
	v_addc_co_u32_e64 v3, s[4:5], 0, v77, s[4:5]
	flat_load_dwordx2 v[2:3], v[2:3]
.LBB306_9:
	s_or_b64 exec, exec, s[6:7]
	v_or_b32_e32 v4, 0x100, v0
	v_cmp_gt_u32_e64 s[4:5], s33, v4
                                        ; implicit-def: $vgpr4_vgpr5
	s_and_saveexec_b64 s[8:9], s[4:5]
	s_cbranch_execz .LBB306_11
; %bb.10:
	v_lshlrev_b32_e32 v4, 3, v0
	v_add_co_u32_e64 v4, s[6:7], v74, v4
	v_addc_co_u32_e64 v5, s[6:7], 0, v77, s[6:7]
	flat_load_dwordx2 v[4:5], v[4:5] offset:2048
.LBB306_11:
	s_or_b64 exec, exec, s[8:9]
	v_or_b32_e32 v6, 0x200, v0
	v_cmp_gt_u32_e64 s[6:7], s33, v6
	v_lshlrev_b32_e32 v36, 3, v6
                                        ; implicit-def: $vgpr6_vgpr7
	s_and_saveexec_b64 s[10:11], s[6:7]
	s_cbranch_execz .LBB306_13
; %bb.12:
	v_add_co_u32_e64 v6, s[8:9], v74, v36
	v_addc_co_u32_e64 v7, s[8:9], 0, v77, s[8:9]
	flat_load_dwordx2 v[6:7], v[6:7]
.LBB306_13:
	s_or_b64 exec, exec, s[10:11]
	v_or_b32_e32 v8, 0x300, v0
	v_cmp_gt_u32_e64 s[8:9], s33, v8
	v_lshlrev_b32_e32 v38, 3, v8
                                        ; implicit-def: $vgpr8_vgpr9
	s_and_saveexec_b64 s[12:13], s[8:9]
	s_cbranch_execz .LBB306_15
; %bb.14:
	v_add_co_u32_e64 v8, s[10:11], v74, v38
	v_addc_co_u32_e64 v9, s[10:11], 0, v77, s[10:11]
	flat_load_dwordx2 v[8:9], v[8:9]
.LBB306_15:
	s_or_b64 exec, exec, s[12:13]
	v_or_b32_e32 v10, 0x400, v0
	v_cmp_gt_u32_e64 s[10:11], s33, v10
	v_lshlrev_b32_e32 v40, 3, v10
                                        ; implicit-def: $vgpr10_vgpr11
	s_and_saveexec_b64 s[14:15], s[10:11]
	s_cbranch_execz .LBB306_17
; %bb.16:
	v_add_co_u32_e64 v10, s[12:13], v74, v40
	v_addc_co_u32_e64 v11, s[12:13], 0, v77, s[12:13]
	flat_load_dwordx2 v[10:11], v[10:11]
.LBB306_17:
	s_or_b64 exec, exec, s[14:15]
	v_or_b32_e32 v12, 0x500, v0
	v_cmp_gt_u32_e64 s[12:13], s33, v12
	v_lshlrev_b32_e32 v42, 3, v12
                                        ; implicit-def: $vgpr12_vgpr13
	s_and_saveexec_b64 s[16:17], s[12:13]
	s_cbranch_execz .LBB306_19
; %bb.18:
	v_add_co_u32_e64 v12, s[14:15], v74, v42
	v_addc_co_u32_e64 v13, s[14:15], 0, v77, s[14:15]
	flat_load_dwordx2 v[12:13], v[12:13]
.LBB306_19:
	s_or_b64 exec, exec, s[16:17]
	v_or_b32_e32 v14, 0x600, v0
	v_cmp_gt_u32_e64 s[14:15], s33, v14
	v_lshlrev_b32_e32 v44, 3, v14
                                        ; implicit-def: $vgpr14_vgpr15
	s_and_saveexec_b64 s[18:19], s[14:15]
	s_cbranch_execz .LBB306_21
; %bb.20:
	v_add_co_u32_e64 v14, s[16:17], v74, v44
	v_addc_co_u32_e64 v15, s[16:17], 0, v77, s[16:17]
	flat_load_dwordx2 v[14:15], v[14:15]
.LBB306_21:
	s_or_b64 exec, exec, s[18:19]
	v_or_b32_e32 v16, 0x700, v0
	v_cmp_gt_u32_e64 s[16:17], s33, v16
	v_lshlrev_b32_e32 v46, 3, v16
                                        ; implicit-def: $vgpr16_vgpr17
	s_and_saveexec_b64 s[20:21], s[16:17]
	s_cbranch_execz .LBB306_23
; %bb.22:
	v_add_co_u32_e64 v16, s[18:19], v74, v46
	v_addc_co_u32_e64 v17, s[18:19], 0, v77, s[18:19]
	flat_load_dwordx2 v[16:17], v[16:17]
.LBB306_23:
	s_or_b64 exec, exec, s[20:21]
	v_or_b32_e32 v18, 0x800, v0
	v_cmp_gt_u32_e64 s[18:19], s33, v18
	v_lshlrev_b32_e32 v48, 3, v18
                                        ; implicit-def: $vgpr18_vgpr19
	s_and_saveexec_b64 s[22:23], s[18:19]
	s_cbranch_execz .LBB306_25
; %bb.24:
	v_add_co_u32_e64 v18, s[20:21], v74, v48
	v_addc_co_u32_e64 v19, s[20:21], 0, v77, s[20:21]
	flat_load_dwordx2 v[18:19], v[18:19]
.LBB306_25:
	s_or_b64 exec, exec, s[22:23]
	v_or_b32_e32 v20, 0x900, v0
	v_cmp_gt_u32_e64 s[20:21], s33, v20
	v_lshlrev_b32_e32 v50, 3, v20
                                        ; implicit-def: $vgpr20_vgpr21
	s_and_saveexec_b64 s[24:25], s[20:21]
	s_cbranch_execz .LBB306_27
; %bb.26:
	v_add_co_u32_e64 v20, s[22:23], v74, v50
	v_addc_co_u32_e64 v21, s[22:23], 0, v77, s[22:23]
	flat_load_dwordx2 v[20:21], v[20:21]
.LBB306_27:
	s_or_b64 exec, exec, s[24:25]
	v_or_b32_e32 v22, 0xa00, v0
	v_cmp_gt_u32_e64 s[22:23], s33, v22
	v_lshlrev_b32_e32 v52, 3, v22
                                        ; implicit-def: $vgpr22_vgpr23
	s_and_saveexec_b64 s[26:27], s[22:23]
	s_cbranch_execz .LBB306_29
; %bb.28:
	v_add_co_u32_e64 v22, s[24:25], v74, v52
	v_addc_co_u32_e64 v23, s[24:25], 0, v77, s[24:25]
	flat_load_dwordx2 v[22:23], v[22:23]
.LBB306_29:
	s_or_b64 exec, exec, s[26:27]
	v_or_b32_e32 v24, 0xb00, v0
	v_cmp_gt_u32_e64 s[24:25], s33, v24
	v_lshlrev_b32_e32 v54, 3, v24
                                        ; implicit-def: $vgpr24_vgpr25
	s_and_saveexec_b64 s[28:29], s[24:25]
	s_cbranch_execz .LBB306_31
; %bb.30:
	v_add_co_u32_e64 v24, s[26:27], v74, v54
	v_addc_co_u32_e64 v25, s[26:27], 0, v77, s[26:27]
	flat_load_dwordx2 v[24:25], v[24:25]
.LBB306_31:
	s_or_b64 exec, exec, s[28:29]
	v_or_b32_e32 v26, 0xc00, v0
	v_cmp_gt_u32_e64 s[26:27], s33, v26
	v_lshlrev_b32_e32 v56, 3, v26
                                        ; implicit-def: $vgpr26_vgpr27
	s_and_saveexec_b64 s[30:31], s[26:27]
	s_cbranch_execz .LBB306_33
; %bb.32:
	v_add_co_u32_e64 v26, s[28:29], v74, v56
	v_addc_co_u32_e64 v27, s[28:29], 0, v77, s[28:29]
	flat_load_dwordx2 v[26:27], v[26:27]
.LBB306_33:
	s_or_b64 exec, exec, s[30:31]
	v_or_b32_e32 v28, 0xd00, v0
	v_cmp_gt_u32_e64 s[28:29], s33, v28
	v_lshlrev_b32_e32 v60, 3, v28
                                        ; implicit-def: $vgpr28_vgpr29
	s_and_saveexec_b64 s[34:35], s[28:29]
	s_cbranch_execz .LBB306_35
; %bb.34:
	v_add_co_u32_e64 v28, s[30:31], v74, v60
	v_addc_co_u32_e64 v29, s[30:31], 0, v77, s[30:31]
	flat_load_dwordx2 v[28:29], v[28:29]
.LBB306_35:
	s_or_b64 exec, exec, s[34:35]
	v_or_b32_e32 v30, 0xe00, v0
	v_cmp_gt_u32_e64 s[30:31], s33, v30
	v_lshlrev_b32_e32 v64, 3, v30
                                        ; implicit-def: $vgpr30_vgpr31
	s_and_saveexec_b64 s[46:47], s[30:31]
	s_cbranch_execz .LBB306_37
; %bb.36:
	v_add_co_u32_e64 v30, s[34:35], v74, v64
	v_addc_co_u32_e64 v31, s[34:35], 0, v77, s[34:35]
	flat_load_dwordx2 v[30:31], v[30:31]
.LBB306_37:
	s_or_b64 exec, exec, s[46:47]
	v_lshlrev_b32_e32 v65, 3, v0
	s_movk_i32 s34, 0x70
	v_mad_u32_u24 v63, v0, s34, v65
	s_waitcnt vmcnt(0) lgkmcnt(0)
	ds_write2st64_b64 v65, v[2:3], v[4:5] offset1:4
	ds_write2st64_b64 v65, v[6:7], v[8:9] offset0:8 offset1:12
	ds_write2st64_b64 v65, v[10:11], v[12:13] offset0:16 offset1:20
	;; [unrolled: 1-line block ×6, first 2 shown]
	ds_write_b64 v65, v[30:31] offset:28672
	s_waitcnt lgkmcnt(0)
	s_barrier
	ds_read2_b64 v[26:29], v63 offset1:1
	ds_read2_b64 v[22:25], v63 offset0:2 offset1:3
	ds_read2_b64 v[18:21], v63 offset0:4 offset1:5
	;; [unrolled: 1-line block ×6, first 2 shown]
	ds_read_b64 v[58:59], v63 offset:112
	s_waitcnt lgkmcnt(0)
	s_barrier
	s_waitcnt lgkmcnt(0)
                                        ; implicit-def: $vgpr30_vgpr31
	s_and_saveexec_b64 s[34:35], vcc
	s_cbranch_execnz .LBB306_61
; %bb.38:
	s_or_b64 exec, exec, s[34:35]
                                        ; implicit-def: $vgpr32_vgpr33
	s_and_saveexec_b64 s[34:35], s[4:5]
	s_cbranch_execnz .LBB306_62
.LBB306_39:
	s_or_b64 exec, exec, s[34:35]
                                        ; implicit-def: $vgpr34_vgpr35
	s_and_saveexec_b64 s[4:5], s[6:7]
	s_cbranch_execnz .LBB306_63
.LBB306_40:
	s_or_b64 exec, exec, s[4:5]
                                        ; implicit-def: $vgpr36_vgpr37
	s_and_saveexec_b64 s[4:5], s[8:9]
	s_cbranch_execnz .LBB306_64
.LBB306_41:
	s_or_b64 exec, exec, s[4:5]
                                        ; implicit-def: $vgpr38_vgpr39
	s_and_saveexec_b64 s[4:5], s[10:11]
	s_cbranch_execnz .LBB306_65
.LBB306_42:
	s_or_b64 exec, exec, s[4:5]
                                        ; implicit-def: $vgpr40_vgpr41
	s_and_saveexec_b64 s[4:5], s[12:13]
	s_cbranch_execnz .LBB306_66
.LBB306_43:
	s_or_b64 exec, exec, s[4:5]
                                        ; implicit-def: $vgpr42_vgpr43
	s_and_saveexec_b64 s[4:5], s[14:15]
	s_cbranch_execnz .LBB306_67
.LBB306_44:
	s_or_b64 exec, exec, s[4:5]
                                        ; implicit-def: $vgpr44_vgpr45
	s_and_saveexec_b64 s[4:5], s[16:17]
	s_cbranch_execnz .LBB306_68
.LBB306_45:
	s_or_b64 exec, exec, s[4:5]
                                        ; implicit-def: $vgpr46_vgpr47
	s_and_saveexec_b64 s[4:5], s[18:19]
	s_cbranch_execnz .LBB306_69
.LBB306_46:
	s_or_b64 exec, exec, s[4:5]
                                        ; implicit-def: $vgpr48_vgpr49
	s_and_saveexec_b64 s[4:5], s[20:21]
	s_cbranch_execnz .LBB306_70
.LBB306_47:
	s_or_b64 exec, exec, s[4:5]
                                        ; implicit-def: $vgpr50_vgpr51
	s_and_saveexec_b64 s[4:5], s[22:23]
	s_cbranch_execnz .LBB306_71
.LBB306_48:
	s_or_b64 exec, exec, s[4:5]
                                        ; implicit-def: $vgpr52_vgpr53
	s_and_saveexec_b64 s[4:5], s[24:25]
	s_cbranch_execnz .LBB306_72
.LBB306_49:
	s_or_b64 exec, exec, s[4:5]
                                        ; implicit-def: $vgpr54_vgpr55
	s_and_saveexec_b64 s[4:5], s[26:27]
	s_cbranch_execnz .LBB306_73
.LBB306_50:
	s_or_b64 exec, exec, s[4:5]
                                        ; implicit-def: $vgpr56_vgpr57
	s_and_saveexec_b64 s[4:5], s[28:29]
	s_cbranch_execnz .LBB306_74
.LBB306_51:
	s_or_b64 exec, exec, s[4:5]
                                        ; implicit-def: $vgpr60_vgpr61
	s_and_saveexec_b64 s[4:5], s[30:31]
	s_cbranch_execz .LBB306_53
.LBB306_52:
	v_add_co_u32_e32 v60, vcc, v1, v64
	v_addc_co_u32_e32 v61, vcc, 0, v62, vcc
	flat_load_dwordx2 v[60:61], v[60:61]
.LBB306_53:
	s_or_b64 exec, exec, s[4:5]
	s_waitcnt vmcnt(0) lgkmcnt(0)
	ds_write2st64_b64 v65, v[30:31], v[32:33] offset1:4
	ds_write2st64_b64 v65, v[34:35], v[36:37] offset0:8 offset1:12
	ds_write2st64_b64 v65, v[38:39], v[40:41] offset0:16 offset1:20
	;; [unrolled: 1-line block ×6, first 2 shown]
	ds_write_b64 v65, v[60:61] offset:28672
	v_mov_b32_e32 v30, v76
	s_waitcnt lgkmcnt(0)
	s_barrier
.LBB306_54:
	v_lshlrev_b32_e32 v1, 3, v30
	ds_read2_b64 v[50:53], v63 offset1:2
	ds_read2_b64 v[42:45], v63 offset0:4 offset1:6
	ds_read2_b64 v[54:57], v1 offset0:1 offset1:3
	;; [unrolled: 1-line block ×6, first 2 shown]
	ds_read_b64 v[60:61], v1 offset:104
	s_cmp_eq_u64 s[52:53], 0
	s_cselect_b64 s[46:47], -1, 0
	s_cmp_lg_u64 s[52:53], 0
	s_mov_b64 s[4:5], 0
	s_cselect_b64 s[30:31], -1, 0
	s_and_b64 vcc, exec, s[54:55]
	s_waitcnt lgkmcnt(0)
	s_barrier
	s_cbranch_vccz .LBB306_60
; %bb.55:
	s_and_b64 vcc, exec, s[30:31]
	s_cbranch_vccz .LBB306_75
; %bb.56:
	v_add_co_u32_e32 v62, vcc, -8, v74
	v_addc_co_u32_e32 v63, vcc, -1, v77, vcc
	flat_load_dwordx2 v[62:63], v[62:63]
	s_mov_b32 s54, 0x66666667
	s_waitcnt vmcnt(0) lgkmcnt(0)
	v_mul_hi_i32 v63, v4, s54
	v_lshrrev_b32_e32 v64, 31, v63
	v_ashrrev_i32_e32 v63, 2, v63
	v_add_u32_e32 v63, v63, v64
	v_mul_hi_i32 v64, v58, s54
	v_lshrrev_b32_e32 v65, 31, v64
	v_ashrrev_i32_e32 v64, 2, v64
	v_add_u32_e32 v64, v64, v65
	v_cmp_ne_u32_e32 vcc, v63, v64
	v_mul_hi_i32 v64, v2, s54
	v_lshrrev_b32_e32 v65, 31, v64
	v_ashrrev_i32_e32 v64, 2, v64
	v_add_u32_e32 v64, v64, v65
	v_cmp_ne_u32_e64 s[4:5], v64, v63
	v_mul_hi_i32 v63, v8, s54
	v_lshrrev_b32_e32 v65, 31, v63
	v_ashrrev_i32_e32 v63, 2, v63
	v_add_u32_e32 v63, v63, v65
	v_cmp_ne_u32_e64 s[6:7], v63, v64
	;; [unrolled: 5-line block ×12, first 2 shown]
	v_mul_hi_i32 v64, v26, s54
	v_lshrrev_b32_e32 v65, 31, v64
	v_ashrrev_i32_e32 v64, 2, v64
	v_add_u32_e32 v68, v64, v65
	v_lshlrev_b32_e32 v1, 3, v0
	v_cmp_ne_u32_e64 s[28:29], v68, v63
	ds_write_b64 v1, v[58:59]
	s_waitcnt lgkmcnt(0)
	s_barrier
	s_and_saveexec_b64 s[34:35], s[2:3]
	s_cbranch_execz .LBB306_58
; %bb.57:
	v_add_u32_e32 v1, -8, v1
	ds_read_b64 v[62:63], v1
.LBB306_58:
	s_or_b64 exec, exec, s[34:35]
	s_waitcnt lgkmcnt(0)
	v_mul_hi_i32 v62, v62, s54
	v_lshrrev_b32_e32 v69, 31, v62
	v_ashrrev_i32_e32 v62, 2, v62
	v_add_u32_e32 v62, v62, v69
	v_cndmask_b32_e64 v1, 0, 1, vcc
	v_cndmask_b32_e64 v79, 0, 1, s[4:5]
	v_cndmask_b32_e64 v110, 0, 1, s[6:7]
	;; [unrolled: 1-line block ×13, first 2 shown]
	v_cmp_ne_u32_e64 s[8:9], v62, v68
	s_mov_b64 s[4:5], -1
.LBB306_59:
                                        ; implicit-def: $sgpr10
	s_branch .LBB306_79
.LBB306_60:
                                        ; implicit-def: $sgpr8_sgpr9
                                        ; implicit-def: $vgpr1
                                        ; implicit-def: $vgpr79
                                        ; implicit-def: $vgpr110
                                        ; implicit-def: $vgpr63
                                        ; implicit-def: $vgpr111
                                        ; implicit-def: $vgpr65
                                        ; implicit-def: $vgpr64
                                        ; implicit-def: $vgpr67
                                        ; implicit-def: $vgpr66
                                        ; implicit-def: $vgpr71
                                        ; implicit-def: $vgpr70
                                        ; implicit-def: $vgpr73
                                        ; implicit-def: $vgpr72
                                        ; implicit-def: $vgpr75
                                        ; implicit-def: $vgpr69
                                        ; implicit-def: $sgpr10
	s_cbranch_execnz .LBB306_80
	s_branch .LBB306_115
.LBB306_61:
	v_add_co_u32_e32 v30, vcc, v1, v65
	v_addc_co_u32_e32 v31, vcc, 0, v62, vcc
	flat_load_dwordx2 v[30:31], v[30:31]
	s_or_b64 exec, exec, s[34:35]
                                        ; implicit-def: $vgpr32_vgpr33
	s_and_saveexec_b64 s[34:35], s[4:5]
	s_cbranch_execz .LBB306_39
.LBB306_62:
	v_add_co_u32_e32 v32, vcc, v1, v65
	v_addc_co_u32_e32 v33, vcc, 0, v62, vcc
	flat_load_dwordx2 v[32:33], v[32:33] offset:2048
	s_or_b64 exec, exec, s[34:35]
                                        ; implicit-def: $vgpr34_vgpr35
	s_and_saveexec_b64 s[4:5], s[6:7]
	s_cbranch_execz .LBB306_40
.LBB306_63:
	v_add_co_u32_e32 v34, vcc, v1, v36
	v_addc_co_u32_e32 v35, vcc, 0, v62, vcc
	flat_load_dwordx2 v[34:35], v[34:35]
	s_or_b64 exec, exec, s[4:5]
                                        ; implicit-def: $vgpr36_vgpr37
	s_and_saveexec_b64 s[4:5], s[8:9]
	s_cbranch_execz .LBB306_41
.LBB306_64:
	v_add_co_u32_e32 v36, vcc, v1, v38
	v_addc_co_u32_e32 v37, vcc, 0, v62, vcc
	flat_load_dwordx2 v[36:37], v[36:37]
	s_or_b64 exec, exec, s[4:5]
                                        ; implicit-def: $vgpr38_vgpr39
	s_and_saveexec_b64 s[4:5], s[10:11]
	s_cbranch_execz .LBB306_42
.LBB306_65:
	v_add_co_u32_e32 v38, vcc, v1, v40
	v_addc_co_u32_e32 v39, vcc, 0, v62, vcc
	flat_load_dwordx2 v[38:39], v[38:39]
	s_or_b64 exec, exec, s[4:5]
                                        ; implicit-def: $vgpr40_vgpr41
	s_and_saveexec_b64 s[4:5], s[12:13]
	s_cbranch_execz .LBB306_43
.LBB306_66:
	v_add_co_u32_e32 v40, vcc, v1, v42
	v_addc_co_u32_e32 v41, vcc, 0, v62, vcc
	flat_load_dwordx2 v[40:41], v[40:41]
	s_or_b64 exec, exec, s[4:5]
                                        ; implicit-def: $vgpr42_vgpr43
	s_and_saveexec_b64 s[4:5], s[14:15]
	s_cbranch_execz .LBB306_44
.LBB306_67:
	v_add_co_u32_e32 v42, vcc, v1, v44
	v_addc_co_u32_e32 v43, vcc, 0, v62, vcc
	flat_load_dwordx2 v[42:43], v[42:43]
	s_or_b64 exec, exec, s[4:5]
                                        ; implicit-def: $vgpr44_vgpr45
	s_and_saveexec_b64 s[4:5], s[16:17]
	s_cbranch_execz .LBB306_45
.LBB306_68:
	v_add_co_u32_e32 v44, vcc, v1, v46
	v_addc_co_u32_e32 v45, vcc, 0, v62, vcc
	flat_load_dwordx2 v[44:45], v[44:45]
	s_or_b64 exec, exec, s[4:5]
                                        ; implicit-def: $vgpr46_vgpr47
	s_and_saveexec_b64 s[4:5], s[18:19]
	s_cbranch_execz .LBB306_46
.LBB306_69:
	v_add_co_u32_e32 v46, vcc, v1, v48
	v_addc_co_u32_e32 v47, vcc, 0, v62, vcc
	flat_load_dwordx2 v[46:47], v[46:47]
	s_or_b64 exec, exec, s[4:5]
                                        ; implicit-def: $vgpr48_vgpr49
	s_and_saveexec_b64 s[4:5], s[20:21]
	s_cbranch_execz .LBB306_47
.LBB306_70:
	v_add_co_u32_e32 v48, vcc, v1, v50
	v_addc_co_u32_e32 v49, vcc, 0, v62, vcc
	flat_load_dwordx2 v[48:49], v[48:49]
	s_or_b64 exec, exec, s[4:5]
                                        ; implicit-def: $vgpr50_vgpr51
	s_and_saveexec_b64 s[4:5], s[22:23]
	s_cbranch_execz .LBB306_48
.LBB306_71:
	v_add_co_u32_e32 v50, vcc, v1, v52
	v_addc_co_u32_e32 v51, vcc, 0, v62, vcc
	flat_load_dwordx2 v[50:51], v[50:51]
	s_or_b64 exec, exec, s[4:5]
                                        ; implicit-def: $vgpr52_vgpr53
	s_and_saveexec_b64 s[4:5], s[24:25]
	s_cbranch_execz .LBB306_49
.LBB306_72:
	v_add_co_u32_e32 v52, vcc, v1, v54
	v_addc_co_u32_e32 v53, vcc, 0, v62, vcc
	flat_load_dwordx2 v[52:53], v[52:53]
	s_or_b64 exec, exec, s[4:5]
                                        ; implicit-def: $vgpr54_vgpr55
	s_and_saveexec_b64 s[4:5], s[26:27]
	s_cbranch_execz .LBB306_50
.LBB306_73:
	v_add_co_u32_e32 v54, vcc, v1, v56
	v_addc_co_u32_e32 v55, vcc, 0, v62, vcc
	flat_load_dwordx2 v[54:55], v[54:55]
	s_or_b64 exec, exec, s[4:5]
                                        ; implicit-def: $vgpr56_vgpr57
	s_and_saveexec_b64 s[4:5], s[28:29]
	s_cbranch_execz .LBB306_51
.LBB306_74:
	v_add_co_u32_e32 v56, vcc, v1, v60
	v_addc_co_u32_e32 v57, vcc, 0, v62, vcc
	flat_load_dwordx2 v[56:57], v[56:57]
	s_or_b64 exec, exec, s[4:5]
                                        ; implicit-def: $vgpr60_vgpr61
	s_and_saveexec_b64 s[4:5], s[30:31]
	s_cbranch_execnz .LBB306_52
	s_branch .LBB306_53
.LBB306_75:
                                        ; implicit-def: $sgpr8_sgpr9
                                        ; implicit-def: $vgpr1
                                        ; implicit-def: $vgpr79
                                        ; implicit-def: $vgpr110
                                        ; implicit-def: $vgpr63
                                        ; implicit-def: $vgpr111
                                        ; implicit-def: $vgpr65
                                        ; implicit-def: $vgpr64
                                        ; implicit-def: $vgpr67
                                        ; implicit-def: $vgpr66
                                        ; implicit-def: $vgpr71
                                        ; implicit-def: $vgpr70
                                        ; implicit-def: $vgpr73
                                        ; implicit-def: $vgpr72
                                        ; implicit-def: $vgpr75
	s_cbranch_execz .LBB306_59
; %bb.76:
	s_mov_b32 s10, 0x66666667
	v_mul_hi_i32 v1, v4, s10
	v_lshrrev_b32_e32 v63, 31, v1
	v_ashrrev_i32_e32 v1, 2, v1
	v_add_u32_e32 v63, v1, v63
	v_mul_hi_i32 v1, v58, s10
	v_lshrrev_b32_e32 v64, 31, v1
	v_ashrrev_i32_e32 v1, 2, v1
	v_add_u32_e32 v1, v1, v64
	v_mul_hi_i32 v64, v2, s10
	v_lshrrev_b32_e32 v65, 31, v64
	v_ashrrev_i32_e32 v64, 2, v64
	v_cmp_ne_u32_e32 vcc, v63, v1
	v_add_u32_e32 v64, v64, v65
	v_cndmask_b32_e64 v1, 0, 1, vcc
	v_cmp_ne_u32_e32 vcc, v64, v63
	v_mul_hi_i32 v63, v8, s10
	v_lshrrev_b32_e32 v65, 31, v63
	v_ashrrev_i32_e32 v63, 2, v63
	v_add_u32_e32 v63, v63, v65
	v_cndmask_b32_e64 v79, 0, 1, vcc
	v_cmp_ne_u32_e32 vcc, v63, v64
	v_mul_hi_i32 v64, v6, s10
	v_lshrrev_b32_e32 v65, 31, v64
	v_ashrrev_i32_e32 v64, 2, v64
	v_add_u32_e32 v64, v64, v65
	v_mul_hi_i32 v65, v12, s10
	v_lshrrev_b32_e32 v66, 31, v65
	v_ashrrev_i32_e32 v65, 2, v65
	v_cndmask_b32_e64 v110, 0, 1, vcc
	v_cmp_ne_u32_e32 vcc, v64, v63
	v_add_u32_e32 v65, v65, v66
	v_cndmask_b32_e64 v63, 0, 1, vcc
	v_cmp_ne_u32_e32 vcc, v65, v64
	v_mul_hi_i32 v64, v10, s10
	v_lshrrev_b32_e32 v66, 31, v64
	v_ashrrev_i32_e32 v64, 2, v64
	v_add_u32_e32 v64, v64, v66
	v_mul_hi_i32 v66, v16, s10
	v_lshrrev_b32_e32 v67, 31, v66
	v_ashrrev_i32_e32 v66, 2, v66
	v_add_u32_e32 v66, v66, v67
	v_mul_hi_i32 v67, v14, s10
	v_cndmask_b32_e64 v111, 0, 1, vcc
	v_cmp_ne_u32_e32 vcc, v64, v65
	v_lshrrev_b32_e32 v68, 31, v67
	v_ashrrev_i32_e32 v67, 2, v67
	v_cndmask_b32_e64 v65, 0, 1, vcc
	v_cmp_ne_u32_e32 vcc, v66, v64
	v_add_u32_e32 v68, v67, v68
	v_cndmask_b32_e64 v64, 0, 1, vcc
	v_cmp_ne_u32_e32 vcc, v68, v66
	v_mul_hi_i32 v66, v20, s10
	v_lshrrev_b32_e32 v69, 31, v66
	v_ashrrev_i32_e32 v66, 2, v66
	v_add_u32_e32 v69, v66, v69
	v_cndmask_b32_e64 v67, 0, 1, vcc
	v_cmp_ne_u32_e32 vcc, v69, v68
	v_mul_hi_i32 v68, v18, s10
	v_lshrrev_b32_e32 v70, 31, v68
	v_ashrrev_i32_e32 v68, 2, v68
	;; [unrolled: 6-line block ×6, first 2 shown]
	v_add_u32_e32 v68, v68, v75
	v_cndmask_b32_e64 v72, 0, 1, vcc
	v_cmp_ne_u32_e32 vcc, v68, v69
	v_lshlrev_b32_e32 v62, 3, v0
	v_cndmask_b32_e64 v75, 0, 1, vcc
	ds_write_b64 v62, v[58:59]
	s_waitcnt lgkmcnt(0)
	s_barrier
	s_waitcnt lgkmcnt(0)
                                        ; implicit-def: $sgpr8_sgpr9
	s_and_saveexec_b64 s[6:7], s[2:3]
	s_xor_b64 s[6:7], exec, s[6:7]
	s_cbranch_execz .LBB306_78
; %bb.77:
	v_add_u32_e32 v62, -8, v62
	ds_read_b32 v62, v62
	s_or_b64 s[4:5], s[4:5], exec
	s_waitcnt lgkmcnt(0)
	v_mul_hi_i32 v62, v62, s10
	v_lshrrev_b32_e32 v69, 31, v62
	v_ashrrev_i32_e32 v62, 2, v62
	v_add_u32_e32 v62, v62, v69
	v_cmp_ne_u32_e32 vcc, v62, v68
	s_and_b64 s[8:9], vcc, exec
.LBB306_78:
	s_or_b64 exec, exec, s[6:7]
	s_mov_b32 s10, 1
.LBB306_79:
	v_mov_b32_e32 v69, v79
	s_branch .LBB306_115
.LBB306_80:
	s_mul_hi_u32 s7, s52, 0xfffff100
	s_mul_i32 s6, s53, 0xfffff100
	s_sub_i32 s7, s7, s52
	s_add_i32 s7, s7, s6
	s_mul_i32 s6, s52, 0xfffff100
	s_add_u32 s6, s6, s48
	s_addc_u32 s7, s7, s49
	s_and_b64 vcc, exec, s[30:31]
	v_mad_u32_u24 v68, v0, 15, 14
	s_cbranch_vccz .LBB306_252
; %bb.81:
	v_add_co_u32_e32 v62, vcc, -8, v74
	v_addc_co_u32_e32 v63, vcc, -1, v77, vcc
	flat_load_dwordx2 v[80:81], v[62:63]
	v_mov_b32_e32 v79, 0
	v_mov_b32_e32 v69, v79
	v_lshlrev_b32_e32 v77, 3, v0
	v_cmp_gt_u64_e32 vcc, s[6:7], v[68:69]
	v_mov_b32_e32 v1, 0
	ds_write_b64 v77, v[58:59]
	s_and_saveexec_b64 s[4:5], vcc
; %bb.82:
	s_mov_b32 s8, 0x66666667
	v_mul_hi_i32 v1, v4, s8
	v_lshrrev_b32_e32 v62, 31, v1
	v_ashrrev_i32_e32 v1, 2, v1
	v_add_u32_e32 v1, v1, v62
	v_mul_hi_i32 v62, v58, s8
	v_lshrrev_b32_e32 v63, 31, v62
	v_ashrrev_i32_e32 v62, 2, v62
	v_add_u32_e32 v62, v62, v63
	v_cmp_ne_u32_e32 vcc, v1, v62
	v_cndmask_b32_e64 v1, 0, 1, vcc
; %bb.83:
	s_or_b64 exec, exec, s[4:5]
	v_add_u32_e32 v78, 13, v76
	v_cmp_gt_u64_e32 vcc, s[6:7], v[78:79]
	s_and_saveexec_b64 s[4:5], vcc
; %bb.84:
	s_mov_b32 s8, 0x66666667
	v_mul_hi_i32 v62, v2, s8
	v_lshrrev_b32_e32 v63, 31, v62
	v_ashrrev_i32_e32 v62, 2, v62
	v_add_u32_e32 v62, v62, v63
	v_mul_hi_i32 v63, v4, s8
	v_lshrrev_b32_e32 v64, 31, v63
	v_ashrrev_i32_e32 v63, 2, v63
	v_add_u32_e32 v63, v63, v64
	v_cmp_ne_u32_e32 vcc, v62, v63
	v_cndmask_b32_e64 v79, 0, 1, vcc
; %bb.85:
	s_or_b64 exec, exec, s[4:5]
	v_add_u32_e32 v62, 12, v76
	v_mov_b32_e32 v63, 0
	v_cmp_gt_u64_e32 vcc, s[6:7], v[62:63]
	v_mov_b32_e32 v110, 0
	s_and_saveexec_b64 s[4:5], vcc
; %bb.86:
	s_mov_b32 s8, 0x66666667
	v_mul_hi_i32 v62, v8, s8
	v_lshrrev_b32_e32 v64, 31, v62
	v_ashrrev_i32_e32 v62, 2, v62
	v_add_u32_e32 v62, v62, v64
	v_mul_hi_i32 v64, v2, s8
	v_lshrrev_b32_e32 v65, 31, v64
	v_ashrrev_i32_e32 v64, 2, v64
	v_add_u32_e32 v64, v64, v65
	v_cmp_ne_u32_e32 vcc, v62, v64
	v_cndmask_b32_e64 v110, 0, 1, vcc
; %bb.87:
	s_or_b64 exec, exec, s[4:5]
	v_add_u32_e32 v62, 11, v76
	v_cmp_gt_u64_e32 vcc, s[6:7], v[62:63]
	s_and_saveexec_b64 s[4:5], vcc
; %bb.88:
	s_mov_b32 s8, 0x66666667
	v_mul_hi_i32 v62, v6, s8
	v_lshrrev_b32_e32 v63, 31, v62
	v_ashrrev_i32_e32 v62, 2, v62
	v_add_u32_e32 v62, v62, v63
	v_mul_hi_i32 v63, v8, s8
	v_lshrrev_b32_e32 v64, 31, v63
	v_ashrrev_i32_e32 v63, 2, v63
	v_add_u32_e32 v63, v63, v64
	v_cmp_ne_u32_e32 vcc, v62, v63
	v_cndmask_b32_e64 v63, 0, 1, vcc
; %bb.89:
	s_or_b64 exec, exec, s[4:5]
	v_add_u32_e32 v64, 10, v76
	v_mov_b32_e32 v65, 0
	v_cmp_gt_u64_e32 vcc, s[6:7], v[64:65]
	v_mov_b32_e32 v111, 0
	;; [unrolled: 36-line block ×6, first 2 shown]
	s_and_saveexec_b64 s[4:5], vcc
; %bb.106:
	s_mov_b32 s8, 0x66666667
	v_mul_hi_i32 v62, v28, s8
	v_lshrrev_b32_e32 v69, 31, v62
	v_ashrrev_i32_e32 v62, 2, v62
	v_add_u32_e32 v62, v62, v69
	v_mul_hi_i32 v69, v22, s8
	v_lshrrev_b32_e32 v72, 31, v69
	v_ashrrev_i32_e32 v69, 2, v69
	v_add_u32_e32 v69, v69, v72
	v_cmp_ne_u32_e32 vcc, v62, v69
	v_cndmask_b32_e64 v72, 0, 1, vcc
; %bb.107:
	s_or_b64 exec, exec, s[4:5]
	v_add_u32_e32 v74, 1, v76
	v_cmp_gt_u64_e32 vcc, s[6:7], v[74:75]
	s_and_saveexec_b64 s[4:5], vcc
; %bb.108:
	s_mov_b32 s8, 0x66666667
	v_mul_hi_i32 v62, v26, s8
	v_lshrrev_b32_e32 v69, 31, v62
	v_ashrrev_i32_e32 v62, 2, v62
	v_add_u32_e32 v62, v62, v69
	v_mul_hi_i32 v69, v28, s8
	v_lshrrev_b32_e32 v74, 31, v69
	v_ashrrev_i32_e32 v69, 2, v69
	v_add_u32_e32 v69, v69, v74
	v_cmp_ne_u32_e32 vcc, v62, v69
	v_cndmask_b32_e64 v75, 0, 1, vcc
; %bb.109:
	s_or_b64 exec, exec, s[4:5]
	s_waitcnt lgkmcnt(0)
	s_barrier
	s_and_saveexec_b64 s[4:5], s[2:3]
	s_cbranch_execz .LBB306_111
; %bb.110:
	v_add_u32_e32 v62, -8, v77
	s_waitcnt vmcnt(0)
	ds_read_b64 v[80:81], v62
.LBB306_111:
	s_or_b64 exec, exec, s[4:5]
	v_mov_b32_e32 v77, 0
	v_cmp_gt_u64_e32 vcc, s[6:7], v[76:77]
	s_mov_b64 s[10:11], 0
	s_mov_b64 s[8:9], 0
	s_and_saveexec_b64 s[4:5], vcc
	s_cbranch_execz .LBB306_113
; %bb.112:
	s_mov_b32 s8, 0x66666667
	s_waitcnt vmcnt(0) lgkmcnt(0)
	v_mul_hi_i32 v62, v80, s8
	v_lshrrev_b32_e32 v69, 31, v62
	v_ashrrev_i32_e32 v62, 2, v62
	v_add_u32_e32 v62, v62, v69
	v_mul_hi_i32 v69, v26, s8
	v_lshrrev_b32_e32 v74, 31, v69
	v_ashrrev_i32_e32 v69, 2, v69
	v_add_u32_e32 v69, v69, v74
	v_cmp_ne_u32_e32 vcc, v62, v69
	s_and_b64 s[8:9], vcc, exec
.LBB306_113:
	s_or_b64 exec, exec, s[4:5]
	s_mov_b64 s[4:5], -1
	s_and_b64 vcc, exec, s[10:11]
	s_cbranch_vccnz .LBB306_253
.LBB306_114:
                                        ; implicit-def: $vgpr69
                                        ; implicit-def: $sgpr10
.LBB306_115:
	v_mov_b32_e32 v68, s10
	s_and_saveexec_b64 s[2:3], s[4:5]
.LBB306_116:
	v_cndmask_b32_e64 v68, 0, 1, s[8:9]
	v_mov_b32_e32 v69, v79
.LBB306_117:
	s_or_b64 exec, exec, s[2:3]
	s_cmp_eq_u64 s[42:43], 0
	v_add3_u32 v62, v75, v68, v72
	s_cselect_b64 s[30:31], -1, 0
	s_cmp_lg_u32 s56, 0
	v_cmp_eq_u32_e64 s[26:27], 0, v75
	v_cmp_eq_u32_e64 s[24:25], 0, v72
	;; [unrolled: 1-line block ×3, first 2 shown]
	v_add3_u32 v113, v62, v73, v70
	v_cmp_eq_u32_e64 s[20:21], 0, v70
	v_cmp_eq_u32_e64 s[18:19], 0, v71
	v_cmp_eq_u32_e64 s[16:17], 0, v66
	v_cmp_eq_u32_e64 s[14:15], 0, v67
	v_cmp_eq_u32_e64 s[12:13], 0, v64
	v_cmp_eq_u32_e64 s[10:11], 0, v65
	v_cmp_eq_u32_e64 s[8:9], 0, v111
	v_cmp_eq_u32_e64 s[6:7], 0, v63
	v_cmp_eq_u32_e64 s[4:5], 0, v110
	v_cmp_eq_u32_e64 s[2:3], 0, v69
	v_cmp_eq_u32_e32 vcc, 0, v1
	v_mbcnt_lo_u32_b32 v112, -1, 0
	s_cbranch_scc0 .LBB306_184
; %bb.118:
	v_cndmask_b32_e64 v74, 0, v50, s[26:27]
	v_cndmask_b32_e64 v62, 0, v51, s[26:27]
	v_add_co_u32_e64 v74, s[28:29], v74, v54
	v_addc_co_u32_e64 v62, s[28:29], v62, v55, s[28:29]
	v_cndmask_b32_e64 v74, 0, v74, s[24:25]
	v_cndmask_b32_e64 v62, 0, v62, s[24:25]
	v_add_co_u32_e64 v74, s[28:29], v74, v52
	v_addc_co_u32_e64 v62, s[28:29], v62, v53, s[28:29]
	;; [unrolled: 4-line block ×10, first 2 shown]
	v_cndmask_b32_e64 v74, 0, v74, s[6:7]
	v_cndmask_b32_e64 v62, 0, v62, s[6:7]
	v_add_co_u32_e64 v74, s[28:29], v74, v36
	v_add3_u32 v76, v113, v71, v66
	v_addc_co_u32_e64 v62, s[28:29], v62, v37, s[28:29]
	v_cndmask_b32_e64 v74, 0, v74, s[4:5]
	v_add3_u32 v76, v76, v67, v64
	v_cndmask_b32_e64 v62, 0, v62, s[4:5]
	v_add_co_u32_e64 v74, s[28:29], v74, v30
	v_add3_u32 v76, v76, v65, v111
	v_addc_co_u32_e64 v62, s[28:29], v62, v31, s[28:29]
	v_cndmask_b32_e64 v74, 0, v74, s[2:3]
	v_add3_u32 v76, v76, v63, v110
	v_cndmask_b32_e64 v62, 0, v62, s[2:3]
	v_add_co_u32_e64 v77, s[28:29], v74, v60
	v_addc_co_u32_e64 v62, s[28:29], v62, v61, s[28:29]
	v_add3_u32 v74, v76, v69, v1
	v_cndmask_b32_e32 v76, 0, v77, vcc
	v_cndmask_b32_e32 v62, 0, v62, vcc
	v_add_co_u32_e32 v78, vcc, v76, v32
	s_waitcnt vmcnt(0) lgkmcnt(0)
	v_mbcnt_hi_u32_b32 v81, -1, v112
	v_addc_co_u32_e32 v79, vcc, v62, v33, vcc
	v_and_b32_e32 v62, 15, v81
	v_mov_b32_dpp v77, v74 row_shr:1 row_mask:0xf bank_mask:0xf
	v_mov_b32_dpp v76, v78 row_shr:1 row_mask:0xf bank_mask:0xf
	;; [unrolled: 1-line block ×3, first 2 shown]
	v_cmp_ne_u32_e32 vcc, 0, v62
	s_and_saveexec_b64 s[28:29], vcc
; %bb.119:
	v_cmp_eq_u32_e32 vcc, 0, v74
	v_cndmask_b32_e32 v76, 0, v76, vcc
	v_add_u32_e32 v77, v77, v74
	v_cndmask_b32_e32 v74, 0, v80, vcc
	v_add_co_u32_e32 v78, vcc, v76, v78
	v_addc_co_u32_e32 v79, vcc, v74, v79, vcc
	v_mov_b32_e32 v74, v77
; %bb.120:
	s_or_b64 exec, exec, s[28:29]
	s_nop 0
	v_mov_b32_dpp v77, v74 row_shr:2 row_mask:0xf bank_mask:0xf
	v_mov_b32_dpp v76, v78 row_shr:2 row_mask:0xf bank_mask:0xf
	v_mov_b32_dpp v80, v79 row_shr:2 row_mask:0xf bank_mask:0xf
	v_cmp_lt_u32_e32 vcc, 1, v62
	s_and_saveexec_b64 s[28:29], vcc
; %bb.121:
	v_cmp_eq_u32_e32 vcc, 0, v74
	v_cndmask_b32_e32 v76, 0, v76, vcc
	v_add_u32_e32 v77, v77, v74
	v_cndmask_b32_e32 v74, 0, v80, vcc
	v_add_co_u32_e32 v78, vcc, v76, v78
	v_addc_co_u32_e32 v79, vcc, v74, v79, vcc
	v_mov_b32_e32 v74, v77
; %bb.122:
	s_or_b64 exec, exec, s[28:29]
	s_nop 0
	v_mov_b32_dpp v77, v74 row_shr:4 row_mask:0xf bank_mask:0xf
	v_mov_b32_dpp v76, v78 row_shr:4 row_mask:0xf bank_mask:0xf
	v_mov_b32_dpp v80, v79 row_shr:4 row_mask:0xf bank_mask:0xf
	v_cmp_lt_u32_e32 vcc, 3, v62
	;; [unrolled: 16-line block ×3, first 2 shown]
	s_and_saveexec_b64 s[28:29], vcc
; %bb.125:
	v_cmp_eq_u32_e32 vcc, 0, v74
	v_cndmask_b32_e32 v76, 0, v76, vcc
	v_add_u32_e32 v62, v77, v74
	v_cndmask_b32_e32 v74, 0, v80, vcc
	v_add_co_u32_e32 v78, vcc, v76, v78
	v_addc_co_u32_e32 v79, vcc, v74, v79, vcc
	v_mov_b32_e32 v74, v62
; %bb.126:
	s_or_b64 exec, exec, s[28:29]
	v_and_b32_e32 v80, 16, v81
	v_mov_b32_dpp v76, v74 row_bcast:15 row_mask:0xf bank_mask:0xf
	v_mov_b32_dpp v62, v78 row_bcast:15 row_mask:0xf bank_mask:0xf
	;; [unrolled: 1-line block ×3, first 2 shown]
	v_cmp_ne_u32_e32 vcc, 0, v80
	s_and_saveexec_b64 s[28:29], vcc
; %bb.127:
	v_cmp_eq_u32_e32 vcc, 0, v74
	v_cndmask_b32_e32 v62, 0, v62, vcc
	v_add_u32_e32 v76, v76, v74
	v_cndmask_b32_e32 v74, 0, v77, vcc
	v_add_co_u32_e32 v78, vcc, v62, v78
	v_addc_co_u32_e32 v79, vcc, v74, v79, vcc
	v_mov_b32_e32 v74, v76
; %bb.128:
	s_or_b64 exec, exec, s[28:29]
	s_nop 0
	v_mov_b32_dpp v76, v74 row_bcast:31 row_mask:0xf bank_mask:0xf
	v_mov_b32_dpp v62, v78 row_bcast:31 row_mask:0xf bank_mask:0xf
	;; [unrolled: 1-line block ×3, first 2 shown]
	v_cmp_lt_u32_e32 vcc, 31, v81
	s_and_saveexec_b64 s[28:29], vcc
; %bb.129:
	v_cmp_eq_u32_e32 vcc, 0, v74
	v_cndmask_b32_e32 v62, 0, v62, vcc
	v_add_u32_e32 v76, v76, v74
	v_cndmask_b32_e32 v74, 0, v77, vcc
	v_add_co_u32_e32 v78, vcc, v62, v78
	v_addc_co_u32_e32 v79, vcc, v74, v79, vcc
	v_mov_b32_e32 v74, v76
; %bb.130:
	s_or_b64 exec, exec, s[28:29]
	v_lshrrev_b32_e32 v62, 6, v0
	v_or_b32_e32 v76, 63, v0
	v_cmp_eq_u32_e32 vcc, v76, v0
	v_lshlrev_b32_e32 v80, 4, v62
	s_and_saveexec_b64 s[28:29], vcc
	s_cbranch_execz .LBB306_132
; %bb.131:
	ds_write_b32 v80, v74 offset:4128
	ds_write_b64 v80, v[78:79] offset:4136
.LBB306_132:
	s_or_b64 exec, exec, s[28:29]
	v_cmp_gt_u32_e32 vcc, 4, v0
	s_waitcnt lgkmcnt(0)
	s_barrier
	s_and_saveexec_b64 s[28:29], vcc
	s_cbranch_execz .LBB306_138
; %bb.133:
	v_lshlrev_b32_e32 v62, 4, v0
	ds_read_b32 v82, v62 offset:4128
	ds_read_b64 v[76:77], v62 offset:4136
	v_and_b32_e32 v83, 3, v81
	v_cmp_ne_u32_e32 vcc, 0, v83
	s_waitcnt lgkmcnt(1)
	v_mov_b32_dpp v85, v82 row_shr:1 row_mask:0xf bank_mask:0xf
	s_waitcnt lgkmcnt(0)
	v_mov_b32_dpp v84, v76 row_shr:1 row_mask:0xf bank_mask:0xf
	v_mov_b32_dpp v86, v77 row_shr:1 row_mask:0xf bank_mask:0xf
	s_and_saveexec_b64 s[34:35], vcc
; %bb.134:
	v_cmp_eq_u32_e32 vcc, 0, v82
	v_cndmask_b32_e32 v84, 0, v84, vcc
	v_add_u32_e32 v85, v85, v82
	v_cndmask_b32_e32 v82, 0, v86, vcc
	v_add_co_u32_e32 v76, vcc, v84, v76
	v_addc_co_u32_e32 v77, vcc, v82, v77, vcc
	v_mov_b32_e32 v82, v85
; %bb.135:
	s_or_b64 exec, exec, s[34:35]
	s_nop 0
	v_mov_b32_dpp v85, v82 row_shr:2 row_mask:0xf bank_mask:0xf
	v_mov_b32_dpp v84, v76 row_shr:2 row_mask:0xf bank_mask:0xf
	;; [unrolled: 1-line block ×3, first 2 shown]
	v_cmp_lt_u32_e32 vcc, 1, v83
	s_and_saveexec_b64 s[34:35], vcc
; %bb.136:
	v_cmp_eq_u32_e32 vcc, 0, v82
	v_cndmask_b32_e32 v84, 0, v84, vcc
	v_add_u32_e32 v83, v85, v82
	v_cndmask_b32_e32 v82, 0, v86, vcc
	v_add_co_u32_e32 v76, vcc, v84, v76
	v_addc_co_u32_e32 v77, vcc, v82, v77, vcc
	v_mov_b32_e32 v82, v83
; %bb.137:
	s_or_b64 exec, exec, s[34:35]
	ds_write_b32 v62, v82 offset:4128
	ds_write_b64 v62, v[76:77] offset:4136
.LBB306_138:
	s_or_b64 exec, exec, s[28:29]
	v_cmp_gt_u32_e32 vcc, 64, v0
	v_cmp_lt_u32_e64 s[28:29], 63, v0
	v_pk_mov_b32 v[76:77], 0, 0
	v_mov_b32_e32 v62, 0
	s_waitcnt lgkmcnt(0)
	s_barrier
	s_and_saveexec_b64 s[34:35], s[28:29]
	s_cbranch_execz .LBB306_140
; %bb.139:
	ds_read_b32 v62, v80 offset:4112
	ds_read_b64 v[76:77], v80 offset:4120
	v_cmp_eq_u32_e64 s[28:29], 0, v74
	s_waitcnt lgkmcnt(1)
	v_add_u32_e32 v80, v62, v74
	s_waitcnt lgkmcnt(0)
	v_cndmask_b32_e64 v82, 0, v76, s[28:29]
	v_cndmask_b32_e64 v74, 0, v77, s[28:29]
	v_add_co_u32_e64 v78, s[28:29], v82, v78
	v_addc_co_u32_e64 v79, s[28:29], v74, v79, s[28:29]
	v_mov_b32_e32 v74, v80
.LBB306_140:
	s_or_b64 exec, exec, s[34:35]
	v_add_u32_e32 v80, -1, v81
	v_and_b32_e32 v82, 64, v81
	v_cmp_lt_i32_e64 s[28:29], v80, v82
	v_cndmask_b32_e64 v80, v80, v81, s[28:29]
	v_lshlrev_b32_e32 v80, 2, v80
	ds_bpermute_b32 v74, v80, v74
	ds_bpermute_b32 v88, v80, v78
	;; [unrolled: 1-line block ×3, first 2 shown]
	v_cmp_eq_u32_e64 s[28:29], 0, v81
	s_and_saveexec_b64 s[34:35], vcc
	s_cbranch_execz .LBB306_183
; %bb.141:
	v_mov_b32_e32 v83, 0
	ds_read_b32 v90, v83 offset:4176
	ds_read_b64 v[78:79], v83 offset:4184
	s_and_saveexec_b64 s[42:43], s[28:29]
	s_cbranch_execz .LBB306_143
; %bb.142:
	s_add_i32 s48, s56, 64
	s_mov_b32 s49, 0
	s_lshl_b64 s[52:53], s[48:49], 4
	s_add_u32 s52, s36, s52
	s_addc_u32 s53, s37, s53
	v_mov_b32_e32 v80, s48
	v_mov_b32_e32 v82, 1
	s_waitcnt lgkmcnt(1)
	global_store_dword v83, v90, s[52:53]
	s_waitcnt lgkmcnt(0)
	global_store_dwordx2 v83, v[78:79], s[52:53] offset:8
	s_waitcnt vmcnt(0)
	buffer_wbinvl1_vol
	global_store_byte v80, v82, s[40:41]
.LBB306_143:
	s_or_b64 exec, exec, s[42:43]
	v_xad_u32 v80, v81, -1, s56
	v_add_u32_e32 v82, 64, v80
	global_load_ubyte v91, v82, s[40:41] glc
	s_waitcnt vmcnt(0)
	v_cmp_eq_u16_e32 vcc, 0, v91
	s_and_saveexec_b64 s[42:43], vcc
	s_cbranch_execz .LBB306_147
; %bb.144:
	v_mov_b32_e32 v85, s41
	v_add_co_u32_e32 v84, vcc, s40, v82
	v_addc_co_u32_e32 v85, vcc, 0, v85, vcc
	s_mov_b64 s[48:49], 0
.LBB306_145:                            ; =>This Inner Loop Header: Depth=1
	global_load_ubyte v91, v[84:85], off glc
	s_waitcnt vmcnt(0)
	v_cmp_ne_u16_e32 vcc, 0, v91
	s_or_b64 s[48:49], vcc, s[48:49]
	s_andn2_b64 exec, exec, s[48:49]
	s_cbranch_execnz .LBB306_145
; %bb.146:
	s_or_b64 exec, exec, s[48:49]
.LBB306_147:
	s_or_b64 exec, exec, s[42:43]
	v_mov_b32_e32 v84, s39
	v_mov_b32_e32 v85, s37
	v_cmp_eq_u16_e32 vcc, 1, v91
	v_cndmask_b32_e32 v84, v84, v85, vcc
	v_mov_b32_e32 v85, s38
	v_mov_b32_e32 v86, s36
	v_cndmask_b32_e32 v85, v85, v86, vcc
	v_lshlrev_b64 v[82:83], 4, v[82:83]
	v_add_co_u32_e32 v82, vcc, v85, v82
	v_addc_co_u32_e32 v83, vcc, v84, v83, vcc
	s_waitcnt lgkmcnt(0)
	buffer_wbinvl1_vol
	global_load_dword v106, v[82:83], off
	global_load_dwordx2 v[86:87], v[82:83], off offset:8
	v_cmp_eq_u16_e32 vcc, 2, v91
	v_lshlrev_b64 v[82:83], v81, -1
	v_and_b32_e32 v92, 63, v81
	v_and_b32_e32 v84, vcc_hi, v83
	v_and_b32_e32 v96, vcc_lo, v82
	v_cmp_ne_u32_e32 vcc, 63, v92
	v_addc_co_u32_e32 v85, vcc, 0, v81, vcc
	v_lshlrev_b32_e32 v93, 2, v85
	v_or_b32_e32 v84, 0x80000000, v84
	v_ffbl_b32_e32 v84, v84
	v_add_u32_e32 v84, 32, v84
	v_ffbl_b32_e32 v96, v96
	v_min_u32_e32 v84, v96, v84
	v_cmp_lt_u32_e32 vcc, v92, v84
	s_waitcnt vmcnt(1)
	ds_bpermute_b32 v94, v93, v106
	s_waitcnt vmcnt(0)
	ds_bpermute_b32 v85, v93, v86
	ds_bpermute_b32 v95, v93, v87
	s_and_saveexec_b64 s[42:43], vcc
	s_cbranch_execz .LBB306_149
; %bb.148:
	v_cmp_eq_u32_e32 vcc, 0, v106
	s_waitcnt lgkmcnt(1)
	v_cndmask_b32_e32 v85, 0, v85, vcc
	v_add_u32_e32 v94, v94, v106
	s_waitcnt lgkmcnt(0)
	v_cndmask_b32_e32 v95, 0, v95, vcc
	v_add_co_u32_e32 v86, vcc, v85, v86
	v_addc_co_u32_e32 v87, vcc, v95, v87, vcc
	v_mov_b32_e32 v106, v94
.LBB306_149:
	s_or_b64 exec, exec, s[42:43]
	v_cmp_gt_u32_e32 vcc, 62, v92
	s_waitcnt lgkmcnt(1)
	v_cndmask_b32_e64 v85, 0, 1, vcc
	v_lshlrev_b32_e32 v85, 1, v85
	v_add_lshl_u32 v94, v85, v81, 2
	ds_bpermute_b32 v96, v94, v106
	ds_bpermute_b32 v85, v94, v86
	ds_bpermute_b32 v97, v94, v87
	s_waitcnt lgkmcnt(3)
	v_add_u32_e32 v95, 2, v92
	v_cmp_le_u32_e32 vcc, v95, v84
	s_and_saveexec_b64 s[42:43], vcc
	s_cbranch_execz .LBB306_151
; %bb.150:
	v_cmp_eq_u32_e32 vcc, 0, v106
	s_waitcnt lgkmcnt(1)
	v_cndmask_b32_e32 v85, 0, v85, vcc
	v_add_u32_e32 v96, v96, v106
	s_waitcnt lgkmcnt(0)
	v_cndmask_b32_e32 v97, 0, v97, vcc
	v_add_co_u32_e32 v86, vcc, v85, v86
	v_addc_co_u32_e32 v87, vcc, v97, v87, vcc
	v_mov_b32_e32 v106, v96
.LBB306_151:
	s_or_b64 exec, exec, s[42:43]
	v_cmp_gt_u32_e32 vcc, 60, v92
	s_waitcnt lgkmcnt(1)
	v_cndmask_b32_e64 v85, 0, 1, vcc
	v_lshlrev_b32_e32 v85, 2, v85
	v_add_lshl_u32 v96, v85, v81, 2
	ds_bpermute_b32 v98, v96, v106
	ds_bpermute_b32 v85, v96, v86
	ds_bpermute_b32 v99, v96, v87
	s_waitcnt lgkmcnt(3)
	v_add_u32_e32 v97, 4, v92
	v_cmp_le_u32_e32 vcc, v97, v84
	s_and_saveexec_b64 s[42:43], vcc
	s_cbranch_execz .LBB306_153
; %bb.152:
	v_cmp_eq_u32_e32 vcc, 0, v106
	s_waitcnt lgkmcnt(1)
	v_cndmask_b32_e32 v85, 0, v85, vcc
	v_add_u32_e32 v98, v98, v106
	s_waitcnt lgkmcnt(0)
	v_cndmask_b32_e32 v99, 0, v99, vcc
	v_add_co_u32_e32 v86, vcc, v85, v86
	v_addc_co_u32_e32 v87, vcc, v99, v87, vcc
	v_mov_b32_e32 v106, v98
.LBB306_153:
	s_or_b64 exec, exec, s[42:43]
	v_cmp_gt_u32_e32 vcc, 56, v92
	s_waitcnt lgkmcnt(1)
	v_cndmask_b32_e64 v85, 0, 1, vcc
	v_lshlrev_b32_e32 v85, 3, v85
	v_add_lshl_u32 v98, v85, v81, 2
	ds_bpermute_b32 v100, v98, v106
	ds_bpermute_b32 v85, v98, v86
	ds_bpermute_b32 v101, v98, v87
	s_waitcnt lgkmcnt(3)
	v_add_u32_e32 v99, 8, v92
	v_cmp_le_u32_e32 vcc, v99, v84
	s_and_saveexec_b64 s[42:43], vcc
	s_cbranch_execz .LBB306_155
; %bb.154:
	v_cmp_eq_u32_e32 vcc, 0, v106
	s_waitcnt lgkmcnt(1)
	v_cndmask_b32_e32 v85, 0, v85, vcc
	v_add_u32_e32 v100, v100, v106
	s_waitcnt lgkmcnt(0)
	v_cndmask_b32_e32 v101, 0, v101, vcc
	v_add_co_u32_e32 v86, vcc, v85, v86
	v_addc_co_u32_e32 v87, vcc, v101, v87, vcc
	v_mov_b32_e32 v106, v100
.LBB306_155:
	s_or_b64 exec, exec, s[42:43]
	v_cmp_gt_u32_e32 vcc, 48, v92
	s_waitcnt lgkmcnt(1)
	v_cndmask_b32_e64 v85, 0, 1, vcc
	v_lshlrev_b32_e32 v85, 4, v85
	v_add_lshl_u32 v100, v85, v81, 2
	ds_bpermute_b32 v102, v100, v106
	ds_bpermute_b32 v85, v100, v86
	ds_bpermute_b32 v103, v100, v87
	s_waitcnt lgkmcnt(3)
	v_add_u32_e32 v101, 16, v92
	v_cmp_le_u32_e32 vcc, v101, v84
	s_and_saveexec_b64 s[42:43], vcc
	s_cbranch_execz .LBB306_157
; %bb.156:
	v_cmp_eq_u32_e32 vcc, 0, v106
	s_waitcnt lgkmcnt(1)
	v_cndmask_b32_e32 v85, 0, v85, vcc
	v_add_u32_e32 v102, v102, v106
	s_waitcnt lgkmcnt(0)
	v_cndmask_b32_e32 v103, 0, v103, vcc
	v_add_co_u32_e32 v86, vcc, v85, v86
	v_addc_co_u32_e32 v87, vcc, v103, v87, vcc
	v_mov_b32_e32 v106, v102
.LBB306_157:
	s_or_b64 exec, exec, s[42:43]
	v_cmp_gt_u32_e32 vcc, 32, v92
	s_waitcnt lgkmcnt(1)
	v_cndmask_b32_e64 v85, 0, 1, vcc
	v_lshlrev_b32_e32 v85, 5, v85
	v_add_lshl_u32 v102, v85, v81, 2
	ds_bpermute_b32 v85, v102, v106
	ds_bpermute_b32 v81, v102, v86
	s_waitcnt lgkmcnt(2)
	ds_bpermute_b32 v103, v102, v87
	v_add_u32_e32 v104, 32, v92
	v_cmp_le_u32_e32 vcc, v104, v84
	s_and_saveexec_b64 s[42:43], vcc
	s_cbranch_execz .LBB306_159
; %bb.158:
	v_cmp_eq_u32_e32 vcc, 0, v106
	s_waitcnt lgkmcnt(1)
	v_cndmask_b32_e32 v81, 0, v81, vcc
	v_add_u32_e32 v84, v85, v106
	s_waitcnt lgkmcnt(0)
	v_cndmask_b32_e32 v85, 0, v103, vcc
	v_add_co_u32_e32 v86, vcc, v81, v86
	v_addc_co_u32_e32 v87, vcc, v85, v87, vcc
	v_mov_b32_e32 v106, v84
.LBB306_159:
	s_or_b64 exec, exec, s[42:43]
	s_waitcnt lgkmcnt(1)
	v_mov_b32_e32 v81, 0
	v_mov_b32_e32 v105, 2
	s_branch .LBB306_161
.LBB306_160:                            ;   in Loop: Header=BB306_161 Depth=1
	s_or_b64 exec, exec, s[42:43]
	v_cmp_eq_u32_e32 vcc, 0, v103
	v_cndmask_b32_e32 v86, 0, v86, vcc
	v_cndmask_b32_e32 v87, 0, v87, vcc
	v_add_co_u32_e32 v86, vcc, v86, v84
	v_subrev_u32_e32 v80, 64, v80
	v_add_u32_e32 v106, v107, v103
	v_addc_co_u32_e32 v87, vcc, v87, v85, vcc
.LBB306_161:                            ; =>This Loop Header: Depth=1
                                        ;     Child Loop BB306_164 Depth 2
	v_cmp_ne_u16_sdwa s[42:43], v91, v105 src0_sel:BYTE_0 src1_sel:DWORD
	v_pk_mov_b32 v[84:85], v[86:87], v[86:87] op_sel:[0,1]
	v_cndmask_b32_e64 v86, 0, 1, s[42:43]
	;;#ASMSTART
	;;#ASMEND
	v_cmp_ne_u32_e32 vcc, 0, v86
	s_cmp_lg_u64 vcc, exec
	s_waitcnt lgkmcnt(0)
	v_mov_b32_e32 v103, v106
	s_cbranch_scc1 .LBB306_178
; %bb.162:                              ;   in Loop: Header=BB306_161 Depth=1
	global_load_ubyte v91, v80, s[40:41] glc
	s_waitcnt vmcnt(0)
	v_cmp_eq_u16_e32 vcc, 0, v91
	s_and_saveexec_b64 s[42:43], vcc
	s_cbranch_execz .LBB306_166
; %bb.163:                              ;   in Loop: Header=BB306_161 Depth=1
	v_mov_b32_e32 v87, s41
	v_add_co_u32_e32 v86, vcc, s40, v80
	v_addc_co_u32_e32 v87, vcc, 0, v87, vcc
	s_mov_b64 s[48:49], 0
.LBB306_164:                            ;   Parent Loop BB306_161 Depth=1
                                        ; =>  This Inner Loop Header: Depth=2
	global_load_ubyte v91, v[86:87], off glc
	s_waitcnt vmcnt(0)
	v_cmp_ne_u16_e32 vcc, 0, v91
	s_or_b64 s[48:49], vcc, s[48:49]
	s_andn2_b64 exec, exec, s[48:49]
	s_cbranch_execnz .LBB306_164
; %bb.165:                              ;   in Loop: Header=BB306_161 Depth=1
	s_or_b64 exec, exec, s[48:49]
.LBB306_166:                            ;   in Loop: Header=BB306_161 Depth=1
	s_or_b64 exec, exec, s[42:43]
	v_mov_b32_e32 v86, s39
	v_mov_b32_e32 v87, s37
	v_cmp_eq_u16_e32 vcc, 1, v91
	v_cndmask_b32_e32 v106, v86, v87, vcc
	v_mov_b32_e32 v86, s38
	v_mov_b32_e32 v87, s36
	v_cndmask_b32_e32 v107, v86, v87, vcc
	v_lshlrev_b64 v[86:87], 4, v[80:81]
	v_add_co_u32_e32 v86, vcc, v107, v86
	v_addc_co_u32_e32 v87, vcc, v106, v87, vcc
	buffer_wbinvl1_vol
	global_load_dword v107, v[86:87], off
	s_nop 0
	global_load_dwordx2 v[86:87], v[86:87], off offset:8
	v_cmp_eq_u16_e32 vcc, 2, v91
	v_and_b32_e32 v106, vcc_hi, v83
	v_or_b32_e32 v106, 0x80000000, v106
	v_and_b32_e32 v115, vcc_lo, v82
	v_ffbl_b32_e32 v106, v106
	v_add_u32_e32 v106, 32, v106
	v_ffbl_b32_e32 v115, v115
	v_min_u32_e32 v106, v115, v106
	v_cmp_lt_u32_e32 vcc, v92, v106
	s_waitcnt vmcnt(1)
	ds_bpermute_b32 v109, v93, v107
	s_waitcnt vmcnt(0)
	ds_bpermute_b32 v108, v93, v86
	ds_bpermute_b32 v114, v93, v87
	s_and_saveexec_b64 s[42:43], vcc
	s_cbranch_execz .LBB306_168
; %bb.167:                              ;   in Loop: Header=BB306_161 Depth=1
	v_cmp_eq_u32_e32 vcc, 0, v107
	s_waitcnt lgkmcnt(1)
	v_cndmask_b32_e32 v108, 0, v108, vcc
	v_add_u32_e32 v109, v109, v107
	s_waitcnt lgkmcnt(0)
	v_cndmask_b32_e32 v107, 0, v114, vcc
	v_add_co_u32_e32 v86, vcc, v108, v86
	v_addc_co_u32_e32 v87, vcc, v107, v87, vcc
	v_mov_b32_e32 v107, v109
.LBB306_168:                            ;   in Loop: Header=BB306_161 Depth=1
	s_or_b64 exec, exec, s[42:43]
	s_waitcnt lgkmcnt(2)
	ds_bpermute_b32 v109, v94, v107
	s_waitcnt lgkmcnt(2)
	ds_bpermute_b32 v108, v94, v86
	s_waitcnt lgkmcnt(2)
	ds_bpermute_b32 v114, v94, v87
	v_cmp_le_u32_e32 vcc, v95, v106
	s_and_saveexec_b64 s[42:43], vcc
	s_cbranch_execz .LBB306_170
; %bb.169:                              ;   in Loop: Header=BB306_161 Depth=1
	v_cmp_eq_u32_e32 vcc, 0, v107
	s_waitcnt lgkmcnt(1)
	v_cndmask_b32_e32 v108, 0, v108, vcc
	v_add_u32_e32 v109, v109, v107
	s_waitcnt lgkmcnt(0)
	v_cndmask_b32_e32 v107, 0, v114, vcc
	v_add_co_u32_e32 v86, vcc, v108, v86
	v_addc_co_u32_e32 v87, vcc, v107, v87, vcc
	v_mov_b32_e32 v107, v109
.LBB306_170:                            ;   in Loop: Header=BB306_161 Depth=1
	s_or_b64 exec, exec, s[42:43]
	s_waitcnt lgkmcnt(2)
	ds_bpermute_b32 v109, v96, v107
	s_waitcnt lgkmcnt(2)
	ds_bpermute_b32 v108, v96, v86
	s_waitcnt lgkmcnt(2)
	ds_bpermute_b32 v114, v96, v87
	v_cmp_le_u32_e32 vcc, v97, v106
	;; [unrolled: 21-line block ×5, first 2 shown]
	s_and_saveexec_b64 s[42:43], vcc
	s_cbranch_execz .LBB306_160
; %bb.177:                              ;   in Loop: Header=BB306_161 Depth=1
	v_cmp_eq_u32_e32 vcc, 0, v107
	s_waitcnt lgkmcnt(1)
	v_cndmask_b32_e32 v108, 0, v108, vcc
	v_add_u32_e32 v106, v109, v107
	s_waitcnt lgkmcnt(0)
	v_cndmask_b32_e32 v107, 0, v114, vcc
	v_add_co_u32_e32 v86, vcc, v108, v86
	v_addc_co_u32_e32 v87, vcc, v107, v87, vcc
	v_mov_b32_e32 v107, v106
	s_branch .LBB306_160
.LBB306_178:                            ;   in Loop: Header=BB306_161 Depth=1
                                        ; implicit-def: $vgpr86_vgpr87
                                        ; implicit-def: $vgpr106
                                        ; implicit-def: $vgpr91
	s_cbranch_execz .LBB306_161
; %bb.179:
	s_and_saveexec_b64 s[36:37], s[28:29]
	s_cbranch_execz .LBB306_181
; %bb.180:
	s_mov_b32 s43, 0
	v_cmp_eq_u32_e32 vcc, 0, v90
	s_add_i32 s42, s56, 64
	v_cndmask_b32_e32 v80, 0, v84, vcc
	s_lshl_b64 s[48:49], s[42:43], 4
	v_cndmask_b32_e32 v81, 0, v85, vcc
	v_add_co_u32_e32 v80, vcc, v80, v78
	s_add_u32 s48, s38, s48
	v_add_u32_e32 v82, v103, v90
	v_addc_co_u32_e32 v81, vcc, v81, v79, vcc
	s_addc_u32 s49, s39, s49
	v_mov_b32_e32 v83, 0
	global_store_dword v83, v82, s[48:49]
	global_store_dwordx2 v83, v[80:81], s[48:49] offset:8
	v_mov_b32_e32 v80, s42
	v_mov_b32_e32 v81, 2
	s_waitcnt vmcnt(0) lgkmcnt(0)
	buffer_wbinvl1_vol
	global_store_byte v80, v81, s[40:41]
	ds_write_b32 v83, v90 offset:4096
	ds_write_b64 v83, v[78:79] offset:4104
	ds_write_b32 v83, v103 offset:4112
	ds_write_b64 v83, v[84:85] offset:4120
.LBB306_181:
	s_or_b64 exec, exec, s[36:37]
	s_and_b64 exec, exec, s[0:1]
	s_cbranch_execz .LBB306_183
; %bb.182:
	v_mov_b32_e32 v78, 0
	ds_write_b32 v78, v103 offset:4176
	ds_write_b64 v78, v[84:85] offset:4184
.LBB306_183:
	s_or_b64 exec, exec, s[34:35]
	v_mov_b32_e32 v106, 0
	s_waitcnt lgkmcnt(0)
	s_barrier
	ds_read_b32 v80, v106 offset:4176
	ds_read_b64 v[78:79], v106 offset:4184
	v_cndmask_b32_e64 v62, v74, v62, s[28:29]
	v_cmp_eq_u32_e32 vcc, 0, v62
	v_cndmask_b32_e64 v76, v88, v76, s[28:29]
	v_cndmask_b32_e64 v77, v89, v77, s[28:29]
	s_waitcnt lgkmcnt(0)
	v_cndmask_b32_e32 v81, 0, v78, vcc
	v_cndmask_b32_e32 v74, 0, v79, vcc
	v_add_co_u32_e32 v76, vcc, v81, v76
	v_addc_co_u32_e32 v77, vcc, v74, v77, vcc
	v_cndmask_b32_e64 v104, v76, v78, s[0:1]
	v_cmp_eq_u32_e32 vcc, 0, v68
	v_cndmask_b32_e64 v62, v62, 0, s[0:1]
	v_cndmask_b32_e64 v105, v77, v79, s[0:1]
	v_cndmask_b32_e32 v76, 0, v104, vcc
	v_add_u32_e32 v74, v80, v62
	v_cndmask_b32_e32 v62, 0, v105, vcc
	v_add_co_u32_e32 v80, vcc, v76, v50
	v_addc_co_u32_e32 v81, vcc, v62, v51, vcc
	v_cndmask_b32_e64 v76, 0, v80, s[26:27]
	v_cndmask_b32_e64 v62, 0, v81, s[26:27]
	v_add_co_u32_e32 v82, vcc, v76, v54
	v_addc_co_u32_e32 v83, vcc, v62, v55, vcc
	v_cndmask_b32_e64 v76, 0, v82, s[24:25]
	v_cndmask_b32_e64 v62, 0, v83, s[24:25]
	;; [unrolled: 4-line block ×11, first 2 shown]
	v_add_co_u32_e32 v102, vcc, v76, v36
	v_addc_co_u32_e32 v103, vcc, v62, v37, vcc
	s_barrier
	ds_read_b32 v62, v106 offset:4096
	ds_read_b64 v[76:77], v106 offset:4104
	ds_read_b32 v78, v106 offset:4112
	ds_read_b64 v[114:115], v106 offset:4120
	v_cndmask_b32_e64 v107, 0, v102, s[4:5]
	v_cndmask_b32_e64 v79, 0, v103, s[4:5]
	v_add_co_u32_e32 v106, vcc, v107, v30
	v_addc_co_u32_e32 v107, vcc, v79, v31, vcc
	s_waitcnt lgkmcnt(3)
	v_cmp_eq_u32_e32 vcc, 0, v62
	s_waitcnt lgkmcnt(0)
	v_cndmask_b32_e32 v114, 0, v114, vcc
	v_cndmask_b32_e32 v79, 0, v115, vcc
	v_add_co_u32_e32 v76, vcc, v114, v76
	v_cndmask_b32_e64 v109, 0, v107, s[2:3]
	v_cndmask_b32_e64 v108, 0, v106, s[2:3]
	v_addc_co_u32_e32 v77, vcc, v79, v77, vcc
	s_branch .LBB306_212
.LBB306_184:
                                        ; implicit-def: $vgpr62
                                        ; implicit-def: $vgpr76_vgpr77
                                        ; implicit-def: $vgpr78
                                        ; implicit-def: $vgpr104_vgpr105
                                        ; implicit-def: $vgpr80_vgpr81
                                        ; implicit-def: $vgpr82_vgpr83
                                        ; implicit-def: $vgpr84_vgpr85
                                        ; implicit-def: $vgpr86_vgpr87
                                        ; implicit-def: $vgpr88_vgpr89
                                        ; implicit-def: $vgpr90_vgpr91
                                        ; implicit-def: $vgpr92_vgpr93
                                        ; implicit-def: $vgpr94_vgpr95
                                        ; implicit-def: $vgpr96_vgpr97
                                        ; implicit-def: $vgpr98_vgpr99
                                        ; implicit-def: $vgpr100_vgpr101
                                        ; implicit-def: $vgpr102_vgpr103
                                        ; implicit-def: $vgpr106_vgpr107
                                        ; implicit-def: $vgpr108_vgpr109
                                        ; implicit-def: $vgpr74
	s_cbranch_execz .LBB306_212
; %bb.185:
	s_and_b64 s[2:3], s[30:31], exec
	s_cselect_b32 s3, 0, s65
	s_cselect_b32 s2, 0, s64
	s_cmp_eq_u64 s[2:3], 0
	v_pk_mov_b32 v[78:79], v[50:51], v[50:51] op_sel:[0,1]
	s_cbranch_scc1 .LBB306_187
; %bb.186:
	v_mov_b32_e32 v62, 0
	global_load_dwordx2 v[78:79], v62, s[2:3]
.LBB306_187:
	v_cmp_eq_u32_e64 s[24:25], 0, v75
	v_cndmask_b32_e64 v74, 0, v50, s[24:25]
	v_cndmask_b32_e64 v62, 0, v51, s[24:25]
	v_add_co_u32_e32 v74, vcc, v74, v54
	v_cmp_eq_u32_e64 s[22:23], 0, v72
	v_addc_co_u32_e32 v62, vcc, v62, v55, vcc
	v_cndmask_b32_e64 v74, 0, v74, s[22:23]
	v_cndmask_b32_e64 v62, 0, v62, s[22:23]
	v_add_co_u32_e32 v74, vcc, v74, v52
	v_cmp_eq_u32_e64 s[20:21], 0, v73
	v_addc_co_u32_e32 v62, vcc, v62, v53, vcc
	;; [unrolled: 5-line block ×11, first 2 shown]
	v_cndmask_b32_e64 v74, 0, v74, s[4:5]
	v_cndmask_b32_e64 v62, 0, v62, s[4:5]
	v_add_co_u32_e32 v74, vcc, v74, v30
	v_addc_co_u32_e32 v62, vcc, v62, v31, vcc
	v_cmp_eq_u32_e32 vcc, 0, v69
	v_add3_u32 v76, v113, v71, v66
	v_cndmask_b32_e32 v74, 0, v74, vcc
	v_add3_u32 v76, v76, v67, v64
	v_cndmask_b32_e32 v62, 0, v62, vcc
	v_add_co_u32_e64 v77, s[26:27], v74, v60
	v_add3_u32 v76, v76, v65, v111
	v_addc_co_u32_e64 v62, s[26:27], v62, v61, s[26:27]
	v_add3_u32 v76, v76, v63, v110
	v_cmp_eq_u32_e64 s[26:27], 0, v1
	v_add3_u32 v74, v76, v69, v1
	v_cndmask_b32_e64 v76, 0, v77, s[26:27]
	v_cndmask_b32_e64 v62, 0, v62, s[26:27]
	v_add_co_u32_e64 v32, s[26:27], v76, v32
	v_addc_co_u32_e64 v33, s[26:27], v62, v33, s[26:27]
	v_mbcnt_hi_u32_b32 v62, -1, v112
	v_and_b32_e32 v76, 15, v62
	s_waitcnt vmcnt(0) lgkmcnt(0)
	v_mov_b32_dpp v80, v74 row_shr:1 row_mask:0xf bank_mask:0xf
	v_mov_b32_dpp v77, v32 row_shr:1 row_mask:0xf bank_mask:0xf
	;; [unrolled: 1-line block ×3, first 2 shown]
	v_cmp_ne_u32_e64 s[26:27], 0, v76
	s_and_saveexec_b64 s[28:29], s[26:27]
; %bb.188:
	v_cmp_eq_u32_e64 s[26:27], 0, v74
	v_cndmask_b32_e64 v77, 0, v77, s[26:27]
	v_add_u32_e32 v80, v80, v74
	v_cndmask_b32_e64 v74, 0, v81, s[26:27]
	v_add_co_u32_e64 v32, s[26:27], v77, v32
	v_addc_co_u32_e64 v33, s[26:27], v74, v33, s[26:27]
	v_mov_b32_e32 v74, v80
; %bb.189:
	s_or_b64 exec, exec, s[28:29]
	s_nop 0
	v_mov_b32_dpp v80, v74 row_shr:2 row_mask:0xf bank_mask:0xf
	v_mov_b32_dpp v77, v32 row_shr:2 row_mask:0xf bank_mask:0xf
	v_mov_b32_dpp v81, v33 row_shr:2 row_mask:0xf bank_mask:0xf
	v_cmp_lt_u32_e64 s[26:27], 1, v76
	s_and_saveexec_b64 s[28:29], s[26:27]
; %bb.190:
	v_cmp_eq_u32_e64 s[26:27], 0, v74
	v_cndmask_b32_e64 v77, 0, v77, s[26:27]
	v_add_u32_e32 v80, v80, v74
	v_cndmask_b32_e64 v74, 0, v81, s[26:27]
	v_add_co_u32_e64 v32, s[26:27], v77, v32
	v_addc_co_u32_e64 v33, s[26:27], v74, v33, s[26:27]
	v_mov_b32_e32 v74, v80
; %bb.191:
	s_or_b64 exec, exec, s[28:29]
	s_nop 0
	v_mov_b32_dpp v80, v74 row_shr:4 row_mask:0xf bank_mask:0xf
	v_mov_b32_dpp v77, v32 row_shr:4 row_mask:0xf bank_mask:0xf
	v_mov_b32_dpp v81, v33 row_shr:4 row_mask:0xf bank_mask:0xf
	v_cmp_lt_u32_e64 s[26:27], 3, v76
	;; [unrolled: 16-line block ×3, first 2 shown]
	s_and_saveexec_b64 s[28:29], s[26:27]
; %bb.194:
	v_cmp_eq_u32_e64 s[26:27], 0, v74
	v_cndmask_b32_e64 v77, 0, v77, s[26:27]
	v_add_u32_e32 v76, v80, v74
	v_cndmask_b32_e64 v74, 0, v81, s[26:27]
	v_add_co_u32_e64 v32, s[26:27], v77, v32
	v_addc_co_u32_e64 v33, s[26:27], v74, v33, s[26:27]
	v_mov_b32_e32 v74, v76
; %bb.195:
	s_or_b64 exec, exec, s[28:29]
	v_and_b32_e32 v81, 16, v62
	v_mov_b32_dpp v77, v74 row_bcast:15 row_mask:0xf bank_mask:0xf
	v_mov_b32_dpp v76, v32 row_bcast:15 row_mask:0xf bank_mask:0xf
	;; [unrolled: 1-line block ×3, first 2 shown]
	v_cmp_ne_u32_e64 s[26:27], 0, v81
	s_and_saveexec_b64 s[28:29], s[26:27]
; %bb.196:
	v_cmp_eq_u32_e64 s[26:27], 0, v74
	v_cndmask_b32_e64 v76, 0, v76, s[26:27]
	v_add_u32_e32 v77, v77, v74
	v_cndmask_b32_e64 v74, 0, v80, s[26:27]
	v_add_co_u32_e64 v32, s[26:27], v76, v32
	v_addc_co_u32_e64 v33, s[26:27], v74, v33, s[26:27]
	v_mov_b32_e32 v74, v77
; %bb.197:
	s_or_b64 exec, exec, s[28:29]
	s_nop 0
	v_mov_b32_dpp v77, v74 row_bcast:31 row_mask:0xf bank_mask:0xf
	v_mov_b32_dpp v76, v32 row_bcast:31 row_mask:0xf bank_mask:0xf
	;; [unrolled: 1-line block ×3, first 2 shown]
	v_cmp_lt_u32_e64 s[26:27], 31, v62
	s_and_saveexec_b64 s[28:29], s[26:27]
; %bb.198:
	v_cmp_eq_u32_e64 s[26:27], 0, v74
	v_cndmask_b32_e64 v76, 0, v76, s[26:27]
	v_add_u32_e32 v77, v77, v74
	v_cndmask_b32_e64 v74, 0, v80, s[26:27]
	v_add_co_u32_e64 v32, s[26:27], v76, v32
	v_addc_co_u32_e64 v33, s[26:27], v74, v33, s[26:27]
	v_mov_b32_e32 v74, v77
; %bb.199:
	s_or_b64 exec, exec, s[28:29]
	v_lshrrev_b32_e32 v76, 6, v0
	v_or_b32_e32 v77, 63, v0
	v_cmp_eq_u32_e64 s[26:27], v77, v0
	v_lshlrev_b32_e32 v80, 4, v76
	s_and_saveexec_b64 s[28:29], s[26:27]
	s_cbranch_execz .LBB306_201
; %bb.200:
	ds_write_b32 v80, v74 offset:4128
	ds_write_b64 v80, v[32:33] offset:4136
.LBB306_201:
	s_or_b64 exec, exec, s[28:29]
	v_cmp_gt_u32_e64 s[26:27], 4, v0
	s_waitcnt lgkmcnt(0)
	s_barrier
	s_and_saveexec_b64 s[28:29], s[26:27]
	s_cbranch_execz .LBB306_207
; %bb.202:
	v_lshlrev_b32_e32 v81, 4, v0
	ds_read_b32 v82, v81 offset:4128
	ds_read_b64 v[76:77], v81 offset:4136
	v_and_b32_e32 v83, 3, v62
	v_cmp_ne_u32_e64 s[26:27], 0, v83
	s_waitcnt lgkmcnt(1)
	v_mov_b32_dpp v85, v82 row_shr:1 row_mask:0xf bank_mask:0xf
	s_waitcnt lgkmcnt(0)
	v_mov_b32_dpp v84, v76 row_shr:1 row_mask:0xf bank_mask:0xf
	v_mov_b32_dpp v86, v77 row_shr:1 row_mask:0xf bank_mask:0xf
	s_and_saveexec_b64 s[34:35], s[26:27]
; %bb.203:
	v_cmp_eq_u32_e64 s[26:27], 0, v82
	v_cndmask_b32_e64 v84, 0, v84, s[26:27]
	v_add_u32_e32 v85, v85, v82
	v_cndmask_b32_e64 v82, 0, v86, s[26:27]
	v_add_co_u32_e64 v76, s[26:27], v84, v76
	v_addc_co_u32_e64 v77, s[26:27], v82, v77, s[26:27]
	v_mov_b32_e32 v82, v85
; %bb.204:
	s_or_b64 exec, exec, s[34:35]
	s_nop 0
	v_mov_b32_dpp v85, v82 row_shr:2 row_mask:0xf bank_mask:0xf
	v_mov_b32_dpp v84, v76 row_shr:2 row_mask:0xf bank_mask:0xf
	;; [unrolled: 1-line block ×3, first 2 shown]
	v_cmp_lt_u32_e64 s[26:27], 1, v83
	s_and_saveexec_b64 s[34:35], s[26:27]
; %bb.205:
	v_cmp_eq_u32_e64 s[26:27], 0, v82
	v_cndmask_b32_e64 v84, 0, v84, s[26:27]
	v_add_u32_e32 v83, v85, v82
	v_cndmask_b32_e64 v82, 0, v86, s[26:27]
	v_add_co_u32_e64 v76, s[26:27], v84, v76
	v_addc_co_u32_e64 v77, s[26:27], v82, v77, s[26:27]
	v_mov_b32_e32 v82, v83
; %bb.206:
	s_or_b64 exec, exec, s[34:35]
	ds_write_b32 v81, v82 offset:4128
	ds_write_b64 v81, v[76:77] offset:4136
.LBB306_207:
	s_or_b64 exec, exec, s[28:29]
	v_cmp_lt_u32_e64 s[26:27], 63, v0
	v_mov_b32_e32 v112, 0
	v_mov_b32_e32 v81, 0
	v_pk_mov_b32 v[76:77], v[78:79], v[78:79] op_sel:[0,1]
	s_waitcnt lgkmcnt(0)
	s_barrier
	s_and_saveexec_b64 s[28:29], s[26:27]
	s_cbranch_execz .LBB306_209
; %bb.208:
	ds_read_b32 v81, v80 offset:4112
	ds_read_b64 v[76:77], v80 offset:4120
	s_waitcnt lgkmcnt(1)
	v_cmp_eq_u32_e64 s[26:27], 0, v81
	v_cndmask_b32_e64 v82, 0, v78, s[26:27]
	v_cndmask_b32_e64 v80, 0, v79, s[26:27]
	s_waitcnt lgkmcnt(0)
	v_add_co_u32_e64 v76, s[26:27], v82, v76
	v_addc_co_u32_e64 v77, s[26:27], v80, v77, s[26:27]
.LBB306_209:
	s_or_b64 exec, exec, s[28:29]
	v_cmp_eq_u32_e64 s[26:27], 0, v74
	v_cndmask_b32_e64 v82, 0, v76, s[26:27]
	v_add_u32_e32 v80, v81, v74
	v_cndmask_b32_e64 v74, 0, v77, s[26:27]
	v_add_co_u32_e64 v32, s[26:27], v82, v32
	v_addc_co_u32_e64 v33, s[26:27], v74, v33, s[26:27]
	v_add_u32_e32 v74, -1, v62
	v_and_b32_e32 v82, 64, v62
	v_cmp_lt_i32_e64 s[26:27], v74, v82
	v_cndmask_b32_e64 v74, v74, v62, s[26:27]
	v_lshlrev_b32_e32 v74, 2, v74
	ds_bpermute_b32 v32, v74, v32
	ds_bpermute_b32 v80, v74, v80
	;; [unrolled: 1-line block ×3, first 2 shown]
	v_cmp_eq_u32_e64 s[26:27], 0, v62
	ds_read_b32 v62, v112 offset:4176
	s_waitcnt lgkmcnt(3)
	v_cndmask_b32_e64 v104, v32, v76, s[26:27]
	s_waitcnt lgkmcnt(2)
	v_cndmask_b32_e64 v74, v80, v81, s[26:27]
	;; [unrolled: 2-line block ×3, first 2 shown]
	v_cndmask_b32_e64 v32, v104, v78, s[0:1]
	v_cmp_eq_u32_e64 s[26:27], 0, v68
	v_cndmask_b32_e64 v33, v105, v79, s[0:1]
	v_cndmask_b32_e64 v32, 0, v32, s[26:27]
	;; [unrolled: 1-line block ×3, first 2 shown]
	v_add_co_u32_e64 v80, s[26:27], v32, v50
	v_addc_co_u32_e64 v81, s[26:27], v33, v51, s[26:27]
	v_cndmask_b32_e64 v33, 0, v80, s[24:25]
	v_cndmask_b32_e64 v32, 0, v81, s[24:25]
	v_add_co_u32_e64 v82, s[24:25], v33, v54
	v_addc_co_u32_e64 v83, s[24:25], v32, v55, s[24:25]
	v_cndmask_b32_e64 v33, 0, v82, s[22:23]
	v_cndmask_b32_e64 v32, 0, v83, s[22:23]
	;; [unrolled: 4-line block ×12, first 2 shown]
	v_add_co_u32_e64 v106, s[2:3], v33, v30
	v_addc_co_u32_e64 v107, s[2:3], v32, v31, s[2:3]
	ds_read_b64 v[30:31], v112 offset:4184
	v_cndmask_b32_e32 v109, 0, v107, vcc
	v_cndmask_b32_e32 v108, 0, v106, vcc
	s_waitcnt lgkmcnt(1)
	v_cmp_eq_u32_e32 vcc, 0, v62
	v_cndmask_b32_e32 v33, 0, v78, vcc
	v_cndmask_b32_e32 v32, 0, v79, vcc
	s_waitcnt lgkmcnt(0)
	v_add_co_u32_e32 v76, vcc, v33, v30
	v_addc_co_u32_e32 v77, vcc, v32, v31, vcc
	s_and_saveexec_b64 s[2:3], s[0:1]
	s_cbranch_execz .LBB306_211
; %bb.210:
	v_mov_b32_e32 v74, 0
	v_mov_b32_e32 v30, 2
	v_pk_mov_b32 v[104:105], v[78:79], v[78:79] op_sel:[0,1]
	global_store_dword v74, v62, s[38:39] offset:1024
	global_store_dwordx2 v74, v[76:77], s[38:39] offset:1032
	s_waitcnt vmcnt(0)
	buffer_wbinvl1_vol
	global_store_byte v74, v30, s[40:41] offset:64
.LBB306_211:
	s_or_b64 exec, exec, s[2:3]
	v_mov_b32_e32 v78, 0
.LBB306_212:
	s_and_b64 s[2:3], s[30:31], exec
	s_cselect_b32 s3, 0, s51
	s_cselect_b32 s2, 0, s50
	s_cmp_eq_u64 s[2:3], 0
	v_pk_mov_b32 v[30:31], 0, 0
	s_waitcnt lgkmcnt(0)
	s_barrier
	s_cbranch_scc1 .LBB306_214
; %bb.213:
	v_mov_b32_e32 v30, 0
	global_load_dwordx2 v[30:31], v30, s[2:3]
.LBB306_214:
	s_waitcnt vmcnt(0)
	v_lshlrev_b64 v[32:33], 3, v[30:31]
	v_mov_b32_e32 v34, s59
	v_add_co_u32_e32 v50, vcc, s58, v32
	v_mov_b32_e32 v79, 0
	v_addc_co_u32_e32 v51, vcc, v34, v33, vcc
	v_lshlrev_b64 v[34:35], 3, v[78:79]
	v_add_co_u32_e32 v50, vcc, v50, v34
	v_addc_co_u32_e32 v51, vcc, v51, v35, vcc
	v_cmp_eq_u32_e32 vcc, 0, v68
	v_cndmask_b32_e64 v52, 1, 2, vcc
	v_cmp_eq_u32_e32 vcc, 0, v75
	v_cndmask_b32_e64 v53, 1, 2, vcc
	v_cmp_eq_u32_e32 vcc, 0, v72
	v_and_b32_e32 v52, v53, v52
	v_cndmask_b32_e64 v53, 1, 2, vcc
	v_cmp_eq_u32_e32 vcc, 0, v73
	v_add_u32_e32 v49, v74, v68
	v_and_b32_e32 v52, v52, v53
	v_cndmask_b32_e64 v53, 1, 2, vcc
	v_cmp_eq_u32_e32 vcc, 0, v70
	v_add_u32_e32 v48, v49, v75
	;; [unrolled: 4-line block ×12, first 2 shown]
	v_and_b32_e32 v52, v52, v53
	v_cndmask_b32_e64 v53, 1, 2, vcc
	s_movk_i32 s34, 0x100
	v_add_u32_e32 v37, v38, v110
	v_and_b32_e32 v52, v52, v53
	v_cmp_gt_u32_e32 vcc, s34, v62
	v_add_u32_e32 v36, v37, v69
	v_cmp_ne_u32_e64 s[30:31], 0, v68
	v_cmp_ne_u32_e64 s[28:29], 0, v75
	v_cmp_ne_u32_e64 s[26:27], 0, v72
	v_cmp_ne_u32_e64 s[24:25], 0, v73
	v_cmp_ne_u32_e64 s[22:23], 0, v70
	v_cmp_ne_u32_e64 s[20:21], 0, v71
	v_cmp_ne_u32_e64 s[18:19], 0, v66
	v_cmp_ne_u32_e64 s[16:17], 0, v67
	v_cmp_ne_u32_e64 s[14:15], 0, v64
	v_cmp_ne_u32_e64 s[12:13], 0, v65
	v_cmp_ne_u32_e64 s[10:11], 0, v111
	v_cmp_ne_u32_e64 s[8:9], 0, v63
	v_cmp_ne_u32_e64 s[6:7], 0, v110
	v_cmp_ne_u32_e64 s[4:5], 0, v69
	v_cmp_ne_u32_e64 s[2:3], 0, v1
	s_mov_b64 s[36:37], -1
	v_cmp_gt_i16_e64 s[34:35], 2, v52
	s_cbranch_vccz .LBB306_221
; %bb.215:
	s_and_saveexec_b64 s[36:37], s[34:35]
	s_cbranch_execz .LBB306_220
; %bb.216:
	v_cmp_ne_u16_e32 vcc, 1, v52
	s_mov_b64 s[38:39], 0
	s_and_saveexec_b64 s[34:35], vcc
	s_xor_b64 s[34:35], exec, s[34:35]
	s_cbranch_execnz .LBB306_286
; %bb.217:
	s_andn2_saveexec_b64 s[34:35], s[34:35]
	s_cbranch_execnz .LBB306_302
.LBB306_218:
	s_or_b64 exec, exec, s[34:35]
	s_and_b64 exec, exec, s[38:39]
	s_cbranch_execz .LBB306_220
.LBB306_219:
	v_sub_u32_e32 v54, v36, v78
	v_mov_b32_e32 v55, 0
	v_lshlrev_b64 v[54:55], 3, v[54:55]
	v_add_co_u32_e32 v54, vcc, v50, v54
	v_addc_co_u32_e32 v55, vcc, v51, v55, vcc
	global_store_dwordx2 v[54:55], v[58:59], off
.LBB306_220:
	s_or_b64 exec, exec, s[36:37]
	s_mov_b64 s[36:37], 0
.LBB306_221:
	s_and_b64 vcc, exec, s[36:37]
	s_cbranch_vccz .LBB306_231
; %bb.222:
	v_cmp_gt_i16_e32 vcc, 2, v52
	s_and_saveexec_b64 s[34:35], vcc
	s_cbranch_execz .LBB306_227
; %bb.223:
	v_cmp_ne_u16_e32 vcc, 1, v52
	s_mov_b64 s[38:39], 0
	s_and_saveexec_b64 s[36:37], vcc
	s_xor_b64 s[36:37], exec, s[36:37]
	s_cbranch_execnz .LBB306_303
; %bb.224:
	s_andn2_saveexec_b64 s[2:3], s[36:37]
	s_cbranch_execnz .LBB306_319
.LBB306_225:
	s_or_b64 exec, exec, s[2:3]
	s_and_b64 exec, exec, s[38:39]
	s_cbranch_execz .LBB306_227
.LBB306_226:
	v_sub_u32_e32 v2, v36, v78
	v_lshlrev_b32_e32 v2, 3, v2
	ds_write_b64 v2, v[58:59]
.LBB306_227:
	s_or_b64 exec, exec, s[34:35]
	v_cmp_lt_u32_e32 vcc, v0, v62
	s_waitcnt lgkmcnt(0)
	s_barrier
	s_and_saveexec_b64 s[2:3], vcc
	s_cbranch_execz .LBB306_230
; %bb.228:
	v_lshlrev_b32_e32 v4, 3, v0
	s_mov_b64 s[4:5], 0
	v_mov_b32_e32 v3, 0
	v_mov_b32_e32 v2, v0
.LBB306_229:                            ; =>This Inner Loop Header: Depth=1
	v_lshlrev_b64 v[6:7], 3, v[2:3]
	ds_read_b64 v[8:9], v4
	v_add_co_u32_e32 v6, vcc, v50, v6
	v_add_u32_e32 v2, 0x100, v2
	v_addc_co_u32_e32 v7, vcc, v51, v7, vcc
	v_cmp_ge_u32_e32 vcc, v2, v62
	v_add_u32_e32 v4, 0x800, v4
	s_or_b64 s[4:5], vcc, s[4:5]
	s_waitcnt lgkmcnt(0)
	global_store_dwordx2 v[6:7], v[8:9], off
	s_andn2_b64 exec, exec, s[4:5]
	s_cbranch_execnz .LBB306_229
.LBB306_230:
	s_or_b64 exec, exec, s[2:3]
.LBB306_231:
	s_cmpk_lg_i32 s33, 0xf00
	s_cselect_b64 s[2:3], -1, 0
	v_cndmask_b32_e64 v8, 0, 1, s[46:47]
	s_and_b64 s[2:3], s[2:3], s[44:45]
	v_sub_u32_e32 v4, v62, v8
	v_cndmask_b32_e64 v5, 0, 1, s[2:3]
	s_and_b64 s[0:1], s[0:1], s[46:47]
	v_add_co_u32_e32 v2, vcc, v108, v60
	v_add_u32_e32 v4, v4, v5
	v_cndmask_b32_e64 v5, v68, 0, s[0:1]
	s_mul_hi_u32 s0, s33, 0x88888889
	v_addc_co_u32_e32 v3, vcc, v109, v61, vcc
	s_lshr_b32 s0, s0, 3
	v_mad_i32_i24 v6, v0, -15, s33
	v_cmp_eq_u32_e32 vcc, s0, v0
	v_cmp_ne_u32_e64 s[0:1], 0, v6
	v_cndmask_b32_e64 v7, 1, v5, s[0:1]
	v_cmp_ne_u32_e64 s[0:1], 1, v6
	v_cndmask_b32_e64 v9, 1, v75, s[0:1]
	;; [unrolled: 2-line block ×15, first 2 shown]
	s_and_b64 vcc, vcc, s[44:45]
	v_cndmask_b32_e32 v22, v1, v6, vcc
	v_cndmask_b32_e32 v21, v69, v21, vcc
	;; [unrolled: 1-line block ×15, first 2 shown]
	v_mov_b32_e32 v1, s61
	v_add_co_u32_e32 v5, vcc, s60, v32
	v_addc_co_u32_e32 v6, vcc, v1, v33, vcc
	v_add_co_u32_e32 v1, vcc, v5, v34
	v_addc_co_u32_e32 v5, vcc, v6, v35, vcc
	v_lshlrev_b32_e32 v6, 3, v8
	v_add_co_u32_e32 v6, vcc, v6, v1
	v_addc_co_u32_e32 v7, vcc, 0, v5, vcc
	v_add_co_u32_e32 v6, vcc, -8, v6
	v_addc_co_u32_e32 v7, vcc, -1, v7, vcc
	v_cmp_eq_u32_e32 vcc, 0, v23
	v_cmp_ne_u32_e64 s[28:29], 0, v23
	v_cndmask_b32_e64 v23, 1, 2, vcc
	v_cmp_eq_u32_e32 vcc, 0, v9
	v_cmp_ne_u32_e64 s[26:27], 0, v9
	v_cndmask_b32_e64 v9, 1, 2, vcc
	v_cmp_eq_u32_e32 vcc, 0, v10
	v_and_b32_e32 v9, v9, v23
	v_cmp_ne_u32_e64 s[24:25], 0, v10
	v_cndmask_b32_e64 v10, 1, 2, vcc
	v_cmp_eq_u32_e32 vcc, 0, v11
	v_and_b32_e32 v9, v9, v10
	v_cndmask_b32_e64 v10, 1, 2, vcc
	v_cmp_eq_u32_e32 vcc, 0, v12
	v_and_b32_e32 v9, v9, v10
	;; [unrolled: 3-line block ×12, first 2 shown]
	v_cndmask_b32_e64 v10, 1, 2, vcc
	s_movk_i32 s30, 0x100
	v_and_b32_e32 v9, v9, v10
	v_cmp_gt_u32_e32 vcc, s30, v4
	v_add_u32_e32 v8, v78, v8
	v_cmp_ne_u32_e64 s[22:23], 0, v11
	v_cmp_ne_u32_e64 s[20:21], 0, v12
	;; [unrolled: 1-line block ×12, first 2 shown]
	s_mov_b64 s[34:35], -1
	v_cmp_gt_i16_e64 s[30:31], 2, v9
	s_barrier
	s_cbranch_vccz .LBB306_238
; %bb.232:
	s_and_saveexec_b64 s[34:35], s[30:31]
	s_cbranch_execz .LBB306_237
; %bb.233:
	v_cmp_ne_u16_e32 vcc, 1, v9
	s_mov_b64 s[36:37], 0
	s_and_saveexec_b64 s[30:31], vcc
	s_xor_b64 s[30:31], exec, s[30:31]
	s_cbranch_execnz .LBB306_320
; %bb.234:
	s_andn2_saveexec_b64 s[30:31], s[30:31]
	s_cbranch_execnz .LBB306_336
.LBB306_235:
	s_or_b64 exec, exec, s[30:31]
	s_and_b64 exec, exec, s[36:37]
	s_cbranch_execz .LBB306_237
.LBB306_236:
	v_sub_u32_e32 v10, v36, v8
	v_mov_b32_e32 v11, 0
	v_lshlrev_b64 v[10:11], 3, v[10:11]
	v_add_co_u32_e32 v10, vcc, v6, v10
	v_addc_co_u32_e32 v11, vcc, v7, v11, vcc
	global_store_dwordx2 v[10:11], v[2:3], off
.LBB306_237:
	s_or_b64 exec, exec, s[34:35]
	s_mov_b64 s[34:35], 0
.LBB306_238:
	s_and_b64 vcc, exec, s[34:35]
	s_cbranch_vccz .LBB306_248
; %bb.239:
	v_cmp_gt_i16_e32 vcc, 2, v9
	s_and_saveexec_b64 s[30:31], vcc
	s_cbranch_execz .LBB306_244
; %bb.240:
	v_cmp_ne_u16_e32 vcc, 1, v9
	s_mov_b64 s[36:37], 0
	s_and_saveexec_b64 s[34:35], vcc
	s_xor_b64 s[34:35], exec, s[34:35]
	s_cbranch_execnz .LBB306_337
; %bb.241:
	s_andn2_saveexec_b64 s[0:1], s[34:35]
	s_cbranch_execnz .LBB306_353
.LBB306_242:
	s_or_b64 exec, exec, s[0:1]
	s_and_b64 exec, exec, s[36:37]
	s_cbranch_execz .LBB306_244
.LBB306_243:
	v_sub_u32_e32 v8, v36, v8
	v_lshlrev_b32_e32 v8, 3, v8
	ds_write_b64 v8, v[2:3]
.LBB306_244:
	s_or_b64 exec, exec, s[30:31]
	v_cmp_lt_u32_e32 vcc, v0, v4
	s_waitcnt lgkmcnt(0)
	s_barrier
	s_and_saveexec_b64 s[0:1], vcc
	s_cbranch_execz .LBB306_247
; %bb.245:
	v_lshlrev_b32_e32 v8, 3, v0
	s_mov_b64 s[2:3], 0
	v_mov_b32_e32 v3, 0
	v_mov_b32_e32 v2, v0
.LBB306_246:                            ; =>This Inner Loop Header: Depth=1
	v_lshlrev_b64 v[10:11], 3, v[2:3]
	ds_read_b64 v[12:13], v8
	v_add_co_u32_e32 v10, vcc, v6, v10
	v_add_u32_e32 v2, 0x100, v2
	v_addc_co_u32_e32 v11, vcc, v7, v11, vcc
	v_cmp_ge_u32_e32 vcc, v2, v4
	v_add_u32_e32 v8, 0x800, v8
	s_or_b64 s[2:3], vcc, s[2:3]
	s_waitcnt lgkmcnt(0)
	global_store_dwordx2 v[10:11], v[12:13], off
	s_andn2_b64 exec, exec, s[2:3]
	s_cbranch_execnz .LBB306_246
.LBB306_247:
	s_or_b64 exec, exec, s[0:1]
.LBB306_248:
	s_movk_i32 s0, 0xff
	v_cmp_eq_u32_e32 vcc, s0, v0
	s_and_b64 s[0:1], vcc, s[44:45]
	s_and_saveexec_b64 s[2:3], s[0:1]
	s_cbranch_execz .LBB306_251
; %bb.249:
	v_add_co_u32_e32 v0, vcc, v62, v78
	v_addc_co_u32_e64 v3, s[0:1], 0, 0, vcc
	v_add_co_u32_e32 v2, vcc, v0, v30
	v_mov_b32_e32 v63, 0
	v_addc_co_u32_e32 v3, vcc, v3, v31, vcc
	s_cmpk_lg_i32 s33, 0xf00
	global_store_dwordx2 v63, v[2:3], s[62:63]
	s_cbranch_scc1 .LBB306_251
; %bb.250:
	v_lshlrev_b64 v[2:3], 3, v[62:63]
	v_add_co_u32_e32 v0, vcc, v1, v2
	v_addc_co_u32_e32 v1, vcc, v5, v3, vcc
	global_store_dwordx2 v[0:1], v[76:77], off offset:-8
.LBB306_251:
	s_endpgm
.LBB306_252:
                                        ; implicit-def: $sgpr8_sgpr9
                                        ; implicit-def: $vgpr1
                                        ; implicit-def: $vgpr79
                                        ; implicit-def: $vgpr110
                                        ; implicit-def: $vgpr63
                                        ; implicit-def: $vgpr111
                                        ; implicit-def: $vgpr65
                                        ; implicit-def: $vgpr64
                                        ; implicit-def: $vgpr67
                                        ; implicit-def: $vgpr66
                                        ; implicit-def: $vgpr71
                                        ; implicit-def: $vgpr70
                                        ; implicit-def: $vgpr73
                                        ; implicit-def: $vgpr72
                                        ; implicit-def: $vgpr75
	s_cbranch_execz .LBB306_114
.LBB306_253:
	v_mov_b32_e32 v69, 0
	v_lshlrev_b32_e32 v78, 3, v0
	v_cmp_gt_u64_e32 vcc, s[6:7], v[68:69]
	v_mov_b32_e32 v1, 0
	ds_write_b64 v78, v[58:59]
	s_and_saveexec_b64 s[8:9], vcc
; %bb.254:
	s_mov_b32 s10, 0x66666667
	v_mul_hi_i32 v1, v4, s10
	v_lshrrev_b32_e32 v62, 31, v1
	v_ashrrev_i32_e32 v1, 2, v1
	v_add_u32_e32 v1, v1, v62
	v_mul_hi_i32 v62, v58, s10
	v_lshrrev_b32_e32 v63, 31, v62
	v_ashrrev_i32_e32 v62, 2, v62
	v_add_u32_e32 v62, v62, v63
	v_cmp_ne_u32_e32 vcc, v1, v62
	v_cndmask_b32_e64 v1, 0, 1, vcc
; %bb.255:
	s_or_b64 exec, exec, s[8:9]
	v_add_u32_e32 v68, 13, v76
	v_cmp_gt_u64_e32 vcc, s[6:7], v[68:69]
	s_and_saveexec_b64 s[8:9], vcc
; %bb.256:
	s_mov_b32 s10, 0x66666667
	v_mul_hi_i32 v62, v2, s10
	v_lshrrev_b32_e32 v63, 31, v62
	v_ashrrev_i32_e32 v62, 2, v62
	v_add_u32_e32 v62, v62, v63
	v_mul_hi_i32 v63, v4, s10
	v_lshrrev_b32_e32 v64, 31, v63
	v_ashrrev_i32_e32 v63, 2, v63
	v_add_u32_e32 v63, v63, v64
	v_cmp_ne_u32_e32 vcc, v62, v63
	v_cndmask_b32_e64 v69, 0, 1, vcc
; %bb.257:
	s_or_b64 exec, exec, s[8:9]
	v_add_u32_e32 v62, 12, v76
	v_mov_b32_e32 v63, 0
	v_cmp_gt_u64_e32 vcc, s[6:7], v[62:63]
	v_mov_b32_e32 v110, 0
	s_and_saveexec_b64 s[8:9], vcc
; %bb.258:
	s_mov_b32 s10, 0x66666667
	v_mul_hi_i32 v62, v8, s10
	v_lshrrev_b32_e32 v64, 31, v62
	v_ashrrev_i32_e32 v62, 2, v62
	v_add_u32_e32 v62, v62, v64
	v_mul_hi_i32 v64, v2, s10
	v_lshrrev_b32_e32 v65, 31, v64
	v_ashrrev_i32_e32 v64, 2, v64
	v_add_u32_e32 v64, v64, v65
	v_cmp_ne_u32_e32 vcc, v62, v64
	v_cndmask_b32_e64 v110, 0, 1, vcc
; %bb.259:
	s_or_b64 exec, exec, s[8:9]
	v_add_u32_e32 v62, 11, v76
	v_cmp_gt_u64_e32 vcc, s[6:7], v[62:63]
	s_and_saveexec_b64 s[8:9], vcc
; %bb.260:
	s_mov_b32 s10, 0x66666667
	v_mul_hi_i32 v62, v6, s10
	v_lshrrev_b32_e32 v63, 31, v62
	v_ashrrev_i32_e32 v62, 2, v62
	v_add_u32_e32 v62, v62, v63
	v_mul_hi_i32 v63, v8, s10
	v_lshrrev_b32_e32 v64, 31, v63
	v_ashrrev_i32_e32 v63, 2, v63
	v_add_u32_e32 v63, v63, v64
	v_cmp_ne_u32_e32 vcc, v62, v63
	v_cndmask_b32_e64 v63, 0, 1, vcc
; %bb.261:
	s_or_b64 exec, exec, s[8:9]
	v_add_u32_e32 v64, 10, v76
	v_mov_b32_e32 v65, 0
	v_cmp_gt_u64_e32 vcc, s[6:7], v[64:65]
	v_mov_b32_e32 v111, 0
	;; [unrolled: 36-line block ×6, first 2 shown]
	s_and_saveexec_b64 s[8:9], vcc
; %bb.278:
	s_mov_b32 s10, 0x66666667
	v_mul_hi_i32 v62, v28, s10
	v_lshrrev_b32_e32 v68, 31, v62
	v_ashrrev_i32_e32 v62, 2, v62
	v_add_u32_e32 v62, v62, v68
	v_mul_hi_i32 v68, v22, s10
	v_lshrrev_b32_e32 v72, 31, v68
	v_ashrrev_i32_e32 v68, 2, v68
	v_add_u32_e32 v68, v68, v72
	v_cmp_ne_u32_e32 vcc, v62, v68
	v_cndmask_b32_e64 v72, 0, 1, vcc
; %bb.279:
	s_or_b64 exec, exec, s[8:9]
	v_add_u32_e32 v74, 1, v76
	v_cmp_gt_u64_e32 vcc, s[6:7], v[74:75]
	s_and_saveexec_b64 s[8:9], vcc
; %bb.280:
	s_mov_b32 s10, 0x66666667
	v_mul_hi_i32 v62, v26, s10
	v_lshrrev_b32_e32 v68, 31, v62
	v_ashrrev_i32_e32 v62, 2, v62
	v_add_u32_e32 v62, v62, v68
	v_mul_hi_i32 v68, v28, s10
	v_lshrrev_b32_e32 v74, 31, v68
	v_ashrrev_i32_e32 v68, 2, v68
	v_add_u32_e32 v68, v68, v74
	v_cmp_ne_u32_e32 vcc, v62, v68
	v_cndmask_b32_e64 v75, 0, 1, vcc
; %bb.281:
	s_or_b64 exec, exec, s[8:9]
	s_waitcnt lgkmcnt(0)
	s_barrier
	s_waitcnt lgkmcnt(0)
                                        ; implicit-def: $sgpr8_sgpr9
	s_and_saveexec_b64 s[10:11], s[2:3]
	s_cbranch_execz .LBB306_285
; %bb.282:
	v_mov_b32_e32 v77, 0
	v_cmp_gt_u64_e32 vcc, s[6:7], v[76:77]
	s_mov_b64 s[6:7], 0
	s_and_saveexec_b64 s[2:3], vcc
	s_cbranch_execz .LBB306_284
; %bb.283:
	v_add_u32_e32 v62, -8, v78
	ds_read_b32 v62, v62
	s_mov_b32 s6, 0x66666667
	v_mul_hi_i32 v68, v26, s6
	v_lshrrev_b32_e32 v74, 31, v68
	v_ashrrev_i32_e32 v68, 2, v68
	s_waitcnt lgkmcnt(0)
	v_mul_hi_i32 v62, v62, s6
	v_lshrrev_b32_e32 v76, 31, v62
	v_ashrrev_i32_e32 v62, 2, v62
	v_add_u32_e32 v62, v62, v76
	v_add_u32_e32 v68, v68, v74
	v_cmp_ne_u32_e32 vcc, v62, v68
	s_and_b64 s[6:7], vcc, exec
.LBB306_284:
	s_or_b64 exec, exec, s[2:3]
	s_and_b64 s[8:9], s[6:7], exec
	s_or_b64 s[4:5], s[4:5], exec
.LBB306_285:
	s_or_b64 exec, exec, s[10:11]
	s_mov_b32 s10, 1
	v_mov_b32_e32 v79, v69
	v_mov_b32_e32 v68, s10
	s_and_saveexec_b64 s[2:3], s[4:5]
	s_cbranch_execnz .LBB306_116
	s_branch .LBB306_117
.LBB306_286:
	s_and_saveexec_b64 s[38:39], s[30:31]
	s_cbranch_execnz .LBB306_354
; %bb.287:
	s_or_b64 exec, exec, s[38:39]
	s_and_saveexec_b64 s[38:39], s[28:29]
	s_cbranch_execnz .LBB306_355
.LBB306_288:
	s_or_b64 exec, exec, s[38:39]
	s_and_saveexec_b64 s[38:39], s[26:27]
	s_cbranch_execnz .LBB306_356
.LBB306_289:
	s_or_b64 exec, exec, s[38:39]
	s_and_saveexec_b64 s[38:39], s[24:25]
	s_cbranch_execnz .LBB306_357
.LBB306_290:
	s_or_b64 exec, exec, s[38:39]
	s_and_saveexec_b64 s[38:39], s[22:23]
	s_cbranch_execnz .LBB306_358
.LBB306_291:
	s_or_b64 exec, exec, s[38:39]
	s_and_saveexec_b64 s[38:39], s[20:21]
	s_cbranch_execnz .LBB306_359
.LBB306_292:
	s_or_b64 exec, exec, s[38:39]
	s_and_saveexec_b64 s[38:39], s[18:19]
	s_cbranch_execnz .LBB306_360
.LBB306_293:
	s_or_b64 exec, exec, s[38:39]
	s_and_saveexec_b64 s[38:39], s[16:17]
	s_cbranch_execnz .LBB306_361
.LBB306_294:
	s_or_b64 exec, exec, s[38:39]
	s_and_saveexec_b64 s[38:39], s[14:15]
	s_cbranch_execnz .LBB306_362
.LBB306_295:
	s_or_b64 exec, exec, s[38:39]
	s_and_saveexec_b64 s[38:39], s[12:13]
	s_cbranch_execnz .LBB306_363
.LBB306_296:
	s_or_b64 exec, exec, s[38:39]
	s_and_saveexec_b64 s[38:39], s[10:11]
	s_cbranch_execnz .LBB306_364
.LBB306_297:
	s_or_b64 exec, exec, s[38:39]
	s_and_saveexec_b64 s[38:39], s[8:9]
	s_cbranch_execnz .LBB306_365
.LBB306_298:
	s_or_b64 exec, exec, s[38:39]
	s_and_saveexec_b64 s[38:39], s[6:7]
	s_cbranch_execnz .LBB306_366
.LBB306_299:
	s_or_b64 exec, exec, s[38:39]
	s_and_saveexec_b64 s[38:39], s[4:5]
	s_cbranch_execz .LBB306_301
.LBB306_300:
	v_sub_u32_e32 v54, v37, v78
	v_mov_b32_e32 v55, 0
	v_lshlrev_b64 v[54:55], 3, v[54:55]
	v_add_co_u32_e32 v54, vcc, v50, v54
	v_addc_co_u32_e32 v55, vcc, v51, v55, vcc
	global_store_dwordx2 v[54:55], v[4:5], off
.LBB306_301:
	s_or_b64 exec, exec, s[38:39]
	s_and_b64 s[38:39], s[2:3], exec
	s_andn2_saveexec_b64 s[34:35], s[34:35]
	s_cbranch_execz .LBB306_218
.LBB306_302:
	v_sub_u32_e32 v54, v74, v78
	v_mov_b32_e32 v55, 0
	v_lshlrev_b64 v[56:57], 3, v[54:55]
	v_add_co_u32_e32 v56, vcc, v50, v56
	v_addc_co_u32_e32 v57, vcc, v51, v57, vcc
	v_sub_u32_e32 v54, v49, v78
	global_store_dwordx2 v[56:57], v[26:27], off
	v_lshlrev_b64 v[56:57], 3, v[54:55]
	v_add_co_u32_e32 v56, vcc, v50, v56
	v_addc_co_u32_e32 v57, vcc, v51, v57, vcc
	v_sub_u32_e32 v54, v48, v78
	global_store_dwordx2 v[56:57], v[28:29], off
	;; [unrolled: 5-line block ×12, first 2 shown]
	v_lshlrev_b64 v[56:57], 3, v[54:55]
	v_add_co_u32_e32 v56, vcc, v50, v56
	v_sub_u32_e32 v54, v37, v78
	v_addc_co_u32_e32 v57, vcc, v51, v57, vcc
	v_lshlrev_b64 v[54:55], 3, v[54:55]
	v_add_co_u32_e32 v54, vcc, v50, v54
	v_addc_co_u32_e32 v55, vcc, v51, v55, vcc
	s_or_b64 s[38:39], s[38:39], exec
	global_store_dwordx2 v[56:57], v[2:3], off
	global_store_dwordx2 v[54:55], v[4:5], off
	s_or_b64 exec, exec, s[34:35]
	s_and_b64 exec, exec, s[38:39]
	s_cbranch_execnz .LBB306_219
	s_branch .LBB306_220
.LBB306_303:
	s_and_saveexec_b64 s[38:39], s[30:31]
	s_cbranch_execnz .LBB306_367
; %bb.304:
	s_or_b64 exec, exec, s[38:39]
	s_and_saveexec_b64 s[30:31], s[28:29]
	s_cbranch_execnz .LBB306_368
.LBB306_305:
	s_or_b64 exec, exec, s[30:31]
	s_and_saveexec_b64 s[28:29], s[26:27]
	s_cbranch_execnz .LBB306_369
.LBB306_306:
	s_or_b64 exec, exec, s[28:29]
	s_and_saveexec_b64 s[26:27], s[24:25]
	s_cbranch_execnz .LBB306_370
.LBB306_307:
	s_or_b64 exec, exec, s[26:27]
	s_and_saveexec_b64 s[24:25], s[22:23]
	s_cbranch_execnz .LBB306_371
.LBB306_308:
	s_or_b64 exec, exec, s[24:25]
	s_and_saveexec_b64 s[22:23], s[20:21]
	s_cbranch_execnz .LBB306_372
.LBB306_309:
	s_or_b64 exec, exec, s[22:23]
	s_and_saveexec_b64 s[20:21], s[18:19]
	s_cbranch_execnz .LBB306_373
.LBB306_310:
	s_or_b64 exec, exec, s[20:21]
	s_and_saveexec_b64 s[18:19], s[16:17]
	s_cbranch_execnz .LBB306_374
.LBB306_311:
	s_or_b64 exec, exec, s[18:19]
	s_and_saveexec_b64 s[16:17], s[14:15]
	s_cbranch_execnz .LBB306_375
.LBB306_312:
	s_or_b64 exec, exec, s[16:17]
	s_and_saveexec_b64 s[14:15], s[12:13]
	s_cbranch_execnz .LBB306_376
.LBB306_313:
	s_or_b64 exec, exec, s[14:15]
	s_and_saveexec_b64 s[12:13], s[10:11]
	s_cbranch_execnz .LBB306_377
.LBB306_314:
	s_or_b64 exec, exec, s[12:13]
	s_and_saveexec_b64 s[10:11], s[8:9]
	s_cbranch_execnz .LBB306_378
.LBB306_315:
	s_or_b64 exec, exec, s[10:11]
	s_and_saveexec_b64 s[8:9], s[6:7]
	s_cbranch_execnz .LBB306_379
.LBB306_316:
	s_or_b64 exec, exec, s[8:9]
	s_and_saveexec_b64 s[6:7], s[4:5]
	s_cbranch_execz .LBB306_318
.LBB306_317:
	v_sub_u32_e32 v2, v37, v78
	v_lshlrev_b32_e32 v2, 3, v2
	ds_write_b64 v2, v[4:5]
.LBB306_318:
	s_or_b64 exec, exec, s[6:7]
	s_and_b64 s[38:39], s[2:3], exec
                                        ; implicit-def: $vgpr26_vgpr27_vgpr28_vgpr29
                                        ; implicit-def: $vgpr22_vgpr23_vgpr24_vgpr25
                                        ; implicit-def: $vgpr18_vgpr19_vgpr20_vgpr21
                                        ; implicit-def: $vgpr14_vgpr15_vgpr16_vgpr17
                                        ; implicit-def: $vgpr10_vgpr11_vgpr12_vgpr13
                                        ; implicit-def: $vgpr6_vgpr7_vgpr8_vgpr9
                                        ; implicit-def: $vgpr2_vgpr3_vgpr4_vgpr5
	s_andn2_saveexec_b64 s[2:3], s[36:37]
	s_cbranch_execz .LBB306_225
.LBB306_319:
	v_sub_u32_e32 v52, v74, v78
	v_lshlrev_b32_e32 v52, 3, v52
	ds_write_b64 v52, v[26:27]
	v_sub_u32_e32 v26, v49, v78
	v_lshlrev_b32_e32 v26, 3, v26
	ds_write_b64 v26, v[28:29]
	v_sub_u32_e32 v26, v48, v78
	v_lshlrev_b32_e32 v26, 3, v26
	ds_write_b64 v26, v[22:23]
	v_sub_u32_e32 v22, v47, v78
	v_lshlrev_b32_e32 v22, 3, v22
	ds_write_b64 v22, v[24:25]
	v_sub_u32_e32 v22, v46, v78
	v_lshlrev_b32_e32 v22, 3, v22
	ds_write_b64 v22, v[18:19]
	v_sub_u32_e32 v18, v45, v78
	v_lshlrev_b32_e32 v18, 3, v18
	ds_write_b64 v18, v[20:21]
	v_sub_u32_e32 v18, v44, v78
	v_lshlrev_b32_e32 v18, 3, v18
	ds_write_b64 v18, v[14:15]
	v_sub_u32_e32 v14, v43, v78
	v_lshlrev_b32_e32 v14, 3, v14
	ds_write_b64 v14, v[16:17]
	v_sub_u32_e32 v14, v42, v78
	v_lshlrev_b32_e32 v14, 3, v14
	ds_write_b64 v14, v[10:11]
	v_sub_u32_e32 v10, v41, v78
	v_lshlrev_b32_e32 v10, 3, v10
	ds_write_b64 v10, v[12:13]
	v_sub_u32_e32 v10, v40, v78
	v_lshlrev_b32_e32 v10, 3, v10
	ds_write_b64 v10, v[6:7]
	v_sub_u32_e32 v6, v39, v78
	v_lshlrev_b32_e32 v6, 3, v6
	ds_write_b64 v6, v[8:9]
	v_sub_u32_e32 v6, v38, v78
	v_lshlrev_b32_e32 v6, 3, v6
	ds_write_b64 v6, v[2:3]
	v_sub_u32_e32 v2, v37, v78
	v_lshlrev_b32_e32 v2, 3, v2
	s_or_b64 s[38:39], s[38:39], exec
	ds_write_b64 v2, v[4:5]
	s_or_b64 exec, exec, s[2:3]
	s_and_b64 exec, exec, s[38:39]
	s_cbranch_execnz .LBB306_226
	s_branch .LBB306_227
.LBB306_320:
	s_and_saveexec_b64 s[36:37], s[28:29]
	s_cbranch_execnz .LBB306_380
; %bb.321:
	s_or_b64 exec, exec, s[36:37]
	s_and_saveexec_b64 s[36:37], s[26:27]
	s_cbranch_execnz .LBB306_381
.LBB306_322:
	s_or_b64 exec, exec, s[36:37]
	s_and_saveexec_b64 s[36:37], s[24:25]
	s_cbranch_execnz .LBB306_382
.LBB306_323:
	s_or_b64 exec, exec, s[36:37]
	s_and_saveexec_b64 s[36:37], s[22:23]
	s_cbranch_execnz .LBB306_383
.LBB306_324:
	s_or_b64 exec, exec, s[36:37]
	s_and_saveexec_b64 s[36:37], s[20:21]
	s_cbranch_execnz .LBB306_384
.LBB306_325:
	s_or_b64 exec, exec, s[36:37]
	s_and_saveexec_b64 s[36:37], s[18:19]
	s_cbranch_execnz .LBB306_385
.LBB306_326:
	s_or_b64 exec, exec, s[36:37]
	s_and_saveexec_b64 s[36:37], s[16:17]
	s_cbranch_execnz .LBB306_386
.LBB306_327:
	s_or_b64 exec, exec, s[36:37]
	s_and_saveexec_b64 s[36:37], s[14:15]
	s_cbranch_execnz .LBB306_387
.LBB306_328:
	s_or_b64 exec, exec, s[36:37]
	s_and_saveexec_b64 s[36:37], s[12:13]
	s_cbranch_execnz .LBB306_388
.LBB306_329:
	s_or_b64 exec, exec, s[36:37]
	s_and_saveexec_b64 s[36:37], s[10:11]
	s_cbranch_execnz .LBB306_389
.LBB306_330:
	s_or_b64 exec, exec, s[36:37]
	s_and_saveexec_b64 s[36:37], s[8:9]
	s_cbranch_execnz .LBB306_390
.LBB306_331:
	s_or_b64 exec, exec, s[36:37]
	s_and_saveexec_b64 s[36:37], s[6:7]
	s_cbranch_execnz .LBB306_391
.LBB306_332:
	s_or_b64 exec, exec, s[36:37]
	s_and_saveexec_b64 s[36:37], s[4:5]
	s_cbranch_execnz .LBB306_392
.LBB306_333:
	s_or_b64 exec, exec, s[36:37]
	s_and_saveexec_b64 s[36:37], s[2:3]
	s_cbranch_execz .LBB306_335
.LBB306_334:
	v_sub_u32_e32 v10, v37, v8
	v_mov_b32_e32 v11, 0
	v_lshlrev_b64 v[10:11], 3, v[10:11]
	v_add_co_u32_e32 v10, vcc, v6, v10
	v_addc_co_u32_e32 v11, vcc, v7, v11, vcc
	global_store_dwordx2 v[10:11], v[106:107], off
.LBB306_335:
	s_or_b64 exec, exec, s[36:37]
	s_and_b64 s[36:37], s[0:1], exec
	s_andn2_saveexec_b64 s[30:31], s[30:31]
	s_cbranch_execz .LBB306_235
.LBB306_336:
	v_sub_u32_e32 v10, v74, v8
	v_mov_b32_e32 v11, 0
	v_lshlrev_b64 v[12:13], 3, v[10:11]
	v_add_co_u32_e32 v12, vcc, v6, v12
	v_addc_co_u32_e32 v13, vcc, v7, v13, vcc
	v_sub_u32_e32 v10, v49, v8
	global_store_dwordx2 v[12:13], v[104:105], off
	v_lshlrev_b64 v[12:13], 3, v[10:11]
	v_add_co_u32_e32 v12, vcc, v6, v12
	v_addc_co_u32_e32 v13, vcc, v7, v13, vcc
	v_sub_u32_e32 v10, v48, v8
	global_store_dwordx2 v[12:13], v[80:81], off
	;; [unrolled: 5-line block ×12, first 2 shown]
	v_lshlrev_b64 v[12:13], 3, v[10:11]
	v_add_co_u32_e32 v12, vcc, v6, v12
	v_sub_u32_e32 v10, v37, v8
	v_addc_co_u32_e32 v13, vcc, v7, v13, vcc
	v_lshlrev_b64 v[10:11], 3, v[10:11]
	v_add_co_u32_e32 v10, vcc, v6, v10
	v_addc_co_u32_e32 v11, vcc, v7, v11, vcc
	s_or_b64 s[36:37], s[36:37], exec
	global_store_dwordx2 v[12:13], v[102:103], off
	global_store_dwordx2 v[10:11], v[106:107], off
	s_or_b64 exec, exec, s[30:31]
	s_and_b64 exec, exec, s[36:37]
	s_cbranch_execnz .LBB306_236
	s_branch .LBB306_237
.LBB306_337:
	s_and_saveexec_b64 s[36:37], s[28:29]
	s_cbranch_execnz .LBB306_393
; %bb.338:
	s_or_b64 exec, exec, s[36:37]
	s_and_saveexec_b64 s[28:29], s[26:27]
	s_cbranch_execnz .LBB306_394
.LBB306_339:
	s_or_b64 exec, exec, s[28:29]
	s_and_saveexec_b64 s[26:27], s[24:25]
	s_cbranch_execnz .LBB306_395
.LBB306_340:
	s_or_b64 exec, exec, s[26:27]
	s_and_saveexec_b64 s[24:25], s[22:23]
	s_cbranch_execnz .LBB306_396
.LBB306_341:
	s_or_b64 exec, exec, s[24:25]
	s_and_saveexec_b64 s[22:23], s[20:21]
	s_cbranch_execnz .LBB306_397
.LBB306_342:
	s_or_b64 exec, exec, s[22:23]
	s_and_saveexec_b64 s[20:21], s[18:19]
	s_cbranch_execnz .LBB306_398
.LBB306_343:
	s_or_b64 exec, exec, s[20:21]
	s_and_saveexec_b64 s[18:19], s[16:17]
	s_cbranch_execnz .LBB306_399
.LBB306_344:
	s_or_b64 exec, exec, s[18:19]
	s_and_saveexec_b64 s[16:17], s[14:15]
	s_cbranch_execnz .LBB306_400
.LBB306_345:
	s_or_b64 exec, exec, s[16:17]
	s_and_saveexec_b64 s[14:15], s[12:13]
	s_cbranch_execnz .LBB306_401
.LBB306_346:
	s_or_b64 exec, exec, s[14:15]
	s_and_saveexec_b64 s[12:13], s[10:11]
	s_cbranch_execnz .LBB306_402
.LBB306_347:
	s_or_b64 exec, exec, s[12:13]
	s_and_saveexec_b64 s[10:11], s[8:9]
	s_cbranch_execnz .LBB306_403
.LBB306_348:
	s_or_b64 exec, exec, s[10:11]
	s_and_saveexec_b64 s[8:9], s[6:7]
	s_cbranch_execnz .LBB306_404
.LBB306_349:
	s_or_b64 exec, exec, s[8:9]
	s_and_saveexec_b64 s[6:7], s[4:5]
	s_cbranch_execnz .LBB306_405
.LBB306_350:
	s_or_b64 exec, exec, s[6:7]
	s_and_saveexec_b64 s[4:5], s[2:3]
	s_cbranch_execz .LBB306_352
.LBB306_351:
	v_sub_u32_e32 v9, v37, v8
	v_lshlrev_b32_e32 v9, 3, v9
	ds_write_b64 v9, v[106:107]
.LBB306_352:
	s_or_b64 exec, exec, s[4:5]
	s_and_b64 s[36:37], s[0:1], exec
                                        ; implicit-def: $vgpr104_vgpr105
                                        ; implicit-def: $vgpr80_vgpr81
                                        ; implicit-def: $vgpr82_vgpr83
                                        ; implicit-def: $vgpr84_vgpr85
                                        ; implicit-def: $vgpr86_vgpr87
                                        ; implicit-def: $vgpr88_vgpr89
                                        ; implicit-def: $vgpr90_vgpr91
                                        ; implicit-def: $vgpr92_vgpr93
                                        ; implicit-def: $vgpr94_vgpr95
                                        ; implicit-def: $vgpr96_vgpr97
                                        ; implicit-def: $vgpr98_vgpr99
                                        ; implicit-def: $vgpr100_vgpr101
                                        ; implicit-def: $vgpr102_vgpr103
                                        ; implicit-def: $vgpr106_vgpr107
                                        ; implicit-def: $vgpr74
                                        ; implicit-def: $vgpr49
                                        ; implicit-def: $vgpr48
                                        ; implicit-def: $vgpr47
                                        ; implicit-def: $vgpr46
                                        ; implicit-def: $vgpr45
                                        ; implicit-def: $vgpr44
                                        ; implicit-def: $vgpr43
                                        ; implicit-def: $vgpr42
                                        ; implicit-def: $vgpr41
                                        ; implicit-def: $vgpr40
                                        ; implicit-def: $vgpr39
                                        ; implicit-def: $vgpr38
                                        ; implicit-def: $vgpr37
	s_andn2_saveexec_b64 s[0:1], s[34:35]
	s_cbranch_execz .LBB306_242
.LBB306_353:
	v_sub_u32_e32 v9, v74, v8
	v_lshlrev_b32_e32 v9, 3, v9
	ds_write_b64 v9, v[104:105]
	v_sub_u32_e32 v9, v49, v8
	v_lshlrev_b32_e32 v9, 3, v9
	ds_write_b64 v9, v[80:81]
	;; [unrolled: 3-line block ×13, first 2 shown]
	v_sub_u32_e32 v9, v37, v8
	v_lshlrev_b32_e32 v9, 3, v9
	s_or_b64 s[36:37], s[36:37], exec
	ds_write_b64 v9, v[106:107]
	s_or_b64 exec, exec, s[0:1]
	s_and_b64 exec, exec, s[36:37]
	s_cbranch_execnz .LBB306_243
	s_branch .LBB306_244
.LBB306_354:
	v_sub_u32_e32 v54, v74, v78
	v_mov_b32_e32 v55, 0
	v_lshlrev_b64 v[54:55], 3, v[54:55]
	v_add_co_u32_e32 v54, vcc, v50, v54
	v_addc_co_u32_e32 v55, vcc, v51, v55, vcc
	global_store_dwordx2 v[54:55], v[26:27], off
	s_or_b64 exec, exec, s[38:39]
	s_and_saveexec_b64 s[38:39], s[28:29]
	s_cbranch_execz .LBB306_288
.LBB306_355:
	v_sub_u32_e32 v54, v49, v78
	v_mov_b32_e32 v55, 0
	v_lshlrev_b64 v[54:55], 3, v[54:55]
	v_add_co_u32_e32 v54, vcc, v50, v54
	v_addc_co_u32_e32 v55, vcc, v51, v55, vcc
	global_store_dwordx2 v[54:55], v[28:29], off
	s_or_b64 exec, exec, s[38:39]
	s_and_saveexec_b64 s[38:39], s[26:27]
	s_cbranch_execz .LBB306_289
.LBB306_356:
	v_sub_u32_e32 v54, v48, v78
	v_mov_b32_e32 v55, 0
	v_lshlrev_b64 v[54:55], 3, v[54:55]
	v_add_co_u32_e32 v54, vcc, v50, v54
	v_addc_co_u32_e32 v55, vcc, v51, v55, vcc
	global_store_dwordx2 v[54:55], v[22:23], off
	s_or_b64 exec, exec, s[38:39]
	s_and_saveexec_b64 s[38:39], s[24:25]
	s_cbranch_execz .LBB306_290
.LBB306_357:
	v_sub_u32_e32 v54, v47, v78
	v_mov_b32_e32 v55, 0
	v_lshlrev_b64 v[54:55], 3, v[54:55]
	v_add_co_u32_e32 v54, vcc, v50, v54
	v_addc_co_u32_e32 v55, vcc, v51, v55, vcc
	global_store_dwordx2 v[54:55], v[24:25], off
	s_or_b64 exec, exec, s[38:39]
	s_and_saveexec_b64 s[38:39], s[22:23]
	s_cbranch_execz .LBB306_291
.LBB306_358:
	v_sub_u32_e32 v54, v46, v78
	v_mov_b32_e32 v55, 0
	v_lshlrev_b64 v[54:55], 3, v[54:55]
	v_add_co_u32_e32 v54, vcc, v50, v54
	v_addc_co_u32_e32 v55, vcc, v51, v55, vcc
	global_store_dwordx2 v[54:55], v[18:19], off
	s_or_b64 exec, exec, s[38:39]
	s_and_saveexec_b64 s[38:39], s[20:21]
	s_cbranch_execz .LBB306_292
.LBB306_359:
	v_sub_u32_e32 v54, v45, v78
	v_mov_b32_e32 v55, 0
	v_lshlrev_b64 v[54:55], 3, v[54:55]
	v_add_co_u32_e32 v54, vcc, v50, v54
	v_addc_co_u32_e32 v55, vcc, v51, v55, vcc
	global_store_dwordx2 v[54:55], v[20:21], off
	s_or_b64 exec, exec, s[38:39]
	s_and_saveexec_b64 s[38:39], s[18:19]
	s_cbranch_execz .LBB306_293
.LBB306_360:
	v_sub_u32_e32 v54, v44, v78
	v_mov_b32_e32 v55, 0
	v_lshlrev_b64 v[54:55], 3, v[54:55]
	v_add_co_u32_e32 v54, vcc, v50, v54
	v_addc_co_u32_e32 v55, vcc, v51, v55, vcc
	global_store_dwordx2 v[54:55], v[14:15], off
	s_or_b64 exec, exec, s[38:39]
	s_and_saveexec_b64 s[38:39], s[16:17]
	s_cbranch_execz .LBB306_294
.LBB306_361:
	v_sub_u32_e32 v54, v43, v78
	v_mov_b32_e32 v55, 0
	v_lshlrev_b64 v[54:55], 3, v[54:55]
	v_add_co_u32_e32 v54, vcc, v50, v54
	v_addc_co_u32_e32 v55, vcc, v51, v55, vcc
	global_store_dwordx2 v[54:55], v[16:17], off
	s_or_b64 exec, exec, s[38:39]
	s_and_saveexec_b64 s[38:39], s[14:15]
	s_cbranch_execz .LBB306_295
.LBB306_362:
	v_sub_u32_e32 v54, v42, v78
	v_mov_b32_e32 v55, 0
	v_lshlrev_b64 v[54:55], 3, v[54:55]
	v_add_co_u32_e32 v54, vcc, v50, v54
	v_addc_co_u32_e32 v55, vcc, v51, v55, vcc
	global_store_dwordx2 v[54:55], v[10:11], off
	s_or_b64 exec, exec, s[38:39]
	s_and_saveexec_b64 s[38:39], s[12:13]
	s_cbranch_execz .LBB306_296
.LBB306_363:
	v_sub_u32_e32 v54, v41, v78
	v_mov_b32_e32 v55, 0
	v_lshlrev_b64 v[54:55], 3, v[54:55]
	v_add_co_u32_e32 v54, vcc, v50, v54
	v_addc_co_u32_e32 v55, vcc, v51, v55, vcc
	global_store_dwordx2 v[54:55], v[12:13], off
	s_or_b64 exec, exec, s[38:39]
	s_and_saveexec_b64 s[38:39], s[10:11]
	s_cbranch_execz .LBB306_297
.LBB306_364:
	v_sub_u32_e32 v54, v40, v78
	v_mov_b32_e32 v55, 0
	v_lshlrev_b64 v[54:55], 3, v[54:55]
	v_add_co_u32_e32 v54, vcc, v50, v54
	v_addc_co_u32_e32 v55, vcc, v51, v55, vcc
	global_store_dwordx2 v[54:55], v[6:7], off
	s_or_b64 exec, exec, s[38:39]
	s_and_saveexec_b64 s[38:39], s[8:9]
	s_cbranch_execz .LBB306_298
.LBB306_365:
	v_sub_u32_e32 v54, v39, v78
	v_mov_b32_e32 v55, 0
	v_lshlrev_b64 v[54:55], 3, v[54:55]
	v_add_co_u32_e32 v54, vcc, v50, v54
	v_addc_co_u32_e32 v55, vcc, v51, v55, vcc
	global_store_dwordx2 v[54:55], v[8:9], off
	s_or_b64 exec, exec, s[38:39]
	s_and_saveexec_b64 s[38:39], s[6:7]
	s_cbranch_execz .LBB306_299
.LBB306_366:
	v_sub_u32_e32 v54, v38, v78
	v_mov_b32_e32 v55, 0
	v_lshlrev_b64 v[54:55], 3, v[54:55]
	v_add_co_u32_e32 v54, vcc, v50, v54
	v_addc_co_u32_e32 v55, vcc, v51, v55, vcc
	global_store_dwordx2 v[54:55], v[2:3], off
	s_or_b64 exec, exec, s[38:39]
	s_and_saveexec_b64 s[38:39], s[4:5]
	s_cbranch_execnz .LBB306_300
	s_branch .LBB306_301
.LBB306_367:
	v_sub_u32_e32 v52, v74, v78
	v_lshlrev_b32_e32 v52, 3, v52
	ds_write_b64 v52, v[26:27]
	s_or_b64 exec, exec, s[38:39]
	s_and_saveexec_b64 s[30:31], s[28:29]
	s_cbranch_execz .LBB306_305
.LBB306_368:
	v_sub_u32_e32 v26, v49, v78
	v_lshlrev_b32_e32 v26, 3, v26
	ds_write_b64 v26, v[28:29]
	s_or_b64 exec, exec, s[30:31]
	s_and_saveexec_b64 s[28:29], s[26:27]
	s_cbranch_execz .LBB306_306
.LBB306_369:
	v_sub_u32_e32 v26, v48, v78
	v_lshlrev_b32_e32 v26, 3, v26
	ds_write_b64 v26, v[22:23]
	s_or_b64 exec, exec, s[28:29]
	s_and_saveexec_b64 s[26:27], s[24:25]
	s_cbranch_execz .LBB306_307
.LBB306_370:
	v_sub_u32_e32 v22, v47, v78
	v_lshlrev_b32_e32 v22, 3, v22
	ds_write_b64 v22, v[24:25]
	s_or_b64 exec, exec, s[26:27]
	s_and_saveexec_b64 s[24:25], s[22:23]
	s_cbranch_execz .LBB306_308
.LBB306_371:
	v_sub_u32_e32 v22, v46, v78
	v_lshlrev_b32_e32 v22, 3, v22
	ds_write_b64 v22, v[18:19]
	s_or_b64 exec, exec, s[24:25]
	s_and_saveexec_b64 s[22:23], s[20:21]
	s_cbranch_execz .LBB306_309
.LBB306_372:
	v_sub_u32_e32 v18, v45, v78
	v_lshlrev_b32_e32 v18, 3, v18
	ds_write_b64 v18, v[20:21]
	s_or_b64 exec, exec, s[22:23]
	s_and_saveexec_b64 s[20:21], s[18:19]
	s_cbranch_execz .LBB306_310
.LBB306_373:
	v_sub_u32_e32 v18, v44, v78
	v_lshlrev_b32_e32 v18, 3, v18
	ds_write_b64 v18, v[14:15]
	s_or_b64 exec, exec, s[20:21]
	s_and_saveexec_b64 s[18:19], s[16:17]
	s_cbranch_execz .LBB306_311
.LBB306_374:
	v_sub_u32_e32 v14, v43, v78
	v_lshlrev_b32_e32 v14, 3, v14
	ds_write_b64 v14, v[16:17]
	s_or_b64 exec, exec, s[18:19]
	s_and_saveexec_b64 s[16:17], s[14:15]
	s_cbranch_execz .LBB306_312
.LBB306_375:
	v_sub_u32_e32 v14, v42, v78
	v_lshlrev_b32_e32 v14, 3, v14
	ds_write_b64 v14, v[10:11]
	s_or_b64 exec, exec, s[16:17]
	s_and_saveexec_b64 s[14:15], s[12:13]
	s_cbranch_execz .LBB306_313
.LBB306_376:
	v_sub_u32_e32 v10, v41, v78
	v_lshlrev_b32_e32 v10, 3, v10
	ds_write_b64 v10, v[12:13]
	s_or_b64 exec, exec, s[14:15]
	s_and_saveexec_b64 s[12:13], s[10:11]
	s_cbranch_execz .LBB306_314
.LBB306_377:
	v_sub_u32_e32 v10, v40, v78
	v_lshlrev_b32_e32 v10, 3, v10
	ds_write_b64 v10, v[6:7]
	s_or_b64 exec, exec, s[12:13]
	s_and_saveexec_b64 s[10:11], s[8:9]
	s_cbranch_execz .LBB306_315
.LBB306_378:
	v_sub_u32_e32 v6, v39, v78
	v_lshlrev_b32_e32 v6, 3, v6
	ds_write_b64 v6, v[8:9]
	s_or_b64 exec, exec, s[10:11]
	s_and_saveexec_b64 s[8:9], s[6:7]
	s_cbranch_execz .LBB306_316
.LBB306_379:
	v_sub_u32_e32 v6, v38, v78
	v_lshlrev_b32_e32 v6, 3, v6
	ds_write_b64 v6, v[2:3]
	s_or_b64 exec, exec, s[8:9]
	s_and_saveexec_b64 s[6:7], s[4:5]
	s_cbranch_execnz .LBB306_317
	s_branch .LBB306_318
.LBB306_380:
	v_sub_u32_e32 v10, v74, v8
	v_mov_b32_e32 v11, 0
	v_lshlrev_b64 v[10:11], 3, v[10:11]
	v_add_co_u32_e32 v10, vcc, v6, v10
	v_addc_co_u32_e32 v11, vcc, v7, v11, vcc
	global_store_dwordx2 v[10:11], v[104:105], off
	s_or_b64 exec, exec, s[36:37]
	s_and_saveexec_b64 s[36:37], s[26:27]
	s_cbranch_execz .LBB306_322
.LBB306_381:
	v_sub_u32_e32 v10, v49, v8
	v_mov_b32_e32 v11, 0
	v_lshlrev_b64 v[10:11], 3, v[10:11]
	v_add_co_u32_e32 v10, vcc, v6, v10
	v_addc_co_u32_e32 v11, vcc, v7, v11, vcc
	global_store_dwordx2 v[10:11], v[80:81], off
	s_or_b64 exec, exec, s[36:37]
	s_and_saveexec_b64 s[36:37], s[24:25]
	s_cbranch_execz .LBB306_323
.LBB306_382:
	v_sub_u32_e32 v10, v48, v8
	v_mov_b32_e32 v11, 0
	v_lshlrev_b64 v[10:11], 3, v[10:11]
	v_add_co_u32_e32 v10, vcc, v6, v10
	v_addc_co_u32_e32 v11, vcc, v7, v11, vcc
	global_store_dwordx2 v[10:11], v[82:83], off
	s_or_b64 exec, exec, s[36:37]
	s_and_saveexec_b64 s[36:37], s[22:23]
	s_cbranch_execz .LBB306_324
.LBB306_383:
	v_sub_u32_e32 v10, v47, v8
	v_mov_b32_e32 v11, 0
	v_lshlrev_b64 v[10:11], 3, v[10:11]
	v_add_co_u32_e32 v10, vcc, v6, v10
	v_addc_co_u32_e32 v11, vcc, v7, v11, vcc
	global_store_dwordx2 v[10:11], v[84:85], off
	s_or_b64 exec, exec, s[36:37]
	s_and_saveexec_b64 s[36:37], s[20:21]
	s_cbranch_execz .LBB306_325
.LBB306_384:
	v_sub_u32_e32 v10, v46, v8
	v_mov_b32_e32 v11, 0
	v_lshlrev_b64 v[10:11], 3, v[10:11]
	v_add_co_u32_e32 v10, vcc, v6, v10
	v_addc_co_u32_e32 v11, vcc, v7, v11, vcc
	global_store_dwordx2 v[10:11], v[86:87], off
	s_or_b64 exec, exec, s[36:37]
	s_and_saveexec_b64 s[36:37], s[18:19]
	s_cbranch_execz .LBB306_326
.LBB306_385:
	v_sub_u32_e32 v10, v45, v8
	v_mov_b32_e32 v11, 0
	v_lshlrev_b64 v[10:11], 3, v[10:11]
	v_add_co_u32_e32 v10, vcc, v6, v10
	v_addc_co_u32_e32 v11, vcc, v7, v11, vcc
	global_store_dwordx2 v[10:11], v[88:89], off
	s_or_b64 exec, exec, s[36:37]
	s_and_saveexec_b64 s[36:37], s[16:17]
	s_cbranch_execz .LBB306_327
.LBB306_386:
	v_sub_u32_e32 v10, v44, v8
	v_mov_b32_e32 v11, 0
	v_lshlrev_b64 v[10:11], 3, v[10:11]
	v_add_co_u32_e32 v10, vcc, v6, v10
	v_addc_co_u32_e32 v11, vcc, v7, v11, vcc
	global_store_dwordx2 v[10:11], v[90:91], off
	s_or_b64 exec, exec, s[36:37]
	s_and_saveexec_b64 s[36:37], s[14:15]
	s_cbranch_execz .LBB306_328
.LBB306_387:
	v_sub_u32_e32 v10, v43, v8
	v_mov_b32_e32 v11, 0
	v_lshlrev_b64 v[10:11], 3, v[10:11]
	v_add_co_u32_e32 v10, vcc, v6, v10
	v_addc_co_u32_e32 v11, vcc, v7, v11, vcc
	global_store_dwordx2 v[10:11], v[92:93], off
	s_or_b64 exec, exec, s[36:37]
	s_and_saveexec_b64 s[36:37], s[12:13]
	s_cbranch_execz .LBB306_329
.LBB306_388:
	v_sub_u32_e32 v10, v42, v8
	v_mov_b32_e32 v11, 0
	v_lshlrev_b64 v[10:11], 3, v[10:11]
	v_add_co_u32_e32 v10, vcc, v6, v10
	v_addc_co_u32_e32 v11, vcc, v7, v11, vcc
	global_store_dwordx2 v[10:11], v[94:95], off
	s_or_b64 exec, exec, s[36:37]
	s_and_saveexec_b64 s[36:37], s[10:11]
	s_cbranch_execz .LBB306_330
.LBB306_389:
	v_sub_u32_e32 v10, v41, v8
	v_mov_b32_e32 v11, 0
	v_lshlrev_b64 v[10:11], 3, v[10:11]
	v_add_co_u32_e32 v10, vcc, v6, v10
	v_addc_co_u32_e32 v11, vcc, v7, v11, vcc
	global_store_dwordx2 v[10:11], v[96:97], off
	s_or_b64 exec, exec, s[36:37]
	s_and_saveexec_b64 s[36:37], s[8:9]
	s_cbranch_execz .LBB306_331
.LBB306_390:
	v_sub_u32_e32 v10, v40, v8
	v_mov_b32_e32 v11, 0
	v_lshlrev_b64 v[10:11], 3, v[10:11]
	v_add_co_u32_e32 v10, vcc, v6, v10
	v_addc_co_u32_e32 v11, vcc, v7, v11, vcc
	global_store_dwordx2 v[10:11], v[98:99], off
	s_or_b64 exec, exec, s[36:37]
	s_and_saveexec_b64 s[36:37], s[6:7]
	s_cbranch_execz .LBB306_332
.LBB306_391:
	v_sub_u32_e32 v10, v39, v8
	v_mov_b32_e32 v11, 0
	v_lshlrev_b64 v[10:11], 3, v[10:11]
	v_add_co_u32_e32 v10, vcc, v6, v10
	v_addc_co_u32_e32 v11, vcc, v7, v11, vcc
	global_store_dwordx2 v[10:11], v[100:101], off
	s_or_b64 exec, exec, s[36:37]
	s_and_saveexec_b64 s[36:37], s[4:5]
	s_cbranch_execz .LBB306_333
.LBB306_392:
	v_sub_u32_e32 v10, v38, v8
	v_mov_b32_e32 v11, 0
	v_lshlrev_b64 v[10:11], 3, v[10:11]
	v_add_co_u32_e32 v10, vcc, v6, v10
	v_addc_co_u32_e32 v11, vcc, v7, v11, vcc
	global_store_dwordx2 v[10:11], v[102:103], off
	s_or_b64 exec, exec, s[36:37]
	s_and_saveexec_b64 s[36:37], s[2:3]
	s_cbranch_execnz .LBB306_334
	s_branch .LBB306_335
.LBB306_393:
	v_sub_u32_e32 v9, v74, v8
	v_lshlrev_b32_e32 v9, 3, v9
	ds_write_b64 v9, v[104:105]
	s_or_b64 exec, exec, s[36:37]
	s_and_saveexec_b64 s[28:29], s[26:27]
	s_cbranch_execz .LBB306_339
.LBB306_394:
	v_sub_u32_e32 v9, v49, v8
	v_lshlrev_b32_e32 v9, 3, v9
	ds_write_b64 v9, v[80:81]
	s_or_b64 exec, exec, s[28:29]
	s_and_saveexec_b64 s[26:27], s[24:25]
	s_cbranch_execz .LBB306_340
.LBB306_395:
	v_sub_u32_e32 v9, v48, v8
	v_lshlrev_b32_e32 v9, 3, v9
	ds_write_b64 v9, v[82:83]
	s_or_b64 exec, exec, s[26:27]
	s_and_saveexec_b64 s[24:25], s[22:23]
	s_cbranch_execz .LBB306_341
.LBB306_396:
	v_sub_u32_e32 v9, v47, v8
	v_lshlrev_b32_e32 v9, 3, v9
	ds_write_b64 v9, v[84:85]
	s_or_b64 exec, exec, s[24:25]
	s_and_saveexec_b64 s[22:23], s[20:21]
	s_cbranch_execz .LBB306_342
.LBB306_397:
	v_sub_u32_e32 v9, v46, v8
	v_lshlrev_b32_e32 v9, 3, v9
	ds_write_b64 v9, v[86:87]
	s_or_b64 exec, exec, s[22:23]
	s_and_saveexec_b64 s[20:21], s[18:19]
	s_cbranch_execz .LBB306_343
.LBB306_398:
	v_sub_u32_e32 v9, v45, v8
	v_lshlrev_b32_e32 v9, 3, v9
	ds_write_b64 v9, v[88:89]
	s_or_b64 exec, exec, s[20:21]
	s_and_saveexec_b64 s[18:19], s[16:17]
	s_cbranch_execz .LBB306_344
.LBB306_399:
	v_sub_u32_e32 v9, v44, v8
	v_lshlrev_b32_e32 v9, 3, v9
	ds_write_b64 v9, v[90:91]
	s_or_b64 exec, exec, s[18:19]
	s_and_saveexec_b64 s[16:17], s[14:15]
	s_cbranch_execz .LBB306_345
.LBB306_400:
	v_sub_u32_e32 v9, v43, v8
	v_lshlrev_b32_e32 v9, 3, v9
	ds_write_b64 v9, v[92:93]
	s_or_b64 exec, exec, s[16:17]
	s_and_saveexec_b64 s[14:15], s[12:13]
	s_cbranch_execz .LBB306_346
.LBB306_401:
	v_sub_u32_e32 v9, v42, v8
	v_lshlrev_b32_e32 v9, 3, v9
	ds_write_b64 v9, v[94:95]
	s_or_b64 exec, exec, s[14:15]
	s_and_saveexec_b64 s[12:13], s[10:11]
	s_cbranch_execz .LBB306_347
.LBB306_402:
	v_sub_u32_e32 v9, v41, v8
	v_lshlrev_b32_e32 v9, 3, v9
	ds_write_b64 v9, v[96:97]
	s_or_b64 exec, exec, s[12:13]
	s_and_saveexec_b64 s[10:11], s[8:9]
	s_cbranch_execz .LBB306_348
.LBB306_403:
	v_sub_u32_e32 v9, v40, v8
	v_lshlrev_b32_e32 v9, 3, v9
	ds_write_b64 v9, v[98:99]
	s_or_b64 exec, exec, s[10:11]
	s_and_saveexec_b64 s[8:9], s[6:7]
	s_cbranch_execz .LBB306_349
.LBB306_404:
	v_sub_u32_e32 v9, v39, v8
	v_lshlrev_b32_e32 v9, 3, v9
	ds_write_b64 v9, v[100:101]
	s_or_b64 exec, exec, s[8:9]
	s_and_saveexec_b64 s[6:7], s[4:5]
	s_cbranch_execz .LBB306_350
.LBB306_405:
	v_sub_u32_e32 v9, v38, v8
	v_lshlrev_b32_e32 v9, 3, v9
	ds_write_b64 v9, v[102:103]
	s_or_b64 exec, exec, s[6:7]
	s_and_saveexec_b64 s[4:5], s[2:3]
	s_cbranch_execnz .LBB306_351
	s_branch .LBB306_352
	.section	.rodata,"a",@progbits
	.p2align	6, 0x0
	.amdhsa_kernel _ZN7rocprim17ROCPRIM_400000_NS6detail17trampoline_kernelINS0_14default_configENS1_29reduce_by_key_config_selectorIyyN6thrust23THRUST_200600_302600_NS4plusIyEEEEZZNS1_33reduce_by_key_impl_wrapped_configILNS1_25lookback_scan_determinismE0ES3_S9_NS6_6detail15normal_iteratorINS6_10device_ptrIyEEEESG_SG_SG_PmS8_22is_equal_div_10_reduceIyEEE10hipError_tPvRmT2_T3_mT4_T5_T6_T7_T8_P12ihipStream_tbENKUlT_T0_E_clISt17integral_constantIbLb0EES10_IbLb1EEEEDaSW_SX_EUlSW_E_NS1_11comp_targetILNS1_3genE4ELNS1_11target_archE910ELNS1_3gpuE8ELNS1_3repE0EEENS1_30default_config_static_selectorELNS0_4arch9wavefront6targetE1EEEvT1_
		.amdhsa_group_segment_fixed_size 30720
		.amdhsa_private_segment_fixed_size 0
		.amdhsa_kernarg_size 136
		.amdhsa_user_sgpr_count 6
		.amdhsa_user_sgpr_private_segment_buffer 1
		.amdhsa_user_sgpr_dispatch_ptr 0
		.amdhsa_user_sgpr_queue_ptr 0
		.amdhsa_user_sgpr_kernarg_segment_ptr 1
		.amdhsa_user_sgpr_dispatch_id 0
		.amdhsa_user_sgpr_flat_scratch_init 0
		.amdhsa_user_sgpr_kernarg_preload_length 0
		.amdhsa_user_sgpr_kernarg_preload_offset 0
		.amdhsa_user_sgpr_private_segment_size 0
		.amdhsa_uses_dynamic_stack 0
		.amdhsa_system_sgpr_private_segment_wavefront_offset 0
		.amdhsa_system_sgpr_workgroup_id_x 1
		.amdhsa_system_sgpr_workgroup_id_y 0
		.amdhsa_system_sgpr_workgroup_id_z 0
		.amdhsa_system_sgpr_workgroup_info 0
		.amdhsa_system_vgpr_workitem_id 0
		.amdhsa_next_free_vgpr 116
		.amdhsa_next_free_sgpr 66
		.amdhsa_accum_offset 116
		.amdhsa_reserve_vcc 1
		.amdhsa_reserve_flat_scratch 0
		.amdhsa_float_round_mode_32 0
		.amdhsa_float_round_mode_16_64 0
		.amdhsa_float_denorm_mode_32 3
		.amdhsa_float_denorm_mode_16_64 3
		.amdhsa_dx10_clamp 1
		.amdhsa_ieee_mode 1
		.amdhsa_fp16_overflow 0
		.amdhsa_tg_split 0
		.amdhsa_exception_fp_ieee_invalid_op 0
		.amdhsa_exception_fp_denorm_src 0
		.amdhsa_exception_fp_ieee_div_zero 0
		.amdhsa_exception_fp_ieee_overflow 0
		.amdhsa_exception_fp_ieee_underflow 0
		.amdhsa_exception_fp_ieee_inexact 0
		.amdhsa_exception_int_div_zero 0
	.end_amdhsa_kernel
	.section	.text._ZN7rocprim17ROCPRIM_400000_NS6detail17trampoline_kernelINS0_14default_configENS1_29reduce_by_key_config_selectorIyyN6thrust23THRUST_200600_302600_NS4plusIyEEEEZZNS1_33reduce_by_key_impl_wrapped_configILNS1_25lookback_scan_determinismE0ES3_S9_NS6_6detail15normal_iteratorINS6_10device_ptrIyEEEESG_SG_SG_PmS8_22is_equal_div_10_reduceIyEEE10hipError_tPvRmT2_T3_mT4_T5_T6_T7_T8_P12ihipStream_tbENKUlT_T0_E_clISt17integral_constantIbLb0EES10_IbLb1EEEEDaSW_SX_EUlSW_E_NS1_11comp_targetILNS1_3genE4ELNS1_11target_archE910ELNS1_3gpuE8ELNS1_3repE0EEENS1_30default_config_static_selectorELNS0_4arch9wavefront6targetE1EEEvT1_,"axG",@progbits,_ZN7rocprim17ROCPRIM_400000_NS6detail17trampoline_kernelINS0_14default_configENS1_29reduce_by_key_config_selectorIyyN6thrust23THRUST_200600_302600_NS4plusIyEEEEZZNS1_33reduce_by_key_impl_wrapped_configILNS1_25lookback_scan_determinismE0ES3_S9_NS6_6detail15normal_iteratorINS6_10device_ptrIyEEEESG_SG_SG_PmS8_22is_equal_div_10_reduceIyEEE10hipError_tPvRmT2_T3_mT4_T5_T6_T7_T8_P12ihipStream_tbENKUlT_T0_E_clISt17integral_constantIbLb0EES10_IbLb1EEEEDaSW_SX_EUlSW_E_NS1_11comp_targetILNS1_3genE4ELNS1_11target_archE910ELNS1_3gpuE8ELNS1_3repE0EEENS1_30default_config_static_selectorELNS0_4arch9wavefront6targetE1EEEvT1_,comdat
.Lfunc_end306:
	.size	_ZN7rocprim17ROCPRIM_400000_NS6detail17trampoline_kernelINS0_14default_configENS1_29reduce_by_key_config_selectorIyyN6thrust23THRUST_200600_302600_NS4plusIyEEEEZZNS1_33reduce_by_key_impl_wrapped_configILNS1_25lookback_scan_determinismE0ES3_S9_NS6_6detail15normal_iteratorINS6_10device_ptrIyEEEESG_SG_SG_PmS8_22is_equal_div_10_reduceIyEEE10hipError_tPvRmT2_T3_mT4_T5_T6_T7_T8_P12ihipStream_tbENKUlT_T0_E_clISt17integral_constantIbLb0EES10_IbLb1EEEEDaSW_SX_EUlSW_E_NS1_11comp_targetILNS1_3genE4ELNS1_11target_archE910ELNS1_3gpuE8ELNS1_3repE0EEENS1_30default_config_static_selectorELNS0_4arch9wavefront6targetE1EEEvT1_, .Lfunc_end306-_ZN7rocprim17ROCPRIM_400000_NS6detail17trampoline_kernelINS0_14default_configENS1_29reduce_by_key_config_selectorIyyN6thrust23THRUST_200600_302600_NS4plusIyEEEEZZNS1_33reduce_by_key_impl_wrapped_configILNS1_25lookback_scan_determinismE0ES3_S9_NS6_6detail15normal_iteratorINS6_10device_ptrIyEEEESG_SG_SG_PmS8_22is_equal_div_10_reduceIyEEE10hipError_tPvRmT2_T3_mT4_T5_T6_T7_T8_P12ihipStream_tbENKUlT_T0_E_clISt17integral_constantIbLb0EES10_IbLb1EEEEDaSW_SX_EUlSW_E_NS1_11comp_targetILNS1_3genE4ELNS1_11target_archE910ELNS1_3gpuE8ELNS1_3repE0EEENS1_30default_config_static_selectorELNS0_4arch9wavefront6targetE1EEEvT1_
                                        ; -- End function
	.section	.AMDGPU.csdata,"",@progbits
; Kernel info:
; codeLenInByte = 18792
; NumSgprs: 70
; NumVgprs: 116
; NumAgprs: 0
; TotalNumVgprs: 116
; ScratchSize: 0
; MemoryBound: 0
; FloatMode: 240
; IeeeMode: 1
; LDSByteSize: 30720 bytes/workgroup (compile time only)
; SGPRBlocks: 8
; VGPRBlocks: 14
; NumSGPRsForWavesPerEU: 70
; NumVGPRsForWavesPerEU: 116
; AccumOffset: 116
; Occupancy: 2
; WaveLimiterHint : 1
; COMPUTE_PGM_RSRC2:SCRATCH_EN: 0
; COMPUTE_PGM_RSRC2:USER_SGPR: 6
; COMPUTE_PGM_RSRC2:TRAP_HANDLER: 0
; COMPUTE_PGM_RSRC2:TGID_X_EN: 1
; COMPUTE_PGM_RSRC2:TGID_Y_EN: 0
; COMPUTE_PGM_RSRC2:TGID_Z_EN: 0
; COMPUTE_PGM_RSRC2:TIDIG_COMP_CNT: 0
; COMPUTE_PGM_RSRC3_GFX90A:ACCUM_OFFSET: 28
; COMPUTE_PGM_RSRC3_GFX90A:TG_SPLIT: 0
	.section	.text._ZN7rocprim17ROCPRIM_400000_NS6detail17trampoline_kernelINS0_14default_configENS1_29reduce_by_key_config_selectorIyyN6thrust23THRUST_200600_302600_NS4plusIyEEEEZZNS1_33reduce_by_key_impl_wrapped_configILNS1_25lookback_scan_determinismE0ES3_S9_NS6_6detail15normal_iteratorINS6_10device_ptrIyEEEESG_SG_SG_PmS8_22is_equal_div_10_reduceIyEEE10hipError_tPvRmT2_T3_mT4_T5_T6_T7_T8_P12ihipStream_tbENKUlT_T0_E_clISt17integral_constantIbLb0EES10_IbLb1EEEEDaSW_SX_EUlSW_E_NS1_11comp_targetILNS1_3genE3ELNS1_11target_archE908ELNS1_3gpuE7ELNS1_3repE0EEENS1_30default_config_static_selectorELNS0_4arch9wavefront6targetE1EEEvT1_,"axG",@progbits,_ZN7rocprim17ROCPRIM_400000_NS6detail17trampoline_kernelINS0_14default_configENS1_29reduce_by_key_config_selectorIyyN6thrust23THRUST_200600_302600_NS4plusIyEEEEZZNS1_33reduce_by_key_impl_wrapped_configILNS1_25lookback_scan_determinismE0ES3_S9_NS6_6detail15normal_iteratorINS6_10device_ptrIyEEEESG_SG_SG_PmS8_22is_equal_div_10_reduceIyEEE10hipError_tPvRmT2_T3_mT4_T5_T6_T7_T8_P12ihipStream_tbENKUlT_T0_E_clISt17integral_constantIbLb0EES10_IbLb1EEEEDaSW_SX_EUlSW_E_NS1_11comp_targetILNS1_3genE3ELNS1_11target_archE908ELNS1_3gpuE7ELNS1_3repE0EEENS1_30default_config_static_selectorELNS0_4arch9wavefront6targetE1EEEvT1_,comdat
	.protected	_ZN7rocprim17ROCPRIM_400000_NS6detail17trampoline_kernelINS0_14default_configENS1_29reduce_by_key_config_selectorIyyN6thrust23THRUST_200600_302600_NS4plusIyEEEEZZNS1_33reduce_by_key_impl_wrapped_configILNS1_25lookback_scan_determinismE0ES3_S9_NS6_6detail15normal_iteratorINS6_10device_ptrIyEEEESG_SG_SG_PmS8_22is_equal_div_10_reduceIyEEE10hipError_tPvRmT2_T3_mT4_T5_T6_T7_T8_P12ihipStream_tbENKUlT_T0_E_clISt17integral_constantIbLb0EES10_IbLb1EEEEDaSW_SX_EUlSW_E_NS1_11comp_targetILNS1_3genE3ELNS1_11target_archE908ELNS1_3gpuE7ELNS1_3repE0EEENS1_30default_config_static_selectorELNS0_4arch9wavefront6targetE1EEEvT1_ ; -- Begin function _ZN7rocprim17ROCPRIM_400000_NS6detail17trampoline_kernelINS0_14default_configENS1_29reduce_by_key_config_selectorIyyN6thrust23THRUST_200600_302600_NS4plusIyEEEEZZNS1_33reduce_by_key_impl_wrapped_configILNS1_25lookback_scan_determinismE0ES3_S9_NS6_6detail15normal_iteratorINS6_10device_ptrIyEEEESG_SG_SG_PmS8_22is_equal_div_10_reduceIyEEE10hipError_tPvRmT2_T3_mT4_T5_T6_T7_T8_P12ihipStream_tbENKUlT_T0_E_clISt17integral_constantIbLb0EES10_IbLb1EEEEDaSW_SX_EUlSW_E_NS1_11comp_targetILNS1_3genE3ELNS1_11target_archE908ELNS1_3gpuE7ELNS1_3repE0EEENS1_30default_config_static_selectorELNS0_4arch9wavefront6targetE1EEEvT1_
	.globl	_ZN7rocprim17ROCPRIM_400000_NS6detail17trampoline_kernelINS0_14default_configENS1_29reduce_by_key_config_selectorIyyN6thrust23THRUST_200600_302600_NS4plusIyEEEEZZNS1_33reduce_by_key_impl_wrapped_configILNS1_25lookback_scan_determinismE0ES3_S9_NS6_6detail15normal_iteratorINS6_10device_ptrIyEEEESG_SG_SG_PmS8_22is_equal_div_10_reduceIyEEE10hipError_tPvRmT2_T3_mT4_T5_T6_T7_T8_P12ihipStream_tbENKUlT_T0_E_clISt17integral_constantIbLb0EES10_IbLb1EEEEDaSW_SX_EUlSW_E_NS1_11comp_targetILNS1_3genE3ELNS1_11target_archE908ELNS1_3gpuE7ELNS1_3repE0EEENS1_30default_config_static_selectorELNS0_4arch9wavefront6targetE1EEEvT1_
	.p2align	8
	.type	_ZN7rocprim17ROCPRIM_400000_NS6detail17trampoline_kernelINS0_14default_configENS1_29reduce_by_key_config_selectorIyyN6thrust23THRUST_200600_302600_NS4plusIyEEEEZZNS1_33reduce_by_key_impl_wrapped_configILNS1_25lookback_scan_determinismE0ES3_S9_NS6_6detail15normal_iteratorINS6_10device_ptrIyEEEESG_SG_SG_PmS8_22is_equal_div_10_reduceIyEEE10hipError_tPvRmT2_T3_mT4_T5_T6_T7_T8_P12ihipStream_tbENKUlT_T0_E_clISt17integral_constantIbLb0EES10_IbLb1EEEEDaSW_SX_EUlSW_E_NS1_11comp_targetILNS1_3genE3ELNS1_11target_archE908ELNS1_3gpuE7ELNS1_3repE0EEENS1_30default_config_static_selectorELNS0_4arch9wavefront6targetE1EEEvT1_,@function
_ZN7rocprim17ROCPRIM_400000_NS6detail17trampoline_kernelINS0_14default_configENS1_29reduce_by_key_config_selectorIyyN6thrust23THRUST_200600_302600_NS4plusIyEEEEZZNS1_33reduce_by_key_impl_wrapped_configILNS1_25lookback_scan_determinismE0ES3_S9_NS6_6detail15normal_iteratorINS6_10device_ptrIyEEEESG_SG_SG_PmS8_22is_equal_div_10_reduceIyEEE10hipError_tPvRmT2_T3_mT4_T5_T6_T7_T8_P12ihipStream_tbENKUlT_T0_E_clISt17integral_constantIbLb0EES10_IbLb1EEEEDaSW_SX_EUlSW_E_NS1_11comp_targetILNS1_3genE3ELNS1_11target_archE908ELNS1_3gpuE7ELNS1_3repE0EEENS1_30default_config_static_selectorELNS0_4arch9wavefront6targetE1EEEvT1_: ; @_ZN7rocprim17ROCPRIM_400000_NS6detail17trampoline_kernelINS0_14default_configENS1_29reduce_by_key_config_selectorIyyN6thrust23THRUST_200600_302600_NS4plusIyEEEEZZNS1_33reduce_by_key_impl_wrapped_configILNS1_25lookback_scan_determinismE0ES3_S9_NS6_6detail15normal_iteratorINS6_10device_ptrIyEEEESG_SG_SG_PmS8_22is_equal_div_10_reduceIyEEE10hipError_tPvRmT2_T3_mT4_T5_T6_T7_T8_P12ihipStream_tbENKUlT_T0_E_clISt17integral_constantIbLb0EES10_IbLb1EEEEDaSW_SX_EUlSW_E_NS1_11comp_targetILNS1_3genE3ELNS1_11target_archE908ELNS1_3gpuE7ELNS1_3repE0EEENS1_30default_config_static_selectorELNS0_4arch9wavefront6targetE1EEEvT1_
; %bb.0:
	.section	.rodata,"a",@progbits
	.p2align	6, 0x0
	.amdhsa_kernel _ZN7rocprim17ROCPRIM_400000_NS6detail17trampoline_kernelINS0_14default_configENS1_29reduce_by_key_config_selectorIyyN6thrust23THRUST_200600_302600_NS4plusIyEEEEZZNS1_33reduce_by_key_impl_wrapped_configILNS1_25lookback_scan_determinismE0ES3_S9_NS6_6detail15normal_iteratorINS6_10device_ptrIyEEEESG_SG_SG_PmS8_22is_equal_div_10_reduceIyEEE10hipError_tPvRmT2_T3_mT4_T5_T6_T7_T8_P12ihipStream_tbENKUlT_T0_E_clISt17integral_constantIbLb0EES10_IbLb1EEEEDaSW_SX_EUlSW_E_NS1_11comp_targetILNS1_3genE3ELNS1_11target_archE908ELNS1_3gpuE7ELNS1_3repE0EEENS1_30default_config_static_selectorELNS0_4arch9wavefront6targetE1EEEvT1_
		.amdhsa_group_segment_fixed_size 0
		.amdhsa_private_segment_fixed_size 0
		.amdhsa_kernarg_size 136
		.amdhsa_user_sgpr_count 6
		.amdhsa_user_sgpr_private_segment_buffer 1
		.amdhsa_user_sgpr_dispatch_ptr 0
		.amdhsa_user_sgpr_queue_ptr 0
		.amdhsa_user_sgpr_kernarg_segment_ptr 1
		.amdhsa_user_sgpr_dispatch_id 0
		.amdhsa_user_sgpr_flat_scratch_init 0
		.amdhsa_user_sgpr_kernarg_preload_length 0
		.amdhsa_user_sgpr_kernarg_preload_offset 0
		.amdhsa_user_sgpr_private_segment_size 0
		.amdhsa_uses_dynamic_stack 0
		.amdhsa_system_sgpr_private_segment_wavefront_offset 0
		.amdhsa_system_sgpr_workgroup_id_x 1
		.amdhsa_system_sgpr_workgroup_id_y 0
		.amdhsa_system_sgpr_workgroup_id_z 0
		.amdhsa_system_sgpr_workgroup_info 0
		.amdhsa_system_vgpr_workitem_id 0
		.amdhsa_next_free_vgpr 1
		.amdhsa_next_free_sgpr 0
		.amdhsa_accum_offset 4
		.amdhsa_reserve_vcc 0
		.amdhsa_reserve_flat_scratch 0
		.amdhsa_float_round_mode_32 0
		.amdhsa_float_round_mode_16_64 0
		.amdhsa_float_denorm_mode_32 3
		.amdhsa_float_denorm_mode_16_64 3
		.amdhsa_dx10_clamp 1
		.amdhsa_ieee_mode 1
		.amdhsa_fp16_overflow 0
		.amdhsa_tg_split 0
		.amdhsa_exception_fp_ieee_invalid_op 0
		.amdhsa_exception_fp_denorm_src 0
		.amdhsa_exception_fp_ieee_div_zero 0
		.amdhsa_exception_fp_ieee_overflow 0
		.amdhsa_exception_fp_ieee_underflow 0
		.amdhsa_exception_fp_ieee_inexact 0
		.amdhsa_exception_int_div_zero 0
	.end_amdhsa_kernel
	.section	.text._ZN7rocprim17ROCPRIM_400000_NS6detail17trampoline_kernelINS0_14default_configENS1_29reduce_by_key_config_selectorIyyN6thrust23THRUST_200600_302600_NS4plusIyEEEEZZNS1_33reduce_by_key_impl_wrapped_configILNS1_25lookback_scan_determinismE0ES3_S9_NS6_6detail15normal_iteratorINS6_10device_ptrIyEEEESG_SG_SG_PmS8_22is_equal_div_10_reduceIyEEE10hipError_tPvRmT2_T3_mT4_T5_T6_T7_T8_P12ihipStream_tbENKUlT_T0_E_clISt17integral_constantIbLb0EES10_IbLb1EEEEDaSW_SX_EUlSW_E_NS1_11comp_targetILNS1_3genE3ELNS1_11target_archE908ELNS1_3gpuE7ELNS1_3repE0EEENS1_30default_config_static_selectorELNS0_4arch9wavefront6targetE1EEEvT1_,"axG",@progbits,_ZN7rocprim17ROCPRIM_400000_NS6detail17trampoline_kernelINS0_14default_configENS1_29reduce_by_key_config_selectorIyyN6thrust23THRUST_200600_302600_NS4plusIyEEEEZZNS1_33reduce_by_key_impl_wrapped_configILNS1_25lookback_scan_determinismE0ES3_S9_NS6_6detail15normal_iteratorINS6_10device_ptrIyEEEESG_SG_SG_PmS8_22is_equal_div_10_reduceIyEEE10hipError_tPvRmT2_T3_mT4_T5_T6_T7_T8_P12ihipStream_tbENKUlT_T0_E_clISt17integral_constantIbLb0EES10_IbLb1EEEEDaSW_SX_EUlSW_E_NS1_11comp_targetILNS1_3genE3ELNS1_11target_archE908ELNS1_3gpuE7ELNS1_3repE0EEENS1_30default_config_static_selectorELNS0_4arch9wavefront6targetE1EEEvT1_,comdat
.Lfunc_end307:
	.size	_ZN7rocprim17ROCPRIM_400000_NS6detail17trampoline_kernelINS0_14default_configENS1_29reduce_by_key_config_selectorIyyN6thrust23THRUST_200600_302600_NS4plusIyEEEEZZNS1_33reduce_by_key_impl_wrapped_configILNS1_25lookback_scan_determinismE0ES3_S9_NS6_6detail15normal_iteratorINS6_10device_ptrIyEEEESG_SG_SG_PmS8_22is_equal_div_10_reduceIyEEE10hipError_tPvRmT2_T3_mT4_T5_T6_T7_T8_P12ihipStream_tbENKUlT_T0_E_clISt17integral_constantIbLb0EES10_IbLb1EEEEDaSW_SX_EUlSW_E_NS1_11comp_targetILNS1_3genE3ELNS1_11target_archE908ELNS1_3gpuE7ELNS1_3repE0EEENS1_30default_config_static_selectorELNS0_4arch9wavefront6targetE1EEEvT1_, .Lfunc_end307-_ZN7rocprim17ROCPRIM_400000_NS6detail17trampoline_kernelINS0_14default_configENS1_29reduce_by_key_config_selectorIyyN6thrust23THRUST_200600_302600_NS4plusIyEEEEZZNS1_33reduce_by_key_impl_wrapped_configILNS1_25lookback_scan_determinismE0ES3_S9_NS6_6detail15normal_iteratorINS6_10device_ptrIyEEEESG_SG_SG_PmS8_22is_equal_div_10_reduceIyEEE10hipError_tPvRmT2_T3_mT4_T5_T6_T7_T8_P12ihipStream_tbENKUlT_T0_E_clISt17integral_constantIbLb0EES10_IbLb1EEEEDaSW_SX_EUlSW_E_NS1_11comp_targetILNS1_3genE3ELNS1_11target_archE908ELNS1_3gpuE7ELNS1_3repE0EEENS1_30default_config_static_selectorELNS0_4arch9wavefront6targetE1EEEvT1_
                                        ; -- End function
	.section	.AMDGPU.csdata,"",@progbits
; Kernel info:
; codeLenInByte = 0
; NumSgprs: 4
; NumVgprs: 0
; NumAgprs: 0
; TotalNumVgprs: 0
; ScratchSize: 0
; MemoryBound: 0
; FloatMode: 240
; IeeeMode: 1
; LDSByteSize: 0 bytes/workgroup (compile time only)
; SGPRBlocks: 0
; VGPRBlocks: 0
; NumSGPRsForWavesPerEU: 4
; NumVGPRsForWavesPerEU: 1
; AccumOffset: 4
; Occupancy: 8
; WaveLimiterHint : 0
; COMPUTE_PGM_RSRC2:SCRATCH_EN: 0
; COMPUTE_PGM_RSRC2:USER_SGPR: 6
; COMPUTE_PGM_RSRC2:TRAP_HANDLER: 0
; COMPUTE_PGM_RSRC2:TGID_X_EN: 1
; COMPUTE_PGM_RSRC2:TGID_Y_EN: 0
; COMPUTE_PGM_RSRC2:TGID_Z_EN: 0
; COMPUTE_PGM_RSRC2:TIDIG_COMP_CNT: 0
; COMPUTE_PGM_RSRC3_GFX90A:ACCUM_OFFSET: 0
; COMPUTE_PGM_RSRC3_GFX90A:TG_SPLIT: 0
	.section	.text._ZN7rocprim17ROCPRIM_400000_NS6detail17trampoline_kernelINS0_14default_configENS1_29reduce_by_key_config_selectorIyyN6thrust23THRUST_200600_302600_NS4plusIyEEEEZZNS1_33reduce_by_key_impl_wrapped_configILNS1_25lookback_scan_determinismE0ES3_S9_NS6_6detail15normal_iteratorINS6_10device_ptrIyEEEESG_SG_SG_PmS8_22is_equal_div_10_reduceIyEEE10hipError_tPvRmT2_T3_mT4_T5_T6_T7_T8_P12ihipStream_tbENKUlT_T0_E_clISt17integral_constantIbLb0EES10_IbLb1EEEEDaSW_SX_EUlSW_E_NS1_11comp_targetILNS1_3genE2ELNS1_11target_archE906ELNS1_3gpuE6ELNS1_3repE0EEENS1_30default_config_static_selectorELNS0_4arch9wavefront6targetE1EEEvT1_,"axG",@progbits,_ZN7rocprim17ROCPRIM_400000_NS6detail17trampoline_kernelINS0_14default_configENS1_29reduce_by_key_config_selectorIyyN6thrust23THRUST_200600_302600_NS4plusIyEEEEZZNS1_33reduce_by_key_impl_wrapped_configILNS1_25lookback_scan_determinismE0ES3_S9_NS6_6detail15normal_iteratorINS6_10device_ptrIyEEEESG_SG_SG_PmS8_22is_equal_div_10_reduceIyEEE10hipError_tPvRmT2_T3_mT4_T5_T6_T7_T8_P12ihipStream_tbENKUlT_T0_E_clISt17integral_constantIbLb0EES10_IbLb1EEEEDaSW_SX_EUlSW_E_NS1_11comp_targetILNS1_3genE2ELNS1_11target_archE906ELNS1_3gpuE6ELNS1_3repE0EEENS1_30default_config_static_selectorELNS0_4arch9wavefront6targetE1EEEvT1_,comdat
	.protected	_ZN7rocprim17ROCPRIM_400000_NS6detail17trampoline_kernelINS0_14default_configENS1_29reduce_by_key_config_selectorIyyN6thrust23THRUST_200600_302600_NS4plusIyEEEEZZNS1_33reduce_by_key_impl_wrapped_configILNS1_25lookback_scan_determinismE0ES3_S9_NS6_6detail15normal_iteratorINS6_10device_ptrIyEEEESG_SG_SG_PmS8_22is_equal_div_10_reduceIyEEE10hipError_tPvRmT2_T3_mT4_T5_T6_T7_T8_P12ihipStream_tbENKUlT_T0_E_clISt17integral_constantIbLb0EES10_IbLb1EEEEDaSW_SX_EUlSW_E_NS1_11comp_targetILNS1_3genE2ELNS1_11target_archE906ELNS1_3gpuE6ELNS1_3repE0EEENS1_30default_config_static_selectorELNS0_4arch9wavefront6targetE1EEEvT1_ ; -- Begin function _ZN7rocprim17ROCPRIM_400000_NS6detail17trampoline_kernelINS0_14default_configENS1_29reduce_by_key_config_selectorIyyN6thrust23THRUST_200600_302600_NS4plusIyEEEEZZNS1_33reduce_by_key_impl_wrapped_configILNS1_25lookback_scan_determinismE0ES3_S9_NS6_6detail15normal_iteratorINS6_10device_ptrIyEEEESG_SG_SG_PmS8_22is_equal_div_10_reduceIyEEE10hipError_tPvRmT2_T3_mT4_T5_T6_T7_T8_P12ihipStream_tbENKUlT_T0_E_clISt17integral_constantIbLb0EES10_IbLb1EEEEDaSW_SX_EUlSW_E_NS1_11comp_targetILNS1_3genE2ELNS1_11target_archE906ELNS1_3gpuE6ELNS1_3repE0EEENS1_30default_config_static_selectorELNS0_4arch9wavefront6targetE1EEEvT1_
	.globl	_ZN7rocprim17ROCPRIM_400000_NS6detail17trampoline_kernelINS0_14default_configENS1_29reduce_by_key_config_selectorIyyN6thrust23THRUST_200600_302600_NS4plusIyEEEEZZNS1_33reduce_by_key_impl_wrapped_configILNS1_25lookback_scan_determinismE0ES3_S9_NS6_6detail15normal_iteratorINS6_10device_ptrIyEEEESG_SG_SG_PmS8_22is_equal_div_10_reduceIyEEE10hipError_tPvRmT2_T3_mT4_T5_T6_T7_T8_P12ihipStream_tbENKUlT_T0_E_clISt17integral_constantIbLb0EES10_IbLb1EEEEDaSW_SX_EUlSW_E_NS1_11comp_targetILNS1_3genE2ELNS1_11target_archE906ELNS1_3gpuE6ELNS1_3repE0EEENS1_30default_config_static_selectorELNS0_4arch9wavefront6targetE1EEEvT1_
	.p2align	8
	.type	_ZN7rocprim17ROCPRIM_400000_NS6detail17trampoline_kernelINS0_14default_configENS1_29reduce_by_key_config_selectorIyyN6thrust23THRUST_200600_302600_NS4plusIyEEEEZZNS1_33reduce_by_key_impl_wrapped_configILNS1_25lookback_scan_determinismE0ES3_S9_NS6_6detail15normal_iteratorINS6_10device_ptrIyEEEESG_SG_SG_PmS8_22is_equal_div_10_reduceIyEEE10hipError_tPvRmT2_T3_mT4_T5_T6_T7_T8_P12ihipStream_tbENKUlT_T0_E_clISt17integral_constantIbLb0EES10_IbLb1EEEEDaSW_SX_EUlSW_E_NS1_11comp_targetILNS1_3genE2ELNS1_11target_archE906ELNS1_3gpuE6ELNS1_3repE0EEENS1_30default_config_static_selectorELNS0_4arch9wavefront6targetE1EEEvT1_,@function
_ZN7rocprim17ROCPRIM_400000_NS6detail17trampoline_kernelINS0_14default_configENS1_29reduce_by_key_config_selectorIyyN6thrust23THRUST_200600_302600_NS4plusIyEEEEZZNS1_33reduce_by_key_impl_wrapped_configILNS1_25lookback_scan_determinismE0ES3_S9_NS6_6detail15normal_iteratorINS6_10device_ptrIyEEEESG_SG_SG_PmS8_22is_equal_div_10_reduceIyEEE10hipError_tPvRmT2_T3_mT4_T5_T6_T7_T8_P12ihipStream_tbENKUlT_T0_E_clISt17integral_constantIbLb0EES10_IbLb1EEEEDaSW_SX_EUlSW_E_NS1_11comp_targetILNS1_3genE2ELNS1_11target_archE906ELNS1_3gpuE6ELNS1_3repE0EEENS1_30default_config_static_selectorELNS0_4arch9wavefront6targetE1EEEvT1_: ; @_ZN7rocprim17ROCPRIM_400000_NS6detail17trampoline_kernelINS0_14default_configENS1_29reduce_by_key_config_selectorIyyN6thrust23THRUST_200600_302600_NS4plusIyEEEEZZNS1_33reduce_by_key_impl_wrapped_configILNS1_25lookback_scan_determinismE0ES3_S9_NS6_6detail15normal_iteratorINS6_10device_ptrIyEEEESG_SG_SG_PmS8_22is_equal_div_10_reduceIyEEE10hipError_tPvRmT2_T3_mT4_T5_T6_T7_T8_P12ihipStream_tbENKUlT_T0_E_clISt17integral_constantIbLb0EES10_IbLb1EEEEDaSW_SX_EUlSW_E_NS1_11comp_targetILNS1_3genE2ELNS1_11target_archE906ELNS1_3gpuE6ELNS1_3repE0EEENS1_30default_config_static_selectorELNS0_4arch9wavefront6targetE1EEEvT1_
; %bb.0:
	.section	.rodata,"a",@progbits
	.p2align	6, 0x0
	.amdhsa_kernel _ZN7rocprim17ROCPRIM_400000_NS6detail17trampoline_kernelINS0_14default_configENS1_29reduce_by_key_config_selectorIyyN6thrust23THRUST_200600_302600_NS4plusIyEEEEZZNS1_33reduce_by_key_impl_wrapped_configILNS1_25lookback_scan_determinismE0ES3_S9_NS6_6detail15normal_iteratorINS6_10device_ptrIyEEEESG_SG_SG_PmS8_22is_equal_div_10_reduceIyEEE10hipError_tPvRmT2_T3_mT4_T5_T6_T7_T8_P12ihipStream_tbENKUlT_T0_E_clISt17integral_constantIbLb0EES10_IbLb1EEEEDaSW_SX_EUlSW_E_NS1_11comp_targetILNS1_3genE2ELNS1_11target_archE906ELNS1_3gpuE6ELNS1_3repE0EEENS1_30default_config_static_selectorELNS0_4arch9wavefront6targetE1EEEvT1_
		.amdhsa_group_segment_fixed_size 0
		.amdhsa_private_segment_fixed_size 0
		.amdhsa_kernarg_size 136
		.amdhsa_user_sgpr_count 6
		.amdhsa_user_sgpr_private_segment_buffer 1
		.amdhsa_user_sgpr_dispatch_ptr 0
		.amdhsa_user_sgpr_queue_ptr 0
		.amdhsa_user_sgpr_kernarg_segment_ptr 1
		.amdhsa_user_sgpr_dispatch_id 0
		.amdhsa_user_sgpr_flat_scratch_init 0
		.amdhsa_user_sgpr_kernarg_preload_length 0
		.amdhsa_user_sgpr_kernarg_preload_offset 0
		.amdhsa_user_sgpr_private_segment_size 0
		.amdhsa_uses_dynamic_stack 0
		.amdhsa_system_sgpr_private_segment_wavefront_offset 0
		.amdhsa_system_sgpr_workgroup_id_x 1
		.amdhsa_system_sgpr_workgroup_id_y 0
		.amdhsa_system_sgpr_workgroup_id_z 0
		.amdhsa_system_sgpr_workgroup_info 0
		.amdhsa_system_vgpr_workitem_id 0
		.amdhsa_next_free_vgpr 1
		.amdhsa_next_free_sgpr 0
		.amdhsa_accum_offset 4
		.amdhsa_reserve_vcc 0
		.amdhsa_reserve_flat_scratch 0
		.amdhsa_float_round_mode_32 0
		.amdhsa_float_round_mode_16_64 0
		.amdhsa_float_denorm_mode_32 3
		.amdhsa_float_denorm_mode_16_64 3
		.amdhsa_dx10_clamp 1
		.amdhsa_ieee_mode 1
		.amdhsa_fp16_overflow 0
		.amdhsa_tg_split 0
		.amdhsa_exception_fp_ieee_invalid_op 0
		.amdhsa_exception_fp_denorm_src 0
		.amdhsa_exception_fp_ieee_div_zero 0
		.amdhsa_exception_fp_ieee_overflow 0
		.amdhsa_exception_fp_ieee_underflow 0
		.amdhsa_exception_fp_ieee_inexact 0
		.amdhsa_exception_int_div_zero 0
	.end_amdhsa_kernel
	.section	.text._ZN7rocprim17ROCPRIM_400000_NS6detail17trampoline_kernelINS0_14default_configENS1_29reduce_by_key_config_selectorIyyN6thrust23THRUST_200600_302600_NS4plusIyEEEEZZNS1_33reduce_by_key_impl_wrapped_configILNS1_25lookback_scan_determinismE0ES3_S9_NS6_6detail15normal_iteratorINS6_10device_ptrIyEEEESG_SG_SG_PmS8_22is_equal_div_10_reduceIyEEE10hipError_tPvRmT2_T3_mT4_T5_T6_T7_T8_P12ihipStream_tbENKUlT_T0_E_clISt17integral_constantIbLb0EES10_IbLb1EEEEDaSW_SX_EUlSW_E_NS1_11comp_targetILNS1_3genE2ELNS1_11target_archE906ELNS1_3gpuE6ELNS1_3repE0EEENS1_30default_config_static_selectorELNS0_4arch9wavefront6targetE1EEEvT1_,"axG",@progbits,_ZN7rocprim17ROCPRIM_400000_NS6detail17trampoline_kernelINS0_14default_configENS1_29reduce_by_key_config_selectorIyyN6thrust23THRUST_200600_302600_NS4plusIyEEEEZZNS1_33reduce_by_key_impl_wrapped_configILNS1_25lookback_scan_determinismE0ES3_S9_NS6_6detail15normal_iteratorINS6_10device_ptrIyEEEESG_SG_SG_PmS8_22is_equal_div_10_reduceIyEEE10hipError_tPvRmT2_T3_mT4_T5_T6_T7_T8_P12ihipStream_tbENKUlT_T0_E_clISt17integral_constantIbLb0EES10_IbLb1EEEEDaSW_SX_EUlSW_E_NS1_11comp_targetILNS1_3genE2ELNS1_11target_archE906ELNS1_3gpuE6ELNS1_3repE0EEENS1_30default_config_static_selectorELNS0_4arch9wavefront6targetE1EEEvT1_,comdat
.Lfunc_end308:
	.size	_ZN7rocprim17ROCPRIM_400000_NS6detail17trampoline_kernelINS0_14default_configENS1_29reduce_by_key_config_selectorIyyN6thrust23THRUST_200600_302600_NS4plusIyEEEEZZNS1_33reduce_by_key_impl_wrapped_configILNS1_25lookback_scan_determinismE0ES3_S9_NS6_6detail15normal_iteratorINS6_10device_ptrIyEEEESG_SG_SG_PmS8_22is_equal_div_10_reduceIyEEE10hipError_tPvRmT2_T3_mT4_T5_T6_T7_T8_P12ihipStream_tbENKUlT_T0_E_clISt17integral_constantIbLb0EES10_IbLb1EEEEDaSW_SX_EUlSW_E_NS1_11comp_targetILNS1_3genE2ELNS1_11target_archE906ELNS1_3gpuE6ELNS1_3repE0EEENS1_30default_config_static_selectorELNS0_4arch9wavefront6targetE1EEEvT1_, .Lfunc_end308-_ZN7rocprim17ROCPRIM_400000_NS6detail17trampoline_kernelINS0_14default_configENS1_29reduce_by_key_config_selectorIyyN6thrust23THRUST_200600_302600_NS4plusIyEEEEZZNS1_33reduce_by_key_impl_wrapped_configILNS1_25lookback_scan_determinismE0ES3_S9_NS6_6detail15normal_iteratorINS6_10device_ptrIyEEEESG_SG_SG_PmS8_22is_equal_div_10_reduceIyEEE10hipError_tPvRmT2_T3_mT4_T5_T6_T7_T8_P12ihipStream_tbENKUlT_T0_E_clISt17integral_constantIbLb0EES10_IbLb1EEEEDaSW_SX_EUlSW_E_NS1_11comp_targetILNS1_3genE2ELNS1_11target_archE906ELNS1_3gpuE6ELNS1_3repE0EEENS1_30default_config_static_selectorELNS0_4arch9wavefront6targetE1EEEvT1_
                                        ; -- End function
	.section	.AMDGPU.csdata,"",@progbits
; Kernel info:
; codeLenInByte = 0
; NumSgprs: 4
; NumVgprs: 0
; NumAgprs: 0
; TotalNumVgprs: 0
; ScratchSize: 0
; MemoryBound: 0
; FloatMode: 240
; IeeeMode: 1
; LDSByteSize: 0 bytes/workgroup (compile time only)
; SGPRBlocks: 0
; VGPRBlocks: 0
; NumSGPRsForWavesPerEU: 4
; NumVGPRsForWavesPerEU: 1
; AccumOffset: 4
; Occupancy: 8
; WaveLimiterHint : 0
; COMPUTE_PGM_RSRC2:SCRATCH_EN: 0
; COMPUTE_PGM_RSRC2:USER_SGPR: 6
; COMPUTE_PGM_RSRC2:TRAP_HANDLER: 0
; COMPUTE_PGM_RSRC2:TGID_X_EN: 1
; COMPUTE_PGM_RSRC2:TGID_Y_EN: 0
; COMPUTE_PGM_RSRC2:TGID_Z_EN: 0
; COMPUTE_PGM_RSRC2:TIDIG_COMP_CNT: 0
; COMPUTE_PGM_RSRC3_GFX90A:ACCUM_OFFSET: 0
; COMPUTE_PGM_RSRC3_GFX90A:TG_SPLIT: 0
	.section	.text._ZN7rocprim17ROCPRIM_400000_NS6detail17trampoline_kernelINS0_14default_configENS1_29reduce_by_key_config_selectorIyyN6thrust23THRUST_200600_302600_NS4plusIyEEEEZZNS1_33reduce_by_key_impl_wrapped_configILNS1_25lookback_scan_determinismE0ES3_S9_NS6_6detail15normal_iteratorINS6_10device_ptrIyEEEESG_SG_SG_PmS8_22is_equal_div_10_reduceIyEEE10hipError_tPvRmT2_T3_mT4_T5_T6_T7_T8_P12ihipStream_tbENKUlT_T0_E_clISt17integral_constantIbLb0EES10_IbLb1EEEEDaSW_SX_EUlSW_E_NS1_11comp_targetILNS1_3genE10ELNS1_11target_archE1201ELNS1_3gpuE5ELNS1_3repE0EEENS1_30default_config_static_selectorELNS0_4arch9wavefront6targetE1EEEvT1_,"axG",@progbits,_ZN7rocprim17ROCPRIM_400000_NS6detail17trampoline_kernelINS0_14default_configENS1_29reduce_by_key_config_selectorIyyN6thrust23THRUST_200600_302600_NS4plusIyEEEEZZNS1_33reduce_by_key_impl_wrapped_configILNS1_25lookback_scan_determinismE0ES3_S9_NS6_6detail15normal_iteratorINS6_10device_ptrIyEEEESG_SG_SG_PmS8_22is_equal_div_10_reduceIyEEE10hipError_tPvRmT2_T3_mT4_T5_T6_T7_T8_P12ihipStream_tbENKUlT_T0_E_clISt17integral_constantIbLb0EES10_IbLb1EEEEDaSW_SX_EUlSW_E_NS1_11comp_targetILNS1_3genE10ELNS1_11target_archE1201ELNS1_3gpuE5ELNS1_3repE0EEENS1_30default_config_static_selectorELNS0_4arch9wavefront6targetE1EEEvT1_,comdat
	.protected	_ZN7rocprim17ROCPRIM_400000_NS6detail17trampoline_kernelINS0_14default_configENS1_29reduce_by_key_config_selectorIyyN6thrust23THRUST_200600_302600_NS4plusIyEEEEZZNS1_33reduce_by_key_impl_wrapped_configILNS1_25lookback_scan_determinismE0ES3_S9_NS6_6detail15normal_iteratorINS6_10device_ptrIyEEEESG_SG_SG_PmS8_22is_equal_div_10_reduceIyEEE10hipError_tPvRmT2_T3_mT4_T5_T6_T7_T8_P12ihipStream_tbENKUlT_T0_E_clISt17integral_constantIbLb0EES10_IbLb1EEEEDaSW_SX_EUlSW_E_NS1_11comp_targetILNS1_3genE10ELNS1_11target_archE1201ELNS1_3gpuE5ELNS1_3repE0EEENS1_30default_config_static_selectorELNS0_4arch9wavefront6targetE1EEEvT1_ ; -- Begin function _ZN7rocprim17ROCPRIM_400000_NS6detail17trampoline_kernelINS0_14default_configENS1_29reduce_by_key_config_selectorIyyN6thrust23THRUST_200600_302600_NS4plusIyEEEEZZNS1_33reduce_by_key_impl_wrapped_configILNS1_25lookback_scan_determinismE0ES3_S9_NS6_6detail15normal_iteratorINS6_10device_ptrIyEEEESG_SG_SG_PmS8_22is_equal_div_10_reduceIyEEE10hipError_tPvRmT2_T3_mT4_T5_T6_T7_T8_P12ihipStream_tbENKUlT_T0_E_clISt17integral_constantIbLb0EES10_IbLb1EEEEDaSW_SX_EUlSW_E_NS1_11comp_targetILNS1_3genE10ELNS1_11target_archE1201ELNS1_3gpuE5ELNS1_3repE0EEENS1_30default_config_static_selectorELNS0_4arch9wavefront6targetE1EEEvT1_
	.globl	_ZN7rocprim17ROCPRIM_400000_NS6detail17trampoline_kernelINS0_14default_configENS1_29reduce_by_key_config_selectorIyyN6thrust23THRUST_200600_302600_NS4plusIyEEEEZZNS1_33reduce_by_key_impl_wrapped_configILNS1_25lookback_scan_determinismE0ES3_S9_NS6_6detail15normal_iteratorINS6_10device_ptrIyEEEESG_SG_SG_PmS8_22is_equal_div_10_reduceIyEEE10hipError_tPvRmT2_T3_mT4_T5_T6_T7_T8_P12ihipStream_tbENKUlT_T0_E_clISt17integral_constantIbLb0EES10_IbLb1EEEEDaSW_SX_EUlSW_E_NS1_11comp_targetILNS1_3genE10ELNS1_11target_archE1201ELNS1_3gpuE5ELNS1_3repE0EEENS1_30default_config_static_selectorELNS0_4arch9wavefront6targetE1EEEvT1_
	.p2align	8
	.type	_ZN7rocprim17ROCPRIM_400000_NS6detail17trampoline_kernelINS0_14default_configENS1_29reduce_by_key_config_selectorIyyN6thrust23THRUST_200600_302600_NS4plusIyEEEEZZNS1_33reduce_by_key_impl_wrapped_configILNS1_25lookback_scan_determinismE0ES3_S9_NS6_6detail15normal_iteratorINS6_10device_ptrIyEEEESG_SG_SG_PmS8_22is_equal_div_10_reduceIyEEE10hipError_tPvRmT2_T3_mT4_T5_T6_T7_T8_P12ihipStream_tbENKUlT_T0_E_clISt17integral_constantIbLb0EES10_IbLb1EEEEDaSW_SX_EUlSW_E_NS1_11comp_targetILNS1_3genE10ELNS1_11target_archE1201ELNS1_3gpuE5ELNS1_3repE0EEENS1_30default_config_static_selectorELNS0_4arch9wavefront6targetE1EEEvT1_,@function
_ZN7rocprim17ROCPRIM_400000_NS6detail17trampoline_kernelINS0_14default_configENS1_29reduce_by_key_config_selectorIyyN6thrust23THRUST_200600_302600_NS4plusIyEEEEZZNS1_33reduce_by_key_impl_wrapped_configILNS1_25lookback_scan_determinismE0ES3_S9_NS6_6detail15normal_iteratorINS6_10device_ptrIyEEEESG_SG_SG_PmS8_22is_equal_div_10_reduceIyEEE10hipError_tPvRmT2_T3_mT4_T5_T6_T7_T8_P12ihipStream_tbENKUlT_T0_E_clISt17integral_constantIbLb0EES10_IbLb1EEEEDaSW_SX_EUlSW_E_NS1_11comp_targetILNS1_3genE10ELNS1_11target_archE1201ELNS1_3gpuE5ELNS1_3repE0EEENS1_30default_config_static_selectorELNS0_4arch9wavefront6targetE1EEEvT1_: ; @_ZN7rocprim17ROCPRIM_400000_NS6detail17trampoline_kernelINS0_14default_configENS1_29reduce_by_key_config_selectorIyyN6thrust23THRUST_200600_302600_NS4plusIyEEEEZZNS1_33reduce_by_key_impl_wrapped_configILNS1_25lookback_scan_determinismE0ES3_S9_NS6_6detail15normal_iteratorINS6_10device_ptrIyEEEESG_SG_SG_PmS8_22is_equal_div_10_reduceIyEEE10hipError_tPvRmT2_T3_mT4_T5_T6_T7_T8_P12ihipStream_tbENKUlT_T0_E_clISt17integral_constantIbLb0EES10_IbLb1EEEEDaSW_SX_EUlSW_E_NS1_11comp_targetILNS1_3genE10ELNS1_11target_archE1201ELNS1_3gpuE5ELNS1_3repE0EEENS1_30default_config_static_selectorELNS0_4arch9wavefront6targetE1EEEvT1_
; %bb.0:
	.section	.rodata,"a",@progbits
	.p2align	6, 0x0
	.amdhsa_kernel _ZN7rocprim17ROCPRIM_400000_NS6detail17trampoline_kernelINS0_14default_configENS1_29reduce_by_key_config_selectorIyyN6thrust23THRUST_200600_302600_NS4plusIyEEEEZZNS1_33reduce_by_key_impl_wrapped_configILNS1_25lookback_scan_determinismE0ES3_S9_NS6_6detail15normal_iteratorINS6_10device_ptrIyEEEESG_SG_SG_PmS8_22is_equal_div_10_reduceIyEEE10hipError_tPvRmT2_T3_mT4_T5_T6_T7_T8_P12ihipStream_tbENKUlT_T0_E_clISt17integral_constantIbLb0EES10_IbLb1EEEEDaSW_SX_EUlSW_E_NS1_11comp_targetILNS1_3genE10ELNS1_11target_archE1201ELNS1_3gpuE5ELNS1_3repE0EEENS1_30default_config_static_selectorELNS0_4arch9wavefront6targetE1EEEvT1_
		.amdhsa_group_segment_fixed_size 0
		.amdhsa_private_segment_fixed_size 0
		.amdhsa_kernarg_size 136
		.amdhsa_user_sgpr_count 6
		.amdhsa_user_sgpr_private_segment_buffer 1
		.amdhsa_user_sgpr_dispatch_ptr 0
		.amdhsa_user_sgpr_queue_ptr 0
		.amdhsa_user_sgpr_kernarg_segment_ptr 1
		.amdhsa_user_sgpr_dispatch_id 0
		.amdhsa_user_sgpr_flat_scratch_init 0
		.amdhsa_user_sgpr_kernarg_preload_length 0
		.amdhsa_user_sgpr_kernarg_preload_offset 0
		.amdhsa_user_sgpr_private_segment_size 0
		.amdhsa_uses_dynamic_stack 0
		.amdhsa_system_sgpr_private_segment_wavefront_offset 0
		.amdhsa_system_sgpr_workgroup_id_x 1
		.amdhsa_system_sgpr_workgroup_id_y 0
		.amdhsa_system_sgpr_workgroup_id_z 0
		.amdhsa_system_sgpr_workgroup_info 0
		.amdhsa_system_vgpr_workitem_id 0
		.amdhsa_next_free_vgpr 1
		.amdhsa_next_free_sgpr 0
		.amdhsa_accum_offset 4
		.amdhsa_reserve_vcc 0
		.amdhsa_reserve_flat_scratch 0
		.amdhsa_float_round_mode_32 0
		.amdhsa_float_round_mode_16_64 0
		.amdhsa_float_denorm_mode_32 3
		.amdhsa_float_denorm_mode_16_64 3
		.amdhsa_dx10_clamp 1
		.amdhsa_ieee_mode 1
		.amdhsa_fp16_overflow 0
		.amdhsa_tg_split 0
		.amdhsa_exception_fp_ieee_invalid_op 0
		.amdhsa_exception_fp_denorm_src 0
		.amdhsa_exception_fp_ieee_div_zero 0
		.amdhsa_exception_fp_ieee_overflow 0
		.amdhsa_exception_fp_ieee_underflow 0
		.amdhsa_exception_fp_ieee_inexact 0
		.amdhsa_exception_int_div_zero 0
	.end_amdhsa_kernel
	.section	.text._ZN7rocprim17ROCPRIM_400000_NS6detail17trampoline_kernelINS0_14default_configENS1_29reduce_by_key_config_selectorIyyN6thrust23THRUST_200600_302600_NS4plusIyEEEEZZNS1_33reduce_by_key_impl_wrapped_configILNS1_25lookback_scan_determinismE0ES3_S9_NS6_6detail15normal_iteratorINS6_10device_ptrIyEEEESG_SG_SG_PmS8_22is_equal_div_10_reduceIyEEE10hipError_tPvRmT2_T3_mT4_T5_T6_T7_T8_P12ihipStream_tbENKUlT_T0_E_clISt17integral_constantIbLb0EES10_IbLb1EEEEDaSW_SX_EUlSW_E_NS1_11comp_targetILNS1_3genE10ELNS1_11target_archE1201ELNS1_3gpuE5ELNS1_3repE0EEENS1_30default_config_static_selectorELNS0_4arch9wavefront6targetE1EEEvT1_,"axG",@progbits,_ZN7rocprim17ROCPRIM_400000_NS6detail17trampoline_kernelINS0_14default_configENS1_29reduce_by_key_config_selectorIyyN6thrust23THRUST_200600_302600_NS4plusIyEEEEZZNS1_33reduce_by_key_impl_wrapped_configILNS1_25lookback_scan_determinismE0ES3_S9_NS6_6detail15normal_iteratorINS6_10device_ptrIyEEEESG_SG_SG_PmS8_22is_equal_div_10_reduceIyEEE10hipError_tPvRmT2_T3_mT4_T5_T6_T7_T8_P12ihipStream_tbENKUlT_T0_E_clISt17integral_constantIbLb0EES10_IbLb1EEEEDaSW_SX_EUlSW_E_NS1_11comp_targetILNS1_3genE10ELNS1_11target_archE1201ELNS1_3gpuE5ELNS1_3repE0EEENS1_30default_config_static_selectorELNS0_4arch9wavefront6targetE1EEEvT1_,comdat
.Lfunc_end309:
	.size	_ZN7rocprim17ROCPRIM_400000_NS6detail17trampoline_kernelINS0_14default_configENS1_29reduce_by_key_config_selectorIyyN6thrust23THRUST_200600_302600_NS4plusIyEEEEZZNS1_33reduce_by_key_impl_wrapped_configILNS1_25lookback_scan_determinismE0ES3_S9_NS6_6detail15normal_iteratorINS6_10device_ptrIyEEEESG_SG_SG_PmS8_22is_equal_div_10_reduceIyEEE10hipError_tPvRmT2_T3_mT4_T5_T6_T7_T8_P12ihipStream_tbENKUlT_T0_E_clISt17integral_constantIbLb0EES10_IbLb1EEEEDaSW_SX_EUlSW_E_NS1_11comp_targetILNS1_3genE10ELNS1_11target_archE1201ELNS1_3gpuE5ELNS1_3repE0EEENS1_30default_config_static_selectorELNS0_4arch9wavefront6targetE1EEEvT1_, .Lfunc_end309-_ZN7rocprim17ROCPRIM_400000_NS6detail17trampoline_kernelINS0_14default_configENS1_29reduce_by_key_config_selectorIyyN6thrust23THRUST_200600_302600_NS4plusIyEEEEZZNS1_33reduce_by_key_impl_wrapped_configILNS1_25lookback_scan_determinismE0ES3_S9_NS6_6detail15normal_iteratorINS6_10device_ptrIyEEEESG_SG_SG_PmS8_22is_equal_div_10_reduceIyEEE10hipError_tPvRmT2_T3_mT4_T5_T6_T7_T8_P12ihipStream_tbENKUlT_T0_E_clISt17integral_constantIbLb0EES10_IbLb1EEEEDaSW_SX_EUlSW_E_NS1_11comp_targetILNS1_3genE10ELNS1_11target_archE1201ELNS1_3gpuE5ELNS1_3repE0EEENS1_30default_config_static_selectorELNS0_4arch9wavefront6targetE1EEEvT1_
                                        ; -- End function
	.section	.AMDGPU.csdata,"",@progbits
; Kernel info:
; codeLenInByte = 0
; NumSgprs: 4
; NumVgprs: 0
; NumAgprs: 0
; TotalNumVgprs: 0
; ScratchSize: 0
; MemoryBound: 0
; FloatMode: 240
; IeeeMode: 1
; LDSByteSize: 0 bytes/workgroup (compile time only)
; SGPRBlocks: 0
; VGPRBlocks: 0
; NumSGPRsForWavesPerEU: 4
; NumVGPRsForWavesPerEU: 1
; AccumOffset: 4
; Occupancy: 8
; WaveLimiterHint : 0
; COMPUTE_PGM_RSRC2:SCRATCH_EN: 0
; COMPUTE_PGM_RSRC2:USER_SGPR: 6
; COMPUTE_PGM_RSRC2:TRAP_HANDLER: 0
; COMPUTE_PGM_RSRC2:TGID_X_EN: 1
; COMPUTE_PGM_RSRC2:TGID_Y_EN: 0
; COMPUTE_PGM_RSRC2:TGID_Z_EN: 0
; COMPUTE_PGM_RSRC2:TIDIG_COMP_CNT: 0
; COMPUTE_PGM_RSRC3_GFX90A:ACCUM_OFFSET: 0
; COMPUTE_PGM_RSRC3_GFX90A:TG_SPLIT: 0
	.section	.text._ZN7rocprim17ROCPRIM_400000_NS6detail17trampoline_kernelINS0_14default_configENS1_29reduce_by_key_config_selectorIyyN6thrust23THRUST_200600_302600_NS4plusIyEEEEZZNS1_33reduce_by_key_impl_wrapped_configILNS1_25lookback_scan_determinismE0ES3_S9_NS6_6detail15normal_iteratorINS6_10device_ptrIyEEEESG_SG_SG_PmS8_22is_equal_div_10_reduceIyEEE10hipError_tPvRmT2_T3_mT4_T5_T6_T7_T8_P12ihipStream_tbENKUlT_T0_E_clISt17integral_constantIbLb0EES10_IbLb1EEEEDaSW_SX_EUlSW_E_NS1_11comp_targetILNS1_3genE10ELNS1_11target_archE1200ELNS1_3gpuE4ELNS1_3repE0EEENS1_30default_config_static_selectorELNS0_4arch9wavefront6targetE1EEEvT1_,"axG",@progbits,_ZN7rocprim17ROCPRIM_400000_NS6detail17trampoline_kernelINS0_14default_configENS1_29reduce_by_key_config_selectorIyyN6thrust23THRUST_200600_302600_NS4plusIyEEEEZZNS1_33reduce_by_key_impl_wrapped_configILNS1_25lookback_scan_determinismE0ES3_S9_NS6_6detail15normal_iteratorINS6_10device_ptrIyEEEESG_SG_SG_PmS8_22is_equal_div_10_reduceIyEEE10hipError_tPvRmT2_T3_mT4_T5_T6_T7_T8_P12ihipStream_tbENKUlT_T0_E_clISt17integral_constantIbLb0EES10_IbLb1EEEEDaSW_SX_EUlSW_E_NS1_11comp_targetILNS1_3genE10ELNS1_11target_archE1200ELNS1_3gpuE4ELNS1_3repE0EEENS1_30default_config_static_selectorELNS0_4arch9wavefront6targetE1EEEvT1_,comdat
	.protected	_ZN7rocprim17ROCPRIM_400000_NS6detail17trampoline_kernelINS0_14default_configENS1_29reduce_by_key_config_selectorIyyN6thrust23THRUST_200600_302600_NS4plusIyEEEEZZNS1_33reduce_by_key_impl_wrapped_configILNS1_25lookback_scan_determinismE0ES3_S9_NS6_6detail15normal_iteratorINS6_10device_ptrIyEEEESG_SG_SG_PmS8_22is_equal_div_10_reduceIyEEE10hipError_tPvRmT2_T3_mT4_T5_T6_T7_T8_P12ihipStream_tbENKUlT_T0_E_clISt17integral_constantIbLb0EES10_IbLb1EEEEDaSW_SX_EUlSW_E_NS1_11comp_targetILNS1_3genE10ELNS1_11target_archE1200ELNS1_3gpuE4ELNS1_3repE0EEENS1_30default_config_static_selectorELNS0_4arch9wavefront6targetE1EEEvT1_ ; -- Begin function _ZN7rocprim17ROCPRIM_400000_NS6detail17trampoline_kernelINS0_14default_configENS1_29reduce_by_key_config_selectorIyyN6thrust23THRUST_200600_302600_NS4plusIyEEEEZZNS1_33reduce_by_key_impl_wrapped_configILNS1_25lookback_scan_determinismE0ES3_S9_NS6_6detail15normal_iteratorINS6_10device_ptrIyEEEESG_SG_SG_PmS8_22is_equal_div_10_reduceIyEEE10hipError_tPvRmT2_T3_mT4_T5_T6_T7_T8_P12ihipStream_tbENKUlT_T0_E_clISt17integral_constantIbLb0EES10_IbLb1EEEEDaSW_SX_EUlSW_E_NS1_11comp_targetILNS1_3genE10ELNS1_11target_archE1200ELNS1_3gpuE4ELNS1_3repE0EEENS1_30default_config_static_selectorELNS0_4arch9wavefront6targetE1EEEvT1_
	.globl	_ZN7rocprim17ROCPRIM_400000_NS6detail17trampoline_kernelINS0_14default_configENS1_29reduce_by_key_config_selectorIyyN6thrust23THRUST_200600_302600_NS4plusIyEEEEZZNS1_33reduce_by_key_impl_wrapped_configILNS1_25lookback_scan_determinismE0ES3_S9_NS6_6detail15normal_iteratorINS6_10device_ptrIyEEEESG_SG_SG_PmS8_22is_equal_div_10_reduceIyEEE10hipError_tPvRmT2_T3_mT4_T5_T6_T7_T8_P12ihipStream_tbENKUlT_T0_E_clISt17integral_constantIbLb0EES10_IbLb1EEEEDaSW_SX_EUlSW_E_NS1_11comp_targetILNS1_3genE10ELNS1_11target_archE1200ELNS1_3gpuE4ELNS1_3repE0EEENS1_30default_config_static_selectorELNS0_4arch9wavefront6targetE1EEEvT1_
	.p2align	8
	.type	_ZN7rocprim17ROCPRIM_400000_NS6detail17trampoline_kernelINS0_14default_configENS1_29reduce_by_key_config_selectorIyyN6thrust23THRUST_200600_302600_NS4plusIyEEEEZZNS1_33reduce_by_key_impl_wrapped_configILNS1_25lookback_scan_determinismE0ES3_S9_NS6_6detail15normal_iteratorINS6_10device_ptrIyEEEESG_SG_SG_PmS8_22is_equal_div_10_reduceIyEEE10hipError_tPvRmT2_T3_mT4_T5_T6_T7_T8_P12ihipStream_tbENKUlT_T0_E_clISt17integral_constantIbLb0EES10_IbLb1EEEEDaSW_SX_EUlSW_E_NS1_11comp_targetILNS1_3genE10ELNS1_11target_archE1200ELNS1_3gpuE4ELNS1_3repE0EEENS1_30default_config_static_selectorELNS0_4arch9wavefront6targetE1EEEvT1_,@function
_ZN7rocprim17ROCPRIM_400000_NS6detail17trampoline_kernelINS0_14default_configENS1_29reduce_by_key_config_selectorIyyN6thrust23THRUST_200600_302600_NS4plusIyEEEEZZNS1_33reduce_by_key_impl_wrapped_configILNS1_25lookback_scan_determinismE0ES3_S9_NS6_6detail15normal_iteratorINS6_10device_ptrIyEEEESG_SG_SG_PmS8_22is_equal_div_10_reduceIyEEE10hipError_tPvRmT2_T3_mT4_T5_T6_T7_T8_P12ihipStream_tbENKUlT_T0_E_clISt17integral_constantIbLb0EES10_IbLb1EEEEDaSW_SX_EUlSW_E_NS1_11comp_targetILNS1_3genE10ELNS1_11target_archE1200ELNS1_3gpuE4ELNS1_3repE0EEENS1_30default_config_static_selectorELNS0_4arch9wavefront6targetE1EEEvT1_: ; @_ZN7rocprim17ROCPRIM_400000_NS6detail17trampoline_kernelINS0_14default_configENS1_29reduce_by_key_config_selectorIyyN6thrust23THRUST_200600_302600_NS4plusIyEEEEZZNS1_33reduce_by_key_impl_wrapped_configILNS1_25lookback_scan_determinismE0ES3_S9_NS6_6detail15normal_iteratorINS6_10device_ptrIyEEEESG_SG_SG_PmS8_22is_equal_div_10_reduceIyEEE10hipError_tPvRmT2_T3_mT4_T5_T6_T7_T8_P12ihipStream_tbENKUlT_T0_E_clISt17integral_constantIbLb0EES10_IbLb1EEEEDaSW_SX_EUlSW_E_NS1_11comp_targetILNS1_3genE10ELNS1_11target_archE1200ELNS1_3gpuE4ELNS1_3repE0EEENS1_30default_config_static_selectorELNS0_4arch9wavefront6targetE1EEEvT1_
; %bb.0:
	.section	.rodata,"a",@progbits
	.p2align	6, 0x0
	.amdhsa_kernel _ZN7rocprim17ROCPRIM_400000_NS6detail17trampoline_kernelINS0_14default_configENS1_29reduce_by_key_config_selectorIyyN6thrust23THRUST_200600_302600_NS4plusIyEEEEZZNS1_33reduce_by_key_impl_wrapped_configILNS1_25lookback_scan_determinismE0ES3_S9_NS6_6detail15normal_iteratorINS6_10device_ptrIyEEEESG_SG_SG_PmS8_22is_equal_div_10_reduceIyEEE10hipError_tPvRmT2_T3_mT4_T5_T6_T7_T8_P12ihipStream_tbENKUlT_T0_E_clISt17integral_constantIbLb0EES10_IbLb1EEEEDaSW_SX_EUlSW_E_NS1_11comp_targetILNS1_3genE10ELNS1_11target_archE1200ELNS1_3gpuE4ELNS1_3repE0EEENS1_30default_config_static_selectorELNS0_4arch9wavefront6targetE1EEEvT1_
		.amdhsa_group_segment_fixed_size 0
		.amdhsa_private_segment_fixed_size 0
		.amdhsa_kernarg_size 136
		.amdhsa_user_sgpr_count 6
		.amdhsa_user_sgpr_private_segment_buffer 1
		.amdhsa_user_sgpr_dispatch_ptr 0
		.amdhsa_user_sgpr_queue_ptr 0
		.amdhsa_user_sgpr_kernarg_segment_ptr 1
		.amdhsa_user_sgpr_dispatch_id 0
		.amdhsa_user_sgpr_flat_scratch_init 0
		.amdhsa_user_sgpr_kernarg_preload_length 0
		.amdhsa_user_sgpr_kernarg_preload_offset 0
		.amdhsa_user_sgpr_private_segment_size 0
		.amdhsa_uses_dynamic_stack 0
		.amdhsa_system_sgpr_private_segment_wavefront_offset 0
		.amdhsa_system_sgpr_workgroup_id_x 1
		.amdhsa_system_sgpr_workgroup_id_y 0
		.amdhsa_system_sgpr_workgroup_id_z 0
		.amdhsa_system_sgpr_workgroup_info 0
		.amdhsa_system_vgpr_workitem_id 0
		.amdhsa_next_free_vgpr 1
		.amdhsa_next_free_sgpr 0
		.amdhsa_accum_offset 4
		.amdhsa_reserve_vcc 0
		.amdhsa_reserve_flat_scratch 0
		.amdhsa_float_round_mode_32 0
		.amdhsa_float_round_mode_16_64 0
		.amdhsa_float_denorm_mode_32 3
		.amdhsa_float_denorm_mode_16_64 3
		.amdhsa_dx10_clamp 1
		.amdhsa_ieee_mode 1
		.amdhsa_fp16_overflow 0
		.amdhsa_tg_split 0
		.amdhsa_exception_fp_ieee_invalid_op 0
		.amdhsa_exception_fp_denorm_src 0
		.amdhsa_exception_fp_ieee_div_zero 0
		.amdhsa_exception_fp_ieee_overflow 0
		.amdhsa_exception_fp_ieee_underflow 0
		.amdhsa_exception_fp_ieee_inexact 0
		.amdhsa_exception_int_div_zero 0
	.end_amdhsa_kernel
	.section	.text._ZN7rocprim17ROCPRIM_400000_NS6detail17trampoline_kernelINS0_14default_configENS1_29reduce_by_key_config_selectorIyyN6thrust23THRUST_200600_302600_NS4plusIyEEEEZZNS1_33reduce_by_key_impl_wrapped_configILNS1_25lookback_scan_determinismE0ES3_S9_NS6_6detail15normal_iteratorINS6_10device_ptrIyEEEESG_SG_SG_PmS8_22is_equal_div_10_reduceIyEEE10hipError_tPvRmT2_T3_mT4_T5_T6_T7_T8_P12ihipStream_tbENKUlT_T0_E_clISt17integral_constantIbLb0EES10_IbLb1EEEEDaSW_SX_EUlSW_E_NS1_11comp_targetILNS1_3genE10ELNS1_11target_archE1200ELNS1_3gpuE4ELNS1_3repE0EEENS1_30default_config_static_selectorELNS0_4arch9wavefront6targetE1EEEvT1_,"axG",@progbits,_ZN7rocprim17ROCPRIM_400000_NS6detail17trampoline_kernelINS0_14default_configENS1_29reduce_by_key_config_selectorIyyN6thrust23THRUST_200600_302600_NS4plusIyEEEEZZNS1_33reduce_by_key_impl_wrapped_configILNS1_25lookback_scan_determinismE0ES3_S9_NS6_6detail15normal_iteratorINS6_10device_ptrIyEEEESG_SG_SG_PmS8_22is_equal_div_10_reduceIyEEE10hipError_tPvRmT2_T3_mT4_T5_T6_T7_T8_P12ihipStream_tbENKUlT_T0_E_clISt17integral_constantIbLb0EES10_IbLb1EEEEDaSW_SX_EUlSW_E_NS1_11comp_targetILNS1_3genE10ELNS1_11target_archE1200ELNS1_3gpuE4ELNS1_3repE0EEENS1_30default_config_static_selectorELNS0_4arch9wavefront6targetE1EEEvT1_,comdat
.Lfunc_end310:
	.size	_ZN7rocprim17ROCPRIM_400000_NS6detail17trampoline_kernelINS0_14default_configENS1_29reduce_by_key_config_selectorIyyN6thrust23THRUST_200600_302600_NS4plusIyEEEEZZNS1_33reduce_by_key_impl_wrapped_configILNS1_25lookback_scan_determinismE0ES3_S9_NS6_6detail15normal_iteratorINS6_10device_ptrIyEEEESG_SG_SG_PmS8_22is_equal_div_10_reduceIyEEE10hipError_tPvRmT2_T3_mT4_T5_T6_T7_T8_P12ihipStream_tbENKUlT_T0_E_clISt17integral_constantIbLb0EES10_IbLb1EEEEDaSW_SX_EUlSW_E_NS1_11comp_targetILNS1_3genE10ELNS1_11target_archE1200ELNS1_3gpuE4ELNS1_3repE0EEENS1_30default_config_static_selectorELNS0_4arch9wavefront6targetE1EEEvT1_, .Lfunc_end310-_ZN7rocprim17ROCPRIM_400000_NS6detail17trampoline_kernelINS0_14default_configENS1_29reduce_by_key_config_selectorIyyN6thrust23THRUST_200600_302600_NS4plusIyEEEEZZNS1_33reduce_by_key_impl_wrapped_configILNS1_25lookback_scan_determinismE0ES3_S9_NS6_6detail15normal_iteratorINS6_10device_ptrIyEEEESG_SG_SG_PmS8_22is_equal_div_10_reduceIyEEE10hipError_tPvRmT2_T3_mT4_T5_T6_T7_T8_P12ihipStream_tbENKUlT_T0_E_clISt17integral_constantIbLb0EES10_IbLb1EEEEDaSW_SX_EUlSW_E_NS1_11comp_targetILNS1_3genE10ELNS1_11target_archE1200ELNS1_3gpuE4ELNS1_3repE0EEENS1_30default_config_static_selectorELNS0_4arch9wavefront6targetE1EEEvT1_
                                        ; -- End function
	.section	.AMDGPU.csdata,"",@progbits
; Kernel info:
; codeLenInByte = 0
; NumSgprs: 4
; NumVgprs: 0
; NumAgprs: 0
; TotalNumVgprs: 0
; ScratchSize: 0
; MemoryBound: 0
; FloatMode: 240
; IeeeMode: 1
; LDSByteSize: 0 bytes/workgroup (compile time only)
; SGPRBlocks: 0
; VGPRBlocks: 0
; NumSGPRsForWavesPerEU: 4
; NumVGPRsForWavesPerEU: 1
; AccumOffset: 4
; Occupancy: 8
; WaveLimiterHint : 0
; COMPUTE_PGM_RSRC2:SCRATCH_EN: 0
; COMPUTE_PGM_RSRC2:USER_SGPR: 6
; COMPUTE_PGM_RSRC2:TRAP_HANDLER: 0
; COMPUTE_PGM_RSRC2:TGID_X_EN: 1
; COMPUTE_PGM_RSRC2:TGID_Y_EN: 0
; COMPUTE_PGM_RSRC2:TGID_Z_EN: 0
; COMPUTE_PGM_RSRC2:TIDIG_COMP_CNT: 0
; COMPUTE_PGM_RSRC3_GFX90A:ACCUM_OFFSET: 0
; COMPUTE_PGM_RSRC3_GFX90A:TG_SPLIT: 0
	.section	.text._ZN7rocprim17ROCPRIM_400000_NS6detail17trampoline_kernelINS0_14default_configENS1_29reduce_by_key_config_selectorIyyN6thrust23THRUST_200600_302600_NS4plusIyEEEEZZNS1_33reduce_by_key_impl_wrapped_configILNS1_25lookback_scan_determinismE0ES3_S9_NS6_6detail15normal_iteratorINS6_10device_ptrIyEEEESG_SG_SG_PmS8_22is_equal_div_10_reduceIyEEE10hipError_tPvRmT2_T3_mT4_T5_T6_T7_T8_P12ihipStream_tbENKUlT_T0_E_clISt17integral_constantIbLb0EES10_IbLb1EEEEDaSW_SX_EUlSW_E_NS1_11comp_targetILNS1_3genE9ELNS1_11target_archE1100ELNS1_3gpuE3ELNS1_3repE0EEENS1_30default_config_static_selectorELNS0_4arch9wavefront6targetE1EEEvT1_,"axG",@progbits,_ZN7rocprim17ROCPRIM_400000_NS6detail17trampoline_kernelINS0_14default_configENS1_29reduce_by_key_config_selectorIyyN6thrust23THRUST_200600_302600_NS4plusIyEEEEZZNS1_33reduce_by_key_impl_wrapped_configILNS1_25lookback_scan_determinismE0ES3_S9_NS6_6detail15normal_iteratorINS6_10device_ptrIyEEEESG_SG_SG_PmS8_22is_equal_div_10_reduceIyEEE10hipError_tPvRmT2_T3_mT4_T5_T6_T7_T8_P12ihipStream_tbENKUlT_T0_E_clISt17integral_constantIbLb0EES10_IbLb1EEEEDaSW_SX_EUlSW_E_NS1_11comp_targetILNS1_3genE9ELNS1_11target_archE1100ELNS1_3gpuE3ELNS1_3repE0EEENS1_30default_config_static_selectorELNS0_4arch9wavefront6targetE1EEEvT1_,comdat
	.protected	_ZN7rocprim17ROCPRIM_400000_NS6detail17trampoline_kernelINS0_14default_configENS1_29reduce_by_key_config_selectorIyyN6thrust23THRUST_200600_302600_NS4plusIyEEEEZZNS1_33reduce_by_key_impl_wrapped_configILNS1_25lookback_scan_determinismE0ES3_S9_NS6_6detail15normal_iteratorINS6_10device_ptrIyEEEESG_SG_SG_PmS8_22is_equal_div_10_reduceIyEEE10hipError_tPvRmT2_T3_mT4_T5_T6_T7_T8_P12ihipStream_tbENKUlT_T0_E_clISt17integral_constantIbLb0EES10_IbLb1EEEEDaSW_SX_EUlSW_E_NS1_11comp_targetILNS1_3genE9ELNS1_11target_archE1100ELNS1_3gpuE3ELNS1_3repE0EEENS1_30default_config_static_selectorELNS0_4arch9wavefront6targetE1EEEvT1_ ; -- Begin function _ZN7rocprim17ROCPRIM_400000_NS6detail17trampoline_kernelINS0_14default_configENS1_29reduce_by_key_config_selectorIyyN6thrust23THRUST_200600_302600_NS4plusIyEEEEZZNS1_33reduce_by_key_impl_wrapped_configILNS1_25lookback_scan_determinismE0ES3_S9_NS6_6detail15normal_iteratorINS6_10device_ptrIyEEEESG_SG_SG_PmS8_22is_equal_div_10_reduceIyEEE10hipError_tPvRmT2_T3_mT4_T5_T6_T7_T8_P12ihipStream_tbENKUlT_T0_E_clISt17integral_constantIbLb0EES10_IbLb1EEEEDaSW_SX_EUlSW_E_NS1_11comp_targetILNS1_3genE9ELNS1_11target_archE1100ELNS1_3gpuE3ELNS1_3repE0EEENS1_30default_config_static_selectorELNS0_4arch9wavefront6targetE1EEEvT1_
	.globl	_ZN7rocprim17ROCPRIM_400000_NS6detail17trampoline_kernelINS0_14default_configENS1_29reduce_by_key_config_selectorIyyN6thrust23THRUST_200600_302600_NS4plusIyEEEEZZNS1_33reduce_by_key_impl_wrapped_configILNS1_25lookback_scan_determinismE0ES3_S9_NS6_6detail15normal_iteratorINS6_10device_ptrIyEEEESG_SG_SG_PmS8_22is_equal_div_10_reduceIyEEE10hipError_tPvRmT2_T3_mT4_T5_T6_T7_T8_P12ihipStream_tbENKUlT_T0_E_clISt17integral_constantIbLb0EES10_IbLb1EEEEDaSW_SX_EUlSW_E_NS1_11comp_targetILNS1_3genE9ELNS1_11target_archE1100ELNS1_3gpuE3ELNS1_3repE0EEENS1_30default_config_static_selectorELNS0_4arch9wavefront6targetE1EEEvT1_
	.p2align	8
	.type	_ZN7rocprim17ROCPRIM_400000_NS6detail17trampoline_kernelINS0_14default_configENS1_29reduce_by_key_config_selectorIyyN6thrust23THRUST_200600_302600_NS4plusIyEEEEZZNS1_33reduce_by_key_impl_wrapped_configILNS1_25lookback_scan_determinismE0ES3_S9_NS6_6detail15normal_iteratorINS6_10device_ptrIyEEEESG_SG_SG_PmS8_22is_equal_div_10_reduceIyEEE10hipError_tPvRmT2_T3_mT4_T5_T6_T7_T8_P12ihipStream_tbENKUlT_T0_E_clISt17integral_constantIbLb0EES10_IbLb1EEEEDaSW_SX_EUlSW_E_NS1_11comp_targetILNS1_3genE9ELNS1_11target_archE1100ELNS1_3gpuE3ELNS1_3repE0EEENS1_30default_config_static_selectorELNS0_4arch9wavefront6targetE1EEEvT1_,@function
_ZN7rocprim17ROCPRIM_400000_NS6detail17trampoline_kernelINS0_14default_configENS1_29reduce_by_key_config_selectorIyyN6thrust23THRUST_200600_302600_NS4plusIyEEEEZZNS1_33reduce_by_key_impl_wrapped_configILNS1_25lookback_scan_determinismE0ES3_S9_NS6_6detail15normal_iteratorINS6_10device_ptrIyEEEESG_SG_SG_PmS8_22is_equal_div_10_reduceIyEEE10hipError_tPvRmT2_T3_mT4_T5_T6_T7_T8_P12ihipStream_tbENKUlT_T0_E_clISt17integral_constantIbLb0EES10_IbLb1EEEEDaSW_SX_EUlSW_E_NS1_11comp_targetILNS1_3genE9ELNS1_11target_archE1100ELNS1_3gpuE3ELNS1_3repE0EEENS1_30default_config_static_selectorELNS0_4arch9wavefront6targetE1EEEvT1_: ; @_ZN7rocprim17ROCPRIM_400000_NS6detail17trampoline_kernelINS0_14default_configENS1_29reduce_by_key_config_selectorIyyN6thrust23THRUST_200600_302600_NS4plusIyEEEEZZNS1_33reduce_by_key_impl_wrapped_configILNS1_25lookback_scan_determinismE0ES3_S9_NS6_6detail15normal_iteratorINS6_10device_ptrIyEEEESG_SG_SG_PmS8_22is_equal_div_10_reduceIyEEE10hipError_tPvRmT2_T3_mT4_T5_T6_T7_T8_P12ihipStream_tbENKUlT_T0_E_clISt17integral_constantIbLb0EES10_IbLb1EEEEDaSW_SX_EUlSW_E_NS1_11comp_targetILNS1_3genE9ELNS1_11target_archE1100ELNS1_3gpuE3ELNS1_3repE0EEENS1_30default_config_static_selectorELNS0_4arch9wavefront6targetE1EEEvT1_
; %bb.0:
	.section	.rodata,"a",@progbits
	.p2align	6, 0x0
	.amdhsa_kernel _ZN7rocprim17ROCPRIM_400000_NS6detail17trampoline_kernelINS0_14default_configENS1_29reduce_by_key_config_selectorIyyN6thrust23THRUST_200600_302600_NS4plusIyEEEEZZNS1_33reduce_by_key_impl_wrapped_configILNS1_25lookback_scan_determinismE0ES3_S9_NS6_6detail15normal_iteratorINS6_10device_ptrIyEEEESG_SG_SG_PmS8_22is_equal_div_10_reduceIyEEE10hipError_tPvRmT2_T3_mT4_T5_T6_T7_T8_P12ihipStream_tbENKUlT_T0_E_clISt17integral_constantIbLb0EES10_IbLb1EEEEDaSW_SX_EUlSW_E_NS1_11comp_targetILNS1_3genE9ELNS1_11target_archE1100ELNS1_3gpuE3ELNS1_3repE0EEENS1_30default_config_static_selectorELNS0_4arch9wavefront6targetE1EEEvT1_
		.amdhsa_group_segment_fixed_size 0
		.amdhsa_private_segment_fixed_size 0
		.amdhsa_kernarg_size 136
		.amdhsa_user_sgpr_count 6
		.amdhsa_user_sgpr_private_segment_buffer 1
		.amdhsa_user_sgpr_dispatch_ptr 0
		.amdhsa_user_sgpr_queue_ptr 0
		.amdhsa_user_sgpr_kernarg_segment_ptr 1
		.amdhsa_user_sgpr_dispatch_id 0
		.amdhsa_user_sgpr_flat_scratch_init 0
		.amdhsa_user_sgpr_kernarg_preload_length 0
		.amdhsa_user_sgpr_kernarg_preload_offset 0
		.amdhsa_user_sgpr_private_segment_size 0
		.amdhsa_uses_dynamic_stack 0
		.amdhsa_system_sgpr_private_segment_wavefront_offset 0
		.amdhsa_system_sgpr_workgroup_id_x 1
		.amdhsa_system_sgpr_workgroup_id_y 0
		.amdhsa_system_sgpr_workgroup_id_z 0
		.amdhsa_system_sgpr_workgroup_info 0
		.amdhsa_system_vgpr_workitem_id 0
		.amdhsa_next_free_vgpr 1
		.amdhsa_next_free_sgpr 0
		.amdhsa_accum_offset 4
		.amdhsa_reserve_vcc 0
		.amdhsa_reserve_flat_scratch 0
		.amdhsa_float_round_mode_32 0
		.amdhsa_float_round_mode_16_64 0
		.amdhsa_float_denorm_mode_32 3
		.amdhsa_float_denorm_mode_16_64 3
		.amdhsa_dx10_clamp 1
		.amdhsa_ieee_mode 1
		.amdhsa_fp16_overflow 0
		.amdhsa_tg_split 0
		.amdhsa_exception_fp_ieee_invalid_op 0
		.amdhsa_exception_fp_denorm_src 0
		.amdhsa_exception_fp_ieee_div_zero 0
		.amdhsa_exception_fp_ieee_overflow 0
		.amdhsa_exception_fp_ieee_underflow 0
		.amdhsa_exception_fp_ieee_inexact 0
		.amdhsa_exception_int_div_zero 0
	.end_amdhsa_kernel
	.section	.text._ZN7rocprim17ROCPRIM_400000_NS6detail17trampoline_kernelINS0_14default_configENS1_29reduce_by_key_config_selectorIyyN6thrust23THRUST_200600_302600_NS4plusIyEEEEZZNS1_33reduce_by_key_impl_wrapped_configILNS1_25lookback_scan_determinismE0ES3_S9_NS6_6detail15normal_iteratorINS6_10device_ptrIyEEEESG_SG_SG_PmS8_22is_equal_div_10_reduceIyEEE10hipError_tPvRmT2_T3_mT4_T5_T6_T7_T8_P12ihipStream_tbENKUlT_T0_E_clISt17integral_constantIbLb0EES10_IbLb1EEEEDaSW_SX_EUlSW_E_NS1_11comp_targetILNS1_3genE9ELNS1_11target_archE1100ELNS1_3gpuE3ELNS1_3repE0EEENS1_30default_config_static_selectorELNS0_4arch9wavefront6targetE1EEEvT1_,"axG",@progbits,_ZN7rocprim17ROCPRIM_400000_NS6detail17trampoline_kernelINS0_14default_configENS1_29reduce_by_key_config_selectorIyyN6thrust23THRUST_200600_302600_NS4plusIyEEEEZZNS1_33reduce_by_key_impl_wrapped_configILNS1_25lookback_scan_determinismE0ES3_S9_NS6_6detail15normal_iteratorINS6_10device_ptrIyEEEESG_SG_SG_PmS8_22is_equal_div_10_reduceIyEEE10hipError_tPvRmT2_T3_mT4_T5_T6_T7_T8_P12ihipStream_tbENKUlT_T0_E_clISt17integral_constantIbLb0EES10_IbLb1EEEEDaSW_SX_EUlSW_E_NS1_11comp_targetILNS1_3genE9ELNS1_11target_archE1100ELNS1_3gpuE3ELNS1_3repE0EEENS1_30default_config_static_selectorELNS0_4arch9wavefront6targetE1EEEvT1_,comdat
.Lfunc_end311:
	.size	_ZN7rocprim17ROCPRIM_400000_NS6detail17trampoline_kernelINS0_14default_configENS1_29reduce_by_key_config_selectorIyyN6thrust23THRUST_200600_302600_NS4plusIyEEEEZZNS1_33reduce_by_key_impl_wrapped_configILNS1_25lookback_scan_determinismE0ES3_S9_NS6_6detail15normal_iteratorINS6_10device_ptrIyEEEESG_SG_SG_PmS8_22is_equal_div_10_reduceIyEEE10hipError_tPvRmT2_T3_mT4_T5_T6_T7_T8_P12ihipStream_tbENKUlT_T0_E_clISt17integral_constantIbLb0EES10_IbLb1EEEEDaSW_SX_EUlSW_E_NS1_11comp_targetILNS1_3genE9ELNS1_11target_archE1100ELNS1_3gpuE3ELNS1_3repE0EEENS1_30default_config_static_selectorELNS0_4arch9wavefront6targetE1EEEvT1_, .Lfunc_end311-_ZN7rocprim17ROCPRIM_400000_NS6detail17trampoline_kernelINS0_14default_configENS1_29reduce_by_key_config_selectorIyyN6thrust23THRUST_200600_302600_NS4plusIyEEEEZZNS1_33reduce_by_key_impl_wrapped_configILNS1_25lookback_scan_determinismE0ES3_S9_NS6_6detail15normal_iteratorINS6_10device_ptrIyEEEESG_SG_SG_PmS8_22is_equal_div_10_reduceIyEEE10hipError_tPvRmT2_T3_mT4_T5_T6_T7_T8_P12ihipStream_tbENKUlT_T0_E_clISt17integral_constantIbLb0EES10_IbLb1EEEEDaSW_SX_EUlSW_E_NS1_11comp_targetILNS1_3genE9ELNS1_11target_archE1100ELNS1_3gpuE3ELNS1_3repE0EEENS1_30default_config_static_selectorELNS0_4arch9wavefront6targetE1EEEvT1_
                                        ; -- End function
	.section	.AMDGPU.csdata,"",@progbits
; Kernel info:
; codeLenInByte = 0
; NumSgprs: 4
; NumVgprs: 0
; NumAgprs: 0
; TotalNumVgprs: 0
; ScratchSize: 0
; MemoryBound: 0
; FloatMode: 240
; IeeeMode: 1
; LDSByteSize: 0 bytes/workgroup (compile time only)
; SGPRBlocks: 0
; VGPRBlocks: 0
; NumSGPRsForWavesPerEU: 4
; NumVGPRsForWavesPerEU: 1
; AccumOffset: 4
; Occupancy: 8
; WaveLimiterHint : 0
; COMPUTE_PGM_RSRC2:SCRATCH_EN: 0
; COMPUTE_PGM_RSRC2:USER_SGPR: 6
; COMPUTE_PGM_RSRC2:TRAP_HANDLER: 0
; COMPUTE_PGM_RSRC2:TGID_X_EN: 1
; COMPUTE_PGM_RSRC2:TGID_Y_EN: 0
; COMPUTE_PGM_RSRC2:TGID_Z_EN: 0
; COMPUTE_PGM_RSRC2:TIDIG_COMP_CNT: 0
; COMPUTE_PGM_RSRC3_GFX90A:ACCUM_OFFSET: 0
; COMPUTE_PGM_RSRC3_GFX90A:TG_SPLIT: 0
	.section	.text._ZN7rocprim17ROCPRIM_400000_NS6detail17trampoline_kernelINS0_14default_configENS1_29reduce_by_key_config_selectorIyyN6thrust23THRUST_200600_302600_NS4plusIyEEEEZZNS1_33reduce_by_key_impl_wrapped_configILNS1_25lookback_scan_determinismE0ES3_S9_NS6_6detail15normal_iteratorINS6_10device_ptrIyEEEESG_SG_SG_PmS8_22is_equal_div_10_reduceIyEEE10hipError_tPvRmT2_T3_mT4_T5_T6_T7_T8_P12ihipStream_tbENKUlT_T0_E_clISt17integral_constantIbLb0EES10_IbLb1EEEEDaSW_SX_EUlSW_E_NS1_11comp_targetILNS1_3genE8ELNS1_11target_archE1030ELNS1_3gpuE2ELNS1_3repE0EEENS1_30default_config_static_selectorELNS0_4arch9wavefront6targetE1EEEvT1_,"axG",@progbits,_ZN7rocprim17ROCPRIM_400000_NS6detail17trampoline_kernelINS0_14default_configENS1_29reduce_by_key_config_selectorIyyN6thrust23THRUST_200600_302600_NS4plusIyEEEEZZNS1_33reduce_by_key_impl_wrapped_configILNS1_25lookback_scan_determinismE0ES3_S9_NS6_6detail15normal_iteratorINS6_10device_ptrIyEEEESG_SG_SG_PmS8_22is_equal_div_10_reduceIyEEE10hipError_tPvRmT2_T3_mT4_T5_T6_T7_T8_P12ihipStream_tbENKUlT_T0_E_clISt17integral_constantIbLb0EES10_IbLb1EEEEDaSW_SX_EUlSW_E_NS1_11comp_targetILNS1_3genE8ELNS1_11target_archE1030ELNS1_3gpuE2ELNS1_3repE0EEENS1_30default_config_static_selectorELNS0_4arch9wavefront6targetE1EEEvT1_,comdat
	.protected	_ZN7rocprim17ROCPRIM_400000_NS6detail17trampoline_kernelINS0_14default_configENS1_29reduce_by_key_config_selectorIyyN6thrust23THRUST_200600_302600_NS4plusIyEEEEZZNS1_33reduce_by_key_impl_wrapped_configILNS1_25lookback_scan_determinismE0ES3_S9_NS6_6detail15normal_iteratorINS6_10device_ptrIyEEEESG_SG_SG_PmS8_22is_equal_div_10_reduceIyEEE10hipError_tPvRmT2_T3_mT4_T5_T6_T7_T8_P12ihipStream_tbENKUlT_T0_E_clISt17integral_constantIbLb0EES10_IbLb1EEEEDaSW_SX_EUlSW_E_NS1_11comp_targetILNS1_3genE8ELNS1_11target_archE1030ELNS1_3gpuE2ELNS1_3repE0EEENS1_30default_config_static_selectorELNS0_4arch9wavefront6targetE1EEEvT1_ ; -- Begin function _ZN7rocprim17ROCPRIM_400000_NS6detail17trampoline_kernelINS0_14default_configENS1_29reduce_by_key_config_selectorIyyN6thrust23THRUST_200600_302600_NS4plusIyEEEEZZNS1_33reduce_by_key_impl_wrapped_configILNS1_25lookback_scan_determinismE0ES3_S9_NS6_6detail15normal_iteratorINS6_10device_ptrIyEEEESG_SG_SG_PmS8_22is_equal_div_10_reduceIyEEE10hipError_tPvRmT2_T3_mT4_T5_T6_T7_T8_P12ihipStream_tbENKUlT_T0_E_clISt17integral_constantIbLb0EES10_IbLb1EEEEDaSW_SX_EUlSW_E_NS1_11comp_targetILNS1_3genE8ELNS1_11target_archE1030ELNS1_3gpuE2ELNS1_3repE0EEENS1_30default_config_static_selectorELNS0_4arch9wavefront6targetE1EEEvT1_
	.globl	_ZN7rocprim17ROCPRIM_400000_NS6detail17trampoline_kernelINS0_14default_configENS1_29reduce_by_key_config_selectorIyyN6thrust23THRUST_200600_302600_NS4plusIyEEEEZZNS1_33reduce_by_key_impl_wrapped_configILNS1_25lookback_scan_determinismE0ES3_S9_NS6_6detail15normal_iteratorINS6_10device_ptrIyEEEESG_SG_SG_PmS8_22is_equal_div_10_reduceIyEEE10hipError_tPvRmT2_T3_mT4_T5_T6_T7_T8_P12ihipStream_tbENKUlT_T0_E_clISt17integral_constantIbLb0EES10_IbLb1EEEEDaSW_SX_EUlSW_E_NS1_11comp_targetILNS1_3genE8ELNS1_11target_archE1030ELNS1_3gpuE2ELNS1_3repE0EEENS1_30default_config_static_selectorELNS0_4arch9wavefront6targetE1EEEvT1_
	.p2align	8
	.type	_ZN7rocprim17ROCPRIM_400000_NS6detail17trampoline_kernelINS0_14default_configENS1_29reduce_by_key_config_selectorIyyN6thrust23THRUST_200600_302600_NS4plusIyEEEEZZNS1_33reduce_by_key_impl_wrapped_configILNS1_25lookback_scan_determinismE0ES3_S9_NS6_6detail15normal_iteratorINS6_10device_ptrIyEEEESG_SG_SG_PmS8_22is_equal_div_10_reduceIyEEE10hipError_tPvRmT2_T3_mT4_T5_T6_T7_T8_P12ihipStream_tbENKUlT_T0_E_clISt17integral_constantIbLb0EES10_IbLb1EEEEDaSW_SX_EUlSW_E_NS1_11comp_targetILNS1_3genE8ELNS1_11target_archE1030ELNS1_3gpuE2ELNS1_3repE0EEENS1_30default_config_static_selectorELNS0_4arch9wavefront6targetE1EEEvT1_,@function
_ZN7rocprim17ROCPRIM_400000_NS6detail17trampoline_kernelINS0_14default_configENS1_29reduce_by_key_config_selectorIyyN6thrust23THRUST_200600_302600_NS4plusIyEEEEZZNS1_33reduce_by_key_impl_wrapped_configILNS1_25lookback_scan_determinismE0ES3_S9_NS6_6detail15normal_iteratorINS6_10device_ptrIyEEEESG_SG_SG_PmS8_22is_equal_div_10_reduceIyEEE10hipError_tPvRmT2_T3_mT4_T5_T6_T7_T8_P12ihipStream_tbENKUlT_T0_E_clISt17integral_constantIbLb0EES10_IbLb1EEEEDaSW_SX_EUlSW_E_NS1_11comp_targetILNS1_3genE8ELNS1_11target_archE1030ELNS1_3gpuE2ELNS1_3repE0EEENS1_30default_config_static_selectorELNS0_4arch9wavefront6targetE1EEEvT1_: ; @_ZN7rocprim17ROCPRIM_400000_NS6detail17trampoline_kernelINS0_14default_configENS1_29reduce_by_key_config_selectorIyyN6thrust23THRUST_200600_302600_NS4plusIyEEEEZZNS1_33reduce_by_key_impl_wrapped_configILNS1_25lookback_scan_determinismE0ES3_S9_NS6_6detail15normal_iteratorINS6_10device_ptrIyEEEESG_SG_SG_PmS8_22is_equal_div_10_reduceIyEEE10hipError_tPvRmT2_T3_mT4_T5_T6_T7_T8_P12ihipStream_tbENKUlT_T0_E_clISt17integral_constantIbLb0EES10_IbLb1EEEEDaSW_SX_EUlSW_E_NS1_11comp_targetILNS1_3genE8ELNS1_11target_archE1030ELNS1_3gpuE2ELNS1_3repE0EEENS1_30default_config_static_selectorELNS0_4arch9wavefront6targetE1EEEvT1_
; %bb.0:
	.section	.rodata,"a",@progbits
	.p2align	6, 0x0
	.amdhsa_kernel _ZN7rocprim17ROCPRIM_400000_NS6detail17trampoline_kernelINS0_14default_configENS1_29reduce_by_key_config_selectorIyyN6thrust23THRUST_200600_302600_NS4plusIyEEEEZZNS1_33reduce_by_key_impl_wrapped_configILNS1_25lookback_scan_determinismE0ES3_S9_NS6_6detail15normal_iteratorINS6_10device_ptrIyEEEESG_SG_SG_PmS8_22is_equal_div_10_reduceIyEEE10hipError_tPvRmT2_T3_mT4_T5_T6_T7_T8_P12ihipStream_tbENKUlT_T0_E_clISt17integral_constantIbLb0EES10_IbLb1EEEEDaSW_SX_EUlSW_E_NS1_11comp_targetILNS1_3genE8ELNS1_11target_archE1030ELNS1_3gpuE2ELNS1_3repE0EEENS1_30default_config_static_selectorELNS0_4arch9wavefront6targetE1EEEvT1_
		.amdhsa_group_segment_fixed_size 0
		.amdhsa_private_segment_fixed_size 0
		.amdhsa_kernarg_size 136
		.amdhsa_user_sgpr_count 6
		.amdhsa_user_sgpr_private_segment_buffer 1
		.amdhsa_user_sgpr_dispatch_ptr 0
		.amdhsa_user_sgpr_queue_ptr 0
		.amdhsa_user_sgpr_kernarg_segment_ptr 1
		.amdhsa_user_sgpr_dispatch_id 0
		.amdhsa_user_sgpr_flat_scratch_init 0
		.amdhsa_user_sgpr_kernarg_preload_length 0
		.amdhsa_user_sgpr_kernarg_preload_offset 0
		.amdhsa_user_sgpr_private_segment_size 0
		.amdhsa_uses_dynamic_stack 0
		.amdhsa_system_sgpr_private_segment_wavefront_offset 0
		.amdhsa_system_sgpr_workgroup_id_x 1
		.amdhsa_system_sgpr_workgroup_id_y 0
		.amdhsa_system_sgpr_workgroup_id_z 0
		.amdhsa_system_sgpr_workgroup_info 0
		.amdhsa_system_vgpr_workitem_id 0
		.amdhsa_next_free_vgpr 1
		.amdhsa_next_free_sgpr 0
		.amdhsa_accum_offset 4
		.amdhsa_reserve_vcc 0
		.amdhsa_reserve_flat_scratch 0
		.amdhsa_float_round_mode_32 0
		.amdhsa_float_round_mode_16_64 0
		.amdhsa_float_denorm_mode_32 3
		.amdhsa_float_denorm_mode_16_64 3
		.amdhsa_dx10_clamp 1
		.amdhsa_ieee_mode 1
		.amdhsa_fp16_overflow 0
		.amdhsa_tg_split 0
		.amdhsa_exception_fp_ieee_invalid_op 0
		.amdhsa_exception_fp_denorm_src 0
		.amdhsa_exception_fp_ieee_div_zero 0
		.amdhsa_exception_fp_ieee_overflow 0
		.amdhsa_exception_fp_ieee_underflow 0
		.amdhsa_exception_fp_ieee_inexact 0
		.amdhsa_exception_int_div_zero 0
	.end_amdhsa_kernel
	.section	.text._ZN7rocprim17ROCPRIM_400000_NS6detail17trampoline_kernelINS0_14default_configENS1_29reduce_by_key_config_selectorIyyN6thrust23THRUST_200600_302600_NS4plusIyEEEEZZNS1_33reduce_by_key_impl_wrapped_configILNS1_25lookback_scan_determinismE0ES3_S9_NS6_6detail15normal_iteratorINS6_10device_ptrIyEEEESG_SG_SG_PmS8_22is_equal_div_10_reduceIyEEE10hipError_tPvRmT2_T3_mT4_T5_T6_T7_T8_P12ihipStream_tbENKUlT_T0_E_clISt17integral_constantIbLb0EES10_IbLb1EEEEDaSW_SX_EUlSW_E_NS1_11comp_targetILNS1_3genE8ELNS1_11target_archE1030ELNS1_3gpuE2ELNS1_3repE0EEENS1_30default_config_static_selectorELNS0_4arch9wavefront6targetE1EEEvT1_,"axG",@progbits,_ZN7rocprim17ROCPRIM_400000_NS6detail17trampoline_kernelINS0_14default_configENS1_29reduce_by_key_config_selectorIyyN6thrust23THRUST_200600_302600_NS4plusIyEEEEZZNS1_33reduce_by_key_impl_wrapped_configILNS1_25lookback_scan_determinismE0ES3_S9_NS6_6detail15normal_iteratorINS6_10device_ptrIyEEEESG_SG_SG_PmS8_22is_equal_div_10_reduceIyEEE10hipError_tPvRmT2_T3_mT4_T5_T6_T7_T8_P12ihipStream_tbENKUlT_T0_E_clISt17integral_constantIbLb0EES10_IbLb1EEEEDaSW_SX_EUlSW_E_NS1_11comp_targetILNS1_3genE8ELNS1_11target_archE1030ELNS1_3gpuE2ELNS1_3repE0EEENS1_30default_config_static_selectorELNS0_4arch9wavefront6targetE1EEEvT1_,comdat
.Lfunc_end312:
	.size	_ZN7rocprim17ROCPRIM_400000_NS6detail17trampoline_kernelINS0_14default_configENS1_29reduce_by_key_config_selectorIyyN6thrust23THRUST_200600_302600_NS4plusIyEEEEZZNS1_33reduce_by_key_impl_wrapped_configILNS1_25lookback_scan_determinismE0ES3_S9_NS6_6detail15normal_iteratorINS6_10device_ptrIyEEEESG_SG_SG_PmS8_22is_equal_div_10_reduceIyEEE10hipError_tPvRmT2_T3_mT4_T5_T6_T7_T8_P12ihipStream_tbENKUlT_T0_E_clISt17integral_constantIbLb0EES10_IbLb1EEEEDaSW_SX_EUlSW_E_NS1_11comp_targetILNS1_3genE8ELNS1_11target_archE1030ELNS1_3gpuE2ELNS1_3repE0EEENS1_30default_config_static_selectorELNS0_4arch9wavefront6targetE1EEEvT1_, .Lfunc_end312-_ZN7rocprim17ROCPRIM_400000_NS6detail17trampoline_kernelINS0_14default_configENS1_29reduce_by_key_config_selectorIyyN6thrust23THRUST_200600_302600_NS4plusIyEEEEZZNS1_33reduce_by_key_impl_wrapped_configILNS1_25lookback_scan_determinismE0ES3_S9_NS6_6detail15normal_iteratorINS6_10device_ptrIyEEEESG_SG_SG_PmS8_22is_equal_div_10_reduceIyEEE10hipError_tPvRmT2_T3_mT4_T5_T6_T7_T8_P12ihipStream_tbENKUlT_T0_E_clISt17integral_constantIbLb0EES10_IbLb1EEEEDaSW_SX_EUlSW_E_NS1_11comp_targetILNS1_3genE8ELNS1_11target_archE1030ELNS1_3gpuE2ELNS1_3repE0EEENS1_30default_config_static_selectorELNS0_4arch9wavefront6targetE1EEEvT1_
                                        ; -- End function
	.section	.AMDGPU.csdata,"",@progbits
; Kernel info:
; codeLenInByte = 0
; NumSgprs: 4
; NumVgprs: 0
; NumAgprs: 0
; TotalNumVgprs: 0
; ScratchSize: 0
; MemoryBound: 0
; FloatMode: 240
; IeeeMode: 1
; LDSByteSize: 0 bytes/workgroup (compile time only)
; SGPRBlocks: 0
; VGPRBlocks: 0
; NumSGPRsForWavesPerEU: 4
; NumVGPRsForWavesPerEU: 1
; AccumOffset: 4
; Occupancy: 8
; WaveLimiterHint : 0
; COMPUTE_PGM_RSRC2:SCRATCH_EN: 0
; COMPUTE_PGM_RSRC2:USER_SGPR: 6
; COMPUTE_PGM_RSRC2:TRAP_HANDLER: 0
; COMPUTE_PGM_RSRC2:TGID_X_EN: 1
; COMPUTE_PGM_RSRC2:TGID_Y_EN: 0
; COMPUTE_PGM_RSRC2:TGID_Z_EN: 0
; COMPUTE_PGM_RSRC2:TIDIG_COMP_CNT: 0
; COMPUTE_PGM_RSRC3_GFX90A:ACCUM_OFFSET: 0
; COMPUTE_PGM_RSRC3_GFX90A:TG_SPLIT: 0
	.section	.text._ZN6thrust23THRUST_200600_302600_NS11hip_rocprim14__parallel_for6kernelILj256ENS1_20__uninitialized_fill7functorINS0_10device_ptrIjEEjEEmLj1EEEvT0_T1_SA_,"axG",@progbits,_ZN6thrust23THRUST_200600_302600_NS11hip_rocprim14__parallel_for6kernelILj256ENS1_20__uninitialized_fill7functorINS0_10device_ptrIjEEjEEmLj1EEEvT0_T1_SA_,comdat
	.protected	_ZN6thrust23THRUST_200600_302600_NS11hip_rocprim14__parallel_for6kernelILj256ENS1_20__uninitialized_fill7functorINS0_10device_ptrIjEEjEEmLj1EEEvT0_T1_SA_ ; -- Begin function _ZN6thrust23THRUST_200600_302600_NS11hip_rocprim14__parallel_for6kernelILj256ENS1_20__uninitialized_fill7functorINS0_10device_ptrIjEEjEEmLj1EEEvT0_T1_SA_
	.globl	_ZN6thrust23THRUST_200600_302600_NS11hip_rocprim14__parallel_for6kernelILj256ENS1_20__uninitialized_fill7functorINS0_10device_ptrIjEEjEEmLj1EEEvT0_T1_SA_
	.p2align	8
	.type	_ZN6thrust23THRUST_200600_302600_NS11hip_rocprim14__parallel_for6kernelILj256ENS1_20__uninitialized_fill7functorINS0_10device_ptrIjEEjEEmLj1EEEvT0_T1_SA_,@function
_ZN6thrust23THRUST_200600_302600_NS11hip_rocprim14__parallel_for6kernelILj256ENS1_20__uninitialized_fill7functorINS0_10device_ptrIjEEjEEmLj1EEEvT0_T1_SA_: ; @_ZN6thrust23THRUST_200600_302600_NS11hip_rocprim14__parallel_for6kernelILj256ENS1_20__uninitialized_fill7functorINS0_10device_ptrIjEEjEEmLj1EEEvT0_T1_SA_
; %bb.0:
	s_load_dwordx4 s[8:11], s[4:5], 0x10
	s_lshl_b32 s0, s6, 8
	v_mov_b32_e32 v2, 0x100
	v_mov_b32_e32 v3, 0
	s_waitcnt lgkmcnt(0)
	s_add_u32 s0, s0, s10
	s_addc_u32 s1, 0, s11
	s_sub_u32 s2, s8, s0
	s_subb_u32 s3, s9, s1
	v_cmp_lt_u64_e32 vcc, s[2:3], v[2:3]
	s_cbranch_vccz .LBB313_2
; %bb.1:
	v_cmp_gt_u32_e32 vcc, s2, v0
	s_and_b64 s[2:3], vcc, exec
	s_cbranch_execz .LBB313_3
	s_branch .LBB313_4
.LBB313_2:
	s_mov_b64 s[2:3], 0
.LBB313_3:
	s_or_b64 s[2:3], s[2:3], exec
.LBB313_4:
	s_and_saveexec_b64 s[6:7], s[2:3]
	s_cbranch_execnz .LBB313_6
; %bb.5:
	s_endpgm
.LBB313_6:
	s_load_dwordx2 s[2:3], s[4:5], 0x0
	s_load_dword s6, s[4:5], 0x8
	s_lshl_b64 s[0:1], s[0:1], 2
	v_mov_b32_e32 v1, 0
	v_lshlrev_b64 v[0:1], 2, v[0:1]
	s_waitcnt lgkmcnt(0)
	s_add_u32 s0, s2, s0
	s_addc_u32 s1, s3, s1
	v_mov_b32_e32 v2, s1
	v_add_co_u32_e32 v0, vcc, s0, v0
	v_addc_co_u32_e32 v1, vcc, v2, v1, vcc
	v_mov_b32_e32 v2, s6
	flat_store_dword v[0:1], v2
	s_endpgm
	.section	.rodata,"a",@progbits
	.p2align	6, 0x0
	.amdhsa_kernel _ZN6thrust23THRUST_200600_302600_NS11hip_rocprim14__parallel_for6kernelILj256ENS1_20__uninitialized_fill7functorINS0_10device_ptrIjEEjEEmLj1EEEvT0_T1_SA_
		.amdhsa_group_segment_fixed_size 0
		.amdhsa_private_segment_fixed_size 0
		.amdhsa_kernarg_size 32
		.amdhsa_user_sgpr_count 6
		.amdhsa_user_sgpr_private_segment_buffer 1
		.amdhsa_user_sgpr_dispatch_ptr 0
		.amdhsa_user_sgpr_queue_ptr 0
		.amdhsa_user_sgpr_kernarg_segment_ptr 1
		.amdhsa_user_sgpr_dispatch_id 0
		.amdhsa_user_sgpr_flat_scratch_init 0
		.amdhsa_user_sgpr_kernarg_preload_length 0
		.amdhsa_user_sgpr_kernarg_preload_offset 0
		.amdhsa_user_sgpr_private_segment_size 0
		.amdhsa_uses_dynamic_stack 0
		.amdhsa_system_sgpr_private_segment_wavefront_offset 0
		.amdhsa_system_sgpr_workgroup_id_x 1
		.amdhsa_system_sgpr_workgroup_id_y 0
		.amdhsa_system_sgpr_workgroup_id_z 0
		.amdhsa_system_sgpr_workgroup_info 0
		.amdhsa_system_vgpr_workitem_id 0
		.amdhsa_next_free_vgpr 4
		.amdhsa_next_free_sgpr 12
		.amdhsa_accum_offset 4
		.amdhsa_reserve_vcc 1
		.amdhsa_reserve_flat_scratch 0
		.amdhsa_float_round_mode_32 0
		.amdhsa_float_round_mode_16_64 0
		.amdhsa_float_denorm_mode_32 3
		.amdhsa_float_denorm_mode_16_64 3
		.amdhsa_dx10_clamp 1
		.amdhsa_ieee_mode 1
		.amdhsa_fp16_overflow 0
		.amdhsa_tg_split 0
		.amdhsa_exception_fp_ieee_invalid_op 0
		.amdhsa_exception_fp_denorm_src 0
		.amdhsa_exception_fp_ieee_div_zero 0
		.amdhsa_exception_fp_ieee_overflow 0
		.amdhsa_exception_fp_ieee_underflow 0
		.amdhsa_exception_fp_ieee_inexact 0
		.amdhsa_exception_int_div_zero 0
	.end_amdhsa_kernel
	.section	.text._ZN6thrust23THRUST_200600_302600_NS11hip_rocprim14__parallel_for6kernelILj256ENS1_20__uninitialized_fill7functorINS0_10device_ptrIjEEjEEmLj1EEEvT0_T1_SA_,"axG",@progbits,_ZN6thrust23THRUST_200600_302600_NS11hip_rocprim14__parallel_for6kernelILj256ENS1_20__uninitialized_fill7functorINS0_10device_ptrIjEEjEEmLj1EEEvT0_T1_SA_,comdat
.Lfunc_end313:
	.size	_ZN6thrust23THRUST_200600_302600_NS11hip_rocprim14__parallel_for6kernelILj256ENS1_20__uninitialized_fill7functorINS0_10device_ptrIjEEjEEmLj1EEEvT0_T1_SA_, .Lfunc_end313-_ZN6thrust23THRUST_200600_302600_NS11hip_rocprim14__parallel_for6kernelILj256ENS1_20__uninitialized_fill7functorINS0_10device_ptrIjEEjEEmLj1EEEvT0_T1_SA_
                                        ; -- End function
	.section	.AMDGPU.csdata,"",@progbits
; Kernel info:
; codeLenInByte = 160
; NumSgprs: 16
; NumVgprs: 4
; NumAgprs: 0
; TotalNumVgprs: 4
; ScratchSize: 0
; MemoryBound: 0
; FloatMode: 240
; IeeeMode: 1
; LDSByteSize: 0 bytes/workgroup (compile time only)
; SGPRBlocks: 1
; VGPRBlocks: 0
; NumSGPRsForWavesPerEU: 16
; NumVGPRsForWavesPerEU: 4
; AccumOffset: 4
; Occupancy: 8
; WaveLimiterHint : 0
; COMPUTE_PGM_RSRC2:SCRATCH_EN: 0
; COMPUTE_PGM_RSRC2:USER_SGPR: 6
; COMPUTE_PGM_RSRC2:TRAP_HANDLER: 0
; COMPUTE_PGM_RSRC2:TGID_X_EN: 1
; COMPUTE_PGM_RSRC2:TGID_Y_EN: 0
; COMPUTE_PGM_RSRC2:TGID_Z_EN: 0
; COMPUTE_PGM_RSRC2:TIDIG_COMP_CNT: 0
; COMPUTE_PGM_RSRC3_GFX90A:ACCUM_OFFSET: 0
; COMPUTE_PGM_RSRC3_GFX90A:TG_SPLIT: 0
	.section	.text._ZN7rocprim17ROCPRIM_400000_NS6detail25reduce_by_key_init_kernelINS1_19lookback_scan_stateINS0_5tupleIJjjEEELb0ELb1EEEjNS1_16block_id_wrapperIjLb0EEEEEvT_jbjPmPT0_T1_,"axG",@progbits,_ZN7rocprim17ROCPRIM_400000_NS6detail25reduce_by_key_init_kernelINS1_19lookback_scan_stateINS0_5tupleIJjjEEELb0ELb1EEEjNS1_16block_id_wrapperIjLb0EEEEEvT_jbjPmPT0_T1_,comdat
	.protected	_ZN7rocprim17ROCPRIM_400000_NS6detail25reduce_by_key_init_kernelINS1_19lookback_scan_stateINS0_5tupleIJjjEEELb0ELb1EEEjNS1_16block_id_wrapperIjLb0EEEEEvT_jbjPmPT0_T1_ ; -- Begin function _ZN7rocprim17ROCPRIM_400000_NS6detail25reduce_by_key_init_kernelINS1_19lookback_scan_stateINS0_5tupleIJjjEEELb0ELb1EEEjNS1_16block_id_wrapperIjLb0EEEEEvT_jbjPmPT0_T1_
	.globl	_ZN7rocprim17ROCPRIM_400000_NS6detail25reduce_by_key_init_kernelINS1_19lookback_scan_stateINS0_5tupleIJjjEEELb0ELb1EEEjNS1_16block_id_wrapperIjLb0EEEEEvT_jbjPmPT0_T1_
	.p2align	8
	.type	_ZN7rocprim17ROCPRIM_400000_NS6detail25reduce_by_key_init_kernelINS1_19lookback_scan_stateINS0_5tupleIJjjEEELb0ELb1EEEjNS1_16block_id_wrapperIjLb0EEEEEvT_jbjPmPT0_T1_,@function
_ZN7rocprim17ROCPRIM_400000_NS6detail25reduce_by_key_init_kernelINS1_19lookback_scan_stateINS0_5tupleIJjjEEELb0ELb1EEEjNS1_16block_id_wrapperIjLb0EEEEEvT_jbjPmPT0_T1_: ; @_ZN7rocprim17ROCPRIM_400000_NS6detail25reduce_by_key_init_kernelINS1_19lookback_scan_stateINS0_5tupleIJjjEEELb0ELb1EEEjNS1_16block_id_wrapperIjLb0EEEEEvT_jbjPmPT0_T1_
; %bb.0:
	s_load_dwordx8 s[8:15], s[4:5], 0x8
	s_load_dword s2, s[4:5], 0x3c
	s_load_dwordx2 s[0:1], s[4:5], 0x0
	s_waitcnt lgkmcnt(0)
	s_and_b32 s3, s9, 1
	s_and_b32 s2, s2, 0xffff
	s_mul_i32 s6, s6, s2
	s_cmp_eq_u32 s3, 0
	v_add_u32_e32 v0, s6, v0
	s_mov_b64 s[2:3], -1
	s_cbranch_scc1 .LBB314_5
; %bb.1:
	s_andn2_b64 vcc, exec, s[2:3]
	s_cbranch_vccz .LBB314_12
.LBB314_2:
	v_cmp_gt_u32_e32 vcc, s8, v0
	s_and_saveexec_b64 s[2:3], vcc
	s_cbranch_execnz .LBB314_15
.LBB314_3:
	s_or_b64 exec, exec, s[2:3]
	v_cmp_gt_u32_e32 vcc, 64, v0
	s_and_saveexec_b64 s[2:3], vcc
	s_cbranch_execnz .LBB314_16
.LBB314_4:
	s_endpgm
.LBB314_5:
	s_cmp_lt_u32 s10, s8
	s_cselect_b32 s2, s10, 0
	v_cmp_eq_u32_e32 vcc, s2, v0
	s_and_saveexec_b64 s[2:3], vcc
	s_cbranch_execz .LBB314_11
; %bb.6:
	s_add_i32 s4, s10, 64
	s_mov_b32 s5, 0
	s_lshl_b64 s[4:5], s[4:5], 4
	s_add_u32 s10, s0, s4
	s_addc_u32 s11, s1, s5
	v_pk_mov_b32 v[2:3], s[10:11], s[10:11] op_sel:[0,1]
	;;#ASMSTART
	global_load_dwordx4 v[2:5], v[2:3] off glc	
s_waitcnt vmcnt(0)
	;;#ASMEND
	v_mov_b32_e32 v7, 0
	v_and_b32_e32 v6, 0xff, v4
	s_mov_b64 s[6:7], 0
	v_cmp_eq_u64_e32 vcc, 0, v[6:7]
	s_and_saveexec_b64 s[4:5], vcc
	s_cbranch_execz .LBB314_10
; %bb.7:
	v_pk_mov_b32 v[8:9], s[10:11], s[10:11] op_sel:[0,1]
.LBB314_8:                              ; =>This Inner Loop Header: Depth=1
	;;#ASMSTART
	global_load_dwordx4 v[2:5], v[8:9] off glc	
s_waitcnt vmcnt(0)
	;;#ASMEND
	v_and_b32_e32 v6, 0xff, v4
	v_cmp_ne_u64_e32 vcc, 0, v[6:7]
	s_or_b64 s[6:7], vcc, s[6:7]
	s_andn2_b64 exec, exec, s[6:7]
	s_cbranch_execnz .LBB314_8
; %bb.9:
	s_or_b64 exec, exec, s[6:7]
.LBB314_10:
	s_or_b64 exec, exec, s[4:5]
	v_mov_b32_e32 v1, 0
	global_load_dwordx2 v[4:5], v1, s[12:13]
	s_waitcnt vmcnt(0)
	v_add_co_u32_e32 v4, vcc, v4, v2
	v_addc_co_u32_e32 v5, vcc, 0, v5, vcc
	global_store_dwordx2 v1, v[4:5], s[12:13]
	global_store_dword v1, v3, s[14:15]
.LBB314_11:
	s_or_b64 exec, exec, s[2:3]
	s_cbranch_execnz .LBB314_2
.LBB314_12:
	s_cmp_lg_u64 s[12:13], 0
	s_cselect_b64 s[2:3], -1, 0
	v_cmp_eq_u32_e32 vcc, 0, v0
	s_and_b64 s[4:5], s[2:3], vcc
	s_and_saveexec_b64 s[2:3], s[4:5]
	s_cbranch_execz .LBB314_14
; %bb.13:
	v_mov_b32_e32 v2, 0
	v_mov_b32_e32 v3, v2
	global_store_dwordx2 v2, v[2:3], s[12:13]
.LBB314_14:
	s_or_b64 exec, exec, s[2:3]
	v_cmp_gt_u32_e32 vcc, s8, v0
	s_and_saveexec_b64 s[2:3], vcc
	s_cbranch_execz .LBB314_3
.LBB314_15:
	v_add_u32_e32 v2, 64, v0
	v_mov_b32_e32 v3, 0
	v_lshlrev_b64 v[4:5], 4, v[2:3]
	v_mov_b32_e32 v1, s1
	v_add_co_u32_e32 v6, vcc, s0, v4
	v_addc_co_u32_e32 v7, vcc, v1, v5, vcc
	v_mov_b32_e32 v2, v3
	v_mov_b32_e32 v4, v3
	;; [unrolled: 1-line block ×3, first 2 shown]
	global_store_dwordx4 v[6:7], v[2:5], off
	s_or_b64 exec, exec, s[2:3]
	v_cmp_gt_u32_e32 vcc, 64, v0
	s_and_saveexec_b64 s[2:3], vcc
	s_cbranch_execz .LBB314_4
.LBB314_16:
	v_mov_b32_e32 v1, 0
	v_lshlrev_b64 v[2:3], 4, v[0:1]
	v_mov_b32_e32 v0, s1
	v_add_co_u32_e32 v4, vcc, s0, v2
	v_addc_co_u32_e32 v5, vcc, v0, v3, vcc
	v_mov_b32_e32 v2, 0xff
	v_mov_b32_e32 v0, v1
	;; [unrolled: 1-line block ×3, first 2 shown]
	global_store_dwordx4 v[4:5], v[0:3], off
	s_endpgm
	.section	.rodata,"a",@progbits
	.p2align	6, 0x0
	.amdhsa_kernel _ZN7rocprim17ROCPRIM_400000_NS6detail25reduce_by_key_init_kernelINS1_19lookback_scan_stateINS0_5tupleIJjjEEELb0ELb1EEEjNS1_16block_id_wrapperIjLb0EEEEEvT_jbjPmPT0_T1_
		.amdhsa_group_segment_fixed_size 0
		.amdhsa_private_segment_fixed_size 0
		.amdhsa_kernarg_size 304
		.amdhsa_user_sgpr_count 6
		.amdhsa_user_sgpr_private_segment_buffer 1
		.amdhsa_user_sgpr_dispatch_ptr 0
		.amdhsa_user_sgpr_queue_ptr 0
		.amdhsa_user_sgpr_kernarg_segment_ptr 1
		.amdhsa_user_sgpr_dispatch_id 0
		.amdhsa_user_sgpr_flat_scratch_init 0
		.amdhsa_user_sgpr_kernarg_preload_length 0
		.amdhsa_user_sgpr_kernarg_preload_offset 0
		.amdhsa_user_sgpr_private_segment_size 0
		.amdhsa_uses_dynamic_stack 0
		.amdhsa_system_sgpr_private_segment_wavefront_offset 0
		.amdhsa_system_sgpr_workgroup_id_x 1
		.amdhsa_system_sgpr_workgroup_id_y 0
		.amdhsa_system_sgpr_workgroup_id_z 0
		.amdhsa_system_sgpr_workgroup_info 0
		.amdhsa_system_vgpr_workitem_id 0
		.amdhsa_next_free_vgpr 10
		.amdhsa_next_free_sgpr 16
		.amdhsa_accum_offset 12
		.amdhsa_reserve_vcc 1
		.amdhsa_reserve_flat_scratch 0
		.amdhsa_float_round_mode_32 0
		.amdhsa_float_round_mode_16_64 0
		.amdhsa_float_denorm_mode_32 3
		.amdhsa_float_denorm_mode_16_64 3
		.amdhsa_dx10_clamp 1
		.amdhsa_ieee_mode 1
		.amdhsa_fp16_overflow 0
		.amdhsa_tg_split 0
		.amdhsa_exception_fp_ieee_invalid_op 0
		.amdhsa_exception_fp_denorm_src 0
		.amdhsa_exception_fp_ieee_div_zero 0
		.amdhsa_exception_fp_ieee_overflow 0
		.amdhsa_exception_fp_ieee_underflow 0
		.amdhsa_exception_fp_ieee_inexact 0
		.amdhsa_exception_int_div_zero 0
	.end_amdhsa_kernel
	.section	.text._ZN7rocprim17ROCPRIM_400000_NS6detail25reduce_by_key_init_kernelINS1_19lookback_scan_stateINS0_5tupleIJjjEEELb0ELb1EEEjNS1_16block_id_wrapperIjLb0EEEEEvT_jbjPmPT0_T1_,"axG",@progbits,_ZN7rocprim17ROCPRIM_400000_NS6detail25reduce_by_key_init_kernelINS1_19lookback_scan_stateINS0_5tupleIJjjEEELb0ELb1EEEjNS1_16block_id_wrapperIjLb0EEEEEvT_jbjPmPT0_T1_,comdat
.Lfunc_end314:
	.size	_ZN7rocprim17ROCPRIM_400000_NS6detail25reduce_by_key_init_kernelINS1_19lookback_scan_stateINS0_5tupleIJjjEEELb0ELb1EEEjNS1_16block_id_wrapperIjLb0EEEEEvT_jbjPmPT0_T1_, .Lfunc_end314-_ZN7rocprim17ROCPRIM_400000_NS6detail25reduce_by_key_init_kernelINS1_19lookback_scan_stateINS0_5tupleIJjjEEELb0ELb1EEEjNS1_16block_id_wrapperIjLb0EEEEEvT_jbjPmPT0_T1_
                                        ; -- End function
	.section	.AMDGPU.csdata,"",@progbits
; Kernel info:
; codeLenInByte = 468
; NumSgprs: 20
; NumVgprs: 10
; NumAgprs: 0
; TotalNumVgprs: 10
; ScratchSize: 0
; MemoryBound: 0
; FloatMode: 240
; IeeeMode: 1
; LDSByteSize: 0 bytes/workgroup (compile time only)
; SGPRBlocks: 2
; VGPRBlocks: 1
; NumSGPRsForWavesPerEU: 20
; NumVGPRsForWavesPerEU: 10
; AccumOffset: 12
; Occupancy: 8
; WaveLimiterHint : 0
; COMPUTE_PGM_RSRC2:SCRATCH_EN: 0
; COMPUTE_PGM_RSRC2:USER_SGPR: 6
; COMPUTE_PGM_RSRC2:TRAP_HANDLER: 0
; COMPUTE_PGM_RSRC2:TGID_X_EN: 1
; COMPUTE_PGM_RSRC2:TGID_Y_EN: 0
; COMPUTE_PGM_RSRC2:TGID_Z_EN: 0
; COMPUTE_PGM_RSRC2:TIDIG_COMP_CNT: 0
; COMPUTE_PGM_RSRC3_GFX90A:ACCUM_OFFSET: 2
; COMPUTE_PGM_RSRC3_GFX90A:TG_SPLIT: 0
	.section	.text._ZN7rocprim17ROCPRIM_400000_NS6detail17trampoline_kernelINS0_14default_configENS1_29reduce_by_key_config_selectorIjjN6thrust23THRUST_200600_302600_NS4plusIjEEEEZZNS1_33reduce_by_key_impl_wrapped_configILNS1_25lookback_scan_determinismE0ES3_S9_NS6_6detail15normal_iteratorINS6_10device_ptrIjEEEESG_SG_SG_PmS8_NS6_8equal_toIjEEEE10hipError_tPvRmT2_T3_mT4_T5_T6_T7_T8_P12ihipStream_tbENKUlT_T0_E_clISt17integral_constantIbLb0EES11_EEDaSW_SX_EUlSW_E_NS1_11comp_targetILNS1_3genE0ELNS1_11target_archE4294967295ELNS1_3gpuE0ELNS1_3repE0EEENS1_30default_config_static_selectorELNS0_4arch9wavefront6targetE1EEEvT1_,"axG",@progbits,_ZN7rocprim17ROCPRIM_400000_NS6detail17trampoline_kernelINS0_14default_configENS1_29reduce_by_key_config_selectorIjjN6thrust23THRUST_200600_302600_NS4plusIjEEEEZZNS1_33reduce_by_key_impl_wrapped_configILNS1_25lookback_scan_determinismE0ES3_S9_NS6_6detail15normal_iteratorINS6_10device_ptrIjEEEESG_SG_SG_PmS8_NS6_8equal_toIjEEEE10hipError_tPvRmT2_T3_mT4_T5_T6_T7_T8_P12ihipStream_tbENKUlT_T0_E_clISt17integral_constantIbLb0EES11_EEDaSW_SX_EUlSW_E_NS1_11comp_targetILNS1_3genE0ELNS1_11target_archE4294967295ELNS1_3gpuE0ELNS1_3repE0EEENS1_30default_config_static_selectorELNS0_4arch9wavefront6targetE1EEEvT1_,comdat
	.protected	_ZN7rocprim17ROCPRIM_400000_NS6detail17trampoline_kernelINS0_14default_configENS1_29reduce_by_key_config_selectorIjjN6thrust23THRUST_200600_302600_NS4plusIjEEEEZZNS1_33reduce_by_key_impl_wrapped_configILNS1_25lookback_scan_determinismE0ES3_S9_NS6_6detail15normal_iteratorINS6_10device_ptrIjEEEESG_SG_SG_PmS8_NS6_8equal_toIjEEEE10hipError_tPvRmT2_T3_mT4_T5_T6_T7_T8_P12ihipStream_tbENKUlT_T0_E_clISt17integral_constantIbLb0EES11_EEDaSW_SX_EUlSW_E_NS1_11comp_targetILNS1_3genE0ELNS1_11target_archE4294967295ELNS1_3gpuE0ELNS1_3repE0EEENS1_30default_config_static_selectorELNS0_4arch9wavefront6targetE1EEEvT1_ ; -- Begin function _ZN7rocprim17ROCPRIM_400000_NS6detail17trampoline_kernelINS0_14default_configENS1_29reduce_by_key_config_selectorIjjN6thrust23THRUST_200600_302600_NS4plusIjEEEEZZNS1_33reduce_by_key_impl_wrapped_configILNS1_25lookback_scan_determinismE0ES3_S9_NS6_6detail15normal_iteratorINS6_10device_ptrIjEEEESG_SG_SG_PmS8_NS6_8equal_toIjEEEE10hipError_tPvRmT2_T3_mT4_T5_T6_T7_T8_P12ihipStream_tbENKUlT_T0_E_clISt17integral_constantIbLb0EES11_EEDaSW_SX_EUlSW_E_NS1_11comp_targetILNS1_3genE0ELNS1_11target_archE4294967295ELNS1_3gpuE0ELNS1_3repE0EEENS1_30default_config_static_selectorELNS0_4arch9wavefront6targetE1EEEvT1_
	.globl	_ZN7rocprim17ROCPRIM_400000_NS6detail17trampoline_kernelINS0_14default_configENS1_29reduce_by_key_config_selectorIjjN6thrust23THRUST_200600_302600_NS4plusIjEEEEZZNS1_33reduce_by_key_impl_wrapped_configILNS1_25lookback_scan_determinismE0ES3_S9_NS6_6detail15normal_iteratorINS6_10device_ptrIjEEEESG_SG_SG_PmS8_NS6_8equal_toIjEEEE10hipError_tPvRmT2_T3_mT4_T5_T6_T7_T8_P12ihipStream_tbENKUlT_T0_E_clISt17integral_constantIbLb0EES11_EEDaSW_SX_EUlSW_E_NS1_11comp_targetILNS1_3genE0ELNS1_11target_archE4294967295ELNS1_3gpuE0ELNS1_3repE0EEENS1_30default_config_static_selectorELNS0_4arch9wavefront6targetE1EEEvT1_
	.p2align	8
	.type	_ZN7rocprim17ROCPRIM_400000_NS6detail17trampoline_kernelINS0_14default_configENS1_29reduce_by_key_config_selectorIjjN6thrust23THRUST_200600_302600_NS4plusIjEEEEZZNS1_33reduce_by_key_impl_wrapped_configILNS1_25lookback_scan_determinismE0ES3_S9_NS6_6detail15normal_iteratorINS6_10device_ptrIjEEEESG_SG_SG_PmS8_NS6_8equal_toIjEEEE10hipError_tPvRmT2_T3_mT4_T5_T6_T7_T8_P12ihipStream_tbENKUlT_T0_E_clISt17integral_constantIbLb0EES11_EEDaSW_SX_EUlSW_E_NS1_11comp_targetILNS1_3genE0ELNS1_11target_archE4294967295ELNS1_3gpuE0ELNS1_3repE0EEENS1_30default_config_static_selectorELNS0_4arch9wavefront6targetE1EEEvT1_,@function
_ZN7rocprim17ROCPRIM_400000_NS6detail17trampoline_kernelINS0_14default_configENS1_29reduce_by_key_config_selectorIjjN6thrust23THRUST_200600_302600_NS4plusIjEEEEZZNS1_33reduce_by_key_impl_wrapped_configILNS1_25lookback_scan_determinismE0ES3_S9_NS6_6detail15normal_iteratorINS6_10device_ptrIjEEEESG_SG_SG_PmS8_NS6_8equal_toIjEEEE10hipError_tPvRmT2_T3_mT4_T5_T6_T7_T8_P12ihipStream_tbENKUlT_T0_E_clISt17integral_constantIbLb0EES11_EEDaSW_SX_EUlSW_E_NS1_11comp_targetILNS1_3genE0ELNS1_11target_archE4294967295ELNS1_3gpuE0ELNS1_3repE0EEENS1_30default_config_static_selectorELNS0_4arch9wavefront6targetE1EEEvT1_: ; @_ZN7rocprim17ROCPRIM_400000_NS6detail17trampoline_kernelINS0_14default_configENS1_29reduce_by_key_config_selectorIjjN6thrust23THRUST_200600_302600_NS4plusIjEEEEZZNS1_33reduce_by_key_impl_wrapped_configILNS1_25lookback_scan_determinismE0ES3_S9_NS6_6detail15normal_iteratorINS6_10device_ptrIjEEEESG_SG_SG_PmS8_NS6_8equal_toIjEEEE10hipError_tPvRmT2_T3_mT4_T5_T6_T7_T8_P12ihipStream_tbENKUlT_T0_E_clISt17integral_constantIbLb0EES11_EEDaSW_SX_EUlSW_E_NS1_11comp_targetILNS1_3genE0ELNS1_11target_archE4294967295ELNS1_3gpuE0ELNS1_3repE0EEENS1_30default_config_static_selectorELNS0_4arch9wavefront6targetE1EEEvT1_
; %bb.0:
	.section	.rodata,"a",@progbits
	.p2align	6, 0x0
	.amdhsa_kernel _ZN7rocprim17ROCPRIM_400000_NS6detail17trampoline_kernelINS0_14default_configENS1_29reduce_by_key_config_selectorIjjN6thrust23THRUST_200600_302600_NS4plusIjEEEEZZNS1_33reduce_by_key_impl_wrapped_configILNS1_25lookback_scan_determinismE0ES3_S9_NS6_6detail15normal_iteratorINS6_10device_ptrIjEEEESG_SG_SG_PmS8_NS6_8equal_toIjEEEE10hipError_tPvRmT2_T3_mT4_T5_T6_T7_T8_P12ihipStream_tbENKUlT_T0_E_clISt17integral_constantIbLb0EES11_EEDaSW_SX_EUlSW_E_NS1_11comp_targetILNS1_3genE0ELNS1_11target_archE4294967295ELNS1_3gpuE0ELNS1_3repE0EEENS1_30default_config_static_selectorELNS0_4arch9wavefront6targetE1EEEvT1_
		.amdhsa_group_segment_fixed_size 0
		.amdhsa_private_segment_fixed_size 0
		.amdhsa_kernarg_size 120
		.amdhsa_user_sgpr_count 6
		.amdhsa_user_sgpr_private_segment_buffer 1
		.amdhsa_user_sgpr_dispatch_ptr 0
		.amdhsa_user_sgpr_queue_ptr 0
		.amdhsa_user_sgpr_kernarg_segment_ptr 1
		.amdhsa_user_sgpr_dispatch_id 0
		.amdhsa_user_sgpr_flat_scratch_init 0
		.amdhsa_user_sgpr_kernarg_preload_length 0
		.amdhsa_user_sgpr_kernarg_preload_offset 0
		.amdhsa_user_sgpr_private_segment_size 0
		.amdhsa_uses_dynamic_stack 0
		.amdhsa_system_sgpr_private_segment_wavefront_offset 0
		.amdhsa_system_sgpr_workgroup_id_x 1
		.amdhsa_system_sgpr_workgroup_id_y 0
		.amdhsa_system_sgpr_workgroup_id_z 0
		.amdhsa_system_sgpr_workgroup_info 0
		.amdhsa_system_vgpr_workitem_id 0
		.amdhsa_next_free_vgpr 1
		.amdhsa_next_free_sgpr 0
		.amdhsa_accum_offset 4
		.amdhsa_reserve_vcc 0
		.amdhsa_reserve_flat_scratch 0
		.amdhsa_float_round_mode_32 0
		.amdhsa_float_round_mode_16_64 0
		.amdhsa_float_denorm_mode_32 3
		.amdhsa_float_denorm_mode_16_64 3
		.amdhsa_dx10_clamp 1
		.amdhsa_ieee_mode 1
		.amdhsa_fp16_overflow 0
		.amdhsa_tg_split 0
		.amdhsa_exception_fp_ieee_invalid_op 0
		.amdhsa_exception_fp_denorm_src 0
		.amdhsa_exception_fp_ieee_div_zero 0
		.amdhsa_exception_fp_ieee_overflow 0
		.amdhsa_exception_fp_ieee_underflow 0
		.amdhsa_exception_fp_ieee_inexact 0
		.amdhsa_exception_int_div_zero 0
	.end_amdhsa_kernel
	.section	.text._ZN7rocprim17ROCPRIM_400000_NS6detail17trampoline_kernelINS0_14default_configENS1_29reduce_by_key_config_selectorIjjN6thrust23THRUST_200600_302600_NS4plusIjEEEEZZNS1_33reduce_by_key_impl_wrapped_configILNS1_25lookback_scan_determinismE0ES3_S9_NS6_6detail15normal_iteratorINS6_10device_ptrIjEEEESG_SG_SG_PmS8_NS6_8equal_toIjEEEE10hipError_tPvRmT2_T3_mT4_T5_T6_T7_T8_P12ihipStream_tbENKUlT_T0_E_clISt17integral_constantIbLb0EES11_EEDaSW_SX_EUlSW_E_NS1_11comp_targetILNS1_3genE0ELNS1_11target_archE4294967295ELNS1_3gpuE0ELNS1_3repE0EEENS1_30default_config_static_selectorELNS0_4arch9wavefront6targetE1EEEvT1_,"axG",@progbits,_ZN7rocprim17ROCPRIM_400000_NS6detail17trampoline_kernelINS0_14default_configENS1_29reduce_by_key_config_selectorIjjN6thrust23THRUST_200600_302600_NS4plusIjEEEEZZNS1_33reduce_by_key_impl_wrapped_configILNS1_25lookback_scan_determinismE0ES3_S9_NS6_6detail15normal_iteratorINS6_10device_ptrIjEEEESG_SG_SG_PmS8_NS6_8equal_toIjEEEE10hipError_tPvRmT2_T3_mT4_T5_T6_T7_T8_P12ihipStream_tbENKUlT_T0_E_clISt17integral_constantIbLb0EES11_EEDaSW_SX_EUlSW_E_NS1_11comp_targetILNS1_3genE0ELNS1_11target_archE4294967295ELNS1_3gpuE0ELNS1_3repE0EEENS1_30default_config_static_selectorELNS0_4arch9wavefront6targetE1EEEvT1_,comdat
.Lfunc_end315:
	.size	_ZN7rocprim17ROCPRIM_400000_NS6detail17trampoline_kernelINS0_14default_configENS1_29reduce_by_key_config_selectorIjjN6thrust23THRUST_200600_302600_NS4plusIjEEEEZZNS1_33reduce_by_key_impl_wrapped_configILNS1_25lookback_scan_determinismE0ES3_S9_NS6_6detail15normal_iteratorINS6_10device_ptrIjEEEESG_SG_SG_PmS8_NS6_8equal_toIjEEEE10hipError_tPvRmT2_T3_mT4_T5_T6_T7_T8_P12ihipStream_tbENKUlT_T0_E_clISt17integral_constantIbLb0EES11_EEDaSW_SX_EUlSW_E_NS1_11comp_targetILNS1_3genE0ELNS1_11target_archE4294967295ELNS1_3gpuE0ELNS1_3repE0EEENS1_30default_config_static_selectorELNS0_4arch9wavefront6targetE1EEEvT1_, .Lfunc_end315-_ZN7rocprim17ROCPRIM_400000_NS6detail17trampoline_kernelINS0_14default_configENS1_29reduce_by_key_config_selectorIjjN6thrust23THRUST_200600_302600_NS4plusIjEEEEZZNS1_33reduce_by_key_impl_wrapped_configILNS1_25lookback_scan_determinismE0ES3_S9_NS6_6detail15normal_iteratorINS6_10device_ptrIjEEEESG_SG_SG_PmS8_NS6_8equal_toIjEEEE10hipError_tPvRmT2_T3_mT4_T5_T6_T7_T8_P12ihipStream_tbENKUlT_T0_E_clISt17integral_constantIbLb0EES11_EEDaSW_SX_EUlSW_E_NS1_11comp_targetILNS1_3genE0ELNS1_11target_archE4294967295ELNS1_3gpuE0ELNS1_3repE0EEENS1_30default_config_static_selectorELNS0_4arch9wavefront6targetE1EEEvT1_
                                        ; -- End function
	.section	.AMDGPU.csdata,"",@progbits
; Kernel info:
; codeLenInByte = 0
; NumSgprs: 4
; NumVgprs: 0
; NumAgprs: 0
; TotalNumVgprs: 0
; ScratchSize: 0
; MemoryBound: 0
; FloatMode: 240
; IeeeMode: 1
; LDSByteSize: 0 bytes/workgroup (compile time only)
; SGPRBlocks: 0
; VGPRBlocks: 0
; NumSGPRsForWavesPerEU: 4
; NumVGPRsForWavesPerEU: 1
; AccumOffset: 4
; Occupancy: 8
; WaveLimiterHint : 0
; COMPUTE_PGM_RSRC2:SCRATCH_EN: 0
; COMPUTE_PGM_RSRC2:USER_SGPR: 6
; COMPUTE_PGM_RSRC2:TRAP_HANDLER: 0
; COMPUTE_PGM_RSRC2:TGID_X_EN: 1
; COMPUTE_PGM_RSRC2:TGID_Y_EN: 0
; COMPUTE_PGM_RSRC2:TGID_Z_EN: 0
; COMPUTE_PGM_RSRC2:TIDIG_COMP_CNT: 0
; COMPUTE_PGM_RSRC3_GFX90A:ACCUM_OFFSET: 0
; COMPUTE_PGM_RSRC3_GFX90A:TG_SPLIT: 0
	.section	.text._ZN7rocprim17ROCPRIM_400000_NS6detail17trampoline_kernelINS0_14default_configENS1_29reduce_by_key_config_selectorIjjN6thrust23THRUST_200600_302600_NS4plusIjEEEEZZNS1_33reduce_by_key_impl_wrapped_configILNS1_25lookback_scan_determinismE0ES3_S9_NS6_6detail15normal_iteratorINS6_10device_ptrIjEEEESG_SG_SG_PmS8_NS6_8equal_toIjEEEE10hipError_tPvRmT2_T3_mT4_T5_T6_T7_T8_P12ihipStream_tbENKUlT_T0_E_clISt17integral_constantIbLb0EES11_EEDaSW_SX_EUlSW_E_NS1_11comp_targetILNS1_3genE5ELNS1_11target_archE942ELNS1_3gpuE9ELNS1_3repE0EEENS1_30default_config_static_selectorELNS0_4arch9wavefront6targetE1EEEvT1_,"axG",@progbits,_ZN7rocprim17ROCPRIM_400000_NS6detail17trampoline_kernelINS0_14default_configENS1_29reduce_by_key_config_selectorIjjN6thrust23THRUST_200600_302600_NS4plusIjEEEEZZNS1_33reduce_by_key_impl_wrapped_configILNS1_25lookback_scan_determinismE0ES3_S9_NS6_6detail15normal_iteratorINS6_10device_ptrIjEEEESG_SG_SG_PmS8_NS6_8equal_toIjEEEE10hipError_tPvRmT2_T3_mT4_T5_T6_T7_T8_P12ihipStream_tbENKUlT_T0_E_clISt17integral_constantIbLb0EES11_EEDaSW_SX_EUlSW_E_NS1_11comp_targetILNS1_3genE5ELNS1_11target_archE942ELNS1_3gpuE9ELNS1_3repE0EEENS1_30default_config_static_selectorELNS0_4arch9wavefront6targetE1EEEvT1_,comdat
	.protected	_ZN7rocprim17ROCPRIM_400000_NS6detail17trampoline_kernelINS0_14default_configENS1_29reduce_by_key_config_selectorIjjN6thrust23THRUST_200600_302600_NS4plusIjEEEEZZNS1_33reduce_by_key_impl_wrapped_configILNS1_25lookback_scan_determinismE0ES3_S9_NS6_6detail15normal_iteratorINS6_10device_ptrIjEEEESG_SG_SG_PmS8_NS6_8equal_toIjEEEE10hipError_tPvRmT2_T3_mT4_T5_T6_T7_T8_P12ihipStream_tbENKUlT_T0_E_clISt17integral_constantIbLb0EES11_EEDaSW_SX_EUlSW_E_NS1_11comp_targetILNS1_3genE5ELNS1_11target_archE942ELNS1_3gpuE9ELNS1_3repE0EEENS1_30default_config_static_selectorELNS0_4arch9wavefront6targetE1EEEvT1_ ; -- Begin function _ZN7rocprim17ROCPRIM_400000_NS6detail17trampoline_kernelINS0_14default_configENS1_29reduce_by_key_config_selectorIjjN6thrust23THRUST_200600_302600_NS4plusIjEEEEZZNS1_33reduce_by_key_impl_wrapped_configILNS1_25lookback_scan_determinismE0ES3_S9_NS6_6detail15normal_iteratorINS6_10device_ptrIjEEEESG_SG_SG_PmS8_NS6_8equal_toIjEEEE10hipError_tPvRmT2_T3_mT4_T5_T6_T7_T8_P12ihipStream_tbENKUlT_T0_E_clISt17integral_constantIbLb0EES11_EEDaSW_SX_EUlSW_E_NS1_11comp_targetILNS1_3genE5ELNS1_11target_archE942ELNS1_3gpuE9ELNS1_3repE0EEENS1_30default_config_static_selectorELNS0_4arch9wavefront6targetE1EEEvT1_
	.globl	_ZN7rocprim17ROCPRIM_400000_NS6detail17trampoline_kernelINS0_14default_configENS1_29reduce_by_key_config_selectorIjjN6thrust23THRUST_200600_302600_NS4plusIjEEEEZZNS1_33reduce_by_key_impl_wrapped_configILNS1_25lookback_scan_determinismE0ES3_S9_NS6_6detail15normal_iteratorINS6_10device_ptrIjEEEESG_SG_SG_PmS8_NS6_8equal_toIjEEEE10hipError_tPvRmT2_T3_mT4_T5_T6_T7_T8_P12ihipStream_tbENKUlT_T0_E_clISt17integral_constantIbLb0EES11_EEDaSW_SX_EUlSW_E_NS1_11comp_targetILNS1_3genE5ELNS1_11target_archE942ELNS1_3gpuE9ELNS1_3repE0EEENS1_30default_config_static_selectorELNS0_4arch9wavefront6targetE1EEEvT1_
	.p2align	8
	.type	_ZN7rocprim17ROCPRIM_400000_NS6detail17trampoline_kernelINS0_14default_configENS1_29reduce_by_key_config_selectorIjjN6thrust23THRUST_200600_302600_NS4plusIjEEEEZZNS1_33reduce_by_key_impl_wrapped_configILNS1_25lookback_scan_determinismE0ES3_S9_NS6_6detail15normal_iteratorINS6_10device_ptrIjEEEESG_SG_SG_PmS8_NS6_8equal_toIjEEEE10hipError_tPvRmT2_T3_mT4_T5_T6_T7_T8_P12ihipStream_tbENKUlT_T0_E_clISt17integral_constantIbLb0EES11_EEDaSW_SX_EUlSW_E_NS1_11comp_targetILNS1_3genE5ELNS1_11target_archE942ELNS1_3gpuE9ELNS1_3repE0EEENS1_30default_config_static_selectorELNS0_4arch9wavefront6targetE1EEEvT1_,@function
_ZN7rocprim17ROCPRIM_400000_NS6detail17trampoline_kernelINS0_14default_configENS1_29reduce_by_key_config_selectorIjjN6thrust23THRUST_200600_302600_NS4plusIjEEEEZZNS1_33reduce_by_key_impl_wrapped_configILNS1_25lookback_scan_determinismE0ES3_S9_NS6_6detail15normal_iteratorINS6_10device_ptrIjEEEESG_SG_SG_PmS8_NS6_8equal_toIjEEEE10hipError_tPvRmT2_T3_mT4_T5_T6_T7_T8_P12ihipStream_tbENKUlT_T0_E_clISt17integral_constantIbLb0EES11_EEDaSW_SX_EUlSW_E_NS1_11comp_targetILNS1_3genE5ELNS1_11target_archE942ELNS1_3gpuE9ELNS1_3repE0EEENS1_30default_config_static_selectorELNS0_4arch9wavefront6targetE1EEEvT1_: ; @_ZN7rocprim17ROCPRIM_400000_NS6detail17trampoline_kernelINS0_14default_configENS1_29reduce_by_key_config_selectorIjjN6thrust23THRUST_200600_302600_NS4plusIjEEEEZZNS1_33reduce_by_key_impl_wrapped_configILNS1_25lookback_scan_determinismE0ES3_S9_NS6_6detail15normal_iteratorINS6_10device_ptrIjEEEESG_SG_SG_PmS8_NS6_8equal_toIjEEEE10hipError_tPvRmT2_T3_mT4_T5_T6_T7_T8_P12ihipStream_tbENKUlT_T0_E_clISt17integral_constantIbLb0EES11_EEDaSW_SX_EUlSW_E_NS1_11comp_targetILNS1_3genE5ELNS1_11target_archE942ELNS1_3gpuE9ELNS1_3repE0EEENS1_30default_config_static_selectorELNS0_4arch9wavefront6targetE1EEEvT1_
; %bb.0:
	.section	.rodata,"a",@progbits
	.p2align	6, 0x0
	.amdhsa_kernel _ZN7rocprim17ROCPRIM_400000_NS6detail17trampoline_kernelINS0_14default_configENS1_29reduce_by_key_config_selectorIjjN6thrust23THRUST_200600_302600_NS4plusIjEEEEZZNS1_33reduce_by_key_impl_wrapped_configILNS1_25lookback_scan_determinismE0ES3_S9_NS6_6detail15normal_iteratorINS6_10device_ptrIjEEEESG_SG_SG_PmS8_NS6_8equal_toIjEEEE10hipError_tPvRmT2_T3_mT4_T5_T6_T7_T8_P12ihipStream_tbENKUlT_T0_E_clISt17integral_constantIbLb0EES11_EEDaSW_SX_EUlSW_E_NS1_11comp_targetILNS1_3genE5ELNS1_11target_archE942ELNS1_3gpuE9ELNS1_3repE0EEENS1_30default_config_static_selectorELNS0_4arch9wavefront6targetE1EEEvT1_
		.amdhsa_group_segment_fixed_size 0
		.amdhsa_private_segment_fixed_size 0
		.amdhsa_kernarg_size 120
		.amdhsa_user_sgpr_count 6
		.amdhsa_user_sgpr_private_segment_buffer 1
		.amdhsa_user_sgpr_dispatch_ptr 0
		.amdhsa_user_sgpr_queue_ptr 0
		.amdhsa_user_sgpr_kernarg_segment_ptr 1
		.amdhsa_user_sgpr_dispatch_id 0
		.amdhsa_user_sgpr_flat_scratch_init 0
		.amdhsa_user_sgpr_kernarg_preload_length 0
		.amdhsa_user_sgpr_kernarg_preload_offset 0
		.amdhsa_user_sgpr_private_segment_size 0
		.amdhsa_uses_dynamic_stack 0
		.amdhsa_system_sgpr_private_segment_wavefront_offset 0
		.amdhsa_system_sgpr_workgroup_id_x 1
		.amdhsa_system_sgpr_workgroup_id_y 0
		.amdhsa_system_sgpr_workgroup_id_z 0
		.amdhsa_system_sgpr_workgroup_info 0
		.amdhsa_system_vgpr_workitem_id 0
		.amdhsa_next_free_vgpr 1
		.amdhsa_next_free_sgpr 0
		.amdhsa_accum_offset 4
		.amdhsa_reserve_vcc 0
		.amdhsa_reserve_flat_scratch 0
		.amdhsa_float_round_mode_32 0
		.amdhsa_float_round_mode_16_64 0
		.amdhsa_float_denorm_mode_32 3
		.amdhsa_float_denorm_mode_16_64 3
		.amdhsa_dx10_clamp 1
		.amdhsa_ieee_mode 1
		.amdhsa_fp16_overflow 0
		.amdhsa_tg_split 0
		.amdhsa_exception_fp_ieee_invalid_op 0
		.amdhsa_exception_fp_denorm_src 0
		.amdhsa_exception_fp_ieee_div_zero 0
		.amdhsa_exception_fp_ieee_overflow 0
		.amdhsa_exception_fp_ieee_underflow 0
		.amdhsa_exception_fp_ieee_inexact 0
		.amdhsa_exception_int_div_zero 0
	.end_amdhsa_kernel
	.section	.text._ZN7rocprim17ROCPRIM_400000_NS6detail17trampoline_kernelINS0_14default_configENS1_29reduce_by_key_config_selectorIjjN6thrust23THRUST_200600_302600_NS4plusIjEEEEZZNS1_33reduce_by_key_impl_wrapped_configILNS1_25lookback_scan_determinismE0ES3_S9_NS6_6detail15normal_iteratorINS6_10device_ptrIjEEEESG_SG_SG_PmS8_NS6_8equal_toIjEEEE10hipError_tPvRmT2_T3_mT4_T5_T6_T7_T8_P12ihipStream_tbENKUlT_T0_E_clISt17integral_constantIbLb0EES11_EEDaSW_SX_EUlSW_E_NS1_11comp_targetILNS1_3genE5ELNS1_11target_archE942ELNS1_3gpuE9ELNS1_3repE0EEENS1_30default_config_static_selectorELNS0_4arch9wavefront6targetE1EEEvT1_,"axG",@progbits,_ZN7rocprim17ROCPRIM_400000_NS6detail17trampoline_kernelINS0_14default_configENS1_29reduce_by_key_config_selectorIjjN6thrust23THRUST_200600_302600_NS4plusIjEEEEZZNS1_33reduce_by_key_impl_wrapped_configILNS1_25lookback_scan_determinismE0ES3_S9_NS6_6detail15normal_iteratorINS6_10device_ptrIjEEEESG_SG_SG_PmS8_NS6_8equal_toIjEEEE10hipError_tPvRmT2_T3_mT4_T5_T6_T7_T8_P12ihipStream_tbENKUlT_T0_E_clISt17integral_constantIbLb0EES11_EEDaSW_SX_EUlSW_E_NS1_11comp_targetILNS1_3genE5ELNS1_11target_archE942ELNS1_3gpuE9ELNS1_3repE0EEENS1_30default_config_static_selectorELNS0_4arch9wavefront6targetE1EEEvT1_,comdat
.Lfunc_end316:
	.size	_ZN7rocprim17ROCPRIM_400000_NS6detail17trampoline_kernelINS0_14default_configENS1_29reduce_by_key_config_selectorIjjN6thrust23THRUST_200600_302600_NS4plusIjEEEEZZNS1_33reduce_by_key_impl_wrapped_configILNS1_25lookback_scan_determinismE0ES3_S9_NS6_6detail15normal_iteratorINS6_10device_ptrIjEEEESG_SG_SG_PmS8_NS6_8equal_toIjEEEE10hipError_tPvRmT2_T3_mT4_T5_T6_T7_T8_P12ihipStream_tbENKUlT_T0_E_clISt17integral_constantIbLb0EES11_EEDaSW_SX_EUlSW_E_NS1_11comp_targetILNS1_3genE5ELNS1_11target_archE942ELNS1_3gpuE9ELNS1_3repE0EEENS1_30default_config_static_selectorELNS0_4arch9wavefront6targetE1EEEvT1_, .Lfunc_end316-_ZN7rocprim17ROCPRIM_400000_NS6detail17trampoline_kernelINS0_14default_configENS1_29reduce_by_key_config_selectorIjjN6thrust23THRUST_200600_302600_NS4plusIjEEEEZZNS1_33reduce_by_key_impl_wrapped_configILNS1_25lookback_scan_determinismE0ES3_S9_NS6_6detail15normal_iteratorINS6_10device_ptrIjEEEESG_SG_SG_PmS8_NS6_8equal_toIjEEEE10hipError_tPvRmT2_T3_mT4_T5_T6_T7_T8_P12ihipStream_tbENKUlT_T0_E_clISt17integral_constantIbLb0EES11_EEDaSW_SX_EUlSW_E_NS1_11comp_targetILNS1_3genE5ELNS1_11target_archE942ELNS1_3gpuE9ELNS1_3repE0EEENS1_30default_config_static_selectorELNS0_4arch9wavefront6targetE1EEEvT1_
                                        ; -- End function
	.section	.AMDGPU.csdata,"",@progbits
; Kernel info:
; codeLenInByte = 0
; NumSgprs: 4
; NumVgprs: 0
; NumAgprs: 0
; TotalNumVgprs: 0
; ScratchSize: 0
; MemoryBound: 0
; FloatMode: 240
; IeeeMode: 1
; LDSByteSize: 0 bytes/workgroup (compile time only)
; SGPRBlocks: 0
; VGPRBlocks: 0
; NumSGPRsForWavesPerEU: 4
; NumVGPRsForWavesPerEU: 1
; AccumOffset: 4
; Occupancy: 8
; WaveLimiterHint : 0
; COMPUTE_PGM_RSRC2:SCRATCH_EN: 0
; COMPUTE_PGM_RSRC2:USER_SGPR: 6
; COMPUTE_PGM_RSRC2:TRAP_HANDLER: 0
; COMPUTE_PGM_RSRC2:TGID_X_EN: 1
; COMPUTE_PGM_RSRC2:TGID_Y_EN: 0
; COMPUTE_PGM_RSRC2:TGID_Z_EN: 0
; COMPUTE_PGM_RSRC2:TIDIG_COMP_CNT: 0
; COMPUTE_PGM_RSRC3_GFX90A:ACCUM_OFFSET: 0
; COMPUTE_PGM_RSRC3_GFX90A:TG_SPLIT: 0
	.section	.text._ZN7rocprim17ROCPRIM_400000_NS6detail17trampoline_kernelINS0_14default_configENS1_29reduce_by_key_config_selectorIjjN6thrust23THRUST_200600_302600_NS4plusIjEEEEZZNS1_33reduce_by_key_impl_wrapped_configILNS1_25lookback_scan_determinismE0ES3_S9_NS6_6detail15normal_iteratorINS6_10device_ptrIjEEEESG_SG_SG_PmS8_NS6_8equal_toIjEEEE10hipError_tPvRmT2_T3_mT4_T5_T6_T7_T8_P12ihipStream_tbENKUlT_T0_E_clISt17integral_constantIbLb0EES11_EEDaSW_SX_EUlSW_E_NS1_11comp_targetILNS1_3genE4ELNS1_11target_archE910ELNS1_3gpuE8ELNS1_3repE0EEENS1_30default_config_static_selectorELNS0_4arch9wavefront6targetE1EEEvT1_,"axG",@progbits,_ZN7rocprim17ROCPRIM_400000_NS6detail17trampoline_kernelINS0_14default_configENS1_29reduce_by_key_config_selectorIjjN6thrust23THRUST_200600_302600_NS4plusIjEEEEZZNS1_33reduce_by_key_impl_wrapped_configILNS1_25lookback_scan_determinismE0ES3_S9_NS6_6detail15normal_iteratorINS6_10device_ptrIjEEEESG_SG_SG_PmS8_NS6_8equal_toIjEEEE10hipError_tPvRmT2_T3_mT4_T5_T6_T7_T8_P12ihipStream_tbENKUlT_T0_E_clISt17integral_constantIbLb0EES11_EEDaSW_SX_EUlSW_E_NS1_11comp_targetILNS1_3genE4ELNS1_11target_archE910ELNS1_3gpuE8ELNS1_3repE0EEENS1_30default_config_static_selectorELNS0_4arch9wavefront6targetE1EEEvT1_,comdat
	.protected	_ZN7rocprim17ROCPRIM_400000_NS6detail17trampoline_kernelINS0_14default_configENS1_29reduce_by_key_config_selectorIjjN6thrust23THRUST_200600_302600_NS4plusIjEEEEZZNS1_33reduce_by_key_impl_wrapped_configILNS1_25lookback_scan_determinismE0ES3_S9_NS6_6detail15normal_iteratorINS6_10device_ptrIjEEEESG_SG_SG_PmS8_NS6_8equal_toIjEEEE10hipError_tPvRmT2_T3_mT4_T5_T6_T7_T8_P12ihipStream_tbENKUlT_T0_E_clISt17integral_constantIbLb0EES11_EEDaSW_SX_EUlSW_E_NS1_11comp_targetILNS1_3genE4ELNS1_11target_archE910ELNS1_3gpuE8ELNS1_3repE0EEENS1_30default_config_static_selectorELNS0_4arch9wavefront6targetE1EEEvT1_ ; -- Begin function _ZN7rocprim17ROCPRIM_400000_NS6detail17trampoline_kernelINS0_14default_configENS1_29reduce_by_key_config_selectorIjjN6thrust23THRUST_200600_302600_NS4plusIjEEEEZZNS1_33reduce_by_key_impl_wrapped_configILNS1_25lookback_scan_determinismE0ES3_S9_NS6_6detail15normal_iteratorINS6_10device_ptrIjEEEESG_SG_SG_PmS8_NS6_8equal_toIjEEEE10hipError_tPvRmT2_T3_mT4_T5_T6_T7_T8_P12ihipStream_tbENKUlT_T0_E_clISt17integral_constantIbLb0EES11_EEDaSW_SX_EUlSW_E_NS1_11comp_targetILNS1_3genE4ELNS1_11target_archE910ELNS1_3gpuE8ELNS1_3repE0EEENS1_30default_config_static_selectorELNS0_4arch9wavefront6targetE1EEEvT1_
	.globl	_ZN7rocprim17ROCPRIM_400000_NS6detail17trampoline_kernelINS0_14default_configENS1_29reduce_by_key_config_selectorIjjN6thrust23THRUST_200600_302600_NS4plusIjEEEEZZNS1_33reduce_by_key_impl_wrapped_configILNS1_25lookback_scan_determinismE0ES3_S9_NS6_6detail15normal_iteratorINS6_10device_ptrIjEEEESG_SG_SG_PmS8_NS6_8equal_toIjEEEE10hipError_tPvRmT2_T3_mT4_T5_T6_T7_T8_P12ihipStream_tbENKUlT_T0_E_clISt17integral_constantIbLb0EES11_EEDaSW_SX_EUlSW_E_NS1_11comp_targetILNS1_3genE4ELNS1_11target_archE910ELNS1_3gpuE8ELNS1_3repE0EEENS1_30default_config_static_selectorELNS0_4arch9wavefront6targetE1EEEvT1_
	.p2align	8
	.type	_ZN7rocprim17ROCPRIM_400000_NS6detail17trampoline_kernelINS0_14default_configENS1_29reduce_by_key_config_selectorIjjN6thrust23THRUST_200600_302600_NS4plusIjEEEEZZNS1_33reduce_by_key_impl_wrapped_configILNS1_25lookback_scan_determinismE0ES3_S9_NS6_6detail15normal_iteratorINS6_10device_ptrIjEEEESG_SG_SG_PmS8_NS6_8equal_toIjEEEE10hipError_tPvRmT2_T3_mT4_T5_T6_T7_T8_P12ihipStream_tbENKUlT_T0_E_clISt17integral_constantIbLb0EES11_EEDaSW_SX_EUlSW_E_NS1_11comp_targetILNS1_3genE4ELNS1_11target_archE910ELNS1_3gpuE8ELNS1_3repE0EEENS1_30default_config_static_selectorELNS0_4arch9wavefront6targetE1EEEvT1_,@function
_ZN7rocprim17ROCPRIM_400000_NS6detail17trampoline_kernelINS0_14default_configENS1_29reduce_by_key_config_selectorIjjN6thrust23THRUST_200600_302600_NS4plusIjEEEEZZNS1_33reduce_by_key_impl_wrapped_configILNS1_25lookback_scan_determinismE0ES3_S9_NS6_6detail15normal_iteratorINS6_10device_ptrIjEEEESG_SG_SG_PmS8_NS6_8equal_toIjEEEE10hipError_tPvRmT2_T3_mT4_T5_T6_T7_T8_P12ihipStream_tbENKUlT_T0_E_clISt17integral_constantIbLb0EES11_EEDaSW_SX_EUlSW_E_NS1_11comp_targetILNS1_3genE4ELNS1_11target_archE910ELNS1_3gpuE8ELNS1_3repE0EEENS1_30default_config_static_selectorELNS0_4arch9wavefront6targetE1EEEvT1_: ; @_ZN7rocprim17ROCPRIM_400000_NS6detail17trampoline_kernelINS0_14default_configENS1_29reduce_by_key_config_selectorIjjN6thrust23THRUST_200600_302600_NS4plusIjEEEEZZNS1_33reduce_by_key_impl_wrapped_configILNS1_25lookback_scan_determinismE0ES3_S9_NS6_6detail15normal_iteratorINS6_10device_ptrIjEEEESG_SG_SG_PmS8_NS6_8equal_toIjEEEE10hipError_tPvRmT2_T3_mT4_T5_T6_T7_T8_P12ihipStream_tbENKUlT_T0_E_clISt17integral_constantIbLb0EES11_EEDaSW_SX_EUlSW_E_NS1_11comp_targetILNS1_3genE4ELNS1_11target_archE910ELNS1_3gpuE8ELNS1_3repE0EEENS1_30default_config_static_selectorELNS0_4arch9wavefront6targetE1EEEvT1_
; %bb.0:
	s_load_dwordx8 s[36:43], s[4:5], 0x0
	s_load_dwordx4 s[52:55], s[4:5], 0x20
	s_load_dwordx8 s[44:51], s[4:5], 0x38
	s_load_dwordx2 s[60:61], s[4:5], 0x68
	s_load_dwordx4 s[56:59], s[4:5], 0x58
	s_waitcnt lgkmcnt(0)
	s_lshl_b64 s[0:1], s[38:39], 2
	s_add_u32 s2, s36, s0
	s_addc_u32 s3, s37, s1
	s_add_u32 s4, s40, s0
	s_addc_u32 s5, s41, s1
	s_mul_i32 s0, s48, s47
	s_mul_hi_u32 s1, s48, s46
	s_add_i32 s0, s1, s0
	s_mul_i32 s1, s49, s46
	s_add_i32 s8, s0, s1
	s_mul_i32 s0, s6, 0xf00
	s_mov_b32 s1, 0
	s_lshl_b64 s[0:1], s[0:1], 2
	s_add_u32 s7, s2, s0
	s_addc_u32 s62, s3, s1
	s_mul_i32 s9, s48, s46
	s_add_u32 s48, s4, s0
	s_addc_u32 s49, s5, s1
	s_add_u32 s38, s9, s6
	s_addc_u32 s39, s8, 0
	s_add_u32 s2, s50, -1
	s_addc_u32 s3, s51, -1
	s_cmp_eq_u64 s[38:39], s[2:3]
	s_cselect_b64 s[34:35], -1, 0
	s_cmp_lg_u64 s[38:39], s[2:3]
	s_mov_b64 s[0:1], -1
	s_cselect_b64 s[40:41], -1, 0
	s_mul_i32 s33, s2, 0xfffff100
	s_and_b64 vcc, exec, s[34:35]
	s_cbranch_vccnz .LBB317_2
; %bb.1:
	v_lshlrev_b32_e32 v24, 2, v0
	v_mov_b32_e32 v1, s62
	v_add_co_u32_e32 v2, vcc, s7, v24
	v_addc_co_u32_e32 v3, vcc, 0, v1, vcc
	v_add_co_u32_e32 v4, vcc, 0x1000, v2
	v_addc_co_u32_e32 v5, vcc, 0, v3, vcc
	flat_load_dword v1, v[2:3]
	flat_load_dword v8, v[2:3] offset:1024
	flat_load_dword v9, v[2:3] offset:2048
	;; [unrolled: 1-line block ×3, first 2 shown]
	flat_load_dword v11, v[4:5]
	flat_load_dword v12, v[4:5] offset:1024
	flat_load_dword v13, v[4:5] offset:2048
	;; [unrolled: 1-line block ×3, first 2 shown]
	v_add_co_u32_e32 v4, vcc, 0x2000, v2
	v_addc_co_u32_e32 v5, vcc, 0, v3, vcc
	v_add_co_u32_e32 v2, vcc, 0x3000, v2
	v_addc_co_u32_e32 v3, vcc, 0, v3, vcc
	flat_load_dword v15, v[4:5]
	flat_load_dword v16, v[4:5] offset:1024
	flat_load_dword v17, v[4:5] offset:2048
	;; [unrolled: 1-line block ×3, first 2 shown]
	flat_load_dword v19, v[2:3]
	flat_load_dword v20, v[2:3] offset:1024
	flat_load_dword v21, v[2:3] offset:2048
	v_mov_b32_e32 v3, s49
	v_add_co_u32_e32 v2, vcc, s48, v24
	s_movk_i32 s0, 0x1000
	v_addc_co_u32_e32 v3, vcc, 0, v3, vcc
	v_add_co_u32_e32 v4, vcc, s0, v2
	s_movk_i32 s1, 0x2000
	v_addc_co_u32_e32 v5, vcc, 0, v3, vcc
	;; [unrolled: 3-line block ×3, first 2 shown]
	v_mad_u32_u24 v36, v0, 56, v24
	v_add_co_u32_e32 v22, vcc, s2, v2
	v_addc_co_u32_e32 v23, vcc, 0, v3, vcc
	s_waitcnt vmcnt(0) lgkmcnt(0)
	ds_write2st64_b32 v24, v1, v8 offset1:4
	ds_write2st64_b32 v24, v9, v10 offset0:8 offset1:12
	ds_write2st64_b32 v24, v11, v12 offset0:16 offset1:20
	;; [unrolled: 1-line block ×6, first 2 shown]
	ds_write_b32 v24, v21 offset:14336
	s_waitcnt lgkmcnt(0)
	s_barrier
	ds_read2_b32 v[20:21], v36 offset1:1
	ds_read2_b32 v[18:19], v36 offset0:2 offset1:3
	ds_read2_b32 v[16:17], v36 offset0:4 offset1:5
	;; [unrolled: 1-line block ×6, first 2 shown]
	ds_read_b32 v1, v36 offset:56
	s_waitcnt lgkmcnt(0)
	s_barrier
	flat_load_dword v25, v[2:3]
	flat_load_dword v26, v[2:3] offset:1024
	flat_load_dword v27, v[2:3] offset:2048
	flat_load_dword v28, v[2:3] offset:3072
	flat_load_dword v29, v[4:5]
	flat_load_dword v32, v[4:5] offset:1024
	flat_load_dword v33, v[4:5] offset:2048
	flat_load_dword v34, v[4:5] offset:3072
	;; [unrolled: 4-line block ×3, first 2 shown]
	flat_load_dword v40, v[22:23]
	flat_load_dword v41, v[22:23] offset:1024
	flat_load_dword v42, v[22:23] offset:2048
	v_mov_b32_e32 v30, v20
	v_mov_b32_e32 v31, v18
	;; [unrolled: 1-line block ×7, first 2 shown]
	s_waitcnt vmcnt(0) lgkmcnt(0)
	ds_write2st64_b32 v24, v25, v26 offset1:4
	ds_write2st64_b32 v24, v27, v28 offset0:8 offset1:12
	ds_write2st64_b32 v24, v29, v32 offset0:16 offset1:20
	;; [unrolled: 1-line block ×6, first 2 shown]
	ds_write_b32 v24, v42 offset:14336
	s_waitcnt lgkmcnt(0)
	s_barrier
	s_add_i32 s33, s33, s56
	s_cbranch_execz .LBB317_3
	s_branch .LBB317_50
.LBB317_2:
                                        ; implicit-def: $vgpr1
                                        ; implicit-def: $vgpr8
                                        ; implicit-def: $vgpr10
                                        ; implicit-def: $vgpr12
                                        ; implicit-def: $vgpr14
                                        ; implicit-def: $vgpr16
                                        ; implicit-def: $vgpr18
                                        ; implicit-def: $vgpr20
                                        ; implicit-def: $vgpr36
                                        ; implicit-def: $vgpr2_vgpr3
                                        ; implicit-def: $vgpr4_vgpr5
                                        ; implicit-def: $vgpr30_vgpr31
                                        ; implicit-def: $vgpr6_vgpr7
	s_andn2_b64 vcc, exec, s[0:1]
	s_add_i32 s33, s33, s56
	s_cbranch_vccnz .LBB317_50
.LBB317_3:
	v_cmp_gt_u32_e32 vcc, s33, v0
                                        ; implicit-def: $vgpr1
	s_and_saveexec_b64 s[2:3], vcc
	s_cbranch_execz .LBB317_5
; %bb.4:
	v_lshlrev_b32_e32 v1, 2, v0
	v_mov_b32_e32 v3, s62
	v_add_co_u32_e64 v2, s[0:1], s7, v1
	v_addc_co_u32_e64 v3, s[0:1], 0, v3, s[0:1]
	flat_load_dword v1, v[2:3]
.LBB317_5:
	s_or_b64 exec, exec, s[2:3]
	v_or_b32_e32 v2, 0x100, v0
	v_cmp_gt_u32_e64 s[0:1], s33, v2
                                        ; implicit-def: $vgpr8
	s_and_saveexec_b64 s[4:5], s[0:1]
	s_cbranch_execz .LBB317_7
; %bb.6:
	v_lshlrev_b32_e32 v2, 2, v0
	v_mov_b32_e32 v3, s62
	v_add_co_u32_e64 v2, s[2:3], s7, v2
	v_addc_co_u32_e64 v3, s[2:3], 0, v3, s[2:3]
	flat_load_dword v8, v[2:3] offset:1024
.LBB317_7:
	s_or_b64 exec, exec, s[4:5]
	v_or_b32_e32 v2, 0x200, v0
	v_cmp_gt_u32_e64 s[2:3], s33, v2
                                        ; implicit-def: $vgpr9
	s_and_saveexec_b64 s[8:9], s[2:3]
	s_cbranch_execz .LBB317_9
; %bb.8:
	v_lshlrev_b32_e32 v2, 2, v0
	v_mov_b32_e32 v3, s62
	v_add_co_u32_e64 v2, s[4:5], s7, v2
	v_addc_co_u32_e64 v3, s[4:5], 0, v3, s[4:5]
	flat_load_dword v9, v[2:3] offset:2048
.LBB317_9:
	s_or_b64 exec, exec, s[8:9]
	v_or_b32_e32 v2, 0x300, v0
	v_cmp_gt_u32_e64 s[4:5], s33, v2
                                        ; implicit-def: $vgpr10
	s_and_saveexec_b64 s[10:11], s[4:5]
	s_cbranch_execz .LBB317_11
; %bb.10:
	v_lshlrev_b32_e32 v2, 2, v0
	v_mov_b32_e32 v3, s62
	v_add_co_u32_e64 v2, s[8:9], s7, v2
	v_addc_co_u32_e64 v3, s[8:9], 0, v3, s[8:9]
	flat_load_dword v10, v[2:3] offset:3072
.LBB317_11:
	s_or_b64 exec, exec, s[10:11]
	v_or_b32_e32 v2, 0x400, v0
	v_cmp_gt_u32_e64 s[28:29], s33, v2
	v_lshlrev_b32_e32 v2, 2, v2
                                        ; implicit-def: $vgpr11
	s_and_saveexec_b64 s[10:11], s[28:29]
	s_cbranch_execz .LBB317_13
; %bb.12:
	v_mov_b32_e32 v3, s62
	v_add_co_u32_e64 v4, s[8:9], s7, v2
	v_addc_co_u32_e64 v5, s[8:9], 0, v3, s[8:9]
	flat_load_dword v11, v[4:5]
.LBB317_13:
	s_or_b64 exec, exec, s[10:11]
	v_or_b32_e32 v3, 0x500, v0
	v_cmp_gt_u32_e64 s[8:9], s33, v3
	v_lshlrev_b32_e32 v3, 2, v3
                                        ; implicit-def: $vgpr12
	s_and_saveexec_b64 s[12:13], s[8:9]
	s_cbranch_execz .LBB317_15
; %bb.14:
	v_mov_b32_e32 v5, s62
	v_add_co_u32_e64 v4, s[10:11], s7, v3
	v_addc_co_u32_e64 v5, s[10:11], 0, v5, s[10:11]
	flat_load_dword v12, v[4:5]
.LBB317_15:
	s_or_b64 exec, exec, s[12:13]
	v_or_b32_e32 v4, 0x600, v0
	v_cmp_gt_u32_e64 s[10:11], s33, v4
	v_lshlrev_b32_e32 v4, 2, v4
                                        ; implicit-def: $vgpr13
	s_and_saveexec_b64 s[14:15], s[10:11]
	s_cbranch_execz .LBB317_17
; %bb.16:
	v_mov_b32_e32 v5, s62
	v_add_co_u32_e64 v6, s[12:13], s7, v4
	v_addc_co_u32_e64 v7, s[12:13], 0, v5, s[12:13]
	flat_load_dword v13, v[6:7]
.LBB317_17:
	s_or_b64 exec, exec, s[14:15]
	v_or_b32_e32 v5, 0x700, v0
	v_cmp_gt_u32_e64 s[12:13], s33, v5
	v_lshlrev_b32_e32 v5, 2, v5
                                        ; implicit-def: $vgpr14
	s_and_saveexec_b64 s[16:17], s[12:13]
	s_cbranch_execz .LBB317_19
; %bb.18:
	v_mov_b32_e32 v7, s62
	v_add_co_u32_e64 v6, s[14:15], s7, v5
	v_addc_co_u32_e64 v7, s[14:15], 0, v7, s[14:15]
	flat_load_dword v14, v[6:7]
.LBB317_19:
	s_or_b64 exec, exec, s[16:17]
	v_or_b32_e32 v6, 0x800, v0
	v_cmp_gt_u32_e64 s[14:15], s33, v6
	v_lshlrev_b32_e32 v6, 2, v6
                                        ; implicit-def: $vgpr15
	s_and_saveexec_b64 s[18:19], s[14:15]
	s_cbranch_execz .LBB317_21
; %bb.20:
	v_mov_b32_e32 v7, s62
	v_add_co_u32_e64 v16, s[16:17], s7, v6
	v_addc_co_u32_e64 v17, s[16:17], 0, v7, s[16:17]
	flat_load_dword v15, v[16:17]
.LBB317_21:
	s_or_b64 exec, exec, s[18:19]
	v_or_b32_e32 v7, 0x900, v0
	v_cmp_gt_u32_e64 s[16:17], s33, v7
	v_lshlrev_b32_e32 v7, 2, v7
                                        ; implicit-def: $vgpr16
	s_and_saveexec_b64 s[20:21], s[16:17]
	s_cbranch_execz .LBB317_23
; %bb.22:
	v_mov_b32_e32 v17, s62
	v_add_co_u32_e64 v16, s[18:19], s7, v7
	v_addc_co_u32_e64 v17, s[18:19], 0, v17, s[18:19]
	flat_load_dword v16, v[16:17]
.LBB317_23:
	s_or_b64 exec, exec, s[20:21]
	v_or_b32_e32 v17, 0xa00, v0
	v_cmp_gt_u32_e64 s[18:19], s33, v17
	v_lshlrev_b32_e32 v22, 2, v17
                                        ; implicit-def: $vgpr17
	s_and_saveexec_b64 s[22:23], s[18:19]
	s_cbranch_execz .LBB317_25
; %bb.24:
	v_mov_b32_e32 v17, s62
	v_add_co_u32_e64 v18, s[20:21], s7, v22
	v_addc_co_u32_e64 v19, s[20:21], 0, v17, s[20:21]
	flat_load_dword v17, v[18:19]
.LBB317_25:
	s_or_b64 exec, exec, s[22:23]
	v_or_b32_e32 v18, 0xb00, v0
	v_cmp_gt_u32_e64 s[20:21], s33, v18
	v_lshlrev_b32_e32 v24, 2, v18
                                        ; implicit-def: $vgpr18
	s_and_saveexec_b64 s[24:25], s[20:21]
	s_cbranch_execz .LBB317_27
; %bb.26:
	v_mov_b32_e32 v19, s62
	v_add_co_u32_e64 v18, s[22:23], s7, v24
	v_addc_co_u32_e64 v19, s[22:23], 0, v19, s[22:23]
	flat_load_dword v18, v[18:19]
.LBB317_27:
	s_or_b64 exec, exec, s[24:25]
	v_or_b32_e32 v19, 0xc00, v0
	v_cmp_gt_u32_e64 s[22:23], s33, v19
	v_lshlrev_b32_e32 v25, 2, v19
                                        ; implicit-def: $vgpr19
	s_and_saveexec_b64 s[26:27], s[22:23]
	s_cbranch_execz .LBB317_29
; %bb.28:
	v_mov_b32_e32 v19, s62
	v_add_co_u32_e64 v20, s[24:25], s7, v25
	v_addc_co_u32_e64 v21, s[24:25], 0, v19, s[24:25]
	flat_load_dword v19, v[20:21]
.LBB317_29:
	s_or_b64 exec, exec, s[26:27]
	v_or_b32_e32 v20, 0xd00, v0
	v_cmp_gt_u32_e64 s[24:25], s33, v20
	v_lshlrev_b32_e32 v26, 2, v20
                                        ; implicit-def: $vgpr20
	s_and_saveexec_b64 s[30:31], s[24:25]
	s_cbranch_execz .LBB317_31
; %bb.30:
	v_mov_b32_e32 v21, s62
	v_add_co_u32_e64 v20, s[26:27], s7, v26
	v_addc_co_u32_e64 v21, s[26:27], 0, v21, s[26:27]
	flat_load_dword v20, v[20:21]
.LBB317_31:
	s_or_b64 exec, exec, s[30:31]
	v_or_b32_e32 v21, 0xe00, v0
	v_cmp_gt_u32_e64 s[26:27], s33, v21
	v_lshlrev_b32_e32 v27, 2, v21
                                        ; implicit-def: $vgpr21
	s_and_saveexec_b64 s[36:37], s[26:27]
	s_cbranch_execz .LBB317_33
; %bb.32:
	v_mov_b32_e32 v21, s62
	v_add_co_u32_e64 v28, s[30:31], s7, v27
	v_addc_co_u32_e64 v29, s[30:31], 0, v21, s[30:31]
	flat_load_dword v21, v[28:29]
.LBB317_33:
	s_or_b64 exec, exec, s[36:37]
	v_lshlrev_b32_e32 v23, 2, v0
	v_mad_u32_u24 v36, v0, 56, v23
	s_waitcnt vmcnt(0) lgkmcnt(0)
	ds_write2st64_b32 v23, v1, v8 offset1:4
	ds_write2st64_b32 v23, v9, v10 offset0:8 offset1:12
	ds_write2st64_b32 v23, v11, v12 offset0:16 offset1:20
	;; [unrolled: 1-line block ×6, first 2 shown]
	ds_write_b32 v23, v21 offset:14336
	s_waitcnt lgkmcnt(0)
	s_barrier
	ds_read2_b32 v[20:21], v36 offset1:1
	ds_read2_b32 v[18:19], v36 offset0:2 offset1:3
	ds_read2_b32 v[16:17], v36 offset0:4 offset1:5
	;; [unrolled: 1-line block ×6, first 2 shown]
	ds_read_b32 v1, v36 offset:56
	s_waitcnt lgkmcnt(0)
	s_barrier
	s_waitcnt lgkmcnt(0)
                                        ; implicit-def: $vgpr28
	s_and_saveexec_b64 s[30:31], vcc
	s_cbranch_execnz .LBB317_57
; %bb.34:
	s_or_b64 exec, exec, s[30:31]
                                        ; implicit-def: $vgpr29
	s_and_saveexec_b64 s[30:31], s[0:1]
	s_cbranch_execnz .LBB317_58
.LBB317_35:
	s_or_b64 exec, exec, s[30:31]
                                        ; implicit-def: $vgpr30
	s_and_saveexec_b64 s[0:1], s[2:3]
	s_cbranch_execnz .LBB317_59
.LBB317_36:
	s_or_b64 exec, exec, s[0:1]
                                        ; implicit-def: $vgpr31
	s_and_saveexec_b64 s[0:1], s[4:5]
	s_cbranch_execnz .LBB317_60
.LBB317_37:
	s_or_b64 exec, exec, s[0:1]
                                        ; implicit-def: $vgpr32
	s_and_saveexec_b64 s[0:1], s[28:29]
	s_cbranch_execnz .LBB317_61
.LBB317_38:
	s_or_b64 exec, exec, s[0:1]
                                        ; implicit-def: $vgpr2
	s_and_saveexec_b64 s[0:1], s[8:9]
	s_cbranch_execnz .LBB317_62
.LBB317_39:
	s_or_b64 exec, exec, s[0:1]
                                        ; implicit-def: $vgpr3
	s_and_saveexec_b64 s[0:1], s[10:11]
	s_cbranch_execnz .LBB317_63
.LBB317_40:
	s_or_b64 exec, exec, s[0:1]
                                        ; implicit-def: $vgpr4
	s_and_saveexec_b64 s[0:1], s[12:13]
	s_cbranch_execnz .LBB317_64
.LBB317_41:
	s_or_b64 exec, exec, s[0:1]
                                        ; implicit-def: $vgpr5
	s_and_saveexec_b64 s[0:1], s[14:15]
	s_cbranch_execnz .LBB317_65
.LBB317_42:
	s_or_b64 exec, exec, s[0:1]
                                        ; implicit-def: $vgpr6
	s_and_saveexec_b64 s[0:1], s[16:17]
	s_cbranch_execnz .LBB317_66
.LBB317_43:
	s_or_b64 exec, exec, s[0:1]
                                        ; implicit-def: $vgpr7
	s_and_saveexec_b64 s[0:1], s[18:19]
	s_cbranch_execnz .LBB317_67
.LBB317_44:
	s_or_b64 exec, exec, s[0:1]
                                        ; implicit-def: $vgpr22
	s_and_saveexec_b64 s[0:1], s[20:21]
	s_cbranch_execnz .LBB317_68
.LBB317_45:
	s_or_b64 exec, exec, s[0:1]
                                        ; implicit-def: $vgpr24
	s_and_saveexec_b64 s[0:1], s[22:23]
	s_cbranch_execnz .LBB317_69
.LBB317_46:
	s_or_b64 exec, exec, s[0:1]
                                        ; implicit-def: $vgpr25
	s_and_saveexec_b64 s[0:1], s[24:25]
	s_cbranch_execnz .LBB317_70
.LBB317_47:
	s_or_b64 exec, exec, s[0:1]
                                        ; implicit-def: $vgpr26
	s_and_saveexec_b64 s[0:1], s[26:27]
	s_cbranch_execz .LBB317_49
.LBB317_48:
	v_mov_b32_e32 v33, s49
	v_add_co_u32_e32 v26, vcc, s48, v27
	v_addc_co_u32_e32 v27, vcc, 0, v33, vcc
	flat_load_dword v26, v[26:27]
.LBB317_49:
	s_or_b64 exec, exec, s[0:1]
	s_waitcnt vmcnt(0) lgkmcnt(0)
	ds_write2st64_b32 v23, v28, v29 offset1:4
	ds_write2st64_b32 v23, v30, v31 offset0:8 offset1:12
	ds_write2st64_b32 v23, v32, v2 offset0:16 offset1:20
	;; [unrolled: 1-line block ×6, first 2 shown]
	ds_write_b32 v23, v26 offset:14336
	v_mov_b32_e32 v30, v20
	v_mov_b32_e32 v31, v18
	;; [unrolled: 1-line block ×7, first 2 shown]
	s_waitcnt lgkmcnt(0)
	s_barrier
.LBB317_50:
	ds_read2_b32 v[40:41], v36 offset1:1
	ds_read2_b32 v[34:35], v36 offset0:2 offset1:3
	ds_read2_b32 v[32:33], v36 offset0:4 offset1:5
	ds_read2_b32 v[28:29], v36 offset0:6 offset1:7
	ds_read2_b32 v[26:27], v36 offset0:8 offset1:9
	ds_read2_b32 v[24:25], v36 offset0:10 offset1:11
	ds_read2_b32 v[22:23], v36 offset0:12 offset1:13
	ds_read_b32 v82, v36 offset:56
	s_cmp_eq_u64 s[38:39], 0
	s_cselect_b64 s[36:37], -1, 0
	s_cmp_lg_u64 s[38:39], 0
	s_mov_b64 s[48:49], 0
	s_cselect_b64 s[2:3], -1, 0
	s_and_b64 vcc, exec, s[40:41]
	s_waitcnt lgkmcnt(0)
	s_barrier
	s_cbranch_vccz .LBB317_56
; %bb.51:
	s_and_b64 vcc, exec, s[2:3]
	s_cbranch_vccz .LBB317_71
; %bb.52:
	v_mov_b32_e32 v7, s62
	v_add_co_u32_e64 v36, vcc, -4, s7
	v_addc_co_u32_e32 v37, vcc, -1, v7, vcc
	flat_load_dword v7, v[36:37]
	v_lshlrev_b32_e32 v36, 2, v0
	v_cmp_ne_u32_e32 vcc, 0, v0
	ds_write_b32 v36, v1
	s_waitcnt lgkmcnt(0)
	s_barrier
	s_and_saveexec_b64 s[0:1], vcc
	s_cbranch_execz .LBB317_54
; %bb.53:
	s_waitcnt vmcnt(0)
	v_add_u32_e32 v7, -4, v36
	ds_read_b32 v7, v7
.LBB317_54:
	s_or_b64 exec, exec, s[0:1]
	v_cmp_ne_u32_e32 vcc, v30, v21
	v_cndmask_b32_e64 v79, 0, 1, vcc
	v_cmp_ne_u32_e32 vcc, v31, v21
	v_cndmask_b32_e64 v78, 0, 1, vcc
	;; [unrolled: 2-line block ×14, first 2 shown]
	s_waitcnt vmcnt(0) lgkmcnt(0)
	v_cmp_ne_u32_e64 s[0:1], v7, v20
	s_mov_b64 s[48:49], -1
.LBB317_55:
                                        ; implicit-def: $sgpr8
	s_branch .LBB317_83
.LBB317_56:
                                        ; implicit-def: $sgpr0_sgpr1
                                        ; implicit-def: $vgpr66
                                        ; implicit-def: $vgpr67
                                        ; implicit-def: $vgpr68
                                        ; implicit-def: $vgpr69
                                        ; implicit-def: $vgpr70
                                        ; implicit-def: $vgpr71
                                        ; implicit-def: $vgpr72
                                        ; implicit-def: $vgpr73
                                        ; implicit-def: $vgpr74
                                        ; implicit-def: $vgpr75
                                        ; implicit-def: $vgpr76
                                        ; implicit-def: $vgpr77
                                        ; implicit-def: $vgpr78
                                        ; implicit-def: $vgpr79
                                        ; implicit-def: $sgpr8
	s_cbranch_execnz .LBB317_75
	s_branch .LBB317_83
.LBB317_57:
	v_mov_b32_e32 v29, s49
	v_add_co_u32_e32 v28, vcc, s48, v23
	v_addc_co_u32_e32 v29, vcc, 0, v29, vcc
	flat_load_dword v28, v[28:29]
	s_or_b64 exec, exec, s[30:31]
                                        ; implicit-def: $vgpr29
	s_and_saveexec_b64 s[30:31], s[0:1]
	s_cbranch_execz .LBB317_35
.LBB317_58:
	v_mov_b32_e32 v29, s49
	v_add_co_u32_e32 v30, vcc, s48, v23
	v_addc_co_u32_e32 v31, vcc, 0, v29, vcc
	flat_load_dword v29, v[30:31] offset:1024
	s_or_b64 exec, exec, s[30:31]
                                        ; implicit-def: $vgpr30
	s_and_saveexec_b64 s[0:1], s[2:3]
	s_cbranch_execz .LBB317_36
.LBB317_59:
	v_mov_b32_e32 v31, s49
	v_add_co_u32_e32 v30, vcc, s48, v23
	v_addc_co_u32_e32 v31, vcc, 0, v31, vcc
	flat_load_dword v30, v[30:31] offset:2048
	s_or_b64 exec, exec, s[0:1]
                                        ; implicit-def: $vgpr31
	s_and_saveexec_b64 s[0:1], s[4:5]
	s_cbranch_execz .LBB317_37
.LBB317_60:
	v_mov_b32_e32 v31, s49
	v_add_co_u32_e32 v32, vcc, s48, v23
	v_addc_co_u32_e32 v33, vcc, 0, v31, vcc
	flat_load_dword v31, v[32:33] offset:3072
	s_or_b64 exec, exec, s[0:1]
                                        ; implicit-def: $vgpr32
	s_and_saveexec_b64 s[0:1], s[28:29]
	s_cbranch_execz .LBB317_38
.LBB317_61:
	v_mov_b32_e32 v33, s49
	v_add_co_u32_e32 v32, vcc, s48, v2
	v_addc_co_u32_e32 v33, vcc, 0, v33, vcc
	flat_load_dword v32, v[32:33]
	s_or_b64 exec, exec, s[0:1]
                                        ; implicit-def: $vgpr2
	s_and_saveexec_b64 s[0:1], s[8:9]
	s_cbranch_execz .LBB317_39
.LBB317_62:
	v_mov_b32_e32 v33, s49
	v_add_co_u32_e32 v2, vcc, s48, v3
	v_addc_co_u32_e32 v3, vcc, 0, v33, vcc
	flat_load_dword v2, v[2:3]
	s_or_b64 exec, exec, s[0:1]
                                        ; implicit-def: $vgpr3
	s_and_saveexec_b64 s[0:1], s[10:11]
	s_cbranch_execz .LBB317_40
.LBB317_63:
	v_mov_b32_e32 v3, s49
	v_add_co_u32_e32 v34, vcc, s48, v4
	v_addc_co_u32_e32 v35, vcc, 0, v3, vcc
	flat_load_dword v3, v[34:35]
	s_or_b64 exec, exec, s[0:1]
                                        ; implicit-def: $vgpr4
	s_and_saveexec_b64 s[0:1], s[12:13]
	s_cbranch_execz .LBB317_41
.LBB317_64:
	v_mov_b32_e32 v33, s49
	v_add_co_u32_e32 v4, vcc, s48, v5
	v_addc_co_u32_e32 v5, vcc, 0, v33, vcc
	flat_load_dword v4, v[4:5]
	s_or_b64 exec, exec, s[0:1]
                                        ; implicit-def: $vgpr5
	s_and_saveexec_b64 s[0:1], s[14:15]
	s_cbranch_execz .LBB317_42
.LBB317_65:
	v_mov_b32_e32 v5, s49
	v_add_co_u32_e32 v34, vcc, s48, v6
	v_addc_co_u32_e32 v35, vcc, 0, v5, vcc
	flat_load_dword v5, v[34:35]
	s_or_b64 exec, exec, s[0:1]
                                        ; implicit-def: $vgpr6
	s_and_saveexec_b64 s[0:1], s[16:17]
	s_cbranch_execz .LBB317_43
.LBB317_66:
	v_mov_b32_e32 v33, s49
	v_add_co_u32_e32 v6, vcc, s48, v7
	v_addc_co_u32_e32 v7, vcc, 0, v33, vcc
	flat_load_dword v6, v[6:7]
	s_or_b64 exec, exec, s[0:1]
                                        ; implicit-def: $vgpr7
	s_and_saveexec_b64 s[0:1], s[18:19]
	s_cbranch_execz .LBB317_44
.LBB317_67:
	v_mov_b32_e32 v7, s49
	v_add_co_u32_e32 v34, vcc, s48, v22
	v_addc_co_u32_e32 v35, vcc, 0, v7, vcc
	flat_load_dword v7, v[34:35]
	s_or_b64 exec, exec, s[0:1]
                                        ; implicit-def: $vgpr22
	s_and_saveexec_b64 s[0:1], s[20:21]
	s_cbranch_execz .LBB317_45
.LBB317_68:
	v_mov_b32_e32 v22, s49
	v_add_co_u32_e32 v34, vcc, s48, v24
	v_addc_co_u32_e32 v35, vcc, 0, v22, vcc
	flat_load_dword v22, v[34:35]
	s_or_b64 exec, exec, s[0:1]
                                        ; implicit-def: $vgpr24
	s_and_saveexec_b64 s[0:1], s[22:23]
	s_cbranch_execz .LBB317_46
.LBB317_69:
	v_mov_b32_e32 v33, s49
	v_add_co_u32_e32 v24, vcc, s48, v25
	v_addc_co_u32_e32 v25, vcc, 0, v33, vcc
	flat_load_dword v24, v[24:25]
	s_or_b64 exec, exec, s[0:1]
                                        ; implicit-def: $vgpr25
	s_and_saveexec_b64 s[0:1], s[24:25]
	s_cbranch_execz .LBB317_47
.LBB317_70:
	v_mov_b32_e32 v25, s49
	v_add_co_u32_e32 v34, vcc, s48, v26
	v_addc_co_u32_e32 v35, vcc, 0, v25, vcc
	flat_load_dword v25, v[34:35]
	s_or_b64 exec, exec, s[0:1]
                                        ; implicit-def: $vgpr26
	s_and_saveexec_b64 s[0:1], s[26:27]
	s_cbranch_execnz .LBB317_48
	s_branch .LBB317_49
.LBB317_71:
                                        ; implicit-def: $sgpr0_sgpr1
                                        ; implicit-def: $vgpr66
                                        ; implicit-def: $vgpr67
                                        ; implicit-def: $vgpr68
                                        ; implicit-def: $vgpr69
                                        ; implicit-def: $vgpr70
                                        ; implicit-def: $vgpr71
                                        ; implicit-def: $vgpr72
                                        ; implicit-def: $vgpr73
                                        ; implicit-def: $vgpr74
                                        ; implicit-def: $vgpr75
                                        ; implicit-def: $vgpr76
                                        ; implicit-def: $vgpr77
                                        ; implicit-def: $vgpr78
                                        ; implicit-def: $vgpr79
	s_cbranch_execz .LBB317_55
; %bb.72:
	v_cmp_ne_u32_e32 vcc, v21, v30
	v_cndmask_b32_e64 v79, 0, 1, vcc
	v_cmp_ne_u32_e32 vcc, v21, v31
	v_cndmask_b32_e64 v78, 0, 1, vcc
	;; [unrolled: 2-line block ×13, first 2 shown]
	v_cmp_ne_u32_e32 vcc, v9, v1
	v_lshlrev_b32_e32 v7, 2, v0
	v_cndmask_b32_e64 v66, 0, 1, vcc
	v_cmp_ne_u32_e32 vcc, 0, v0
	ds_write_b32 v7, v1
	s_waitcnt lgkmcnt(0)
	s_barrier
	s_waitcnt lgkmcnt(0)
                                        ; implicit-def: $sgpr0_sgpr1
	s_and_saveexec_b64 s[4:5], vcc
	s_xor_b64 s[4:5], exec, s[4:5]
	s_cbranch_execz .LBB317_74
; %bb.73:
	v_add_u32_e32 v2, -4, v7
	ds_read_b32 v2, v2
	s_or_b64 s[48:49], s[48:49], exec
	s_waitcnt lgkmcnt(0)
	v_cmp_ne_u32_e32 vcc, v2, v20
	s_and_b64 s[0:1], vcc, exec
.LBB317_74:
	s_or_b64 exec, exec, s[4:5]
	s_mov_b32 s8, 1
	s_branch .LBB317_83
.LBB317_75:
	s_mul_hi_u32 s1, s38, 0xfffff100
	s_mul_i32 s0, s39, 0xfffff100
	s_sub_i32 s1, s1, s38
	s_add_i32 s1, s1, s0
	s_mul_i32 s0, s38, 0xfffff100
	s_add_u32 s38, s0, s56
	s_addc_u32 s39, s1, s57
	s_and_b64 vcc, exec, s[2:3]
	v_cmp_ne_u32_e64 s[28:29], v9, v1
	v_cmp_ne_u32_e64 s[26:27], v8, v9
	;; [unrolled: 1-line block ×14, first 2 shown]
	v_mad_u32_u24 v2, v0, 15, 14
	v_mad_u32_u24 v56, v0, 15, 13
	;; [unrolled: 1-line block ×14, first 2 shown]
	v_cmp_ne_u32_e64 s[8:9], 0, v0
	s_cbranch_vccz .LBB317_80
; %bb.76:
	v_mov_b32_e32 v3, s62
	v_add_co_u32_e64 v58, vcc, -4, s7
	v_addc_co_u32_e32 v59, vcc, -1, v3, vcc
	flat_load_dword v60, v[58:59]
	v_mov_b32_e32 v3, 0
	v_cmp_gt_u64_e32 vcc, s[38:39], v[2:3]
	v_mov_b32_e32 v57, v3
	s_and_b64 s[28:29], vcc, s[28:29]
	v_cmp_gt_u64_e32 vcc, s[38:39], v[56:57]
	v_mov_b32_e32 v55, v3
	s_and_b64 s[26:27], vcc, s[26:27]
	;; [unrolled: 3-line block ×13, first 2 shown]
	v_cmp_gt_u64_e32 vcc, s[38:39], v[4:5]
	v_lshlrev_b32_e32 v59, 2, v0
	v_mul_u32_u24_e32 v58, 15, v0
	s_and_b64 s[0:1], vcc, s[0:1]
	ds_write_b32 v59, v1
	s_waitcnt lgkmcnt(0)
	s_barrier
	s_and_saveexec_b64 s[40:41], s[8:9]
	s_cbranch_execz .LBB317_78
; %bb.77:
	v_add_u32_e32 v5, -4, v59
	s_waitcnt vmcnt(0)
	ds_read_b32 v60, v5
.LBB317_78:
	s_or_b64 exec, exec, s[40:41]
	v_mov_b32_e32 v59, v3
	v_cndmask_b32_e64 v79, 0, 1, s[0:1]
	v_cmp_gt_u64_e32 vcc, s[38:39], v[58:59]
	s_waitcnt vmcnt(0) lgkmcnt(0)
	v_cmp_ne_u32_e64 s[0:1], v60, v20
	v_cndmask_b32_e64 v66, 0, 1, s[28:29]
	v_cndmask_b32_e64 v67, 0, 1, s[26:27]
	;; [unrolled: 1-line block ×13, first 2 shown]
	s_and_b64 s[0:1], vcc, s[0:1]
	s_mov_b64 s[48:49], -1
.LBB317_79:
                                        ; implicit-def: $sgpr8
	v_mov_b32_e32 v81, s8
	s_and_saveexec_b64 s[2:3], s[48:49]
	s_cbranch_execnz .LBB317_84
	s_branch .LBB317_85
.LBB317_80:
                                        ; implicit-def: $sgpr0_sgpr1
                                        ; implicit-def: $vgpr66
                                        ; implicit-def: $vgpr67
                                        ; implicit-def: $vgpr68
                                        ; implicit-def: $vgpr69
                                        ; implicit-def: $vgpr70
                                        ; implicit-def: $vgpr71
                                        ; implicit-def: $vgpr72
                                        ; implicit-def: $vgpr73
                                        ; implicit-def: $vgpr74
                                        ; implicit-def: $vgpr75
                                        ; implicit-def: $vgpr76
                                        ; implicit-def: $vgpr77
                                        ; implicit-def: $vgpr78
                                        ; implicit-def: $vgpr79
	s_cbranch_execz .LBB317_79
; %bb.81:
	v_mov_b32_e32 v3, 0
	v_cmp_gt_u64_e32 vcc, s[38:39], v[2:3]
	v_cmp_ne_u32_e64 s[0:1], v9, v1
	s_and_b64 s[0:1], vcc, s[0:1]
	v_mov_b32_e32 v57, v3
	v_cndmask_b32_e64 v66, 0, 1, s[0:1]
	v_cmp_gt_u64_e32 vcc, s[38:39], v[56:57]
	v_cmp_ne_u32_e64 s[0:1], v8, v9
	s_and_b64 s[0:1], vcc, s[0:1]
	v_mov_b32_e32 v55, v3
	v_cndmask_b32_e64 v67, 0, 1, s[0:1]
	;; [unrolled: 5-line block ×13, first 2 shown]
	v_cmp_gt_u64_e32 vcc, s[38:39], v[4:5]
	v_cmp_ne_u32_e64 s[0:1], v20, v21
	s_and_b64 s[0:1], vcc, s[0:1]
	v_lshlrev_b32_e32 v58, 2, v0
	s_mov_b32 s8, 1
	v_cndmask_b32_e64 v79, 0, 1, s[0:1]
	v_cmp_ne_u32_e32 vcc, 0, v0
	ds_write_b32 v58, v1
	s_waitcnt lgkmcnt(0)
	s_barrier
	s_waitcnt lgkmcnt(0)
                                        ; implicit-def: $sgpr0_sgpr1
	s_and_saveexec_b64 s[2:3], vcc
	s_cbranch_execz .LBB317_188
; %bb.82:
	v_add_u32_e32 v2, -4, v58
	ds_read_b32 v4, v2
	v_mul_u32_u24_e32 v2, 15, v0
	v_cmp_gt_u64_e32 vcc, s[38:39], v[2:3]
	s_or_b64 s[48:49], s[48:49], exec
	s_waitcnt lgkmcnt(0)
	v_cmp_ne_u32_e64 s[0:1], v4, v20
	s_and_b64 s[0:1], vcc, s[0:1]
	s_and_b64 s[0:1], s[0:1], exec
	s_or_b64 exec, exec, s[2:3]
.LBB317_83:
	v_mov_b32_e32 v81, s8
	s_and_saveexec_b64 s[2:3], s[48:49]
.LBB317_84:
	v_cndmask_b32_e64 v81, 0, 1, s[0:1]
.LBB317_85:
	s_or_b64 exec, exec, s[2:3]
	s_cmp_eq_u64 s[46:47], 0
	v_add3_u32 v2, v79, v81, v78
	s_cselect_b64 s[38:39], -1, 0
	s_cmp_lg_u32 s6, 0
	v_cmp_eq_u32_e64 s[24:25], 0, v79
	v_cmp_eq_u32_e64 s[22:23], 0, v78
	;; [unrolled: 1-line block ×3, first 2 shown]
	v_add3_u32 v86, v2, v77, v76
	v_cmp_eq_u32_e64 s[18:19], 0, v76
	v_cmp_eq_u32_e64 s[16:17], 0, v75
	;; [unrolled: 1-line block ×10, first 2 shown]
	v_cmp_eq_u32_e32 vcc, 0, v66
	v_mbcnt_lo_u32_b32 v85, -1, 0
	v_lshrrev_b32_e32 v83, 6, v0
	v_or_b32_e32 v84, 63, v0
	s_cbranch_scc0 .LBB317_112
; %bb.86:
	v_cndmask_b32_e64 v2, 0, v40, s[24:25]
	v_add_u32_e32 v2, v2, v41
	v_cndmask_b32_e64 v2, 0, v2, s[22:23]
	v_add_u32_e32 v2, v2, v34
	;; [unrolled: 2-line block ×11, first 2 shown]
	v_cndmask_b32_e64 v2, 0, v2, s[2:3]
	v_add3_u32 v3, v86, v75, v74
	v_add_u32_e32 v2, v2, v22
	v_add3_u32 v3, v3, v73, v72
	v_cndmask_b32_e64 v2, 0, v2, s[0:1]
	v_add3_u32 v3, v3, v71, v70
	v_add_u32_e32 v2, v2, v23
	v_add3_u32 v3, v3, v69, v68
	v_cndmask_b32_e32 v2, 0, v2, vcc
	v_add3_u32 v3, v3, v67, v66
	v_add_u32_e32 v2, v2, v82
	v_mbcnt_hi_u32_b32 v37, -1, v85
	v_and_b32_e32 v4, 15, v37
	v_mov_b32_dpp v6, v2 row_shr:1 row_mask:0xf bank_mask:0xf
	v_cmp_eq_u32_e32 vcc, 0, v3
	v_mov_b32_dpp v5, v3 row_shr:1 row_mask:0xf bank_mask:0xf
	v_cndmask_b32_e32 v6, 0, v6, vcc
	v_cmp_eq_u32_e32 vcc, 0, v4
	v_cndmask_b32_e64 v5, v5, 0, vcc
	v_add_u32_e32 v3, v5, v3
	v_cndmask_b32_e64 v5, v6, 0, vcc
	v_add_u32_e32 v2, v5, v2
	v_cmp_eq_u32_e32 vcc, 0, v3
	v_mov_b32_dpp v5, v3 row_shr:2 row_mask:0xf bank_mask:0xf
	v_cmp_lt_u32_e64 s[26:27], 1, v4
	v_mov_b32_dpp v6, v2 row_shr:2 row_mask:0xf bank_mask:0xf
	v_cndmask_b32_e64 v5, 0, v5, s[26:27]
	s_and_b64 vcc, s[26:27], vcc
	v_cndmask_b32_e32 v6, 0, v6, vcc
	v_add_u32_e32 v3, v3, v5
	v_add_u32_e32 v2, v6, v2
	v_cmp_eq_u32_e32 vcc, 0, v3
	v_mov_b32_dpp v5, v3 row_shr:4 row_mask:0xf bank_mask:0xf
	v_cmp_lt_u32_e64 s[26:27], 3, v4
	v_mov_b32_dpp v6, v2 row_shr:4 row_mask:0xf bank_mask:0xf
	v_cndmask_b32_e64 v5, 0, v5, s[26:27]
	s_and_b64 vcc, s[26:27], vcc
	v_cndmask_b32_e32 v6, 0, v6, vcc
	v_add_u32_e32 v3, v5, v3
	v_add_u32_e32 v2, v2, v6
	v_cmp_eq_u32_e32 vcc, 0, v3
	v_cmp_lt_u32_e64 s[26:27], 7, v4
	v_mov_b32_dpp v5, v3 row_shr:8 row_mask:0xf bank_mask:0xf
	v_mov_b32_dpp v6, v2 row_shr:8 row_mask:0xf bank_mask:0xf
	s_and_b64 vcc, s[26:27], vcc
	v_cndmask_b32_e64 v4, 0, v5, s[26:27]
	v_cndmask_b32_e32 v5, 0, v6, vcc
	v_add_u32_e32 v2, v5, v2
	v_add_u32_e32 v3, v4, v3
	v_bfe_i32 v6, v37, 4, 1
	v_mov_b32_dpp v5, v2 row_bcast:15 row_mask:0xf bank_mask:0xf
	v_mov_b32_dpp v4, v3 row_bcast:15 row_mask:0xf bank_mask:0xf
	v_cmp_eq_u32_e32 vcc, 0, v3
	v_cndmask_b32_e32 v5, 0, v5, vcc
	v_and_b32_e32 v4, v6, v4
	v_add_u32_e32 v3, v4, v3
	v_and_b32_e32 v4, v6, v5
	v_add_u32_e32 v4, v4, v2
	v_mov_b32_dpp v2, v3 row_bcast:31 row_mask:0xf bank_mask:0xf
	v_cmp_eq_u32_e32 vcc, 0, v3
	v_cmp_lt_u32_e64 s[26:27], 31, v37
	v_mov_b32_dpp v5, v4 row_bcast:31 row_mask:0xf bank_mask:0xf
	v_cndmask_b32_e64 v2, 0, v2, s[26:27]
	s_and_b64 vcc, s[26:27], vcc
	v_add_u32_e32 v2, v2, v3
	v_cndmask_b32_e32 v3, 0, v5, vcc
	v_add_u32_e32 v3, v3, v4
	v_cmp_eq_u32_e32 vcc, v84, v0
	v_lshlrev_b32_e32 v4, 3, v83
	s_and_saveexec_b64 s[26:27], vcc
	s_cbranch_execz .LBB317_88
; %bb.87:
	ds_write_b64 v4, v[2:3] offset:2064
.LBB317_88:
	s_or_b64 exec, exec, s[26:27]
	v_cmp_gt_u32_e32 vcc, 4, v0
	s_waitcnt lgkmcnt(0)
	s_barrier
	s_and_saveexec_b64 s[30:31], vcc
	s_cbranch_execz .LBB317_90
; %bb.89:
	v_lshlrev_b32_e32 v5, 3, v0
	ds_read_b64 v[6:7], v5 offset:2064
	v_and_b32_e32 v30, 3, v37
	v_cmp_lt_u32_e64 s[26:27], 1, v30
	s_waitcnt lgkmcnt(0)
	v_mov_b32_dpp v36, v7 row_shr:1 row_mask:0xf bank_mask:0xf
	v_cmp_eq_u32_e32 vcc, 0, v6
	v_mov_b32_dpp v31, v6 row_shr:1 row_mask:0xf bank_mask:0xf
	v_cndmask_b32_e32 v36, 0, v36, vcc
	v_cmp_eq_u32_e32 vcc, 0, v30
	v_cndmask_b32_e64 v31, v31, 0, vcc
	v_add_u32_e32 v6, v31, v6
	v_cndmask_b32_e64 v31, v36, 0, vcc
	v_add_u32_e32 v7, v31, v7
	v_cmp_eq_u32_e32 vcc, 0, v6
	v_mov_b32_dpp v31, v6 row_shr:2 row_mask:0xf bank_mask:0xf
	v_mov_b32_dpp v36, v7 row_shr:2 row_mask:0xf bank_mask:0xf
	v_cndmask_b32_e64 v30, 0, v31, s[26:27]
	s_and_b64 vcc, s[26:27], vcc
	v_add_u32_e32 v6, v30, v6
	v_cndmask_b32_e32 v30, 0, v36, vcc
	v_add_u32_e32 v7, v30, v7
	ds_write_b64 v5, v[6:7] offset:2064
.LBB317_90:
	s_or_b64 exec, exec, s[30:31]
	v_cmp_gt_u32_e32 vcc, 64, v0
	v_cmp_lt_u32_e64 s[26:27], 63, v0
	v_mov_b32_e32 v30, 0
	v_mov_b32_e32 v31, 0
	s_waitcnt lgkmcnt(0)
	s_barrier
	s_and_saveexec_b64 s[30:31], s[26:27]
	s_cbranch_execz .LBB317_92
; %bb.91:
	ds_read_b64 v[30:31], v4 offset:2056
	v_cmp_eq_u32_e64 s[26:27], 0, v2
	s_waitcnt lgkmcnt(0)
	v_add_u32_e32 v4, v30, v2
	v_cndmask_b32_e64 v2, 0, v31, s[26:27]
	v_add_u32_e32 v3, v2, v3
	v_mov_b32_e32 v2, v4
.LBB317_92:
	s_or_b64 exec, exec, s[30:31]
	v_add_u32_e32 v4, -1, v37
	v_and_b32_e32 v5, 64, v37
	v_cmp_lt_i32_e64 s[26:27], v4, v5
	v_cndmask_b32_e64 v4, v4, v37, s[26:27]
	v_lshlrev_b32_e32 v4, 2, v4
	ds_bpermute_b32 v44, v4, v2
	ds_bpermute_b32 v45, v4, v3
	v_cmp_eq_u32_e64 s[26:27], 0, v37
	s_and_saveexec_b64 s[40:41], vcc
	s_cbranch_execz .LBB317_111
; %bb.93:
	v_mov_b32_e32 v7, 0
	ds_read_b64 v[2:3], v7 offset:2088
	s_waitcnt lgkmcnt(0)
	v_readfirstlane_b32 s7, v2
	v_readfirstlane_b32 s48, v3
	s_and_saveexec_b64 s[30:31], s[26:27]
	s_cbranch_execz .LBB317_95
; %bb.94:
	s_add_i32 s46, s6, 64
	s_mov_b32 s47, 0
	s_lshl_b64 s[50:51], s[46:47], 4
	s_add_u32 s50, s44, s50
	s_addc_u32 s51, s45, s51
	s_and_b32 s57, s48, 0xff000000
	s_mov_b32 s56, s47
	s_and_b32 s63, s48, 0xff0000
	s_mov_b32 s62, s47
	s_or_b64 s[56:57], s[62:63], s[56:57]
	s_and_b32 s63, s48, 0xff00
	s_or_b64 s[56:57], s[56:57], s[62:63]
	s_and_b32 s63, s48, 0xff
	s_or_b64 s[46:47], s[56:57], s[62:63]
	v_mov_b32_e32 v4, s7
	v_mov_b32_e32 v5, s47
	;; [unrolled: 1-line block ×3, first 2 shown]
	v_pk_mov_b32 v[2:3], s[50:51], s[50:51] op_sel:[0,1]
	;;#ASMSTART
	global_store_dwordx4 v[2:3], v[4:7] off	
s_waitcnt vmcnt(0)
	;;#ASMEND
.LBB317_95:
	s_or_b64 exec, exec, s[30:31]
	v_xad_u32 v36, v37, -1, s6
	v_add_u32_e32 v6, 64, v36
	v_lshlrev_b64 v[2:3], 4, v[6:7]
	v_mov_b32_e32 v4, s45
	v_add_co_u32_e32 v38, vcc, s44, v2
	v_addc_co_u32_e32 v39, vcc, v4, v3, vcc
	;;#ASMSTART
	global_load_dwordx4 v[2:5], v[38:39] off glc	
s_waitcnt vmcnt(0)
	;;#ASMEND
	v_and_b32_e32 v5, 0xff, v3
	v_and_b32_e32 v6, 0xff00, v3
	;; [unrolled: 1-line block ×3, first 2 shown]
	v_or3_b32 v5, 0, v5, v6
	v_or3_b32 v2, v2, 0, 0
	v_and_b32_e32 v3, 0xff000000, v3
	v_or3_b32 v3, v5, v42, v3
	v_or3_b32 v2, v2, 0, 0
	v_cmp_eq_u16_sdwa s[46:47], v4, v7 src0_sel:BYTE_0 src1_sel:DWORD
	s_and_saveexec_b64 s[30:31], s[46:47]
	s_cbranch_execz .LBB317_99
; %bb.96:
	s_mov_b64 s[46:47], 0
	v_mov_b32_e32 v6, 0
.LBB317_97:                             ; =>This Inner Loop Header: Depth=1
	;;#ASMSTART
	global_load_dwordx4 v[2:5], v[38:39] off glc	
s_waitcnt vmcnt(0)
	;;#ASMEND
	v_cmp_ne_u16_sdwa s[50:51], v4, v6 src0_sel:BYTE_0 src1_sel:DWORD
	s_or_b64 s[46:47], s[50:51], s[46:47]
	s_andn2_b64 exec, exec, s[46:47]
	s_cbranch_execnz .LBB317_97
; %bb.98:
	s_or_b64 exec, exec, s[46:47]
.LBB317_99:
	s_or_b64 exec, exec, s[30:31]
	v_mov_b32_e32 v46, 2
	v_cmp_eq_u16_sdwa s[30:31], v4, v46 src0_sel:BYTE_0 src1_sel:DWORD
	v_lshlrev_b64 v[38:39], v37, -1
	v_and_b32_e32 v5, s31, v39
	v_and_b32_e32 v47, 63, v37
	v_or_b32_e32 v5, 0x80000000, v5
	v_cmp_ne_u32_e32 vcc, 63, v47
	v_and_b32_e32 v6, s30, v38
	v_ffbl_b32_e32 v5, v5
	v_addc_co_u32_e32 v7, vcc, 0, v37, vcc
	v_add_u32_e32 v5, 32, v5
	v_ffbl_b32_e32 v6, v6
	v_lshlrev_b32_e32 v48, 2, v7
	v_min_u32_e32 v5, v6, v5
	ds_bpermute_b32 v6, v48, v3
	v_cmp_eq_u32_e32 vcc, 0, v2
	v_cmp_lt_u32_e64 s[30:31], v47, v5
	ds_bpermute_b32 v7, v48, v2
	s_and_b64 vcc, s[30:31], vcc
	s_waitcnt lgkmcnt(1)
	v_cndmask_b32_e32 v6, 0, v6, vcc
	v_cmp_gt_u32_e32 vcc, 62, v47
	v_add_u32_e32 v3, v6, v3
	v_cndmask_b32_e64 v6, 0, 1, vcc
	v_lshlrev_b32_e32 v6, 1, v6
	v_add_lshl_u32 v49, v6, v37, 2
	s_waitcnt lgkmcnt(0)
	v_cndmask_b32_e64 v7, 0, v7, s[30:31]
	ds_bpermute_b32 v6, v49, v3
	v_add_u32_e32 v2, v7, v2
	ds_bpermute_b32 v7, v49, v2
	v_add_u32_e32 v50, 2, v47
	v_cmp_eq_u32_e32 vcc, 0, v2
	s_waitcnt lgkmcnt(1)
	v_cndmask_b32_e32 v6, 0, v6, vcc
	v_cmp_gt_u32_e32 vcc, v50, v5
	v_cndmask_b32_e64 v6, v6, 0, vcc
	v_add_u32_e32 v3, v6, v3
	s_waitcnt lgkmcnt(0)
	v_cndmask_b32_e64 v6, v7, 0, vcc
	v_cmp_gt_u32_e32 vcc, 60, v47
	v_cndmask_b32_e64 v7, 0, 1, vcc
	v_lshlrev_b32_e32 v7, 2, v7
	v_add_lshl_u32 v51, v7, v37, 2
	ds_bpermute_b32 v7, v51, v3
	v_add_u32_e32 v2, v2, v6
	ds_bpermute_b32 v6, v51, v2
	v_add_u32_e32 v52, 4, v47
	v_cmp_eq_u32_e32 vcc, 0, v2
	s_waitcnt lgkmcnt(1)
	v_cndmask_b32_e32 v7, 0, v7, vcc
	v_cmp_gt_u32_e32 vcc, v52, v5
	v_cndmask_b32_e64 v7, v7, 0, vcc
	s_waitcnt lgkmcnt(0)
	v_cndmask_b32_e64 v6, v6, 0, vcc
	v_cmp_gt_u32_e32 vcc, 56, v47
	v_add_u32_e32 v3, v3, v7
	v_cndmask_b32_e64 v7, 0, 1, vcc
	v_lshlrev_b32_e32 v7, 3, v7
	v_add_lshl_u32 v53, v7, v37, 2
	ds_bpermute_b32 v7, v53, v3
	v_add_u32_e32 v2, v2, v6
	ds_bpermute_b32 v6, v53, v2
	v_add_u32_e32 v54, 8, v47
	v_cmp_eq_u32_e32 vcc, 0, v2
	s_waitcnt lgkmcnt(1)
	v_cndmask_b32_e32 v7, 0, v7, vcc
	v_cmp_gt_u32_e32 vcc, v54, v5
	v_cndmask_b32_e64 v7, v7, 0, vcc
	s_waitcnt lgkmcnt(0)
	v_cndmask_b32_e64 v6, v6, 0, vcc
	v_cmp_gt_u32_e32 vcc, 48, v47
	v_add_u32_e32 v3, v3, v7
	;; [unrolled: 16-line block ×3, first 2 shown]
	v_cndmask_b32_e64 v7, 0, 1, vcc
	v_lshlrev_b32_e32 v7, 5, v7
	v_add_lshl_u32 v57, v7, v37, 2
	ds_bpermute_b32 v7, v57, v3
	v_add_u32_e32 v2, v2, v6
	ds_bpermute_b32 v6, v57, v2
	v_add_u32_e32 v58, 32, v47
	v_cmp_eq_u32_e32 vcc, 0, v2
	s_waitcnt lgkmcnt(1)
	v_cndmask_b32_e32 v7, 0, v7, vcc
	v_cmp_gt_u32_e32 vcc, v58, v5
	v_cndmask_b32_e64 v5, v7, 0, vcc
	v_add_u32_e32 v3, v5, v3
	s_waitcnt lgkmcnt(0)
	v_cndmask_b32_e64 v5, v6, 0, vcc
	v_add_u32_e32 v2, v5, v2
	v_mov_b32_e32 v37, 0
	s_branch .LBB317_101
.LBB317_100:                            ;   in Loop: Header=BB317_101 Depth=1
	s_or_b64 exec, exec, s[30:31]
	v_cmp_eq_u16_sdwa s[30:31], v4, v46 src0_sel:BYTE_0 src1_sel:DWORD
	v_and_b32_e32 v5, s31, v39
	v_or_b32_e32 v5, 0x80000000, v5
	v_and_b32_e32 v42, s30, v38
	v_ffbl_b32_e32 v5, v5
	v_add_u32_e32 v5, 32, v5
	v_ffbl_b32_e32 v42, v42
	v_min_u32_e32 v5, v42, v5
	ds_bpermute_b32 v42, v48, v3
	v_cmp_eq_u32_e32 vcc, 0, v2
	v_cmp_lt_u32_e64 s[30:31], v47, v5
	ds_bpermute_b32 v43, v48, v2
	s_and_b64 vcc, s[30:31], vcc
	s_waitcnt lgkmcnt(1)
	v_cndmask_b32_e32 v42, 0, v42, vcc
	v_add_u32_e32 v3, v42, v3
	ds_bpermute_b32 v42, v49, v3
	s_waitcnt lgkmcnt(1)
	v_cndmask_b32_e64 v43, 0, v43, s[30:31]
	v_add_u32_e32 v2, v43, v2
	v_cmp_eq_u32_e32 vcc, 0, v2
	ds_bpermute_b32 v43, v49, v2
	s_waitcnt lgkmcnt(1)
	v_cndmask_b32_e32 v42, 0, v42, vcc
	v_cmp_gt_u32_e32 vcc, v50, v5
	v_cndmask_b32_e64 v42, v42, 0, vcc
	v_add_u32_e32 v3, v42, v3
	ds_bpermute_b32 v42, v51, v3
	s_waitcnt lgkmcnt(1)
	v_cndmask_b32_e64 v43, v43, 0, vcc
	v_add_u32_e32 v2, v2, v43
	v_cmp_eq_u32_e32 vcc, 0, v2
	ds_bpermute_b32 v43, v51, v2
	s_waitcnt lgkmcnt(1)
	v_cndmask_b32_e32 v42, 0, v42, vcc
	v_cmp_gt_u32_e32 vcc, v52, v5
	v_cndmask_b32_e64 v42, v42, 0, vcc
	v_add_u32_e32 v3, v3, v42
	ds_bpermute_b32 v42, v53, v3
	s_waitcnt lgkmcnt(1)
	v_cndmask_b32_e64 v43, v43, 0, vcc
	v_add_u32_e32 v2, v2, v43
	ds_bpermute_b32 v43, v53, v2
	v_cmp_eq_u32_e32 vcc, 0, v2
	s_waitcnt lgkmcnt(1)
	v_cndmask_b32_e32 v42, 0, v42, vcc
	v_cmp_gt_u32_e32 vcc, v54, v5
	v_cndmask_b32_e64 v42, v42, 0, vcc
	v_add_u32_e32 v3, v3, v42
	ds_bpermute_b32 v42, v55, v3
	s_waitcnt lgkmcnt(1)
	v_cndmask_b32_e64 v43, v43, 0, vcc
	v_add_u32_e32 v2, v2, v43
	ds_bpermute_b32 v43, v55, v2
	v_cmp_eq_u32_e32 vcc, 0, v2
	;; [unrolled: 11-line block ×3, first 2 shown]
	s_waitcnt lgkmcnt(1)
	v_cndmask_b32_e32 v42, 0, v42, vcc
	v_cmp_gt_u32_e32 vcc, v58, v5
	v_cndmask_b32_e64 v5, v42, 0, vcc
	v_add_u32_e32 v3, v5, v3
	s_waitcnt lgkmcnt(0)
	v_cndmask_b32_e64 v5, v43, 0, vcc
	v_cmp_eq_u32_e32 vcc, 0, v6
	v_cndmask_b32_e32 v3, 0, v3, vcc
	v_subrev_u32_e32 v36, 64, v36
	v_add3_u32 v2, v2, v6, v5
	v_add_u32_e32 v3, v3, v7
.LBB317_101:                            ; =>This Loop Header: Depth=1
                                        ;     Child Loop BB317_104 Depth 2
	v_cmp_ne_u16_sdwa s[30:31], v4, v46 src0_sel:BYTE_0 src1_sel:DWORD
	v_mov_b32_e32 v7, v3
	v_cndmask_b32_e64 v3, 0, 1, s[30:31]
	;;#ASMSTART
	;;#ASMEND
	v_cmp_ne_u32_e32 vcc, 0, v3
	s_cmp_lg_u64 vcc, exec
	v_mov_b32_e32 v6, v2
	s_cbranch_scc1 .LBB317_106
; %bb.102:                              ;   in Loop: Header=BB317_101 Depth=1
	v_lshlrev_b64 v[2:3], 4, v[36:37]
	v_mov_b32_e32 v4, s45
	v_add_co_u32_e32 v42, vcc, s44, v2
	v_addc_co_u32_e32 v43, vcc, v4, v3, vcc
	;;#ASMSTART
	global_load_dwordx4 v[2:5], v[42:43] off glc	
s_waitcnt vmcnt(0)
	;;#ASMEND
	v_and_b32_e32 v5, 0xff, v3
	v_and_b32_e32 v59, 0xff00, v3
	;; [unrolled: 1-line block ×3, first 2 shown]
	v_or3_b32 v5, 0, v5, v59
	v_or3_b32 v2, v2, 0, 0
	v_and_b32_e32 v3, 0xff000000, v3
	v_or3_b32 v3, v5, v60, v3
	v_or3_b32 v2, v2, 0, 0
	v_cmp_eq_u16_sdwa s[46:47], v4, v37 src0_sel:BYTE_0 src1_sel:DWORD
	s_and_saveexec_b64 s[30:31], s[46:47]
	s_cbranch_execz .LBB317_100
; %bb.103:                              ;   in Loop: Header=BB317_101 Depth=1
	s_mov_b64 s[46:47], 0
.LBB317_104:                            ;   Parent Loop BB317_101 Depth=1
                                        ; =>  This Inner Loop Header: Depth=2
	;;#ASMSTART
	global_load_dwordx4 v[2:5], v[42:43] off glc	
s_waitcnt vmcnt(0)
	;;#ASMEND
	v_cmp_ne_u16_sdwa s[50:51], v4, v37 src0_sel:BYTE_0 src1_sel:DWORD
	s_or_b64 s[46:47], s[50:51], s[46:47]
	s_andn2_b64 exec, exec, s[46:47]
	s_cbranch_execnz .LBB317_104
; %bb.105:                              ;   in Loop: Header=BB317_101 Depth=1
	s_or_b64 exec, exec, s[46:47]
	s_branch .LBB317_100
.LBB317_106:                            ;   in Loop: Header=BB317_101 Depth=1
                                        ; implicit-def: $vgpr3
                                        ; implicit-def: $vgpr2
                                        ; implicit-def: $vgpr4
	s_cbranch_execz .LBB317_101
; %bb.107:
	s_and_saveexec_b64 s[30:31], s[26:27]
	s_cbranch_execz .LBB317_109
; %bb.108:
	s_cmp_eq_u32 s7, 0
	s_cselect_b64 vcc, -1, 0
	s_mov_b32 s47, 0
	v_cndmask_b32_e32 v2, 0, v7, vcc
	s_add_i32 s46, s6, 64
	v_add_u32_e32 v2, s48, v2
	s_lshl_b64 s[46:47], s[46:47], 4
	s_add_u32 s46, s44, s46
	v_and_b32_e32 v3, 0xff000000, v2
	v_and_b32_e32 v4, 0xff0000, v2
	s_addc_u32 s47, s45, s47
	v_or_b32_e32 v3, v4, v3
	v_and_b32_e32 v4, 0xff00, v2
	v_and_b32_e32 v2, 0xff, v2
	v_add_u32_e32 v36, s7, v6
	v_mov_b32_e32 v39, 0
	v_or3_b32 v37, v3, v4, v2
	v_mov_b32_e32 v38, 2
	v_pk_mov_b32 v[2:3], s[46:47], s[46:47] op_sel:[0,1]
	;;#ASMSTART
	global_store_dwordx4 v[2:3], v[36:39] off	
s_waitcnt vmcnt(0)
	;;#ASMEND
	v_mov_b32_e32 v4, s7
	v_mov_b32_e32 v5, s48
	ds_write_b128 v39, v[4:7] offset:2048
.LBB317_109:
	s_or_b64 exec, exec, s[30:31]
	v_cmp_eq_u32_e32 vcc, 0, v0
	s_and_b64 exec, exec, vcc
	s_cbranch_execz .LBB317_111
; %bb.110:
	v_mov_b32_e32 v2, 0
	ds_write_b64 v2, v[6:7] offset:2088
.LBB317_111:
	s_or_b64 exec, exec, s[40:41]
	v_mov_b32_e32 v4, 0
	s_waitcnt lgkmcnt(0)
	s_barrier
	ds_read_b64 v[2:3], v4 offset:2088
	v_cndmask_b32_e64 v6, v44, v30, s[26:27]
	v_cmp_eq_u32_e32 vcc, 0, v6
	v_cndmask_b32_e64 v5, v45, v31, s[26:27]
	s_waitcnt lgkmcnt(0)
	v_cndmask_b32_e32 v7, 0, v3, vcc
	v_add_u32_e32 v5, v7, v5
	v_cmp_eq_u32_e32 vcc, 0, v0
	v_cndmask_b32_e32 v65, v5, v3, vcc
	v_cndmask_b32_e64 v3, v6, 0, vcc
	v_cmp_eq_u32_e32 vcc, 0, v81
	v_add_u32_e32 v64, v2, v3
	v_cndmask_b32_e32 v2, 0, v65, vcc
	v_add_u32_e32 v63, v2, v40
	v_cndmask_b32_e64 v2, 0, v63, s[24:25]
	v_add_u32_e32 v61, v2, v41
	v_cndmask_b32_e64 v2, 0, v61, s[22:23]
	;; [unrolled: 2-line block ×8, first 2 shown]
	v_add_u32_e32 v62, v64, v81
	v_add_u32_e32 v47, v2, v26
	v_add_u32_e32 v60, v62, v79
	v_cndmask_b32_e64 v2, 0, v47, s[8:9]
	v_add_u32_e32 v58, v60, v78
	v_add_u32_e32 v45, v2, v27
	v_add_u32_e32 v56, v58, v77
	v_cndmask_b32_e64 v2, 0, v45, s[28:29]
	;; [unrolled: 4-line block ×3, first 2 shown]
	v_add_u32_e32 v50, v52, v74
	v_add_u32_e32 v39, v2, v25
	s_barrier
	ds_read_b128 v[2:5], v4 offset:2048
	v_add_u32_e32 v48, v50, v73
	v_add_u32_e32 v46, v48, v72
	;; [unrolled: 1-line block ×4, first 2 shown]
	v_cndmask_b32_e64 v6, 0, v39, s[2:3]
	v_add_u32_e32 v38, v42, v69
	v_add_u32_e32 v37, v6, v22
	s_waitcnt lgkmcnt(0)
	v_cmp_eq_u32_e32 vcc, 0, v2
	v_add_u32_e32 v36, v38, v68
	v_cndmask_b32_e64 v6, 0, v37, s[0:1]
	v_cndmask_b32_e32 v5, 0, v5, vcc
	v_add_u32_e32 v30, v36, v67
	v_add_u32_e32 v31, v6, v23
	;; [unrolled: 1-line block ×3, first 2 shown]
	s_branch .LBB317_124
.LBB317_112:
                                        ; implicit-def: $vgpr2
                                        ; implicit-def: $vgpr80
                                        ; implicit-def: $vgpr64_vgpr65
                                        ; implicit-def: $vgpr62_vgpr63
                                        ; implicit-def: $vgpr60_vgpr61
                                        ; implicit-def: $vgpr58_vgpr59
                                        ; implicit-def: $vgpr56_vgpr57
                                        ; implicit-def: $vgpr54_vgpr55
                                        ; implicit-def: $vgpr52_vgpr53
                                        ; implicit-def: $vgpr50_vgpr51
                                        ; implicit-def: $vgpr48_vgpr49
                                        ; implicit-def: $vgpr46_vgpr47
                                        ; implicit-def: $vgpr44_vgpr45
                                        ; implicit-def: $vgpr42_vgpr43
                                        ; implicit-def: $vgpr38_vgpr39
                                        ; implicit-def: $vgpr36_vgpr37
                                        ; implicit-def: $vgpr30_vgpr31
	s_cbranch_execz .LBB317_124
; %bb.113:
	s_and_b64 s[0:1], s[38:39], exec
	s_cselect_b32 s1, 0, s61
	s_cselect_b32 s0, 0, s60
	s_cmp_eq_u64 s[0:1], 0
	v_mov_b32_e32 v6, v40
	s_cbranch_scc1 .LBB317_115
; %bb.114:
	v_mov_b32_e32 v2, 0
	global_load_dword v6, v2, s[0:1]
.LBB317_115:
	v_cmp_eq_u32_e64 s[0:1], 0, v79
	v_cndmask_b32_e64 v2, 0, v40, s[0:1]
	v_add_u32_e32 v2, v2, v41
	v_cmp_eq_u32_e64 s[2:3], 0, v78
	v_cndmask_b32_e64 v2, 0, v2, s[2:3]
	v_add_u32_e32 v2, v2, v34
	;; [unrolled: 3-line block ×11, first 2 shown]
	v_cmp_eq_u32_e64 s[22:23], 0, v68
	v_cndmask_b32_e64 v2, 0, v2, s[22:23]
	v_add3_u32 v3, v86, v75, v74
	v_add_u32_e32 v2, v2, v22
	v_cmp_eq_u32_e32 vcc, 0, v67
	v_add3_u32 v3, v3, v73, v72
	v_cndmask_b32_e32 v2, 0, v2, vcc
	v_add3_u32 v3, v3, v71, v70
	v_add_u32_e32 v2, v2, v23
	v_cmp_eq_u32_e64 s[24:25], 0, v66
	v_add3_u32 v3, v3, v69, v68
	v_cndmask_b32_e64 v2, 0, v2, s[24:25]
	v_add3_u32 v3, v3, v67, v66
	v_add_u32_e32 v2, v2, v82
	v_mbcnt_hi_u32_b32 v7, -1, v85
	v_and_b32_e32 v4, 15, v7
	v_mov_b32_dpp v30, v2 row_shr:1 row_mask:0xf bank_mask:0xf
	v_cmp_eq_u32_e64 s[24:25], 0, v3
	v_mov_b32_dpp v5, v3 row_shr:1 row_mask:0xf bank_mask:0xf
	v_cndmask_b32_e64 v30, 0, v30, s[24:25]
	v_cmp_eq_u32_e64 s[24:25], 0, v4
	v_cndmask_b32_e64 v5, v5, 0, s[24:25]
	v_add_u32_e32 v3, v5, v3
	v_cndmask_b32_e64 v5, v30, 0, s[24:25]
	v_add_u32_e32 v2, v5, v2
	v_cmp_eq_u32_e64 s[24:25], 0, v3
	v_mov_b32_dpp v5, v3 row_shr:2 row_mask:0xf bank_mask:0xf
	v_cmp_lt_u32_e64 s[26:27], 1, v4
	v_mov_b32_dpp v30, v2 row_shr:2 row_mask:0xf bank_mask:0xf
	v_cndmask_b32_e64 v5, 0, v5, s[26:27]
	s_and_b64 s[24:25], s[26:27], s[24:25]
	v_cndmask_b32_e64 v30, 0, v30, s[24:25]
	v_add_u32_e32 v3, v3, v5
	v_add_u32_e32 v2, v30, v2
	v_cmp_eq_u32_e64 s[24:25], 0, v3
	v_mov_b32_dpp v5, v3 row_shr:4 row_mask:0xf bank_mask:0xf
	v_cmp_lt_u32_e64 s[26:27], 3, v4
	v_mov_b32_dpp v30, v2 row_shr:4 row_mask:0xf bank_mask:0xf
	v_cndmask_b32_e64 v5, 0, v5, s[26:27]
	s_and_b64 s[24:25], s[26:27], s[24:25]
	v_cndmask_b32_e64 v30, 0, v30, s[24:25]
	v_add_u32_e32 v3, v5, v3
	v_add_u32_e32 v2, v2, v30
	v_cmp_eq_u32_e64 s[24:25], 0, v3
	v_cmp_lt_u32_e64 s[26:27], 7, v4
	v_mov_b32_dpp v5, v3 row_shr:8 row_mask:0xf bank_mask:0xf
	v_mov_b32_dpp v30, v2 row_shr:8 row_mask:0xf bank_mask:0xf
	s_and_b64 s[24:25], s[26:27], s[24:25]
	v_cndmask_b32_e64 v4, 0, v5, s[26:27]
	v_cndmask_b32_e64 v5, 0, v30, s[24:25]
	v_add_u32_e32 v2, v5, v2
	v_add_u32_e32 v3, v4, v3
	v_bfe_i32 v30, v7, 4, 1
	v_mov_b32_dpp v5, v2 row_bcast:15 row_mask:0xf bank_mask:0xf
	v_mov_b32_dpp v4, v3 row_bcast:15 row_mask:0xf bank_mask:0xf
	v_cmp_eq_u32_e64 s[24:25], 0, v3
	v_cndmask_b32_e64 v5, 0, v5, s[24:25]
	v_and_b32_e32 v4, v30, v4
	v_add_u32_e32 v3, v4, v3
	v_and_b32_e32 v4, v30, v5
	v_add_u32_e32 v4, v4, v2
	v_mov_b32_dpp v2, v3 row_bcast:31 row_mask:0xf bank_mask:0xf
	v_cmp_eq_u32_e64 s[24:25], 0, v3
	v_cmp_lt_u32_e64 s[26:27], 31, v7
	v_mov_b32_dpp v5, v4 row_bcast:31 row_mask:0xf bank_mask:0xf
	v_cndmask_b32_e64 v2, 0, v2, s[26:27]
	s_and_b64 s[24:25], s[26:27], s[24:25]
	v_add_u32_e32 v2, v2, v3
	v_cndmask_b32_e64 v3, 0, v5, s[24:25]
	v_add_u32_e32 v3, v3, v4
	v_cmp_eq_u32_e64 s[24:25], v84, v0
	v_lshlrev_b32_e32 v5, 3, v83
	s_and_saveexec_b64 s[26:27], s[24:25]
	s_cbranch_execz .LBB317_117
; %bb.116:
	ds_write_b64 v5, v[2:3] offset:2064
.LBB317_117:
	s_or_b64 exec, exec, s[26:27]
	v_cmp_gt_u32_e64 s[24:25], 4, v0
	s_waitcnt lgkmcnt(0)
	s_barrier
	s_and_saveexec_b64 s[28:29], s[24:25]
	s_cbranch_execz .LBB317_119
; %bb.118:
	v_lshlrev_b32_e32 v4, 3, v0
	ds_read_b64 v[30:31], v4 offset:2064
	v_and_b32_e32 v36, 3, v7
	v_cmp_lt_u32_e64 s[26:27], 1, v36
	s_waitcnt lgkmcnt(0)
	v_mov_b32_dpp v38, v31 row_shr:1 row_mask:0xf bank_mask:0xf
	v_cmp_eq_u32_e64 s[24:25], 0, v30
	v_mov_b32_dpp v37, v30 row_shr:1 row_mask:0xf bank_mask:0xf
	v_cndmask_b32_e64 v38, 0, v38, s[24:25]
	v_cmp_eq_u32_e64 s[24:25], 0, v36
	v_cndmask_b32_e64 v37, v37, 0, s[24:25]
	v_add_u32_e32 v30, v37, v30
	v_cndmask_b32_e64 v37, v38, 0, s[24:25]
	v_add_u32_e32 v31, v37, v31
	v_cmp_eq_u32_e64 s[24:25], 0, v30
	v_mov_b32_dpp v37, v30 row_shr:2 row_mask:0xf bank_mask:0xf
	v_mov_b32_dpp v38, v31 row_shr:2 row_mask:0xf bank_mask:0xf
	v_cndmask_b32_e64 v36, 0, v37, s[26:27]
	s_and_b64 s[24:25], s[26:27], s[24:25]
	v_add_u32_e32 v30, v36, v30
	v_cndmask_b32_e64 v36, 0, v38, s[24:25]
	v_add_u32_e32 v31, v36, v31
	ds_write_b64 v4, v[30:31] offset:2064
.LBB317_119:
	s_or_b64 exec, exec, s[28:29]
	v_cmp_lt_u32_e64 s[24:25], 63, v0
	v_mov_b32_e32 v30, 0
	v_mov_b32_e32 v4, 0
	s_waitcnt vmcnt(0)
	v_mov_b32_e32 v31, v6
	s_waitcnt lgkmcnt(0)
	s_barrier
	s_and_saveexec_b64 s[26:27], s[24:25]
	s_cbranch_execz .LBB317_121
; %bb.120:
	ds_read_b64 v[4:5], v5 offset:2056
	s_waitcnt lgkmcnt(0)
	v_cmp_eq_u32_e64 s[24:25], 0, v4
	v_cndmask_b32_e64 v31, 0, v6, s[24:25]
	v_add_u32_e32 v31, v31, v5
.LBB317_121:
	s_or_b64 exec, exec, s[26:27]
	v_cmp_eq_u32_e64 s[24:25], 0, v2
	v_add_u32_e32 v5, v4, v2
	v_cndmask_b32_e64 v2, 0, v31, s[24:25]
	v_add_u32_e32 v2, v2, v3
	v_add_u32_e32 v3, -1, v7
	v_and_b32_e32 v36, 64, v7
	v_cmp_lt_i32_e64 s[24:25], v3, v36
	v_cndmask_b32_e64 v3, v3, v7, s[24:25]
	v_lshlrev_b32_e32 v3, 2, v3
	ds_bpermute_b32 v5, v3, v5
	ds_bpermute_b32 v2, v3, v2
	v_cmp_eq_u32_e64 s[24:25], 0, v7
	v_cmp_eq_u32_e64 s[26:27], 0, v81
	s_waitcnt lgkmcnt(1)
	v_cndmask_b32_e64 v3, v5, v4, s[24:25]
	s_waitcnt lgkmcnt(0)
	v_cndmask_b32_e64 v2, v2, v31, s[24:25]
	v_cmp_eq_u32_e64 s[24:25], 0, v0
	v_cndmask_b32_e64 v65, v2, v6, s[24:25]
	v_cndmask_b32_e64 v2, 0, v65, s[26:27]
	v_add_u32_e32 v63, v2, v40
	v_cndmask_b32_e64 v2, 0, v63, s[0:1]
	v_add_u32_e32 v61, v2, v41
	;; [unrolled: 2-line block ×8, first 2 shown]
	v_cndmask_b32_e64 v64, v3, 0, s[24:25]
	v_cndmask_b32_e64 v2, 0, v49, s[14:15]
	v_add_u32_e32 v62, v64, v81
	v_add_u32_e32 v47, v2, v26
	v_add_u32_e32 v60, v62, v79
	v_cndmask_b32_e64 v2, 0, v47, s[16:17]
	v_add_u32_e32 v58, v60, v78
	v_add_u32_e32 v45, v2, v27
	v_add_u32_e32 v56, v58, v77
	;; [unrolled: 4-line block ×3, first 2 shown]
	v_cndmask_b32_e64 v2, 0, v43, s[20:21]
	v_add_u32_e32 v50, v52, v74
	v_add_u32_e32 v39, v2, v25
	ds_read_b64 v[2:3], v30 offset:2088
	v_add_u32_e32 v48, v50, v73
	v_add_u32_e32 v46, v48, v72
	;; [unrolled: 1-line block ×3, first 2 shown]
	v_cndmask_b32_e64 v4, 0, v39, s[22:23]
	v_add_u32_e32 v42, v44, v70
	v_add_u32_e32 v37, v4, v22
	;; [unrolled: 1-line block ×3, first 2 shown]
	v_cndmask_b32_e32 v4, 0, v37, vcc
	s_waitcnt lgkmcnt(0)
	v_cmp_eq_u32_e32 vcc, 0, v2
	v_add_u32_e32 v36, v38, v68
	v_add_u32_e32 v31, v4, v23
	v_cndmask_b32_e32 v4, 0, v6, vcc
	v_add_u32_e32 v30, v36, v67
	v_add_u32_e32 v80, v4, v3
	s_and_saveexec_b64 s[0:1], s[24:25]
	s_cbranch_execz .LBB317_123
; %bb.122:
	s_add_u32 s2, s44, 0x400
	v_and_b32_e32 v3, 0xff000000, v80
	v_and_b32_e32 v4, 0xff0000, v80
	s_addc_u32 s3, s45, 0
	v_or_b32_e32 v3, v4, v3
	v_and_b32_e32 v4, 0xff00, v80
	v_and_b32_e32 v6, 0xff, v80
	v_mov_b32_e32 v5, 0
	v_or3_b32 v3, v3, v4, v6
	v_mov_b32_e32 v4, 2
	v_pk_mov_b32 v[6:7], s[2:3], s[2:3] op_sel:[0,1]
	;;#ASMSTART
	global_store_dwordx4 v[6:7], v[2:5] off	
s_waitcnt vmcnt(0)
	;;#ASMEND
.LBB317_123:
	s_or_b64 exec, exec, s[0:1]
	v_mov_b32_e32 v4, 0
.LBB317_124:
	s_and_b64 s[0:1], s[38:39], exec
	s_cselect_b32 s1, 0, s59
	s_cselect_b32 s0, 0, s58
	s_cmp_eq_u64 s[0:1], 0
	v_pk_mov_b32 v[6:7], 0, 0
	s_barrier
	s_cbranch_scc1 .LBB317_126
; %bb.125:
	v_mov_b32_e32 v3, 0
	global_load_dwordx2 v[6:7], v3, s[0:1]
.LBB317_126:
	s_waitcnt vmcnt(0)
	v_lshlrev_b64 v[22:23], 2, v[6:7]
	v_mov_b32_e32 v3, s43
	v_add_co_u32_e32 v26, vcc, s42, v22
	v_mov_b32_e32 v5, 0
	v_addc_co_u32_e32 v27, vcc, v3, v23, vcc
	v_lshlrev_b64 v[24:25], 2, v[4:5]
	v_add_co_u32_e32 v3, vcc, v26, v24
	v_addc_co_u32_e32 v5, vcc, v27, v25, vcc
	v_cmp_eq_u32_e32 vcc, 0, v81
	v_cndmask_b32_e64 v26, 1, 2, vcc
	v_cmp_eq_u32_e32 vcc, 0, v79
	v_cndmask_b32_e64 v27, 1, 2, vcc
	v_cmp_eq_u32_e32 vcc, 0, v78
	v_and_b32_e32 v26, v27, v26
	v_cndmask_b32_e64 v27, 1, 2, vcc
	v_cmp_eq_u32_e32 vcc, 0, v77
	v_and_b32_e32 v26, v26, v27
	;; [unrolled: 3-line block ×13, first 2 shown]
	v_cndmask_b32_e64 v27, 1, 2, vcc
	s_movk_i32 s30, 0x100
	v_and_b32_e32 v26, v26, v27
	v_cmp_gt_u32_e32 vcc, s30, v2
	v_cmp_ne_u32_e64 s[28:29], 0, v81
	v_cmp_ne_u32_e64 s[26:27], 0, v79
	;; [unrolled: 1-line block ×15, first 2 shown]
	s_mov_b64 s[38:39], -1
	v_cmp_gt_i16_e64 s[30:31], 2, v26
	s_cbranch_vccz .LBB317_133
; %bb.127:
	s_and_saveexec_b64 s[38:39], s[30:31]
	s_cbranch_execz .LBB317_132
; %bb.128:
	v_cmp_ne_u16_e32 vcc, 1, v26
	s_mov_b64 s[40:41], 0
	s_and_saveexec_b64 s[30:31], vcc
	s_xor_b64 s[30:31], exec, s[30:31]
	s_cbranch_execnz .LBB317_189
; %bb.129:
	s_andn2_saveexec_b64 s[30:31], s[30:31]
	s_cbranch_execnz .LBB317_205
.LBB317_130:
	s_or_b64 exec, exec, s[30:31]
	s_and_b64 exec, exec, s[40:41]
	s_cbranch_execz .LBB317_132
.LBB317_131:
	v_sub_u32_e32 v28, v30, v4
	v_mov_b32_e32 v29, 0
	v_lshlrev_b64 v[28:29], 2, v[28:29]
	v_add_co_u32_e32 v28, vcc, v3, v28
	v_addc_co_u32_e32 v29, vcc, v5, v29, vcc
	global_store_dword v[28:29], v1, off
.LBB317_132:
	s_or_b64 exec, exec, s[38:39]
	s_mov_b64 s[38:39], 0
.LBB317_133:
	s_and_b64 vcc, exec, s[38:39]
	s_cbranch_vccz .LBB317_155
; %bb.134:
	v_cmp_gt_i16_e32 vcc, 2, v26
	s_and_saveexec_b64 s[30:31], vcc
	s_cbranch_execz .LBB317_139
; %bb.135:
	v_cmp_ne_u16_e32 vcc, 1, v26
	s_mov_b64 s[40:41], 0
	s_and_saveexec_b64 s[38:39], vcc
	s_xor_b64 s[38:39], exec, s[38:39]
	s_cbranch_execnz .LBB317_206
; %bb.136:
	s_andn2_saveexec_b64 s[0:1], s[38:39]
	s_cbranch_execnz .LBB317_222
.LBB317_137:
	s_or_b64 exec, exec, s[0:1]
	s_and_b64 exec, exec, s[40:41]
	s_cbranch_execz .LBB317_139
.LBB317_138:
	v_sub_u32_e32 v8, v30, v4
	v_lshlrev_b32_e32 v8, 2, v8
	ds_write_b32 v8, v1
.LBB317_139:
	s_or_b64 exec, exec, s[30:31]
	v_cmp_lt_u32_e32 vcc, v0, v2
	s_waitcnt lgkmcnt(0)
	s_barrier
	s_and_saveexec_b64 s[2:3], vcc
	s_cbranch_execz .LBB317_154
; %bb.140:
	v_xad_u32 v1, v0, -1, v2
	s_movk_i32 s0, 0x1700
	v_cmp_gt_u32_e64 s[4:5], s0, v1
	s_movk_i32 s0, 0x16ff
	v_cmp_lt_u32_e32 vcc, s0, v1
	v_mov_b32_e32 v8, v0
	s_and_saveexec_b64 s[6:7], vcc
	s_cbranch_execz .LBB317_151
; %bb.141:
	v_sub_u32_e32 v8, v0, v2
	v_or_b32_e32 v8, 0xff, v8
	v_cmp_ge_u32_e32 vcc, v8, v0
	s_mov_b64 s[0:1], -1
	v_mov_b32_e32 v8, v0
	s_and_saveexec_b64 s[8:9], vcc
	s_cbranch_execz .LBB317_150
; %bb.142:
	v_lshrrev_b32_e32 v12, 8, v1
	v_add_u32_e32 v8, -1, v12
	v_or_b32_e32 v1, 0x100, v0
	v_lshrrev_b32_e32 v9, 1, v8
	v_add_u32_e32 v13, 1, v9
	v_cmp_lt_u32_e32 vcc, 13, v8
	v_mov_b32_e32 v16, 0
	v_pk_mov_b32 v[8:9], v[0:1], v[0:1] op_sel:[0,1]
	s_and_saveexec_b64 s[10:11], vcc
	s_cbranch_execz .LBB317_146
; %bb.143:
	v_and_b32_e32 v14, -8, v13
	v_lshlrev_b32_e32 v15, 2, v0
	s_mov_b32 s14, 0
	s_mov_b64 s[12:13], 0
	v_mov_b32_e32 v11, 0
	v_pk_mov_b32 v[8:9], v[0:1], v[0:1] op_sel:[0,1]
.LBB317_144:                            ; =>This Inner Loop Header: Depth=1
	v_mov_b32_e32 v10, v8
	v_add_u32_e32 v14, -8, v14
	v_lshlrev_b64 v[96:97], 2, v[10:11]
	v_mov_b32_e32 v10, v9
	ds_read2st64_b32 v[18:19], v15 offset1:4
	s_add_i32 s14, s14, 16
	v_cmp_eq_u32_e32 vcc, 0, v14
	v_lshlrev_b64 v[100:101], 2, v[10:11]
	v_add_u32_e32 v10, 0x200, v8
	s_or_b64 s[12:13], vcc, s[12:13]
	v_add_co_u32_e32 v100, vcc, v3, v100
	v_add_u32_e32 v16, 0x200, v9
	v_mov_b32_e32 v17, v11
	ds_read2st64_b32 v[20:21], v15 offset0:8 offset1:12
	ds_read2st64_b32 v[28:29], v15 offset0:16 offset1:20
	v_add_co_u32_e64 v96, s[0:1], v3, v96
	v_addc_co_u32_e32 v101, vcc, v5, v101, vcc
	v_lshlrev_b64 v[102:103], 2, v[10:11]
	v_lshlrev_b64 v[98:99], 2, v[16:17]
	v_addc_co_u32_e64 v97, s[0:1], v5, v97, s[0:1]
	v_add_u32_e32 v10, 0x400, v8
	v_add_co_u32_e32 v102, vcc, v3, v102
	v_add_u32_e32 v26, 0x400, v9
	v_mov_b32_e32 v27, v11
	ds_read2st64_b32 v[34:35], v15 offset0:24 offset1:28
	v_add_co_u32_e64 v98, s[0:1], v3, v98
	v_addc_co_u32_e32 v103, vcc, v5, v103, vcc
	v_lshlrev_b64 v[104:105], 2, v[10:11]
	ds_read2st64_b32 v[82:83], v15 offset0:32 offset1:36
	ds_read2st64_b32 v[86:87], v15 offset0:40 offset1:44
	;; [unrolled: 1-line block ×4, first 2 shown]
	v_lshlrev_b64 v[26:27], 2, v[26:27]
	v_addc_co_u32_e64 v99, s[0:1], v5, v99, s[0:1]
	v_add_u32_e32 v10, 0x600, v8
	s_waitcnt lgkmcnt(7)
	global_store_dword v[96:97], v18, off
	global_store_dword v[100:101], v19, off
	s_waitcnt lgkmcnt(6)
	global_store_dword v[102:103], v20, off
	global_store_dword v[98:99], v21, off
	v_add_co_u32_e32 v18, vcc, v3, v104
	v_add_u32_e32 v32, 0x600, v9
	v_mov_b32_e32 v33, v11
	v_add_co_u32_e64 v26, s[0:1], v3, v26
	v_addc_co_u32_e32 v19, vcc, v5, v105, vcc
	v_lshlrev_b64 v[20:21], 2, v[10:11]
	v_lshlrev_b64 v[32:33], 2, v[32:33]
	v_addc_co_u32_e64 v27, s[0:1], v5, v27, s[0:1]
	v_add_u32_e32 v10, 0x800, v8
	s_waitcnt lgkmcnt(5)
	global_store_dword v[18:19], v28, off
	global_store_dword v[26:27], v29, off
	v_add_co_u32_e32 v18, vcc, v3, v20
	v_add_u32_e32 v40, 0x800, v9
	v_mov_b32_e32 v41, v11
	v_add_co_u32_e64 v32, s[0:1], v3, v32
	v_addc_co_u32_e32 v19, vcc, v5, v21, vcc
	v_lshlrev_b64 v[20:21], 2, v[10:11]
	v_lshlrev_b64 v[40:41], 2, v[40:41]
	v_addc_co_u32_e64 v33, s[0:1], v5, v33, s[0:1]
	v_add_u32_e32 v10, 0xa00, v8
	;; [unrolled: 12-line block ×4, first 2 shown]
	s_waitcnt lgkmcnt(2)
	global_store_dword v[18:19], v86, off
	global_store_dword v[84:85], v87, off
	v_add_co_u32_e32 v18, vcc, v3, v20
	v_add_u32_e32 v92, 0xe00, v9
	v_mov_b32_e32 v93, v11
	v_add_co_u32_e64 v88, s[0:1], v3, v88
	v_addc_co_u32_e32 v19, vcc, v5, v21, vcc
	v_lshlrev_b64 v[20:21], 2, v[10:11]
	v_lshlrev_b64 v[92:93], 2, v[92:93]
	v_addc_co_u32_e64 v89, s[0:1], v5, v89, s[0:1]
	s_waitcnt lgkmcnt(1)
	global_store_dword v[18:19], v90, off
	global_store_dword v[88:89], v91, off
	v_add_co_u32_e32 v18, vcc, v3, v20
	v_add_u32_e32 v15, 0x4000, v15
	v_add_u32_e32 v9, 0x1000, v9
	v_mov_b32_e32 v16, s14
	v_add_co_u32_e64 v92, s[0:1], v3, v92
	v_add_u32_e32 v8, 0x1000, v8
	v_addc_co_u32_e32 v19, vcc, v5, v21, vcc
	v_addc_co_u32_e64 v93, s[0:1], v5, v93, s[0:1]
	s_waitcnt lgkmcnt(0)
	global_store_dword v[18:19], v94, off
	global_store_dword v[92:93], v95, off
	s_andn2_b64 exec, exec, s[12:13]
	s_cbranch_execnz .LBB317_144
; %bb.145:
	s_or_b64 exec, exec, s[12:13]
.LBB317_146:
	s_or_b64 exec, exec, s[10:11]
	v_and_b32_e32 v1, 7, v13
	v_cmp_ne_u32_e32 vcc, 0, v1
	s_and_saveexec_b64 s[10:11], vcc
	s_cbranch_execz .LBB317_149
; %bb.147:
	v_lshlrev_b32_e32 v10, 2, v0
	v_lshl_or_b32 v13, v16, 10, v10
	s_mov_b64 s[12:13], 0
	v_mov_b32_e32 v11, 0
.LBB317_148:                            ; =>This Inner Loop Header: Depth=1
	ds_read2st64_b32 v[14:15], v13 offset1:4
	v_mov_b32_e32 v10, v8
	v_add_u32_e32 v1, -1, v1
	v_lshlrev_b64 v[16:17], 2, v[10:11]
	v_mov_b32_e32 v10, v9
	v_cmp_eq_u32_e32 vcc, 0, v1
	v_add_co_u32_e64 v16, s[0:1], v3, v16
	v_lshlrev_b64 v[18:19], 2, v[10:11]
	v_add_u32_e32 v8, 0x200, v8
	v_add_u32_e32 v13, 0x800, v13
	;; [unrolled: 1-line block ×3, first 2 shown]
	v_addc_co_u32_e64 v17, s[0:1], v5, v17, s[0:1]
	s_or_b64 s[12:13], vcc, s[12:13]
	v_add_co_u32_e32 v18, vcc, v3, v18
	v_addc_co_u32_e32 v19, vcc, v5, v19, vcc
	s_waitcnt lgkmcnt(0)
	global_store_dword v[16:17], v14, off
	global_store_dword v[18:19], v15, off
	s_andn2_b64 exec, exec, s[12:13]
	s_cbranch_execnz .LBB317_148
.LBB317_149:
	s_or_b64 exec, exec, s[10:11]
	v_add_u32_e32 v1, 1, v12
	v_and_b32_e32 v9, 0x1fffffe, v1
	v_cmp_ne_u32_e32 vcc, v1, v9
	v_lshl_or_b32 v8, v9, 8, v0
	s_orn2_b64 s[0:1], vcc, exec
.LBB317_150:
	s_or_b64 exec, exec, s[8:9]
	s_andn2_b64 s[4:5], s[4:5], exec
	s_and_b64 s[0:1], s[0:1], exec
	s_or_b64 s[4:5], s[4:5], s[0:1]
.LBB317_151:
	s_or_b64 exec, exec, s[6:7]
	s_and_b64 exec, exec, s[4:5]
	s_cbranch_execz .LBB317_154
; %bb.152:
	v_lshlrev_b32_e32 v1, 2, v8
	s_mov_b64 s[0:1], 0
	v_mov_b32_e32 v9, 0
.LBB317_153:                            ; =>This Inner Loop Header: Depth=1
	v_lshlrev_b64 v[10:11], 2, v[8:9]
	ds_read_b32 v12, v1
	v_add_co_u32_e32 v10, vcc, v3, v10
	v_add_u32_e32 v8, 0x100, v8
	v_addc_co_u32_e32 v11, vcc, v5, v11, vcc
	v_cmp_ge_u32_e32 vcc, v8, v2
	v_add_u32_e32 v1, 0x400, v1
	s_or_b64 s[0:1], vcc, s[0:1]
	s_waitcnt lgkmcnt(0)
	global_store_dword v[10:11], v12, off
	s_andn2_b64 exec, exec, s[0:1]
	s_cbranch_execnz .LBB317_153
.LBB317_154:
	s_or_b64 exec, exec, s[2:3]
.LBB317_155:
	s_cmpk_lg_i32 s33, 0xf00
	s_cselect_b64 s[0:1], -1, 0
	s_and_b64 s[0:1], s[34:35], s[0:1]
	v_cmp_eq_u32_e32 vcc, 0, v0
	v_cndmask_b32_e64 v8, 0, 1, s[0:1]
	s_and_b64 s[0:1], vcc, s[36:37]
	v_cndmask_b32_e64 v5, v81, 0, s[0:1]
	s_mul_hi_u32 s0, s33, 0x88888889
	s_lshr_b32 s0, s0, 3
	v_mad_i32_i24 v9, v0, -15, s33
	v_cmp_eq_u32_e32 vcc, s0, v0
	v_cmp_ne_u32_e64 s[0:1], 0, v9
	v_cndmask_b32_e64 v10, 1, v5, s[0:1]
	v_cmp_ne_u32_e64 s[0:1], 1, v9
	v_cndmask_b32_e64 v11, 1, v79, s[0:1]
	;; [unrolled: 2-line block ×15, first 2 shown]
	s_and_b64 vcc, s[34:35], vcc
	v_cndmask_b32_e32 v28, v66, v9, vcc
	v_cndmask_b32_e32 v27, v67, v27, vcc
	;; [unrolled: 1-line block ×15, first 2 shown]
	v_mov_b32_e32 v5, s53
	v_add_co_u32_e32 v9, vcc, s52, v22
	v_addc_co_u32_e32 v12, vcc, v5, v23, vcc
	v_cndmask_b32_e64 v1, 0, 1, s[36:37]
	v_add_co_u32_e32 v5, vcc, v9, v24
	v_addc_co_u32_e32 v12, vcc, v12, v25, vcc
	v_lshlrev_b32_e32 v9, 2, v1
	v_add_co_u32_e32 v9, vcc, v9, v5
	v_addc_co_u32_e32 v14, vcc, 0, v12, vcc
	v_add_co_u32_e32 v13, vcc, -4, v9
	v_addc_co_u32_e32 v14, vcc, -1, v14, vcc
	v_cmp_eq_u32_e32 vcc, 0, v10
	v_cmp_ne_u32_e64 s[28:29], 0, v10
	v_cndmask_b32_e64 v10, 1, 2, vcc
	v_cmp_eq_u32_e32 vcc, 0, v11
	v_cmp_ne_u32_e64 s[26:27], 0, v11
	v_cndmask_b32_e64 v11, 1, 2, vcc
	v_cmp_eq_u32_e32 vcc, 0, v33
	v_and_b32_e32 v10, v11, v10
	v_cndmask_b32_e64 v11, 1, 2, vcc
	v_cmp_eq_u32_e32 vcc, 0, v32
	v_and_b32_e32 v10, v10, v11
	;; [unrolled: 3-line block ×11, first 2 shown]
	v_cndmask_b32_e64 v11, 1, 2, vcc
	v_cmp_eq_u32_e32 vcc, 0, v27
	v_sub_u32_e32 v3, v2, v1
	v_and_b32_e32 v10, v10, v11
	v_cndmask_b32_e64 v11, 1, 2, vcc
	v_cmp_eq_u32_e32 vcc, 0, v28
	v_add_u32_e32 v3, v3, v8
	v_and_b32_e32 v10, v10, v11
	v_cndmask_b32_e64 v11, 1, 2, vcc
	s_movk_i32 s30, 0x100
	v_and_b32_e32 v10, v10, v11
	v_cmp_gt_u32_e32 vcc, s30, v3
	v_add_u32_e32 v9, v4, v1
	v_cmp_ne_u32_e64 s[24:25], 0, v33
	v_cmp_ne_u32_e64 s[22:23], 0, v32
	;; [unrolled: 1-line block ×13, first 2 shown]
	s_mov_b64 s[36:37], -1
	v_cmp_gt_i16_e64 s[30:31], 2, v10
	s_barrier
	s_cbranch_vccz .LBB317_162
; %bb.156:
	s_and_saveexec_b64 s[36:37], s[30:31]
	s_cbranch_execz .LBB317_161
; %bb.157:
	v_cmp_ne_u16_e32 vcc, 1, v10
	s_mov_b64 s[38:39], 0
	s_and_saveexec_b64 s[30:31], vcc
	s_xor_b64 s[30:31], exec, s[30:31]
	s_cbranch_execnz .LBB317_223
; %bb.158:
	s_andn2_saveexec_b64 s[30:31], s[30:31]
	s_cbranch_execnz .LBB317_239
.LBB317_159:
	s_or_b64 exec, exec, s[30:31]
	s_and_b64 exec, exec, s[38:39]
	s_cbranch_execz .LBB317_161
.LBB317_160:
	v_sub_u32_e32 v16, v30, v9
	v_mov_b32_e32 v17, 0
	v_lshlrev_b64 v[16:17], 2, v[16:17]
	v_add_co_u32_e32 v16, vcc, v13, v16
	v_addc_co_u32_e32 v17, vcc, v14, v17, vcc
	global_store_dword v[16:17], v31, off
.LBB317_161:
	s_or_b64 exec, exec, s[36:37]
	s_mov_b64 s[36:37], 0
.LBB317_162:
	s_and_b64 vcc, exec, s[36:37]
	s_cbranch_vccz .LBB317_184
; %bb.163:
	v_cmp_gt_i16_e32 vcc, 2, v10
	s_and_saveexec_b64 s[30:31], vcc
	s_cbranch_execz .LBB317_168
; %bb.164:
	v_cmp_ne_u16_e32 vcc, 1, v10
	s_mov_b64 s[38:39], 0
	s_and_saveexec_b64 s[36:37], vcc
	s_xor_b64 s[36:37], exec, s[36:37]
	s_cbranch_execnz .LBB317_240
; %bb.165:
	s_andn2_saveexec_b64 s[0:1], s[36:37]
	s_cbranch_execnz .LBB317_256
.LBB317_166:
	s_or_b64 exec, exec, s[0:1]
	s_and_b64 exec, exec, s[38:39]
	s_cbranch_execz .LBB317_168
.LBB317_167:
	v_sub_u32_e32 v9, v30, v9
	v_lshlrev_b32_e32 v9, 2, v9
	ds_write_b32 v9, v31
.LBB317_168:
	s_or_b64 exec, exec, s[30:31]
	v_cmp_lt_u32_e32 vcc, v0, v3
	s_waitcnt lgkmcnt(0)
	s_barrier
	s_and_saveexec_b64 s[2:3], vcc
	s_cbranch_execz .LBB317_183
; %bb.169:
	v_add_u32_e32 v10, v2, v8
	v_xad_u32 v8, v0, -1, v10
	v_sub_u32_e32 v9, v8, v1
	s_movk_i32 s0, 0x1900
	v_cmp_gt_u32_e64 s[4:5], s0, v9
	s_movk_i32 s0, 0x18ff
	v_cmp_lt_u32_e32 vcc, s0, v9
	v_mov_b32_e32 v8, v0
	s_and_saveexec_b64 s[6:7], vcc
	s_cbranch_execz .LBB317_180
; %bb.170:
	v_sub_u32_e32 v8, v0, v10
	v_add_u32_e32 v1, v8, v1
	v_or_b32_e32 v1, 0xff, v1
	v_cmp_ge_u32_e32 vcc, v1, v0
	s_mov_b64 s[0:1], -1
	v_mov_b32_e32 v8, v0
	s_and_saveexec_b64 s[8:9], vcc
	s_cbranch_execz .LBB317_179
; %bb.171:
	v_lshrrev_b32_e32 v15, 8, v9
	v_add_u32_e32 v8, -1, v15
	v_or_b32_e32 v1, 0x100, v0
	v_lshrrev_b32_e32 v9, 1, v8
	v_add_u32_e32 v17, 1, v9
	v_cmp_lt_u32_e32 vcc, 13, v8
	v_mov_b32_e32 v20, 0
	v_lshlrev_b32_e32 v16, 2, v0
	v_pk_mov_b32 v[8:9], v[0:1], v[0:1] op_sel:[0,1]
	s_and_saveexec_b64 s[10:11], vcc
	s_cbranch_execz .LBB317_175
; %bb.172:
	v_and_b32_e32 v18, -8, v17
	s_mov_b32 s14, 0
	s_mov_b64 s[12:13], 0
	v_mov_b32_e32 v11, 0
	v_mov_b32_e32 v19, v16
	v_pk_mov_b32 v[8:9], v[0:1], v[0:1] op_sel:[0,1]
.LBB317_173:                            ; =>This Inner Loop Header: Depth=1
	v_mov_b32_e32 v10, v8
	v_add_u32_e32 v18, -8, v18
	v_lshlrev_b64 v[50:51], 2, v[10:11]
	v_mov_b32_e32 v10, v9
	ds_read2st64_b32 v[22:23], v19 offset1:4
	s_add_i32 s14, s14, 16
	v_cmp_eq_u32_e32 vcc, 0, v18
	v_lshlrev_b64 v[54:55], 2, v[10:11]
	v_add_u32_e32 v10, 0x200, v8
	s_or_b64 s[12:13], vcc, s[12:13]
	v_add_co_u32_e32 v54, vcc, v13, v54
	v_add_u32_e32 v20, 0x200, v9
	v_mov_b32_e32 v21, v11
	ds_read2st64_b32 v[24:25], v19 offset0:8 offset1:12
	ds_read2st64_b32 v[28:29], v19 offset0:16 offset1:20
	v_add_co_u32_e64 v50, s[0:1], v13, v50
	v_addc_co_u32_e32 v55, vcc, v14, v55, vcc
	v_lshlrev_b64 v[56:57], 2, v[10:11]
	v_lshlrev_b64 v[52:53], 2, v[20:21]
	v_addc_co_u32_e64 v51, s[0:1], v14, v51, s[0:1]
	v_add_u32_e32 v10, 0x400, v8
	v_add_co_u32_e32 v56, vcc, v13, v56
	v_add_u32_e32 v26, 0x400, v9
	v_mov_b32_e32 v27, v11
	ds_read2st64_b32 v[32:33], v19 offset0:24 offset1:28
	v_add_co_u32_e64 v52, s[0:1], v13, v52
	v_addc_co_u32_e32 v57, vcc, v14, v57, vcc
	v_lshlrev_b64 v[58:59], 2, v[10:11]
	ds_read2st64_b32 v[36:37], v19 offset0:32 offset1:36
	ds_read2st64_b32 v[40:41], v19 offset0:40 offset1:44
	;; [unrolled: 1-line block ×4, first 2 shown]
	v_lshlrev_b64 v[26:27], 2, v[26:27]
	v_addc_co_u32_e64 v53, s[0:1], v14, v53, s[0:1]
	v_add_u32_e32 v10, 0x600, v8
	s_waitcnt lgkmcnt(7)
	global_store_dword v[50:51], v22, off
	global_store_dword v[54:55], v23, off
	s_waitcnt lgkmcnt(6)
	global_store_dword v[56:57], v24, off
	global_store_dword v[52:53], v25, off
	v_add_co_u32_e32 v22, vcc, v13, v58
	v_add_u32_e32 v30, 0x600, v9
	v_mov_b32_e32 v31, v11
	v_add_co_u32_e64 v26, s[0:1], v13, v26
	v_addc_co_u32_e32 v23, vcc, v14, v59, vcc
	v_lshlrev_b64 v[24:25], 2, v[10:11]
	v_lshlrev_b64 v[30:31], 2, v[30:31]
	v_addc_co_u32_e64 v27, s[0:1], v14, v27, s[0:1]
	v_add_u32_e32 v10, 0x800, v8
	s_waitcnt lgkmcnt(5)
	global_store_dword v[22:23], v28, off
	global_store_dword v[26:27], v29, off
	v_add_co_u32_e32 v22, vcc, v13, v24
	v_add_u32_e32 v34, 0x800, v9
	v_mov_b32_e32 v35, v11
	v_add_co_u32_e64 v30, s[0:1], v13, v30
	v_addc_co_u32_e32 v23, vcc, v14, v25, vcc
	v_lshlrev_b64 v[24:25], 2, v[10:11]
	v_lshlrev_b64 v[34:35], 2, v[34:35]
	v_addc_co_u32_e64 v31, s[0:1], v14, v31, s[0:1]
	v_add_u32_e32 v10, 0xa00, v8
	;; [unrolled: 12-line block ×4, first 2 shown]
	s_waitcnt lgkmcnt(2)
	global_store_dword v[22:23], v40, off
	global_store_dword v[38:39], v41, off
	v_add_co_u32_e32 v22, vcc, v13, v24
	v_add_u32_e32 v46, 0xe00, v9
	v_mov_b32_e32 v47, v11
	v_add_co_u32_e64 v42, s[0:1], v13, v42
	v_addc_co_u32_e32 v23, vcc, v14, v25, vcc
	v_lshlrev_b64 v[24:25], 2, v[10:11]
	v_lshlrev_b64 v[46:47], 2, v[46:47]
	v_addc_co_u32_e64 v43, s[0:1], v14, v43, s[0:1]
	s_waitcnt lgkmcnt(1)
	global_store_dword v[22:23], v44, off
	global_store_dword v[42:43], v45, off
	v_add_co_u32_e32 v22, vcc, v13, v24
	v_add_u32_e32 v19, 0x4000, v19
	v_add_u32_e32 v9, 0x1000, v9
	v_mov_b32_e32 v20, s14
	v_add_co_u32_e64 v46, s[0:1], v13, v46
	v_add_u32_e32 v8, 0x1000, v8
	v_addc_co_u32_e32 v23, vcc, v14, v25, vcc
	v_addc_co_u32_e64 v47, s[0:1], v14, v47, s[0:1]
	s_waitcnt lgkmcnt(0)
	global_store_dword v[22:23], v48, off
	global_store_dword v[46:47], v49, off
	s_andn2_b64 exec, exec, s[12:13]
	s_cbranch_execnz .LBB317_173
; %bb.174:
	s_or_b64 exec, exec, s[12:13]
.LBB317_175:
	s_or_b64 exec, exec, s[10:11]
	v_and_b32_e32 v1, 7, v17
	v_cmp_ne_u32_e32 vcc, 0, v1
	s_and_saveexec_b64 s[10:11], vcc
	s_cbranch_execz .LBB317_178
; %bb.176:
	v_lshl_or_b32 v16, v20, 10, v16
	s_mov_b64 s[12:13], 0
	v_mov_b32_e32 v11, 0
.LBB317_177:                            ; =>This Inner Loop Header: Depth=1
	ds_read2st64_b32 v[18:19], v16 offset1:4
	v_mov_b32_e32 v10, v8
	v_add_u32_e32 v1, -1, v1
	v_lshlrev_b64 v[20:21], 2, v[10:11]
	v_mov_b32_e32 v10, v9
	v_cmp_eq_u32_e32 vcc, 0, v1
	v_add_co_u32_e64 v20, s[0:1], v13, v20
	v_lshlrev_b64 v[22:23], 2, v[10:11]
	v_add_u32_e32 v8, 0x200, v8
	v_add_u32_e32 v16, 0x800, v16
	;; [unrolled: 1-line block ×3, first 2 shown]
	v_addc_co_u32_e64 v21, s[0:1], v14, v21, s[0:1]
	s_or_b64 s[12:13], vcc, s[12:13]
	v_add_co_u32_e32 v22, vcc, v13, v22
	v_addc_co_u32_e32 v23, vcc, v14, v23, vcc
	s_waitcnt lgkmcnt(0)
	global_store_dword v[20:21], v18, off
	global_store_dword v[22:23], v19, off
	s_andn2_b64 exec, exec, s[12:13]
	s_cbranch_execnz .LBB317_177
.LBB317_178:
	s_or_b64 exec, exec, s[10:11]
	v_add_u32_e32 v1, 1, v15
	v_and_b32_e32 v9, 0x1fffffe, v1
	v_cmp_ne_u32_e32 vcc, v1, v9
	v_lshl_or_b32 v8, v9, 8, v0
	s_orn2_b64 s[0:1], vcc, exec
.LBB317_179:
	s_or_b64 exec, exec, s[8:9]
	s_andn2_b64 s[4:5], s[4:5], exec
	s_and_b64 s[0:1], s[0:1], exec
	s_or_b64 s[4:5], s[4:5], s[0:1]
.LBB317_180:
	s_or_b64 exec, exec, s[6:7]
	s_and_b64 exec, exec, s[4:5]
	s_cbranch_execz .LBB317_183
; %bb.181:
	v_lshlrev_b32_e32 v1, 2, v8
	s_mov_b64 s[0:1], 0
	v_mov_b32_e32 v9, 0
.LBB317_182:                            ; =>This Inner Loop Header: Depth=1
	v_lshlrev_b64 v[10:11], 2, v[8:9]
	ds_read_b32 v15, v1
	v_add_co_u32_e32 v10, vcc, v13, v10
	v_add_u32_e32 v8, 0x100, v8
	v_addc_co_u32_e32 v11, vcc, v14, v11, vcc
	v_cmp_ge_u32_e32 vcc, v8, v3
	v_add_u32_e32 v1, 0x400, v1
	s_or_b64 s[0:1], vcc, s[0:1]
	s_waitcnt lgkmcnt(0)
	global_store_dword v[10:11], v15, off
	s_andn2_b64 exec, exec, s[0:1]
	s_cbranch_execnz .LBB317_182
.LBB317_183:
	s_or_b64 exec, exec, s[2:3]
.LBB317_184:
	s_movk_i32 s0, 0xff
	v_cmp_eq_u32_e32 vcc, s0, v0
	s_and_b64 s[0:1], vcc, s[34:35]
	s_and_saveexec_b64 s[2:3], s[0:1]
	s_cbranch_execz .LBB317_187
; %bb.185:
	v_add_co_u32_e32 v0, vcc, v2, v4
	v_addc_co_u32_e64 v1, s[0:1], 0, 0, vcc
	v_add_co_u32_e32 v0, vcc, v0, v6
	v_mov_b32_e32 v3, 0
	v_addc_co_u32_e32 v1, vcc, v1, v7, vcc
	s_cmpk_lg_i32 s33, 0xf00
	global_store_dwordx2 v3, v[0:1], s[54:55]
	s_cbranch_scc1 .LBB317_187
; %bb.186:
	v_lshlrev_b64 v[0:1], 2, v[2:3]
	v_add_co_u32_e32 v0, vcc, v5, v0
	v_addc_co_u32_e32 v1, vcc, v12, v1, vcc
	global_store_dword v[0:1], v80, off offset:-4
.LBB317_187:
	s_endpgm
.LBB317_188:
	s_or_b64 exec, exec, s[2:3]
	v_mov_b32_e32 v81, s8
	s_and_saveexec_b64 s[2:3], s[48:49]
	s_cbranch_execnz .LBB317_84
	s_branch .LBB317_85
.LBB317_189:
	s_and_saveexec_b64 s[40:41], s[28:29]
	s_cbranch_execnz .LBB317_257
; %bb.190:
	s_or_b64 exec, exec, s[40:41]
	s_and_saveexec_b64 s[40:41], s[26:27]
	s_cbranch_execnz .LBB317_258
.LBB317_191:
	s_or_b64 exec, exec, s[40:41]
	s_and_saveexec_b64 s[40:41], s[24:25]
	s_cbranch_execnz .LBB317_259
.LBB317_192:
	s_or_b64 exec, exec, s[40:41]
	s_and_saveexec_b64 s[40:41], s[22:23]
	s_cbranch_execnz .LBB317_260
.LBB317_193:
	s_or_b64 exec, exec, s[40:41]
	s_and_saveexec_b64 s[40:41], s[20:21]
	s_cbranch_execnz .LBB317_261
.LBB317_194:
	s_or_b64 exec, exec, s[40:41]
	s_and_saveexec_b64 s[40:41], s[18:19]
	s_cbranch_execnz .LBB317_262
.LBB317_195:
	s_or_b64 exec, exec, s[40:41]
	s_and_saveexec_b64 s[40:41], s[16:17]
	s_cbranch_execnz .LBB317_263
.LBB317_196:
	s_or_b64 exec, exec, s[40:41]
	s_and_saveexec_b64 s[40:41], s[14:15]
	s_cbranch_execnz .LBB317_264
.LBB317_197:
	s_or_b64 exec, exec, s[40:41]
	s_and_saveexec_b64 s[40:41], s[12:13]
	s_cbranch_execnz .LBB317_265
.LBB317_198:
	s_or_b64 exec, exec, s[40:41]
	s_and_saveexec_b64 s[40:41], s[10:11]
	s_cbranch_execnz .LBB317_266
.LBB317_199:
	s_or_b64 exec, exec, s[40:41]
	s_and_saveexec_b64 s[40:41], s[8:9]
	s_cbranch_execnz .LBB317_267
.LBB317_200:
	s_or_b64 exec, exec, s[40:41]
	s_and_saveexec_b64 s[40:41], s[6:7]
	s_cbranch_execnz .LBB317_268
.LBB317_201:
	s_or_b64 exec, exec, s[40:41]
	s_and_saveexec_b64 s[40:41], s[4:5]
	s_cbranch_execnz .LBB317_269
.LBB317_202:
	s_or_b64 exec, exec, s[40:41]
	s_and_saveexec_b64 s[40:41], s[2:3]
	s_cbranch_execz .LBB317_204
.LBB317_203:
	v_sub_u32_e32 v28, v36, v4
	v_mov_b32_e32 v29, 0
	v_lshlrev_b64 v[28:29], 2, v[28:29]
	v_add_co_u32_e32 v28, vcc, v3, v28
	v_addc_co_u32_e32 v29, vcc, v5, v29, vcc
	global_store_dword v[28:29], v9, off
.LBB317_204:
	s_or_b64 exec, exec, s[40:41]
	s_and_b64 s[40:41], s[0:1], exec
	s_andn2_saveexec_b64 s[30:31], s[30:31]
	s_cbranch_execz .LBB317_130
.LBB317_205:
	v_sub_u32_e32 v28, v64, v4
	v_mov_b32_e32 v29, 0
	v_lshlrev_b64 v[32:33], 2, v[28:29]
	v_add_co_u32_e32 v32, vcc, v3, v32
	v_addc_co_u32_e32 v33, vcc, v5, v33, vcc
	v_sub_u32_e32 v28, v62, v4
	global_store_dword v[32:33], v20, off
	v_lshlrev_b64 v[32:33], 2, v[28:29]
	v_add_co_u32_e32 v32, vcc, v3, v32
	v_addc_co_u32_e32 v33, vcc, v5, v33, vcc
	v_sub_u32_e32 v28, v60, v4
	global_store_dword v[32:33], v21, off
	;; [unrolled: 5-line block ×12, first 2 shown]
	v_lshlrev_b64 v[32:33], 2, v[28:29]
	v_add_co_u32_e32 v32, vcc, v3, v32
	v_sub_u32_e32 v28, v36, v4
	v_addc_co_u32_e32 v33, vcc, v5, v33, vcc
	v_lshlrev_b64 v[28:29], 2, v[28:29]
	v_add_co_u32_e32 v28, vcc, v3, v28
	v_addc_co_u32_e32 v29, vcc, v5, v29, vcc
	s_or_b64 s[40:41], s[40:41], exec
	global_store_dword v[32:33], v8, off
	global_store_dword v[28:29], v9, off
	s_or_b64 exec, exec, s[30:31]
	s_and_b64 exec, exec, s[40:41]
	s_cbranch_execnz .LBB317_131
	s_branch .LBB317_132
.LBB317_206:
	s_and_saveexec_b64 s[40:41], s[28:29]
	s_cbranch_execnz .LBB317_270
; %bb.207:
	s_or_b64 exec, exec, s[40:41]
	s_and_saveexec_b64 s[28:29], s[26:27]
	s_cbranch_execnz .LBB317_271
.LBB317_208:
	s_or_b64 exec, exec, s[28:29]
	s_and_saveexec_b64 s[26:27], s[24:25]
	s_cbranch_execnz .LBB317_272
.LBB317_209:
	s_or_b64 exec, exec, s[26:27]
	s_and_saveexec_b64 s[24:25], s[22:23]
	s_cbranch_execnz .LBB317_273
.LBB317_210:
	s_or_b64 exec, exec, s[24:25]
	s_and_saveexec_b64 s[22:23], s[20:21]
	s_cbranch_execnz .LBB317_274
.LBB317_211:
	s_or_b64 exec, exec, s[22:23]
	s_and_saveexec_b64 s[20:21], s[18:19]
	s_cbranch_execnz .LBB317_275
.LBB317_212:
	s_or_b64 exec, exec, s[20:21]
	s_and_saveexec_b64 s[18:19], s[16:17]
	s_cbranch_execnz .LBB317_276
.LBB317_213:
	s_or_b64 exec, exec, s[18:19]
	s_and_saveexec_b64 s[16:17], s[14:15]
	s_cbranch_execnz .LBB317_277
.LBB317_214:
	s_or_b64 exec, exec, s[16:17]
	s_and_saveexec_b64 s[14:15], s[12:13]
	s_cbranch_execnz .LBB317_278
.LBB317_215:
	s_or_b64 exec, exec, s[14:15]
	s_and_saveexec_b64 s[12:13], s[10:11]
	s_cbranch_execnz .LBB317_279
.LBB317_216:
	s_or_b64 exec, exec, s[12:13]
	s_and_saveexec_b64 s[10:11], s[8:9]
	s_cbranch_execnz .LBB317_280
.LBB317_217:
	s_or_b64 exec, exec, s[10:11]
	s_and_saveexec_b64 s[8:9], s[6:7]
	s_cbranch_execnz .LBB317_281
.LBB317_218:
	s_or_b64 exec, exec, s[8:9]
	s_and_saveexec_b64 s[6:7], s[4:5]
	s_cbranch_execnz .LBB317_282
.LBB317_219:
	s_or_b64 exec, exec, s[6:7]
	s_and_saveexec_b64 s[4:5], s[2:3]
	s_cbranch_execz .LBB317_221
.LBB317_220:
	v_sub_u32_e32 v8, v36, v4
	v_lshlrev_b32_e32 v8, 2, v8
	ds_write_b32 v8, v9
.LBB317_221:
	s_or_b64 exec, exec, s[4:5]
	s_and_b64 s[40:41], s[0:1], exec
                                        ; implicit-def: $vgpr8
                                        ; implicit-def: $vgpr10
                                        ; implicit-def: $vgpr12
                                        ; implicit-def: $vgpr14
                                        ; implicit-def: $vgpr16
                                        ; implicit-def: $vgpr18
                                        ; implicit-def: $vgpr20
	s_andn2_saveexec_b64 s[0:1], s[38:39]
	s_cbranch_execz .LBB317_137
.LBB317_222:
	v_sub_u32_e32 v26, v64, v4
	v_lshlrev_b32_e32 v26, 2, v26
	ds_write_b32 v26, v20
	v_sub_u32_e32 v20, v62, v4
	v_lshlrev_b32_e32 v20, 2, v20
	ds_write_b32 v20, v21
	;; [unrolled: 3-line block ×13, first 2 shown]
	v_sub_u32_e32 v8, v36, v4
	v_lshlrev_b32_e32 v8, 2, v8
	s_or_b64 s[40:41], s[40:41], exec
	ds_write_b32 v8, v9
	s_or_b64 exec, exec, s[0:1]
	s_and_b64 exec, exec, s[40:41]
	s_cbranch_execnz .LBB317_138
	s_branch .LBB317_139
.LBB317_223:
	s_and_saveexec_b64 s[38:39], s[28:29]
	s_cbranch_execnz .LBB317_283
; %bb.224:
	s_or_b64 exec, exec, s[38:39]
	s_and_saveexec_b64 s[38:39], s[26:27]
	s_cbranch_execnz .LBB317_284
.LBB317_225:
	s_or_b64 exec, exec, s[38:39]
	s_and_saveexec_b64 s[38:39], s[24:25]
	s_cbranch_execnz .LBB317_285
.LBB317_226:
	s_or_b64 exec, exec, s[38:39]
	s_and_saveexec_b64 s[38:39], s[22:23]
	s_cbranch_execnz .LBB317_286
.LBB317_227:
	s_or_b64 exec, exec, s[38:39]
	s_and_saveexec_b64 s[38:39], s[20:21]
	s_cbranch_execnz .LBB317_287
.LBB317_228:
	s_or_b64 exec, exec, s[38:39]
	s_and_saveexec_b64 s[38:39], s[18:19]
	s_cbranch_execnz .LBB317_288
.LBB317_229:
	s_or_b64 exec, exec, s[38:39]
	s_and_saveexec_b64 s[38:39], s[16:17]
	s_cbranch_execnz .LBB317_289
.LBB317_230:
	s_or_b64 exec, exec, s[38:39]
	s_and_saveexec_b64 s[38:39], s[14:15]
	s_cbranch_execnz .LBB317_290
.LBB317_231:
	s_or_b64 exec, exec, s[38:39]
	s_and_saveexec_b64 s[38:39], s[12:13]
	s_cbranch_execnz .LBB317_291
.LBB317_232:
	s_or_b64 exec, exec, s[38:39]
	s_and_saveexec_b64 s[38:39], s[10:11]
	s_cbranch_execnz .LBB317_292
.LBB317_233:
	s_or_b64 exec, exec, s[38:39]
	s_and_saveexec_b64 s[38:39], s[8:9]
	s_cbranch_execnz .LBB317_293
.LBB317_234:
	s_or_b64 exec, exec, s[38:39]
	s_and_saveexec_b64 s[38:39], s[6:7]
	s_cbranch_execnz .LBB317_294
.LBB317_235:
	s_or_b64 exec, exec, s[38:39]
	s_and_saveexec_b64 s[38:39], s[4:5]
	s_cbranch_execnz .LBB317_295
.LBB317_236:
	s_or_b64 exec, exec, s[38:39]
	s_and_saveexec_b64 s[38:39], s[2:3]
	s_cbranch_execz .LBB317_238
.LBB317_237:
	v_sub_u32_e32 v16, v36, v9
	v_mov_b32_e32 v17, 0
	v_lshlrev_b64 v[16:17], 2, v[16:17]
	v_add_co_u32_e32 v16, vcc, v13, v16
	v_addc_co_u32_e32 v17, vcc, v14, v17, vcc
	global_store_dword v[16:17], v37, off
.LBB317_238:
	s_or_b64 exec, exec, s[38:39]
	s_and_b64 s[38:39], s[0:1], exec
	s_andn2_saveexec_b64 s[30:31], s[30:31]
	s_cbranch_execz .LBB317_159
.LBB317_239:
	v_sub_u32_e32 v16, v64, v9
	v_mov_b32_e32 v17, 0
	v_lshlrev_b64 v[18:19], 2, v[16:17]
	v_add_co_u32_e32 v18, vcc, v13, v18
	v_addc_co_u32_e32 v19, vcc, v14, v19, vcc
	v_sub_u32_e32 v16, v62, v9
	global_store_dword v[18:19], v65, off
	v_lshlrev_b64 v[18:19], 2, v[16:17]
	v_add_co_u32_e32 v18, vcc, v13, v18
	v_addc_co_u32_e32 v19, vcc, v14, v19, vcc
	v_sub_u32_e32 v16, v60, v9
	global_store_dword v[18:19], v63, off
	;; [unrolled: 5-line block ×12, first 2 shown]
	v_lshlrev_b64 v[18:19], 2, v[16:17]
	v_add_co_u32_e32 v18, vcc, v13, v18
	v_sub_u32_e32 v16, v36, v9
	v_addc_co_u32_e32 v19, vcc, v14, v19, vcc
	v_lshlrev_b64 v[16:17], 2, v[16:17]
	v_add_co_u32_e32 v16, vcc, v13, v16
	v_addc_co_u32_e32 v17, vcc, v14, v17, vcc
	s_or_b64 s[38:39], s[38:39], exec
	global_store_dword v[18:19], v39, off
	global_store_dword v[16:17], v37, off
	s_or_b64 exec, exec, s[30:31]
	s_and_b64 exec, exec, s[38:39]
	s_cbranch_execnz .LBB317_160
	s_branch .LBB317_161
.LBB317_240:
	s_and_saveexec_b64 s[38:39], s[28:29]
	s_cbranch_execnz .LBB317_296
; %bb.241:
	s_or_b64 exec, exec, s[38:39]
	s_and_saveexec_b64 s[28:29], s[26:27]
	s_cbranch_execnz .LBB317_297
.LBB317_242:
	s_or_b64 exec, exec, s[28:29]
	s_and_saveexec_b64 s[26:27], s[24:25]
	s_cbranch_execnz .LBB317_298
.LBB317_243:
	s_or_b64 exec, exec, s[26:27]
	s_and_saveexec_b64 s[24:25], s[22:23]
	s_cbranch_execnz .LBB317_299
.LBB317_244:
	s_or_b64 exec, exec, s[24:25]
	s_and_saveexec_b64 s[22:23], s[20:21]
	s_cbranch_execnz .LBB317_300
.LBB317_245:
	s_or_b64 exec, exec, s[22:23]
	s_and_saveexec_b64 s[20:21], s[18:19]
	s_cbranch_execnz .LBB317_301
.LBB317_246:
	s_or_b64 exec, exec, s[20:21]
	s_and_saveexec_b64 s[18:19], s[16:17]
	s_cbranch_execnz .LBB317_302
.LBB317_247:
	s_or_b64 exec, exec, s[18:19]
	s_and_saveexec_b64 s[16:17], s[14:15]
	s_cbranch_execnz .LBB317_303
.LBB317_248:
	s_or_b64 exec, exec, s[16:17]
	s_and_saveexec_b64 s[14:15], s[12:13]
	s_cbranch_execnz .LBB317_304
.LBB317_249:
	s_or_b64 exec, exec, s[14:15]
	s_and_saveexec_b64 s[12:13], s[10:11]
	s_cbranch_execnz .LBB317_305
.LBB317_250:
	s_or_b64 exec, exec, s[12:13]
	s_and_saveexec_b64 s[10:11], s[8:9]
	s_cbranch_execnz .LBB317_306
.LBB317_251:
	s_or_b64 exec, exec, s[10:11]
	s_and_saveexec_b64 s[8:9], s[6:7]
	s_cbranch_execnz .LBB317_307
.LBB317_252:
	s_or_b64 exec, exec, s[8:9]
	s_and_saveexec_b64 s[6:7], s[4:5]
	s_cbranch_execnz .LBB317_308
.LBB317_253:
	s_or_b64 exec, exec, s[6:7]
	s_and_saveexec_b64 s[4:5], s[2:3]
	s_cbranch_execz .LBB317_255
.LBB317_254:
	v_sub_u32_e32 v10, v36, v9
	v_lshlrev_b32_e32 v10, 2, v10
	ds_write_b32 v10, v37
.LBB317_255:
	s_or_b64 exec, exec, s[4:5]
	s_and_b64 s[38:39], s[0:1], exec
                                        ; implicit-def: $vgpr64_vgpr65
                                        ; implicit-def: $vgpr62_vgpr63
                                        ; implicit-def: $vgpr60_vgpr61
                                        ; implicit-def: $vgpr58_vgpr59
                                        ; implicit-def: $vgpr56_vgpr57
                                        ; implicit-def: $vgpr54_vgpr55
                                        ; implicit-def: $vgpr52_vgpr53
                                        ; implicit-def: $vgpr50_vgpr51
                                        ; implicit-def: $vgpr48_vgpr49
                                        ; implicit-def: $vgpr46_vgpr47
                                        ; implicit-def: $vgpr44_vgpr45
                                        ; implicit-def: $vgpr42_vgpr43
                                        ; implicit-def: $vgpr38_vgpr39
                                        ; implicit-def: $vgpr36_vgpr37
	s_andn2_saveexec_b64 s[0:1], s[36:37]
	s_cbranch_execz .LBB317_166
.LBB317_256:
	v_sub_u32_e32 v10, v64, v9
	v_lshlrev_b32_e32 v10, 2, v10
	ds_write_b32 v10, v65
	v_sub_u32_e32 v10, v62, v9
	v_lshlrev_b32_e32 v10, 2, v10
	ds_write_b32 v10, v63
	;; [unrolled: 3-line block ×13, first 2 shown]
	v_sub_u32_e32 v10, v36, v9
	v_lshlrev_b32_e32 v10, 2, v10
	s_or_b64 s[38:39], s[38:39], exec
	ds_write_b32 v10, v37
	s_or_b64 exec, exec, s[0:1]
	s_and_b64 exec, exec, s[38:39]
	s_cbranch_execnz .LBB317_167
	s_branch .LBB317_168
.LBB317_257:
	v_sub_u32_e32 v28, v64, v4
	v_mov_b32_e32 v29, 0
	v_lshlrev_b64 v[28:29], 2, v[28:29]
	v_add_co_u32_e32 v28, vcc, v3, v28
	v_addc_co_u32_e32 v29, vcc, v5, v29, vcc
	global_store_dword v[28:29], v20, off
	s_or_b64 exec, exec, s[40:41]
	s_and_saveexec_b64 s[40:41], s[26:27]
	s_cbranch_execz .LBB317_191
.LBB317_258:
	v_sub_u32_e32 v28, v62, v4
	v_mov_b32_e32 v29, 0
	v_lshlrev_b64 v[28:29], 2, v[28:29]
	v_add_co_u32_e32 v28, vcc, v3, v28
	v_addc_co_u32_e32 v29, vcc, v5, v29, vcc
	global_store_dword v[28:29], v21, off
	s_or_b64 exec, exec, s[40:41]
	s_and_saveexec_b64 s[40:41], s[24:25]
	s_cbranch_execz .LBB317_192
.LBB317_259:
	v_sub_u32_e32 v28, v60, v4
	v_mov_b32_e32 v29, 0
	v_lshlrev_b64 v[28:29], 2, v[28:29]
	v_add_co_u32_e32 v28, vcc, v3, v28
	v_addc_co_u32_e32 v29, vcc, v5, v29, vcc
	global_store_dword v[28:29], v18, off
	s_or_b64 exec, exec, s[40:41]
	s_and_saveexec_b64 s[40:41], s[22:23]
	s_cbranch_execz .LBB317_193
.LBB317_260:
	v_sub_u32_e32 v28, v58, v4
	v_mov_b32_e32 v29, 0
	v_lshlrev_b64 v[28:29], 2, v[28:29]
	v_add_co_u32_e32 v28, vcc, v3, v28
	v_addc_co_u32_e32 v29, vcc, v5, v29, vcc
	global_store_dword v[28:29], v19, off
	s_or_b64 exec, exec, s[40:41]
	s_and_saveexec_b64 s[40:41], s[20:21]
	s_cbranch_execz .LBB317_194
.LBB317_261:
	v_sub_u32_e32 v28, v56, v4
	v_mov_b32_e32 v29, 0
	v_lshlrev_b64 v[28:29], 2, v[28:29]
	v_add_co_u32_e32 v28, vcc, v3, v28
	v_addc_co_u32_e32 v29, vcc, v5, v29, vcc
	global_store_dword v[28:29], v16, off
	s_or_b64 exec, exec, s[40:41]
	s_and_saveexec_b64 s[40:41], s[18:19]
	s_cbranch_execz .LBB317_195
.LBB317_262:
	v_sub_u32_e32 v28, v54, v4
	v_mov_b32_e32 v29, 0
	v_lshlrev_b64 v[28:29], 2, v[28:29]
	v_add_co_u32_e32 v28, vcc, v3, v28
	v_addc_co_u32_e32 v29, vcc, v5, v29, vcc
	global_store_dword v[28:29], v17, off
	s_or_b64 exec, exec, s[40:41]
	s_and_saveexec_b64 s[40:41], s[16:17]
	s_cbranch_execz .LBB317_196
.LBB317_263:
	v_sub_u32_e32 v28, v52, v4
	v_mov_b32_e32 v29, 0
	v_lshlrev_b64 v[28:29], 2, v[28:29]
	v_add_co_u32_e32 v28, vcc, v3, v28
	v_addc_co_u32_e32 v29, vcc, v5, v29, vcc
	global_store_dword v[28:29], v14, off
	s_or_b64 exec, exec, s[40:41]
	s_and_saveexec_b64 s[40:41], s[14:15]
	s_cbranch_execz .LBB317_197
.LBB317_264:
	v_sub_u32_e32 v28, v50, v4
	v_mov_b32_e32 v29, 0
	v_lshlrev_b64 v[28:29], 2, v[28:29]
	v_add_co_u32_e32 v28, vcc, v3, v28
	v_addc_co_u32_e32 v29, vcc, v5, v29, vcc
	global_store_dword v[28:29], v15, off
	s_or_b64 exec, exec, s[40:41]
	s_and_saveexec_b64 s[40:41], s[12:13]
	s_cbranch_execz .LBB317_198
.LBB317_265:
	v_sub_u32_e32 v28, v48, v4
	v_mov_b32_e32 v29, 0
	v_lshlrev_b64 v[28:29], 2, v[28:29]
	v_add_co_u32_e32 v28, vcc, v3, v28
	v_addc_co_u32_e32 v29, vcc, v5, v29, vcc
	global_store_dword v[28:29], v12, off
	s_or_b64 exec, exec, s[40:41]
	s_and_saveexec_b64 s[40:41], s[10:11]
	s_cbranch_execz .LBB317_199
.LBB317_266:
	v_sub_u32_e32 v28, v46, v4
	v_mov_b32_e32 v29, 0
	v_lshlrev_b64 v[28:29], 2, v[28:29]
	v_add_co_u32_e32 v28, vcc, v3, v28
	v_addc_co_u32_e32 v29, vcc, v5, v29, vcc
	global_store_dword v[28:29], v13, off
	s_or_b64 exec, exec, s[40:41]
	s_and_saveexec_b64 s[40:41], s[8:9]
	s_cbranch_execz .LBB317_200
.LBB317_267:
	v_sub_u32_e32 v28, v44, v4
	v_mov_b32_e32 v29, 0
	v_lshlrev_b64 v[28:29], 2, v[28:29]
	v_add_co_u32_e32 v28, vcc, v3, v28
	v_addc_co_u32_e32 v29, vcc, v5, v29, vcc
	global_store_dword v[28:29], v10, off
	s_or_b64 exec, exec, s[40:41]
	s_and_saveexec_b64 s[40:41], s[6:7]
	s_cbranch_execz .LBB317_201
.LBB317_268:
	v_sub_u32_e32 v28, v42, v4
	v_mov_b32_e32 v29, 0
	v_lshlrev_b64 v[28:29], 2, v[28:29]
	v_add_co_u32_e32 v28, vcc, v3, v28
	v_addc_co_u32_e32 v29, vcc, v5, v29, vcc
	global_store_dword v[28:29], v11, off
	s_or_b64 exec, exec, s[40:41]
	s_and_saveexec_b64 s[40:41], s[4:5]
	s_cbranch_execz .LBB317_202
.LBB317_269:
	v_sub_u32_e32 v28, v38, v4
	v_mov_b32_e32 v29, 0
	v_lshlrev_b64 v[28:29], 2, v[28:29]
	v_add_co_u32_e32 v28, vcc, v3, v28
	v_addc_co_u32_e32 v29, vcc, v5, v29, vcc
	global_store_dword v[28:29], v8, off
	s_or_b64 exec, exec, s[40:41]
	s_and_saveexec_b64 s[40:41], s[2:3]
	s_cbranch_execnz .LBB317_203
	s_branch .LBB317_204
.LBB317_270:
	v_sub_u32_e32 v26, v64, v4
	v_lshlrev_b32_e32 v26, 2, v26
	ds_write_b32 v26, v20
	s_or_b64 exec, exec, s[40:41]
	s_and_saveexec_b64 s[28:29], s[26:27]
	s_cbranch_execz .LBB317_208
.LBB317_271:
	v_sub_u32_e32 v20, v62, v4
	v_lshlrev_b32_e32 v20, 2, v20
	ds_write_b32 v20, v21
	s_or_b64 exec, exec, s[28:29]
	s_and_saveexec_b64 s[26:27], s[24:25]
	s_cbranch_execz .LBB317_209
.LBB317_272:
	v_sub_u32_e32 v20, v60, v4
	v_lshlrev_b32_e32 v20, 2, v20
	ds_write_b32 v20, v18
	s_or_b64 exec, exec, s[26:27]
	s_and_saveexec_b64 s[24:25], s[22:23]
	s_cbranch_execz .LBB317_210
.LBB317_273:
	v_sub_u32_e32 v18, v58, v4
	v_lshlrev_b32_e32 v18, 2, v18
	ds_write_b32 v18, v19
	s_or_b64 exec, exec, s[24:25]
	s_and_saveexec_b64 s[22:23], s[20:21]
	s_cbranch_execz .LBB317_211
.LBB317_274:
	v_sub_u32_e32 v18, v56, v4
	v_lshlrev_b32_e32 v18, 2, v18
	ds_write_b32 v18, v16
	s_or_b64 exec, exec, s[22:23]
	s_and_saveexec_b64 s[20:21], s[18:19]
	s_cbranch_execz .LBB317_212
.LBB317_275:
	v_sub_u32_e32 v16, v54, v4
	v_lshlrev_b32_e32 v16, 2, v16
	ds_write_b32 v16, v17
	s_or_b64 exec, exec, s[20:21]
	s_and_saveexec_b64 s[18:19], s[16:17]
	s_cbranch_execz .LBB317_213
.LBB317_276:
	v_sub_u32_e32 v16, v52, v4
	v_lshlrev_b32_e32 v16, 2, v16
	ds_write_b32 v16, v14
	s_or_b64 exec, exec, s[18:19]
	s_and_saveexec_b64 s[16:17], s[14:15]
	s_cbranch_execz .LBB317_214
.LBB317_277:
	v_sub_u32_e32 v14, v50, v4
	v_lshlrev_b32_e32 v14, 2, v14
	ds_write_b32 v14, v15
	s_or_b64 exec, exec, s[16:17]
	s_and_saveexec_b64 s[14:15], s[12:13]
	s_cbranch_execz .LBB317_215
.LBB317_278:
	v_sub_u32_e32 v14, v48, v4
	v_lshlrev_b32_e32 v14, 2, v14
	ds_write_b32 v14, v12
	s_or_b64 exec, exec, s[14:15]
	s_and_saveexec_b64 s[12:13], s[10:11]
	s_cbranch_execz .LBB317_216
.LBB317_279:
	v_sub_u32_e32 v12, v46, v4
	v_lshlrev_b32_e32 v12, 2, v12
	ds_write_b32 v12, v13
	s_or_b64 exec, exec, s[12:13]
	s_and_saveexec_b64 s[10:11], s[8:9]
	s_cbranch_execz .LBB317_217
.LBB317_280:
	v_sub_u32_e32 v12, v44, v4
	v_lshlrev_b32_e32 v12, 2, v12
	ds_write_b32 v12, v10
	s_or_b64 exec, exec, s[10:11]
	s_and_saveexec_b64 s[8:9], s[6:7]
	s_cbranch_execz .LBB317_218
.LBB317_281:
	v_sub_u32_e32 v10, v42, v4
	v_lshlrev_b32_e32 v10, 2, v10
	ds_write_b32 v10, v11
	s_or_b64 exec, exec, s[8:9]
	s_and_saveexec_b64 s[6:7], s[4:5]
	s_cbranch_execz .LBB317_219
.LBB317_282:
	v_sub_u32_e32 v10, v38, v4
	v_lshlrev_b32_e32 v10, 2, v10
	ds_write_b32 v10, v8
	s_or_b64 exec, exec, s[6:7]
	s_and_saveexec_b64 s[4:5], s[2:3]
	s_cbranch_execnz .LBB317_220
	s_branch .LBB317_221
.LBB317_283:
	v_sub_u32_e32 v16, v64, v9
	v_mov_b32_e32 v17, 0
	v_lshlrev_b64 v[16:17], 2, v[16:17]
	v_add_co_u32_e32 v16, vcc, v13, v16
	v_addc_co_u32_e32 v17, vcc, v14, v17, vcc
	global_store_dword v[16:17], v65, off
	s_or_b64 exec, exec, s[38:39]
	s_and_saveexec_b64 s[38:39], s[26:27]
	s_cbranch_execz .LBB317_225
.LBB317_284:
	v_sub_u32_e32 v16, v62, v9
	v_mov_b32_e32 v17, 0
	v_lshlrev_b64 v[16:17], 2, v[16:17]
	v_add_co_u32_e32 v16, vcc, v13, v16
	v_addc_co_u32_e32 v17, vcc, v14, v17, vcc
	global_store_dword v[16:17], v63, off
	s_or_b64 exec, exec, s[38:39]
	s_and_saveexec_b64 s[38:39], s[24:25]
	s_cbranch_execz .LBB317_226
.LBB317_285:
	v_sub_u32_e32 v16, v60, v9
	v_mov_b32_e32 v17, 0
	v_lshlrev_b64 v[16:17], 2, v[16:17]
	v_add_co_u32_e32 v16, vcc, v13, v16
	v_addc_co_u32_e32 v17, vcc, v14, v17, vcc
	global_store_dword v[16:17], v61, off
	s_or_b64 exec, exec, s[38:39]
	s_and_saveexec_b64 s[38:39], s[22:23]
	s_cbranch_execz .LBB317_227
.LBB317_286:
	v_sub_u32_e32 v16, v58, v9
	v_mov_b32_e32 v17, 0
	v_lshlrev_b64 v[16:17], 2, v[16:17]
	v_add_co_u32_e32 v16, vcc, v13, v16
	v_addc_co_u32_e32 v17, vcc, v14, v17, vcc
	global_store_dword v[16:17], v59, off
	s_or_b64 exec, exec, s[38:39]
	s_and_saveexec_b64 s[38:39], s[20:21]
	s_cbranch_execz .LBB317_228
.LBB317_287:
	v_sub_u32_e32 v16, v56, v9
	v_mov_b32_e32 v17, 0
	v_lshlrev_b64 v[16:17], 2, v[16:17]
	v_add_co_u32_e32 v16, vcc, v13, v16
	v_addc_co_u32_e32 v17, vcc, v14, v17, vcc
	global_store_dword v[16:17], v57, off
	s_or_b64 exec, exec, s[38:39]
	s_and_saveexec_b64 s[38:39], s[18:19]
	s_cbranch_execz .LBB317_229
.LBB317_288:
	v_sub_u32_e32 v16, v54, v9
	v_mov_b32_e32 v17, 0
	v_lshlrev_b64 v[16:17], 2, v[16:17]
	v_add_co_u32_e32 v16, vcc, v13, v16
	v_addc_co_u32_e32 v17, vcc, v14, v17, vcc
	global_store_dword v[16:17], v55, off
	s_or_b64 exec, exec, s[38:39]
	s_and_saveexec_b64 s[38:39], s[16:17]
	s_cbranch_execz .LBB317_230
.LBB317_289:
	v_sub_u32_e32 v16, v52, v9
	v_mov_b32_e32 v17, 0
	v_lshlrev_b64 v[16:17], 2, v[16:17]
	v_add_co_u32_e32 v16, vcc, v13, v16
	v_addc_co_u32_e32 v17, vcc, v14, v17, vcc
	global_store_dword v[16:17], v53, off
	s_or_b64 exec, exec, s[38:39]
	s_and_saveexec_b64 s[38:39], s[14:15]
	s_cbranch_execz .LBB317_231
.LBB317_290:
	v_sub_u32_e32 v16, v50, v9
	v_mov_b32_e32 v17, 0
	v_lshlrev_b64 v[16:17], 2, v[16:17]
	v_add_co_u32_e32 v16, vcc, v13, v16
	v_addc_co_u32_e32 v17, vcc, v14, v17, vcc
	global_store_dword v[16:17], v51, off
	s_or_b64 exec, exec, s[38:39]
	s_and_saveexec_b64 s[38:39], s[12:13]
	s_cbranch_execz .LBB317_232
.LBB317_291:
	v_sub_u32_e32 v16, v48, v9
	v_mov_b32_e32 v17, 0
	v_lshlrev_b64 v[16:17], 2, v[16:17]
	v_add_co_u32_e32 v16, vcc, v13, v16
	v_addc_co_u32_e32 v17, vcc, v14, v17, vcc
	global_store_dword v[16:17], v49, off
	s_or_b64 exec, exec, s[38:39]
	s_and_saveexec_b64 s[38:39], s[10:11]
	s_cbranch_execz .LBB317_233
.LBB317_292:
	v_sub_u32_e32 v16, v46, v9
	v_mov_b32_e32 v17, 0
	v_lshlrev_b64 v[16:17], 2, v[16:17]
	v_add_co_u32_e32 v16, vcc, v13, v16
	v_addc_co_u32_e32 v17, vcc, v14, v17, vcc
	global_store_dword v[16:17], v47, off
	s_or_b64 exec, exec, s[38:39]
	s_and_saveexec_b64 s[38:39], s[8:9]
	s_cbranch_execz .LBB317_234
.LBB317_293:
	v_sub_u32_e32 v16, v44, v9
	v_mov_b32_e32 v17, 0
	v_lshlrev_b64 v[16:17], 2, v[16:17]
	v_add_co_u32_e32 v16, vcc, v13, v16
	v_addc_co_u32_e32 v17, vcc, v14, v17, vcc
	global_store_dword v[16:17], v45, off
	s_or_b64 exec, exec, s[38:39]
	s_and_saveexec_b64 s[38:39], s[6:7]
	s_cbranch_execz .LBB317_235
.LBB317_294:
	v_sub_u32_e32 v16, v42, v9
	v_mov_b32_e32 v17, 0
	v_lshlrev_b64 v[16:17], 2, v[16:17]
	v_add_co_u32_e32 v16, vcc, v13, v16
	v_addc_co_u32_e32 v17, vcc, v14, v17, vcc
	global_store_dword v[16:17], v43, off
	s_or_b64 exec, exec, s[38:39]
	s_and_saveexec_b64 s[38:39], s[4:5]
	s_cbranch_execz .LBB317_236
.LBB317_295:
	v_sub_u32_e32 v16, v38, v9
	v_mov_b32_e32 v17, 0
	v_lshlrev_b64 v[16:17], 2, v[16:17]
	v_add_co_u32_e32 v16, vcc, v13, v16
	v_addc_co_u32_e32 v17, vcc, v14, v17, vcc
	global_store_dword v[16:17], v39, off
	s_or_b64 exec, exec, s[38:39]
	s_and_saveexec_b64 s[38:39], s[2:3]
	s_cbranch_execnz .LBB317_237
	s_branch .LBB317_238
.LBB317_296:
	v_sub_u32_e32 v10, v64, v9
	v_lshlrev_b32_e32 v10, 2, v10
	ds_write_b32 v10, v65
	s_or_b64 exec, exec, s[38:39]
	s_and_saveexec_b64 s[28:29], s[26:27]
	s_cbranch_execz .LBB317_242
.LBB317_297:
	v_sub_u32_e32 v10, v62, v9
	v_lshlrev_b32_e32 v10, 2, v10
	ds_write_b32 v10, v63
	s_or_b64 exec, exec, s[28:29]
	s_and_saveexec_b64 s[26:27], s[24:25]
	s_cbranch_execz .LBB317_243
.LBB317_298:
	v_sub_u32_e32 v10, v60, v9
	v_lshlrev_b32_e32 v10, 2, v10
	ds_write_b32 v10, v61
	s_or_b64 exec, exec, s[26:27]
	s_and_saveexec_b64 s[24:25], s[22:23]
	s_cbranch_execz .LBB317_244
.LBB317_299:
	v_sub_u32_e32 v10, v58, v9
	v_lshlrev_b32_e32 v10, 2, v10
	ds_write_b32 v10, v59
	s_or_b64 exec, exec, s[24:25]
	s_and_saveexec_b64 s[22:23], s[20:21]
	s_cbranch_execz .LBB317_245
.LBB317_300:
	v_sub_u32_e32 v10, v56, v9
	v_lshlrev_b32_e32 v10, 2, v10
	ds_write_b32 v10, v57
	s_or_b64 exec, exec, s[22:23]
	s_and_saveexec_b64 s[20:21], s[18:19]
	s_cbranch_execz .LBB317_246
.LBB317_301:
	v_sub_u32_e32 v10, v54, v9
	v_lshlrev_b32_e32 v10, 2, v10
	ds_write_b32 v10, v55
	s_or_b64 exec, exec, s[20:21]
	s_and_saveexec_b64 s[18:19], s[16:17]
	s_cbranch_execz .LBB317_247
.LBB317_302:
	v_sub_u32_e32 v10, v52, v9
	v_lshlrev_b32_e32 v10, 2, v10
	ds_write_b32 v10, v53
	s_or_b64 exec, exec, s[18:19]
	s_and_saveexec_b64 s[16:17], s[14:15]
	s_cbranch_execz .LBB317_248
.LBB317_303:
	v_sub_u32_e32 v10, v50, v9
	v_lshlrev_b32_e32 v10, 2, v10
	ds_write_b32 v10, v51
	s_or_b64 exec, exec, s[16:17]
	s_and_saveexec_b64 s[14:15], s[12:13]
	s_cbranch_execz .LBB317_249
.LBB317_304:
	v_sub_u32_e32 v10, v48, v9
	v_lshlrev_b32_e32 v10, 2, v10
	ds_write_b32 v10, v49
	s_or_b64 exec, exec, s[14:15]
	s_and_saveexec_b64 s[12:13], s[10:11]
	s_cbranch_execz .LBB317_250
.LBB317_305:
	v_sub_u32_e32 v10, v46, v9
	v_lshlrev_b32_e32 v10, 2, v10
	ds_write_b32 v10, v47
	s_or_b64 exec, exec, s[12:13]
	s_and_saveexec_b64 s[10:11], s[8:9]
	s_cbranch_execz .LBB317_251
.LBB317_306:
	v_sub_u32_e32 v10, v44, v9
	v_lshlrev_b32_e32 v10, 2, v10
	ds_write_b32 v10, v45
	s_or_b64 exec, exec, s[10:11]
	s_and_saveexec_b64 s[8:9], s[6:7]
	s_cbranch_execz .LBB317_252
.LBB317_307:
	v_sub_u32_e32 v10, v42, v9
	v_lshlrev_b32_e32 v10, 2, v10
	ds_write_b32 v10, v43
	s_or_b64 exec, exec, s[8:9]
	s_and_saveexec_b64 s[6:7], s[4:5]
	s_cbranch_execz .LBB317_253
.LBB317_308:
	v_sub_u32_e32 v10, v38, v9
	v_lshlrev_b32_e32 v10, 2, v10
	ds_write_b32 v10, v39
	s_or_b64 exec, exec, s[6:7]
	s_and_saveexec_b64 s[4:5], s[2:3]
	s_cbranch_execnz .LBB317_254
	s_branch .LBB317_255
	.section	.rodata,"a",@progbits
	.p2align	6, 0x0
	.amdhsa_kernel _ZN7rocprim17ROCPRIM_400000_NS6detail17trampoline_kernelINS0_14default_configENS1_29reduce_by_key_config_selectorIjjN6thrust23THRUST_200600_302600_NS4plusIjEEEEZZNS1_33reduce_by_key_impl_wrapped_configILNS1_25lookback_scan_determinismE0ES3_S9_NS6_6detail15normal_iteratorINS6_10device_ptrIjEEEESG_SG_SG_PmS8_NS6_8equal_toIjEEEE10hipError_tPvRmT2_T3_mT4_T5_T6_T7_T8_P12ihipStream_tbENKUlT_T0_E_clISt17integral_constantIbLb0EES11_EEDaSW_SX_EUlSW_E_NS1_11comp_targetILNS1_3genE4ELNS1_11target_archE910ELNS1_3gpuE8ELNS1_3repE0EEENS1_30default_config_static_selectorELNS0_4arch9wavefront6targetE1EEEvT1_
		.amdhsa_group_segment_fixed_size 15360
		.amdhsa_private_segment_fixed_size 0
		.amdhsa_kernarg_size 120
		.amdhsa_user_sgpr_count 6
		.amdhsa_user_sgpr_private_segment_buffer 1
		.amdhsa_user_sgpr_dispatch_ptr 0
		.amdhsa_user_sgpr_queue_ptr 0
		.amdhsa_user_sgpr_kernarg_segment_ptr 1
		.amdhsa_user_sgpr_dispatch_id 0
		.amdhsa_user_sgpr_flat_scratch_init 0
		.amdhsa_user_sgpr_kernarg_preload_length 0
		.amdhsa_user_sgpr_kernarg_preload_offset 0
		.amdhsa_user_sgpr_private_segment_size 0
		.amdhsa_uses_dynamic_stack 0
		.amdhsa_system_sgpr_private_segment_wavefront_offset 0
		.amdhsa_system_sgpr_workgroup_id_x 1
		.amdhsa_system_sgpr_workgroup_id_y 0
		.amdhsa_system_sgpr_workgroup_id_z 0
		.amdhsa_system_sgpr_workgroup_info 0
		.amdhsa_system_vgpr_workitem_id 0
		.amdhsa_next_free_vgpr 106
		.amdhsa_next_free_sgpr 64
		.amdhsa_accum_offset 108
		.amdhsa_reserve_vcc 1
		.amdhsa_reserve_flat_scratch 0
		.amdhsa_float_round_mode_32 0
		.amdhsa_float_round_mode_16_64 0
		.amdhsa_float_denorm_mode_32 3
		.amdhsa_float_denorm_mode_16_64 3
		.amdhsa_dx10_clamp 1
		.amdhsa_ieee_mode 1
		.amdhsa_fp16_overflow 0
		.amdhsa_tg_split 0
		.amdhsa_exception_fp_ieee_invalid_op 0
		.amdhsa_exception_fp_denorm_src 0
		.amdhsa_exception_fp_ieee_div_zero 0
		.amdhsa_exception_fp_ieee_overflow 0
		.amdhsa_exception_fp_ieee_underflow 0
		.amdhsa_exception_fp_ieee_inexact 0
		.amdhsa_exception_int_div_zero 0
	.end_amdhsa_kernel
	.section	.text._ZN7rocprim17ROCPRIM_400000_NS6detail17trampoline_kernelINS0_14default_configENS1_29reduce_by_key_config_selectorIjjN6thrust23THRUST_200600_302600_NS4plusIjEEEEZZNS1_33reduce_by_key_impl_wrapped_configILNS1_25lookback_scan_determinismE0ES3_S9_NS6_6detail15normal_iteratorINS6_10device_ptrIjEEEESG_SG_SG_PmS8_NS6_8equal_toIjEEEE10hipError_tPvRmT2_T3_mT4_T5_T6_T7_T8_P12ihipStream_tbENKUlT_T0_E_clISt17integral_constantIbLb0EES11_EEDaSW_SX_EUlSW_E_NS1_11comp_targetILNS1_3genE4ELNS1_11target_archE910ELNS1_3gpuE8ELNS1_3repE0EEENS1_30default_config_static_selectorELNS0_4arch9wavefront6targetE1EEEvT1_,"axG",@progbits,_ZN7rocprim17ROCPRIM_400000_NS6detail17trampoline_kernelINS0_14default_configENS1_29reduce_by_key_config_selectorIjjN6thrust23THRUST_200600_302600_NS4plusIjEEEEZZNS1_33reduce_by_key_impl_wrapped_configILNS1_25lookback_scan_determinismE0ES3_S9_NS6_6detail15normal_iteratorINS6_10device_ptrIjEEEESG_SG_SG_PmS8_NS6_8equal_toIjEEEE10hipError_tPvRmT2_T3_mT4_T5_T6_T7_T8_P12ihipStream_tbENKUlT_T0_E_clISt17integral_constantIbLb0EES11_EEDaSW_SX_EUlSW_E_NS1_11comp_targetILNS1_3genE4ELNS1_11target_archE910ELNS1_3gpuE8ELNS1_3repE0EEENS1_30default_config_static_selectorELNS0_4arch9wavefront6targetE1EEEvT1_,comdat
.Lfunc_end317:
	.size	_ZN7rocprim17ROCPRIM_400000_NS6detail17trampoline_kernelINS0_14default_configENS1_29reduce_by_key_config_selectorIjjN6thrust23THRUST_200600_302600_NS4plusIjEEEEZZNS1_33reduce_by_key_impl_wrapped_configILNS1_25lookback_scan_determinismE0ES3_S9_NS6_6detail15normal_iteratorINS6_10device_ptrIjEEEESG_SG_SG_PmS8_NS6_8equal_toIjEEEE10hipError_tPvRmT2_T3_mT4_T5_T6_T7_T8_P12ihipStream_tbENKUlT_T0_E_clISt17integral_constantIbLb0EES11_EEDaSW_SX_EUlSW_E_NS1_11comp_targetILNS1_3genE4ELNS1_11target_archE910ELNS1_3gpuE8ELNS1_3repE0EEENS1_30default_config_static_selectorELNS0_4arch9wavefront6targetE1EEEvT1_, .Lfunc_end317-_ZN7rocprim17ROCPRIM_400000_NS6detail17trampoline_kernelINS0_14default_configENS1_29reduce_by_key_config_selectorIjjN6thrust23THRUST_200600_302600_NS4plusIjEEEEZZNS1_33reduce_by_key_impl_wrapped_configILNS1_25lookback_scan_determinismE0ES3_S9_NS6_6detail15normal_iteratorINS6_10device_ptrIjEEEESG_SG_SG_PmS8_NS6_8equal_toIjEEEE10hipError_tPvRmT2_T3_mT4_T5_T6_T7_T8_P12ihipStream_tbENKUlT_T0_E_clISt17integral_constantIbLb0EES11_EEDaSW_SX_EUlSW_E_NS1_11comp_targetILNS1_3genE4ELNS1_11target_archE910ELNS1_3gpuE8ELNS1_3repE0EEENS1_30default_config_static_selectorELNS0_4arch9wavefront6targetE1EEEvT1_
                                        ; -- End function
	.section	.AMDGPU.csdata,"",@progbits
; Kernel info:
; codeLenInByte = 17140
; NumSgprs: 68
; NumVgprs: 106
; NumAgprs: 0
; TotalNumVgprs: 106
; ScratchSize: 0
; MemoryBound: 0
; FloatMode: 240
; IeeeMode: 1
; LDSByteSize: 15360 bytes/workgroup (compile time only)
; SGPRBlocks: 8
; VGPRBlocks: 13
; NumSGPRsForWavesPerEU: 68
; NumVGPRsForWavesPerEU: 106
; AccumOffset: 108
; Occupancy: 4
; WaveLimiterHint : 1
; COMPUTE_PGM_RSRC2:SCRATCH_EN: 0
; COMPUTE_PGM_RSRC2:USER_SGPR: 6
; COMPUTE_PGM_RSRC2:TRAP_HANDLER: 0
; COMPUTE_PGM_RSRC2:TGID_X_EN: 1
; COMPUTE_PGM_RSRC2:TGID_Y_EN: 0
; COMPUTE_PGM_RSRC2:TGID_Z_EN: 0
; COMPUTE_PGM_RSRC2:TIDIG_COMP_CNT: 0
; COMPUTE_PGM_RSRC3_GFX90A:ACCUM_OFFSET: 26
; COMPUTE_PGM_RSRC3_GFX90A:TG_SPLIT: 0
	.section	.text._ZN7rocprim17ROCPRIM_400000_NS6detail17trampoline_kernelINS0_14default_configENS1_29reduce_by_key_config_selectorIjjN6thrust23THRUST_200600_302600_NS4plusIjEEEEZZNS1_33reduce_by_key_impl_wrapped_configILNS1_25lookback_scan_determinismE0ES3_S9_NS6_6detail15normal_iteratorINS6_10device_ptrIjEEEESG_SG_SG_PmS8_NS6_8equal_toIjEEEE10hipError_tPvRmT2_T3_mT4_T5_T6_T7_T8_P12ihipStream_tbENKUlT_T0_E_clISt17integral_constantIbLb0EES11_EEDaSW_SX_EUlSW_E_NS1_11comp_targetILNS1_3genE3ELNS1_11target_archE908ELNS1_3gpuE7ELNS1_3repE0EEENS1_30default_config_static_selectorELNS0_4arch9wavefront6targetE1EEEvT1_,"axG",@progbits,_ZN7rocprim17ROCPRIM_400000_NS6detail17trampoline_kernelINS0_14default_configENS1_29reduce_by_key_config_selectorIjjN6thrust23THRUST_200600_302600_NS4plusIjEEEEZZNS1_33reduce_by_key_impl_wrapped_configILNS1_25lookback_scan_determinismE0ES3_S9_NS6_6detail15normal_iteratorINS6_10device_ptrIjEEEESG_SG_SG_PmS8_NS6_8equal_toIjEEEE10hipError_tPvRmT2_T3_mT4_T5_T6_T7_T8_P12ihipStream_tbENKUlT_T0_E_clISt17integral_constantIbLb0EES11_EEDaSW_SX_EUlSW_E_NS1_11comp_targetILNS1_3genE3ELNS1_11target_archE908ELNS1_3gpuE7ELNS1_3repE0EEENS1_30default_config_static_selectorELNS0_4arch9wavefront6targetE1EEEvT1_,comdat
	.protected	_ZN7rocprim17ROCPRIM_400000_NS6detail17trampoline_kernelINS0_14default_configENS1_29reduce_by_key_config_selectorIjjN6thrust23THRUST_200600_302600_NS4plusIjEEEEZZNS1_33reduce_by_key_impl_wrapped_configILNS1_25lookback_scan_determinismE0ES3_S9_NS6_6detail15normal_iteratorINS6_10device_ptrIjEEEESG_SG_SG_PmS8_NS6_8equal_toIjEEEE10hipError_tPvRmT2_T3_mT4_T5_T6_T7_T8_P12ihipStream_tbENKUlT_T0_E_clISt17integral_constantIbLb0EES11_EEDaSW_SX_EUlSW_E_NS1_11comp_targetILNS1_3genE3ELNS1_11target_archE908ELNS1_3gpuE7ELNS1_3repE0EEENS1_30default_config_static_selectorELNS0_4arch9wavefront6targetE1EEEvT1_ ; -- Begin function _ZN7rocprim17ROCPRIM_400000_NS6detail17trampoline_kernelINS0_14default_configENS1_29reduce_by_key_config_selectorIjjN6thrust23THRUST_200600_302600_NS4plusIjEEEEZZNS1_33reduce_by_key_impl_wrapped_configILNS1_25lookback_scan_determinismE0ES3_S9_NS6_6detail15normal_iteratorINS6_10device_ptrIjEEEESG_SG_SG_PmS8_NS6_8equal_toIjEEEE10hipError_tPvRmT2_T3_mT4_T5_T6_T7_T8_P12ihipStream_tbENKUlT_T0_E_clISt17integral_constantIbLb0EES11_EEDaSW_SX_EUlSW_E_NS1_11comp_targetILNS1_3genE3ELNS1_11target_archE908ELNS1_3gpuE7ELNS1_3repE0EEENS1_30default_config_static_selectorELNS0_4arch9wavefront6targetE1EEEvT1_
	.globl	_ZN7rocprim17ROCPRIM_400000_NS6detail17trampoline_kernelINS0_14default_configENS1_29reduce_by_key_config_selectorIjjN6thrust23THRUST_200600_302600_NS4plusIjEEEEZZNS1_33reduce_by_key_impl_wrapped_configILNS1_25lookback_scan_determinismE0ES3_S9_NS6_6detail15normal_iteratorINS6_10device_ptrIjEEEESG_SG_SG_PmS8_NS6_8equal_toIjEEEE10hipError_tPvRmT2_T3_mT4_T5_T6_T7_T8_P12ihipStream_tbENKUlT_T0_E_clISt17integral_constantIbLb0EES11_EEDaSW_SX_EUlSW_E_NS1_11comp_targetILNS1_3genE3ELNS1_11target_archE908ELNS1_3gpuE7ELNS1_3repE0EEENS1_30default_config_static_selectorELNS0_4arch9wavefront6targetE1EEEvT1_
	.p2align	8
	.type	_ZN7rocprim17ROCPRIM_400000_NS6detail17trampoline_kernelINS0_14default_configENS1_29reduce_by_key_config_selectorIjjN6thrust23THRUST_200600_302600_NS4plusIjEEEEZZNS1_33reduce_by_key_impl_wrapped_configILNS1_25lookback_scan_determinismE0ES3_S9_NS6_6detail15normal_iteratorINS6_10device_ptrIjEEEESG_SG_SG_PmS8_NS6_8equal_toIjEEEE10hipError_tPvRmT2_T3_mT4_T5_T6_T7_T8_P12ihipStream_tbENKUlT_T0_E_clISt17integral_constantIbLb0EES11_EEDaSW_SX_EUlSW_E_NS1_11comp_targetILNS1_3genE3ELNS1_11target_archE908ELNS1_3gpuE7ELNS1_3repE0EEENS1_30default_config_static_selectorELNS0_4arch9wavefront6targetE1EEEvT1_,@function
_ZN7rocprim17ROCPRIM_400000_NS6detail17trampoline_kernelINS0_14default_configENS1_29reduce_by_key_config_selectorIjjN6thrust23THRUST_200600_302600_NS4plusIjEEEEZZNS1_33reduce_by_key_impl_wrapped_configILNS1_25lookback_scan_determinismE0ES3_S9_NS6_6detail15normal_iteratorINS6_10device_ptrIjEEEESG_SG_SG_PmS8_NS6_8equal_toIjEEEE10hipError_tPvRmT2_T3_mT4_T5_T6_T7_T8_P12ihipStream_tbENKUlT_T0_E_clISt17integral_constantIbLb0EES11_EEDaSW_SX_EUlSW_E_NS1_11comp_targetILNS1_3genE3ELNS1_11target_archE908ELNS1_3gpuE7ELNS1_3repE0EEENS1_30default_config_static_selectorELNS0_4arch9wavefront6targetE1EEEvT1_: ; @_ZN7rocprim17ROCPRIM_400000_NS6detail17trampoline_kernelINS0_14default_configENS1_29reduce_by_key_config_selectorIjjN6thrust23THRUST_200600_302600_NS4plusIjEEEEZZNS1_33reduce_by_key_impl_wrapped_configILNS1_25lookback_scan_determinismE0ES3_S9_NS6_6detail15normal_iteratorINS6_10device_ptrIjEEEESG_SG_SG_PmS8_NS6_8equal_toIjEEEE10hipError_tPvRmT2_T3_mT4_T5_T6_T7_T8_P12ihipStream_tbENKUlT_T0_E_clISt17integral_constantIbLb0EES11_EEDaSW_SX_EUlSW_E_NS1_11comp_targetILNS1_3genE3ELNS1_11target_archE908ELNS1_3gpuE7ELNS1_3repE0EEENS1_30default_config_static_selectorELNS0_4arch9wavefront6targetE1EEEvT1_
; %bb.0:
	.section	.rodata,"a",@progbits
	.p2align	6, 0x0
	.amdhsa_kernel _ZN7rocprim17ROCPRIM_400000_NS6detail17trampoline_kernelINS0_14default_configENS1_29reduce_by_key_config_selectorIjjN6thrust23THRUST_200600_302600_NS4plusIjEEEEZZNS1_33reduce_by_key_impl_wrapped_configILNS1_25lookback_scan_determinismE0ES3_S9_NS6_6detail15normal_iteratorINS6_10device_ptrIjEEEESG_SG_SG_PmS8_NS6_8equal_toIjEEEE10hipError_tPvRmT2_T3_mT4_T5_T6_T7_T8_P12ihipStream_tbENKUlT_T0_E_clISt17integral_constantIbLb0EES11_EEDaSW_SX_EUlSW_E_NS1_11comp_targetILNS1_3genE3ELNS1_11target_archE908ELNS1_3gpuE7ELNS1_3repE0EEENS1_30default_config_static_selectorELNS0_4arch9wavefront6targetE1EEEvT1_
		.amdhsa_group_segment_fixed_size 0
		.amdhsa_private_segment_fixed_size 0
		.amdhsa_kernarg_size 120
		.amdhsa_user_sgpr_count 6
		.amdhsa_user_sgpr_private_segment_buffer 1
		.amdhsa_user_sgpr_dispatch_ptr 0
		.amdhsa_user_sgpr_queue_ptr 0
		.amdhsa_user_sgpr_kernarg_segment_ptr 1
		.amdhsa_user_sgpr_dispatch_id 0
		.amdhsa_user_sgpr_flat_scratch_init 0
		.amdhsa_user_sgpr_kernarg_preload_length 0
		.amdhsa_user_sgpr_kernarg_preload_offset 0
		.amdhsa_user_sgpr_private_segment_size 0
		.amdhsa_uses_dynamic_stack 0
		.amdhsa_system_sgpr_private_segment_wavefront_offset 0
		.amdhsa_system_sgpr_workgroup_id_x 1
		.amdhsa_system_sgpr_workgroup_id_y 0
		.amdhsa_system_sgpr_workgroup_id_z 0
		.amdhsa_system_sgpr_workgroup_info 0
		.amdhsa_system_vgpr_workitem_id 0
		.amdhsa_next_free_vgpr 1
		.amdhsa_next_free_sgpr 0
		.amdhsa_accum_offset 4
		.amdhsa_reserve_vcc 0
		.amdhsa_reserve_flat_scratch 0
		.amdhsa_float_round_mode_32 0
		.amdhsa_float_round_mode_16_64 0
		.amdhsa_float_denorm_mode_32 3
		.amdhsa_float_denorm_mode_16_64 3
		.amdhsa_dx10_clamp 1
		.amdhsa_ieee_mode 1
		.amdhsa_fp16_overflow 0
		.amdhsa_tg_split 0
		.amdhsa_exception_fp_ieee_invalid_op 0
		.amdhsa_exception_fp_denorm_src 0
		.amdhsa_exception_fp_ieee_div_zero 0
		.amdhsa_exception_fp_ieee_overflow 0
		.amdhsa_exception_fp_ieee_underflow 0
		.amdhsa_exception_fp_ieee_inexact 0
		.amdhsa_exception_int_div_zero 0
	.end_amdhsa_kernel
	.section	.text._ZN7rocprim17ROCPRIM_400000_NS6detail17trampoline_kernelINS0_14default_configENS1_29reduce_by_key_config_selectorIjjN6thrust23THRUST_200600_302600_NS4plusIjEEEEZZNS1_33reduce_by_key_impl_wrapped_configILNS1_25lookback_scan_determinismE0ES3_S9_NS6_6detail15normal_iteratorINS6_10device_ptrIjEEEESG_SG_SG_PmS8_NS6_8equal_toIjEEEE10hipError_tPvRmT2_T3_mT4_T5_T6_T7_T8_P12ihipStream_tbENKUlT_T0_E_clISt17integral_constantIbLb0EES11_EEDaSW_SX_EUlSW_E_NS1_11comp_targetILNS1_3genE3ELNS1_11target_archE908ELNS1_3gpuE7ELNS1_3repE0EEENS1_30default_config_static_selectorELNS0_4arch9wavefront6targetE1EEEvT1_,"axG",@progbits,_ZN7rocprim17ROCPRIM_400000_NS6detail17trampoline_kernelINS0_14default_configENS1_29reduce_by_key_config_selectorIjjN6thrust23THRUST_200600_302600_NS4plusIjEEEEZZNS1_33reduce_by_key_impl_wrapped_configILNS1_25lookback_scan_determinismE0ES3_S9_NS6_6detail15normal_iteratorINS6_10device_ptrIjEEEESG_SG_SG_PmS8_NS6_8equal_toIjEEEE10hipError_tPvRmT2_T3_mT4_T5_T6_T7_T8_P12ihipStream_tbENKUlT_T0_E_clISt17integral_constantIbLb0EES11_EEDaSW_SX_EUlSW_E_NS1_11comp_targetILNS1_3genE3ELNS1_11target_archE908ELNS1_3gpuE7ELNS1_3repE0EEENS1_30default_config_static_selectorELNS0_4arch9wavefront6targetE1EEEvT1_,comdat
.Lfunc_end318:
	.size	_ZN7rocprim17ROCPRIM_400000_NS6detail17trampoline_kernelINS0_14default_configENS1_29reduce_by_key_config_selectorIjjN6thrust23THRUST_200600_302600_NS4plusIjEEEEZZNS1_33reduce_by_key_impl_wrapped_configILNS1_25lookback_scan_determinismE0ES3_S9_NS6_6detail15normal_iteratorINS6_10device_ptrIjEEEESG_SG_SG_PmS8_NS6_8equal_toIjEEEE10hipError_tPvRmT2_T3_mT4_T5_T6_T7_T8_P12ihipStream_tbENKUlT_T0_E_clISt17integral_constantIbLb0EES11_EEDaSW_SX_EUlSW_E_NS1_11comp_targetILNS1_3genE3ELNS1_11target_archE908ELNS1_3gpuE7ELNS1_3repE0EEENS1_30default_config_static_selectorELNS0_4arch9wavefront6targetE1EEEvT1_, .Lfunc_end318-_ZN7rocprim17ROCPRIM_400000_NS6detail17trampoline_kernelINS0_14default_configENS1_29reduce_by_key_config_selectorIjjN6thrust23THRUST_200600_302600_NS4plusIjEEEEZZNS1_33reduce_by_key_impl_wrapped_configILNS1_25lookback_scan_determinismE0ES3_S9_NS6_6detail15normal_iteratorINS6_10device_ptrIjEEEESG_SG_SG_PmS8_NS6_8equal_toIjEEEE10hipError_tPvRmT2_T3_mT4_T5_T6_T7_T8_P12ihipStream_tbENKUlT_T0_E_clISt17integral_constantIbLb0EES11_EEDaSW_SX_EUlSW_E_NS1_11comp_targetILNS1_3genE3ELNS1_11target_archE908ELNS1_3gpuE7ELNS1_3repE0EEENS1_30default_config_static_selectorELNS0_4arch9wavefront6targetE1EEEvT1_
                                        ; -- End function
	.section	.AMDGPU.csdata,"",@progbits
; Kernel info:
; codeLenInByte = 0
; NumSgprs: 4
; NumVgprs: 0
; NumAgprs: 0
; TotalNumVgprs: 0
; ScratchSize: 0
; MemoryBound: 0
; FloatMode: 240
; IeeeMode: 1
; LDSByteSize: 0 bytes/workgroup (compile time only)
; SGPRBlocks: 0
; VGPRBlocks: 0
; NumSGPRsForWavesPerEU: 4
; NumVGPRsForWavesPerEU: 1
; AccumOffset: 4
; Occupancy: 8
; WaveLimiterHint : 0
; COMPUTE_PGM_RSRC2:SCRATCH_EN: 0
; COMPUTE_PGM_RSRC2:USER_SGPR: 6
; COMPUTE_PGM_RSRC2:TRAP_HANDLER: 0
; COMPUTE_PGM_RSRC2:TGID_X_EN: 1
; COMPUTE_PGM_RSRC2:TGID_Y_EN: 0
; COMPUTE_PGM_RSRC2:TGID_Z_EN: 0
; COMPUTE_PGM_RSRC2:TIDIG_COMP_CNT: 0
; COMPUTE_PGM_RSRC3_GFX90A:ACCUM_OFFSET: 0
; COMPUTE_PGM_RSRC3_GFX90A:TG_SPLIT: 0
	.section	.text._ZN7rocprim17ROCPRIM_400000_NS6detail17trampoline_kernelINS0_14default_configENS1_29reduce_by_key_config_selectorIjjN6thrust23THRUST_200600_302600_NS4plusIjEEEEZZNS1_33reduce_by_key_impl_wrapped_configILNS1_25lookback_scan_determinismE0ES3_S9_NS6_6detail15normal_iteratorINS6_10device_ptrIjEEEESG_SG_SG_PmS8_NS6_8equal_toIjEEEE10hipError_tPvRmT2_T3_mT4_T5_T6_T7_T8_P12ihipStream_tbENKUlT_T0_E_clISt17integral_constantIbLb0EES11_EEDaSW_SX_EUlSW_E_NS1_11comp_targetILNS1_3genE2ELNS1_11target_archE906ELNS1_3gpuE6ELNS1_3repE0EEENS1_30default_config_static_selectorELNS0_4arch9wavefront6targetE1EEEvT1_,"axG",@progbits,_ZN7rocprim17ROCPRIM_400000_NS6detail17trampoline_kernelINS0_14default_configENS1_29reduce_by_key_config_selectorIjjN6thrust23THRUST_200600_302600_NS4plusIjEEEEZZNS1_33reduce_by_key_impl_wrapped_configILNS1_25lookback_scan_determinismE0ES3_S9_NS6_6detail15normal_iteratorINS6_10device_ptrIjEEEESG_SG_SG_PmS8_NS6_8equal_toIjEEEE10hipError_tPvRmT2_T3_mT4_T5_T6_T7_T8_P12ihipStream_tbENKUlT_T0_E_clISt17integral_constantIbLb0EES11_EEDaSW_SX_EUlSW_E_NS1_11comp_targetILNS1_3genE2ELNS1_11target_archE906ELNS1_3gpuE6ELNS1_3repE0EEENS1_30default_config_static_selectorELNS0_4arch9wavefront6targetE1EEEvT1_,comdat
	.protected	_ZN7rocprim17ROCPRIM_400000_NS6detail17trampoline_kernelINS0_14default_configENS1_29reduce_by_key_config_selectorIjjN6thrust23THRUST_200600_302600_NS4plusIjEEEEZZNS1_33reduce_by_key_impl_wrapped_configILNS1_25lookback_scan_determinismE0ES3_S9_NS6_6detail15normal_iteratorINS6_10device_ptrIjEEEESG_SG_SG_PmS8_NS6_8equal_toIjEEEE10hipError_tPvRmT2_T3_mT4_T5_T6_T7_T8_P12ihipStream_tbENKUlT_T0_E_clISt17integral_constantIbLb0EES11_EEDaSW_SX_EUlSW_E_NS1_11comp_targetILNS1_3genE2ELNS1_11target_archE906ELNS1_3gpuE6ELNS1_3repE0EEENS1_30default_config_static_selectorELNS0_4arch9wavefront6targetE1EEEvT1_ ; -- Begin function _ZN7rocprim17ROCPRIM_400000_NS6detail17trampoline_kernelINS0_14default_configENS1_29reduce_by_key_config_selectorIjjN6thrust23THRUST_200600_302600_NS4plusIjEEEEZZNS1_33reduce_by_key_impl_wrapped_configILNS1_25lookback_scan_determinismE0ES3_S9_NS6_6detail15normal_iteratorINS6_10device_ptrIjEEEESG_SG_SG_PmS8_NS6_8equal_toIjEEEE10hipError_tPvRmT2_T3_mT4_T5_T6_T7_T8_P12ihipStream_tbENKUlT_T0_E_clISt17integral_constantIbLb0EES11_EEDaSW_SX_EUlSW_E_NS1_11comp_targetILNS1_3genE2ELNS1_11target_archE906ELNS1_3gpuE6ELNS1_3repE0EEENS1_30default_config_static_selectorELNS0_4arch9wavefront6targetE1EEEvT1_
	.globl	_ZN7rocprim17ROCPRIM_400000_NS6detail17trampoline_kernelINS0_14default_configENS1_29reduce_by_key_config_selectorIjjN6thrust23THRUST_200600_302600_NS4plusIjEEEEZZNS1_33reduce_by_key_impl_wrapped_configILNS1_25lookback_scan_determinismE0ES3_S9_NS6_6detail15normal_iteratorINS6_10device_ptrIjEEEESG_SG_SG_PmS8_NS6_8equal_toIjEEEE10hipError_tPvRmT2_T3_mT4_T5_T6_T7_T8_P12ihipStream_tbENKUlT_T0_E_clISt17integral_constantIbLb0EES11_EEDaSW_SX_EUlSW_E_NS1_11comp_targetILNS1_3genE2ELNS1_11target_archE906ELNS1_3gpuE6ELNS1_3repE0EEENS1_30default_config_static_selectorELNS0_4arch9wavefront6targetE1EEEvT1_
	.p2align	8
	.type	_ZN7rocprim17ROCPRIM_400000_NS6detail17trampoline_kernelINS0_14default_configENS1_29reduce_by_key_config_selectorIjjN6thrust23THRUST_200600_302600_NS4plusIjEEEEZZNS1_33reduce_by_key_impl_wrapped_configILNS1_25lookback_scan_determinismE0ES3_S9_NS6_6detail15normal_iteratorINS6_10device_ptrIjEEEESG_SG_SG_PmS8_NS6_8equal_toIjEEEE10hipError_tPvRmT2_T3_mT4_T5_T6_T7_T8_P12ihipStream_tbENKUlT_T0_E_clISt17integral_constantIbLb0EES11_EEDaSW_SX_EUlSW_E_NS1_11comp_targetILNS1_3genE2ELNS1_11target_archE906ELNS1_3gpuE6ELNS1_3repE0EEENS1_30default_config_static_selectorELNS0_4arch9wavefront6targetE1EEEvT1_,@function
_ZN7rocprim17ROCPRIM_400000_NS6detail17trampoline_kernelINS0_14default_configENS1_29reduce_by_key_config_selectorIjjN6thrust23THRUST_200600_302600_NS4plusIjEEEEZZNS1_33reduce_by_key_impl_wrapped_configILNS1_25lookback_scan_determinismE0ES3_S9_NS6_6detail15normal_iteratorINS6_10device_ptrIjEEEESG_SG_SG_PmS8_NS6_8equal_toIjEEEE10hipError_tPvRmT2_T3_mT4_T5_T6_T7_T8_P12ihipStream_tbENKUlT_T0_E_clISt17integral_constantIbLb0EES11_EEDaSW_SX_EUlSW_E_NS1_11comp_targetILNS1_3genE2ELNS1_11target_archE906ELNS1_3gpuE6ELNS1_3repE0EEENS1_30default_config_static_selectorELNS0_4arch9wavefront6targetE1EEEvT1_: ; @_ZN7rocprim17ROCPRIM_400000_NS6detail17trampoline_kernelINS0_14default_configENS1_29reduce_by_key_config_selectorIjjN6thrust23THRUST_200600_302600_NS4plusIjEEEEZZNS1_33reduce_by_key_impl_wrapped_configILNS1_25lookback_scan_determinismE0ES3_S9_NS6_6detail15normal_iteratorINS6_10device_ptrIjEEEESG_SG_SG_PmS8_NS6_8equal_toIjEEEE10hipError_tPvRmT2_T3_mT4_T5_T6_T7_T8_P12ihipStream_tbENKUlT_T0_E_clISt17integral_constantIbLb0EES11_EEDaSW_SX_EUlSW_E_NS1_11comp_targetILNS1_3genE2ELNS1_11target_archE906ELNS1_3gpuE6ELNS1_3repE0EEENS1_30default_config_static_selectorELNS0_4arch9wavefront6targetE1EEEvT1_
; %bb.0:
	.section	.rodata,"a",@progbits
	.p2align	6, 0x0
	.amdhsa_kernel _ZN7rocprim17ROCPRIM_400000_NS6detail17trampoline_kernelINS0_14default_configENS1_29reduce_by_key_config_selectorIjjN6thrust23THRUST_200600_302600_NS4plusIjEEEEZZNS1_33reduce_by_key_impl_wrapped_configILNS1_25lookback_scan_determinismE0ES3_S9_NS6_6detail15normal_iteratorINS6_10device_ptrIjEEEESG_SG_SG_PmS8_NS6_8equal_toIjEEEE10hipError_tPvRmT2_T3_mT4_T5_T6_T7_T8_P12ihipStream_tbENKUlT_T0_E_clISt17integral_constantIbLb0EES11_EEDaSW_SX_EUlSW_E_NS1_11comp_targetILNS1_3genE2ELNS1_11target_archE906ELNS1_3gpuE6ELNS1_3repE0EEENS1_30default_config_static_selectorELNS0_4arch9wavefront6targetE1EEEvT1_
		.amdhsa_group_segment_fixed_size 0
		.amdhsa_private_segment_fixed_size 0
		.amdhsa_kernarg_size 120
		.amdhsa_user_sgpr_count 6
		.amdhsa_user_sgpr_private_segment_buffer 1
		.amdhsa_user_sgpr_dispatch_ptr 0
		.amdhsa_user_sgpr_queue_ptr 0
		.amdhsa_user_sgpr_kernarg_segment_ptr 1
		.amdhsa_user_sgpr_dispatch_id 0
		.amdhsa_user_sgpr_flat_scratch_init 0
		.amdhsa_user_sgpr_kernarg_preload_length 0
		.amdhsa_user_sgpr_kernarg_preload_offset 0
		.amdhsa_user_sgpr_private_segment_size 0
		.amdhsa_uses_dynamic_stack 0
		.amdhsa_system_sgpr_private_segment_wavefront_offset 0
		.amdhsa_system_sgpr_workgroup_id_x 1
		.amdhsa_system_sgpr_workgroup_id_y 0
		.amdhsa_system_sgpr_workgroup_id_z 0
		.amdhsa_system_sgpr_workgroup_info 0
		.amdhsa_system_vgpr_workitem_id 0
		.amdhsa_next_free_vgpr 1
		.amdhsa_next_free_sgpr 0
		.amdhsa_accum_offset 4
		.amdhsa_reserve_vcc 0
		.amdhsa_reserve_flat_scratch 0
		.amdhsa_float_round_mode_32 0
		.amdhsa_float_round_mode_16_64 0
		.amdhsa_float_denorm_mode_32 3
		.amdhsa_float_denorm_mode_16_64 3
		.amdhsa_dx10_clamp 1
		.amdhsa_ieee_mode 1
		.amdhsa_fp16_overflow 0
		.amdhsa_tg_split 0
		.amdhsa_exception_fp_ieee_invalid_op 0
		.amdhsa_exception_fp_denorm_src 0
		.amdhsa_exception_fp_ieee_div_zero 0
		.amdhsa_exception_fp_ieee_overflow 0
		.amdhsa_exception_fp_ieee_underflow 0
		.amdhsa_exception_fp_ieee_inexact 0
		.amdhsa_exception_int_div_zero 0
	.end_amdhsa_kernel
	.section	.text._ZN7rocprim17ROCPRIM_400000_NS6detail17trampoline_kernelINS0_14default_configENS1_29reduce_by_key_config_selectorIjjN6thrust23THRUST_200600_302600_NS4plusIjEEEEZZNS1_33reduce_by_key_impl_wrapped_configILNS1_25lookback_scan_determinismE0ES3_S9_NS6_6detail15normal_iteratorINS6_10device_ptrIjEEEESG_SG_SG_PmS8_NS6_8equal_toIjEEEE10hipError_tPvRmT2_T3_mT4_T5_T6_T7_T8_P12ihipStream_tbENKUlT_T0_E_clISt17integral_constantIbLb0EES11_EEDaSW_SX_EUlSW_E_NS1_11comp_targetILNS1_3genE2ELNS1_11target_archE906ELNS1_3gpuE6ELNS1_3repE0EEENS1_30default_config_static_selectorELNS0_4arch9wavefront6targetE1EEEvT1_,"axG",@progbits,_ZN7rocprim17ROCPRIM_400000_NS6detail17trampoline_kernelINS0_14default_configENS1_29reduce_by_key_config_selectorIjjN6thrust23THRUST_200600_302600_NS4plusIjEEEEZZNS1_33reduce_by_key_impl_wrapped_configILNS1_25lookback_scan_determinismE0ES3_S9_NS6_6detail15normal_iteratorINS6_10device_ptrIjEEEESG_SG_SG_PmS8_NS6_8equal_toIjEEEE10hipError_tPvRmT2_T3_mT4_T5_T6_T7_T8_P12ihipStream_tbENKUlT_T0_E_clISt17integral_constantIbLb0EES11_EEDaSW_SX_EUlSW_E_NS1_11comp_targetILNS1_3genE2ELNS1_11target_archE906ELNS1_3gpuE6ELNS1_3repE0EEENS1_30default_config_static_selectorELNS0_4arch9wavefront6targetE1EEEvT1_,comdat
.Lfunc_end319:
	.size	_ZN7rocprim17ROCPRIM_400000_NS6detail17trampoline_kernelINS0_14default_configENS1_29reduce_by_key_config_selectorIjjN6thrust23THRUST_200600_302600_NS4plusIjEEEEZZNS1_33reduce_by_key_impl_wrapped_configILNS1_25lookback_scan_determinismE0ES3_S9_NS6_6detail15normal_iteratorINS6_10device_ptrIjEEEESG_SG_SG_PmS8_NS6_8equal_toIjEEEE10hipError_tPvRmT2_T3_mT4_T5_T6_T7_T8_P12ihipStream_tbENKUlT_T0_E_clISt17integral_constantIbLb0EES11_EEDaSW_SX_EUlSW_E_NS1_11comp_targetILNS1_3genE2ELNS1_11target_archE906ELNS1_3gpuE6ELNS1_3repE0EEENS1_30default_config_static_selectorELNS0_4arch9wavefront6targetE1EEEvT1_, .Lfunc_end319-_ZN7rocprim17ROCPRIM_400000_NS6detail17trampoline_kernelINS0_14default_configENS1_29reduce_by_key_config_selectorIjjN6thrust23THRUST_200600_302600_NS4plusIjEEEEZZNS1_33reduce_by_key_impl_wrapped_configILNS1_25lookback_scan_determinismE0ES3_S9_NS6_6detail15normal_iteratorINS6_10device_ptrIjEEEESG_SG_SG_PmS8_NS6_8equal_toIjEEEE10hipError_tPvRmT2_T3_mT4_T5_T6_T7_T8_P12ihipStream_tbENKUlT_T0_E_clISt17integral_constantIbLb0EES11_EEDaSW_SX_EUlSW_E_NS1_11comp_targetILNS1_3genE2ELNS1_11target_archE906ELNS1_3gpuE6ELNS1_3repE0EEENS1_30default_config_static_selectorELNS0_4arch9wavefront6targetE1EEEvT1_
                                        ; -- End function
	.section	.AMDGPU.csdata,"",@progbits
; Kernel info:
; codeLenInByte = 0
; NumSgprs: 4
; NumVgprs: 0
; NumAgprs: 0
; TotalNumVgprs: 0
; ScratchSize: 0
; MemoryBound: 0
; FloatMode: 240
; IeeeMode: 1
; LDSByteSize: 0 bytes/workgroup (compile time only)
; SGPRBlocks: 0
; VGPRBlocks: 0
; NumSGPRsForWavesPerEU: 4
; NumVGPRsForWavesPerEU: 1
; AccumOffset: 4
; Occupancy: 8
; WaveLimiterHint : 0
; COMPUTE_PGM_RSRC2:SCRATCH_EN: 0
; COMPUTE_PGM_RSRC2:USER_SGPR: 6
; COMPUTE_PGM_RSRC2:TRAP_HANDLER: 0
; COMPUTE_PGM_RSRC2:TGID_X_EN: 1
; COMPUTE_PGM_RSRC2:TGID_Y_EN: 0
; COMPUTE_PGM_RSRC2:TGID_Z_EN: 0
; COMPUTE_PGM_RSRC2:TIDIG_COMP_CNT: 0
; COMPUTE_PGM_RSRC3_GFX90A:ACCUM_OFFSET: 0
; COMPUTE_PGM_RSRC3_GFX90A:TG_SPLIT: 0
	.section	.text._ZN7rocprim17ROCPRIM_400000_NS6detail17trampoline_kernelINS0_14default_configENS1_29reduce_by_key_config_selectorIjjN6thrust23THRUST_200600_302600_NS4plusIjEEEEZZNS1_33reduce_by_key_impl_wrapped_configILNS1_25lookback_scan_determinismE0ES3_S9_NS6_6detail15normal_iteratorINS6_10device_ptrIjEEEESG_SG_SG_PmS8_NS6_8equal_toIjEEEE10hipError_tPvRmT2_T3_mT4_T5_T6_T7_T8_P12ihipStream_tbENKUlT_T0_E_clISt17integral_constantIbLb0EES11_EEDaSW_SX_EUlSW_E_NS1_11comp_targetILNS1_3genE10ELNS1_11target_archE1201ELNS1_3gpuE5ELNS1_3repE0EEENS1_30default_config_static_selectorELNS0_4arch9wavefront6targetE1EEEvT1_,"axG",@progbits,_ZN7rocprim17ROCPRIM_400000_NS6detail17trampoline_kernelINS0_14default_configENS1_29reduce_by_key_config_selectorIjjN6thrust23THRUST_200600_302600_NS4plusIjEEEEZZNS1_33reduce_by_key_impl_wrapped_configILNS1_25lookback_scan_determinismE0ES3_S9_NS6_6detail15normal_iteratorINS6_10device_ptrIjEEEESG_SG_SG_PmS8_NS6_8equal_toIjEEEE10hipError_tPvRmT2_T3_mT4_T5_T6_T7_T8_P12ihipStream_tbENKUlT_T0_E_clISt17integral_constantIbLb0EES11_EEDaSW_SX_EUlSW_E_NS1_11comp_targetILNS1_3genE10ELNS1_11target_archE1201ELNS1_3gpuE5ELNS1_3repE0EEENS1_30default_config_static_selectorELNS0_4arch9wavefront6targetE1EEEvT1_,comdat
	.protected	_ZN7rocprim17ROCPRIM_400000_NS6detail17trampoline_kernelINS0_14default_configENS1_29reduce_by_key_config_selectorIjjN6thrust23THRUST_200600_302600_NS4plusIjEEEEZZNS1_33reduce_by_key_impl_wrapped_configILNS1_25lookback_scan_determinismE0ES3_S9_NS6_6detail15normal_iteratorINS6_10device_ptrIjEEEESG_SG_SG_PmS8_NS6_8equal_toIjEEEE10hipError_tPvRmT2_T3_mT4_T5_T6_T7_T8_P12ihipStream_tbENKUlT_T0_E_clISt17integral_constantIbLb0EES11_EEDaSW_SX_EUlSW_E_NS1_11comp_targetILNS1_3genE10ELNS1_11target_archE1201ELNS1_3gpuE5ELNS1_3repE0EEENS1_30default_config_static_selectorELNS0_4arch9wavefront6targetE1EEEvT1_ ; -- Begin function _ZN7rocprim17ROCPRIM_400000_NS6detail17trampoline_kernelINS0_14default_configENS1_29reduce_by_key_config_selectorIjjN6thrust23THRUST_200600_302600_NS4plusIjEEEEZZNS1_33reduce_by_key_impl_wrapped_configILNS1_25lookback_scan_determinismE0ES3_S9_NS6_6detail15normal_iteratorINS6_10device_ptrIjEEEESG_SG_SG_PmS8_NS6_8equal_toIjEEEE10hipError_tPvRmT2_T3_mT4_T5_T6_T7_T8_P12ihipStream_tbENKUlT_T0_E_clISt17integral_constantIbLb0EES11_EEDaSW_SX_EUlSW_E_NS1_11comp_targetILNS1_3genE10ELNS1_11target_archE1201ELNS1_3gpuE5ELNS1_3repE0EEENS1_30default_config_static_selectorELNS0_4arch9wavefront6targetE1EEEvT1_
	.globl	_ZN7rocprim17ROCPRIM_400000_NS6detail17trampoline_kernelINS0_14default_configENS1_29reduce_by_key_config_selectorIjjN6thrust23THRUST_200600_302600_NS4plusIjEEEEZZNS1_33reduce_by_key_impl_wrapped_configILNS1_25lookback_scan_determinismE0ES3_S9_NS6_6detail15normal_iteratorINS6_10device_ptrIjEEEESG_SG_SG_PmS8_NS6_8equal_toIjEEEE10hipError_tPvRmT2_T3_mT4_T5_T6_T7_T8_P12ihipStream_tbENKUlT_T0_E_clISt17integral_constantIbLb0EES11_EEDaSW_SX_EUlSW_E_NS1_11comp_targetILNS1_3genE10ELNS1_11target_archE1201ELNS1_3gpuE5ELNS1_3repE0EEENS1_30default_config_static_selectorELNS0_4arch9wavefront6targetE1EEEvT1_
	.p2align	8
	.type	_ZN7rocprim17ROCPRIM_400000_NS6detail17trampoline_kernelINS0_14default_configENS1_29reduce_by_key_config_selectorIjjN6thrust23THRUST_200600_302600_NS4plusIjEEEEZZNS1_33reduce_by_key_impl_wrapped_configILNS1_25lookback_scan_determinismE0ES3_S9_NS6_6detail15normal_iteratorINS6_10device_ptrIjEEEESG_SG_SG_PmS8_NS6_8equal_toIjEEEE10hipError_tPvRmT2_T3_mT4_T5_T6_T7_T8_P12ihipStream_tbENKUlT_T0_E_clISt17integral_constantIbLb0EES11_EEDaSW_SX_EUlSW_E_NS1_11comp_targetILNS1_3genE10ELNS1_11target_archE1201ELNS1_3gpuE5ELNS1_3repE0EEENS1_30default_config_static_selectorELNS0_4arch9wavefront6targetE1EEEvT1_,@function
_ZN7rocprim17ROCPRIM_400000_NS6detail17trampoline_kernelINS0_14default_configENS1_29reduce_by_key_config_selectorIjjN6thrust23THRUST_200600_302600_NS4plusIjEEEEZZNS1_33reduce_by_key_impl_wrapped_configILNS1_25lookback_scan_determinismE0ES3_S9_NS6_6detail15normal_iteratorINS6_10device_ptrIjEEEESG_SG_SG_PmS8_NS6_8equal_toIjEEEE10hipError_tPvRmT2_T3_mT4_T5_T6_T7_T8_P12ihipStream_tbENKUlT_T0_E_clISt17integral_constantIbLb0EES11_EEDaSW_SX_EUlSW_E_NS1_11comp_targetILNS1_3genE10ELNS1_11target_archE1201ELNS1_3gpuE5ELNS1_3repE0EEENS1_30default_config_static_selectorELNS0_4arch9wavefront6targetE1EEEvT1_: ; @_ZN7rocprim17ROCPRIM_400000_NS6detail17trampoline_kernelINS0_14default_configENS1_29reduce_by_key_config_selectorIjjN6thrust23THRUST_200600_302600_NS4plusIjEEEEZZNS1_33reduce_by_key_impl_wrapped_configILNS1_25lookback_scan_determinismE0ES3_S9_NS6_6detail15normal_iteratorINS6_10device_ptrIjEEEESG_SG_SG_PmS8_NS6_8equal_toIjEEEE10hipError_tPvRmT2_T3_mT4_T5_T6_T7_T8_P12ihipStream_tbENKUlT_T0_E_clISt17integral_constantIbLb0EES11_EEDaSW_SX_EUlSW_E_NS1_11comp_targetILNS1_3genE10ELNS1_11target_archE1201ELNS1_3gpuE5ELNS1_3repE0EEENS1_30default_config_static_selectorELNS0_4arch9wavefront6targetE1EEEvT1_
; %bb.0:
	.section	.rodata,"a",@progbits
	.p2align	6, 0x0
	.amdhsa_kernel _ZN7rocprim17ROCPRIM_400000_NS6detail17trampoline_kernelINS0_14default_configENS1_29reduce_by_key_config_selectorIjjN6thrust23THRUST_200600_302600_NS4plusIjEEEEZZNS1_33reduce_by_key_impl_wrapped_configILNS1_25lookback_scan_determinismE0ES3_S9_NS6_6detail15normal_iteratorINS6_10device_ptrIjEEEESG_SG_SG_PmS8_NS6_8equal_toIjEEEE10hipError_tPvRmT2_T3_mT4_T5_T6_T7_T8_P12ihipStream_tbENKUlT_T0_E_clISt17integral_constantIbLb0EES11_EEDaSW_SX_EUlSW_E_NS1_11comp_targetILNS1_3genE10ELNS1_11target_archE1201ELNS1_3gpuE5ELNS1_3repE0EEENS1_30default_config_static_selectorELNS0_4arch9wavefront6targetE1EEEvT1_
		.amdhsa_group_segment_fixed_size 0
		.amdhsa_private_segment_fixed_size 0
		.amdhsa_kernarg_size 120
		.amdhsa_user_sgpr_count 6
		.amdhsa_user_sgpr_private_segment_buffer 1
		.amdhsa_user_sgpr_dispatch_ptr 0
		.amdhsa_user_sgpr_queue_ptr 0
		.amdhsa_user_sgpr_kernarg_segment_ptr 1
		.amdhsa_user_sgpr_dispatch_id 0
		.amdhsa_user_sgpr_flat_scratch_init 0
		.amdhsa_user_sgpr_kernarg_preload_length 0
		.amdhsa_user_sgpr_kernarg_preload_offset 0
		.amdhsa_user_sgpr_private_segment_size 0
		.amdhsa_uses_dynamic_stack 0
		.amdhsa_system_sgpr_private_segment_wavefront_offset 0
		.amdhsa_system_sgpr_workgroup_id_x 1
		.amdhsa_system_sgpr_workgroup_id_y 0
		.amdhsa_system_sgpr_workgroup_id_z 0
		.amdhsa_system_sgpr_workgroup_info 0
		.amdhsa_system_vgpr_workitem_id 0
		.amdhsa_next_free_vgpr 1
		.amdhsa_next_free_sgpr 0
		.amdhsa_accum_offset 4
		.amdhsa_reserve_vcc 0
		.amdhsa_reserve_flat_scratch 0
		.amdhsa_float_round_mode_32 0
		.amdhsa_float_round_mode_16_64 0
		.amdhsa_float_denorm_mode_32 3
		.amdhsa_float_denorm_mode_16_64 3
		.amdhsa_dx10_clamp 1
		.amdhsa_ieee_mode 1
		.amdhsa_fp16_overflow 0
		.amdhsa_tg_split 0
		.amdhsa_exception_fp_ieee_invalid_op 0
		.amdhsa_exception_fp_denorm_src 0
		.amdhsa_exception_fp_ieee_div_zero 0
		.amdhsa_exception_fp_ieee_overflow 0
		.amdhsa_exception_fp_ieee_underflow 0
		.amdhsa_exception_fp_ieee_inexact 0
		.amdhsa_exception_int_div_zero 0
	.end_amdhsa_kernel
	.section	.text._ZN7rocprim17ROCPRIM_400000_NS6detail17trampoline_kernelINS0_14default_configENS1_29reduce_by_key_config_selectorIjjN6thrust23THRUST_200600_302600_NS4plusIjEEEEZZNS1_33reduce_by_key_impl_wrapped_configILNS1_25lookback_scan_determinismE0ES3_S9_NS6_6detail15normal_iteratorINS6_10device_ptrIjEEEESG_SG_SG_PmS8_NS6_8equal_toIjEEEE10hipError_tPvRmT2_T3_mT4_T5_T6_T7_T8_P12ihipStream_tbENKUlT_T0_E_clISt17integral_constantIbLb0EES11_EEDaSW_SX_EUlSW_E_NS1_11comp_targetILNS1_3genE10ELNS1_11target_archE1201ELNS1_3gpuE5ELNS1_3repE0EEENS1_30default_config_static_selectorELNS0_4arch9wavefront6targetE1EEEvT1_,"axG",@progbits,_ZN7rocprim17ROCPRIM_400000_NS6detail17trampoline_kernelINS0_14default_configENS1_29reduce_by_key_config_selectorIjjN6thrust23THRUST_200600_302600_NS4plusIjEEEEZZNS1_33reduce_by_key_impl_wrapped_configILNS1_25lookback_scan_determinismE0ES3_S9_NS6_6detail15normal_iteratorINS6_10device_ptrIjEEEESG_SG_SG_PmS8_NS6_8equal_toIjEEEE10hipError_tPvRmT2_T3_mT4_T5_T6_T7_T8_P12ihipStream_tbENKUlT_T0_E_clISt17integral_constantIbLb0EES11_EEDaSW_SX_EUlSW_E_NS1_11comp_targetILNS1_3genE10ELNS1_11target_archE1201ELNS1_3gpuE5ELNS1_3repE0EEENS1_30default_config_static_selectorELNS0_4arch9wavefront6targetE1EEEvT1_,comdat
.Lfunc_end320:
	.size	_ZN7rocprim17ROCPRIM_400000_NS6detail17trampoline_kernelINS0_14default_configENS1_29reduce_by_key_config_selectorIjjN6thrust23THRUST_200600_302600_NS4plusIjEEEEZZNS1_33reduce_by_key_impl_wrapped_configILNS1_25lookback_scan_determinismE0ES3_S9_NS6_6detail15normal_iteratorINS6_10device_ptrIjEEEESG_SG_SG_PmS8_NS6_8equal_toIjEEEE10hipError_tPvRmT2_T3_mT4_T5_T6_T7_T8_P12ihipStream_tbENKUlT_T0_E_clISt17integral_constantIbLb0EES11_EEDaSW_SX_EUlSW_E_NS1_11comp_targetILNS1_3genE10ELNS1_11target_archE1201ELNS1_3gpuE5ELNS1_3repE0EEENS1_30default_config_static_selectorELNS0_4arch9wavefront6targetE1EEEvT1_, .Lfunc_end320-_ZN7rocprim17ROCPRIM_400000_NS6detail17trampoline_kernelINS0_14default_configENS1_29reduce_by_key_config_selectorIjjN6thrust23THRUST_200600_302600_NS4plusIjEEEEZZNS1_33reduce_by_key_impl_wrapped_configILNS1_25lookback_scan_determinismE0ES3_S9_NS6_6detail15normal_iteratorINS6_10device_ptrIjEEEESG_SG_SG_PmS8_NS6_8equal_toIjEEEE10hipError_tPvRmT2_T3_mT4_T5_T6_T7_T8_P12ihipStream_tbENKUlT_T0_E_clISt17integral_constantIbLb0EES11_EEDaSW_SX_EUlSW_E_NS1_11comp_targetILNS1_3genE10ELNS1_11target_archE1201ELNS1_3gpuE5ELNS1_3repE0EEENS1_30default_config_static_selectorELNS0_4arch9wavefront6targetE1EEEvT1_
                                        ; -- End function
	.section	.AMDGPU.csdata,"",@progbits
; Kernel info:
; codeLenInByte = 0
; NumSgprs: 4
; NumVgprs: 0
; NumAgprs: 0
; TotalNumVgprs: 0
; ScratchSize: 0
; MemoryBound: 0
; FloatMode: 240
; IeeeMode: 1
; LDSByteSize: 0 bytes/workgroup (compile time only)
; SGPRBlocks: 0
; VGPRBlocks: 0
; NumSGPRsForWavesPerEU: 4
; NumVGPRsForWavesPerEU: 1
; AccumOffset: 4
; Occupancy: 8
; WaveLimiterHint : 0
; COMPUTE_PGM_RSRC2:SCRATCH_EN: 0
; COMPUTE_PGM_RSRC2:USER_SGPR: 6
; COMPUTE_PGM_RSRC2:TRAP_HANDLER: 0
; COMPUTE_PGM_RSRC2:TGID_X_EN: 1
; COMPUTE_PGM_RSRC2:TGID_Y_EN: 0
; COMPUTE_PGM_RSRC2:TGID_Z_EN: 0
; COMPUTE_PGM_RSRC2:TIDIG_COMP_CNT: 0
; COMPUTE_PGM_RSRC3_GFX90A:ACCUM_OFFSET: 0
; COMPUTE_PGM_RSRC3_GFX90A:TG_SPLIT: 0
	.section	.text._ZN7rocprim17ROCPRIM_400000_NS6detail17trampoline_kernelINS0_14default_configENS1_29reduce_by_key_config_selectorIjjN6thrust23THRUST_200600_302600_NS4plusIjEEEEZZNS1_33reduce_by_key_impl_wrapped_configILNS1_25lookback_scan_determinismE0ES3_S9_NS6_6detail15normal_iteratorINS6_10device_ptrIjEEEESG_SG_SG_PmS8_NS6_8equal_toIjEEEE10hipError_tPvRmT2_T3_mT4_T5_T6_T7_T8_P12ihipStream_tbENKUlT_T0_E_clISt17integral_constantIbLb0EES11_EEDaSW_SX_EUlSW_E_NS1_11comp_targetILNS1_3genE10ELNS1_11target_archE1200ELNS1_3gpuE4ELNS1_3repE0EEENS1_30default_config_static_selectorELNS0_4arch9wavefront6targetE1EEEvT1_,"axG",@progbits,_ZN7rocprim17ROCPRIM_400000_NS6detail17trampoline_kernelINS0_14default_configENS1_29reduce_by_key_config_selectorIjjN6thrust23THRUST_200600_302600_NS4plusIjEEEEZZNS1_33reduce_by_key_impl_wrapped_configILNS1_25lookback_scan_determinismE0ES3_S9_NS6_6detail15normal_iteratorINS6_10device_ptrIjEEEESG_SG_SG_PmS8_NS6_8equal_toIjEEEE10hipError_tPvRmT2_T3_mT4_T5_T6_T7_T8_P12ihipStream_tbENKUlT_T0_E_clISt17integral_constantIbLb0EES11_EEDaSW_SX_EUlSW_E_NS1_11comp_targetILNS1_3genE10ELNS1_11target_archE1200ELNS1_3gpuE4ELNS1_3repE0EEENS1_30default_config_static_selectorELNS0_4arch9wavefront6targetE1EEEvT1_,comdat
	.protected	_ZN7rocprim17ROCPRIM_400000_NS6detail17trampoline_kernelINS0_14default_configENS1_29reduce_by_key_config_selectorIjjN6thrust23THRUST_200600_302600_NS4plusIjEEEEZZNS1_33reduce_by_key_impl_wrapped_configILNS1_25lookback_scan_determinismE0ES3_S9_NS6_6detail15normal_iteratorINS6_10device_ptrIjEEEESG_SG_SG_PmS8_NS6_8equal_toIjEEEE10hipError_tPvRmT2_T3_mT4_T5_T6_T7_T8_P12ihipStream_tbENKUlT_T0_E_clISt17integral_constantIbLb0EES11_EEDaSW_SX_EUlSW_E_NS1_11comp_targetILNS1_3genE10ELNS1_11target_archE1200ELNS1_3gpuE4ELNS1_3repE0EEENS1_30default_config_static_selectorELNS0_4arch9wavefront6targetE1EEEvT1_ ; -- Begin function _ZN7rocprim17ROCPRIM_400000_NS6detail17trampoline_kernelINS0_14default_configENS1_29reduce_by_key_config_selectorIjjN6thrust23THRUST_200600_302600_NS4plusIjEEEEZZNS1_33reduce_by_key_impl_wrapped_configILNS1_25lookback_scan_determinismE0ES3_S9_NS6_6detail15normal_iteratorINS6_10device_ptrIjEEEESG_SG_SG_PmS8_NS6_8equal_toIjEEEE10hipError_tPvRmT2_T3_mT4_T5_T6_T7_T8_P12ihipStream_tbENKUlT_T0_E_clISt17integral_constantIbLb0EES11_EEDaSW_SX_EUlSW_E_NS1_11comp_targetILNS1_3genE10ELNS1_11target_archE1200ELNS1_3gpuE4ELNS1_3repE0EEENS1_30default_config_static_selectorELNS0_4arch9wavefront6targetE1EEEvT1_
	.globl	_ZN7rocprim17ROCPRIM_400000_NS6detail17trampoline_kernelINS0_14default_configENS1_29reduce_by_key_config_selectorIjjN6thrust23THRUST_200600_302600_NS4plusIjEEEEZZNS1_33reduce_by_key_impl_wrapped_configILNS1_25lookback_scan_determinismE0ES3_S9_NS6_6detail15normal_iteratorINS6_10device_ptrIjEEEESG_SG_SG_PmS8_NS6_8equal_toIjEEEE10hipError_tPvRmT2_T3_mT4_T5_T6_T7_T8_P12ihipStream_tbENKUlT_T0_E_clISt17integral_constantIbLb0EES11_EEDaSW_SX_EUlSW_E_NS1_11comp_targetILNS1_3genE10ELNS1_11target_archE1200ELNS1_3gpuE4ELNS1_3repE0EEENS1_30default_config_static_selectorELNS0_4arch9wavefront6targetE1EEEvT1_
	.p2align	8
	.type	_ZN7rocprim17ROCPRIM_400000_NS6detail17trampoline_kernelINS0_14default_configENS1_29reduce_by_key_config_selectorIjjN6thrust23THRUST_200600_302600_NS4plusIjEEEEZZNS1_33reduce_by_key_impl_wrapped_configILNS1_25lookback_scan_determinismE0ES3_S9_NS6_6detail15normal_iteratorINS6_10device_ptrIjEEEESG_SG_SG_PmS8_NS6_8equal_toIjEEEE10hipError_tPvRmT2_T3_mT4_T5_T6_T7_T8_P12ihipStream_tbENKUlT_T0_E_clISt17integral_constantIbLb0EES11_EEDaSW_SX_EUlSW_E_NS1_11comp_targetILNS1_3genE10ELNS1_11target_archE1200ELNS1_3gpuE4ELNS1_3repE0EEENS1_30default_config_static_selectorELNS0_4arch9wavefront6targetE1EEEvT1_,@function
_ZN7rocprim17ROCPRIM_400000_NS6detail17trampoline_kernelINS0_14default_configENS1_29reduce_by_key_config_selectorIjjN6thrust23THRUST_200600_302600_NS4plusIjEEEEZZNS1_33reduce_by_key_impl_wrapped_configILNS1_25lookback_scan_determinismE0ES3_S9_NS6_6detail15normal_iteratorINS6_10device_ptrIjEEEESG_SG_SG_PmS8_NS6_8equal_toIjEEEE10hipError_tPvRmT2_T3_mT4_T5_T6_T7_T8_P12ihipStream_tbENKUlT_T0_E_clISt17integral_constantIbLb0EES11_EEDaSW_SX_EUlSW_E_NS1_11comp_targetILNS1_3genE10ELNS1_11target_archE1200ELNS1_3gpuE4ELNS1_3repE0EEENS1_30default_config_static_selectorELNS0_4arch9wavefront6targetE1EEEvT1_: ; @_ZN7rocprim17ROCPRIM_400000_NS6detail17trampoline_kernelINS0_14default_configENS1_29reduce_by_key_config_selectorIjjN6thrust23THRUST_200600_302600_NS4plusIjEEEEZZNS1_33reduce_by_key_impl_wrapped_configILNS1_25lookback_scan_determinismE0ES3_S9_NS6_6detail15normal_iteratorINS6_10device_ptrIjEEEESG_SG_SG_PmS8_NS6_8equal_toIjEEEE10hipError_tPvRmT2_T3_mT4_T5_T6_T7_T8_P12ihipStream_tbENKUlT_T0_E_clISt17integral_constantIbLb0EES11_EEDaSW_SX_EUlSW_E_NS1_11comp_targetILNS1_3genE10ELNS1_11target_archE1200ELNS1_3gpuE4ELNS1_3repE0EEENS1_30default_config_static_selectorELNS0_4arch9wavefront6targetE1EEEvT1_
; %bb.0:
	.section	.rodata,"a",@progbits
	.p2align	6, 0x0
	.amdhsa_kernel _ZN7rocprim17ROCPRIM_400000_NS6detail17trampoline_kernelINS0_14default_configENS1_29reduce_by_key_config_selectorIjjN6thrust23THRUST_200600_302600_NS4plusIjEEEEZZNS1_33reduce_by_key_impl_wrapped_configILNS1_25lookback_scan_determinismE0ES3_S9_NS6_6detail15normal_iteratorINS6_10device_ptrIjEEEESG_SG_SG_PmS8_NS6_8equal_toIjEEEE10hipError_tPvRmT2_T3_mT4_T5_T6_T7_T8_P12ihipStream_tbENKUlT_T0_E_clISt17integral_constantIbLb0EES11_EEDaSW_SX_EUlSW_E_NS1_11comp_targetILNS1_3genE10ELNS1_11target_archE1200ELNS1_3gpuE4ELNS1_3repE0EEENS1_30default_config_static_selectorELNS0_4arch9wavefront6targetE1EEEvT1_
		.amdhsa_group_segment_fixed_size 0
		.amdhsa_private_segment_fixed_size 0
		.amdhsa_kernarg_size 120
		.amdhsa_user_sgpr_count 6
		.amdhsa_user_sgpr_private_segment_buffer 1
		.amdhsa_user_sgpr_dispatch_ptr 0
		.amdhsa_user_sgpr_queue_ptr 0
		.amdhsa_user_sgpr_kernarg_segment_ptr 1
		.amdhsa_user_sgpr_dispatch_id 0
		.amdhsa_user_sgpr_flat_scratch_init 0
		.amdhsa_user_sgpr_kernarg_preload_length 0
		.amdhsa_user_sgpr_kernarg_preload_offset 0
		.amdhsa_user_sgpr_private_segment_size 0
		.amdhsa_uses_dynamic_stack 0
		.amdhsa_system_sgpr_private_segment_wavefront_offset 0
		.amdhsa_system_sgpr_workgroup_id_x 1
		.amdhsa_system_sgpr_workgroup_id_y 0
		.amdhsa_system_sgpr_workgroup_id_z 0
		.amdhsa_system_sgpr_workgroup_info 0
		.amdhsa_system_vgpr_workitem_id 0
		.amdhsa_next_free_vgpr 1
		.amdhsa_next_free_sgpr 0
		.amdhsa_accum_offset 4
		.amdhsa_reserve_vcc 0
		.amdhsa_reserve_flat_scratch 0
		.amdhsa_float_round_mode_32 0
		.amdhsa_float_round_mode_16_64 0
		.amdhsa_float_denorm_mode_32 3
		.amdhsa_float_denorm_mode_16_64 3
		.amdhsa_dx10_clamp 1
		.amdhsa_ieee_mode 1
		.amdhsa_fp16_overflow 0
		.amdhsa_tg_split 0
		.amdhsa_exception_fp_ieee_invalid_op 0
		.amdhsa_exception_fp_denorm_src 0
		.amdhsa_exception_fp_ieee_div_zero 0
		.amdhsa_exception_fp_ieee_overflow 0
		.amdhsa_exception_fp_ieee_underflow 0
		.amdhsa_exception_fp_ieee_inexact 0
		.amdhsa_exception_int_div_zero 0
	.end_amdhsa_kernel
	.section	.text._ZN7rocprim17ROCPRIM_400000_NS6detail17trampoline_kernelINS0_14default_configENS1_29reduce_by_key_config_selectorIjjN6thrust23THRUST_200600_302600_NS4plusIjEEEEZZNS1_33reduce_by_key_impl_wrapped_configILNS1_25lookback_scan_determinismE0ES3_S9_NS6_6detail15normal_iteratorINS6_10device_ptrIjEEEESG_SG_SG_PmS8_NS6_8equal_toIjEEEE10hipError_tPvRmT2_T3_mT4_T5_T6_T7_T8_P12ihipStream_tbENKUlT_T0_E_clISt17integral_constantIbLb0EES11_EEDaSW_SX_EUlSW_E_NS1_11comp_targetILNS1_3genE10ELNS1_11target_archE1200ELNS1_3gpuE4ELNS1_3repE0EEENS1_30default_config_static_selectorELNS0_4arch9wavefront6targetE1EEEvT1_,"axG",@progbits,_ZN7rocprim17ROCPRIM_400000_NS6detail17trampoline_kernelINS0_14default_configENS1_29reduce_by_key_config_selectorIjjN6thrust23THRUST_200600_302600_NS4plusIjEEEEZZNS1_33reduce_by_key_impl_wrapped_configILNS1_25lookback_scan_determinismE0ES3_S9_NS6_6detail15normal_iteratorINS6_10device_ptrIjEEEESG_SG_SG_PmS8_NS6_8equal_toIjEEEE10hipError_tPvRmT2_T3_mT4_T5_T6_T7_T8_P12ihipStream_tbENKUlT_T0_E_clISt17integral_constantIbLb0EES11_EEDaSW_SX_EUlSW_E_NS1_11comp_targetILNS1_3genE10ELNS1_11target_archE1200ELNS1_3gpuE4ELNS1_3repE0EEENS1_30default_config_static_selectorELNS0_4arch9wavefront6targetE1EEEvT1_,comdat
.Lfunc_end321:
	.size	_ZN7rocprim17ROCPRIM_400000_NS6detail17trampoline_kernelINS0_14default_configENS1_29reduce_by_key_config_selectorIjjN6thrust23THRUST_200600_302600_NS4plusIjEEEEZZNS1_33reduce_by_key_impl_wrapped_configILNS1_25lookback_scan_determinismE0ES3_S9_NS6_6detail15normal_iteratorINS6_10device_ptrIjEEEESG_SG_SG_PmS8_NS6_8equal_toIjEEEE10hipError_tPvRmT2_T3_mT4_T5_T6_T7_T8_P12ihipStream_tbENKUlT_T0_E_clISt17integral_constantIbLb0EES11_EEDaSW_SX_EUlSW_E_NS1_11comp_targetILNS1_3genE10ELNS1_11target_archE1200ELNS1_3gpuE4ELNS1_3repE0EEENS1_30default_config_static_selectorELNS0_4arch9wavefront6targetE1EEEvT1_, .Lfunc_end321-_ZN7rocprim17ROCPRIM_400000_NS6detail17trampoline_kernelINS0_14default_configENS1_29reduce_by_key_config_selectorIjjN6thrust23THRUST_200600_302600_NS4plusIjEEEEZZNS1_33reduce_by_key_impl_wrapped_configILNS1_25lookback_scan_determinismE0ES3_S9_NS6_6detail15normal_iteratorINS6_10device_ptrIjEEEESG_SG_SG_PmS8_NS6_8equal_toIjEEEE10hipError_tPvRmT2_T3_mT4_T5_T6_T7_T8_P12ihipStream_tbENKUlT_T0_E_clISt17integral_constantIbLb0EES11_EEDaSW_SX_EUlSW_E_NS1_11comp_targetILNS1_3genE10ELNS1_11target_archE1200ELNS1_3gpuE4ELNS1_3repE0EEENS1_30default_config_static_selectorELNS0_4arch9wavefront6targetE1EEEvT1_
                                        ; -- End function
	.section	.AMDGPU.csdata,"",@progbits
; Kernel info:
; codeLenInByte = 0
; NumSgprs: 4
; NumVgprs: 0
; NumAgprs: 0
; TotalNumVgprs: 0
; ScratchSize: 0
; MemoryBound: 0
; FloatMode: 240
; IeeeMode: 1
; LDSByteSize: 0 bytes/workgroup (compile time only)
; SGPRBlocks: 0
; VGPRBlocks: 0
; NumSGPRsForWavesPerEU: 4
; NumVGPRsForWavesPerEU: 1
; AccumOffset: 4
; Occupancy: 8
; WaveLimiterHint : 0
; COMPUTE_PGM_RSRC2:SCRATCH_EN: 0
; COMPUTE_PGM_RSRC2:USER_SGPR: 6
; COMPUTE_PGM_RSRC2:TRAP_HANDLER: 0
; COMPUTE_PGM_RSRC2:TGID_X_EN: 1
; COMPUTE_PGM_RSRC2:TGID_Y_EN: 0
; COMPUTE_PGM_RSRC2:TGID_Z_EN: 0
; COMPUTE_PGM_RSRC2:TIDIG_COMP_CNT: 0
; COMPUTE_PGM_RSRC3_GFX90A:ACCUM_OFFSET: 0
; COMPUTE_PGM_RSRC3_GFX90A:TG_SPLIT: 0
	.section	.text._ZN7rocprim17ROCPRIM_400000_NS6detail17trampoline_kernelINS0_14default_configENS1_29reduce_by_key_config_selectorIjjN6thrust23THRUST_200600_302600_NS4plusIjEEEEZZNS1_33reduce_by_key_impl_wrapped_configILNS1_25lookback_scan_determinismE0ES3_S9_NS6_6detail15normal_iteratorINS6_10device_ptrIjEEEESG_SG_SG_PmS8_NS6_8equal_toIjEEEE10hipError_tPvRmT2_T3_mT4_T5_T6_T7_T8_P12ihipStream_tbENKUlT_T0_E_clISt17integral_constantIbLb0EES11_EEDaSW_SX_EUlSW_E_NS1_11comp_targetILNS1_3genE9ELNS1_11target_archE1100ELNS1_3gpuE3ELNS1_3repE0EEENS1_30default_config_static_selectorELNS0_4arch9wavefront6targetE1EEEvT1_,"axG",@progbits,_ZN7rocprim17ROCPRIM_400000_NS6detail17trampoline_kernelINS0_14default_configENS1_29reduce_by_key_config_selectorIjjN6thrust23THRUST_200600_302600_NS4plusIjEEEEZZNS1_33reduce_by_key_impl_wrapped_configILNS1_25lookback_scan_determinismE0ES3_S9_NS6_6detail15normal_iteratorINS6_10device_ptrIjEEEESG_SG_SG_PmS8_NS6_8equal_toIjEEEE10hipError_tPvRmT2_T3_mT4_T5_T6_T7_T8_P12ihipStream_tbENKUlT_T0_E_clISt17integral_constantIbLb0EES11_EEDaSW_SX_EUlSW_E_NS1_11comp_targetILNS1_3genE9ELNS1_11target_archE1100ELNS1_3gpuE3ELNS1_3repE0EEENS1_30default_config_static_selectorELNS0_4arch9wavefront6targetE1EEEvT1_,comdat
	.protected	_ZN7rocprim17ROCPRIM_400000_NS6detail17trampoline_kernelINS0_14default_configENS1_29reduce_by_key_config_selectorIjjN6thrust23THRUST_200600_302600_NS4plusIjEEEEZZNS1_33reduce_by_key_impl_wrapped_configILNS1_25lookback_scan_determinismE0ES3_S9_NS6_6detail15normal_iteratorINS6_10device_ptrIjEEEESG_SG_SG_PmS8_NS6_8equal_toIjEEEE10hipError_tPvRmT2_T3_mT4_T5_T6_T7_T8_P12ihipStream_tbENKUlT_T0_E_clISt17integral_constantIbLb0EES11_EEDaSW_SX_EUlSW_E_NS1_11comp_targetILNS1_3genE9ELNS1_11target_archE1100ELNS1_3gpuE3ELNS1_3repE0EEENS1_30default_config_static_selectorELNS0_4arch9wavefront6targetE1EEEvT1_ ; -- Begin function _ZN7rocprim17ROCPRIM_400000_NS6detail17trampoline_kernelINS0_14default_configENS1_29reduce_by_key_config_selectorIjjN6thrust23THRUST_200600_302600_NS4plusIjEEEEZZNS1_33reduce_by_key_impl_wrapped_configILNS1_25lookback_scan_determinismE0ES3_S9_NS6_6detail15normal_iteratorINS6_10device_ptrIjEEEESG_SG_SG_PmS8_NS6_8equal_toIjEEEE10hipError_tPvRmT2_T3_mT4_T5_T6_T7_T8_P12ihipStream_tbENKUlT_T0_E_clISt17integral_constantIbLb0EES11_EEDaSW_SX_EUlSW_E_NS1_11comp_targetILNS1_3genE9ELNS1_11target_archE1100ELNS1_3gpuE3ELNS1_3repE0EEENS1_30default_config_static_selectorELNS0_4arch9wavefront6targetE1EEEvT1_
	.globl	_ZN7rocprim17ROCPRIM_400000_NS6detail17trampoline_kernelINS0_14default_configENS1_29reduce_by_key_config_selectorIjjN6thrust23THRUST_200600_302600_NS4plusIjEEEEZZNS1_33reduce_by_key_impl_wrapped_configILNS1_25lookback_scan_determinismE0ES3_S9_NS6_6detail15normal_iteratorINS6_10device_ptrIjEEEESG_SG_SG_PmS8_NS6_8equal_toIjEEEE10hipError_tPvRmT2_T3_mT4_T5_T6_T7_T8_P12ihipStream_tbENKUlT_T0_E_clISt17integral_constantIbLb0EES11_EEDaSW_SX_EUlSW_E_NS1_11comp_targetILNS1_3genE9ELNS1_11target_archE1100ELNS1_3gpuE3ELNS1_3repE0EEENS1_30default_config_static_selectorELNS0_4arch9wavefront6targetE1EEEvT1_
	.p2align	8
	.type	_ZN7rocprim17ROCPRIM_400000_NS6detail17trampoline_kernelINS0_14default_configENS1_29reduce_by_key_config_selectorIjjN6thrust23THRUST_200600_302600_NS4plusIjEEEEZZNS1_33reduce_by_key_impl_wrapped_configILNS1_25lookback_scan_determinismE0ES3_S9_NS6_6detail15normal_iteratorINS6_10device_ptrIjEEEESG_SG_SG_PmS8_NS6_8equal_toIjEEEE10hipError_tPvRmT2_T3_mT4_T5_T6_T7_T8_P12ihipStream_tbENKUlT_T0_E_clISt17integral_constantIbLb0EES11_EEDaSW_SX_EUlSW_E_NS1_11comp_targetILNS1_3genE9ELNS1_11target_archE1100ELNS1_3gpuE3ELNS1_3repE0EEENS1_30default_config_static_selectorELNS0_4arch9wavefront6targetE1EEEvT1_,@function
_ZN7rocprim17ROCPRIM_400000_NS6detail17trampoline_kernelINS0_14default_configENS1_29reduce_by_key_config_selectorIjjN6thrust23THRUST_200600_302600_NS4plusIjEEEEZZNS1_33reduce_by_key_impl_wrapped_configILNS1_25lookback_scan_determinismE0ES3_S9_NS6_6detail15normal_iteratorINS6_10device_ptrIjEEEESG_SG_SG_PmS8_NS6_8equal_toIjEEEE10hipError_tPvRmT2_T3_mT4_T5_T6_T7_T8_P12ihipStream_tbENKUlT_T0_E_clISt17integral_constantIbLb0EES11_EEDaSW_SX_EUlSW_E_NS1_11comp_targetILNS1_3genE9ELNS1_11target_archE1100ELNS1_3gpuE3ELNS1_3repE0EEENS1_30default_config_static_selectorELNS0_4arch9wavefront6targetE1EEEvT1_: ; @_ZN7rocprim17ROCPRIM_400000_NS6detail17trampoline_kernelINS0_14default_configENS1_29reduce_by_key_config_selectorIjjN6thrust23THRUST_200600_302600_NS4plusIjEEEEZZNS1_33reduce_by_key_impl_wrapped_configILNS1_25lookback_scan_determinismE0ES3_S9_NS6_6detail15normal_iteratorINS6_10device_ptrIjEEEESG_SG_SG_PmS8_NS6_8equal_toIjEEEE10hipError_tPvRmT2_T3_mT4_T5_T6_T7_T8_P12ihipStream_tbENKUlT_T0_E_clISt17integral_constantIbLb0EES11_EEDaSW_SX_EUlSW_E_NS1_11comp_targetILNS1_3genE9ELNS1_11target_archE1100ELNS1_3gpuE3ELNS1_3repE0EEENS1_30default_config_static_selectorELNS0_4arch9wavefront6targetE1EEEvT1_
; %bb.0:
	.section	.rodata,"a",@progbits
	.p2align	6, 0x0
	.amdhsa_kernel _ZN7rocprim17ROCPRIM_400000_NS6detail17trampoline_kernelINS0_14default_configENS1_29reduce_by_key_config_selectorIjjN6thrust23THRUST_200600_302600_NS4plusIjEEEEZZNS1_33reduce_by_key_impl_wrapped_configILNS1_25lookback_scan_determinismE0ES3_S9_NS6_6detail15normal_iteratorINS6_10device_ptrIjEEEESG_SG_SG_PmS8_NS6_8equal_toIjEEEE10hipError_tPvRmT2_T3_mT4_T5_T6_T7_T8_P12ihipStream_tbENKUlT_T0_E_clISt17integral_constantIbLb0EES11_EEDaSW_SX_EUlSW_E_NS1_11comp_targetILNS1_3genE9ELNS1_11target_archE1100ELNS1_3gpuE3ELNS1_3repE0EEENS1_30default_config_static_selectorELNS0_4arch9wavefront6targetE1EEEvT1_
		.amdhsa_group_segment_fixed_size 0
		.amdhsa_private_segment_fixed_size 0
		.amdhsa_kernarg_size 120
		.amdhsa_user_sgpr_count 6
		.amdhsa_user_sgpr_private_segment_buffer 1
		.amdhsa_user_sgpr_dispatch_ptr 0
		.amdhsa_user_sgpr_queue_ptr 0
		.amdhsa_user_sgpr_kernarg_segment_ptr 1
		.amdhsa_user_sgpr_dispatch_id 0
		.amdhsa_user_sgpr_flat_scratch_init 0
		.amdhsa_user_sgpr_kernarg_preload_length 0
		.amdhsa_user_sgpr_kernarg_preload_offset 0
		.amdhsa_user_sgpr_private_segment_size 0
		.amdhsa_uses_dynamic_stack 0
		.amdhsa_system_sgpr_private_segment_wavefront_offset 0
		.amdhsa_system_sgpr_workgroup_id_x 1
		.amdhsa_system_sgpr_workgroup_id_y 0
		.amdhsa_system_sgpr_workgroup_id_z 0
		.amdhsa_system_sgpr_workgroup_info 0
		.amdhsa_system_vgpr_workitem_id 0
		.amdhsa_next_free_vgpr 1
		.amdhsa_next_free_sgpr 0
		.amdhsa_accum_offset 4
		.amdhsa_reserve_vcc 0
		.amdhsa_reserve_flat_scratch 0
		.amdhsa_float_round_mode_32 0
		.amdhsa_float_round_mode_16_64 0
		.amdhsa_float_denorm_mode_32 3
		.amdhsa_float_denorm_mode_16_64 3
		.amdhsa_dx10_clamp 1
		.amdhsa_ieee_mode 1
		.amdhsa_fp16_overflow 0
		.amdhsa_tg_split 0
		.amdhsa_exception_fp_ieee_invalid_op 0
		.amdhsa_exception_fp_denorm_src 0
		.amdhsa_exception_fp_ieee_div_zero 0
		.amdhsa_exception_fp_ieee_overflow 0
		.amdhsa_exception_fp_ieee_underflow 0
		.amdhsa_exception_fp_ieee_inexact 0
		.amdhsa_exception_int_div_zero 0
	.end_amdhsa_kernel
	.section	.text._ZN7rocprim17ROCPRIM_400000_NS6detail17trampoline_kernelINS0_14default_configENS1_29reduce_by_key_config_selectorIjjN6thrust23THRUST_200600_302600_NS4plusIjEEEEZZNS1_33reduce_by_key_impl_wrapped_configILNS1_25lookback_scan_determinismE0ES3_S9_NS6_6detail15normal_iteratorINS6_10device_ptrIjEEEESG_SG_SG_PmS8_NS6_8equal_toIjEEEE10hipError_tPvRmT2_T3_mT4_T5_T6_T7_T8_P12ihipStream_tbENKUlT_T0_E_clISt17integral_constantIbLb0EES11_EEDaSW_SX_EUlSW_E_NS1_11comp_targetILNS1_3genE9ELNS1_11target_archE1100ELNS1_3gpuE3ELNS1_3repE0EEENS1_30default_config_static_selectorELNS0_4arch9wavefront6targetE1EEEvT1_,"axG",@progbits,_ZN7rocprim17ROCPRIM_400000_NS6detail17trampoline_kernelINS0_14default_configENS1_29reduce_by_key_config_selectorIjjN6thrust23THRUST_200600_302600_NS4plusIjEEEEZZNS1_33reduce_by_key_impl_wrapped_configILNS1_25lookback_scan_determinismE0ES3_S9_NS6_6detail15normal_iteratorINS6_10device_ptrIjEEEESG_SG_SG_PmS8_NS6_8equal_toIjEEEE10hipError_tPvRmT2_T3_mT4_T5_T6_T7_T8_P12ihipStream_tbENKUlT_T0_E_clISt17integral_constantIbLb0EES11_EEDaSW_SX_EUlSW_E_NS1_11comp_targetILNS1_3genE9ELNS1_11target_archE1100ELNS1_3gpuE3ELNS1_3repE0EEENS1_30default_config_static_selectorELNS0_4arch9wavefront6targetE1EEEvT1_,comdat
.Lfunc_end322:
	.size	_ZN7rocprim17ROCPRIM_400000_NS6detail17trampoline_kernelINS0_14default_configENS1_29reduce_by_key_config_selectorIjjN6thrust23THRUST_200600_302600_NS4plusIjEEEEZZNS1_33reduce_by_key_impl_wrapped_configILNS1_25lookback_scan_determinismE0ES3_S9_NS6_6detail15normal_iteratorINS6_10device_ptrIjEEEESG_SG_SG_PmS8_NS6_8equal_toIjEEEE10hipError_tPvRmT2_T3_mT4_T5_T6_T7_T8_P12ihipStream_tbENKUlT_T0_E_clISt17integral_constantIbLb0EES11_EEDaSW_SX_EUlSW_E_NS1_11comp_targetILNS1_3genE9ELNS1_11target_archE1100ELNS1_3gpuE3ELNS1_3repE0EEENS1_30default_config_static_selectorELNS0_4arch9wavefront6targetE1EEEvT1_, .Lfunc_end322-_ZN7rocprim17ROCPRIM_400000_NS6detail17trampoline_kernelINS0_14default_configENS1_29reduce_by_key_config_selectorIjjN6thrust23THRUST_200600_302600_NS4plusIjEEEEZZNS1_33reduce_by_key_impl_wrapped_configILNS1_25lookback_scan_determinismE0ES3_S9_NS6_6detail15normal_iteratorINS6_10device_ptrIjEEEESG_SG_SG_PmS8_NS6_8equal_toIjEEEE10hipError_tPvRmT2_T3_mT4_T5_T6_T7_T8_P12ihipStream_tbENKUlT_T0_E_clISt17integral_constantIbLb0EES11_EEDaSW_SX_EUlSW_E_NS1_11comp_targetILNS1_3genE9ELNS1_11target_archE1100ELNS1_3gpuE3ELNS1_3repE0EEENS1_30default_config_static_selectorELNS0_4arch9wavefront6targetE1EEEvT1_
                                        ; -- End function
	.section	.AMDGPU.csdata,"",@progbits
; Kernel info:
; codeLenInByte = 0
; NumSgprs: 4
; NumVgprs: 0
; NumAgprs: 0
; TotalNumVgprs: 0
; ScratchSize: 0
; MemoryBound: 0
; FloatMode: 240
; IeeeMode: 1
; LDSByteSize: 0 bytes/workgroup (compile time only)
; SGPRBlocks: 0
; VGPRBlocks: 0
; NumSGPRsForWavesPerEU: 4
; NumVGPRsForWavesPerEU: 1
; AccumOffset: 4
; Occupancy: 8
; WaveLimiterHint : 0
; COMPUTE_PGM_RSRC2:SCRATCH_EN: 0
; COMPUTE_PGM_RSRC2:USER_SGPR: 6
; COMPUTE_PGM_RSRC2:TRAP_HANDLER: 0
; COMPUTE_PGM_RSRC2:TGID_X_EN: 1
; COMPUTE_PGM_RSRC2:TGID_Y_EN: 0
; COMPUTE_PGM_RSRC2:TGID_Z_EN: 0
; COMPUTE_PGM_RSRC2:TIDIG_COMP_CNT: 0
; COMPUTE_PGM_RSRC3_GFX90A:ACCUM_OFFSET: 0
; COMPUTE_PGM_RSRC3_GFX90A:TG_SPLIT: 0
	.section	.text._ZN7rocprim17ROCPRIM_400000_NS6detail17trampoline_kernelINS0_14default_configENS1_29reduce_by_key_config_selectorIjjN6thrust23THRUST_200600_302600_NS4plusIjEEEEZZNS1_33reduce_by_key_impl_wrapped_configILNS1_25lookback_scan_determinismE0ES3_S9_NS6_6detail15normal_iteratorINS6_10device_ptrIjEEEESG_SG_SG_PmS8_NS6_8equal_toIjEEEE10hipError_tPvRmT2_T3_mT4_T5_T6_T7_T8_P12ihipStream_tbENKUlT_T0_E_clISt17integral_constantIbLb0EES11_EEDaSW_SX_EUlSW_E_NS1_11comp_targetILNS1_3genE8ELNS1_11target_archE1030ELNS1_3gpuE2ELNS1_3repE0EEENS1_30default_config_static_selectorELNS0_4arch9wavefront6targetE1EEEvT1_,"axG",@progbits,_ZN7rocprim17ROCPRIM_400000_NS6detail17trampoline_kernelINS0_14default_configENS1_29reduce_by_key_config_selectorIjjN6thrust23THRUST_200600_302600_NS4plusIjEEEEZZNS1_33reduce_by_key_impl_wrapped_configILNS1_25lookback_scan_determinismE0ES3_S9_NS6_6detail15normal_iteratorINS6_10device_ptrIjEEEESG_SG_SG_PmS8_NS6_8equal_toIjEEEE10hipError_tPvRmT2_T3_mT4_T5_T6_T7_T8_P12ihipStream_tbENKUlT_T0_E_clISt17integral_constantIbLb0EES11_EEDaSW_SX_EUlSW_E_NS1_11comp_targetILNS1_3genE8ELNS1_11target_archE1030ELNS1_3gpuE2ELNS1_3repE0EEENS1_30default_config_static_selectorELNS0_4arch9wavefront6targetE1EEEvT1_,comdat
	.protected	_ZN7rocprim17ROCPRIM_400000_NS6detail17trampoline_kernelINS0_14default_configENS1_29reduce_by_key_config_selectorIjjN6thrust23THRUST_200600_302600_NS4plusIjEEEEZZNS1_33reduce_by_key_impl_wrapped_configILNS1_25lookback_scan_determinismE0ES3_S9_NS6_6detail15normal_iteratorINS6_10device_ptrIjEEEESG_SG_SG_PmS8_NS6_8equal_toIjEEEE10hipError_tPvRmT2_T3_mT4_T5_T6_T7_T8_P12ihipStream_tbENKUlT_T0_E_clISt17integral_constantIbLb0EES11_EEDaSW_SX_EUlSW_E_NS1_11comp_targetILNS1_3genE8ELNS1_11target_archE1030ELNS1_3gpuE2ELNS1_3repE0EEENS1_30default_config_static_selectorELNS0_4arch9wavefront6targetE1EEEvT1_ ; -- Begin function _ZN7rocprim17ROCPRIM_400000_NS6detail17trampoline_kernelINS0_14default_configENS1_29reduce_by_key_config_selectorIjjN6thrust23THRUST_200600_302600_NS4plusIjEEEEZZNS1_33reduce_by_key_impl_wrapped_configILNS1_25lookback_scan_determinismE0ES3_S9_NS6_6detail15normal_iteratorINS6_10device_ptrIjEEEESG_SG_SG_PmS8_NS6_8equal_toIjEEEE10hipError_tPvRmT2_T3_mT4_T5_T6_T7_T8_P12ihipStream_tbENKUlT_T0_E_clISt17integral_constantIbLb0EES11_EEDaSW_SX_EUlSW_E_NS1_11comp_targetILNS1_3genE8ELNS1_11target_archE1030ELNS1_3gpuE2ELNS1_3repE0EEENS1_30default_config_static_selectorELNS0_4arch9wavefront6targetE1EEEvT1_
	.globl	_ZN7rocprim17ROCPRIM_400000_NS6detail17trampoline_kernelINS0_14default_configENS1_29reduce_by_key_config_selectorIjjN6thrust23THRUST_200600_302600_NS4plusIjEEEEZZNS1_33reduce_by_key_impl_wrapped_configILNS1_25lookback_scan_determinismE0ES3_S9_NS6_6detail15normal_iteratorINS6_10device_ptrIjEEEESG_SG_SG_PmS8_NS6_8equal_toIjEEEE10hipError_tPvRmT2_T3_mT4_T5_T6_T7_T8_P12ihipStream_tbENKUlT_T0_E_clISt17integral_constantIbLb0EES11_EEDaSW_SX_EUlSW_E_NS1_11comp_targetILNS1_3genE8ELNS1_11target_archE1030ELNS1_3gpuE2ELNS1_3repE0EEENS1_30default_config_static_selectorELNS0_4arch9wavefront6targetE1EEEvT1_
	.p2align	8
	.type	_ZN7rocprim17ROCPRIM_400000_NS6detail17trampoline_kernelINS0_14default_configENS1_29reduce_by_key_config_selectorIjjN6thrust23THRUST_200600_302600_NS4plusIjEEEEZZNS1_33reduce_by_key_impl_wrapped_configILNS1_25lookback_scan_determinismE0ES3_S9_NS6_6detail15normal_iteratorINS6_10device_ptrIjEEEESG_SG_SG_PmS8_NS6_8equal_toIjEEEE10hipError_tPvRmT2_T3_mT4_T5_T6_T7_T8_P12ihipStream_tbENKUlT_T0_E_clISt17integral_constantIbLb0EES11_EEDaSW_SX_EUlSW_E_NS1_11comp_targetILNS1_3genE8ELNS1_11target_archE1030ELNS1_3gpuE2ELNS1_3repE0EEENS1_30default_config_static_selectorELNS0_4arch9wavefront6targetE1EEEvT1_,@function
_ZN7rocprim17ROCPRIM_400000_NS6detail17trampoline_kernelINS0_14default_configENS1_29reduce_by_key_config_selectorIjjN6thrust23THRUST_200600_302600_NS4plusIjEEEEZZNS1_33reduce_by_key_impl_wrapped_configILNS1_25lookback_scan_determinismE0ES3_S9_NS6_6detail15normal_iteratorINS6_10device_ptrIjEEEESG_SG_SG_PmS8_NS6_8equal_toIjEEEE10hipError_tPvRmT2_T3_mT4_T5_T6_T7_T8_P12ihipStream_tbENKUlT_T0_E_clISt17integral_constantIbLb0EES11_EEDaSW_SX_EUlSW_E_NS1_11comp_targetILNS1_3genE8ELNS1_11target_archE1030ELNS1_3gpuE2ELNS1_3repE0EEENS1_30default_config_static_selectorELNS0_4arch9wavefront6targetE1EEEvT1_: ; @_ZN7rocprim17ROCPRIM_400000_NS6detail17trampoline_kernelINS0_14default_configENS1_29reduce_by_key_config_selectorIjjN6thrust23THRUST_200600_302600_NS4plusIjEEEEZZNS1_33reduce_by_key_impl_wrapped_configILNS1_25lookback_scan_determinismE0ES3_S9_NS6_6detail15normal_iteratorINS6_10device_ptrIjEEEESG_SG_SG_PmS8_NS6_8equal_toIjEEEE10hipError_tPvRmT2_T3_mT4_T5_T6_T7_T8_P12ihipStream_tbENKUlT_T0_E_clISt17integral_constantIbLb0EES11_EEDaSW_SX_EUlSW_E_NS1_11comp_targetILNS1_3genE8ELNS1_11target_archE1030ELNS1_3gpuE2ELNS1_3repE0EEENS1_30default_config_static_selectorELNS0_4arch9wavefront6targetE1EEEvT1_
; %bb.0:
	.section	.rodata,"a",@progbits
	.p2align	6, 0x0
	.amdhsa_kernel _ZN7rocprim17ROCPRIM_400000_NS6detail17trampoline_kernelINS0_14default_configENS1_29reduce_by_key_config_selectorIjjN6thrust23THRUST_200600_302600_NS4plusIjEEEEZZNS1_33reduce_by_key_impl_wrapped_configILNS1_25lookback_scan_determinismE0ES3_S9_NS6_6detail15normal_iteratorINS6_10device_ptrIjEEEESG_SG_SG_PmS8_NS6_8equal_toIjEEEE10hipError_tPvRmT2_T3_mT4_T5_T6_T7_T8_P12ihipStream_tbENKUlT_T0_E_clISt17integral_constantIbLb0EES11_EEDaSW_SX_EUlSW_E_NS1_11comp_targetILNS1_3genE8ELNS1_11target_archE1030ELNS1_3gpuE2ELNS1_3repE0EEENS1_30default_config_static_selectorELNS0_4arch9wavefront6targetE1EEEvT1_
		.amdhsa_group_segment_fixed_size 0
		.amdhsa_private_segment_fixed_size 0
		.amdhsa_kernarg_size 120
		.amdhsa_user_sgpr_count 6
		.amdhsa_user_sgpr_private_segment_buffer 1
		.amdhsa_user_sgpr_dispatch_ptr 0
		.amdhsa_user_sgpr_queue_ptr 0
		.amdhsa_user_sgpr_kernarg_segment_ptr 1
		.amdhsa_user_sgpr_dispatch_id 0
		.amdhsa_user_sgpr_flat_scratch_init 0
		.amdhsa_user_sgpr_kernarg_preload_length 0
		.amdhsa_user_sgpr_kernarg_preload_offset 0
		.amdhsa_user_sgpr_private_segment_size 0
		.amdhsa_uses_dynamic_stack 0
		.amdhsa_system_sgpr_private_segment_wavefront_offset 0
		.amdhsa_system_sgpr_workgroup_id_x 1
		.amdhsa_system_sgpr_workgroup_id_y 0
		.amdhsa_system_sgpr_workgroup_id_z 0
		.amdhsa_system_sgpr_workgroup_info 0
		.amdhsa_system_vgpr_workitem_id 0
		.amdhsa_next_free_vgpr 1
		.amdhsa_next_free_sgpr 0
		.amdhsa_accum_offset 4
		.amdhsa_reserve_vcc 0
		.amdhsa_reserve_flat_scratch 0
		.amdhsa_float_round_mode_32 0
		.amdhsa_float_round_mode_16_64 0
		.amdhsa_float_denorm_mode_32 3
		.amdhsa_float_denorm_mode_16_64 3
		.amdhsa_dx10_clamp 1
		.amdhsa_ieee_mode 1
		.amdhsa_fp16_overflow 0
		.amdhsa_tg_split 0
		.amdhsa_exception_fp_ieee_invalid_op 0
		.amdhsa_exception_fp_denorm_src 0
		.amdhsa_exception_fp_ieee_div_zero 0
		.amdhsa_exception_fp_ieee_overflow 0
		.amdhsa_exception_fp_ieee_underflow 0
		.amdhsa_exception_fp_ieee_inexact 0
		.amdhsa_exception_int_div_zero 0
	.end_amdhsa_kernel
	.section	.text._ZN7rocprim17ROCPRIM_400000_NS6detail17trampoline_kernelINS0_14default_configENS1_29reduce_by_key_config_selectorIjjN6thrust23THRUST_200600_302600_NS4plusIjEEEEZZNS1_33reduce_by_key_impl_wrapped_configILNS1_25lookback_scan_determinismE0ES3_S9_NS6_6detail15normal_iteratorINS6_10device_ptrIjEEEESG_SG_SG_PmS8_NS6_8equal_toIjEEEE10hipError_tPvRmT2_T3_mT4_T5_T6_T7_T8_P12ihipStream_tbENKUlT_T0_E_clISt17integral_constantIbLb0EES11_EEDaSW_SX_EUlSW_E_NS1_11comp_targetILNS1_3genE8ELNS1_11target_archE1030ELNS1_3gpuE2ELNS1_3repE0EEENS1_30default_config_static_selectorELNS0_4arch9wavefront6targetE1EEEvT1_,"axG",@progbits,_ZN7rocprim17ROCPRIM_400000_NS6detail17trampoline_kernelINS0_14default_configENS1_29reduce_by_key_config_selectorIjjN6thrust23THRUST_200600_302600_NS4plusIjEEEEZZNS1_33reduce_by_key_impl_wrapped_configILNS1_25lookback_scan_determinismE0ES3_S9_NS6_6detail15normal_iteratorINS6_10device_ptrIjEEEESG_SG_SG_PmS8_NS6_8equal_toIjEEEE10hipError_tPvRmT2_T3_mT4_T5_T6_T7_T8_P12ihipStream_tbENKUlT_T0_E_clISt17integral_constantIbLb0EES11_EEDaSW_SX_EUlSW_E_NS1_11comp_targetILNS1_3genE8ELNS1_11target_archE1030ELNS1_3gpuE2ELNS1_3repE0EEENS1_30default_config_static_selectorELNS0_4arch9wavefront6targetE1EEEvT1_,comdat
.Lfunc_end323:
	.size	_ZN7rocprim17ROCPRIM_400000_NS6detail17trampoline_kernelINS0_14default_configENS1_29reduce_by_key_config_selectorIjjN6thrust23THRUST_200600_302600_NS4plusIjEEEEZZNS1_33reduce_by_key_impl_wrapped_configILNS1_25lookback_scan_determinismE0ES3_S9_NS6_6detail15normal_iteratorINS6_10device_ptrIjEEEESG_SG_SG_PmS8_NS6_8equal_toIjEEEE10hipError_tPvRmT2_T3_mT4_T5_T6_T7_T8_P12ihipStream_tbENKUlT_T0_E_clISt17integral_constantIbLb0EES11_EEDaSW_SX_EUlSW_E_NS1_11comp_targetILNS1_3genE8ELNS1_11target_archE1030ELNS1_3gpuE2ELNS1_3repE0EEENS1_30default_config_static_selectorELNS0_4arch9wavefront6targetE1EEEvT1_, .Lfunc_end323-_ZN7rocprim17ROCPRIM_400000_NS6detail17trampoline_kernelINS0_14default_configENS1_29reduce_by_key_config_selectorIjjN6thrust23THRUST_200600_302600_NS4plusIjEEEEZZNS1_33reduce_by_key_impl_wrapped_configILNS1_25lookback_scan_determinismE0ES3_S9_NS6_6detail15normal_iteratorINS6_10device_ptrIjEEEESG_SG_SG_PmS8_NS6_8equal_toIjEEEE10hipError_tPvRmT2_T3_mT4_T5_T6_T7_T8_P12ihipStream_tbENKUlT_T0_E_clISt17integral_constantIbLb0EES11_EEDaSW_SX_EUlSW_E_NS1_11comp_targetILNS1_3genE8ELNS1_11target_archE1030ELNS1_3gpuE2ELNS1_3repE0EEENS1_30default_config_static_selectorELNS0_4arch9wavefront6targetE1EEEvT1_
                                        ; -- End function
	.section	.AMDGPU.csdata,"",@progbits
; Kernel info:
; codeLenInByte = 0
; NumSgprs: 4
; NumVgprs: 0
; NumAgprs: 0
; TotalNumVgprs: 0
; ScratchSize: 0
; MemoryBound: 0
; FloatMode: 240
; IeeeMode: 1
; LDSByteSize: 0 bytes/workgroup (compile time only)
; SGPRBlocks: 0
; VGPRBlocks: 0
; NumSGPRsForWavesPerEU: 4
; NumVGPRsForWavesPerEU: 1
; AccumOffset: 4
; Occupancy: 8
; WaveLimiterHint : 0
; COMPUTE_PGM_RSRC2:SCRATCH_EN: 0
; COMPUTE_PGM_RSRC2:USER_SGPR: 6
; COMPUTE_PGM_RSRC2:TRAP_HANDLER: 0
; COMPUTE_PGM_RSRC2:TGID_X_EN: 1
; COMPUTE_PGM_RSRC2:TGID_Y_EN: 0
; COMPUTE_PGM_RSRC2:TGID_Z_EN: 0
; COMPUTE_PGM_RSRC2:TIDIG_COMP_CNT: 0
; COMPUTE_PGM_RSRC3_GFX90A:ACCUM_OFFSET: 0
; COMPUTE_PGM_RSRC3_GFX90A:TG_SPLIT: 0
	.section	.text._ZN7rocprim17ROCPRIM_400000_NS6detail25reduce_by_key_init_kernelINS1_19lookback_scan_stateINS0_5tupleIJjjEEELb1ELb1EEEjNS1_16block_id_wrapperIjLb1EEEEEvT_jbjPmPT0_T1_,"axG",@progbits,_ZN7rocprim17ROCPRIM_400000_NS6detail25reduce_by_key_init_kernelINS1_19lookback_scan_stateINS0_5tupleIJjjEEELb1ELb1EEEjNS1_16block_id_wrapperIjLb1EEEEEvT_jbjPmPT0_T1_,comdat
	.protected	_ZN7rocprim17ROCPRIM_400000_NS6detail25reduce_by_key_init_kernelINS1_19lookback_scan_stateINS0_5tupleIJjjEEELb1ELb1EEEjNS1_16block_id_wrapperIjLb1EEEEEvT_jbjPmPT0_T1_ ; -- Begin function _ZN7rocprim17ROCPRIM_400000_NS6detail25reduce_by_key_init_kernelINS1_19lookback_scan_stateINS0_5tupleIJjjEEELb1ELb1EEEjNS1_16block_id_wrapperIjLb1EEEEEvT_jbjPmPT0_T1_
	.globl	_ZN7rocprim17ROCPRIM_400000_NS6detail25reduce_by_key_init_kernelINS1_19lookback_scan_stateINS0_5tupleIJjjEEELb1ELb1EEEjNS1_16block_id_wrapperIjLb1EEEEEvT_jbjPmPT0_T1_
	.p2align	8
	.type	_ZN7rocprim17ROCPRIM_400000_NS6detail25reduce_by_key_init_kernelINS1_19lookback_scan_stateINS0_5tupleIJjjEEELb1ELb1EEEjNS1_16block_id_wrapperIjLb1EEEEEvT_jbjPmPT0_T1_,@function
_ZN7rocprim17ROCPRIM_400000_NS6detail25reduce_by_key_init_kernelINS1_19lookback_scan_stateINS0_5tupleIJjjEEELb1ELb1EEEjNS1_16block_id_wrapperIjLb1EEEEEvT_jbjPmPT0_T1_: ; @_ZN7rocprim17ROCPRIM_400000_NS6detail25reduce_by_key_init_kernelINS1_19lookback_scan_stateINS0_5tupleIJjjEEELb1ELb1EEEjNS1_16block_id_wrapperIjLb1EEEEEvT_jbjPmPT0_T1_
; %bb.0:
	s_load_dwordx8 s[8:15], s[4:5], 0x8
	s_load_dword s0, s[4:5], 0x3c
	s_load_dwordx2 s[16:17], s[4:5], 0x28
	s_load_dwordx2 s[2:3], s[4:5], 0x0
	s_waitcnt lgkmcnt(0)
	s_and_b32 s1, s9, 1
	s_and_b32 s0, s0, 0xffff
	s_mul_i32 s6, s6, s0
	s_cmp_eq_u32 s1, 0
	v_add_u32_e32 v0, s6, v0
	s_mov_b64 s[0:1], -1
	s_cbranch_scc1 .LBB324_6
; %bb.1:
	s_andn2_b64 vcc, exec, s[0:1]
	v_cmp_eq_u32_e64 s[0:1], 0, v0
	s_cbranch_vccz .LBB324_15
.LBB324_2:
	v_cmp_eq_u32_e32 vcc, 0, v0
	s_and_saveexec_b64 s[0:1], vcc
	s_cbranch_execnz .LBB324_18
.LBB324_3:
	s_or_b64 exec, exec, s[0:1]
	v_cmp_gt_u32_e32 vcc, s8, v0
	s_and_saveexec_b64 s[0:1], vcc
	s_cbranch_execnz .LBB324_19
.LBB324_4:
	s_or_b64 exec, exec, s[0:1]
	v_cmp_gt_u32_e32 vcc, 64, v0
	s_and_saveexec_b64 s[0:1], vcc
	s_cbranch_execnz .LBB324_20
.LBB324_5:
	s_endpgm
.LBB324_6:
	s_cmp_lt_u32 s10, s8
	s_cselect_b32 s0, s10, 0
	v_cmp_eq_u32_e32 vcc, s0, v0
	s_and_saveexec_b64 s[0:1], vcc
	s_cbranch_execz .LBB324_14
; %bb.7:
	s_add_i32 s4, s10, 64
	s_mov_b32 s5, 0
	s_lshl_b64 s[4:5], s[4:5], 4
	s_add_u32 s10, s2, s4
	s_addc_u32 s11, s3, s5
	v_pk_mov_b32 v[2:3], s[10:11], s[10:11] op_sel:[0,1]
	;;#ASMSTART
	global_load_dwordx4 v[2:5], v[2:3] off glc	
s_waitcnt vmcnt(0)
	;;#ASMEND
	v_mov_b32_e32 v7, 0
	v_and_b32_e32 v6, 0xff, v4
	s_mov_b64 s[6:7], 0
	v_cmp_eq_u64_e32 vcc, 0, v[6:7]
	s_and_saveexec_b64 s[4:5], vcc
	s_cbranch_execz .LBB324_13
; %bb.8:
	s_mov_b32 s9, 1
	v_pk_mov_b32 v[8:9], s[10:11], s[10:11] op_sel:[0,1]
.LBB324_9:                              ; =>This Loop Header: Depth=1
                                        ;     Child Loop BB324_10 Depth 2
	s_max_u32 s10, s9, 1
.LBB324_10:                             ;   Parent Loop BB324_9 Depth=1
                                        ; =>  This Inner Loop Header: Depth=2
	s_add_i32 s10, s10, -1
	s_cmp_eq_u32 s10, 0
	s_sleep 1
	s_cbranch_scc0 .LBB324_10
; %bb.11:                               ;   in Loop: Header=BB324_9 Depth=1
	s_cmp_lt_u32 s9, 32
	s_cselect_b64 s[10:11], -1, 0
	s_cmp_lg_u64 s[10:11], 0
	;;#ASMSTART
	global_load_dwordx4 v[2:5], v[8:9] off glc	
s_waitcnt vmcnt(0)
	;;#ASMEND
	v_and_b32_e32 v6, 0xff, v4
	s_addc_u32 s9, s9, 0
	v_cmp_ne_u64_e32 vcc, 0, v[6:7]
	s_or_b64 s[6:7], vcc, s[6:7]
	s_andn2_b64 exec, exec, s[6:7]
	s_cbranch_execnz .LBB324_9
; %bb.12:
	s_or_b64 exec, exec, s[6:7]
.LBB324_13:
	s_or_b64 exec, exec, s[4:5]
	v_mov_b32_e32 v1, 0
	global_load_dwordx2 v[4:5], v1, s[12:13]
	s_waitcnt vmcnt(0)
	v_add_co_u32_e32 v4, vcc, v4, v2
	v_addc_co_u32_e32 v5, vcc, 0, v5, vcc
	global_store_dwordx2 v1, v[4:5], s[12:13]
	global_store_dword v1, v3, s[14:15]
.LBB324_14:
	s_or_b64 exec, exec, s[0:1]
	v_cmp_eq_u32_e64 s[0:1], 0, v0
	s_cbranch_execnz .LBB324_2
.LBB324_15:
	s_cmp_lg_u64 s[12:13], 0
	s_cselect_b64 s[4:5], -1, 0
	s_and_b64 s[4:5], s[4:5], s[0:1]
	s_and_saveexec_b64 s[0:1], s[4:5]
	s_cbranch_execz .LBB324_17
; %bb.16:
	v_mov_b32_e32 v2, 0
	v_mov_b32_e32 v3, v2
	global_store_dwordx2 v2, v[2:3], s[12:13]
.LBB324_17:
	s_or_b64 exec, exec, s[0:1]
	v_cmp_eq_u32_e32 vcc, 0, v0
	s_and_saveexec_b64 s[0:1], vcc
	s_cbranch_execz .LBB324_3
.LBB324_18:
	v_mov_b32_e32 v1, 0
	global_store_dword v1, v1, s[16:17]
	s_or_b64 exec, exec, s[0:1]
	v_cmp_gt_u32_e32 vcc, s8, v0
	s_and_saveexec_b64 s[0:1], vcc
	s_cbranch_execz .LBB324_4
.LBB324_19:
	v_add_u32_e32 v2, 64, v0
	v_mov_b32_e32 v3, 0
	v_lshlrev_b64 v[4:5], 4, v[2:3]
	v_mov_b32_e32 v1, s3
	v_add_co_u32_e32 v6, vcc, s2, v4
	v_addc_co_u32_e32 v7, vcc, v1, v5, vcc
	v_mov_b32_e32 v2, v3
	v_mov_b32_e32 v4, v3
	;; [unrolled: 1-line block ×3, first 2 shown]
	global_store_dwordx4 v[6:7], v[2:5], off
	s_or_b64 exec, exec, s[0:1]
	v_cmp_gt_u32_e32 vcc, 64, v0
	s_and_saveexec_b64 s[0:1], vcc
	s_cbranch_execz .LBB324_5
.LBB324_20:
	v_mov_b32_e32 v1, 0
	v_lshlrev_b64 v[2:3], 4, v[0:1]
	v_mov_b32_e32 v0, s3
	v_add_co_u32_e32 v4, vcc, s2, v2
	v_addc_co_u32_e32 v5, vcc, v0, v3, vcc
	v_mov_b32_e32 v2, 0xff
	v_mov_b32_e32 v0, v1
	;; [unrolled: 1-line block ×3, first 2 shown]
	global_store_dwordx4 v[4:5], v[0:3], off
	s_endpgm
	.section	.rodata,"a",@progbits
	.p2align	6, 0x0
	.amdhsa_kernel _ZN7rocprim17ROCPRIM_400000_NS6detail25reduce_by_key_init_kernelINS1_19lookback_scan_stateINS0_5tupleIJjjEEELb1ELb1EEEjNS1_16block_id_wrapperIjLb1EEEEEvT_jbjPmPT0_T1_
		.amdhsa_group_segment_fixed_size 0
		.amdhsa_private_segment_fixed_size 0
		.amdhsa_kernarg_size 304
		.amdhsa_user_sgpr_count 6
		.amdhsa_user_sgpr_private_segment_buffer 1
		.amdhsa_user_sgpr_dispatch_ptr 0
		.amdhsa_user_sgpr_queue_ptr 0
		.amdhsa_user_sgpr_kernarg_segment_ptr 1
		.amdhsa_user_sgpr_dispatch_id 0
		.amdhsa_user_sgpr_flat_scratch_init 0
		.amdhsa_user_sgpr_kernarg_preload_length 0
		.amdhsa_user_sgpr_kernarg_preload_offset 0
		.amdhsa_user_sgpr_private_segment_size 0
		.amdhsa_uses_dynamic_stack 0
		.amdhsa_system_sgpr_private_segment_wavefront_offset 0
		.amdhsa_system_sgpr_workgroup_id_x 1
		.amdhsa_system_sgpr_workgroup_id_y 0
		.amdhsa_system_sgpr_workgroup_id_z 0
		.amdhsa_system_sgpr_workgroup_info 0
		.amdhsa_system_vgpr_workitem_id 0
		.amdhsa_next_free_vgpr 10
		.amdhsa_next_free_sgpr 18
		.amdhsa_accum_offset 12
		.amdhsa_reserve_vcc 1
		.amdhsa_reserve_flat_scratch 0
		.amdhsa_float_round_mode_32 0
		.amdhsa_float_round_mode_16_64 0
		.amdhsa_float_denorm_mode_32 3
		.amdhsa_float_denorm_mode_16_64 3
		.amdhsa_dx10_clamp 1
		.amdhsa_ieee_mode 1
		.amdhsa_fp16_overflow 0
		.amdhsa_tg_split 0
		.amdhsa_exception_fp_ieee_invalid_op 0
		.amdhsa_exception_fp_denorm_src 0
		.amdhsa_exception_fp_ieee_div_zero 0
		.amdhsa_exception_fp_ieee_overflow 0
		.amdhsa_exception_fp_ieee_underflow 0
		.amdhsa_exception_fp_ieee_inexact 0
		.amdhsa_exception_int_div_zero 0
	.end_amdhsa_kernel
	.section	.text._ZN7rocprim17ROCPRIM_400000_NS6detail25reduce_by_key_init_kernelINS1_19lookback_scan_stateINS0_5tupleIJjjEEELb1ELb1EEEjNS1_16block_id_wrapperIjLb1EEEEEvT_jbjPmPT0_T1_,"axG",@progbits,_ZN7rocprim17ROCPRIM_400000_NS6detail25reduce_by_key_init_kernelINS1_19lookback_scan_stateINS0_5tupleIJjjEEELb1ELb1EEEjNS1_16block_id_wrapperIjLb1EEEEEvT_jbjPmPT0_T1_,comdat
.Lfunc_end324:
	.size	_ZN7rocprim17ROCPRIM_400000_NS6detail25reduce_by_key_init_kernelINS1_19lookback_scan_stateINS0_5tupleIJjjEEELb1ELb1EEEjNS1_16block_id_wrapperIjLb1EEEEEvT_jbjPmPT0_T1_, .Lfunc_end324-_ZN7rocprim17ROCPRIM_400000_NS6detail25reduce_by_key_init_kernelINS1_19lookback_scan_stateINS0_5tupleIJjjEEELb1ELb1EEEjNS1_16block_id_wrapperIjLb1EEEEEvT_jbjPmPT0_T1_
                                        ; -- End function
	.section	.AMDGPU.csdata,"",@progbits
; Kernel info:
; codeLenInByte = 572
; NumSgprs: 22
; NumVgprs: 10
; NumAgprs: 0
; TotalNumVgprs: 10
; ScratchSize: 0
; MemoryBound: 0
; FloatMode: 240
; IeeeMode: 1
; LDSByteSize: 0 bytes/workgroup (compile time only)
; SGPRBlocks: 2
; VGPRBlocks: 1
; NumSGPRsForWavesPerEU: 22
; NumVGPRsForWavesPerEU: 10
; AccumOffset: 12
; Occupancy: 8
; WaveLimiterHint : 0
; COMPUTE_PGM_RSRC2:SCRATCH_EN: 0
; COMPUTE_PGM_RSRC2:USER_SGPR: 6
; COMPUTE_PGM_RSRC2:TRAP_HANDLER: 0
; COMPUTE_PGM_RSRC2:TGID_X_EN: 1
; COMPUTE_PGM_RSRC2:TGID_Y_EN: 0
; COMPUTE_PGM_RSRC2:TGID_Z_EN: 0
; COMPUTE_PGM_RSRC2:TIDIG_COMP_CNT: 0
; COMPUTE_PGM_RSRC3_GFX90A:ACCUM_OFFSET: 2
; COMPUTE_PGM_RSRC3_GFX90A:TG_SPLIT: 0
	.section	.text._ZN7rocprim17ROCPRIM_400000_NS6detail17trampoline_kernelINS0_14default_configENS1_29reduce_by_key_config_selectorIjjN6thrust23THRUST_200600_302600_NS4plusIjEEEEZZNS1_33reduce_by_key_impl_wrapped_configILNS1_25lookback_scan_determinismE0ES3_S9_NS6_6detail15normal_iteratorINS6_10device_ptrIjEEEESG_SG_SG_PmS8_NS6_8equal_toIjEEEE10hipError_tPvRmT2_T3_mT4_T5_T6_T7_T8_P12ihipStream_tbENKUlT_T0_E_clISt17integral_constantIbLb1EES11_EEDaSW_SX_EUlSW_E_NS1_11comp_targetILNS1_3genE0ELNS1_11target_archE4294967295ELNS1_3gpuE0ELNS1_3repE0EEENS1_30default_config_static_selectorELNS0_4arch9wavefront6targetE1EEEvT1_,"axG",@progbits,_ZN7rocprim17ROCPRIM_400000_NS6detail17trampoline_kernelINS0_14default_configENS1_29reduce_by_key_config_selectorIjjN6thrust23THRUST_200600_302600_NS4plusIjEEEEZZNS1_33reduce_by_key_impl_wrapped_configILNS1_25lookback_scan_determinismE0ES3_S9_NS6_6detail15normal_iteratorINS6_10device_ptrIjEEEESG_SG_SG_PmS8_NS6_8equal_toIjEEEE10hipError_tPvRmT2_T3_mT4_T5_T6_T7_T8_P12ihipStream_tbENKUlT_T0_E_clISt17integral_constantIbLb1EES11_EEDaSW_SX_EUlSW_E_NS1_11comp_targetILNS1_3genE0ELNS1_11target_archE4294967295ELNS1_3gpuE0ELNS1_3repE0EEENS1_30default_config_static_selectorELNS0_4arch9wavefront6targetE1EEEvT1_,comdat
	.protected	_ZN7rocprim17ROCPRIM_400000_NS6detail17trampoline_kernelINS0_14default_configENS1_29reduce_by_key_config_selectorIjjN6thrust23THRUST_200600_302600_NS4plusIjEEEEZZNS1_33reduce_by_key_impl_wrapped_configILNS1_25lookback_scan_determinismE0ES3_S9_NS6_6detail15normal_iteratorINS6_10device_ptrIjEEEESG_SG_SG_PmS8_NS6_8equal_toIjEEEE10hipError_tPvRmT2_T3_mT4_T5_T6_T7_T8_P12ihipStream_tbENKUlT_T0_E_clISt17integral_constantIbLb1EES11_EEDaSW_SX_EUlSW_E_NS1_11comp_targetILNS1_3genE0ELNS1_11target_archE4294967295ELNS1_3gpuE0ELNS1_3repE0EEENS1_30default_config_static_selectorELNS0_4arch9wavefront6targetE1EEEvT1_ ; -- Begin function _ZN7rocprim17ROCPRIM_400000_NS6detail17trampoline_kernelINS0_14default_configENS1_29reduce_by_key_config_selectorIjjN6thrust23THRUST_200600_302600_NS4plusIjEEEEZZNS1_33reduce_by_key_impl_wrapped_configILNS1_25lookback_scan_determinismE0ES3_S9_NS6_6detail15normal_iteratorINS6_10device_ptrIjEEEESG_SG_SG_PmS8_NS6_8equal_toIjEEEE10hipError_tPvRmT2_T3_mT4_T5_T6_T7_T8_P12ihipStream_tbENKUlT_T0_E_clISt17integral_constantIbLb1EES11_EEDaSW_SX_EUlSW_E_NS1_11comp_targetILNS1_3genE0ELNS1_11target_archE4294967295ELNS1_3gpuE0ELNS1_3repE0EEENS1_30default_config_static_selectorELNS0_4arch9wavefront6targetE1EEEvT1_
	.globl	_ZN7rocprim17ROCPRIM_400000_NS6detail17trampoline_kernelINS0_14default_configENS1_29reduce_by_key_config_selectorIjjN6thrust23THRUST_200600_302600_NS4plusIjEEEEZZNS1_33reduce_by_key_impl_wrapped_configILNS1_25lookback_scan_determinismE0ES3_S9_NS6_6detail15normal_iteratorINS6_10device_ptrIjEEEESG_SG_SG_PmS8_NS6_8equal_toIjEEEE10hipError_tPvRmT2_T3_mT4_T5_T6_T7_T8_P12ihipStream_tbENKUlT_T0_E_clISt17integral_constantIbLb1EES11_EEDaSW_SX_EUlSW_E_NS1_11comp_targetILNS1_3genE0ELNS1_11target_archE4294967295ELNS1_3gpuE0ELNS1_3repE0EEENS1_30default_config_static_selectorELNS0_4arch9wavefront6targetE1EEEvT1_
	.p2align	8
	.type	_ZN7rocprim17ROCPRIM_400000_NS6detail17trampoline_kernelINS0_14default_configENS1_29reduce_by_key_config_selectorIjjN6thrust23THRUST_200600_302600_NS4plusIjEEEEZZNS1_33reduce_by_key_impl_wrapped_configILNS1_25lookback_scan_determinismE0ES3_S9_NS6_6detail15normal_iteratorINS6_10device_ptrIjEEEESG_SG_SG_PmS8_NS6_8equal_toIjEEEE10hipError_tPvRmT2_T3_mT4_T5_T6_T7_T8_P12ihipStream_tbENKUlT_T0_E_clISt17integral_constantIbLb1EES11_EEDaSW_SX_EUlSW_E_NS1_11comp_targetILNS1_3genE0ELNS1_11target_archE4294967295ELNS1_3gpuE0ELNS1_3repE0EEENS1_30default_config_static_selectorELNS0_4arch9wavefront6targetE1EEEvT1_,@function
_ZN7rocprim17ROCPRIM_400000_NS6detail17trampoline_kernelINS0_14default_configENS1_29reduce_by_key_config_selectorIjjN6thrust23THRUST_200600_302600_NS4plusIjEEEEZZNS1_33reduce_by_key_impl_wrapped_configILNS1_25lookback_scan_determinismE0ES3_S9_NS6_6detail15normal_iteratorINS6_10device_ptrIjEEEESG_SG_SG_PmS8_NS6_8equal_toIjEEEE10hipError_tPvRmT2_T3_mT4_T5_T6_T7_T8_P12ihipStream_tbENKUlT_T0_E_clISt17integral_constantIbLb1EES11_EEDaSW_SX_EUlSW_E_NS1_11comp_targetILNS1_3genE0ELNS1_11target_archE4294967295ELNS1_3gpuE0ELNS1_3repE0EEENS1_30default_config_static_selectorELNS0_4arch9wavefront6targetE1EEEvT1_: ; @_ZN7rocprim17ROCPRIM_400000_NS6detail17trampoline_kernelINS0_14default_configENS1_29reduce_by_key_config_selectorIjjN6thrust23THRUST_200600_302600_NS4plusIjEEEEZZNS1_33reduce_by_key_impl_wrapped_configILNS1_25lookback_scan_determinismE0ES3_S9_NS6_6detail15normal_iteratorINS6_10device_ptrIjEEEESG_SG_SG_PmS8_NS6_8equal_toIjEEEE10hipError_tPvRmT2_T3_mT4_T5_T6_T7_T8_P12ihipStream_tbENKUlT_T0_E_clISt17integral_constantIbLb1EES11_EEDaSW_SX_EUlSW_E_NS1_11comp_targetILNS1_3genE0ELNS1_11target_archE4294967295ELNS1_3gpuE0ELNS1_3repE0EEENS1_30default_config_static_selectorELNS0_4arch9wavefront6targetE1EEEvT1_
; %bb.0:
	.section	.rodata,"a",@progbits
	.p2align	6, 0x0
	.amdhsa_kernel _ZN7rocprim17ROCPRIM_400000_NS6detail17trampoline_kernelINS0_14default_configENS1_29reduce_by_key_config_selectorIjjN6thrust23THRUST_200600_302600_NS4plusIjEEEEZZNS1_33reduce_by_key_impl_wrapped_configILNS1_25lookback_scan_determinismE0ES3_S9_NS6_6detail15normal_iteratorINS6_10device_ptrIjEEEESG_SG_SG_PmS8_NS6_8equal_toIjEEEE10hipError_tPvRmT2_T3_mT4_T5_T6_T7_T8_P12ihipStream_tbENKUlT_T0_E_clISt17integral_constantIbLb1EES11_EEDaSW_SX_EUlSW_E_NS1_11comp_targetILNS1_3genE0ELNS1_11target_archE4294967295ELNS1_3gpuE0ELNS1_3repE0EEENS1_30default_config_static_selectorELNS0_4arch9wavefront6targetE1EEEvT1_
		.amdhsa_group_segment_fixed_size 0
		.amdhsa_private_segment_fixed_size 0
		.amdhsa_kernarg_size 120
		.amdhsa_user_sgpr_count 6
		.amdhsa_user_sgpr_private_segment_buffer 1
		.amdhsa_user_sgpr_dispatch_ptr 0
		.amdhsa_user_sgpr_queue_ptr 0
		.amdhsa_user_sgpr_kernarg_segment_ptr 1
		.amdhsa_user_sgpr_dispatch_id 0
		.amdhsa_user_sgpr_flat_scratch_init 0
		.amdhsa_user_sgpr_kernarg_preload_length 0
		.amdhsa_user_sgpr_kernarg_preload_offset 0
		.amdhsa_user_sgpr_private_segment_size 0
		.amdhsa_uses_dynamic_stack 0
		.amdhsa_system_sgpr_private_segment_wavefront_offset 0
		.amdhsa_system_sgpr_workgroup_id_x 1
		.amdhsa_system_sgpr_workgroup_id_y 0
		.amdhsa_system_sgpr_workgroup_id_z 0
		.amdhsa_system_sgpr_workgroup_info 0
		.amdhsa_system_vgpr_workitem_id 0
		.amdhsa_next_free_vgpr 1
		.amdhsa_next_free_sgpr 0
		.amdhsa_accum_offset 4
		.amdhsa_reserve_vcc 0
		.amdhsa_reserve_flat_scratch 0
		.amdhsa_float_round_mode_32 0
		.amdhsa_float_round_mode_16_64 0
		.amdhsa_float_denorm_mode_32 3
		.amdhsa_float_denorm_mode_16_64 3
		.amdhsa_dx10_clamp 1
		.amdhsa_ieee_mode 1
		.amdhsa_fp16_overflow 0
		.amdhsa_tg_split 0
		.amdhsa_exception_fp_ieee_invalid_op 0
		.amdhsa_exception_fp_denorm_src 0
		.amdhsa_exception_fp_ieee_div_zero 0
		.amdhsa_exception_fp_ieee_overflow 0
		.amdhsa_exception_fp_ieee_underflow 0
		.amdhsa_exception_fp_ieee_inexact 0
		.amdhsa_exception_int_div_zero 0
	.end_amdhsa_kernel
	.section	.text._ZN7rocprim17ROCPRIM_400000_NS6detail17trampoline_kernelINS0_14default_configENS1_29reduce_by_key_config_selectorIjjN6thrust23THRUST_200600_302600_NS4plusIjEEEEZZNS1_33reduce_by_key_impl_wrapped_configILNS1_25lookback_scan_determinismE0ES3_S9_NS6_6detail15normal_iteratorINS6_10device_ptrIjEEEESG_SG_SG_PmS8_NS6_8equal_toIjEEEE10hipError_tPvRmT2_T3_mT4_T5_T6_T7_T8_P12ihipStream_tbENKUlT_T0_E_clISt17integral_constantIbLb1EES11_EEDaSW_SX_EUlSW_E_NS1_11comp_targetILNS1_3genE0ELNS1_11target_archE4294967295ELNS1_3gpuE0ELNS1_3repE0EEENS1_30default_config_static_selectorELNS0_4arch9wavefront6targetE1EEEvT1_,"axG",@progbits,_ZN7rocprim17ROCPRIM_400000_NS6detail17trampoline_kernelINS0_14default_configENS1_29reduce_by_key_config_selectorIjjN6thrust23THRUST_200600_302600_NS4plusIjEEEEZZNS1_33reduce_by_key_impl_wrapped_configILNS1_25lookback_scan_determinismE0ES3_S9_NS6_6detail15normal_iteratorINS6_10device_ptrIjEEEESG_SG_SG_PmS8_NS6_8equal_toIjEEEE10hipError_tPvRmT2_T3_mT4_T5_T6_T7_T8_P12ihipStream_tbENKUlT_T0_E_clISt17integral_constantIbLb1EES11_EEDaSW_SX_EUlSW_E_NS1_11comp_targetILNS1_3genE0ELNS1_11target_archE4294967295ELNS1_3gpuE0ELNS1_3repE0EEENS1_30default_config_static_selectorELNS0_4arch9wavefront6targetE1EEEvT1_,comdat
.Lfunc_end325:
	.size	_ZN7rocprim17ROCPRIM_400000_NS6detail17trampoline_kernelINS0_14default_configENS1_29reduce_by_key_config_selectorIjjN6thrust23THRUST_200600_302600_NS4plusIjEEEEZZNS1_33reduce_by_key_impl_wrapped_configILNS1_25lookback_scan_determinismE0ES3_S9_NS6_6detail15normal_iteratorINS6_10device_ptrIjEEEESG_SG_SG_PmS8_NS6_8equal_toIjEEEE10hipError_tPvRmT2_T3_mT4_T5_T6_T7_T8_P12ihipStream_tbENKUlT_T0_E_clISt17integral_constantIbLb1EES11_EEDaSW_SX_EUlSW_E_NS1_11comp_targetILNS1_3genE0ELNS1_11target_archE4294967295ELNS1_3gpuE0ELNS1_3repE0EEENS1_30default_config_static_selectorELNS0_4arch9wavefront6targetE1EEEvT1_, .Lfunc_end325-_ZN7rocprim17ROCPRIM_400000_NS6detail17trampoline_kernelINS0_14default_configENS1_29reduce_by_key_config_selectorIjjN6thrust23THRUST_200600_302600_NS4plusIjEEEEZZNS1_33reduce_by_key_impl_wrapped_configILNS1_25lookback_scan_determinismE0ES3_S9_NS6_6detail15normal_iteratorINS6_10device_ptrIjEEEESG_SG_SG_PmS8_NS6_8equal_toIjEEEE10hipError_tPvRmT2_T3_mT4_T5_T6_T7_T8_P12ihipStream_tbENKUlT_T0_E_clISt17integral_constantIbLb1EES11_EEDaSW_SX_EUlSW_E_NS1_11comp_targetILNS1_3genE0ELNS1_11target_archE4294967295ELNS1_3gpuE0ELNS1_3repE0EEENS1_30default_config_static_selectorELNS0_4arch9wavefront6targetE1EEEvT1_
                                        ; -- End function
	.section	.AMDGPU.csdata,"",@progbits
; Kernel info:
; codeLenInByte = 0
; NumSgprs: 4
; NumVgprs: 0
; NumAgprs: 0
; TotalNumVgprs: 0
; ScratchSize: 0
; MemoryBound: 0
; FloatMode: 240
; IeeeMode: 1
; LDSByteSize: 0 bytes/workgroup (compile time only)
; SGPRBlocks: 0
; VGPRBlocks: 0
; NumSGPRsForWavesPerEU: 4
; NumVGPRsForWavesPerEU: 1
; AccumOffset: 4
; Occupancy: 8
; WaveLimiterHint : 0
; COMPUTE_PGM_RSRC2:SCRATCH_EN: 0
; COMPUTE_PGM_RSRC2:USER_SGPR: 6
; COMPUTE_PGM_RSRC2:TRAP_HANDLER: 0
; COMPUTE_PGM_RSRC2:TGID_X_EN: 1
; COMPUTE_PGM_RSRC2:TGID_Y_EN: 0
; COMPUTE_PGM_RSRC2:TGID_Z_EN: 0
; COMPUTE_PGM_RSRC2:TIDIG_COMP_CNT: 0
; COMPUTE_PGM_RSRC3_GFX90A:ACCUM_OFFSET: 0
; COMPUTE_PGM_RSRC3_GFX90A:TG_SPLIT: 0
	.section	.text._ZN7rocprim17ROCPRIM_400000_NS6detail17trampoline_kernelINS0_14default_configENS1_29reduce_by_key_config_selectorIjjN6thrust23THRUST_200600_302600_NS4plusIjEEEEZZNS1_33reduce_by_key_impl_wrapped_configILNS1_25lookback_scan_determinismE0ES3_S9_NS6_6detail15normal_iteratorINS6_10device_ptrIjEEEESG_SG_SG_PmS8_NS6_8equal_toIjEEEE10hipError_tPvRmT2_T3_mT4_T5_T6_T7_T8_P12ihipStream_tbENKUlT_T0_E_clISt17integral_constantIbLb1EES11_EEDaSW_SX_EUlSW_E_NS1_11comp_targetILNS1_3genE5ELNS1_11target_archE942ELNS1_3gpuE9ELNS1_3repE0EEENS1_30default_config_static_selectorELNS0_4arch9wavefront6targetE1EEEvT1_,"axG",@progbits,_ZN7rocprim17ROCPRIM_400000_NS6detail17trampoline_kernelINS0_14default_configENS1_29reduce_by_key_config_selectorIjjN6thrust23THRUST_200600_302600_NS4plusIjEEEEZZNS1_33reduce_by_key_impl_wrapped_configILNS1_25lookback_scan_determinismE0ES3_S9_NS6_6detail15normal_iteratorINS6_10device_ptrIjEEEESG_SG_SG_PmS8_NS6_8equal_toIjEEEE10hipError_tPvRmT2_T3_mT4_T5_T6_T7_T8_P12ihipStream_tbENKUlT_T0_E_clISt17integral_constantIbLb1EES11_EEDaSW_SX_EUlSW_E_NS1_11comp_targetILNS1_3genE5ELNS1_11target_archE942ELNS1_3gpuE9ELNS1_3repE0EEENS1_30default_config_static_selectorELNS0_4arch9wavefront6targetE1EEEvT1_,comdat
	.protected	_ZN7rocprim17ROCPRIM_400000_NS6detail17trampoline_kernelINS0_14default_configENS1_29reduce_by_key_config_selectorIjjN6thrust23THRUST_200600_302600_NS4plusIjEEEEZZNS1_33reduce_by_key_impl_wrapped_configILNS1_25lookback_scan_determinismE0ES3_S9_NS6_6detail15normal_iteratorINS6_10device_ptrIjEEEESG_SG_SG_PmS8_NS6_8equal_toIjEEEE10hipError_tPvRmT2_T3_mT4_T5_T6_T7_T8_P12ihipStream_tbENKUlT_T0_E_clISt17integral_constantIbLb1EES11_EEDaSW_SX_EUlSW_E_NS1_11comp_targetILNS1_3genE5ELNS1_11target_archE942ELNS1_3gpuE9ELNS1_3repE0EEENS1_30default_config_static_selectorELNS0_4arch9wavefront6targetE1EEEvT1_ ; -- Begin function _ZN7rocprim17ROCPRIM_400000_NS6detail17trampoline_kernelINS0_14default_configENS1_29reduce_by_key_config_selectorIjjN6thrust23THRUST_200600_302600_NS4plusIjEEEEZZNS1_33reduce_by_key_impl_wrapped_configILNS1_25lookback_scan_determinismE0ES3_S9_NS6_6detail15normal_iteratorINS6_10device_ptrIjEEEESG_SG_SG_PmS8_NS6_8equal_toIjEEEE10hipError_tPvRmT2_T3_mT4_T5_T6_T7_T8_P12ihipStream_tbENKUlT_T0_E_clISt17integral_constantIbLb1EES11_EEDaSW_SX_EUlSW_E_NS1_11comp_targetILNS1_3genE5ELNS1_11target_archE942ELNS1_3gpuE9ELNS1_3repE0EEENS1_30default_config_static_selectorELNS0_4arch9wavefront6targetE1EEEvT1_
	.globl	_ZN7rocprim17ROCPRIM_400000_NS6detail17trampoline_kernelINS0_14default_configENS1_29reduce_by_key_config_selectorIjjN6thrust23THRUST_200600_302600_NS4plusIjEEEEZZNS1_33reduce_by_key_impl_wrapped_configILNS1_25lookback_scan_determinismE0ES3_S9_NS6_6detail15normal_iteratorINS6_10device_ptrIjEEEESG_SG_SG_PmS8_NS6_8equal_toIjEEEE10hipError_tPvRmT2_T3_mT4_T5_T6_T7_T8_P12ihipStream_tbENKUlT_T0_E_clISt17integral_constantIbLb1EES11_EEDaSW_SX_EUlSW_E_NS1_11comp_targetILNS1_3genE5ELNS1_11target_archE942ELNS1_3gpuE9ELNS1_3repE0EEENS1_30default_config_static_selectorELNS0_4arch9wavefront6targetE1EEEvT1_
	.p2align	8
	.type	_ZN7rocprim17ROCPRIM_400000_NS6detail17trampoline_kernelINS0_14default_configENS1_29reduce_by_key_config_selectorIjjN6thrust23THRUST_200600_302600_NS4plusIjEEEEZZNS1_33reduce_by_key_impl_wrapped_configILNS1_25lookback_scan_determinismE0ES3_S9_NS6_6detail15normal_iteratorINS6_10device_ptrIjEEEESG_SG_SG_PmS8_NS6_8equal_toIjEEEE10hipError_tPvRmT2_T3_mT4_T5_T6_T7_T8_P12ihipStream_tbENKUlT_T0_E_clISt17integral_constantIbLb1EES11_EEDaSW_SX_EUlSW_E_NS1_11comp_targetILNS1_3genE5ELNS1_11target_archE942ELNS1_3gpuE9ELNS1_3repE0EEENS1_30default_config_static_selectorELNS0_4arch9wavefront6targetE1EEEvT1_,@function
_ZN7rocprim17ROCPRIM_400000_NS6detail17trampoline_kernelINS0_14default_configENS1_29reduce_by_key_config_selectorIjjN6thrust23THRUST_200600_302600_NS4plusIjEEEEZZNS1_33reduce_by_key_impl_wrapped_configILNS1_25lookback_scan_determinismE0ES3_S9_NS6_6detail15normal_iteratorINS6_10device_ptrIjEEEESG_SG_SG_PmS8_NS6_8equal_toIjEEEE10hipError_tPvRmT2_T3_mT4_T5_T6_T7_T8_P12ihipStream_tbENKUlT_T0_E_clISt17integral_constantIbLb1EES11_EEDaSW_SX_EUlSW_E_NS1_11comp_targetILNS1_3genE5ELNS1_11target_archE942ELNS1_3gpuE9ELNS1_3repE0EEENS1_30default_config_static_selectorELNS0_4arch9wavefront6targetE1EEEvT1_: ; @_ZN7rocprim17ROCPRIM_400000_NS6detail17trampoline_kernelINS0_14default_configENS1_29reduce_by_key_config_selectorIjjN6thrust23THRUST_200600_302600_NS4plusIjEEEEZZNS1_33reduce_by_key_impl_wrapped_configILNS1_25lookback_scan_determinismE0ES3_S9_NS6_6detail15normal_iteratorINS6_10device_ptrIjEEEESG_SG_SG_PmS8_NS6_8equal_toIjEEEE10hipError_tPvRmT2_T3_mT4_T5_T6_T7_T8_P12ihipStream_tbENKUlT_T0_E_clISt17integral_constantIbLb1EES11_EEDaSW_SX_EUlSW_E_NS1_11comp_targetILNS1_3genE5ELNS1_11target_archE942ELNS1_3gpuE9ELNS1_3repE0EEENS1_30default_config_static_selectorELNS0_4arch9wavefront6targetE1EEEvT1_
; %bb.0:
	.section	.rodata,"a",@progbits
	.p2align	6, 0x0
	.amdhsa_kernel _ZN7rocprim17ROCPRIM_400000_NS6detail17trampoline_kernelINS0_14default_configENS1_29reduce_by_key_config_selectorIjjN6thrust23THRUST_200600_302600_NS4plusIjEEEEZZNS1_33reduce_by_key_impl_wrapped_configILNS1_25lookback_scan_determinismE0ES3_S9_NS6_6detail15normal_iteratorINS6_10device_ptrIjEEEESG_SG_SG_PmS8_NS6_8equal_toIjEEEE10hipError_tPvRmT2_T3_mT4_T5_T6_T7_T8_P12ihipStream_tbENKUlT_T0_E_clISt17integral_constantIbLb1EES11_EEDaSW_SX_EUlSW_E_NS1_11comp_targetILNS1_3genE5ELNS1_11target_archE942ELNS1_3gpuE9ELNS1_3repE0EEENS1_30default_config_static_selectorELNS0_4arch9wavefront6targetE1EEEvT1_
		.amdhsa_group_segment_fixed_size 0
		.amdhsa_private_segment_fixed_size 0
		.amdhsa_kernarg_size 120
		.amdhsa_user_sgpr_count 6
		.amdhsa_user_sgpr_private_segment_buffer 1
		.amdhsa_user_sgpr_dispatch_ptr 0
		.amdhsa_user_sgpr_queue_ptr 0
		.amdhsa_user_sgpr_kernarg_segment_ptr 1
		.amdhsa_user_sgpr_dispatch_id 0
		.amdhsa_user_sgpr_flat_scratch_init 0
		.amdhsa_user_sgpr_kernarg_preload_length 0
		.amdhsa_user_sgpr_kernarg_preload_offset 0
		.amdhsa_user_sgpr_private_segment_size 0
		.amdhsa_uses_dynamic_stack 0
		.amdhsa_system_sgpr_private_segment_wavefront_offset 0
		.amdhsa_system_sgpr_workgroup_id_x 1
		.amdhsa_system_sgpr_workgroup_id_y 0
		.amdhsa_system_sgpr_workgroup_id_z 0
		.amdhsa_system_sgpr_workgroup_info 0
		.amdhsa_system_vgpr_workitem_id 0
		.amdhsa_next_free_vgpr 1
		.amdhsa_next_free_sgpr 0
		.amdhsa_accum_offset 4
		.amdhsa_reserve_vcc 0
		.amdhsa_reserve_flat_scratch 0
		.amdhsa_float_round_mode_32 0
		.amdhsa_float_round_mode_16_64 0
		.amdhsa_float_denorm_mode_32 3
		.amdhsa_float_denorm_mode_16_64 3
		.amdhsa_dx10_clamp 1
		.amdhsa_ieee_mode 1
		.amdhsa_fp16_overflow 0
		.amdhsa_tg_split 0
		.amdhsa_exception_fp_ieee_invalid_op 0
		.amdhsa_exception_fp_denorm_src 0
		.amdhsa_exception_fp_ieee_div_zero 0
		.amdhsa_exception_fp_ieee_overflow 0
		.amdhsa_exception_fp_ieee_underflow 0
		.amdhsa_exception_fp_ieee_inexact 0
		.amdhsa_exception_int_div_zero 0
	.end_amdhsa_kernel
	.section	.text._ZN7rocprim17ROCPRIM_400000_NS6detail17trampoline_kernelINS0_14default_configENS1_29reduce_by_key_config_selectorIjjN6thrust23THRUST_200600_302600_NS4plusIjEEEEZZNS1_33reduce_by_key_impl_wrapped_configILNS1_25lookback_scan_determinismE0ES3_S9_NS6_6detail15normal_iteratorINS6_10device_ptrIjEEEESG_SG_SG_PmS8_NS6_8equal_toIjEEEE10hipError_tPvRmT2_T3_mT4_T5_T6_T7_T8_P12ihipStream_tbENKUlT_T0_E_clISt17integral_constantIbLb1EES11_EEDaSW_SX_EUlSW_E_NS1_11comp_targetILNS1_3genE5ELNS1_11target_archE942ELNS1_3gpuE9ELNS1_3repE0EEENS1_30default_config_static_selectorELNS0_4arch9wavefront6targetE1EEEvT1_,"axG",@progbits,_ZN7rocprim17ROCPRIM_400000_NS6detail17trampoline_kernelINS0_14default_configENS1_29reduce_by_key_config_selectorIjjN6thrust23THRUST_200600_302600_NS4plusIjEEEEZZNS1_33reduce_by_key_impl_wrapped_configILNS1_25lookback_scan_determinismE0ES3_S9_NS6_6detail15normal_iteratorINS6_10device_ptrIjEEEESG_SG_SG_PmS8_NS6_8equal_toIjEEEE10hipError_tPvRmT2_T3_mT4_T5_T6_T7_T8_P12ihipStream_tbENKUlT_T0_E_clISt17integral_constantIbLb1EES11_EEDaSW_SX_EUlSW_E_NS1_11comp_targetILNS1_3genE5ELNS1_11target_archE942ELNS1_3gpuE9ELNS1_3repE0EEENS1_30default_config_static_selectorELNS0_4arch9wavefront6targetE1EEEvT1_,comdat
.Lfunc_end326:
	.size	_ZN7rocprim17ROCPRIM_400000_NS6detail17trampoline_kernelINS0_14default_configENS1_29reduce_by_key_config_selectorIjjN6thrust23THRUST_200600_302600_NS4plusIjEEEEZZNS1_33reduce_by_key_impl_wrapped_configILNS1_25lookback_scan_determinismE0ES3_S9_NS6_6detail15normal_iteratorINS6_10device_ptrIjEEEESG_SG_SG_PmS8_NS6_8equal_toIjEEEE10hipError_tPvRmT2_T3_mT4_T5_T6_T7_T8_P12ihipStream_tbENKUlT_T0_E_clISt17integral_constantIbLb1EES11_EEDaSW_SX_EUlSW_E_NS1_11comp_targetILNS1_3genE5ELNS1_11target_archE942ELNS1_3gpuE9ELNS1_3repE0EEENS1_30default_config_static_selectorELNS0_4arch9wavefront6targetE1EEEvT1_, .Lfunc_end326-_ZN7rocprim17ROCPRIM_400000_NS6detail17trampoline_kernelINS0_14default_configENS1_29reduce_by_key_config_selectorIjjN6thrust23THRUST_200600_302600_NS4plusIjEEEEZZNS1_33reduce_by_key_impl_wrapped_configILNS1_25lookback_scan_determinismE0ES3_S9_NS6_6detail15normal_iteratorINS6_10device_ptrIjEEEESG_SG_SG_PmS8_NS6_8equal_toIjEEEE10hipError_tPvRmT2_T3_mT4_T5_T6_T7_T8_P12ihipStream_tbENKUlT_T0_E_clISt17integral_constantIbLb1EES11_EEDaSW_SX_EUlSW_E_NS1_11comp_targetILNS1_3genE5ELNS1_11target_archE942ELNS1_3gpuE9ELNS1_3repE0EEENS1_30default_config_static_selectorELNS0_4arch9wavefront6targetE1EEEvT1_
                                        ; -- End function
	.section	.AMDGPU.csdata,"",@progbits
; Kernel info:
; codeLenInByte = 0
; NumSgprs: 4
; NumVgprs: 0
; NumAgprs: 0
; TotalNumVgprs: 0
; ScratchSize: 0
; MemoryBound: 0
; FloatMode: 240
; IeeeMode: 1
; LDSByteSize: 0 bytes/workgroup (compile time only)
; SGPRBlocks: 0
; VGPRBlocks: 0
; NumSGPRsForWavesPerEU: 4
; NumVGPRsForWavesPerEU: 1
; AccumOffset: 4
; Occupancy: 8
; WaveLimiterHint : 0
; COMPUTE_PGM_RSRC2:SCRATCH_EN: 0
; COMPUTE_PGM_RSRC2:USER_SGPR: 6
; COMPUTE_PGM_RSRC2:TRAP_HANDLER: 0
; COMPUTE_PGM_RSRC2:TGID_X_EN: 1
; COMPUTE_PGM_RSRC2:TGID_Y_EN: 0
; COMPUTE_PGM_RSRC2:TGID_Z_EN: 0
; COMPUTE_PGM_RSRC2:TIDIG_COMP_CNT: 0
; COMPUTE_PGM_RSRC3_GFX90A:ACCUM_OFFSET: 0
; COMPUTE_PGM_RSRC3_GFX90A:TG_SPLIT: 0
	.section	.text._ZN7rocprim17ROCPRIM_400000_NS6detail17trampoline_kernelINS0_14default_configENS1_29reduce_by_key_config_selectorIjjN6thrust23THRUST_200600_302600_NS4plusIjEEEEZZNS1_33reduce_by_key_impl_wrapped_configILNS1_25lookback_scan_determinismE0ES3_S9_NS6_6detail15normal_iteratorINS6_10device_ptrIjEEEESG_SG_SG_PmS8_NS6_8equal_toIjEEEE10hipError_tPvRmT2_T3_mT4_T5_T6_T7_T8_P12ihipStream_tbENKUlT_T0_E_clISt17integral_constantIbLb1EES11_EEDaSW_SX_EUlSW_E_NS1_11comp_targetILNS1_3genE4ELNS1_11target_archE910ELNS1_3gpuE8ELNS1_3repE0EEENS1_30default_config_static_selectorELNS0_4arch9wavefront6targetE1EEEvT1_,"axG",@progbits,_ZN7rocprim17ROCPRIM_400000_NS6detail17trampoline_kernelINS0_14default_configENS1_29reduce_by_key_config_selectorIjjN6thrust23THRUST_200600_302600_NS4plusIjEEEEZZNS1_33reduce_by_key_impl_wrapped_configILNS1_25lookback_scan_determinismE0ES3_S9_NS6_6detail15normal_iteratorINS6_10device_ptrIjEEEESG_SG_SG_PmS8_NS6_8equal_toIjEEEE10hipError_tPvRmT2_T3_mT4_T5_T6_T7_T8_P12ihipStream_tbENKUlT_T0_E_clISt17integral_constantIbLb1EES11_EEDaSW_SX_EUlSW_E_NS1_11comp_targetILNS1_3genE4ELNS1_11target_archE910ELNS1_3gpuE8ELNS1_3repE0EEENS1_30default_config_static_selectorELNS0_4arch9wavefront6targetE1EEEvT1_,comdat
	.protected	_ZN7rocprim17ROCPRIM_400000_NS6detail17trampoline_kernelINS0_14default_configENS1_29reduce_by_key_config_selectorIjjN6thrust23THRUST_200600_302600_NS4plusIjEEEEZZNS1_33reduce_by_key_impl_wrapped_configILNS1_25lookback_scan_determinismE0ES3_S9_NS6_6detail15normal_iteratorINS6_10device_ptrIjEEEESG_SG_SG_PmS8_NS6_8equal_toIjEEEE10hipError_tPvRmT2_T3_mT4_T5_T6_T7_T8_P12ihipStream_tbENKUlT_T0_E_clISt17integral_constantIbLb1EES11_EEDaSW_SX_EUlSW_E_NS1_11comp_targetILNS1_3genE4ELNS1_11target_archE910ELNS1_3gpuE8ELNS1_3repE0EEENS1_30default_config_static_selectorELNS0_4arch9wavefront6targetE1EEEvT1_ ; -- Begin function _ZN7rocprim17ROCPRIM_400000_NS6detail17trampoline_kernelINS0_14default_configENS1_29reduce_by_key_config_selectorIjjN6thrust23THRUST_200600_302600_NS4plusIjEEEEZZNS1_33reduce_by_key_impl_wrapped_configILNS1_25lookback_scan_determinismE0ES3_S9_NS6_6detail15normal_iteratorINS6_10device_ptrIjEEEESG_SG_SG_PmS8_NS6_8equal_toIjEEEE10hipError_tPvRmT2_T3_mT4_T5_T6_T7_T8_P12ihipStream_tbENKUlT_T0_E_clISt17integral_constantIbLb1EES11_EEDaSW_SX_EUlSW_E_NS1_11comp_targetILNS1_3genE4ELNS1_11target_archE910ELNS1_3gpuE8ELNS1_3repE0EEENS1_30default_config_static_selectorELNS0_4arch9wavefront6targetE1EEEvT1_
	.globl	_ZN7rocprim17ROCPRIM_400000_NS6detail17trampoline_kernelINS0_14default_configENS1_29reduce_by_key_config_selectorIjjN6thrust23THRUST_200600_302600_NS4plusIjEEEEZZNS1_33reduce_by_key_impl_wrapped_configILNS1_25lookback_scan_determinismE0ES3_S9_NS6_6detail15normal_iteratorINS6_10device_ptrIjEEEESG_SG_SG_PmS8_NS6_8equal_toIjEEEE10hipError_tPvRmT2_T3_mT4_T5_T6_T7_T8_P12ihipStream_tbENKUlT_T0_E_clISt17integral_constantIbLb1EES11_EEDaSW_SX_EUlSW_E_NS1_11comp_targetILNS1_3genE4ELNS1_11target_archE910ELNS1_3gpuE8ELNS1_3repE0EEENS1_30default_config_static_selectorELNS0_4arch9wavefront6targetE1EEEvT1_
	.p2align	8
	.type	_ZN7rocprim17ROCPRIM_400000_NS6detail17trampoline_kernelINS0_14default_configENS1_29reduce_by_key_config_selectorIjjN6thrust23THRUST_200600_302600_NS4plusIjEEEEZZNS1_33reduce_by_key_impl_wrapped_configILNS1_25lookback_scan_determinismE0ES3_S9_NS6_6detail15normal_iteratorINS6_10device_ptrIjEEEESG_SG_SG_PmS8_NS6_8equal_toIjEEEE10hipError_tPvRmT2_T3_mT4_T5_T6_T7_T8_P12ihipStream_tbENKUlT_T0_E_clISt17integral_constantIbLb1EES11_EEDaSW_SX_EUlSW_E_NS1_11comp_targetILNS1_3genE4ELNS1_11target_archE910ELNS1_3gpuE8ELNS1_3repE0EEENS1_30default_config_static_selectorELNS0_4arch9wavefront6targetE1EEEvT1_,@function
_ZN7rocprim17ROCPRIM_400000_NS6detail17trampoline_kernelINS0_14default_configENS1_29reduce_by_key_config_selectorIjjN6thrust23THRUST_200600_302600_NS4plusIjEEEEZZNS1_33reduce_by_key_impl_wrapped_configILNS1_25lookback_scan_determinismE0ES3_S9_NS6_6detail15normal_iteratorINS6_10device_ptrIjEEEESG_SG_SG_PmS8_NS6_8equal_toIjEEEE10hipError_tPvRmT2_T3_mT4_T5_T6_T7_T8_P12ihipStream_tbENKUlT_T0_E_clISt17integral_constantIbLb1EES11_EEDaSW_SX_EUlSW_E_NS1_11comp_targetILNS1_3genE4ELNS1_11target_archE910ELNS1_3gpuE8ELNS1_3repE0EEENS1_30default_config_static_selectorELNS0_4arch9wavefront6targetE1EEEvT1_: ; @_ZN7rocprim17ROCPRIM_400000_NS6detail17trampoline_kernelINS0_14default_configENS1_29reduce_by_key_config_selectorIjjN6thrust23THRUST_200600_302600_NS4plusIjEEEEZZNS1_33reduce_by_key_impl_wrapped_configILNS1_25lookback_scan_determinismE0ES3_S9_NS6_6detail15normal_iteratorINS6_10device_ptrIjEEEESG_SG_SG_PmS8_NS6_8equal_toIjEEEE10hipError_tPvRmT2_T3_mT4_T5_T6_T7_T8_P12ihipStream_tbENKUlT_T0_E_clISt17integral_constantIbLb1EES11_EEDaSW_SX_EUlSW_E_NS1_11comp_targetILNS1_3genE4ELNS1_11target_archE910ELNS1_3gpuE8ELNS1_3repE0EEENS1_30default_config_static_selectorELNS0_4arch9wavefront6targetE1EEEvT1_
; %bb.0:
	s_load_dwordx8 s[36:43], s[4:5], 0x0
	s_load_dwordx4 s[52:55], s[4:5], 0x20
	s_load_dwordx8 s[44:51], s[4:5], 0x38
	s_load_dwordx2 s[60:61], s[4:5], 0x68
	s_load_dwordx4 s[56:59], s[4:5], 0x58
	v_cmp_ne_u32_e64 s[2:3], 0, v0
	v_cmp_eq_u32_e64 s[0:1], 0, v0
	s_and_saveexec_b64 s[6:7], s[0:1]
	s_cbranch_execz .LBB327_4
; %bb.1:
	s_mov_b64 s[10:11], exec
	v_mbcnt_lo_u32_b32 v1, s10, 0
	v_mbcnt_hi_u32_b32 v1, s11, v1
	v_cmp_eq_u32_e32 vcc, 0, v1
                                        ; implicit-def: $vgpr2
	s_and_saveexec_b64 s[8:9], vcc
	s_cbranch_execz .LBB327_3
; %bb.2:
	s_load_dwordx2 s[4:5], s[4:5], 0x70
	s_bcnt1_i32_b64 s10, s[10:11]
	v_mov_b32_e32 v2, 0
	v_mov_b32_e32 v3, s10
	s_waitcnt lgkmcnt(0)
	global_atomic_add v2, v2, v3, s[4:5] glc
.LBB327_3:
	s_or_b64 exec, exec, s[8:9]
	s_waitcnt vmcnt(0)
	v_readfirstlane_b32 s4, v2
	v_add_u32_e32 v1, s4, v1
	v_mov_b32_e32 v2, 0
	ds_write_b32 v2, v1
.LBB327_4:
	s_or_b64 exec, exec, s[6:7]
	v_mov_b32_e32 v3, 0
	s_waitcnt lgkmcnt(0)
	s_lshl_b64 s[4:5], s[38:39], 2
	s_barrier
	ds_read_b32 v1, v3
	s_add_u32 s6, s36, s4
	s_addc_u32 s7, s37, s5
	s_add_u32 s4, s40, s4
	s_mul_i32 s8, s48, s47
	s_mul_hi_u32 s9, s48, s46
	s_addc_u32 s5, s41, s5
	s_add_i32 s8, s9, s8
	s_mul_i32 s9, s49, s46
	s_add_i32 s8, s8, s9
	s_mul_i32 s9, s48, s46
	s_waitcnt lgkmcnt(0)
	v_readfirstlane_b32 s62, v1
	s_movk_i32 s10, 0xf00
	v_mul_lo_u32 v2, v1, s10
	s_add_u32 s40, s9, s62
	v_lshlrev_b64 v[2:3], 2, v[2:3]
	s_addc_u32 s41, s8, 0
	v_mov_b32_e32 v1, s7
	v_add_co_u32_e32 v38, vcc, s6, v2
	s_add_u32 s6, s50, -1
	v_addc_co_u32_e32 v39, vcc, v1, v3, vcc
	s_addc_u32 s7, s51, -1
	v_mov_b32_e32 v1, s5
	v_add_co_u32_e32 v22, vcc, s4, v2
	s_cmp_eq_u64 s[40:41], s[6:7]
	v_addc_co_u32_e32 v23, vcc, v1, v3, vcc
	s_cselect_b64 s[36:37], -1, 0
	s_cmp_lg_u64 s[40:41], s[6:7]
	s_mov_b64 s[4:5], -1
	s_cselect_b64 s[48:49], -1, 0
	s_mul_i32 s33, s6, 0xfffff100
	s_and_b64 vcc, exec, s[36:37]
	s_barrier
	s_cbranch_vccnz .LBB327_6
; %bb.5:
	v_lshlrev_b32_e32 v26, 2, v0
	v_add_co_u32_e32 v2, vcc, v38, v26
	v_addc_co_u32_e32 v3, vcc, 0, v39, vcc
	v_add_co_u32_e32 v4, vcc, 0x1000, v2
	v_addc_co_u32_e32 v5, vcc, 0, v3, vcc
	flat_load_dword v1, v[2:3]
	flat_load_dword v8, v[2:3] offset:1024
	flat_load_dword v9, v[2:3] offset:2048
	;; [unrolled: 1-line block ×3, first 2 shown]
	flat_load_dword v11, v[4:5]
	flat_load_dword v12, v[4:5] offset:1024
	flat_load_dword v13, v[4:5] offset:2048
	;; [unrolled: 1-line block ×3, first 2 shown]
	v_add_co_u32_e32 v4, vcc, 0x2000, v2
	v_addc_co_u32_e32 v5, vcc, 0, v3, vcc
	v_add_co_u32_e32 v2, vcc, 0x3000, v2
	v_addc_co_u32_e32 v3, vcc, 0, v3, vcc
	flat_load_dword v15, v[4:5]
	flat_load_dword v16, v[4:5] offset:1024
	flat_load_dword v17, v[4:5] offset:2048
	flat_load_dword v18, v[4:5] offset:3072
	flat_load_dword v19, v[2:3]
	flat_load_dword v20, v[2:3] offset:1024
	flat_load_dword v21, v[2:3] offset:2048
	v_add_co_u32_e32 v2, vcc, v22, v26
	s_movk_i32 s4, 0x1000
	v_addc_co_u32_e32 v3, vcc, 0, v23, vcc
	v_add_co_u32_e32 v4, vcc, s4, v2
	s_movk_i32 s5, 0x2000
	v_addc_co_u32_e32 v5, vcc, 0, v3, vcc
	;; [unrolled: 3-line block ×3, first 2 shown]
	v_mad_u32_u24 v40, v0, 56, v26
	v_add_co_u32_e32 v24, vcc, s6, v2
	v_addc_co_u32_e32 v25, vcc, 0, v3, vcc
	s_waitcnt vmcnt(0) lgkmcnt(0)
	ds_write2st64_b32 v26, v1, v8 offset1:4
	ds_write2st64_b32 v26, v9, v10 offset0:8 offset1:12
	ds_write2st64_b32 v26, v11, v12 offset0:16 offset1:20
	;; [unrolled: 1-line block ×6, first 2 shown]
	ds_write_b32 v26, v21 offset:14336
	s_waitcnt lgkmcnt(0)
	s_barrier
	ds_read2_b32 v[20:21], v40 offset1:1
	ds_read2_b32 v[18:19], v40 offset0:2 offset1:3
	ds_read2_b32 v[16:17], v40 offset0:4 offset1:5
	ds_read2_b32 v[14:15], v40 offset0:6 offset1:7
	ds_read2_b32 v[12:13], v40 offset0:8 offset1:9
	ds_read2_b32 v[10:11], v40 offset0:10 offset1:11
	ds_read2_b32 v[8:9], v40 offset0:12 offset1:13
	ds_read_b32 v1, v40 offset:56
	s_waitcnt lgkmcnt(0)
	s_barrier
	flat_load_dword v27, v[2:3]
	flat_load_dword v28, v[2:3] offset:1024
	flat_load_dword v29, v[2:3] offset:2048
	flat_load_dword v30, v[2:3] offset:3072
	flat_load_dword v31, v[4:5]
	flat_load_dword v32, v[4:5] offset:1024
	flat_load_dword v33, v[4:5] offset:2048
	flat_load_dword v34, v[4:5] offset:3072
	;; [unrolled: 4-line block ×3, first 2 shown]
	flat_load_dword v44, v[24:25]
	flat_load_dword v45, v[24:25] offset:1024
	flat_load_dword v46, v[24:25] offset:2048
	v_mov_b32_e32 v36, v20
	v_mov_b32_e32 v37, v18
	v_mov_b32_e32 v4, v16
	v_mov_b32_e32 v5, v14
	v_mov_b32_e32 v2, v12
	v_mov_b32_e32 v3, v10
	v_mov_b32_e32 v6, v8
	s_waitcnt vmcnt(0) lgkmcnt(0)
	ds_write2st64_b32 v26, v27, v28 offset1:4
	ds_write2st64_b32 v26, v29, v30 offset0:8 offset1:12
	ds_write2st64_b32 v26, v31, v32 offset0:16 offset1:20
	;; [unrolled: 1-line block ×6, first 2 shown]
	ds_write_b32 v26, v46 offset:14336
	s_waitcnt lgkmcnt(0)
	s_barrier
	s_add_i32 s33, s33, s56
	s_cbranch_execz .LBB327_7
	s_branch .LBB327_54
.LBB327_6:
                                        ; implicit-def: $vgpr1
                                        ; implicit-def: $vgpr8
                                        ; implicit-def: $vgpr10
                                        ; implicit-def: $vgpr12
                                        ; implicit-def: $vgpr14
                                        ; implicit-def: $vgpr16
                                        ; implicit-def: $vgpr18
                                        ; implicit-def: $vgpr20
                                        ; implicit-def: $vgpr40
                                        ; implicit-def: $vgpr2_vgpr3
                                        ; implicit-def: $vgpr4_vgpr5
                                        ; implicit-def: $vgpr36_vgpr37
                                        ; implicit-def: $vgpr6_vgpr7
	s_andn2_b64 vcc, exec, s[4:5]
	s_add_i32 s33, s33, s56
	s_cbranch_vccnz .LBB327_54
.LBB327_7:
	v_cmp_gt_u32_e32 vcc, s33, v0
                                        ; implicit-def: $vgpr1
	s_and_saveexec_b64 s[6:7], vcc
	s_cbranch_execz .LBB327_9
; %bb.8:
	v_lshlrev_b32_e32 v1, 2, v0
	v_add_co_u32_e64 v2, s[4:5], v38, v1
	v_addc_co_u32_e64 v3, s[4:5], 0, v39, s[4:5]
	flat_load_dword v1, v[2:3]
.LBB327_9:
	s_or_b64 exec, exec, s[6:7]
	v_or_b32_e32 v2, 0x100, v0
	v_cmp_gt_u32_e64 s[4:5], s33, v2
                                        ; implicit-def: $vgpr8
	s_and_saveexec_b64 s[8:9], s[4:5]
	s_cbranch_execz .LBB327_11
; %bb.10:
	v_lshlrev_b32_e32 v2, 2, v0
	v_add_co_u32_e64 v2, s[6:7], v38, v2
	v_addc_co_u32_e64 v3, s[6:7], 0, v39, s[6:7]
	flat_load_dword v8, v[2:3] offset:1024
.LBB327_11:
	s_or_b64 exec, exec, s[8:9]
	v_or_b32_e32 v2, 0x200, v0
	v_cmp_gt_u32_e64 s[6:7], s33, v2
                                        ; implicit-def: $vgpr9
	s_and_saveexec_b64 s[10:11], s[6:7]
	s_cbranch_execz .LBB327_13
; %bb.12:
	v_lshlrev_b32_e32 v2, 2, v0
	v_add_co_u32_e64 v2, s[8:9], v38, v2
	v_addc_co_u32_e64 v3, s[8:9], 0, v39, s[8:9]
	flat_load_dword v9, v[2:3] offset:2048
.LBB327_13:
	s_or_b64 exec, exec, s[10:11]
	v_or_b32_e32 v2, 0x300, v0
	v_cmp_gt_u32_e64 s[8:9], s33, v2
                                        ; implicit-def: $vgpr10
	s_and_saveexec_b64 s[12:13], s[8:9]
	s_cbranch_execz .LBB327_15
; %bb.14:
	v_lshlrev_b32_e32 v2, 2, v0
	v_add_co_u32_e64 v2, s[10:11], v38, v2
	v_addc_co_u32_e64 v3, s[10:11], 0, v39, s[10:11]
	flat_load_dword v10, v[2:3] offset:3072
.LBB327_15:
	s_or_b64 exec, exec, s[12:13]
	v_or_b32_e32 v2, 0x400, v0
	v_cmp_gt_u32_e64 s[10:11], s33, v2
                                        ; implicit-def: $vgpr11
	s_and_saveexec_b64 s[14:15], s[10:11]
	s_cbranch_execz .LBB327_17
; %bb.16:
	v_lshlrev_b32_e32 v3, 2, v2
	v_add_co_u32_e64 v4, s[12:13], v38, v3
	v_addc_co_u32_e64 v5, s[12:13], 0, v39, s[12:13]
	flat_load_dword v11, v[4:5]
.LBB327_17:
	s_or_b64 exec, exec, s[14:15]
	v_or_b32_e32 v3, 0x500, v0
	v_cmp_gt_u32_e64 s[12:13], s33, v3
                                        ; implicit-def: $vgpr12
	s_and_saveexec_b64 s[16:17], s[12:13]
	s_cbranch_execz .LBB327_19
; %bb.18:
	v_lshlrev_b32_e32 v4, 2, v3
	v_add_co_u32_e64 v4, s[14:15], v38, v4
	v_addc_co_u32_e64 v5, s[14:15], 0, v39, s[14:15]
	flat_load_dword v12, v[4:5]
.LBB327_19:
	s_or_b64 exec, exec, s[16:17]
	v_or_b32_e32 v4, 0x600, v0
	v_cmp_gt_u32_e64 s[14:15], s33, v4
                                        ; implicit-def: $vgpr13
	s_and_saveexec_b64 s[18:19], s[14:15]
	s_cbranch_execz .LBB327_21
; %bb.20:
	v_lshlrev_b32_e32 v5, 2, v4
	v_add_co_u32_e64 v6, s[16:17], v38, v5
	v_addc_co_u32_e64 v7, s[16:17], 0, v39, s[16:17]
	flat_load_dword v13, v[6:7]
.LBB327_21:
	s_or_b64 exec, exec, s[18:19]
	v_or_b32_e32 v5, 0x700, v0
	v_cmp_gt_u32_e64 s[16:17], s33, v5
                                        ; implicit-def: $vgpr14
	s_and_saveexec_b64 s[20:21], s[16:17]
	s_cbranch_execz .LBB327_23
; %bb.22:
	v_lshlrev_b32_e32 v6, 2, v5
	v_add_co_u32_e64 v6, s[18:19], v38, v6
	v_addc_co_u32_e64 v7, s[18:19], 0, v39, s[18:19]
	flat_load_dword v14, v[6:7]
.LBB327_23:
	s_or_b64 exec, exec, s[20:21]
	v_or_b32_e32 v6, 0x800, v0
	v_cmp_gt_u32_e64 s[18:19], s33, v6
                                        ; implicit-def: $vgpr15
	s_and_saveexec_b64 s[22:23], s[18:19]
	s_cbranch_execz .LBB327_25
; %bb.24:
	v_lshlrev_b32_e32 v7, 2, v6
	v_add_co_u32_e64 v16, s[20:21], v38, v7
	v_addc_co_u32_e64 v17, s[20:21], 0, v39, s[20:21]
	flat_load_dword v15, v[16:17]
.LBB327_25:
	s_or_b64 exec, exec, s[22:23]
	v_or_b32_e32 v24, 0x900, v0
	v_cmp_gt_u32_e64 s[20:21], s33, v24
                                        ; implicit-def: $vgpr16
	s_and_saveexec_b64 s[24:25], s[20:21]
	s_cbranch_execz .LBB327_27
; %bb.26:
	v_lshlrev_b32_e32 v7, 2, v24
	v_add_co_u32_e64 v16, s[22:23], v38, v7
	v_addc_co_u32_e64 v17, s[22:23], 0, v39, s[22:23]
	flat_load_dword v16, v[16:17]
.LBB327_27:
	s_or_b64 exec, exec, s[24:25]
	v_or_b32_e32 v25, 0xa00, v0
	v_cmp_gt_u32_e64 s[22:23], s33, v25
                                        ; implicit-def: $vgpr17
	s_and_saveexec_b64 s[26:27], s[22:23]
	s_cbranch_execz .LBB327_29
; %bb.28:
	v_lshlrev_b32_e32 v7, 2, v25
	v_add_co_u32_e64 v18, s[24:25], v38, v7
	v_addc_co_u32_e64 v19, s[24:25], 0, v39, s[24:25]
	flat_load_dword v17, v[18:19]
.LBB327_29:
	s_or_b64 exec, exec, s[26:27]
	v_or_b32_e32 v26, 0xb00, v0
	v_cmp_gt_u32_e64 s[24:25], s33, v26
                                        ; implicit-def: $vgpr18
	s_and_saveexec_b64 s[28:29], s[24:25]
	s_cbranch_execz .LBB327_31
; %bb.30:
	v_lshlrev_b32_e32 v7, 2, v26
	v_add_co_u32_e64 v18, s[26:27], v38, v7
	v_addc_co_u32_e64 v19, s[26:27], 0, v39, s[26:27]
	flat_load_dword v18, v[18:19]
.LBB327_31:
	s_or_b64 exec, exec, s[28:29]
	v_or_b32_e32 v27, 0xc00, v0
	v_cmp_gt_u32_e64 s[26:27], s33, v27
                                        ; implicit-def: $vgpr19
	s_and_saveexec_b64 s[30:31], s[26:27]
	s_cbranch_execz .LBB327_33
; %bb.32:
	v_lshlrev_b32_e32 v7, 2, v27
	v_add_co_u32_e64 v20, s[28:29], v38, v7
	v_addc_co_u32_e64 v21, s[28:29], 0, v39, s[28:29]
	flat_load_dword v19, v[20:21]
.LBB327_33:
	s_or_b64 exec, exec, s[30:31]
	v_or_b32_e32 v28, 0xd00, v0
	v_cmp_gt_u32_e64 s[28:29], s33, v28
                                        ; implicit-def: $vgpr20
	s_and_saveexec_b64 s[34:35], s[28:29]
	s_cbranch_execz .LBB327_35
; %bb.34:
	v_lshlrev_b32_e32 v7, 2, v28
	v_add_co_u32_e64 v20, s[30:31], v38, v7
	v_addc_co_u32_e64 v21, s[30:31], 0, v39, s[30:31]
	flat_load_dword v20, v[20:21]
.LBB327_35:
	s_or_b64 exec, exec, s[34:35]
	v_or_b32_e32 v29, 0xe00, v0
	v_cmp_gt_u32_e64 s[30:31], s33, v29
                                        ; implicit-def: $vgpr21
	s_and_saveexec_b64 s[38:39], s[30:31]
	s_cbranch_execz .LBB327_37
; %bb.36:
	v_lshlrev_b32_e32 v7, 2, v29
	v_add_co_u32_e64 v30, s[34:35], v38, v7
	v_addc_co_u32_e64 v31, s[34:35], 0, v39, s[34:35]
	flat_load_dword v21, v[30:31]
.LBB327_37:
	s_or_b64 exec, exec, s[38:39]
	v_lshlrev_b32_e32 v7, 2, v0
	v_mad_u32_u24 v40, v0, 56, v7
	s_waitcnt vmcnt(0) lgkmcnt(0)
	ds_write2st64_b32 v7, v1, v8 offset1:4
	ds_write2st64_b32 v7, v9, v10 offset0:8 offset1:12
	ds_write2st64_b32 v7, v11, v12 offset0:16 offset1:20
	;; [unrolled: 1-line block ×6, first 2 shown]
	ds_write_b32 v7, v21 offset:14336
	s_waitcnt lgkmcnt(0)
	s_barrier
	ds_read2_b32 v[20:21], v40 offset1:1
	ds_read2_b32 v[18:19], v40 offset0:2 offset1:3
	ds_read2_b32 v[16:17], v40 offset0:4 offset1:5
	;; [unrolled: 1-line block ×6, first 2 shown]
	ds_read_b32 v1, v40 offset:56
	s_waitcnt lgkmcnt(0)
	s_barrier
	s_waitcnt lgkmcnt(0)
                                        ; implicit-def: $vgpr30
	s_and_saveexec_b64 s[34:35], vcc
	s_cbranch_execnz .LBB327_61
; %bb.38:
	s_or_b64 exec, exec, s[34:35]
                                        ; implicit-def: $vgpr31
	s_and_saveexec_b64 s[34:35], s[4:5]
	s_cbranch_execnz .LBB327_62
.LBB327_39:
	s_or_b64 exec, exec, s[34:35]
                                        ; implicit-def: $vgpr32
	s_and_saveexec_b64 s[4:5], s[6:7]
	s_cbranch_execnz .LBB327_63
.LBB327_40:
	s_or_b64 exec, exec, s[4:5]
                                        ; implicit-def: $vgpr33
	s_and_saveexec_b64 s[4:5], s[8:9]
	s_cbranch_execnz .LBB327_64
.LBB327_41:
	s_or_b64 exec, exec, s[4:5]
                                        ; implicit-def: $vgpr34
	s_and_saveexec_b64 s[4:5], s[10:11]
	s_cbranch_execnz .LBB327_65
.LBB327_42:
	s_or_b64 exec, exec, s[4:5]
                                        ; implicit-def: $vgpr2
	s_and_saveexec_b64 s[4:5], s[12:13]
	s_cbranch_execnz .LBB327_66
.LBB327_43:
	s_or_b64 exec, exec, s[4:5]
                                        ; implicit-def: $vgpr3
	s_and_saveexec_b64 s[4:5], s[14:15]
	s_cbranch_execnz .LBB327_67
.LBB327_44:
	s_or_b64 exec, exec, s[4:5]
                                        ; implicit-def: $vgpr4
	s_and_saveexec_b64 s[4:5], s[16:17]
	s_cbranch_execnz .LBB327_68
.LBB327_45:
	s_or_b64 exec, exec, s[4:5]
                                        ; implicit-def: $vgpr5
	s_and_saveexec_b64 s[4:5], s[18:19]
	s_cbranch_execnz .LBB327_69
.LBB327_46:
	s_or_b64 exec, exec, s[4:5]
                                        ; implicit-def: $vgpr6
	s_and_saveexec_b64 s[4:5], s[20:21]
	s_cbranch_execnz .LBB327_70
.LBB327_47:
	s_or_b64 exec, exec, s[4:5]
                                        ; implicit-def: $vgpr24
	s_and_saveexec_b64 s[4:5], s[22:23]
	s_cbranch_execnz .LBB327_71
.LBB327_48:
	s_or_b64 exec, exec, s[4:5]
                                        ; implicit-def: $vgpr25
	s_and_saveexec_b64 s[4:5], s[24:25]
	s_cbranch_execnz .LBB327_72
.LBB327_49:
	s_or_b64 exec, exec, s[4:5]
                                        ; implicit-def: $vgpr26
	s_and_saveexec_b64 s[4:5], s[26:27]
	s_cbranch_execnz .LBB327_73
.LBB327_50:
	s_or_b64 exec, exec, s[4:5]
                                        ; implicit-def: $vgpr27
	s_and_saveexec_b64 s[4:5], s[28:29]
	s_cbranch_execnz .LBB327_74
.LBB327_51:
	s_or_b64 exec, exec, s[4:5]
                                        ; implicit-def: $vgpr28
	s_and_saveexec_b64 s[4:5], s[30:31]
	s_cbranch_execz .LBB327_53
.LBB327_52:
	v_lshlrev_b32_e32 v28, 2, v29
	v_add_co_u32_e32 v22, vcc, v22, v28
	v_addc_co_u32_e32 v23, vcc, 0, v23, vcc
	flat_load_dword v28, v[22:23]
.LBB327_53:
	s_or_b64 exec, exec, s[4:5]
	s_waitcnt vmcnt(0) lgkmcnt(0)
	ds_write2st64_b32 v7, v30, v31 offset1:4
	ds_write2st64_b32 v7, v32, v33 offset0:8 offset1:12
	ds_write2st64_b32 v7, v34, v2 offset0:16 offset1:20
	;; [unrolled: 1-line block ×6, first 2 shown]
	ds_write_b32 v7, v28 offset:14336
	v_mov_b32_e32 v36, v20
	v_mov_b32_e32 v37, v18
	;; [unrolled: 1-line block ×7, first 2 shown]
	s_waitcnt lgkmcnt(0)
	s_barrier
.LBB327_54:
	ds_read2_b32 v[34:35], v40 offset1:1
	ds_read2_b32 v[32:33], v40 offset0:2 offset1:3
	ds_read2_b32 v[30:31], v40 offset0:4 offset1:5
	;; [unrolled: 1-line block ×6, first 2 shown]
	ds_read_b32 v82, v40 offset:56
	s_cmp_eq_u64 s[40:41], 0
	s_cselect_b64 s[38:39], -1, 0
	s_cmp_lg_u64 s[40:41], 0
	s_mov_b64 s[6:7], 0
	s_cselect_b64 s[8:9], -1, 0
	s_and_b64 vcc, exec, s[48:49]
	s_waitcnt lgkmcnt(0)
	s_barrier
	s_cbranch_vccz .LBB327_60
; %bb.55:
	s_and_b64 vcc, exec, s[8:9]
	s_cbranch_vccz .LBB327_75
; %bb.56:
	v_add_co_u32_e32 v40, vcc, -4, v38
	v_addc_co_u32_e32 v41, vcc, -1, v39, vcc
	flat_load_dword v7, v[40:41]
	v_lshlrev_b32_e32 v40, 2, v0
	ds_write_b32 v40, v1
	s_waitcnt lgkmcnt(0)
	s_barrier
	s_and_saveexec_b64 s[4:5], s[2:3]
	s_cbranch_execz .LBB327_58
; %bb.57:
	s_waitcnt vmcnt(0)
	v_add_u32_e32 v7, -4, v40
	ds_read_b32 v7, v7
.LBB327_58:
	s_or_b64 exec, exec, s[4:5]
	v_cmp_ne_u32_e32 vcc, v36, v21
	v_cndmask_b32_e64 v79, 0, 1, vcc
	v_cmp_ne_u32_e32 vcc, v37, v21
	v_cndmask_b32_e64 v78, 0, 1, vcc
	;; [unrolled: 2-line block ×14, first 2 shown]
	s_waitcnt vmcnt(0) lgkmcnt(0)
	v_cmp_ne_u32_e64 s[4:5], v7, v20
	s_mov_b64 s[6:7], -1
.LBB327_59:
                                        ; implicit-def: $sgpr12
	s_branch .LBB327_87
.LBB327_60:
                                        ; implicit-def: $sgpr4_sgpr5
                                        ; implicit-def: $vgpr66
                                        ; implicit-def: $vgpr67
                                        ; implicit-def: $vgpr68
                                        ; implicit-def: $vgpr69
                                        ; implicit-def: $vgpr70
                                        ; implicit-def: $vgpr71
                                        ; implicit-def: $vgpr72
                                        ; implicit-def: $vgpr73
                                        ; implicit-def: $vgpr74
                                        ; implicit-def: $vgpr75
                                        ; implicit-def: $vgpr76
                                        ; implicit-def: $vgpr77
                                        ; implicit-def: $vgpr78
                                        ; implicit-def: $vgpr79
                                        ; implicit-def: $sgpr12
	s_cbranch_execnz .LBB327_79
	s_branch .LBB327_87
.LBB327_61:
	v_add_co_u32_e32 v30, vcc, v22, v7
	v_addc_co_u32_e32 v31, vcc, 0, v23, vcc
	flat_load_dword v30, v[30:31]
	s_or_b64 exec, exec, s[34:35]
                                        ; implicit-def: $vgpr31
	s_and_saveexec_b64 s[34:35], s[4:5]
	s_cbranch_execz .LBB327_39
.LBB327_62:
	v_add_co_u32_e32 v32, vcc, v22, v7
	v_addc_co_u32_e32 v33, vcc, 0, v23, vcc
	flat_load_dword v31, v[32:33] offset:1024
	s_or_b64 exec, exec, s[34:35]
                                        ; implicit-def: $vgpr32
	s_and_saveexec_b64 s[4:5], s[6:7]
	s_cbranch_execz .LBB327_40
.LBB327_63:
	v_add_co_u32_e32 v32, vcc, v22, v7
	v_addc_co_u32_e32 v33, vcc, 0, v23, vcc
	flat_load_dword v32, v[32:33] offset:2048
	s_or_b64 exec, exec, s[4:5]
                                        ; implicit-def: $vgpr33
	s_and_saveexec_b64 s[4:5], s[8:9]
	s_cbranch_execz .LBB327_41
.LBB327_64:
	v_add_co_u32_e32 v34, vcc, v22, v7
	v_addc_co_u32_e32 v35, vcc, 0, v23, vcc
	flat_load_dword v33, v[34:35] offset:3072
	s_or_b64 exec, exec, s[4:5]
                                        ; implicit-def: $vgpr34
	s_and_saveexec_b64 s[4:5], s[10:11]
	s_cbranch_execz .LBB327_42
.LBB327_65:
	v_lshlrev_b32_e32 v2, 2, v2
	v_add_co_u32_e32 v34, vcc, v22, v2
	v_addc_co_u32_e32 v35, vcc, 0, v23, vcc
	flat_load_dword v34, v[34:35]
	s_or_b64 exec, exec, s[4:5]
                                        ; implicit-def: $vgpr2
	s_and_saveexec_b64 s[4:5], s[12:13]
	s_cbranch_execz .LBB327_43
.LBB327_66:
	v_lshlrev_b32_e32 v2, 2, v3
	v_add_co_u32_e32 v2, vcc, v22, v2
	v_addc_co_u32_e32 v3, vcc, 0, v23, vcc
	flat_load_dword v2, v[2:3]
	s_or_b64 exec, exec, s[4:5]
                                        ; implicit-def: $vgpr3
	s_and_saveexec_b64 s[4:5], s[14:15]
	s_cbranch_execz .LBB327_44
.LBB327_67:
	v_lshlrev_b32_e32 v3, 2, v4
	v_add_co_u32_e32 v36, vcc, v22, v3
	v_addc_co_u32_e32 v37, vcc, 0, v23, vcc
	flat_load_dword v3, v[36:37]
	s_or_b64 exec, exec, s[4:5]
                                        ; implicit-def: $vgpr4
	s_and_saveexec_b64 s[4:5], s[16:17]
	s_cbranch_execz .LBB327_45
.LBB327_68:
	v_lshlrev_b32_e32 v4, 2, v5
	v_add_co_u32_e32 v4, vcc, v22, v4
	v_addc_co_u32_e32 v5, vcc, 0, v23, vcc
	flat_load_dword v4, v[4:5]
	s_or_b64 exec, exec, s[4:5]
                                        ; implicit-def: $vgpr5
	s_and_saveexec_b64 s[4:5], s[18:19]
	s_cbranch_execz .LBB327_46
.LBB327_69:
	v_lshlrev_b32_e32 v5, 2, v6
	v_add_co_u32_e32 v36, vcc, v22, v5
	v_addc_co_u32_e32 v37, vcc, 0, v23, vcc
	flat_load_dword v5, v[36:37]
	s_or_b64 exec, exec, s[4:5]
                                        ; implicit-def: $vgpr6
	s_and_saveexec_b64 s[4:5], s[20:21]
	s_cbranch_execz .LBB327_47
.LBB327_70:
	v_lshlrev_b32_e32 v6, 2, v24
	v_add_co_u32_e32 v36, vcc, v22, v6
	v_addc_co_u32_e32 v37, vcc, 0, v23, vcc
	flat_load_dword v6, v[36:37]
	s_or_b64 exec, exec, s[4:5]
                                        ; implicit-def: $vgpr24
	s_and_saveexec_b64 s[4:5], s[22:23]
	s_cbranch_execz .LBB327_48
.LBB327_71:
	v_lshlrev_b32_e32 v24, 2, v25
	v_add_co_u32_e32 v24, vcc, v22, v24
	v_addc_co_u32_e32 v25, vcc, 0, v23, vcc
	flat_load_dword v24, v[24:25]
	s_or_b64 exec, exec, s[4:5]
                                        ; implicit-def: $vgpr25
	s_and_saveexec_b64 s[4:5], s[24:25]
	s_cbranch_execz .LBB327_49
.LBB327_72:
	v_lshlrev_b32_e32 v25, 2, v26
	v_add_co_u32_e32 v36, vcc, v22, v25
	v_addc_co_u32_e32 v37, vcc, 0, v23, vcc
	flat_load_dword v25, v[36:37]
	s_or_b64 exec, exec, s[4:5]
                                        ; implicit-def: $vgpr26
	s_and_saveexec_b64 s[4:5], s[26:27]
	s_cbranch_execz .LBB327_50
.LBB327_73:
	v_lshlrev_b32_e32 v26, 2, v27
	v_add_co_u32_e32 v26, vcc, v22, v26
	v_addc_co_u32_e32 v27, vcc, 0, v23, vcc
	flat_load_dword v26, v[26:27]
	s_or_b64 exec, exec, s[4:5]
                                        ; implicit-def: $vgpr27
	s_and_saveexec_b64 s[4:5], s[28:29]
	s_cbranch_execz .LBB327_51
.LBB327_74:
	v_lshlrev_b32_e32 v27, 2, v28
	v_add_co_u32_e32 v36, vcc, v22, v27
	v_addc_co_u32_e32 v37, vcc, 0, v23, vcc
	flat_load_dword v27, v[36:37]
	s_or_b64 exec, exec, s[4:5]
                                        ; implicit-def: $vgpr28
	s_and_saveexec_b64 s[4:5], s[30:31]
	s_cbranch_execnz .LBB327_52
	s_branch .LBB327_53
.LBB327_75:
                                        ; implicit-def: $sgpr4_sgpr5
                                        ; implicit-def: $vgpr66
                                        ; implicit-def: $vgpr67
                                        ; implicit-def: $vgpr68
                                        ; implicit-def: $vgpr69
                                        ; implicit-def: $vgpr70
                                        ; implicit-def: $vgpr71
                                        ; implicit-def: $vgpr72
                                        ; implicit-def: $vgpr73
                                        ; implicit-def: $vgpr74
                                        ; implicit-def: $vgpr75
                                        ; implicit-def: $vgpr76
                                        ; implicit-def: $vgpr77
                                        ; implicit-def: $vgpr78
                                        ; implicit-def: $vgpr79
	s_cbranch_execz .LBB327_59
; %bb.76:
	v_cmp_ne_u32_e32 vcc, v21, v36
	v_cndmask_b32_e64 v79, 0, 1, vcc
	v_cmp_ne_u32_e32 vcc, v21, v37
	v_cndmask_b32_e64 v78, 0, 1, vcc
	;; [unrolled: 2-line block ×13, first 2 shown]
	v_cmp_ne_u32_e32 vcc, v9, v1
	v_lshlrev_b32_e32 v7, 2, v0
	v_cndmask_b32_e64 v66, 0, 1, vcc
	ds_write_b32 v7, v1
	s_waitcnt lgkmcnt(0)
	s_barrier
	s_waitcnt lgkmcnt(0)
                                        ; implicit-def: $sgpr4_sgpr5
	s_and_saveexec_b64 s[10:11], s[2:3]
	s_xor_b64 s[10:11], exec, s[10:11]
	s_cbranch_execz .LBB327_78
; %bb.77:
	v_add_u32_e32 v2, -4, v7
	ds_read_b32 v2, v2
	s_or_b64 s[6:7], s[6:7], exec
	s_waitcnt lgkmcnt(0)
	v_cmp_ne_u32_e32 vcc, v2, v20
	s_and_b64 s[4:5], vcc, exec
.LBB327_78:
	s_or_b64 exec, exec, s[10:11]
	s_mov_b32 s12, 1
	s_branch .LBB327_87
.LBB327_79:
	s_mul_hi_u32 s5, s40, 0xfffff100
	s_mul_i32 s4, s41, 0xfffff100
	s_sub_i32 s5, s5, s40
	s_add_i32 s5, s5, s4
	s_mul_i32 s4, s40, 0xfffff100
	s_add_u32 s10, s4, s56
	s_addc_u32 s11, s5, s57
	s_and_b64 vcc, exec, s[8:9]
	s_cbranch_vccz .LBB327_84
; %bb.80:
	v_add_co_u32_e32 v2, vcc, -4, v38
	v_addc_co_u32_e32 v3, vcc, -1, v39, vcc
	flat_load_dword v6, v[2:3]
	v_mad_u32_u24 v4, v0, 15, 14
	v_mov_b32_e32 v5, 0
	v_cmp_gt_u64_e32 vcc, s[10:11], v[4:5]
	v_cmp_ne_u32_e64 s[4:5], v9, v1
	v_mad_u32_u24 v4, v0, 15, 13
	s_and_b64 s[6:7], vcc, s[4:5]
	v_cmp_gt_u64_e32 vcc, s[10:11], v[4:5]
	v_cmp_ne_u32_e64 s[4:5], v8, v9
	v_mad_u32_u24 v4, v0, 15, 12
	s_and_b64 s[8:9], vcc, s[4:5]
	;; [unrolled: 4-line block ×13, first 2 shown]
	v_cmp_gt_u64_e32 vcc, s[10:11], v[4:5]
	v_cmp_ne_u32_e64 s[4:5], v20, v21
	v_lshlrev_b32_e32 v3, 2, v0
	v_mul_u32_u24_e32 v2, 15, v0
	s_and_b64 s[4:5], vcc, s[4:5]
	ds_write_b32 v3, v1
	s_waitcnt lgkmcnt(0)
	s_barrier
	s_and_saveexec_b64 s[40:41], s[2:3]
	s_cbranch_execz .LBB327_82
; %bb.81:
	v_add_u32_e32 v3, -4, v3
	s_waitcnt vmcnt(0)
	ds_read_b32 v6, v3
.LBB327_82:
	s_or_b64 exec, exec, s[40:41]
	v_mov_b32_e32 v3, v5
	v_cndmask_b32_e64 v79, 0, 1, s[4:5]
	v_cmp_gt_u64_e32 vcc, s[10:11], v[2:3]
	s_waitcnt vmcnt(0) lgkmcnt(0)
	v_cmp_ne_u32_e64 s[4:5], v6, v20
	v_cndmask_b32_e64 v66, 0, 1, s[6:7]
	v_cndmask_b32_e64 v67, 0, 1, s[8:9]
	v_cndmask_b32_e64 v68, 0, 1, s[12:13]
	v_cndmask_b32_e64 v69, 0, 1, s[14:15]
	v_cndmask_b32_e64 v70, 0, 1, s[16:17]
	v_cndmask_b32_e64 v71, 0, 1, s[18:19]
	v_cndmask_b32_e64 v72, 0, 1, s[20:21]
	v_cndmask_b32_e64 v73, 0, 1, s[22:23]
	v_cndmask_b32_e64 v74, 0, 1, s[24:25]
	v_cndmask_b32_e64 v75, 0, 1, s[26:27]
	v_cndmask_b32_e64 v76, 0, 1, s[28:29]
	v_cndmask_b32_e64 v77, 0, 1, s[30:31]
	v_cndmask_b32_e64 v78, 0, 1, s[34:35]
	s_and_b64 s[4:5], vcc, s[4:5]
	s_mov_b64 s[6:7], -1
.LBB327_83:
                                        ; implicit-def: $sgpr12
	v_mov_b32_e32 v81, s12
	s_and_saveexec_b64 s[2:3], s[6:7]
	s_cbranch_execnz .LBB327_88
	s_branch .LBB327_89
.LBB327_84:
                                        ; implicit-def: $sgpr4_sgpr5
                                        ; implicit-def: $vgpr66
                                        ; implicit-def: $vgpr67
                                        ; implicit-def: $vgpr68
                                        ; implicit-def: $vgpr69
                                        ; implicit-def: $vgpr70
                                        ; implicit-def: $vgpr71
                                        ; implicit-def: $vgpr72
                                        ; implicit-def: $vgpr73
                                        ; implicit-def: $vgpr74
                                        ; implicit-def: $vgpr75
                                        ; implicit-def: $vgpr76
                                        ; implicit-def: $vgpr77
                                        ; implicit-def: $vgpr78
                                        ; implicit-def: $vgpr79
	s_cbranch_execz .LBB327_83
; %bb.85:
	v_mad_u32_u24 v2, v0, 15, 14
	v_mov_b32_e32 v3, 0
	v_cmp_gt_u64_e32 vcc, s[10:11], v[2:3]
	v_cmp_ne_u32_e64 s[4:5], v9, v1
	s_and_b64 s[4:5], vcc, s[4:5]
	v_mad_u32_u24 v2, v0, 15, 13
	v_cndmask_b32_e64 v66, 0, 1, s[4:5]
	v_cmp_gt_u64_e32 vcc, s[10:11], v[2:3]
	v_cmp_ne_u32_e64 s[4:5], v8, v9
	s_and_b64 s[4:5], vcc, s[4:5]
	v_mad_u32_u24 v2, v0, 15, 12
	v_cndmask_b32_e64 v67, 0, 1, s[4:5]
	;; [unrolled: 5-line block ×13, first 2 shown]
	v_cmp_gt_u64_e32 vcc, s[10:11], v[2:3]
	v_cmp_ne_u32_e64 s[4:5], v20, v21
	s_and_b64 s[4:5], vcc, s[4:5]
	v_lshlrev_b32_e32 v4, 2, v0
	s_mov_b32 s12, 1
	v_cndmask_b32_e64 v79, 0, 1, s[4:5]
	ds_write_b32 v4, v1
	s_waitcnt lgkmcnt(0)
	s_barrier
	s_waitcnt lgkmcnt(0)
                                        ; implicit-def: $sgpr4_sgpr5
	s_and_saveexec_b64 s[8:9], s[2:3]
	s_cbranch_execz .LBB327_196
; %bb.86:
	v_add_u32_e32 v2, -4, v4
	ds_read_b32 v4, v2
	v_mul_u32_u24_e32 v2, 15, v0
	v_cmp_gt_u64_e32 vcc, s[10:11], v[2:3]
	s_or_b64 s[6:7], s[6:7], exec
	s_waitcnt lgkmcnt(0)
	v_cmp_ne_u32_e64 s[2:3], v4, v20
	s_and_b64 s[2:3], vcc, s[2:3]
	s_and_b64 s[4:5], s[2:3], exec
	s_or_b64 exec, exec, s[8:9]
.LBB327_87:
	v_mov_b32_e32 v81, s12
	s_and_saveexec_b64 s[2:3], s[6:7]
.LBB327_88:
	v_cndmask_b32_e64 v81, 0, 1, s[4:5]
.LBB327_89:
	s_or_b64 exec, exec, s[2:3]
	s_cmp_eq_u64 s[46:47], 0
	v_add3_u32 v2, v79, v81, v78
	s_cselect_b64 s[34:35], -1, 0
	s_cmp_lg_u32 s62, 0
	v_cmp_eq_u32_e64 s[26:27], 0, v79
	v_cmp_eq_u32_e64 s[24:25], 0, v78
	;; [unrolled: 1-line block ×3, first 2 shown]
	v_add3_u32 v86, v2, v77, v76
	v_cmp_eq_u32_e64 s[20:21], 0, v76
	v_cmp_eq_u32_e64 s[18:19], 0, v75
	;; [unrolled: 1-line block ×10, first 2 shown]
	v_cmp_eq_u32_e32 vcc, 0, v66
	v_mbcnt_lo_u32_b32 v85, -1, 0
	v_lshrrev_b32_e32 v83, 6, v0
	v_or_b32_e32 v84, 63, v0
	s_cbranch_scc0 .LBB327_120
; %bb.90:
	v_cndmask_b32_e64 v2, 0, v34, s[26:27]
	v_add_u32_e32 v2, v2, v35
	v_cndmask_b32_e64 v2, 0, v2, s[24:25]
	v_add_u32_e32 v2, v2, v32
	;; [unrolled: 2-line block ×11, first 2 shown]
	v_cndmask_b32_e64 v2, 0, v2, s[4:5]
	v_add3_u32 v3, v86, v75, v74
	v_add_u32_e32 v2, v2, v22
	v_add3_u32 v3, v3, v73, v72
	v_cndmask_b32_e64 v2, 0, v2, s[2:3]
	v_add3_u32 v3, v3, v71, v70
	v_add_u32_e32 v2, v2, v23
	v_add3_u32 v3, v3, v69, v68
	v_cndmask_b32_e32 v2, 0, v2, vcc
	v_add3_u32 v3, v3, v67, v66
	v_add_u32_e32 v2, v2, v82
	v_mbcnt_hi_u32_b32 v39, -1, v85
	v_and_b32_e32 v4, 15, v39
	v_mov_b32_dpp v6, v2 row_shr:1 row_mask:0xf bank_mask:0xf
	v_cmp_eq_u32_e32 vcc, 0, v3
	v_mov_b32_dpp v5, v3 row_shr:1 row_mask:0xf bank_mask:0xf
	v_cndmask_b32_e32 v6, 0, v6, vcc
	v_cmp_eq_u32_e32 vcc, 0, v4
	v_cndmask_b32_e64 v5, v5, 0, vcc
	v_add_u32_e32 v3, v5, v3
	v_cndmask_b32_e64 v5, v6, 0, vcc
	v_add_u32_e32 v2, v5, v2
	v_cmp_eq_u32_e32 vcc, 0, v3
	v_mov_b32_dpp v5, v3 row_shr:2 row_mask:0xf bank_mask:0xf
	v_cmp_lt_u32_e64 s[28:29], 1, v4
	v_mov_b32_dpp v6, v2 row_shr:2 row_mask:0xf bank_mask:0xf
	v_cndmask_b32_e64 v5, 0, v5, s[28:29]
	s_and_b64 vcc, s[28:29], vcc
	v_cndmask_b32_e32 v6, 0, v6, vcc
	v_add_u32_e32 v3, v3, v5
	v_add_u32_e32 v2, v6, v2
	v_cmp_eq_u32_e32 vcc, 0, v3
	v_mov_b32_dpp v5, v3 row_shr:4 row_mask:0xf bank_mask:0xf
	v_cmp_lt_u32_e64 s[28:29], 3, v4
	v_mov_b32_dpp v6, v2 row_shr:4 row_mask:0xf bank_mask:0xf
	v_cndmask_b32_e64 v5, 0, v5, s[28:29]
	s_and_b64 vcc, s[28:29], vcc
	v_cndmask_b32_e32 v6, 0, v6, vcc
	v_add_u32_e32 v3, v5, v3
	v_add_u32_e32 v2, v2, v6
	v_cmp_eq_u32_e32 vcc, 0, v3
	v_cmp_lt_u32_e64 s[28:29], 7, v4
	v_mov_b32_dpp v5, v3 row_shr:8 row_mask:0xf bank_mask:0xf
	v_mov_b32_dpp v6, v2 row_shr:8 row_mask:0xf bank_mask:0xf
	s_and_b64 vcc, s[28:29], vcc
	v_cndmask_b32_e64 v4, 0, v5, s[28:29]
	v_cndmask_b32_e32 v5, 0, v6, vcc
	v_add_u32_e32 v2, v5, v2
	v_add_u32_e32 v3, v4, v3
	v_bfe_i32 v6, v39, 4, 1
	v_mov_b32_dpp v5, v2 row_bcast:15 row_mask:0xf bank_mask:0xf
	v_mov_b32_dpp v4, v3 row_bcast:15 row_mask:0xf bank_mask:0xf
	v_cmp_eq_u32_e32 vcc, 0, v3
	v_cndmask_b32_e32 v5, 0, v5, vcc
	v_and_b32_e32 v4, v6, v4
	v_add_u32_e32 v3, v4, v3
	v_and_b32_e32 v4, v6, v5
	v_add_u32_e32 v4, v4, v2
	v_mov_b32_dpp v2, v3 row_bcast:31 row_mask:0xf bank_mask:0xf
	v_cmp_eq_u32_e32 vcc, 0, v3
	v_cmp_lt_u32_e64 s[28:29], 31, v39
	v_mov_b32_dpp v5, v4 row_bcast:31 row_mask:0xf bank_mask:0xf
	v_cndmask_b32_e64 v2, 0, v2, s[28:29]
	s_and_b64 vcc, s[28:29], vcc
	v_add_u32_e32 v2, v2, v3
	v_cndmask_b32_e32 v3, 0, v5, vcc
	v_add_u32_e32 v3, v3, v4
	v_cmp_eq_u32_e32 vcc, v84, v0
	v_lshlrev_b32_e32 v4, 3, v83
	s_and_saveexec_b64 s[28:29], vcc
	s_cbranch_execz .LBB327_92
; %bb.91:
	ds_write_b64 v4, v[2:3] offset:2064
.LBB327_92:
	s_or_b64 exec, exec, s[28:29]
	v_cmp_gt_u32_e32 vcc, 4, v0
	s_waitcnt lgkmcnt(0)
	s_barrier
	s_and_saveexec_b64 s[30:31], vcc
	s_cbranch_execz .LBB327_94
; %bb.93:
	v_lshlrev_b32_e32 v5, 3, v0
	ds_read_b64 v[6:7], v5 offset:2064
	v_and_b32_e32 v36, 3, v39
	v_cmp_lt_u32_e64 s[28:29], 1, v36
	s_waitcnt lgkmcnt(0)
	v_mov_b32_dpp v38, v7 row_shr:1 row_mask:0xf bank_mask:0xf
	v_cmp_eq_u32_e32 vcc, 0, v6
	v_mov_b32_dpp v37, v6 row_shr:1 row_mask:0xf bank_mask:0xf
	v_cndmask_b32_e32 v38, 0, v38, vcc
	v_cmp_eq_u32_e32 vcc, 0, v36
	v_cndmask_b32_e64 v37, v37, 0, vcc
	v_add_u32_e32 v6, v37, v6
	v_cndmask_b32_e64 v37, v38, 0, vcc
	v_add_u32_e32 v7, v37, v7
	v_cmp_eq_u32_e32 vcc, 0, v6
	v_mov_b32_dpp v37, v6 row_shr:2 row_mask:0xf bank_mask:0xf
	v_mov_b32_dpp v38, v7 row_shr:2 row_mask:0xf bank_mask:0xf
	v_cndmask_b32_e64 v36, 0, v37, s[28:29]
	s_and_b64 vcc, s[28:29], vcc
	v_add_u32_e32 v6, v36, v6
	v_cndmask_b32_e32 v36, 0, v38, vcc
	v_add_u32_e32 v7, v36, v7
	ds_write_b64 v5, v[6:7] offset:2064
.LBB327_94:
	s_or_b64 exec, exec, s[30:31]
	v_cmp_gt_u32_e32 vcc, 64, v0
	v_cmp_lt_u32_e64 s[28:29], 63, v0
	v_mov_b32_e32 v36, 0
	v_mov_b32_e32 v37, 0
	s_waitcnt lgkmcnt(0)
	s_barrier
	s_and_saveexec_b64 s[30:31], s[28:29]
	s_cbranch_execz .LBB327_96
; %bb.95:
	ds_read_b64 v[36:37], v4 offset:2056
	v_cmp_eq_u32_e64 s[28:29], 0, v2
	s_waitcnt lgkmcnt(0)
	v_add_u32_e32 v4, v36, v2
	v_cndmask_b32_e64 v2, 0, v37, s[28:29]
	v_add_u32_e32 v3, v2, v3
	v_mov_b32_e32 v2, v4
.LBB327_96:
	s_or_b64 exec, exec, s[30:31]
	v_add_u32_e32 v4, -1, v39
	v_and_b32_e32 v5, 64, v39
	v_cmp_lt_i32_e64 s[28:29], v4, v5
	v_cndmask_b32_e64 v4, v4, v39, s[28:29]
	v_lshlrev_b32_e32 v4, 2, v4
	ds_bpermute_b32 v44, v4, v2
	ds_bpermute_b32 v45, v4, v3
	v_cmp_eq_u32_e64 s[28:29], 0, v39
	s_and_saveexec_b64 s[40:41], vcc
	s_cbranch_execz .LBB327_119
; %bb.97:
	v_mov_b32_e32 v7, 0
	ds_read_b64 v[2:3], v7 offset:2088
	s_waitcnt lgkmcnt(0)
	v_readfirstlane_b32 s48, v2
	v_readfirstlane_b32 s49, v3
	s_and_saveexec_b64 s[30:31], s[28:29]
	s_cbranch_execz .LBB327_99
; %bb.98:
	s_add_i32 s46, s62, 64
	s_mov_b32 s47, 0
	s_lshl_b64 s[50:51], s[46:47], 4
	s_add_u32 s50, s44, s50
	s_addc_u32 s51, s45, s51
	s_and_b32 s57, s49, 0xff000000
	s_mov_b32 s56, s47
	s_and_b32 s65, s49, 0xff0000
	s_mov_b32 s64, s47
	s_or_b64 s[56:57], s[64:65], s[56:57]
	s_and_b32 s65, s49, 0xff00
	s_or_b64 s[56:57], s[56:57], s[64:65]
	s_and_b32 s65, s49, 0xff
	s_or_b64 s[46:47], s[56:57], s[64:65]
	v_mov_b32_e32 v4, s48
	v_mov_b32_e32 v5, s47
	v_mov_b32_e32 v6, 1
	v_pk_mov_b32 v[2:3], s[50:51], s[50:51] op_sel:[0,1]
	;;#ASMSTART
	global_store_dwordx4 v[2:3], v[4:7] off	
s_waitcnt vmcnt(0)
	;;#ASMEND
.LBB327_99:
	s_or_b64 exec, exec, s[30:31]
	v_xad_u32 v38, v39, -1, s62
	v_add_u32_e32 v6, 64, v38
	v_lshlrev_b64 v[2:3], 4, v[6:7]
	v_mov_b32_e32 v4, s45
	v_add_co_u32_e32 v40, vcc, s44, v2
	v_addc_co_u32_e32 v41, vcc, v4, v3, vcc
	;;#ASMSTART
	global_load_dwordx4 v[2:5], v[40:41] off glc	
s_waitcnt vmcnt(0)
	;;#ASMEND
	v_and_b32_e32 v5, 0xff, v3
	v_and_b32_e32 v6, 0xff00, v3
	;; [unrolled: 1-line block ×3, first 2 shown]
	v_or3_b32 v5, 0, v5, v6
	v_or3_b32 v2, v2, 0, 0
	v_and_b32_e32 v3, 0xff000000, v3
	v_or3_b32 v3, v5, v42, v3
	v_or3_b32 v2, v2, 0, 0
	v_cmp_eq_u16_sdwa s[46:47], v4, v7 src0_sel:BYTE_0 src1_sel:DWORD
	s_and_saveexec_b64 s[30:31], s[46:47]
	s_cbranch_execz .LBB327_105
; %bb.100:
	s_mov_b32 s50, 1
	s_mov_b64 s[46:47], 0
	v_mov_b32_e32 v6, 0
.LBB327_101:                            ; =>This Loop Header: Depth=1
                                        ;     Child Loop BB327_102 Depth 2
	s_max_u32 s51, s50, 1
.LBB327_102:                            ;   Parent Loop BB327_101 Depth=1
                                        ; =>  This Inner Loop Header: Depth=2
	s_add_i32 s51, s51, -1
	s_cmp_eq_u32 s51, 0
	s_sleep 1
	s_cbranch_scc0 .LBB327_102
; %bb.103:                              ;   in Loop: Header=BB327_101 Depth=1
	s_cmp_lt_u32 s50, 32
	s_cselect_b64 s[56:57], -1, 0
	s_cmp_lg_u64 s[56:57], 0
	s_addc_u32 s50, s50, 0
	;;#ASMSTART
	global_load_dwordx4 v[2:5], v[40:41] off glc	
s_waitcnt vmcnt(0)
	;;#ASMEND
	v_cmp_ne_u16_sdwa s[56:57], v4, v6 src0_sel:BYTE_0 src1_sel:DWORD
	s_or_b64 s[46:47], s[56:57], s[46:47]
	s_andn2_b64 exec, exec, s[46:47]
	s_cbranch_execnz .LBB327_101
; %bb.104:
	s_or_b64 exec, exec, s[46:47]
.LBB327_105:
	s_or_b64 exec, exec, s[30:31]
	v_mov_b32_e32 v46, 2
	v_cmp_eq_u16_sdwa s[30:31], v4, v46 src0_sel:BYTE_0 src1_sel:DWORD
	v_lshlrev_b64 v[40:41], v39, -1
	v_and_b32_e32 v5, s31, v41
	v_and_b32_e32 v47, 63, v39
	v_or_b32_e32 v5, 0x80000000, v5
	v_cmp_ne_u32_e32 vcc, 63, v47
	v_and_b32_e32 v6, s30, v40
	v_ffbl_b32_e32 v5, v5
	v_addc_co_u32_e32 v7, vcc, 0, v39, vcc
	v_add_u32_e32 v5, 32, v5
	v_ffbl_b32_e32 v6, v6
	v_lshlrev_b32_e32 v48, 2, v7
	v_min_u32_e32 v5, v6, v5
	ds_bpermute_b32 v6, v48, v3
	v_cmp_eq_u32_e32 vcc, 0, v2
	v_cmp_lt_u32_e64 s[30:31], v47, v5
	ds_bpermute_b32 v7, v48, v2
	s_and_b64 vcc, s[30:31], vcc
	s_waitcnt lgkmcnt(1)
	v_cndmask_b32_e32 v6, 0, v6, vcc
	v_cmp_gt_u32_e32 vcc, 62, v47
	v_add_u32_e32 v3, v6, v3
	v_cndmask_b32_e64 v6, 0, 1, vcc
	v_lshlrev_b32_e32 v6, 1, v6
	v_add_lshl_u32 v49, v6, v39, 2
	s_waitcnt lgkmcnt(0)
	v_cndmask_b32_e64 v7, 0, v7, s[30:31]
	ds_bpermute_b32 v6, v49, v3
	v_add_u32_e32 v2, v7, v2
	ds_bpermute_b32 v7, v49, v2
	v_add_u32_e32 v50, 2, v47
	v_cmp_eq_u32_e32 vcc, 0, v2
	s_waitcnt lgkmcnt(1)
	v_cndmask_b32_e32 v6, 0, v6, vcc
	v_cmp_gt_u32_e32 vcc, v50, v5
	v_cndmask_b32_e64 v6, v6, 0, vcc
	v_add_u32_e32 v3, v6, v3
	s_waitcnt lgkmcnt(0)
	v_cndmask_b32_e64 v6, v7, 0, vcc
	v_cmp_gt_u32_e32 vcc, 60, v47
	v_cndmask_b32_e64 v7, 0, 1, vcc
	v_lshlrev_b32_e32 v7, 2, v7
	v_add_lshl_u32 v51, v7, v39, 2
	ds_bpermute_b32 v7, v51, v3
	v_add_u32_e32 v2, v2, v6
	ds_bpermute_b32 v6, v51, v2
	v_add_u32_e32 v52, 4, v47
	v_cmp_eq_u32_e32 vcc, 0, v2
	s_waitcnt lgkmcnt(1)
	v_cndmask_b32_e32 v7, 0, v7, vcc
	v_cmp_gt_u32_e32 vcc, v52, v5
	v_cndmask_b32_e64 v7, v7, 0, vcc
	s_waitcnt lgkmcnt(0)
	v_cndmask_b32_e64 v6, v6, 0, vcc
	v_cmp_gt_u32_e32 vcc, 56, v47
	v_add_u32_e32 v3, v3, v7
	v_cndmask_b32_e64 v7, 0, 1, vcc
	v_lshlrev_b32_e32 v7, 3, v7
	v_add_lshl_u32 v53, v7, v39, 2
	ds_bpermute_b32 v7, v53, v3
	v_add_u32_e32 v2, v2, v6
	ds_bpermute_b32 v6, v53, v2
	v_add_u32_e32 v54, 8, v47
	v_cmp_eq_u32_e32 vcc, 0, v2
	s_waitcnt lgkmcnt(1)
	v_cndmask_b32_e32 v7, 0, v7, vcc
	v_cmp_gt_u32_e32 vcc, v54, v5
	v_cndmask_b32_e64 v7, v7, 0, vcc
	s_waitcnt lgkmcnt(0)
	v_cndmask_b32_e64 v6, v6, 0, vcc
	v_cmp_gt_u32_e32 vcc, 48, v47
	v_add_u32_e32 v3, v3, v7
	;; [unrolled: 16-line block ×3, first 2 shown]
	v_cndmask_b32_e64 v7, 0, 1, vcc
	v_lshlrev_b32_e32 v7, 5, v7
	v_add_lshl_u32 v57, v7, v39, 2
	ds_bpermute_b32 v7, v57, v3
	v_add_u32_e32 v2, v2, v6
	ds_bpermute_b32 v6, v57, v2
	v_add_u32_e32 v58, 32, v47
	v_cmp_eq_u32_e32 vcc, 0, v2
	s_waitcnt lgkmcnt(1)
	v_cndmask_b32_e32 v7, 0, v7, vcc
	v_cmp_gt_u32_e32 vcc, v58, v5
	v_cndmask_b32_e64 v5, v7, 0, vcc
	v_add_u32_e32 v3, v5, v3
	s_waitcnt lgkmcnt(0)
	v_cndmask_b32_e64 v5, v6, 0, vcc
	v_add_u32_e32 v2, v5, v2
	v_mov_b32_e32 v39, 0
	s_branch .LBB327_107
.LBB327_106:                            ;   in Loop: Header=BB327_107 Depth=1
	s_or_b64 exec, exec, s[30:31]
	v_cmp_eq_u16_sdwa s[30:31], v4, v46 src0_sel:BYTE_0 src1_sel:DWORD
	v_and_b32_e32 v5, s31, v41
	v_or_b32_e32 v5, 0x80000000, v5
	v_and_b32_e32 v42, s30, v40
	v_ffbl_b32_e32 v5, v5
	v_add_u32_e32 v5, 32, v5
	v_ffbl_b32_e32 v42, v42
	v_min_u32_e32 v5, v42, v5
	ds_bpermute_b32 v42, v48, v3
	v_cmp_eq_u32_e32 vcc, 0, v2
	v_cmp_lt_u32_e64 s[30:31], v47, v5
	ds_bpermute_b32 v43, v48, v2
	s_and_b64 vcc, s[30:31], vcc
	s_waitcnt lgkmcnt(1)
	v_cndmask_b32_e32 v42, 0, v42, vcc
	v_add_u32_e32 v3, v42, v3
	ds_bpermute_b32 v42, v49, v3
	s_waitcnt lgkmcnt(1)
	v_cndmask_b32_e64 v43, 0, v43, s[30:31]
	v_add_u32_e32 v2, v43, v2
	v_cmp_eq_u32_e32 vcc, 0, v2
	ds_bpermute_b32 v43, v49, v2
	s_waitcnt lgkmcnt(1)
	v_cndmask_b32_e32 v42, 0, v42, vcc
	v_cmp_gt_u32_e32 vcc, v50, v5
	v_cndmask_b32_e64 v42, v42, 0, vcc
	v_add_u32_e32 v3, v42, v3
	ds_bpermute_b32 v42, v51, v3
	s_waitcnt lgkmcnt(1)
	v_cndmask_b32_e64 v43, v43, 0, vcc
	v_add_u32_e32 v2, v2, v43
	v_cmp_eq_u32_e32 vcc, 0, v2
	ds_bpermute_b32 v43, v51, v2
	s_waitcnt lgkmcnt(1)
	v_cndmask_b32_e32 v42, 0, v42, vcc
	v_cmp_gt_u32_e32 vcc, v52, v5
	v_cndmask_b32_e64 v42, v42, 0, vcc
	v_add_u32_e32 v3, v3, v42
	ds_bpermute_b32 v42, v53, v3
	s_waitcnt lgkmcnt(1)
	v_cndmask_b32_e64 v43, v43, 0, vcc
	v_add_u32_e32 v2, v2, v43
	ds_bpermute_b32 v43, v53, v2
	v_cmp_eq_u32_e32 vcc, 0, v2
	s_waitcnt lgkmcnt(1)
	v_cndmask_b32_e32 v42, 0, v42, vcc
	v_cmp_gt_u32_e32 vcc, v54, v5
	v_cndmask_b32_e64 v42, v42, 0, vcc
	v_add_u32_e32 v3, v3, v42
	ds_bpermute_b32 v42, v55, v3
	s_waitcnt lgkmcnt(1)
	v_cndmask_b32_e64 v43, v43, 0, vcc
	v_add_u32_e32 v2, v2, v43
	ds_bpermute_b32 v43, v55, v2
	v_cmp_eq_u32_e32 vcc, 0, v2
	s_waitcnt lgkmcnt(1)
	v_cndmask_b32_e32 v42, 0, v42, vcc
	v_cmp_gt_u32_e32 vcc, v56, v5
	v_cndmask_b32_e64 v42, v42, 0, vcc
	v_add_u32_e32 v3, v3, v42
	ds_bpermute_b32 v42, v57, v3
	s_waitcnt lgkmcnt(1)
	v_cndmask_b32_e64 v43, v43, 0, vcc
	v_add_u32_e32 v2, v2, v43
	ds_bpermute_b32 v43, v57, v2
	v_cmp_eq_u32_e32 vcc, 0, v2
	s_waitcnt lgkmcnt(1)
	v_cndmask_b32_e32 v42, 0, v42, vcc
	v_cmp_gt_u32_e32 vcc, v58, v5
	v_cndmask_b32_e64 v5, v42, 0, vcc
	v_add_u32_e32 v3, v5, v3
	s_waitcnt lgkmcnt(0)
	v_cndmask_b32_e64 v5, v43, 0, vcc
	v_cmp_eq_u32_e32 vcc, 0, v6
	v_cndmask_b32_e32 v3, 0, v3, vcc
	v_subrev_u32_e32 v38, 64, v38
	v_add3_u32 v2, v2, v6, v5
	v_add_u32_e32 v3, v3, v7
.LBB327_107:                            ; =>This Loop Header: Depth=1
                                        ;     Child Loop BB327_110 Depth 2
                                        ;       Child Loop BB327_111 Depth 3
	v_cmp_ne_u16_sdwa s[30:31], v4, v46 src0_sel:BYTE_0 src1_sel:DWORD
	v_mov_b32_e32 v7, v3
	v_cndmask_b32_e64 v3, 0, 1, s[30:31]
	;;#ASMSTART
	;;#ASMEND
	v_cmp_ne_u32_e32 vcc, 0, v3
	s_cmp_lg_u64 vcc, exec
	v_mov_b32_e32 v6, v2
	s_cbranch_scc1 .LBB327_114
; %bb.108:                              ;   in Loop: Header=BB327_107 Depth=1
	v_lshlrev_b64 v[2:3], 4, v[38:39]
	v_mov_b32_e32 v4, s45
	v_add_co_u32_e32 v42, vcc, s44, v2
	v_addc_co_u32_e32 v43, vcc, v4, v3, vcc
	;;#ASMSTART
	global_load_dwordx4 v[2:5], v[42:43] off glc	
s_waitcnt vmcnt(0)
	;;#ASMEND
	v_and_b32_e32 v5, 0xff, v3
	v_and_b32_e32 v59, 0xff00, v3
	v_and_b32_e32 v60, 0xff0000, v3
	v_or3_b32 v5, 0, v5, v59
	v_or3_b32 v2, v2, 0, 0
	v_and_b32_e32 v3, 0xff000000, v3
	v_or3_b32 v3, v5, v60, v3
	v_or3_b32 v2, v2, 0, 0
	v_cmp_eq_u16_sdwa s[46:47], v4, v39 src0_sel:BYTE_0 src1_sel:DWORD
	s_and_saveexec_b64 s[30:31], s[46:47]
	s_cbranch_execz .LBB327_106
; %bb.109:                              ;   in Loop: Header=BB327_107 Depth=1
	s_mov_b32 s50, 1
	s_mov_b64 s[46:47], 0
.LBB327_110:                            ;   Parent Loop BB327_107 Depth=1
                                        ; =>  This Loop Header: Depth=2
                                        ;       Child Loop BB327_111 Depth 3
	s_max_u32 s51, s50, 1
.LBB327_111:                            ;   Parent Loop BB327_107 Depth=1
                                        ;     Parent Loop BB327_110 Depth=2
                                        ; =>    This Inner Loop Header: Depth=3
	s_add_i32 s51, s51, -1
	s_cmp_eq_u32 s51, 0
	s_sleep 1
	s_cbranch_scc0 .LBB327_111
; %bb.112:                              ;   in Loop: Header=BB327_110 Depth=2
	s_cmp_lt_u32 s50, 32
	s_cselect_b64 s[56:57], -1, 0
	s_cmp_lg_u64 s[56:57], 0
	s_addc_u32 s50, s50, 0
	;;#ASMSTART
	global_load_dwordx4 v[2:5], v[42:43] off glc	
s_waitcnt vmcnt(0)
	;;#ASMEND
	v_cmp_ne_u16_sdwa s[56:57], v4, v39 src0_sel:BYTE_0 src1_sel:DWORD
	s_or_b64 s[46:47], s[56:57], s[46:47]
	s_andn2_b64 exec, exec, s[46:47]
	s_cbranch_execnz .LBB327_110
; %bb.113:                              ;   in Loop: Header=BB327_107 Depth=1
	s_or_b64 exec, exec, s[46:47]
	s_branch .LBB327_106
.LBB327_114:                            ;   in Loop: Header=BB327_107 Depth=1
                                        ; implicit-def: $vgpr3
                                        ; implicit-def: $vgpr2
                                        ; implicit-def: $vgpr4
	s_cbranch_execz .LBB327_107
; %bb.115:
	s_and_saveexec_b64 s[30:31], s[28:29]
	s_cbranch_execz .LBB327_117
; %bb.116:
	s_cmp_eq_u32 s48, 0
	s_cselect_b64 vcc, -1, 0
	s_mov_b32 s47, 0
	v_cndmask_b32_e32 v2, 0, v7, vcc
	s_add_i32 s46, s62, 64
	v_add_u32_e32 v2, s49, v2
	s_lshl_b64 s[46:47], s[46:47], 4
	s_add_u32 s46, s44, s46
	v_and_b32_e32 v3, 0xff000000, v2
	v_and_b32_e32 v4, 0xff0000, v2
	s_addc_u32 s47, s45, s47
	v_or_b32_e32 v3, v4, v3
	v_and_b32_e32 v4, 0xff00, v2
	v_and_b32_e32 v2, 0xff, v2
	v_add_u32_e32 v38, s48, v6
	v_mov_b32_e32 v41, 0
	v_or3_b32 v39, v3, v4, v2
	v_mov_b32_e32 v40, 2
	v_pk_mov_b32 v[2:3], s[46:47], s[46:47] op_sel:[0,1]
	;;#ASMSTART
	global_store_dwordx4 v[2:3], v[38:41] off	
s_waitcnt vmcnt(0)
	;;#ASMEND
	v_mov_b32_e32 v4, s48
	v_mov_b32_e32 v5, s49
	ds_write_b128 v41, v[4:7] offset:2048
.LBB327_117:
	s_or_b64 exec, exec, s[30:31]
	s_and_b64 exec, exec, s[0:1]
	s_cbranch_execz .LBB327_119
; %bb.118:
	v_mov_b32_e32 v2, 0
	ds_write_b64 v2, v[6:7] offset:2088
.LBB327_119:
	s_or_b64 exec, exec, s[40:41]
	v_mov_b32_e32 v4, 0
	s_waitcnt lgkmcnt(0)
	s_barrier
	ds_read_b64 v[2:3], v4 offset:2088
	v_cndmask_b32_e64 v6, v44, v36, s[28:29]
	v_cmp_eq_u32_e32 vcc, 0, v6
	v_cndmask_b32_e64 v5, v45, v37, s[28:29]
	s_waitcnt lgkmcnt(0)
	v_cndmask_b32_e32 v7, 0, v3, vcc
	v_add_u32_e32 v5, v7, v5
	v_cndmask_b32_e64 v65, v5, v3, s[0:1]
	v_cndmask_b32_e64 v3, v6, 0, s[0:1]
	v_cmp_eq_u32_e32 vcc, 0, v81
	v_add_u32_e32 v64, v2, v3
	v_cndmask_b32_e32 v2, 0, v65, vcc
	v_add_u32_e32 v63, v2, v34
	v_cndmask_b32_e64 v2, 0, v63, s[26:27]
	v_add_u32_e32 v61, v2, v35
	v_cndmask_b32_e64 v2, 0, v61, s[24:25]
	;; [unrolled: 2-line block ×8, first 2 shown]
	v_add_u32_e32 v62, v64, v81
	v_add_u32_e32 v47, v2, v26
	v_add_u32_e32 v60, v62, v79
	v_cndmask_b32_e64 v2, 0, v47, s[10:11]
	v_add_u32_e32 v58, v60, v78
	v_add_u32_e32 v45, v2, v27
	v_add_u32_e32 v56, v58, v77
	v_cndmask_b32_e64 v2, 0, v45, s[8:9]
	;; [unrolled: 4-line block ×3, first 2 shown]
	v_add_u32_e32 v50, v52, v74
	v_add_u32_e32 v41, v2, v25
	s_barrier
	ds_read_b128 v[2:5], v4 offset:2048
	v_add_u32_e32 v48, v50, v73
	v_add_u32_e32 v46, v48, v72
	;; [unrolled: 1-line block ×4, first 2 shown]
	v_cndmask_b32_e64 v6, 0, v41, s[4:5]
	v_add_u32_e32 v40, v42, v69
	v_add_u32_e32 v39, v6, v22
	s_waitcnt lgkmcnt(0)
	v_cmp_eq_u32_e32 vcc, 0, v2
	v_add_u32_e32 v38, v40, v68
	v_cndmask_b32_e64 v6, 0, v39, s[2:3]
	v_cndmask_b32_e32 v5, 0, v5, vcc
	v_add_u32_e32 v36, v38, v67
	v_add_u32_e32 v37, v6, v23
	;; [unrolled: 1-line block ×3, first 2 shown]
	s_branch .LBB327_132
.LBB327_120:
                                        ; implicit-def: $vgpr2
                                        ; implicit-def: $vgpr80
                                        ; implicit-def: $vgpr64_vgpr65
                                        ; implicit-def: $vgpr62_vgpr63
                                        ; implicit-def: $vgpr60_vgpr61
                                        ; implicit-def: $vgpr58_vgpr59
                                        ; implicit-def: $vgpr56_vgpr57
                                        ; implicit-def: $vgpr54_vgpr55
                                        ; implicit-def: $vgpr52_vgpr53
                                        ; implicit-def: $vgpr50_vgpr51
                                        ; implicit-def: $vgpr48_vgpr49
                                        ; implicit-def: $vgpr46_vgpr47
                                        ; implicit-def: $vgpr44_vgpr45
                                        ; implicit-def: $vgpr42_vgpr43
                                        ; implicit-def: $vgpr40_vgpr41
                                        ; implicit-def: $vgpr38_vgpr39
                                        ; implicit-def: $vgpr36_vgpr37
	s_cbranch_execz .LBB327_132
; %bb.121:
	s_and_b64 s[2:3], s[34:35], exec
	s_cselect_b32 s3, 0, s61
	s_cselect_b32 s2, 0, s60
	s_cmp_eq_u64 s[2:3], 0
	v_mov_b32_e32 v6, v34
	s_cbranch_scc1 .LBB327_123
; %bb.122:
	v_mov_b32_e32 v2, 0
	global_load_dword v6, v2, s[2:3]
.LBB327_123:
	v_cmp_eq_u32_e64 s[2:3], 0, v79
	v_cndmask_b32_e64 v2, 0, v34, s[2:3]
	v_add_u32_e32 v2, v2, v35
	v_cmp_eq_u32_e64 s[4:5], 0, v78
	v_cndmask_b32_e64 v2, 0, v2, s[4:5]
	v_add_u32_e32 v2, v2, v32
	;; [unrolled: 3-line block ×11, first 2 shown]
	v_cmp_eq_u32_e64 s[24:25], 0, v68
	v_cndmask_b32_e64 v2, 0, v2, s[24:25]
	v_add3_u32 v3, v86, v75, v74
	v_add_u32_e32 v2, v2, v22
	v_cmp_eq_u32_e32 vcc, 0, v67
	v_add3_u32 v3, v3, v73, v72
	v_cndmask_b32_e32 v2, 0, v2, vcc
	v_add3_u32 v3, v3, v71, v70
	v_add_u32_e32 v2, v2, v23
	v_cmp_eq_u32_e64 s[26:27], 0, v66
	v_add3_u32 v3, v3, v69, v68
	v_cndmask_b32_e64 v2, 0, v2, s[26:27]
	v_add3_u32 v3, v3, v67, v66
	v_add_u32_e32 v2, v2, v82
	v_mbcnt_hi_u32_b32 v7, -1, v85
	v_and_b32_e32 v4, 15, v7
	v_mov_b32_dpp v36, v2 row_shr:1 row_mask:0xf bank_mask:0xf
	v_cmp_eq_u32_e64 s[26:27], 0, v3
	v_mov_b32_dpp v5, v3 row_shr:1 row_mask:0xf bank_mask:0xf
	v_cndmask_b32_e64 v36, 0, v36, s[26:27]
	v_cmp_eq_u32_e64 s[26:27], 0, v4
	v_cndmask_b32_e64 v5, v5, 0, s[26:27]
	v_add_u32_e32 v3, v5, v3
	v_cndmask_b32_e64 v5, v36, 0, s[26:27]
	v_add_u32_e32 v2, v5, v2
	v_cmp_eq_u32_e64 s[26:27], 0, v3
	v_mov_b32_dpp v5, v3 row_shr:2 row_mask:0xf bank_mask:0xf
	v_cmp_lt_u32_e64 s[28:29], 1, v4
	v_mov_b32_dpp v36, v2 row_shr:2 row_mask:0xf bank_mask:0xf
	v_cndmask_b32_e64 v5, 0, v5, s[28:29]
	s_and_b64 s[26:27], s[28:29], s[26:27]
	v_cndmask_b32_e64 v36, 0, v36, s[26:27]
	v_add_u32_e32 v3, v3, v5
	v_add_u32_e32 v2, v36, v2
	v_cmp_eq_u32_e64 s[26:27], 0, v3
	v_mov_b32_dpp v5, v3 row_shr:4 row_mask:0xf bank_mask:0xf
	v_cmp_lt_u32_e64 s[28:29], 3, v4
	v_mov_b32_dpp v36, v2 row_shr:4 row_mask:0xf bank_mask:0xf
	v_cndmask_b32_e64 v5, 0, v5, s[28:29]
	s_and_b64 s[26:27], s[28:29], s[26:27]
	v_cndmask_b32_e64 v36, 0, v36, s[26:27]
	v_add_u32_e32 v3, v5, v3
	v_add_u32_e32 v2, v2, v36
	v_cmp_eq_u32_e64 s[26:27], 0, v3
	v_cmp_lt_u32_e64 s[28:29], 7, v4
	v_mov_b32_dpp v5, v3 row_shr:8 row_mask:0xf bank_mask:0xf
	v_mov_b32_dpp v36, v2 row_shr:8 row_mask:0xf bank_mask:0xf
	s_and_b64 s[26:27], s[28:29], s[26:27]
	v_cndmask_b32_e64 v4, 0, v5, s[28:29]
	v_cndmask_b32_e64 v5, 0, v36, s[26:27]
	v_add_u32_e32 v2, v5, v2
	v_add_u32_e32 v3, v4, v3
	v_bfe_i32 v36, v7, 4, 1
	v_mov_b32_dpp v5, v2 row_bcast:15 row_mask:0xf bank_mask:0xf
	v_mov_b32_dpp v4, v3 row_bcast:15 row_mask:0xf bank_mask:0xf
	v_cmp_eq_u32_e64 s[26:27], 0, v3
	v_cndmask_b32_e64 v5, 0, v5, s[26:27]
	v_and_b32_e32 v4, v36, v4
	v_add_u32_e32 v3, v4, v3
	v_and_b32_e32 v4, v36, v5
	v_add_u32_e32 v4, v4, v2
	v_mov_b32_dpp v2, v3 row_bcast:31 row_mask:0xf bank_mask:0xf
	v_cmp_eq_u32_e64 s[26:27], 0, v3
	v_cmp_lt_u32_e64 s[28:29], 31, v7
	v_mov_b32_dpp v5, v4 row_bcast:31 row_mask:0xf bank_mask:0xf
	v_cndmask_b32_e64 v2, 0, v2, s[28:29]
	s_and_b64 s[26:27], s[28:29], s[26:27]
	v_add_u32_e32 v2, v2, v3
	v_cndmask_b32_e64 v3, 0, v5, s[26:27]
	v_add_u32_e32 v3, v3, v4
	v_cmp_eq_u32_e64 s[26:27], v84, v0
	s_and_saveexec_b64 s[28:29], s[26:27]
	s_cbranch_execz .LBB327_125
; %bb.124:
	v_lshlrev_b32_e32 v4, 3, v83
	ds_write_b64 v4, v[2:3] offset:2064
.LBB327_125:
	s_or_b64 exec, exec, s[28:29]
	v_cmp_gt_u32_e64 s[26:27], 4, v0
	s_waitcnt lgkmcnt(0)
	s_barrier
	s_and_saveexec_b64 s[30:31], s[26:27]
	s_cbranch_execz .LBB327_127
; %bb.126:
	v_lshlrev_b32_e32 v36, 3, v0
	ds_read_b64 v[4:5], v36 offset:2064
	v_and_b32_e32 v37, 3, v7
	v_cmp_lt_u32_e64 s[28:29], 1, v37
	s_waitcnt lgkmcnt(0)
	v_mov_b32_dpp v39, v5 row_shr:1 row_mask:0xf bank_mask:0xf
	v_cmp_eq_u32_e64 s[26:27], 0, v4
	v_mov_b32_dpp v38, v4 row_shr:1 row_mask:0xf bank_mask:0xf
	v_cndmask_b32_e64 v39, 0, v39, s[26:27]
	v_cmp_eq_u32_e64 s[26:27], 0, v37
	v_cndmask_b32_e64 v38, v38, 0, s[26:27]
	v_add_u32_e32 v4, v38, v4
	v_cndmask_b32_e64 v38, v39, 0, s[26:27]
	v_add_u32_e32 v5, v38, v5
	v_cmp_eq_u32_e64 s[26:27], 0, v4
	v_mov_b32_dpp v38, v4 row_shr:2 row_mask:0xf bank_mask:0xf
	v_mov_b32_dpp v39, v5 row_shr:2 row_mask:0xf bank_mask:0xf
	v_cndmask_b32_e64 v37, 0, v38, s[28:29]
	s_and_b64 s[26:27], s[28:29], s[26:27]
	v_add_u32_e32 v4, v37, v4
	v_cndmask_b32_e64 v37, 0, v39, s[26:27]
	v_add_u32_e32 v5, v37, v5
	ds_write_b64 v36, v[4:5] offset:2064
.LBB327_127:
	s_or_b64 exec, exec, s[30:31]
	v_cmp_lt_u32_e64 s[26:27], 63, v0
	v_mov_b32_e32 v36, 0
	v_mov_b32_e32 v4, 0
	s_waitcnt vmcnt(0)
	v_mov_b32_e32 v5, v6
	s_waitcnt lgkmcnt(0)
	s_barrier
	s_and_saveexec_b64 s[28:29], s[26:27]
	s_cbranch_execz .LBB327_129
; %bb.128:
	v_lshlrev_b32_e32 v4, 3, v83
	ds_read_b64 v[4:5], v4 offset:2056
	s_waitcnt lgkmcnt(0)
	v_cmp_eq_u32_e64 s[26:27], 0, v4
	v_cndmask_b32_e64 v37, 0, v6, s[26:27]
	v_add_u32_e32 v5, v37, v5
.LBB327_129:
	s_or_b64 exec, exec, s[28:29]
	v_cmp_eq_u32_e64 s[26:27], 0, v2
	v_add_u32_e32 v37, v4, v2
	v_cndmask_b32_e64 v2, 0, v5, s[26:27]
	v_add_u32_e32 v2, v2, v3
	v_add_u32_e32 v3, -1, v7
	v_and_b32_e32 v38, 64, v7
	v_cmp_lt_i32_e64 s[26:27], v3, v38
	v_cndmask_b32_e64 v3, v3, v7, s[26:27]
	v_lshlrev_b32_e32 v3, 2, v3
	ds_bpermute_b32 v2, v3, v2
	ds_bpermute_b32 v37, v3, v37
	v_cmp_eq_u32_e64 s[26:27], 0, v7
	s_waitcnt lgkmcnt(1)
	v_cndmask_b32_e64 v2, v2, v5, s[26:27]
	s_waitcnt lgkmcnt(0)
	v_cndmask_b32_e64 v3, v37, v4, s[26:27]
	v_cndmask_b32_e64 v65, v2, v6, s[0:1]
	v_cmp_eq_u32_e64 s[26:27], 0, v81
	v_cndmask_b32_e64 v2, 0, v65, s[26:27]
	v_add_u32_e32 v63, v2, v34
	v_cndmask_b32_e64 v2, 0, v63, s[2:3]
	v_add_u32_e32 v61, v2, v35
	;; [unrolled: 2-line block ×8, first 2 shown]
	v_cndmask_b32_e64 v64, v3, 0, s[0:1]
	v_cndmask_b32_e64 v2, 0, v49, s[16:17]
	v_add_u32_e32 v62, v64, v81
	v_add_u32_e32 v47, v2, v26
	v_add_u32_e32 v60, v62, v79
	v_cndmask_b32_e64 v2, 0, v47, s[18:19]
	v_add_u32_e32 v58, v60, v78
	v_add_u32_e32 v45, v2, v27
	v_add_u32_e32 v56, v58, v77
	;; [unrolled: 4-line block ×3, first 2 shown]
	v_cndmask_b32_e64 v2, 0, v43, s[22:23]
	v_add_u32_e32 v50, v52, v74
	v_add_u32_e32 v41, v2, v25
	ds_read_b64 v[2:3], v36 offset:2088
	v_add_u32_e32 v48, v50, v73
	v_add_u32_e32 v46, v48, v72
	;; [unrolled: 1-line block ×3, first 2 shown]
	v_cndmask_b32_e64 v4, 0, v41, s[24:25]
	v_add_u32_e32 v42, v44, v70
	v_add_u32_e32 v39, v4, v22
	;; [unrolled: 1-line block ×3, first 2 shown]
	v_cndmask_b32_e32 v4, 0, v39, vcc
	s_waitcnt lgkmcnt(0)
	v_cmp_eq_u32_e32 vcc, 0, v2
	v_add_u32_e32 v38, v40, v68
	v_add_u32_e32 v37, v4, v23
	v_cndmask_b32_e32 v4, 0, v6, vcc
	v_add_u32_e32 v36, v38, v67
	v_add_u32_e32 v80, v4, v3
	s_and_saveexec_b64 s[2:3], s[0:1]
	s_cbranch_execz .LBB327_131
; %bb.130:
	s_add_u32 s4, s44, 0x400
	v_and_b32_e32 v3, 0xff000000, v80
	v_and_b32_e32 v4, 0xff0000, v80
	s_addc_u32 s5, s45, 0
	v_or_b32_e32 v3, v4, v3
	v_and_b32_e32 v4, 0xff00, v80
	v_and_b32_e32 v6, 0xff, v80
	v_mov_b32_e32 v5, 0
	v_or3_b32 v3, v3, v4, v6
	v_mov_b32_e32 v4, 2
	v_pk_mov_b32 v[6:7], s[4:5], s[4:5] op_sel:[0,1]
	;;#ASMSTART
	global_store_dwordx4 v[6:7], v[2:5] off	
s_waitcnt vmcnt(0)
	;;#ASMEND
.LBB327_131:
	s_or_b64 exec, exec, s[2:3]
	v_mov_b32_e32 v4, 0
.LBB327_132:
	s_and_b64 s[2:3], s[34:35], exec
	s_cselect_b32 s3, 0, s59
	s_cselect_b32 s2, 0, s58
	s_cmp_eq_u64 s[2:3], 0
	v_pk_mov_b32 v[6:7], 0, 0
	s_barrier
	s_cbranch_scc1 .LBB327_134
; %bb.133:
	v_mov_b32_e32 v3, 0
	global_load_dwordx2 v[6:7], v3, s[2:3]
.LBB327_134:
	s_waitcnt vmcnt(0)
	v_lshlrev_b64 v[22:23], 2, v[6:7]
	v_mov_b32_e32 v3, s43
	v_add_co_u32_e32 v26, vcc, s42, v22
	v_mov_b32_e32 v5, 0
	v_addc_co_u32_e32 v27, vcc, v3, v23, vcc
	v_lshlrev_b64 v[24:25], 2, v[4:5]
	v_add_co_u32_e32 v3, vcc, v26, v24
	v_addc_co_u32_e32 v5, vcc, v27, v25, vcc
	v_cmp_eq_u32_e32 vcc, 0, v81
	v_cndmask_b32_e64 v26, 1, 2, vcc
	v_cmp_eq_u32_e32 vcc, 0, v79
	v_cndmask_b32_e64 v27, 1, 2, vcc
	v_cmp_eq_u32_e32 vcc, 0, v78
	v_and_b32_e32 v26, v27, v26
	v_cndmask_b32_e64 v27, 1, 2, vcc
	v_cmp_eq_u32_e32 vcc, 0, v77
	v_and_b32_e32 v26, v26, v27
	;; [unrolled: 3-line block ×13, first 2 shown]
	v_cndmask_b32_e64 v27, 1, 2, vcc
	s_movk_i32 s34, 0x100
	v_and_b32_e32 v26, v26, v27
	v_cmp_gt_u32_e32 vcc, s34, v2
	v_cmp_ne_u32_e64 s[30:31], 0, v81
	v_cmp_ne_u32_e64 s[28:29], 0, v79
	;; [unrolled: 1-line block ×15, first 2 shown]
	s_mov_b64 s[40:41], -1
	v_cmp_gt_i16_e64 s[34:35], 2, v26
	s_cbranch_vccz .LBB327_141
; %bb.135:
	s_and_saveexec_b64 s[40:41], s[34:35]
	s_cbranch_execz .LBB327_140
; %bb.136:
	v_cmp_ne_u16_e32 vcc, 1, v26
	s_mov_b64 s[42:43], 0
	s_and_saveexec_b64 s[34:35], vcc
	s_xor_b64 s[34:35], exec, s[34:35]
	s_cbranch_execnz .LBB327_197
; %bb.137:
	s_andn2_saveexec_b64 s[34:35], s[34:35]
	s_cbranch_execnz .LBB327_213
.LBB327_138:
	s_or_b64 exec, exec, s[34:35]
	s_and_b64 exec, exec, s[42:43]
	s_cbranch_execz .LBB327_140
.LBB327_139:
	v_sub_u32_e32 v28, v36, v4
	v_mov_b32_e32 v29, 0
	v_lshlrev_b64 v[28:29], 2, v[28:29]
	v_add_co_u32_e32 v28, vcc, v3, v28
	v_addc_co_u32_e32 v29, vcc, v5, v29, vcc
	global_store_dword v[28:29], v1, off
.LBB327_140:
	s_or_b64 exec, exec, s[40:41]
	s_mov_b64 s[40:41], 0
.LBB327_141:
	s_and_b64 vcc, exec, s[40:41]
	s_cbranch_vccz .LBB327_163
; %bb.142:
	v_cmp_gt_i16_e32 vcc, 2, v26
	s_and_saveexec_b64 s[34:35], vcc
	s_cbranch_execz .LBB327_147
; %bb.143:
	v_cmp_ne_u16_e32 vcc, 1, v26
	s_mov_b64 s[42:43], 0
	s_and_saveexec_b64 s[40:41], vcc
	s_xor_b64 s[40:41], exec, s[40:41]
	s_cbranch_execnz .LBB327_214
; %bb.144:
	s_andn2_saveexec_b64 s[2:3], s[40:41]
	s_cbranch_execnz .LBB327_230
.LBB327_145:
	s_or_b64 exec, exec, s[2:3]
	s_and_b64 exec, exec, s[42:43]
	s_cbranch_execz .LBB327_147
.LBB327_146:
	v_sub_u32_e32 v8, v36, v4
	v_lshlrev_b32_e32 v8, 2, v8
	ds_write_b32 v8, v1
.LBB327_147:
	s_or_b64 exec, exec, s[34:35]
	v_cmp_lt_u32_e32 vcc, v0, v2
	s_waitcnt lgkmcnt(0)
	s_barrier
	s_and_saveexec_b64 s[4:5], vcc
	s_cbranch_execz .LBB327_162
; %bb.148:
	v_xad_u32 v1, v0, -1, v2
	s_movk_i32 s2, 0x1700
	v_cmp_gt_u32_e64 s[6:7], s2, v1
	s_movk_i32 s2, 0x16ff
	v_cmp_lt_u32_e32 vcc, s2, v1
	v_mov_b32_e32 v8, v0
	s_and_saveexec_b64 s[8:9], vcc
	s_cbranch_execz .LBB327_159
; %bb.149:
	v_sub_u32_e32 v8, v0, v2
	v_or_b32_e32 v8, 0xff, v8
	v_cmp_ge_u32_e32 vcc, v8, v0
	s_mov_b64 s[2:3], -1
	v_mov_b32_e32 v8, v0
	s_and_saveexec_b64 s[10:11], vcc
	s_cbranch_execz .LBB327_158
; %bb.150:
	v_lshrrev_b32_e32 v12, 8, v1
	v_add_u32_e32 v8, -1, v12
	v_or_b32_e32 v1, 0x100, v0
	v_lshrrev_b32_e32 v9, 1, v8
	v_add_u32_e32 v13, 1, v9
	v_cmp_lt_u32_e32 vcc, 13, v8
	v_mov_b32_e32 v16, 0
	v_pk_mov_b32 v[8:9], v[0:1], v[0:1] op_sel:[0,1]
	s_and_saveexec_b64 s[12:13], vcc
	s_cbranch_execz .LBB327_154
; %bb.151:
	v_and_b32_e32 v14, -8, v13
	v_lshlrev_b32_e32 v15, 2, v0
	s_mov_b32 s16, 0
	s_mov_b64 s[14:15], 0
	v_mov_b32_e32 v11, 0
	v_pk_mov_b32 v[8:9], v[0:1], v[0:1] op_sel:[0,1]
.LBB327_152:                            ; =>This Inner Loop Header: Depth=1
	v_mov_b32_e32 v10, v8
	v_add_u32_e32 v14, -8, v14
	v_lshlrev_b64 v[96:97], 2, v[10:11]
	v_mov_b32_e32 v10, v9
	ds_read2st64_b32 v[18:19], v15 offset1:4
	s_add_i32 s16, s16, 16
	v_cmp_eq_u32_e32 vcc, 0, v14
	v_lshlrev_b64 v[100:101], 2, v[10:11]
	v_add_u32_e32 v10, 0x200, v8
	s_or_b64 s[14:15], vcc, s[14:15]
	v_add_co_u32_e32 v100, vcc, v3, v100
	v_add_u32_e32 v16, 0x200, v9
	v_mov_b32_e32 v17, v11
	ds_read2st64_b32 v[20:21], v15 offset0:8 offset1:12
	ds_read2st64_b32 v[28:29], v15 offset0:16 offset1:20
	v_add_co_u32_e64 v96, s[2:3], v3, v96
	v_addc_co_u32_e32 v101, vcc, v5, v101, vcc
	v_lshlrev_b64 v[102:103], 2, v[10:11]
	v_lshlrev_b64 v[98:99], 2, v[16:17]
	v_addc_co_u32_e64 v97, s[2:3], v5, v97, s[2:3]
	v_add_u32_e32 v10, 0x400, v8
	v_add_co_u32_e32 v102, vcc, v3, v102
	v_add_u32_e32 v26, 0x400, v9
	v_mov_b32_e32 v27, v11
	ds_read2st64_b32 v[32:33], v15 offset0:24 offset1:28
	v_add_co_u32_e64 v98, s[2:3], v3, v98
	v_addc_co_u32_e32 v103, vcc, v5, v103, vcc
	v_lshlrev_b64 v[104:105], 2, v[10:11]
	ds_read2st64_b32 v[82:83], v15 offset0:32 offset1:36
	ds_read2st64_b32 v[86:87], v15 offset0:40 offset1:44
	;; [unrolled: 1-line block ×4, first 2 shown]
	v_lshlrev_b64 v[26:27], 2, v[26:27]
	v_addc_co_u32_e64 v99, s[2:3], v5, v99, s[2:3]
	v_add_u32_e32 v10, 0x600, v8
	s_waitcnt lgkmcnt(7)
	global_store_dword v[96:97], v18, off
	global_store_dword v[100:101], v19, off
	s_waitcnt lgkmcnt(6)
	global_store_dword v[102:103], v20, off
	global_store_dword v[98:99], v21, off
	v_add_co_u32_e32 v18, vcc, v3, v104
	v_add_u32_e32 v30, 0x600, v9
	v_mov_b32_e32 v31, v11
	v_add_co_u32_e64 v26, s[2:3], v3, v26
	v_addc_co_u32_e32 v19, vcc, v5, v105, vcc
	v_lshlrev_b64 v[20:21], 2, v[10:11]
	v_lshlrev_b64 v[30:31], 2, v[30:31]
	v_addc_co_u32_e64 v27, s[2:3], v5, v27, s[2:3]
	v_add_u32_e32 v10, 0x800, v8
	s_waitcnt lgkmcnt(5)
	global_store_dword v[18:19], v28, off
	global_store_dword v[26:27], v29, off
	v_add_co_u32_e32 v18, vcc, v3, v20
	v_add_u32_e32 v34, 0x800, v9
	v_mov_b32_e32 v35, v11
	v_add_co_u32_e64 v30, s[2:3], v3, v30
	v_addc_co_u32_e32 v19, vcc, v5, v21, vcc
	v_lshlrev_b64 v[20:21], 2, v[10:11]
	v_lshlrev_b64 v[34:35], 2, v[34:35]
	v_addc_co_u32_e64 v31, s[2:3], v5, v31, s[2:3]
	v_add_u32_e32 v10, 0xa00, v8
	;; [unrolled: 12-line block ×4, first 2 shown]
	s_waitcnt lgkmcnt(2)
	global_store_dword v[18:19], v86, off
	global_store_dword v[84:85], v87, off
	v_add_co_u32_e32 v18, vcc, v3, v20
	v_add_u32_e32 v92, 0xe00, v9
	v_mov_b32_e32 v93, v11
	v_add_co_u32_e64 v88, s[2:3], v3, v88
	v_addc_co_u32_e32 v19, vcc, v5, v21, vcc
	v_lshlrev_b64 v[20:21], 2, v[10:11]
	v_lshlrev_b64 v[92:93], 2, v[92:93]
	v_addc_co_u32_e64 v89, s[2:3], v5, v89, s[2:3]
	s_waitcnt lgkmcnt(1)
	global_store_dword v[18:19], v90, off
	global_store_dword v[88:89], v91, off
	v_add_co_u32_e32 v18, vcc, v3, v20
	v_add_u32_e32 v15, 0x4000, v15
	v_add_u32_e32 v9, 0x1000, v9
	v_mov_b32_e32 v16, s16
	v_add_co_u32_e64 v92, s[2:3], v3, v92
	v_add_u32_e32 v8, 0x1000, v8
	v_addc_co_u32_e32 v19, vcc, v5, v21, vcc
	v_addc_co_u32_e64 v93, s[2:3], v5, v93, s[2:3]
	s_waitcnt lgkmcnt(0)
	global_store_dword v[18:19], v94, off
	global_store_dword v[92:93], v95, off
	s_andn2_b64 exec, exec, s[14:15]
	s_cbranch_execnz .LBB327_152
; %bb.153:
	s_or_b64 exec, exec, s[14:15]
.LBB327_154:
	s_or_b64 exec, exec, s[12:13]
	v_and_b32_e32 v1, 7, v13
	v_cmp_ne_u32_e32 vcc, 0, v1
	s_and_saveexec_b64 s[12:13], vcc
	s_cbranch_execz .LBB327_157
; %bb.155:
	v_lshlrev_b32_e32 v10, 2, v0
	v_lshl_or_b32 v13, v16, 10, v10
	s_mov_b64 s[14:15], 0
	v_mov_b32_e32 v11, 0
.LBB327_156:                            ; =>This Inner Loop Header: Depth=1
	ds_read2st64_b32 v[14:15], v13 offset1:4
	v_mov_b32_e32 v10, v8
	v_add_u32_e32 v1, -1, v1
	v_lshlrev_b64 v[16:17], 2, v[10:11]
	v_mov_b32_e32 v10, v9
	v_cmp_eq_u32_e32 vcc, 0, v1
	v_add_co_u32_e64 v16, s[2:3], v3, v16
	v_lshlrev_b64 v[18:19], 2, v[10:11]
	v_add_u32_e32 v8, 0x200, v8
	v_add_u32_e32 v13, 0x800, v13
	;; [unrolled: 1-line block ×3, first 2 shown]
	v_addc_co_u32_e64 v17, s[2:3], v5, v17, s[2:3]
	s_or_b64 s[14:15], vcc, s[14:15]
	v_add_co_u32_e32 v18, vcc, v3, v18
	v_addc_co_u32_e32 v19, vcc, v5, v19, vcc
	s_waitcnt lgkmcnt(0)
	global_store_dword v[16:17], v14, off
	global_store_dword v[18:19], v15, off
	s_andn2_b64 exec, exec, s[14:15]
	s_cbranch_execnz .LBB327_156
.LBB327_157:
	s_or_b64 exec, exec, s[12:13]
	v_add_u32_e32 v1, 1, v12
	v_and_b32_e32 v9, 0x1fffffe, v1
	v_cmp_ne_u32_e32 vcc, v1, v9
	v_lshl_or_b32 v8, v9, 8, v0
	s_orn2_b64 s[2:3], vcc, exec
.LBB327_158:
	s_or_b64 exec, exec, s[10:11]
	s_andn2_b64 s[6:7], s[6:7], exec
	s_and_b64 s[2:3], s[2:3], exec
	s_or_b64 s[6:7], s[6:7], s[2:3]
.LBB327_159:
	s_or_b64 exec, exec, s[8:9]
	s_and_b64 exec, exec, s[6:7]
	s_cbranch_execz .LBB327_162
; %bb.160:
	v_lshlrev_b32_e32 v1, 2, v8
	s_mov_b64 s[2:3], 0
	v_mov_b32_e32 v9, 0
.LBB327_161:                            ; =>This Inner Loop Header: Depth=1
	v_lshlrev_b64 v[10:11], 2, v[8:9]
	ds_read_b32 v12, v1
	v_add_co_u32_e32 v10, vcc, v3, v10
	v_add_u32_e32 v8, 0x100, v8
	v_addc_co_u32_e32 v11, vcc, v5, v11, vcc
	v_cmp_ge_u32_e32 vcc, v8, v2
	v_add_u32_e32 v1, 0x400, v1
	s_or_b64 s[2:3], vcc, s[2:3]
	s_waitcnt lgkmcnt(0)
	global_store_dword v[10:11], v12, off
	s_andn2_b64 exec, exec, s[2:3]
	s_cbranch_execnz .LBB327_161
.LBB327_162:
	s_or_b64 exec, exec, s[4:5]
.LBB327_163:
	s_cmpk_lg_i32 s33, 0xf00
	s_cselect_b64 s[2:3], -1, 0
	s_and_b64 s[0:1], s[0:1], s[38:39]
	v_cndmask_b32_e64 v5, v81, 0, s[0:1]
	s_mul_hi_u32 s0, s33, 0x88888889
	s_lshr_b32 s0, s0, 3
	v_mad_i32_i24 v9, v0, -15, s33
	v_cmp_eq_u32_e32 vcc, s0, v0
	v_cmp_ne_u32_e64 s[0:1], 0, v9
	v_cndmask_b32_e64 v10, 1, v5, s[0:1]
	v_cmp_ne_u32_e64 s[0:1], 1, v9
	v_cndmask_b32_e64 v11, 1, v79, s[0:1]
	;; [unrolled: 2-line block ×15, first 2 shown]
	s_and_b64 vcc, vcc, s[36:37]
	v_cndmask_b32_e32 v28, v66, v9, vcc
	v_cndmask_b32_e32 v27, v67, v27, vcc
	;; [unrolled: 1-line block ×15, first 2 shown]
	v_mov_b32_e32 v5, s53
	v_add_co_u32_e32 v9, vcc, s52, v22
	v_addc_co_u32_e32 v12, vcc, v5, v23, vcc
	v_cndmask_b32_e64 v1, 0, 1, s[38:39]
	v_add_co_u32_e32 v5, vcc, v9, v24
	v_addc_co_u32_e32 v12, vcc, v12, v25, vcc
	v_lshlrev_b32_e32 v9, 2, v1
	v_add_co_u32_e32 v9, vcc, v9, v5
	v_addc_co_u32_e32 v14, vcc, 0, v12, vcc
	v_add_co_u32_e32 v13, vcc, -4, v9
	v_addc_co_u32_e32 v14, vcc, -1, v14, vcc
	v_cmp_eq_u32_e32 vcc, 0, v10
	v_cmp_ne_u32_e64 s[28:29], 0, v10
	v_cndmask_b32_e64 v10, 1, 2, vcc
	v_cmp_eq_u32_e32 vcc, 0, v11
	v_cmp_ne_u32_e64 s[26:27], 0, v11
	v_cndmask_b32_e64 v11, 1, 2, vcc
	v_cmp_eq_u32_e32 vcc, 0, v31
	v_and_b32_e32 v10, v11, v10
	v_cndmask_b32_e64 v11, 1, 2, vcc
	v_cmp_eq_u32_e32 vcc, 0, v30
	v_and_b32_e32 v10, v10, v11
	;; [unrolled: 3-line block ×10, first 2 shown]
	v_cndmask_b32_e64 v11, 1, 2, vcc
	v_cmp_eq_u32_e32 vcc, 0, v26
	s_and_b64 s[2:3], s[2:3], s[36:37]
	v_and_b32_e32 v10, v10, v11
	v_cndmask_b32_e64 v11, 1, 2, vcc
	v_cmp_eq_u32_e32 vcc, 0, v27
	v_sub_u32_e32 v3, v2, v1
	v_cndmask_b32_e64 v8, 0, 1, s[2:3]
	v_and_b32_e32 v10, v10, v11
	v_cndmask_b32_e64 v11, 1, 2, vcc
	v_cmp_eq_u32_e32 vcc, 0, v28
	v_add_u32_e32 v3, v3, v8
	v_and_b32_e32 v10, v10, v11
	v_cndmask_b32_e64 v11, 1, 2, vcc
	s_movk_i32 s30, 0x100
	v_and_b32_e32 v10, v10, v11
	v_cmp_gt_u32_e32 vcc, s30, v3
	v_add_u32_e32 v9, v4, v1
	v_cmp_ne_u32_e64 s[24:25], 0, v31
	v_cmp_ne_u32_e64 s[22:23], 0, v30
	;; [unrolled: 1-line block ×13, first 2 shown]
	s_mov_b64 s[34:35], -1
	v_cmp_gt_i16_e64 s[30:31], 2, v10
	s_barrier
	s_cbranch_vccz .LBB327_170
; %bb.164:
	s_and_saveexec_b64 s[34:35], s[30:31]
	s_cbranch_execz .LBB327_169
; %bb.165:
	v_cmp_ne_u16_e32 vcc, 1, v10
	s_mov_b64 s[38:39], 0
	s_and_saveexec_b64 s[30:31], vcc
	s_xor_b64 s[30:31], exec, s[30:31]
	s_cbranch_execnz .LBB327_231
; %bb.166:
	s_andn2_saveexec_b64 s[30:31], s[30:31]
	s_cbranch_execnz .LBB327_247
.LBB327_167:
	s_or_b64 exec, exec, s[30:31]
	s_and_b64 exec, exec, s[38:39]
	s_cbranch_execz .LBB327_169
.LBB327_168:
	v_sub_u32_e32 v16, v36, v9
	v_mov_b32_e32 v17, 0
	v_lshlrev_b64 v[16:17], 2, v[16:17]
	v_add_co_u32_e32 v16, vcc, v13, v16
	v_addc_co_u32_e32 v17, vcc, v14, v17, vcc
	global_store_dword v[16:17], v37, off
.LBB327_169:
	s_or_b64 exec, exec, s[34:35]
	s_mov_b64 s[34:35], 0
.LBB327_170:
	s_and_b64 vcc, exec, s[34:35]
	s_cbranch_vccz .LBB327_192
; %bb.171:
	v_cmp_gt_i16_e32 vcc, 2, v10
	s_and_saveexec_b64 s[30:31], vcc
	s_cbranch_execz .LBB327_176
; %bb.172:
	v_cmp_ne_u16_e32 vcc, 1, v10
	s_mov_b64 s[38:39], 0
	s_and_saveexec_b64 s[34:35], vcc
	s_xor_b64 s[34:35], exec, s[34:35]
	s_cbranch_execnz .LBB327_248
; %bb.173:
	s_andn2_saveexec_b64 s[0:1], s[34:35]
	s_cbranch_execnz .LBB327_264
.LBB327_174:
	s_or_b64 exec, exec, s[0:1]
	s_and_b64 exec, exec, s[38:39]
	s_cbranch_execz .LBB327_176
.LBB327_175:
	v_sub_u32_e32 v9, v36, v9
	v_lshlrev_b32_e32 v9, 2, v9
	ds_write_b32 v9, v37
.LBB327_176:
	s_or_b64 exec, exec, s[30:31]
	v_cmp_lt_u32_e32 vcc, v0, v3
	s_waitcnt lgkmcnt(0)
	s_barrier
	s_and_saveexec_b64 s[2:3], vcc
	s_cbranch_execz .LBB327_191
; %bb.177:
	v_add_u32_e32 v10, v2, v8
	v_xad_u32 v8, v0, -1, v10
	v_sub_u32_e32 v9, v8, v1
	s_movk_i32 s0, 0x1900
	v_cmp_gt_u32_e64 s[4:5], s0, v9
	s_movk_i32 s0, 0x18ff
	v_cmp_lt_u32_e32 vcc, s0, v9
	v_mov_b32_e32 v8, v0
	s_and_saveexec_b64 s[6:7], vcc
	s_cbranch_execz .LBB327_188
; %bb.178:
	v_sub_u32_e32 v8, v0, v10
	v_add_u32_e32 v1, v8, v1
	v_or_b32_e32 v1, 0xff, v1
	v_cmp_ge_u32_e32 vcc, v1, v0
	s_mov_b64 s[0:1], -1
	v_mov_b32_e32 v8, v0
	s_and_saveexec_b64 s[8:9], vcc
	s_cbranch_execz .LBB327_187
; %bb.179:
	v_lshrrev_b32_e32 v15, 8, v9
	v_add_u32_e32 v8, -1, v15
	v_or_b32_e32 v1, 0x100, v0
	v_lshrrev_b32_e32 v9, 1, v8
	v_add_u32_e32 v17, 1, v9
	v_cmp_lt_u32_e32 vcc, 13, v8
	v_mov_b32_e32 v20, 0
	v_lshlrev_b32_e32 v16, 2, v0
	v_pk_mov_b32 v[8:9], v[0:1], v[0:1] op_sel:[0,1]
	s_and_saveexec_b64 s[10:11], vcc
	s_cbranch_execz .LBB327_183
; %bb.180:
	v_and_b32_e32 v18, -8, v17
	s_mov_b32 s14, 0
	s_mov_b64 s[12:13], 0
	v_mov_b32_e32 v11, 0
	v_mov_b32_e32 v19, v16
	v_pk_mov_b32 v[8:9], v[0:1], v[0:1] op_sel:[0,1]
.LBB327_181:                            ; =>This Inner Loop Header: Depth=1
	v_mov_b32_e32 v10, v8
	v_add_u32_e32 v18, -8, v18
	v_lshlrev_b64 v[50:51], 2, v[10:11]
	v_mov_b32_e32 v10, v9
	ds_read2st64_b32 v[22:23], v19 offset1:4
	s_add_i32 s14, s14, 16
	v_cmp_eq_u32_e32 vcc, 0, v18
	v_lshlrev_b64 v[54:55], 2, v[10:11]
	v_add_u32_e32 v10, 0x200, v8
	s_or_b64 s[12:13], vcc, s[12:13]
	v_add_co_u32_e32 v54, vcc, v13, v54
	v_add_u32_e32 v20, 0x200, v9
	v_mov_b32_e32 v21, v11
	ds_read2st64_b32 v[24:25], v19 offset0:8 offset1:12
	ds_read2st64_b32 v[28:29], v19 offset0:16 offset1:20
	v_add_co_u32_e64 v50, s[0:1], v13, v50
	v_addc_co_u32_e32 v55, vcc, v14, v55, vcc
	v_lshlrev_b64 v[56:57], 2, v[10:11]
	v_lshlrev_b64 v[52:53], 2, v[20:21]
	v_addc_co_u32_e64 v51, s[0:1], v14, v51, s[0:1]
	v_add_u32_e32 v10, 0x400, v8
	v_add_co_u32_e32 v56, vcc, v13, v56
	v_add_u32_e32 v26, 0x400, v9
	v_mov_b32_e32 v27, v11
	ds_read2st64_b32 v[32:33], v19 offset0:24 offset1:28
	v_add_co_u32_e64 v52, s[0:1], v13, v52
	v_addc_co_u32_e32 v57, vcc, v14, v57, vcc
	v_lshlrev_b64 v[58:59], 2, v[10:11]
	ds_read2st64_b32 v[36:37], v19 offset0:32 offset1:36
	ds_read2st64_b32 v[40:41], v19 offset0:40 offset1:44
	;; [unrolled: 1-line block ×4, first 2 shown]
	v_lshlrev_b64 v[26:27], 2, v[26:27]
	v_addc_co_u32_e64 v53, s[0:1], v14, v53, s[0:1]
	v_add_u32_e32 v10, 0x600, v8
	s_waitcnt lgkmcnt(7)
	global_store_dword v[50:51], v22, off
	global_store_dword v[54:55], v23, off
	s_waitcnt lgkmcnt(6)
	global_store_dword v[56:57], v24, off
	global_store_dword v[52:53], v25, off
	v_add_co_u32_e32 v22, vcc, v13, v58
	v_add_u32_e32 v30, 0x600, v9
	v_mov_b32_e32 v31, v11
	v_add_co_u32_e64 v26, s[0:1], v13, v26
	v_addc_co_u32_e32 v23, vcc, v14, v59, vcc
	v_lshlrev_b64 v[24:25], 2, v[10:11]
	v_lshlrev_b64 v[30:31], 2, v[30:31]
	v_addc_co_u32_e64 v27, s[0:1], v14, v27, s[0:1]
	v_add_u32_e32 v10, 0x800, v8
	s_waitcnt lgkmcnt(5)
	global_store_dword v[22:23], v28, off
	global_store_dword v[26:27], v29, off
	v_add_co_u32_e32 v22, vcc, v13, v24
	v_add_u32_e32 v34, 0x800, v9
	v_mov_b32_e32 v35, v11
	v_add_co_u32_e64 v30, s[0:1], v13, v30
	v_addc_co_u32_e32 v23, vcc, v14, v25, vcc
	v_lshlrev_b64 v[24:25], 2, v[10:11]
	v_lshlrev_b64 v[34:35], 2, v[34:35]
	v_addc_co_u32_e64 v31, s[0:1], v14, v31, s[0:1]
	v_add_u32_e32 v10, 0xa00, v8
	;; [unrolled: 12-line block ×4, first 2 shown]
	s_waitcnt lgkmcnt(2)
	global_store_dword v[22:23], v40, off
	global_store_dword v[38:39], v41, off
	v_add_co_u32_e32 v22, vcc, v13, v24
	v_add_u32_e32 v46, 0xe00, v9
	v_mov_b32_e32 v47, v11
	v_add_co_u32_e64 v42, s[0:1], v13, v42
	v_addc_co_u32_e32 v23, vcc, v14, v25, vcc
	v_lshlrev_b64 v[24:25], 2, v[10:11]
	v_lshlrev_b64 v[46:47], 2, v[46:47]
	v_addc_co_u32_e64 v43, s[0:1], v14, v43, s[0:1]
	s_waitcnt lgkmcnt(1)
	global_store_dword v[22:23], v44, off
	global_store_dword v[42:43], v45, off
	v_add_co_u32_e32 v22, vcc, v13, v24
	v_add_u32_e32 v19, 0x4000, v19
	v_add_u32_e32 v9, 0x1000, v9
	v_mov_b32_e32 v20, s14
	v_add_co_u32_e64 v46, s[0:1], v13, v46
	v_add_u32_e32 v8, 0x1000, v8
	v_addc_co_u32_e32 v23, vcc, v14, v25, vcc
	v_addc_co_u32_e64 v47, s[0:1], v14, v47, s[0:1]
	s_waitcnt lgkmcnt(0)
	global_store_dword v[22:23], v48, off
	global_store_dword v[46:47], v49, off
	s_andn2_b64 exec, exec, s[12:13]
	s_cbranch_execnz .LBB327_181
; %bb.182:
	s_or_b64 exec, exec, s[12:13]
.LBB327_183:
	s_or_b64 exec, exec, s[10:11]
	v_and_b32_e32 v1, 7, v17
	v_cmp_ne_u32_e32 vcc, 0, v1
	s_and_saveexec_b64 s[10:11], vcc
	s_cbranch_execz .LBB327_186
; %bb.184:
	v_lshl_or_b32 v16, v20, 10, v16
	s_mov_b64 s[12:13], 0
	v_mov_b32_e32 v11, 0
.LBB327_185:                            ; =>This Inner Loop Header: Depth=1
	ds_read2st64_b32 v[18:19], v16 offset1:4
	v_mov_b32_e32 v10, v8
	v_add_u32_e32 v1, -1, v1
	v_lshlrev_b64 v[20:21], 2, v[10:11]
	v_mov_b32_e32 v10, v9
	v_cmp_eq_u32_e32 vcc, 0, v1
	v_add_co_u32_e64 v20, s[0:1], v13, v20
	v_lshlrev_b64 v[22:23], 2, v[10:11]
	v_add_u32_e32 v8, 0x200, v8
	v_add_u32_e32 v16, 0x800, v16
	;; [unrolled: 1-line block ×3, first 2 shown]
	v_addc_co_u32_e64 v21, s[0:1], v14, v21, s[0:1]
	s_or_b64 s[12:13], vcc, s[12:13]
	v_add_co_u32_e32 v22, vcc, v13, v22
	v_addc_co_u32_e32 v23, vcc, v14, v23, vcc
	s_waitcnt lgkmcnt(0)
	global_store_dword v[20:21], v18, off
	global_store_dword v[22:23], v19, off
	s_andn2_b64 exec, exec, s[12:13]
	s_cbranch_execnz .LBB327_185
.LBB327_186:
	s_or_b64 exec, exec, s[10:11]
	v_add_u32_e32 v1, 1, v15
	v_and_b32_e32 v9, 0x1fffffe, v1
	v_cmp_ne_u32_e32 vcc, v1, v9
	v_lshl_or_b32 v8, v9, 8, v0
	s_orn2_b64 s[0:1], vcc, exec
.LBB327_187:
	s_or_b64 exec, exec, s[8:9]
	s_andn2_b64 s[4:5], s[4:5], exec
	s_and_b64 s[0:1], s[0:1], exec
	s_or_b64 s[4:5], s[4:5], s[0:1]
.LBB327_188:
	s_or_b64 exec, exec, s[6:7]
	s_and_b64 exec, exec, s[4:5]
	s_cbranch_execz .LBB327_191
; %bb.189:
	v_lshlrev_b32_e32 v1, 2, v8
	s_mov_b64 s[0:1], 0
	v_mov_b32_e32 v9, 0
.LBB327_190:                            ; =>This Inner Loop Header: Depth=1
	v_lshlrev_b64 v[10:11], 2, v[8:9]
	ds_read_b32 v15, v1
	v_add_co_u32_e32 v10, vcc, v13, v10
	v_add_u32_e32 v8, 0x100, v8
	v_addc_co_u32_e32 v11, vcc, v14, v11, vcc
	v_cmp_ge_u32_e32 vcc, v8, v3
	v_add_u32_e32 v1, 0x400, v1
	s_or_b64 s[0:1], vcc, s[0:1]
	s_waitcnt lgkmcnt(0)
	global_store_dword v[10:11], v15, off
	s_andn2_b64 exec, exec, s[0:1]
	s_cbranch_execnz .LBB327_190
.LBB327_191:
	s_or_b64 exec, exec, s[2:3]
.LBB327_192:
	s_movk_i32 s0, 0xff
	v_cmp_eq_u32_e32 vcc, s0, v0
	s_and_b64 s[0:1], vcc, s[36:37]
	s_and_saveexec_b64 s[2:3], s[0:1]
	s_cbranch_execz .LBB327_195
; %bb.193:
	v_add_co_u32_e32 v0, vcc, v2, v4
	v_addc_co_u32_e64 v1, s[0:1], 0, 0, vcc
	v_add_co_u32_e32 v0, vcc, v0, v6
	v_mov_b32_e32 v3, 0
	v_addc_co_u32_e32 v1, vcc, v1, v7, vcc
	s_cmpk_lg_i32 s33, 0xf00
	global_store_dwordx2 v3, v[0:1], s[54:55]
	s_cbranch_scc1 .LBB327_195
; %bb.194:
	v_lshlrev_b64 v[0:1], 2, v[2:3]
	v_add_co_u32_e32 v0, vcc, v5, v0
	v_addc_co_u32_e32 v1, vcc, v12, v1, vcc
	global_store_dword v[0:1], v80, off offset:-4
.LBB327_195:
	s_endpgm
.LBB327_196:
	s_or_b64 exec, exec, s[8:9]
	v_mov_b32_e32 v81, s12
	s_and_saveexec_b64 s[2:3], s[6:7]
	s_cbranch_execnz .LBB327_88
	s_branch .LBB327_89
.LBB327_197:
	s_and_saveexec_b64 s[42:43], s[30:31]
	s_cbranch_execnz .LBB327_265
; %bb.198:
	s_or_b64 exec, exec, s[42:43]
	s_and_saveexec_b64 s[42:43], s[28:29]
	s_cbranch_execnz .LBB327_266
.LBB327_199:
	s_or_b64 exec, exec, s[42:43]
	s_and_saveexec_b64 s[42:43], s[26:27]
	s_cbranch_execnz .LBB327_267
.LBB327_200:
	s_or_b64 exec, exec, s[42:43]
	s_and_saveexec_b64 s[42:43], s[24:25]
	s_cbranch_execnz .LBB327_268
.LBB327_201:
	s_or_b64 exec, exec, s[42:43]
	s_and_saveexec_b64 s[42:43], s[22:23]
	s_cbranch_execnz .LBB327_269
.LBB327_202:
	s_or_b64 exec, exec, s[42:43]
	s_and_saveexec_b64 s[42:43], s[20:21]
	s_cbranch_execnz .LBB327_270
.LBB327_203:
	s_or_b64 exec, exec, s[42:43]
	s_and_saveexec_b64 s[42:43], s[18:19]
	s_cbranch_execnz .LBB327_271
.LBB327_204:
	s_or_b64 exec, exec, s[42:43]
	s_and_saveexec_b64 s[42:43], s[16:17]
	s_cbranch_execnz .LBB327_272
.LBB327_205:
	s_or_b64 exec, exec, s[42:43]
	s_and_saveexec_b64 s[42:43], s[14:15]
	s_cbranch_execnz .LBB327_273
.LBB327_206:
	s_or_b64 exec, exec, s[42:43]
	s_and_saveexec_b64 s[42:43], s[12:13]
	s_cbranch_execnz .LBB327_274
.LBB327_207:
	s_or_b64 exec, exec, s[42:43]
	s_and_saveexec_b64 s[42:43], s[10:11]
	s_cbranch_execnz .LBB327_275
.LBB327_208:
	s_or_b64 exec, exec, s[42:43]
	s_and_saveexec_b64 s[42:43], s[8:9]
	s_cbranch_execnz .LBB327_276
.LBB327_209:
	s_or_b64 exec, exec, s[42:43]
	s_and_saveexec_b64 s[42:43], s[6:7]
	s_cbranch_execnz .LBB327_277
.LBB327_210:
	s_or_b64 exec, exec, s[42:43]
	s_and_saveexec_b64 s[42:43], s[4:5]
	s_cbranch_execz .LBB327_212
.LBB327_211:
	v_sub_u32_e32 v28, v38, v4
	v_mov_b32_e32 v29, 0
	v_lshlrev_b64 v[28:29], 2, v[28:29]
	v_add_co_u32_e32 v28, vcc, v3, v28
	v_addc_co_u32_e32 v29, vcc, v5, v29, vcc
	global_store_dword v[28:29], v9, off
.LBB327_212:
	s_or_b64 exec, exec, s[42:43]
	s_and_b64 s[42:43], s[2:3], exec
	s_andn2_saveexec_b64 s[34:35], s[34:35]
	s_cbranch_execz .LBB327_138
.LBB327_213:
	v_sub_u32_e32 v28, v64, v4
	v_mov_b32_e32 v29, 0
	v_lshlrev_b64 v[30:31], 2, v[28:29]
	v_add_co_u32_e32 v30, vcc, v3, v30
	v_addc_co_u32_e32 v31, vcc, v5, v31, vcc
	v_sub_u32_e32 v28, v62, v4
	global_store_dword v[30:31], v20, off
	v_lshlrev_b64 v[30:31], 2, v[28:29]
	v_add_co_u32_e32 v30, vcc, v3, v30
	v_addc_co_u32_e32 v31, vcc, v5, v31, vcc
	v_sub_u32_e32 v28, v60, v4
	global_store_dword v[30:31], v21, off
	;; [unrolled: 5-line block ×12, first 2 shown]
	v_lshlrev_b64 v[30:31], 2, v[28:29]
	v_add_co_u32_e32 v30, vcc, v3, v30
	v_sub_u32_e32 v28, v38, v4
	v_addc_co_u32_e32 v31, vcc, v5, v31, vcc
	v_lshlrev_b64 v[28:29], 2, v[28:29]
	v_add_co_u32_e32 v28, vcc, v3, v28
	v_addc_co_u32_e32 v29, vcc, v5, v29, vcc
	s_or_b64 s[42:43], s[42:43], exec
	global_store_dword v[30:31], v8, off
	global_store_dword v[28:29], v9, off
	s_or_b64 exec, exec, s[34:35]
	s_and_b64 exec, exec, s[42:43]
	s_cbranch_execnz .LBB327_139
	s_branch .LBB327_140
.LBB327_214:
	s_and_saveexec_b64 s[42:43], s[30:31]
	s_cbranch_execnz .LBB327_278
; %bb.215:
	s_or_b64 exec, exec, s[42:43]
	s_and_saveexec_b64 s[30:31], s[28:29]
	s_cbranch_execnz .LBB327_279
.LBB327_216:
	s_or_b64 exec, exec, s[30:31]
	s_and_saveexec_b64 s[28:29], s[26:27]
	s_cbranch_execnz .LBB327_280
.LBB327_217:
	s_or_b64 exec, exec, s[28:29]
	s_and_saveexec_b64 s[26:27], s[24:25]
	s_cbranch_execnz .LBB327_281
.LBB327_218:
	s_or_b64 exec, exec, s[26:27]
	s_and_saveexec_b64 s[24:25], s[22:23]
	s_cbranch_execnz .LBB327_282
.LBB327_219:
	s_or_b64 exec, exec, s[24:25]
	s_and_saveexec_b64 s[22:23], s[20:21]
	s_cbranch_execnz .LBB327_283
.LBB327_220:
	s_or_b64 exec, exec, s[22:23]
	s_and_saveexec_b64 s[20:21], s[18:19]
	s_cbranch_execnz .LBB327_284
.LBB327_221:
	s_or_b64 exec, exec, s[20:21]
	s_and_saveexec_b64 s[18:19], s[16:17]
	s_cbranch_execnz .LBB327_285
.LBB327_222:
	s_or_b64 exec, exec, s[18:19]
	s_and_saveexec_b64 s[16:17], s[14:15]
	s_cbranch_execnz .LBB327_286
.LBB327_223:
	s_or_b64 exec, exec, s[16:17]
	s_and_saveexec_b64 s[14:15], s[12:13]
	s_cbranch_execnz .LBB327_287
.LBB327_224:
	s_or_b64 exec, exec, s[14:15]
	s_and_saveexec_b64 s[12:13], s[10:11]
	s_cbranch_execnz .LBB327_288
.LBB327_225:
	s_or_b64 exec, exec, s[12:13]
	s_and_saveexec_b64 s[10:11], s[8:9]
	s_cbranch_execnz .LBB327_289
.LBB327_226:
	s_or_b64 exec, exec, s[10:11]
	s_and_saveexec_b64 s[8:9], s[6:7]
	s_cbranch_execnz .LBB327_290
.LBB327_227:
	s_or_b64 exec, exec, s[8:9]
	s_and_saveexec_b64 s[6:7], s[4:5]
	s_cbranch_execz .LBB327_229
.LBB327_228:
	v_sub_u32_e32 v8, v38, v4
	v_lshlrev_b32_e32 v8, 2, v8
	ds_write_b32 v8, v9
.LBB327_229:
	s_or_b64 exec, exec, s[6:7]
	s_and_b64 s[42:43], s[2:3], exec
                                        ; implicit-def: $vgpr8
                                        ; implicit-def: $vgpr10
                                        ; implicit-def: $vgpr12
                                        ; implicit-def: $vgpr14
                                        ; implicit-def: $vgpr16
                                        ; implicit-def: $vgpr18
                                        ; implicit-def: $vgpr20
	s_andn2_saveexec_b64 s[2:3], s[40:41]
	s_cbranch_execz .LBB327_145
.LBB327_230:
	v_sub_u32_e32 v26, v64, v4
	v_lshlrev_b32_e32 v26, 2, v26
	ds_write_b32 v26, v20
	v_sub_u32_e32 v20, v62, v4
	v_lshlrev_b32_e32 v20, 2, v20
	ds_write_b32 v20, v21
	v_sub_u32_e32 v20, v60, v4
	v_lshlrev_b32_e32 v20, 2, v20
	ds_write_b32 v20, v18
	v_sub_u32_e32 v18, v58, v4
	v_lshlrev_b32_e32 v18, 2, v18
	ds_write_b32 v18, v19
	v_sub_u32_e32 v18, v56, v4
	v_lshlrev_b32_e32 v18, 2, v18
	ds_write_b32 v18, v16
	v_sub_u32_e32 v16, v54, v4
	v_lshlrev_b32_e32 v16, 2, v16
	ds_write_b32 v16, v17
	v_sub_u32_e32 v16, v52, v4
	v_lshlrev_b32_e32 v16, 2, v16
	ds_write_b32 v16, v14
	v_sub_u32_e32 v14, v50, v4
	v_lshlrev_b32_e32 v14, 2, v14
	ds_write_b32 v14, v15
	v_sub_u32_e32 v14, v48, v4
	v_lshlrev_b32_e32 v14, 2, v14
	ds_write_b32 v14, v12
	v_sub_u32_e32 v12, v46, v4
	v_lshlrev_b32_e32 v12, 2, v12
	ds_write_b32 v12, v13
	v_sub_u32_e32 v12, v44, v4
	v_lshlrev_b32_e32 v12, 2, v12
	ds_write_b32 v12, v10
	v_sub_u32_e32 v10, v42, v4
	v_lshlrev_b32_e32 v10, 2, v10
	ds_write_b32 v10, v11
	v_sub_u32_e32 v10, v40, v4
	v_lshlrev_b32_e32 v10, 2, v10
	ds_write_b32 v10, v8
	v_sub_u32_e32 v8, v38, v4
	v_lshlrev_b32_e32 v8, 2, v8
	s_or_b64 s[42:43], s[42:43], exec
	ds_write_b32 v8, v9
	s_or_b64 exec, exec, s[2:3]
	s_and_b64 exec, exec, s[42:43]
	s_cbranch_execnz .LBB327_146
	s_branch .LBB327_147
.LBB327_231:
	s_and_saveexec_b64 s[38:39], s[28:29]
	s_cbranch_execnz .LBB327_291
; %bb.232:
	s_or_b64 exec, exec, s[38:39]
	s_and_saveexec_b64 s[38:39], s[26:27]
	s_cbranch_execnz .LBB327_292
.LBB327_233:
	s_or_b64 exec, exec, s[38:39]
	s_and_saveexec_b64 s[38:39], s[24:25]
	s_cbranch_execnz .LBB327_293
.LBB327_234:
	s_or_b64 exec, exec, s[38:39]
	s_and_saveexec_b64 s[38:39], s[22:23]
	s_cbranch_execnz .LBB327_294
.LBB327_235:
	s_or_b64 exec, exec, s[38:39]
	s_and_saveexec_b64 s[38:39], s[20:21]
	s_cbranch_execnz .LBB327_295
.LBB327_236:
	s_or_b64 exec, exec, s[38:39]
	s_and_saveexec_b64 s[38:39], s[18:19]
	s_cbranch_execnz .LBB327_296
.LBB327_237:
	s_or_b64 exec, exec, s[38:39]
	s_and_saveexec_b64 s[38:39], s[16:17]
	s_cbranch_execnz .LBB327_297
.LBB327_238:
	s_or_b64 exec, exec, s[38:39]
	s_and_saveexec_b64 s[38:39], s[14:15]
	s_cbranch_execnz .LBB327_298
.LBB327_239:
	s_or_b64 exec, exec, s[38:39]
	s_and_saveexec_b64 s[38:39], s[12:13]
	s_cbranch_execnz .LBB327_299
.LBB327_240:
	s_or_b64 exec, exec, s[38:39]
	s_and_saveexec_b64 s[38:39], s[10:11]
	s_cbranch_execnz .LBB327_300
.LBB327_241:
	s_or_b64 exec, exec, s[38:39]
	s_and_saveexec_b64 s[38:39], s[8:9]
	s_cbranch_execnz .LBB327_301
.LBB327_242:
	s_or_b64 exec, exec, s[38:39]
	s_and_saveexec_b64 s[38:39], s[6:7]
	s_cbranch_execnz .LBB327_302
.LBB327_243:
	s_or_b64 exec, exec, s[38:39]
	s_and_saveexec_b64 s[38:39], s[4:5]
	s_cbranch_execnz .LBB327_303
.LBB327_244:
	s_or_b64 exec, exec, s[38:39]
	s_and_saveexec_b64 s[38:39], s[2:3]
	s_cbranch_execz .LBB327_246
.LBB327_245:
	v_sub_u32_e32 v16, v38, v9
	v_mov_b32_e32 v17, 0
	v_lshlrev_b64 v[16:17], 2, v[16:17]
	v_add_co_u32_e32 v16, vcc, v13, v16
	v_addc_co_u32_e32 v17, vcc, v14, v17, vcc
	global_store_dword v[16:17], v39, off
.LBB327_246:
	s_or_b64 exec, exec, s[38:39]
	s_and_b64 s[38:39], s[0:1], exec
	s_andn2_saveexec_b64 s[30:31], s[30:31]
	s_cbranch_execz .LBB327_167
.LBB327_247:
	v_sub_u32_e32 v16, v64, v9
	v_mov_b32_e32 v17, 0
	v_lshlrev_b64 v[18:19], 2, v[16:17]
	v_add_co_u32_e32 v18, vcc, v13, v18
	v_addc_co_u32_e32 v19, vcc, v14, v19, vcc
	v_sub_u32_e32 v16, v62, v9
	global_store_dword v[18:19], v65, off
	v_lshlrev_b64 v[18:19], 2, v[16:17]
	v_add_co_u32_e32 v18, vcc, v13, v18
	v_addc_co_u32_e32 v19, vcc, v14, v19, vcc
	v_sub_u32_e32 v16, v60, v9
	global_store_dword v[18:19], v63, off
	;; [unrolled: 5-line block ×12, first 2 shown]
	v_lshlrev_b64 v[18:19], 2, v[16:17]
	v_add_co_u32_e32 v18, vcc, v13, v18
	v_sub_u32_e32 v16, v38, v9
	v_addc_co_u32_e32 v19, vcc, v14, v19, vcc
	v_lshlrev_b64 v[16:17], 2, v[16:17]
	v_add_co_u32_e32 v16, vcc, v13, v16
	v_addc_co_u32_e32 v17, vcc, v14, v17, vcc
	s_or_b64 s[38:39], s[38:39], exec
	global_store_dword v[18:19], v41, off
	global_store_dword v[16:17], v39, off
	s_or_b64 exec, exec, s[30:31]
	s_and_b64 exec, exec, s[38:39]
	s_cbranch_execnz .LBB327_168
	s_branch .LBB327_169
.LBB327_248:
	s_and_saveexec_b64 s[38:39], s[28:29]
	s_cbranch_execnz .LBB327_304
; %bb.249:
	s_or_b64 exec, exec, s[38:39]
	s_and_saveexec_b64 s[28:29], s[26:27]
	s_cbranch_execnz .LBB327_305
.LBB327_250:
	s_or_b64 exec, exec, s[28:29]
	s_and_saveexec_b64 s[26:27], s[24:25]
	s_cbranch_execnz .LBB327_306
.LBB327_251:
	s_or_b64 exec, exec, s[26:27]
	s_and_saveexec_b64 s[24:25], s[22:23]
	s_cbranch_execnz .LBB327_307
.LBB327_252:
	s_or_b64 exec, exec, s[24:25]
	s_and_saveexec_b64 s[22:23], s[20:21]
	s_cbranch_execnz .LBB327_308
.LBB327_253:
	s_or_b64 exec, exec, s[22:23]
	s_and_saveexec_b64 s[20:21], s[18:19]
	s_cbranch_execnz .LBB327_309
.LBB327_254:
	s_or_b64 exec, exec, s[20:21]
	s_and_saveexec_b64 s[18:19], s[16:17]
	s_cbranch_execnz .LBB327_310
.LBB327_255:
	s_or_b64 exec, exec, s[18:19]
	s_and_saveexec_b64 s[16:17], s[14:15]
	s_cbranch_execnz .LBB327_311
.LBB327_256:
	s_or_b64 exec, exec, s[16:17]
	s_and_saveexec_b64 s[14:15], s[12:13]
	s_cbranch_execnz .LBB327_312
.LBB327_257:
	s_or_b64 exec, exec, s[14:15]
	s_and_saveexec_b64 s[12:13], s[10:11]
	s_cbranch_execnz .LBB327_313
.LBB327_258:
	s_or_b64 exec, exec, s[12:13]
	s_and_saveexec_b64 s[10:11], s[8:9]
	s_cbranch_execnz .LBB327_314
.LBB327_259:
	s_or_b64 exec, exec, s[10:11]
	s_and_saveexec_b64 s[8:9], s[6:7]
	s_cbranch_execnz .LBB327_315
.LBB327_260:
	s_or_b64 exec, exec, s[8:9]
	s_and_saveexec_b64 s[6:7], s[4:5]
	s_cbranch_execnz .LBB327_316
.LBB327_261:
	s_or_b64 exec, exec, s[6:7]
	s_and_saveexec_b64 s[4:5], s[2:3]
	s_cbranch_execz .LBB327_263
.LBB327_262:
	v_sub_u32_e32 v10, v38, v9
	v_lshlrev_b32_e32 v10, 2, v10
	ds_write_b32 v10, v39
.LBB327_263:
	s_or_b64 exec, exec, s[4:5]
	s_and_b64 s[38:39], s[0:1], exec
                                        ; implicit-def: $vgpr64_vgpr65
                                        ; implicit-def: $vgpr62_vgpr63
                                        ; implicit-def: $vgpr60_vgpr61
                                        ; implicit-def: $vgpr58_vgpr59
                                        ; implicit-def: $vgpr56_vgpr57
                                        ; implicit-def: $vgpr54_vgpr55
                                        ; implicit-def: $vgpr52_vgpr53
                                        ; implicit-def: $vgpr50_vgpr51
                                        ; implicit-def: $vgpr48_vgpr49
                                        ; implicit-def: $vgpr46_vgpr47
                                        ; implicit-def: $vgpr44_vgpr45
                                        ; implicit-def: $vgpr42_vgpr43
                                        ; implicit-def: $vgpr40_vgpr41
                                        ; implicit-def: $vgpr38_vgpr39
	s_andn2_saveexec_b64 s[0:1], s[34:35]
	s_cbranch_execz .LBB327_174
.LBB327_264:
	v_sub_u32_e32 v10, v64, v9
	v_lshlrev_b32_e32 v10, 2, v10
	ds_write_b32 v10, v65
	v_sub_u32_e32 v10, v62, v9
	v_lshlrev_b32_e32 v10, 2, v10
	ds_write_b32 v10, v63
	;; [unrolled: 3-line block ×13, first 2 shown]
	v_sub_u32_e32 v10, v38, v9
	v_lshlrev_b32_e32 v10, 2, v10
	s_or_b64 s[38:39], s[38:39], exec
	ds_write_b32 v10, v39
	s_or_b64 exec, exec, s[0:1]
	s_and_b64 exec, exec, s[38:39]
	s_cbranch_execnz .LBB327_175
	s_branch .LBB327_176
.LBB327_265:
	v_sub_u32_e32 v28, v64, v4
	v_mov_b32_e32 v29, 0
	v_lshlrev_b64 v[28:29], 2, v[28:29]
	v_add_co_u32_e32 v28, vcc, v3, v28
	v_addc_co_u32_e32 v29, vcc, v5, v29, vcc
	global_store_dword v[28:29], v20, off
	s_or_b64 exec, exec, s[42:43]
	s_and_saveexec_b64 s[42:43], s[28:29]
	s_cbranch_execz .LBB327_199
.LBB327_266:
	v_sub_u32_e32 v28, v62, v4
	v_mov_b32_e32 v29, 0
	v_lshlrev_b64 v[28:29], 2, v[28:29]
	v_add_co_u32_e32 v28, vcc, v3, v28
	v_addc_co_u32_e32 v29, vcc, v5, v29, vcc
	global_store_dword v[28:29], v21, off
	s_or_b64 exec, exec, s[42:43]
	s_and_saveexec_b64 s[42:43], s[26:27]
	s_cbranch_execz .LBB327_200
.LBB327_267:
	v_sub_u32_e32 v28, v60, v4
	v_mov_b32_e32 v29, 0
	v_lshlrev_b64 v[28:29], 2, v[28:29]
	v_add_co_u32_e32 v28, vcc, v3, v28
	v_addc_co_u32_e32 v29, vcc, v5, v29, vcc
	global_store_dword v[28:29], v18, off
	s_or_b64 exec, exec, s[42:43]
	s_and_saveexec_b64 s[42:43], s[24:25]
	s_cbranch_execz .LBB327_201
.LBB327_268:
	v_sub_u32_e32 v28, v58, v4
	v_mov_b32_e32 v29, 0
	v_lshlrev_b64 v[28:29], 2, v[28:29]
	v_add_co_u32_e32 v28, vcc, v3, v28
	v_addc_co_u32_e32 v29, vcc, v5, v29, vcc
	global_store_dword v[28:29], v19, off
	s_or_b64 exec, exec, s[42:43]
	s_and_saveexec_b64 s[42:43], s[22:23]
	s_cbranch_execz .LBB327_202
.LBB327_269:
	v_sub_u32_e32 v28, v56, v4
	v_mov_b32_e32 v29, 0
	v_lshlrev_b64 v[28:29], 2, v[28:29]
	v_add_co_u32_e32 v28, vcc, v3, v28
	v_addc_co_u32_e32 v29, vcc, v5, v29, vcc
	global_store_dword v[28:29], v16, off
	s_or_b64 exec, exec, s[42:43]
	s_and_saveexec_b64 s[42:43], s[20:21]
	s_cbranch_execz .LBB327_203
.LBB327_270:
	v_sub_u32_e32 v28, v54, v4
	v_mov_b32_e32 v29, 0
	v_lshlrev_b64 v[28:29], 2, v[28:29]
	v_add_co_u32_e32 v28, vcc, v3, v28
	v_addc_co_u32_e32 v29, vcc, v5, v29, vcc
	global_store_dword v[28:29], v17, off
	s_or_b64 exec, exec, s[42:43]
	s_and_saveexec_b64 s[42:43], s[18:19]
	s_cbranch_execz .LBB327_204
.LBB327_271:
	v_sub_u32_e32 v28, v52, v4
	v_mov_b32_e32 v29, 0
	v_lshlrev_b64 v[28:29], 2, v[28:29]
	v_add_co_u32_e32 v28, vcc, v3, v28
	v_addc_co_u32_e32 v29, vcc, v5, v29, vcc
	global_store_dword v[28:29], v14, off
	s_or_b64 exec, exec, s[42:43]
	s_and_saveexec_b64 s[42:43], s[16:17]
	s_cbranch_execz .LBB327_205
.LBB327_272:
	v_sub_u32_e32 v28, v50, v4
	v_mov_b32_e32 v29, 0
	v_lshlrev_b64 v[28:29], 2, v[28:29]
	v_add_co_u32_e32 v28, vcc, v3, v28
	v_addc_co_u32_e32 v29, vcc, v5, v29, vcc
	global_store_dword v[28:29], v15, off
	s_or_b64 exec, exec, s[42:43]
	s_and_saveexec_b64 s[42:43], s[14:15]
	s_cbranch_execz .LBB327_206
.LBB327_273:
	v_sub_u32_e32 v28, v48, v4
	v_mov_b32_e32 v29, 0
	v_lshlrev_b64 v[28:29], 2, v[28:29]
	v_add_co_u32_e32 v28, vcc, v3, v28
	v_addc_co_u32_e32 v29, vcc, v5, v29, vcc
	global_store_dword v[28:29], v12, off
	s_or_b64 exec, exec, s[42:43]
	s_and_saveexec_b64 s[42:43], s[12:13]
	s_cbranch_execz .LBB327_207
.LBB327_274:
	v_sub_u32_e32 v28, v46, v4
	v_mov_b32_e32 v29, 0
	v_lshlrev_b64 v[28:29], 2, v[28:29]
	v_add_co_u32_e32 v28, vcc, v3, v28
	v_addc_co_u32_e32 v29, vcc, v5, v29, vcc
	global_store_dword v[28:29], v13, off
	s_or_b64 exec, exec, s[42:43]
	s_and_saveexec_b64 s[42:43], s[10:11]
	s_cbranch_execz .LBB327_208
.LBB327_275:
	v_sub_u32_e32 v28, v44, v4
	v_mov_b32_e32 v29, 0
	v_lshlrev_b64 v[28:29], 2, v[28:29]
	v_add_co_u32_e32 v28, vcc, v3, v28
	v_addc_co_u32_e32 v29, vcc, v5, v29, vcc
	global_store_dword v[28:29], v10, off
	s_or_b64 exec, exec, s[42:43]
	s_and_saveexec_b64 s[42:43], s[8:9]
	s_cbranch_execz .LBB327_209
.LBB327_276:
	v_sub_u32_e32 v28, v42, v4
	v_mov_b32_e32 v29, 0
	v_lshlrev_b64 v[28:29], 2, v[28:29]
	v_add_co_u32_e32 v28, vcc, v3, v28
	v_addc_co_u32_e32 v29, vcc, v5, v29, vcc
	global_store_dword v[28:29], v11, off
	s_or_b64 exec, exec, s[42:43]
	s_and_saveexec_b64 s[42:43], s[6:7]
	s_cbranch_execz .LBB327_210
.LBB327_277:
	v_sub_u32_e32 v28, v40, v4
	v_mov_b32_e32 v29, 0
	v_lshlrev_b64 v[28:29], 2, v[28:29]
	v_add_co_u32_e32 v28, vcc, v3, v28
	v_addc_co_u32_e32 v29, vcc, v5, v29, vcc
	global_store_dword v[28:29], v8, off
	s_or_b64 exec, exec, s[42:43]
	s_and_saveexec_b64 s[42:43], s[4:5]
	s_cbranch_execnz .LBB327_211
	s_branch .LBB327_212
.LBB327_278:
	v_sub_u32_e32 v26, v64, v4
	v_lshlrev_b32_e32 v26, 2, v26
	ds_write_b32 v26, v20
	s_or_b64 exec, exec, s[42:43]
	s_and_saveexec_b64 s[30:31], s[28:29]
	s_cbranch_execz .LBB327_216
.LBB327_279:
	v_sub_u32_e32 v20, v62, v4
	v_lshlrev_b32_e32 v20, 2, v20
	ds_write_b32 v20, v21
	s_or_b64 exec, exec, s[30:31]
	s_and_saveexec_b64 s[28:29], s[26:27]
	s_cbranch_execz .LBB327_217
.LBB327_280:
	v_sub_u32_e32 v20, v60, v4
	v_lshlrev_b32_e32 v20, 2, v20
	ds_write_b32 v20, v18
	s_or_b64 exec, exec, s[28:29]
	s_and_saveexec_b64 s[26:27], s[24:25]
	s_cbranch_execz .LBB327_218
.LBB327_281:
	v_sub_u32_e32 v18, v58, v4
	v_lshlrev_b32_e32 v18, 2, v18
	ds_write_b32 v18, v19
	s_or_b64 exec, exec, s[26:27]
	s_and_saveexec_b64 s[24:25], s[22:23]
	s_cbranch_execz .LBB327_219
.LBB327_282:
	v_sub_u32_e32 v18, v56, v4
	v_lshlrev_b32_e32 v18, 2, v18
	ds_write_b32 v18, v16
	s_or_b64 exec, exec, s[24:25]
	s_and_saveexec_b64 s[22:23], s[20:21]
	s_cbranch_execz .LBB327_220
.LBB327_283:
	v_sub_u32_e32 v16, v54, v4
	v_lshlrev_b32_e32 v16, 2, v16
	ds_write_b32 v16, v17
	s_or_b64 exec, exec, s[22:23]
	s_and_saveexec_b64 s[20:21], s[18:19]
	s_cbranch_execz .LBB327_221
.LBB327_284:
	v_sub_u32_e32 v16, v52, v4
	v_lshlrev_b32_e32 v16, 2, v16
	ds_write_b32 v16, v14
	s_or_b64 exec, exec, s[20:21]
	s_and_saveexec_b64 s[18:19], s[16:17]
	s_cbranch_execz .LBB327_222
.LBB327_285:
	v_sub_u32_e32 v14, v50, v4
	v_lshlrev_b32_e32 v14, 2, v14
	ds_write_b32 v14, v15
	s_or_b64 exec, exec, s[18:19]
	s_and_saveexec_b64 s[16:17], s[14:15]
	s_cbranch_execz .LBB327_223
.LBB327_286:
	v_sub_u32_e32 v14, v48, v4
	v_lshlrev_b32_e32 v14, 2, v14
	ds_write_b32 v14, v12
	s_or_b64 exec, exec, s[16:17]
	s_and_saveexec_b64 s[14:15], s[12:13]
	s_cbranch_execz .LBB327_224
.LBB327_287:
	v_sub_u32_e32 v12, v46, v4
	v_lshlrev_b32_e32 v12, 2, v12
	ds_write_b32 v12, v13
	s_or_b64 exec, exec, s[14:15]
	s_and_saveexec_b64 s[12:13], s[10:11]
	s_cbranch_execz .LBB327_225
.LBB327_288:
	v_sub_u32_e32 v12, v44, v4
	v_lshlrev_b32_e32 v12, 2, v12
	ds_write_b32 v12, v10
	s_or_b64 exec, exec, s[12:13]
	s_and_saveexec_b64 s[10:11], s[8:9]
	s_cbranch_execz .LBB327_226
.LBB327_289:
	v_sub_u32_e32 v10, v42, v4
	v_lshlrev_b32_e32 v10, 2, v10
	ds_write_b32 v10, v11
	s_or_b64 exec, exec, s[10:11]
	s_and_saveexec_b64 s[8:9], s[6:7]
	s_cbranch_execz .LBB327_227
.LBB327_290:
	v_sub_u32_e32 v10, v40, v4
	v_lshlrev_b32_e32 v10, 2, v10
	ds_write_b32 v10, v8
	s_or_b64 exec, exec, s[8:9]
	s_and_saveexec_b64 s[6:7], s[4:5]
	s_cbranch_execnz .LBB327_228
	s_branch .LBB327_229
.LBB327_291:
	v_sub_u32_e32 v16, v64, v9
	v_mov_b32_e32 v17, 0
	v_lshlrev_b64 v[16:17], 2, v[16:17]
	v_add_co_u32_e32 v16, vcc, v13, v16
	v_addc_co_u32_e32 v17, vcc, v14, v17, vcc
	global_store_dword v[16:17], v65, off
	s_or_b64 exec, exec, s[38:39]
	s_and_saveexec_b64 s[38:39], s[26:27]
	s_cbranch_execz .LBB327_233
.LBB327_292:
	v_sub_u32_e32 v16, v62, v9
	v_mov_b32_e32 v17, 0
	v_lshlrev_b64 v[16:17], 2, v[16:17]
	v_add_co_u32_e32 v16, vcc, v13, v16
	v_addc_co_u32_e32 v17, vcc, v14, v17, vcc
	global_store_dword v[16:17], v63, off
	s_or_b64 exec, exec, s[38:39]
	s_and_saveexec_b64 s[38:39], s[24:25]
	s_cbranch_execz .LBB327_234
.LBB327_293:
	v_sub_u32_e32 v16, v60, v9
	v_mov_b32_e32 v17, 0
	v_lshlrev_b64 v[16:17], 2, v[16:17]
	v_add_co_u32_e32 v16, vcc, v13, v16
	v_addc_co_u32_e32 v17, vcc, v14, v17, vcc
	global_store_dword v[16:17], v61, off
	s_or_b64 exec, exec, s[38:39]
	s_and_saveexec_b64 s[38:39], s[22:23]
	s_cbranch_execz .LBB327_235
.LBB327_294:
	v_sub_u32_e32 v16, v58, v9
	v_mov_b32_e32 v17, 0
	v_lshlrev_b64 v[16:17], 2, v[16:17]
	v_add_co_u32_e32 v16, vcc, v13, v16
	v_addc_co_u32_e32 v17, vcc, v14, v17, vcc
	global_store_dword v[16:17], v59, off
	s_or_b64 exec, exec, s[38:39]
	s_and_saveexec_b64 s[38:39], s[20:21]
	s_cbranch_execz .LBB327_236
.LBB327_295:
	v_sub_u32_e32 v16, v56, v9
	v_mov_b32_e32 v17, 0
	v_lshlrev_b64 v[16:17], 2, v[16:17]
	v_add_co_u32_e32 v16, vcc, v13, v16
	v_addc_co_u32_e32 v17, vcc, v14, v17, vcc
	global_store_dword v[16:17], v57, off
	s_or_b64 exec, exec, s[38:39]
	s_and_saveexec_b64 s[38:39], s[18:19]
	s_cbranch_execz .LBB327_237
.LBB327_296:
	v_sub_u32_e32 v16, v54, v9
	v_mov_b32_e32 v17, 0
	v_lshlrev_b64 v[16:17], 2, v[16:17]
	v_add_co_u32_e32 v16, vcc, v13, v16
	v_addc_co_u32_e32 v17, vcc, v14, v17, vcc
	global_store_dword v[16:17], v55, off
	s_or_b64 exec, exec, s[38:39]
	s_and_saveexec_b64 s[38:39], s[16:17]
	s_cbranch_execz .LBB327_238
.LBB327_297:
	v_sub_u32_e32 v16, v52, v9
	v_mov_b32_e32 v17, 0
	v_lshlrev_b64 v[16:17], 2, v[16:17]
	v_add_co_u32_e32 v16, vcc, v13, v16
	v_addc_co_u32_e32 v17, vcc, v14, v17, vcc
	global_store_dword v[16:17], v53, off
	s_or_b64 exec, exec, s[38:39]
	s_and_saveexec_b64 s[38:39], s[14:15]
	s_cbranch_execz .LBB327_239
.LBB327_298:
	v_sub_u32_e32 v16, v50, v9
	v_mov_b32_e32 v17, 0
	v_lshlrev_b64 v[16:17], 2, v[16:17]
	v_add_co_u32_e32 v16, vcc, v13, v16
	v_addc_co_u32_e32 v17, vcc, v14, v17, vcc
	global_store_dword v[16:17], v51, off
	s_or_b64 exec, exec, s[38:39]
	s_and_saveexec_b64 s[38:39], s[12:13]
	s_cbranch_execz .LBB327_240
.LBB327_299:
	v_sub_u32_e32 v16, v48, v9
	v_mov_b32_e32 v17, 0
	v_lshlrev_b64 v[16:17], 2, v[16:17]
	v_add_co_u32_e32 v16, vcc, v13, v16
	v_addc_co_u32_e32 v17, vcc, v14, v17, vcc
	global_store_dword v[16:17], v49, off
	s_or_b64 exec, exec, s[38:39]
	s_and_saveexec_b64 s[38:39], s[10:11]
	s_cbranch_execz .LBB327_241
.LBB327_300:
	v_sub_u32_e32 v16, v46, v9
	v_mov_b32_e32 v17, 0
	v_lshlrev_b64 v[16:17], 2, v[16:17]
	v_add_co_u32_e32 v16, vcc, v13, v16
	v_addc_co_u32_e32 v17, vcc, v14, v17, vcc
	global_store_dword v[16:17], v47, off
	s_or_b64 exec, exec, s[38:39]
	s_and_saveexec_b64 s[38:39], s[8:9]
	s_cbranch_execz .LBB327_242
.LBB327_301:
	v_sub_u32_e32 v16, v44, v9
	v_mov_b32_e32 v17, 0
	v_lshlrev_b64 v[16:17], 2, v[16:17]
	v_add_co_u32_e32 v16, vcc, v13, v16
	v_addc_co_u32_e32 v17, vcc, v14, v17, vcc
	global_store_dword v[16:17], v45, off
	s_or_b64 exec, exec, s[38:39]
	s_and_saveexec_b64 s[38:39], s[6:7]
	s_cbranch_execz .LBB327_243
.LBB327_302:
	v_sub_u32_e32 v16, v42, v9
	v_mov_b32_e32 v17, 0
	v_lshlrev_b64 v[16:17], 2, v[16:17]
	v_add_co_u32_e32 v16, vcc, v13, v16
	v_addc_co_u32_e32 v17, vcc, v14, v17, vcc
	global_store_dword v[16:17], v43, off
	s_or_b64 exec, exec, s[38:39]
	s_and_saveexec_b64 s[38:39], s[4:5]
	s_cbranch_execz .LBB327_244
.LBB327_303:
	v_sub_u32_e32 v16, v40, v9
	v_mov_b32_e32 v17, 0
	v_lshlrev_b64 v[16:17], 2, v[16:17]
	v_add_co_u32_e32 v16, vcc, v13, v16
	v_addc_co_u32_e32 v17, vcc, v14, v17, vcc
	global_store_dword v[16:17], v41, off
	s_or_b64 exec, exec, s[38:39]
	s_and_saveexec_b64 s[38:39], s[2:3]
	s_cbranch_execnz .LBB327_245
	s_branch .LBB327_246
.LBB327_304:
	v_sub_u32_e32 v10, v64, v9
	v_lshlrev_b32_e32 v10, 2, v10
	ds_write_b32 v10, v65
	s_or_b64 exec, exec, s[38:39]
	s_and_saveexec_b64 s[28:29], s[26:27]
	s_cbranch_execz .LBB327_250
.LBB327_305:
	v_sub_u32_e32 v10, v62, v9
	v_lshlrev_b32_e32 v10, 2, v10
	ds_write_b32 v10, v63
	s_or_b64 exec, exec, s[28:29]
	s_and_saveexec_b64 s[26:27], s[24:25]
	s_cbranch_execz .LBB327_251
.LBB327_306:
	v_sub_u32_e32 v10, v60, v9
	v_lshlrev_b32_e32 v10, 2, v10
	ds_write_b32 v10, v61
	s_or_b64 exec, exec, s[26:27]
	s_and_saveexec_b64 s[24:25], s[22:23]
	s_cbranch_execz .LBB327_252
.LBB327_307:
	v_sub_u32_e32 v10, v58, v9
	v_lshlrev_b32_e32 v10, 2, v10
	ds_write_b32 v10, v59
	s_or_b64 exec, exec, s[24:25]
	s_and_saveexec_b64 s[22:23], s[20:21]
	s_cbranch_execz .LBB327_253
.LBB327_308:
	v_sub_u32_e32 v10, v56, v9
	v_lshlrev_b32_e32 v10, 2, v10
	ds_write_b32 v10, v57
	s_or_b64 exec, exec, s[22:23]
	s_and_saveexec_b64 s[20:21], s[18:19]
	s_cbranch_execz .LBB327_254
.LBB327_309:
	v_sub_u32_e32 v10, v54, v9
	v_lshlrev_b32_e32 v10, 2, v10
	ds_write_b32 v10, v55
	s_or_b64 exec, exec, s[20:21]
	s_and_saveexec_b64 s[18:19], s[16:17]
	s_cbranch_execz .LBB327_255
.LBB327_310:
	v_sub_u32_e32 v10, v52, v9
	v_lshlrev_b32_e32 v10, 2, v10
	ds_write_b32 v10, v53
	s_or_b64 exec, exec, s[18:19]
	s_and_saveexec_b64 s[16:17], s[14:15]
	s_cbranch_execz .LBB327_256
.LBB327_311:
	v_sub_u32_e32 v10, v50, v9
	v_lshlrev_b32_e32 v10, 2, v10
	ds_write_b32 v10, v51
	s_or_b64 exec, exec, s[16:17]
	s_and_saveexec_b64 s[14:15], s[12:13]
	s_cbranch_execz .LBB327_257
.LBB327_312:
	v_sub_u32_e32 v10, v48, v9
	v_lshlrev_b32_e32 v10, 2, v10
	ds_write_b32 v10, v49
	s_or_b64 exec, exec, s[14:15]
	s_and_saveexec_b64 s[12:13], s[10:11]
	s_cbranch_execz .LBB327_258
.LBB327_313:
	v_sub_u32_e32 v10, v46, v9
	v_lshlrev_b32_e32 v10, 2, v10
	ds_write_b32 v10, v47
	s_or_b64 exec, exec, s[12:13]
	s_and_saveexec_b64 s[10:11], s[8:9]
	s_cbranch_execz .LBB327_259
.LBB327_314:
	v_sub_u32_e32 v10, v44, v9
	v_lshlrev_b32_e32 v10, 2, v10
	ds_write_b32 v10, v45
	s_or_b64 exec, exec, s[10:11]
	s_and_saveexec_b64 s[8:9], s[6:7]
	s_cbranch_execz .LBB327_260
.LBB327_315:
	v_sub_u32_e32 v10, v42, v9
	v_lshlrev_b32_e32 v10, 2, v10
	ds_write_b32 v10, v43
	s_or_b64 exec, exec, s[8:9]
	s_and_saveexec_b64 s[6:7], s[4:5]
	s_cbranch_execz .LBB327_261
.LBB327_316:
	v_sub_u32_e32 v10, v40, v9
	v_lshlrev_b32_e32 v10, 2, v10
	ds_write_b32 v10, v41
	s_or_b64 exec, exec, s[6:7]
	s_and_saveexec_b64 s[4:5], s[2:3]
	s_cbranch_execnz .LBB327_262
	s_branch .LBB327_263
	.section	.rodata,"a",@progbits
	.p2align	6, 0x0
	.amdhsa_kernel _ZN7rocprim17ROCPRIM_400000_NS6detail17trampoline_kernelINS0_14default_configENS1_29reduce_by_key_config_selectorIjjN6thrust23THRUST_200600_302600_NS4plusIjEEEEZZNS1_33reduce_by_key_impl_wrapped_configILNS1_25lookback_scan_determinismE0ES3_S9_NS6_6detail15normal_iteratorINS6_10device_ptrIjEEEESG_SG_SG_PmS8_NS6_8equal_toIjEEEE10hipError_tPvRmT2_T3_mT4_T5_T6_T7_T8_P12ihipStream_tbENKUlT_T0_E_clISt17integral_constantIbLb1EES11_EEDaSW_SX_EUlSW_E_NS1_11comp_targetILNS1_3genE4ELNS1_11target_archE910ELNS1_3gpuE8ELNS1_3repE0EEENS1_30default_config_static_selectorELNS0_4arch9wavefront6targetE1EEEvT1_
		.amdhsa_group_segment_fixed_size 15360
		.amdhsa_private_segment_fixed_size 0
		.amdhsa_kernarg_size 120
		.amdhsa_user_sgpr_count 6
		.amdhsa_user_sgpr_private_segment_buffer 1
		.amdhsa_user_sgpr_dispatch_ptr 0
		.amdhsa_user_sgpr_queue_ptr 0
		.amdhsa_user_sgpr_kernarg_segment_ptr 1
		.amdhsa_user_sgpr_dispatch_id 0
		.amdhsa_user_sgpr_flat_scratch_init 0
		.amdhsa_user_sgpr_kernarg_preload_length 0
		.amdhsa_user_sgpr_kernarg_preload_offset 0
		.amdhsa_user_sgpr_private_segment_size 0
		.amdhsa_uses_dynamic_stack 0
		.amdhsa_system_sgpr_private_segment_wavefront_offset 0
		.amdhsa_system_sgpr_workgroup_id_x 1
		.amdhsa_system_sgpr_workgroup_id_y 0
		.amdhsa_system_sgpr_workgroup_id_z 0
		.amdhsa_system_sgpr_workgroup_info 0
		.amdhsa_system_vgpr_workitem_id 0
		.amdhsa_next_free_vgpr 106
		.amdhsa_next_free_sgpr 66
		.amdhsa_accum_offset 108
		.amdhsa_reserve_vcc 1
		.amdhsa_reserve_flat_scratch 0
		.amdhsa_float_round_mode_32 0
		.amdhsa_float_round_mode_16_64 0
		.amdhsa_float_denorm_mode_32 3
		.amdhsa_float_denorm_mode_16_64 3
		.amdhsa_dx10_clamp 1
		.amdhsa_ieee_mode 1
		.amdhsa_fp16_overflow 0
		.amdhsa_tg_split 0
		.amdhsa_exception_fp_ieee_invalid_op 0
		.amdhsa_exception_fp_denorm_src 0
		.amdhsa_exception_fp_ieee_div_zero 0
		.amdhsa_exception_fp_ieee_overflow 0
		.amdhsa_exception_fp_ieee_underflow 0
		.amdhsa_exception_fp_ieee_inexact 0
		.amdhsa_exception_int_div_zero 0
	.end_amdhsa_kernel
	.section	.text._ZN7rocprim17ROCPRIM_400000_NS6detail17trampoline_kernelINS0_14default_configENS1_29reduce_by_key_config_selectorIjjN6thrust23THRUST_200600_302600_NS4plusIjEEEEZZNS1_33reduce_by_key_impl_wrapped_configILNS1_25lookback_scan_determinismE0ES3_S9_NS6_6detail15normal_iteratorINS6_10device_ptrIjEEEESG_SG_SG_PmS8_NS6_8equal_toIjEEEE10hipError_tPvRmT2_T3_mT4_T5_T6_T7_T8_P12ihipStream_tbENKUlT_T0_E_clISt17integral_constantIbLb1EES11_EEDaSW_SX_EUlSW_E_NS1_11comp_targetILNS1_3genE4ELNS1_11target_archE910ELNS1_3gpuE8ELNS1_3repE0EEENS1_30default_config_static_selectorELNS0_4arch9wavefront6targetE1EEEvT1_,"axG",@progbits,_ZN7rocprim17ROCPRIM_400000_NS6detail17trampoline_kernelINS0_14default_configENS1_29reduce_by_key_config_selectorIjjN6thrust23THRUST_200600_302600_NS4plusIjEEEEZZNS1_33reduce_by_key_impl_wrapped_configILNS1_25lookback_scan_determinismE0ES3_S9_NS6_6detail15normal_iteratorINS6_10device_ptrIjEEEESG_SG_SG_PmS8_NS6_8equal_toIjEEEE10hipError_tPvRmT2_T3_mT4_T5_T6_T7_T8_P12ihipStream_tbENKUlT_T0_E_clISt17integral_constantIbLb1EES11_EEDaSW_SX_EUlSW_E_NS1_11comp_targetILNS1_3genE4ELNS1_11target_archE910ELNS1_3gpuE8ELNS1_3repE0EEENS1_30default_config_static_selectorELNS0_4arch9wavefront6targetE1EEEvT1_,comdat
.Lfunc_end327:
	.size	_ZN7rocprim17ROCPRIM_400000_NS6detail17trampoline_kernelINS0_14default_configENS1_29reduce_by_key_config_selectorIjjN6thrust23THRUST_200600_302600_NS4plusIjEEEEZZNS1_33reduce_by_key_impl_wrapped_configILNS1_25lookback_scan_determinismE0ES3_S9_NS6_6detail15normal_iteratorINS6_10device_ptrIjEEEESG_SG_SG_PmS8_NS6_8equal_toIjEEEE10hipError_tPvRmT2_T3_mT4_T5_T6_T7_T8_P12ihipStream_tbENKUlT_T0_E_clISt17integral_constantIbLb1EES11_EEDaSW_SX_EUlSW_E_NS1_11comp_targetILNS1_3genE4ELNS1_11target_archE910ELNS1_3gpuE8ELNS1_3repE0EEENS1_30default_config_static_selectorELNS0_4arch9wavefront6targetE1EEEvT1_, .Lfunc_end327-_ZN7rocprim17ROCPRIM_400000_NS6detail17trampoline_kernelINS0_14default_configENS1_29reduce_by_key_config_selectorIjjN6thrust23THRUST_200600_302600_NS4plusIjEEEEZZNS1_33reduce_by_key_impl_wrapped_configILNS1_25lookback_scan_determinismE0ES3_S9_NS6_6detail15normal_iteratorINS6_10device_ptrIjEEEESG_SG_SG_PmS8_NS6_8equal_toIjEEEE10hipError_tPvRmT2_T3_mT4_T5_T6_T7_T8_P12ihipStream_tbENKUlT_T0_E_clISt17integral_constantIbLb1EES11_EEDaSW_SX_EUlSW_E_NS1_11comp_targetILNS1_3genE4ELNS1_11target_archE910ELNS1_3gpuE8ELNS1_3repE0EEENS1_30default_config_static_selectorELNS0_4arch9wavefront6targetE1EEEvT1_
                                        ; -- End function
	.section	.AMDGPU.csdata,"",@progbits
; Kernel info:
; codeLenInByte = 17256
; NumSgprs: 70
; NumVgprs: 106
; NumAgprs: 0
; TotalNumVgprs: 106
; ScratchSize: 0
; MemoryBound: 0
; FloatMode: 240
; IeeeMode: 1
; LDSByteSize: 15360 bytes/workgroup (compile time only)
; SGPRBlocks: 8
; VGPRBlocks: 13
; NumSGPRsForWavesPerEU: 70
; NumVGPRsForWavesPerEU: 106
; AccumOffset: 108
; Occupancy: 4
; WaveLimiterHint : 1
; COMPUTE_PGM_RSRC2:SCRATCH_EN: 0
; COMPUTE_PGM_RSRC2:USER_SGPR: 6
; COMPUTE_PGM_RSRC2:TRAP_HANDLER: 0
; COMPUTE_PGM_RSRC2:TGID_X_EN: 1
; COMPUTE_PGM_RSRC2:TGID_Y_EN: 0
; COMPUTE_PGM_RSRC2:TGID_Z_EN: 0
; COMPUTE_PGM_RSRC2:TIDIG_COMP_CNT: 0
; COMPUTE_PGM_RSRC3_GFX90A:ACCUM_OFFSET: 26
; COMPUTE_PGM_RSRC3_GFX90A:TG_SPLIT: 0
	.section	.text._ZN7rocprim17ROCPRIM_400000_NS6detail17trampoline_kernelINS0_14default_configENS1_29reduce_by_key_config_selectorIjjN6thrust23THRUST_200600_302600_NS4plusIjEEEEZZNS1_33reduce_by_key_impl_wrapped_configILNS1_25lookback_scan_determinismE0ES3_S9_NS6_6detail15normal_iteratorINS6_10device_ptrIjEEEESG_SG_SG_PmS8_NS6_8equal_toIjEEEE10hipError_tPvRmT2_T3_mT4_T5_T6_T7_T8_P12ihipStream_tbENKUlT_T0_E_clISt17integral_constantIbLb1EES11_EEDaSW_SX_EUlSW_E_NS1_11comp_targetILNS1_3genE3ELNS1_11target_archE908ELNS1_3gpuE7ELNS1_3repE0EEENS1_30default_config_static_selectorELNS0_4arch9wavefront6targetE1EEEvT1_,"axG",@progbits,_ZN7rocprim17ROCPRIM_400000_NS6detail17trampoline_kernelINS0_14default_configENS1_29reduce_by_key_config_selectorIjjN6thrust23THRUST_200600_302600_NS4plusIjEEEEZZNS1_33reduce_by_key_impl_wrapped_configILNS1_25lookback_scan_determinismE0ES3_S9_NS6_6detail15normal_iteratorINS6_10device_ptrIjEEEESG_SG_SG_PmS8_NS6_8equal_toIjEEEE10hipError_tPvRmT2_T3_mT4_T5_T6_T7_T8_P12ihipStream_tbENKUlT_T0_E_clISt17integral_constantIbLb1EES11_EEDaSW_SX_EUlSW_E_NS1_11comp_targetILNS1_3genE3ELNS1_11target_archE908ELNS1_3gpuE7ELNS1_3repE0EEENS1_30default_config_static_selectorELNS0_4arch9wavefront6targetE1EEEvT1_,comdat
	.protected	_ZN7rocprim17ROCPRIM_400000_NS6detail17trampoline_kernelINS0_14default_configENS1_29reduce_by_key_config_selectorIjjN6thrust23THRUST_200600_302600_NS4plusIjEEEEZZNS1_33reduce_by_key_impl_wrapped_configILNS1_25lookback_scan_determinismE0ES3_S9_NS6_6detail15normal_iteratorINS6_10device_ptrIjEEEESG_SG_SG_PmS8_NS6_8equal_toIjEEEE10hipError_tPvRmT2_T3_mT4_T5_T6_T7_T8_P12ihipStream_tbENKUlT_T0_E_clISt17integral_constantIbLb1EES11_EEDaSW_SX_EUlSW_E_NS1_11comp_targetILNS1_3genE3ELNS1_11target_archE908ELNS1_3gpuE7ELNS1_3repE0EEENS1_30default_config_static_selectorELNS0_4arch9wavefront6targetE1EEEvT1_ ; -- Begin function _ZN7rocprim17ROCPRIM_400000_NS6detail17trampoline_kernelINS0_14default_configENS1_29reduce_by_key_config_selectorIjjN6thrust23THRUST_200600_302600_NS4plusIjEEEEZZNS1_33reduce_by_key_impl_wrapped_configILNS1_25lookback_scan_determinismE0ES3_S9_NS6_6detail15normal_iteratorINS6_10device_ptrIjEEEESG_SG_SG_PmS8_NS6_8equal_toIjEEEE10hipError_tPvRmT2_T3_mT4_T5_T6_T7_T8_P12ihipStream_tbENKUlT_T0_E_clISt17integral_constantIbLb1EES11_EEDaSW_SX_EUlSW_E_NS1_11comp_targetILNS1_3genE3ELNS1_11target_archE908ELNS1_3gpuE7ELNS1_3repE0EEENS1_30default_config_static_selectorELNS0_4arch9wavefront6targetE1EEEvT1_
	.globl	_ZN7rocprim17ROCPRIM_400000_NS6detail17trampoline_kernelINS0_14default_configENS1_29reduce_by_key_config_selectorIjjN6thrust23THRUST_200600_302600_NS4plusIjEEEEZZNS1_33reduce_by_key_impl_wrapped_configILNS1_25lookback_scan_determinismE0ES3_S9_NS6_6detail15normal_iteratorINS6_10device_ptrIjEEEESG_SG_SG_PmS8_NS6_8equal_toIjEEEE10hipError_tPvRmT2_T3_mT4_T5_T6_T7_T8_P12ihipStream_tbENKUlT_T0_E_clISt17integral_constantIbLb1EES11_EEDaSW_SX_EUlSW_E_NS1_11comp_targetILNS1_3genE3ELNS1_11target_archE908ELNS1_3gpuE7ELNS1_3repE0EEENS1_30default_config_static_selectorELNS0_4arch9wavefront6targetE1EEEvT1_
	.p2align	8
	.type	_ZN7rocprim17ROCPRIM_400000_NS6detail17trampoline_kernelINS0_14default_configENS1_29reduce_by_key_config_selectorIjjN6thrust23THRUST_200600_302600_NS4plusIjEEEEZZNS1_33reduce_by_key_impl_wrapped_configILNS1_25lookback_scan_determinismE0ES3_S9_NS6_6detail15normal_iteratorINS6_10device_ptrIjEEEESG_SG_SG_PmS8_NS6_8equal_toIjEEEE10hipError_tPvRmT2_T3_mT4_T5_T6_T7_T8_P12ihipStream_tbENKUlT_T0_E_clISt17integral_constantIbLb1EES11_EEDaSW_SX_EUlSW_E_NS1_11comp_targetILNS1_3genE3ELNS1_11target_archE908ELNS1_3gpuE7ELNS1_3repE0EEENS1_30default_config_static_selectorELNS0_4arch9wavefront6targetE1EEEvT1_,@function
_ZN7rocprim17ROCPRIM_400000_NS6detail17trampoline_kernelINS0_14default_configENS1_29reduce_by_key_config_selectorIjjN6thrust23THRUST_200600_302600_NS4plusIjEEEEZZNS1_33reduce_by_key_impl_wrapped_configILNS1_25lookback_scan_determinismE0ES3_S9_NS6_6detail15normal_iteratorINS6_10device_ptrIjEEEESG_SG_SG_PmS8_NS6_8equal_toIjEEEE10hipError_tPvRmT2_T3_mT4_T5_T6_T7_T8_P12ihipStream_tbENKUlT_T0_E_clISt17integral_constantIbLb1EES11_EEDaSW_SX_EUlSW_E_NS1_11comp_targetILNS1_3genE3ELNS1_11target_archE908ELNS1_3gpuE7ELNS1_3repE0EEENS1_30default_config_static_selectorELNS0_4arch9wavefront6targetE1EEEvT1_: ; @_ZN7rocprim17ROCPRIM_400000_NS6detail17trampoline_kernelINS0_14default_configENS1_29reduce_by_key_config_selectorIjjN6thrust23THRUST_200600_302600_NS4plusIjEEEEZZNS1_33reduce_by_key_impl_wrapped_configILNS1_25lookback_scan_determinismE0ES3_S9_NS6_6detail15normal_iteratorINS6_10device_ptrIjEEEESG_SG_SG_PmS8_NS6_8equal_toIjEEEE10hipError_tPvRmT2_T3_mT4_T5_T6_T7_T8_P12ihipStream_tbENKUlT_T0_E_clISt17integral_constantIbLb1EES11_EEDaSW_SX_EUlSW_E_NS1_11comp_targetILNS1_3genE3ELNS1_11target_archE908ELNS1_3gpuE7ELNS1_3repE0EEENS1_30default_config_static_selectorELNS0_4arch9wavefront6targetE1EEEvT1_
; %bb.0:
	.section	.rodata,"a",@progbits
	.p2align	6, 0x0
	.amdhsa_kernel _ZN7rocprim17ROCPRIM_400000_NS6detail17trampoline_kernelINS0_14default_configENS1_29reduce_by_key_config_selectorIjjN6thrust23THRUST_200600_302600_NS4plusIjEEEEZZNS1_33reduce_by_key_impl_wrapped_configILNS1_25lookback_scan_determinismE0ES3_S9_NS6_6detail15normal_iteratorINS6_10device_ptrIjEEEESG_SG_SG_PmS8_NS6_8equal_toIjEEEE10hipError_tPvRmT2_T3_mT4_T5_T6_T7_T8_P12ihipStream_tbENKUlT_T0_E_clISt17integral_constantIbLb1EES11_EEDaSW_SX_EUlSW_E_NS1_11comp_targetILNS1_3genE3ELNS1_11target_archE908ELNS1_3gpuE7ELNS1_3repE0EEENS1_30default_config_static_selectorELNS0_4arch9wavefront6targetE1EEEvT1_
		.amdhsa_group_segment_fixed_size 0
		.amdhsa_private_segment_fixed_size 0
		.amdhsa_kernarg_size 120
		.amdhsa_user_sgpr_count 6
		.amdhsa_user_sgpr_private_segment_buffer 1
		.amdhsa_user_sgpr_dispatch_ptr 0
		.amdhsa_user_sgpr_queue_ptr 0
		.amdhsa_user_sgpr_kernarg_segment_ptr 1
		.amdhsa_user_sgpr_dispatch_id 0
		.amdhsa_user_sgpr_flat_scratch_init 0
		.amdhsa_user_sgpr_kernarg_preload_length 0
		.amdhsa_user_sgpr_kernarg_preload_offset 0
		.amdhsa_user_sgpr_private_segment_size 0
		.amdhsa_uses_dynamic_stack 0
		.amdhsa_system_sgpr_private_segment_wavefront_offset 0
		.amdhsa_system_sgpr_workgroup_id_x 1
		.amdhsa_system_sgpr_workgroup_id_y 0
		.amdhsa_system_sgpr_workgroup_id_z 0
		.amdhsa_system_sgpr_workgroup_info 0
		.amdhsa_system_vgpr_workitem_id 0
		.amdhsa_next_free_vgpr 1
		.amdhsa_next_free_sgpr 0
		.amdhsa_accum_offset 4
		.amdhsa_reserve_vcc 0
		.amdhsa_reserve_flat_scratch 0
		.amdhsa_float_round_mode_32 0
		.amdhsa_float_round_mode_16_64 0
		.amdhsa_float_denorm_mode_32 3
		.amdhsa_float_denorm_mode_16_64 3
		.amdhsa_dx10_clamp 1
		.amdhsa_ieee_mode 1
		.amdhsa_fp16_overflow 0
		.amdhsa_tg_split 0
		.amdhsa_exception_fp_ieee_invalid_op 0
		.amdhsa_exception_fp_denorm_src 0
		.amdhsa_exception_fp_ieee_div_zero 0
		.amdhsa_exception_fp_ieee_overflow 0
		.amdhsa_exception_fp_ieee_underflow 0
		.amdhsa_exception_fp_ieee_inexact 0
		.amdhsa_exception_int_div_zero 0
	.end_amdhsa_kernel
	.section	.text._ZN7rocprim17ROCPRIM_400000_NS6detail17trampoline_kernelINS0_14default_configENS1_29reduce_by_key_config_selectorIjjN6thrust23THRUST_200600_302600_NS4plusIjEEEEZZNS1_33reduce_by_key_impl_wrapped_configILNS1_25lookback_scan_determinismE0ES3_S9_NS6_6detail15normal_iteratorINS6_10device_ptrIjEEEESG_SG_SG_PmS8_NS6_8equal_toIjEEEE10hipError_tPvRmT2_T3_mT4_T5_T6_T7_T8_P12ihipStream_tbENKUlT_T0_E_clISt17integral_constantIbLb1EES11_EEDaSW_SX_EUlSW_E_NS1_11comp_targetILNS1_3genE3ELNS1_11target_archE908ELNS1_3gpuE7ELNS1_3repE0EEENS1_30default_config_static_selectorELNS0_4arch9wavefront6targetE1EEEvT1_,"axG",@progbits,_ZN7rocprim17ROCPRIM_400000_NS6detail17trampoline_kernelINS0_14default_configENS1_29reduce_by_key_config_selectorIjjN6thrust23THRUST_200600_302600_NS4plusIjEEEEZZNS1_33reduce_by_key_impl_wrapped_configILNS1_25lookback_scan_determinismE0ES3_S9_NS6_6detail15normal_iteratorINS6_10device_ptrIjEEEESG_SG_SG_PmS8_NS6_8equal_toIjEEEE10hipError_tPvRmT2_T3_mT4_T5_T6_T7_T8_P12ihipStream_tbENKUlT_T0_E_clISt17integral_constantIbLb1EES11_EEDaSW_SX_EUlSW_E_NS1_11comp_targetILNS1_3genE3ELNS1_11target_archE908ELNS1_3gpuE7ELNS1_3repE0EEENS1_30default_config_static_selectorELNS0_4arch9wavefront6targetE1EEEvT1_,comdat
.Lfunc_end328:
	.size	_ZN7rocprim17ROCPRIM_400000_NS6detail17trampoline_kernelINS0_14default_configENS1_29reduce_by_key_config_selectorIjjN6thrust23THRUST_200600_302600_NS4plusIjEEEEZZNS1_33reduce_by_key_impl_wrapped_configILNS1_25lookback_scan_determinismE0ES3_S9_NS6_6detail15normal_iteratorINS6_10device_ptrIjEEEESG_SG_SG_PmS8_NS6_8equal_toIjEEEE10hipError_tPvRmT2_T3_mT4_T5_T6_T7_T8_P12ihipStream_tbENKUlT_T0_E_clISt17integral_constantIbLb1EES11_EEDaSW_SX_EUlSW_E_NS1_11comp_targetILNS1_3genE3ELNS1_11target_archE908ELNS1_3gpuE7ELNS1_3repE0EEENS1_30default_config_static_selectorELNS0_4arch9wavefront6targetE1EEEvT1_, .Lfunc_end328-_ZN7rocprim17ROCPRIM_400000_NS6detail17trampoline_kernelINS0_14default_configENS1_29reduce_by_key_config_selectorIjjN6thrust23THRUST_200600_302600_NS4plusIjEEEEZZNS1_33reduce_by_key_impl_wrapped_configILNS1_25lookback_scan_determinismE0ES3_S9_NS6_6detail15normal_iteratorINS6_10device_ptrIjEEEESG_SG_SG_PmS8_NS6_8equal_toIjEEEE10hipError_tPvRmT2_T3_mT4_T5_T6_T7_T8_P12ihipStream_tbENKUlT_T0_E_clISt17integral_constantIbLb1EES11_EEDaSW_SX_EUlSW_E_NS1_11comp_targetILNS1_3genE3ELNS1_11target_archE908ELNS1_3gpuE7ELNS1_3repE0EEENS1_30default_config_static_selectorELNS0_4arch9wavefront6targetE1EEEvT1_
                                        ; -- End function
	.section	.AMDGPU.csdata,"",@progbits
; Kernel info:
; codeLenInByte = 0
; NumSgprs: 4
; NumVgprs: 0
; NumAgprs: 0
; TotalNumVgprs: 0
; ScratchSize: 0
; MemoryBound: 0
; FloatMode: 240
; IeeeMode: 1
; LDSByteSize: 0 bytes/workgroup (compile time only)
; SGPRBlocks: 0
; VGPRBlocks: 0
; NumSGPRsForWavesPerEU: 4
; NumVGPRsForWavesPerEU: 1
; AccumOffset: 4
; Occupancy: 8
; WaveLimiterHint : 0
; COMPUTE_PGM_RSRC2:SCRATCH_EN: 0
; COMPUTE_PGM_RSRC2:USER_SGPR: 6
; COMPUTE_PGM_RSRC2:TRAP_HANDLER: 0
; COMPUTE_PGM_RSRC2:TGID_X_EN: 1
; COMPUTE_PGM_RSRC2:TGID_Y_EN: 0
; COMPUTE_PGM_RSRC2:TGID_Z_EN: 0
; COMPUTE_PGM_RSRC2:TIDIG_COMP_CNT: 0
; COMPUTE_PGM_RSRC3_GFX90A:ACCUM_OFFSET: 0
; COMPUTE_PGM_RSRC3_GFX90A:TG_SPLIT: 0
	.section	.text._ZN7rocprim17ROCPRIM_400000_NS6detail17trampoline_kernelINS0_14default_configENS1_29reduce_by_key_config_selectorIjjN6thrust23THRUST_200600_302600_NS4plusIjEEEEZZNS1_33reduce_by_key_impl_wrapped_configILNS1_25lookback_scan_determinismE0ES3_S9_NS6_6detail15normal_iteratorINS6_10device_ptrIjEEEESG_SG_SG_PmS8_NS6_8equal_toIjEEEE10hipError_tPvRmT2_T3_mT4_T5_T6_T7_T8_P12ihipStream_tbENKUlT_T0_E_clISt17integral_constantIbLb1EES11_EEDaSW_SX_EUlSW_E_NS1_11comp_targetILNS1_3genE2ELNS1_11target_archE906ELNS1_3gpuE6ELNS1_3repE0EEENS1_30default_config_static_selectorELNS0_4arch9wavefront6targetE1EEEvT1_,"axG",@progbits,_ZN7rocprim17ROCPRIM_400000_NS6detail17trampoline_kernelINS0_14default_configENS1_29reduce_by_key_config_selectorIjjN6thrust23THRUST_200600_302600_NS4plusIjEEEEZZNS1_33reduce_by_key_impl_wrapped_configILNS1_25lookback_scan_determinismE0ES3_S9_NS6_6detail15normal_iteratorINS6_10device_ptrIjEEEESG_SG_SG_PmS8_NS6_8equal_toIjEEEE10hipError_tPvRmT2_T3_mT4_T5_T6_T7_T8_P12ihipStream_tbENKUlT_T0_E_clISt17integral_constantIbLb1EES11_EEDaSW_SX_EUlSW_E_NS1_11comp_targetILNS1_3genE2ELNS1_11target_archE906ELNS1_3gpuE6ELNS1_3repE0EEENS1_30default_config_static_selectorELNS0_4arch9wavefront6targetE1EEEvT1_,comdat
	.protected	_ZN7rocprim17ROCPRIM_400000_NS6detail17trampoline_kernelINS0_14default_configENS1_29reduce_by_key_config_selectorIjjN6thrust23THRUST_200600_302600_NS4plusIjEEEEZZNS1_33reduce_by_key_impl_wrapped_configILNS1_25lookback_scan_determinismE0ES3_S9_NS6_6detail15normal_iteratorINS6_10device_ptrIjEEEESG_SG_SG_PmS8_NS6_8equal_toIjEEEE10hipError_tPvRmT2_T3_mT4_T5_T6_T7_T8_P12ihipStream_tbENKUlT_T0_E_clISt17integral_constantIbLb1EES11_EEDaSW_SX_EUlSW_E_NS1_11comp_targetILNS1_3genE2ELNS1_11target_archE906ELNS1_3gpuE6ELNS1_3repE0EEENS1_30default_config_static_selectorELNS0_4arch9wavefront6targetE1EEEvT1_ ; -- Begin function _ZN7rocprim17ROCPRIM_400000_NS6detail17trampoline_kernelINS0_14default_configENS1_29reduce_by_key_config_selectorIjjN6thrust23THRUST_200600_302600_NS4plusIjEEEEZZNS1_33reduce_by_key_impl_wrapped_configILNS1_25lookback_scan_determinismE0ES3_S9_NS6_6detail15normal_iteratorINS6_10device_ptrIjEEEESG_SG_SG_PmS8_NS6_8equal_toIjEEEE10hipError_tPvRmT2_T3_mT4_T5_T6_T7_T8_P12ihipStream_tbENKUlT_T0_E_clISt17integral_constantIbLb1EES11_EEDaSW_SX_EUlSW_E_NS1_11comp_targetILNS1_3genE2ELNS1_11target_archE906ELNS1_3gpuE6ELNS1_3repE0EEENS1_30default_config_static_selectorELNS0_4arch9wavefront6targetE1EEEvT1_
	.globl	_ZN7rocprim17ROCPRIM_400000_NS6detail17trampoline_kernelINS0_14default_configENS1_29reduce_by_key_config_selectorIjjN6thrust23THRUST_200600_302600_NS4plusIjEEEEZZNS1_33reduce_by_key_impl_wrapped_configILNS1_25lookback_scan_determinismE0ES3_S9_NS6_6detail15normal_iteratorINS6_10device_ptrIjEEEESG_SG_SG_PmS8_NS6_8equal_toIjEEEE10hipError_tPvRmT2_T3_mT4_T5_T6_T7_T8_P12ihipStream_tbENKUlT_T0_E_clISt17integral_constantIbLb1EES11_EEDaSW_SX_EUlSW_E_NS1_11comp_targetILNS1_3genE2ELNS1_11target_archE906ELNS1_3gpuE6ELNS1_3repE0EEENS1_30default_config_static_selectorELNS0_4arch9wavefront6targetE1EEEvT1_
	.p2align	8
	.type	_ZN7rocprim17ROCPRIM_400000_NS6detail17trampoline_kernelINS0_14default_configENS1_29reduce_by_key_config_selectorIjjN6thrust23THRUST_200600_302600_NS4plusIjEEEEZZNS1_33reduce_by_key_impl_wrapped_configILNS1_25lookback_scan_determinismE0ES3_S9_NS6_6detail15normal_iteratorINS6_10device_ptrIjEEEESG_SG_SG_PmS8_NS6_8equal_toIjEEEE10hipError_tPvRmT2_T3_mT4_T5_T6_T7_T8_P12ihipStream_tbENKUlT_T0_E_clISt17integral_constantIbLb1EES11_EEDaSW_SX_EUlSW_E_NS1_11comp_targetILNS1_3genE2ELNS1_11target_archE906ELNS1_3gpuE6ELNS1_3repE0EEENS1_30default_config_static_selectorELNS0_4arch9wavefront6targetE1EEEvT1_,@function
_ZN7rocprim17ROCPRIM_400000_NS6detail17trampoline_kernelINS0_14default_configENS1_29reduce_by_key_config_selectorIjjN6thrust23THRUST_200600_302600_NS4plusIjEEEEZZNS1_33reduce_by_key_impl_wrapped_configILNS1_25lookback_scan_determinismE0ES3_S9_NS6_6detail15normal_iteratorINS6_10device_ptrIjEEEESG_SG_SG_PmS8_NS6_8equal_toIjEEEE10hipError_tPvRmT2_T3_mT4_T5_T6_T7_T8_P12ihipStream_tbENKUlT_T0_E_clISt17integral_constantIbLb1EES11_EEDaSW_SX_EUlSW_E_NS1_11comp_targetILNS1_3genE2ELNS1_11target_archE906ELNS1_3gpuE6ELNS1_3repE0EEENS1_30default_config_static_selectorELNS0_4arch9wavefront6targetE1EEEvT1_: ; @_ZN7rocprim17ROCPRIM_400000_NS6detail17trampoline_kernelINS0_14default_configENS1_29reduce_by_key_config_selectorIjjN6thrust23THRUST_200600_302600_NS4plusIjEEEEZZNS1_33reduce_by_key_impl_wrapped_configILNS1_25lookback_scan_determinismE0ES3_S9_NS6_6detail15normal_iteratorINS6_10device_ptrIjEEEESG_SG_SG_PmS8_NS6_8equal_toIjEEEE10hipError_tPvRmT2_T3_mT4_T5_T6_T7_T8_P12ihipStream_tbENKUlT_T0_E_clISt17integral_constantIbLb1EES11_EEDaSW_SX_EUlSW_E_NS1_11comp_targetILNS1_3genE2ELNS1_11target_archE906ELNS1_3gpuE6ELNS1_3repE0EEENS1_30default_config_static_selectorELNS0_4arch9wavefront6targetE1EEEvT1_
; %bb.0:
	.section	.rodata,"a",@progbits
	.p2align	6, 0x0
	.amdhsa_kernel _ZN7rocprim17ROCPRIM_400000_NS6detail17trampoline_kernelINS0_14default_configENS1_29reduce_by_key_config_selectorIjjN6thrust23THRUST_200600_302600_NS4plusIjEEEEZZNS1_33reduce_by_key_impl_wrapped_configILNS1_25lookback_scan_determinismE0ES3_S9_NS6_6detail15normal_iteratorINS6_10device_ptrIjEEEESG_SG_SG_PmS8_NS6_8equal_toIjEEEE10hipError_tPvRmT2_T3_mT4_T5_T6_T7_T8_P12ihipStream_tbENKUlT_T0_E_clISt17integral_constantIbLb1EES11_EEDaSW_SX_EUlSW_E_NS1_11comp_targetILNS1_3genE2ELNS1_11target_archE906ELNS1_3gpuE6ELNS1_3repE0EEENS1_30default_config_static_selectorELNS0_4arch9wavefront6targetE1EEEvT1_
		.amdhsa_group_segment_fixed_size 0
		.amdhsa_private_segment_fixed_size 0
		.amdhsa_kernarg_size 120
		.amdhsa_user_sgpr_count 6
		.amdhsa_user_sgpr_private_segment_buffer 1
		.amdhsa_user_sgpr_dispatch_ptr 0
		.amdhsa_user_sgpr_queue_ptr 0
		.amdhsa_user_sgpr_kernarg_segment_ptr 1
		.amdhsa_user_sgpr_dispatch_id 0
		.amdhsa_user_sgpr_flat_scratch_init 0
		.amdhsa_user_sgpr_kernarg_preload_length 0
		.amdhsa_user_sgpr_kernarg_preload_offset 0
		.amdhsa_user_sgpr_private_segment_size 0
		.amdhsa_uses_dynamic_stack 0
		.amdhsa_system_sgpr_private_segment_wavefront_offset 0
		.amdhsa_system_sgpr_workgroup_id_x 1
		.amdhsa_system_sgpr_workgroup_id_y 0
		.amdhsa_system_sgpr_workgroup_id_z 0
		.amdhsa_system_sgpr_workgroup_info 0
		.amdhsa_system_vgpr_workitem_id 0
		.amdhsa_next_free_vgpr 1
		.amdhsa_next_free_sgpr 0
		.amdhsa_accum_offset 4
		.amdhsa_reserve_vcc 0
		.amdhsa_reserve_flat_scratch 0
		.amdhsa_float_round_mode_32 0
		.amdhsa_float_round_mode_16_64 0
		.amdhsa_float_denorm_mode_32 3
		.amdhsa_float_denorm_mode_16_64 3
		.amdhsa_dx10_clamp 1
		.amdhsa_ieee_mode 1
		.amdhsa_fp16_overflow 0
		.amdhsa_tg_split 0
		.amdhsa_exception_fp_ieee_invalid_op 0
		.amdhsa_exception_fp_denorm_src 0
		.amdhsa_exception_fp_ieee_div_zero 0
		.amdhsa_exception_fp_ieee_overflow 0
		.amdhsa_exception_fp_ieee_underflow 0
		.amdhsa_exception_fp_ieee_inexact 0
		.amdhsa_exception_int_div_zero 0
	.end_amdhsa_kernel
	.section	.text._ZN7rocprim17ROCPRIM_400000_NS6detail17trampoline_kernelINS0_14default_configENS1_29reduce_by_key_config_selectorIjjN6thrust23THRUST_200600_302600_NS4plusIjEEEEZZNS1_33reduce_by_key_impl_wrapped_configILNS1_25lookback_scan_determinismE0ES3_S9_NS6_6detail15normal_iteratorINS6_10device_ptrIjEEEESG_SG_SG_PmS8_NS6_8equal_toIjEEEE10hipError_tPvRmT2_T3_mT4_T5_T6_T7_T8_P12ihipStream_tbENKUlT_T0_E_clISt17integral_constantIbLb1EES11_EEDaSW_SX_EUlSW_E_NS1_11comp_targetILNS1_3genE2ELNS1_11target_archE906ELNS1_3gpuE6ELNS1_3repE0EEENS1_30default_config_static_selectorELNS0_4arch9wavefront6targetE1EEEvT1_,"axG",@progbits,_ZN7rocprim17ROCPRIM_400000_NS6detail17trampoline_kernelINS0_14default_configENS1_29reduce_by_key_config_selectorIjjN6thrust23THRUST_200600_302600_NS4plusIjEEEEZZNS1_33reduce_by_key_impl_wrapped_configILNS1_25lookback_scan_determinismE0ES3_S9_NS6_6detail15normal_iteratorINS6_10device_ptrIjEEEESG_SG_SG_PmS8_NS6_8equal_toIjEEEE10hipError_tPvRmT2_T3_mT4_T5_T6_T7_T8_P12ihipStream_tbENKUlT_T0_E_clISt17integral_constantIbLb1EES11_EEDaSW_SX_EUlSW_E_NS1_11comp_targetILNS1_3genE2ELNS1_11target_archE906ELNS1_3gpuE6ELNS1_3repE0EEENS1_30default_config_static_selectorELNS0_4arch9wavefront6targetE1EEEvT1_,comdat
.Lfunc_end329:
	.size	_ZN7rocprim17ROCPRIM_400000_NS6detail17trampoline_kernelINS0_14default_configENS1_29reduce_by_key_config_selectorIjjN6thrust23THRUST_200600_302600_NS4plusIjEEEEZZNS1_33reduce_by_key_impl_wrapped_configILNS1_25lookback_scan_determinismE0ES3_S9_NS6_6detail15normal_iteratorINS6_10device_ptrIjEEEESG_SG_SG_PmS8_NS6_8equal_toIjEEEE10hipError_tPvRmT2_T3_mT4_T5_T6_T7_T8_P12ihipStream_tbENKUlT_T0_E_clISt17integral_constantIbLb1EES11_EEDaSW_SX_EUlSW_E_NS1_11comp_targetILNS1_3genE2ELNS1_11target_archE906ELNS1_3gpuE6ELNS1_3repE0EEENS1_30default_config_static_selectorELNS0_4arch9wavefront6targetE1EEEvT1_, .Lfunc_end329-_ZN7rocprim17ROCPRIM_400000_NS6detail17trampoline_kernelINS0_14default_configENS1_29reduce_by_key_config_selectorIjjN6thrust23THRUST_200600_302600_NS4plusIjEEEEZZNS1_33reduce_by_key_impl_wrapped_configILNS1_25lookback_scan_determinismE0ES3_S9_NS6_6detail15normal_iteratorINS6_10device_ptrIjEEEESG_SG_SG_PmS8_NS6_8equal_toIjEEEE10hipError_tPvRmT2_T3_mT4_T5_T6_T7_T8_P12ihipStream_tbENKUlT_T0_E_clISt17integral_constantIbLb1EES11_EEDaSW_SX_EUlSW_E_NS1_11comp_targetILNS1_3genE2ELNS1_11target_archE906ELNS1_3gpuE6ELNS1_3repE0EEENS1_30default_config_static_selectorELNS0_4arch9wavefront6targetE1EEEvT1_
                                        ; -- End function
	.section	.AMDGPU.csdata,"",@progbits
; Kernel info:
; codeLenInByte = 0
; NumSgprs: 4
; NumVgprs: 0
; NumAgprs: 0
; TotalNumVgprs: 0
; ScratchSize: 0
; MemoryBound: 0
; FloatMode: 240
; IeeeMode: 1
; LDSByteSize: 0 bytes/workgroup (compile time only)
; SGPRBlocks: 0
; VGPRBlocks: 0
; NumSGPRsForWavesPerEU: 4
; NumVGPRsForWavesPerEU: 1
; AccumOffset: 4
; Occupancy: 8
; WaveLimiterHint : 0
; COMPUTE_PGM_RSRC2:SCRATCH_EN: 0
; COMPUTE_PGM_RSRC2:USER_SGPR: 6
; COMPUTE_PGM_RSRC2:TRAP_HANDLER: 0
; COMPUTE_PGM_RSRC2:TGID_X_EN: 1
; COMPUTE_PGM_RSRC2:TGID_Y_EN: 0
; COMPUTE_PGM_RSRC2:TGID_Z_EN: 0
; COMPUTE_PGM_RSRC2:TIDIG_COMP_CNT: 0
; COMPUTE_PGM_RSRC3_GFX90A:ACCUM_OFFSET: 0
; COMPUTE_PGM_RSRC3_GFX90A:TG_SPLIT: 0
	.section	.text._ZN7rocprim17ROCPRIM_400000_NS6detail17trampoline_kernelINS0_14default_configENS1_29reduce_by_key_config_selectorIjjN6thrust23THRUST_200600_302600_NS4plusIjEEEEZZNS1_33reduce_by_key_impl_wrapped_configILNS1_25lookback_scan_determinismE0ES3_S9_NS6_6detail15normal_iteratorINS6_10device_ptrIjEEEESG_SG_SG_PmS8_NS6_8equal_toIjEEEE10hipError_tPvRmT2_T3_mT4_T5_T6_T7_T8_P12ihipStream_tbENKUlT_T0_E_clISt17integral_constantIbLb1EES11_EEDaSW_SX_EUlSW_E_NS1_11comp_targetILNS1_3genE10ELNS1_11target_archE1201ELNS1_3gpuE5ELNS1_3repE0EEENS1_30default_config_static_selectorELNS0_4arch9wavefront6targetE1EEEvT1_,"axG",@progbits,_ZN7rocprim17ROCPRIM_400000_NS6detail17trampoline_kernelINS0_14default_configENS1_29reduce_by_key_config_selectorIjjN6thrust23THRUST_200600_302600_NS4plusIjEEEEZZNS1_33reduce_by_key_impl_wrapped_configILNS1_25lookback_scan_determinismE0ES3_S9_NS6_6detail15normal_iteratorINS6_10device_ptrIjEEEESG_SG_SG_PmS8_NS6_8equal_toIjEEEE10hipError_tPvRmT2_T3_mT4_T5_T6_T7_T8_P12ihipStream_tbENKUlT_T0_E_clISt17integral_constantIbLb1EES11_EEDaSW_SX_EUlSW_E_NS1_11comp_targetILNS1_3genE10ELNS1_11target_archE1201ELNS1_3gpuE5ELNS1_3repE0EEENS1_30default_config_static_selectorELNS0_4arch9wavefront6targetE1EEEvT1_,comdat
	.protected	_ZN7rocprim17ROCPRIM_400000_NS6detail17trampoline_kernelINS0_14default_configENS1_29reduce_by_key_config_selectorIjjN6thrust23THRUST_200600_302600_NS4plusIjEEEEZZNS1_33reduce_by_key_impl_wrapped_configILNS1_25lookback_scan_determinismE0ES3_S9_NS6_6detail15normal_iteratorINS6_10device_ptrIjEEEESG_SG_SG_PmS8_NS6_8equal_toIjEEEE10hipError_tPvRmT2_T3_mT4_T5_T6_T7_T8_P12ihipStream_tbENKUlT_T0_E_clISt17integral_constantIbLb1EES11_EEDaSW_SX_EUlSW_E_NS1_11comp_targetILNS1_3genE10ELNS1_11target_archE1201ELNS1_3gpuE5ELNS1_3repE0EEENS1_30default_config_static_selectorELNS0_4arch9wavefront6targetE1EEEvT1_ ; -- Begin function _ZN7rocprim17ROCPRIM_400000_NS6detail17trampoline_kernelINS0_14default_configENS1_29reduce_by_key_config_selectorIjjN6thrust23THRUST_200600_302600_NS4plusIjEEEEZZNS1_33reduce_by_key_impl_wrapped_configILNS1_25lookback_scan_determinismE0ES3_S9_NS6_6detail15normal_iteratorINS6_10device_ptrIjEEEESG_SG_SG_PmS8_NS6_8equal_toIjEEEE10hipError_tPvRmT2_T3_mT4_T5_T6_T7_T8_P12ihipStream_tbENKUlT_T0_E_clISt17integral_constantIbLb1EES11_EEDaSW_SX_EUlSW_E_NS1_11comp_targetILNS1_3genE10ELNS1_11target_archE1201ELNS1_3gpuE5ELNS1_3repE0EEENS1_30default_config_static_selectorELNS0_4arch9wavefront6targetE1EEEvT1_
	.globl	_ZN7rocprim17ROCPRIM_400000_NS6detail17trampoline_kernelINS0_14default_configENS1_29reduce_by_key_config_selectorIjjN6thrust23THRUST_200600_302600_NS4plusIjEEEEZZNS1_33reduce_by_key_impl_wrapped_configILNS1_25lookback_scan_determinismE0ES3_S9_NS6_6detail15normal_iteratorINS6_10device_ptrIjEEEESG_SG_SG_PmS8_NS6_8equal_toIjEEEE10hipError_tPvRmT2_T3_mT4_T5_T6_T7_T8_P12ihipStream_tbENKUlT_T0_E_clISt17integral_constantIbLb1EES11_EEDaSW_SX_EUlSW_E_NS1_11comp_targetILNS1_3genE10ELNS1_11target_archE1201ELNS1_3gpuE5ELNS1_3repE0EEENS1_30default_config_static_selectorELNS0_4arch9wavefront6targetE1EEEvT1_
	.p2align	8
	.type	_ZN7rocprim17ROCPRIM_400000_NS6detail17trampoline_kernelINS0_14default_configENS1_29reduce_by_key_config_selectorIjjN6thrust23THRUST_200600_302600_NS4plusIjEEEEZZNS1_33reduce_by_key_impl_wrapped_configILNS1_25lookback_scan_determinismE0ES3_S9_NS6_6detail15normal_iteratorINS6_10device_ptrIjEEEESG_SG_SG_PmS8_NS6_8equal_toIjEEEE10hipError_tPvRmT2_T3_mT4_T5_T6_T7_T8_P12ihipStream_tbENKUlT_T0_E_clISt17integral_constantIbLb1EES11_EEDaSW_SX_EUlSW_E_NS1_11comp_targetILNS1_3genE10ELNS1_11target_archE1201ELNS1_3gpuE5ELNS1_3repE0EEENS1_30default_config_static_selectorELNS0_4arch9wavefront6targetE1EEEvT1_,@function
_ZN7rocprim17ROCPRIM_400000_NS6detail17trampoline_kernelINS0_14default_configENS1_29reduce_by_key_config_selectorIjjN6thrust23THRUST_200600_302600_NS4plusIjEEEEZZNS1_33reduce_by_key_impl_wrapped_configILNS1_25lookback_scan_determinismE0ES3_S9_NS6_6detail15normal_iteratorINS6_10device_ptrIjEEEESG_SG_SG_PmS8_NS6_8equal_toIjEEEE10hipError_tPvRmT2_T3_mT4_T5_T6_T7_T8_P12ihipStream_tbENKUlT_T0_E_clISt17integral_constantIbLb1EES11_EEDaSW_SX_EUlSW_E_NS1_11comp_targetILNS1_3genE10ELNS1_11target_archE1201ELNS1_3gpuE5ELNS1_3repE0EEENS1_30default_config_static_selectorELNS0_4arch9wavefront6targetE1EEEvT1_: ; @_ZN7rocprim17ROCPRIM_400000_NS6detail17trampoline_kernelINS0_14default_configENS1_29reduce_by_key_config_selectorIjjN6thrust23THRUST_200600_302600_NS4plusIjEEEEZZNS1_33reduce_by_key_impl_wrapped_configILNS1_25lookback_scan_determinismE0ES3_S9_NS6_6detail15normal_iteratorINS6_10device_ptrIjEEEESG_SG_SG_PmS8_NS6_8equal_toIjEEEE10hipError_tPvRmT2_T3_mT4_T5_T6_T7_T8_P12ihipStream_tbENKUlT_T0_E_clISt17integral_constantIbLb1EES11_EEDaSW_SX_EUlSW_E_NS1_11comp_targetILNS1_3genE10ELNS1_11target_archE1201ELNS1_3gpuE5ELNS1_3repE0EEENS1_30default_config_static_selectorELNS0_4arch9wavefront6targetE1EEEvT1_
; %bb.0:
	.section	.rodata,"a",@progbits
	.p2align	6, 0x0
	.amdhsa_kernel _ZN7rocprim17ROCPRIM_400000_NS6detail17trampoline_kernelINS0_14default_configENS1_29reduce_by_key_config_selectorIjjN6thrust23THRUST_200600_302600_NS4plusIjEEEEZZNS1_33reduce_by_key_impl_wrapped_configILNS1_25lookback_scan_determinismE0ES3_S9_NS6_6detail15normal_iteratorINS6_10device_ptrIjEEEESG_SG_SG_PmS8_NS6_8equal_toIjEEEE10hipError_tPvRmT2_T3_mT4_T5_T6_T7_T8_P12ihipStream_tbENKUlT_T0_E_clISt17integral_constantIbLb1EES11_EEDaSW_SX_EUlSW_E_NS1_11comp_targetILNS1_3genE10ELNS1_11target_archE1201ELNS1_3gpuE5ELNS1_3repE0EEENS1_30default_config_static_selectorELNS0_4arch9wavefront6targetE1EEEvT1_
		.amdhsa_group_segment_fixed_size 0
		.amdhsa_private_segment_fixed_size 0
		.amdhsa_kernarg_size 120
		.amdhsa_user_sgpr_count 6
		.amdhsa_user_sgpr_private_segment_buffer 1
		.amdhsa_user_sgpr_dispatch_ptr 0
		.amdhsa_user_sgpr_queue_ptr 0
		.amdhsa_user_sgpr_kernarg_segment_ptr 1
		.amdhsa_user_sgpr_dispatch_id 0
		.amdhsa_user_sgpr_flat_scratch_init 0
		.amdhsa_user_sgpr_kernarg_preload_length 0
		.amdhsa_user_sgpr_kernarg_preload_offset 0
		.amdhsa_user_sgpr_private_segment_size 0
		.amdhsa_uses_dynamic_stack 0
		.amdhsa_system_sgpr_private_segment_wavefront_offset 0
		.amdhsa_system_sgpr_workgroup_id_x 1
		.amdhsa_system_sgpr_workgroup_id_y 0
		.amdhsa_system_sgpr_workgroup_id_z 0
		.amdhsa_system_sgpr_workgroup_info 0
		.amdhsa_system_vgpr_workitem_id 0
		.amdhsa_next_free_vgpr 1
		.amdhsa_next_free_sgpr 0
		.amdhsa_accum_offset 4
		.amdhsa_reserve_vcc 0
		.amdhsa_reserve_flat_scratch 0
		.amdhsa_float_round_mode_32 0
		.amdhsa_float_round_mode_16_64 0
		.amdhsa_float_denorm_mode_32 3
		.amdhsa_float_denorm_mode_16_64 3
		.amdhsa_dx10_clamp 1
		.amdhsa_ieee_mode 1
		.amdhsa_fp16_overflow 0
		.amdhsa_tg_split 0
		.amdhsa_exception_fp_ieee_invalid_op 0
		.amdhsa_exception_fp_denorm_src 0
		.amdhsa_exception_fp_ieee_div_zero 0
		.amdhsa_exception_fp_ieee_overflow 0
		.amdhsa_exception_fp_ieee_underflow 0
		.amdhsa_exception_fp_ieee_inexact 0
		.amdhsa_exception_int_div_zero 0
	.end_amdhsa_kernel
	.section	.text._ZN7rocprim17ROCPRIM_400000_NS6detail17trampoline_kernelINS0_14default_configENS1_29reduce_by_key_config_selectorIjjN6thrust23THRUST_200600_302600_NS4plusIjEEEEZZNS1_33reduce_by_key_impl_wrapped_configILNS1_25lookback_scan_determinismE0ES3_S9_NS6_6detail15normal_iteratorINS6_10device_ptrIjEEEESG_SG_SG_PmS8_NS6_8equal_toIjEEEE10hipError_tPvRmT2_T3_mT4_T5_T6_T7_T8_P12ihipStream_tbENKUlT_T0_E_clISt17integral_constantIbLb1EES11_EEDaSW_SX_EUlSW_E_NS1_11comp_targetILNS1_3genE10ELNS1_11target_archE1201ELNS1_3gpuE5ELNS1_3repE0EEENS1_30default_config_static_selectorELNS0_4arch9wavefront6targetE1EEEvT1_,"axG",@progbits,_ZN7rocprim17ROCPRIM_400000_NS6detail17trampoline_kernelINS0_14default_configENS1_29reduce_by_key_config_selectorIjjN6thrust23THRUST_200600_302600_NS4plusIjEEEEZZNS1_33reduce_by_key_impl_wrapped_configILNS1_25lookback_scan_determinismE0ES3_S9_NS6_6detail15normal_iteratorINS6_10device_ptrIjEEEESG_SG_SG_PmS8_NS6_8equal_toIjEEEE10hipError_tPvRmT2_T3_mT4_T5_T6_T7_T8_P12ihipStream_tbENKUlT_T0_E_clISt17integral_constantIbLb1EES11_EEDaSW_SX_EUlSW_E_NS1_11comp_targetILNS1_3genE10ELNS1_11target_archE1201ELNS1_3gpuE5ELNS1_3repE0EEENS1_30default_config_static_selectorELNS0_4arch9wavefront6targetE1EEEvT1_,comdat
.Lfunc_end330:
	.size	_ZN7rocprim17ROCPRIM_400000_NS6detail17trampoline_kernelINS0_14default_configENS1_29reduce_by_key_config_selectorIjjN6thrust23THRUST_200600_302600_NS4plusIjEEEEZZNS1_33reduce_by_key_impl_wrapped_configILNS1_25lookback_scan_determinismE0ES3_S9_NS6_6detail15normal_iteratorINS6_10device_ptrIjEEEESG_SG_SG_PmS8_NS6_8equal_toIjEEEE10hipError_tPvRmT2_T3_mT4_T5_T6_T7_T8_P12ihipStream_tbENKUlT_T0_E_clISt17integral_constantIbLb1EES11_EEDaSW_SX_EUlSW_E_NS1_11comp_targetILNS1_3genE10ELNS1_11target_archE1201ELNS1_3gpuE5ELNS1_3repE0EEENS1_30default_config_static_selectorELNS0_4arch9wavefront6targetE1EEEvT1_, .Lfunc_end330-_ZN7rocprim17ROCPRIM_400000_NS6detail17trampoline_kernelINS0_14default_configENS1_29reduce_by_key_config_selectorIjjN6thrust23THRUST_200600_302600_NS4plusIjEEEEZZNS1_33reduce_by_key_impl_wrapped_configILNS1_25lookback_scan_determinismE0ES3_S9_NS6_6detail15normal_iteratorINS6_10device_ptrIjEEEESG_SG_SG_PmS8_NS6_8equal_toIjEEEE10hipError_tPvRmT2_T3_mT4_T5_T6_T7_T8_P12ihipStream_tbENKUlT_T0_E_clISt17integral_constantIbLb1EES11_EEDaSW_SX_EUlSW_E_NS1_11comp_targetILNS1_3genE10ELNS1_11target_archE1201ELNS1_3gpuE5ELNS1_3repE0EEENS1_30default_config_static_selectorELNS0_4arch9wavefront6targetE1EEEvT1_
                                        ; -- End function
	.section	.AMDGPU.csdata,"",@progbits
; Kernel info:
; codeLenInByte = 0
; NumSgprs: 4
; NumVgprs: 0
; NumAgprs: 0
; TotalNumVgprs: 0
; ScratchSize: 0
; MemoryBound: 0
; FloatMode: 240
; IeeeMode: 1
; LDSByteSize: 0 bytes/workgroup (compile time only)
; SGPRBlocks: 0
; VGPRBlocks: 0
; NumSGPRsForWavesPerEU: 4
; NumVGPRsForWavesPerEU: 1
; AccumOffset: 4
; Occupancy: 8
; WaveLimiterHint : 0
; COMPUTE_PGM_RSRC2:SCRATCH_EN: 0
; COMPUTE_PGM_RSRC2:USER_SGPR: 6
; COMPUTE_PGM_RSRC2:TRAP_HANDLER: 0
; COMPUTE_PGM_RSRC2:TGID_X_EN: 1
; COMPUTE_PGM_RSRC2:TGID_Y_EN: 0
; COMPUTE_PGM_RSRC2:TGID_Z_EN: 0
; COMPUTE_PGM_RSRC2:TIDIG_COMP_CNT: 0
; COMPUTE_PGM_RSRC3_GFX90A:ACCUM_OFFSET: 0
; COMPUTE_PGM_RSRC3_GFX90A:TG_SPLIT: 0
	.section	.text._ZN7rocprim17ROCPRIM_400000_NS6detail17trampoline_kernelINS0_14default_configENS1_29reduce_by_key_config_selectorIjjN6thrust23THRUST_200600_302600_NS4plusIjEEEEZZNS1_33reduce_by_key_impl_wrapped_configILNS1_25lookback_scan_determinismE0ES3_S9_NS6_6detail15normal_iteratorINS6_10device_ptrIjEEEESG_SG_SG_PmS8_NS6_8equal_toIjEEEE10hipError_tPvRmT2_T3_mT4_T5_T6_T7_T8_P12ihipStream_tbENKUlT_T0_E_clISt17integral_constantIbLb1EES11_EEDaSW_SX_EUlSW_E_NS1_11comp_targetILNS1_3genE10ELNS1_11target_archE1200ELNS1_3gpuE4ELNS1_3repE0EEENS1_30default_config_static_selectorELNS0_4arch9wavefront6targetE1EEEvT1_,"axG",@progbits,_ZN7rocprim17ROCPRIM_400000_NS6detail17trampoline_kernelINS0_14default_configENS1_29reduce_by_key_config_selectorIjjN6thrust23THRUST_200600_302600_NS4plusIjEEEEZZNS1_33reduce_by_key_impl_wrapped_configILNS1_25lookback_scan_determinismE0ES3_S9_NS6_6detail15normal_iteratorINS6_10device_ptrIjEEEESG_SG_SG_PmS8_NS6_8equal_toIjEEEE10hipError_tPvRmT2_T3_mT4_T5_T6_T7_T8_P12ihipStream_tbENKUlT_T0_E_clISt17integral_constantIbLb1EES11_EEDaSW_SX_EUlSW_E_NS1_11comp_targetILNS1_3genE10ELNS1_11target_archE1200ELNS1_3gpuE4ELNS1_3repE0EEENS1_30default_config_static_selectorELNS0_4arch9wavefront6targetE1EEEvT1_,comdat
	.protected	_ZN7rocprim17ROCPRIM_400000_NS6detail17trampoline_kernelINS0_14default_configENS1_29reduce_by_key_config_selectorIjjN6thrust23THRUST_200600_302600_NS4plusIjEEEEZZNS1_33reduce_by_key_impl_wrapped_configILNS1_25lookback_scan_determinismE0ES3_S9_NS6_6detail15normal_iteratorINS6_10device_ptrIjEEEESG_SG_SG_PmS8_NS6_8equal_toIjEEEE10hipError_tPvRmT2_T3_mT4_T5_T6_T7_T8_P12ihipStream_tbENKUlT_T0_E_clISt17integral_constantIbLb1EES11_EEDaSW_SX_EUlSW_E_NS1_11comp_targetILNS1_3genE10ELNS1_11target_archE1200ELNS1_3gpuE4ELNS1_3repE0EEENS1_30default_config_static_selectorELNS0_4arch9wavefront6targetE1EEEvT1_ ; -- Begin function _ZN7rocprim17ROCPRIM_400000_NS6detail17trampoline_kernelINS0_14default_configENS1_29reduce_by_key_config_selectorIjjN6thrust23THRUST_200600_302600_NS4plusIjEEEEZZNS1_33reduce_by_key_impl_wrapped_configILNS1_25lookback_scan_determinismE0ES3_S9_NS6_6detail15normal_iteratorINS6_10device_ptrIjEEEESG_SG_SG_PmS8_NS6_8equal_toIjEEEE10hipError_tPvRmT2_T3_mT4_T5_T6_T7_T8_P12ihipStream_tbENKUlT_T0_E_clISt17integral_constantIbLb1EES11_EEDaSW_SX_EUlSW_E_NS1_11comp_targetILNS1_3genE10ELNS1_11target_archE1200ELNS1_3gpuE4ELNS1_3repE0EEENS1_30default_config_static_selectorELNS0_4arch9wavefront6targetE1EEEvT1_
	.globl	_ZN7rocprim17ROCPRIM_400000_NS6detail17trampoline_kernelINS0_14default_configENS1_29reduce_by_key_config_selectorIjjN6thrust23THRUST_200600_302600_NS4plusIjEEEEZZNS1_33reduce_by_key_impl_wrapped_configILNS1_25lookback_scan_determinismE0ES3_S9_NS6_6detail15normal_iteratorINS6_10device_ptrIjEEEESG_SG_SG_PmS8_NS6_8equal_toIjEEEE10hipError_tPvRmT2_T3_mT4_T5_T6_T7_T8_P12ihipStream_tbENKUlT_T0_E_clISt17integral_constantIbLb1EES11_EEDaSW_SX_EUlSW_E_NS1_11comp_targetILNS1_3genE10ELNS1_11target_archE1200ELNS1_3gpuE4ELNS1_3repE0EEENS1_30default_config_static_selectorELNS0_4arch9wavefront6targetE1EEEvT1_
	.p2align	8
	.type	_ZN7rocprim17ROCPRIM_400000_NS6detail17trampoline_kernelINS0_14default_configENS1_29reduce_by_key_config_selectorIjjN6thrust23THRUST_200600_302600_NS4plusIjEEEEZZNS1_33reduce_by_key_impl_wrapped_configILNS1_25lookback_scan_determinismE0ES3_S9_NS6_6detail15normal_iteratorINS6_10device_ptrIjEEEESG_SG_SG_PmS8_NS6_8equal_toIjEEEE10hipError_tPvRmT2_T3_mT4_T5_T6_T7_T8_P12ihipStream_tbENKUlT_T0_E_clISt17integral_constantIbLb1EES11_EEDaSW_SX_EUlSW_E_NS1_11comp_targetILNS1_3genE10ELNS1_11target_archE1200ELNS1_3gpuE4ELNS1_3repE0EEENS1_30default_config_static_selectorELNS0_4arch9wavefront6targetE1EEEvT1_,@function
_ZN7rocprim17ROCPRIM_400000_NS6detail17trampoline_kernelINS0_14default_configENS1_29reduce_by_key_config_selectorIjjN6thrust23THRUST_200600_302600_NS4plusIjEEEEZZNS1_33reduce_by_key_impl_wrapped_configILNS1_25lookback_scan_determinismE0ES3_S9_NS6_6detail15normal_iteratorINS6_10device_ptrIjEEEESG_SG_SG_PmS8_NS6_8equal_toIjEEEE10hipError_tPvRmT2_T3_mT4_T5_T6_T7_T8_P12ihipStream_tbENKUlT_T0_E_clISt17integral_constantIbLb1EES11_EEDaSW_SX_EUlSW_E_NS1_11comp_targetILNS1_3genE10ELNS1_11target_archE1200ELNS1_3gpuE4ELNS1_3repE0EEENS1_30default_config_static_selectorELNS0_4arch9wavefront6targetE1EEEvT1_: ; @_ZN7rocprim17ROCPRIM_400000_NS6detail17trampoline_kernelINS0_14default_configENS1_29reduce_by_key_config_selectorIjjN6thrust23THRUST_200600_302600_NS4plusIjEEEEZZNS1_33reduce_by_key_impl_wrapped_configILNS1_25lookback_scan_determinismE0ES3_S9_NS6_6detail15normal_iteratorINS6_10device_ptrIjEEEESG_SG_SG_PmS8_NS6_8equal_toIjEEEE10hipError_tPvRmT2_T3_mT4_T5_T6_T7_T8_P12ihipStream_tbENKUlT_T0_E_clISt17integral_constantIbLb1EES11_EEDaSW_SX_EUlSW_E_NS1_11comp_targetILNS1_3genE10ELNS1_11target_archE1200ELNS1_3gpuE4ELNS1_3repE0EEENS1_30default_config_static_selectorELNS0_4arch9wavefront6targetE1EEEvT1_
; %bb.0:
	.section	.rodata,"a",@progbits
	.p2align	6, 0x0
	.amdhsa_kernel _ZN7rocprim17ROCPRIM_400000_NS6detail17trampoline_kernelINS0_14default_configENS1_29reduce_by_key_config_selectorIjjN6thrust23THRUST_200600_302600_NS4plusIjEEEEZZNS1_33reduce_by_key_impl_wrapped_configILNS1_25lookback_scan_determinismE0ES3_S9_NS6_6detail15normal_iteratorINS6_10device_ptrIjEEEESG_SG_SG_PmS8_NS6_8equal_toIjEEEE10hipError_tPvRmT2_T3_mT4_T5_T6_T7_T8_P12ihipStream_tbENKUlT_T0_E_clISt17integral_constantIbLb1EES11_EEDaSW_SX_EUlSW_E_NS1_11comp_targetILNS1_3genE10ELNS1_11target_archE1200ELNS1_3gpuE4ELNS1_3repE0EEENS1_30default_config_static_selectorELNS0_4arch9wavefront6targetE1EEEvT1_
		.amdhsa_group_segment_fixed_size 0
		.amdhsa_private_segment_fixed_size 0
		.amdhsa_kernarg_size 120
		.amdhsa_user_sgpr_count 6
		.amdhsa_user_sgpr_private_segment_buffer 1
		.amdhsa_user_sgpr_dispatch_ptr 0
		.amdhsa_user_sgpr_queue_ptr 0
		.amdhsa_user_sgpr_kernarg_segment_ptr 1
		.amdhsa_user_sgpr_dispatch_id 0
		.amdhsa_user_sgpr_flat_scratch_init 0
		.amdhsa_user_sgpr_kernarg_preload_length 0
		.amdhsa_user_sgpr_kernarg_preload_offset 0
		.amdhsa_user_sgpr_private_segment_size 0
		.amdhsa_uses_dynamic_stack 0
		.amdhsa_system_sgpr_private_segment_wavefront_offset 0
		.amdhsa_system_sgpr_workgroup_id_x 1
		.amdhsa_system_sgpr_workgroup_id_y 0
		.amdhsa_system_sgpr_workgroup_id_z 0
		.amdhsa_system_sgpr_workgroup_info 0
		.amdhsa_system_vgpr_workitem_id 0
		.amdhsa_next_free_vgpr 1
		.amdhsa_next_free_sgpr 0
		.amdhsa_accum_offset 4
		.amdhsa_reserve_vcc 0
		.amdhsa_reserve_flat_scratch 0
		.amdhsa_float_round_mode_32 0
		.amdhsa_float_round_mode_16_64 0
		.amdhsa_float_denorm_mode_32 3
		.amdhsa_float_denorm_mode_16_64 3
		.amdhsa_dx10_clamp 1
		.amdhsa_ieee_mode 1
		.amdhsa_fp16_overflow 0
		.amdhsa_tg_split 0
		.amdhsa_exception_fp_ieee_invalid_op 0
		.amdhsa_exception_fp_denorm_src 0
		.amdhsa_exception_fp_ieee_div_zero 0
		.amdhsa_exception_fp_ieee_overflow 0
		.amdhsa_exception_fp_ieee_underflow 0
		.amdhsa_exception_fp_ieee_inexact 0
		.amdhsa_exception_int_div_zero 0
	.end_amdhsa_kernel
	.section	.text._ZN7rocprim17ROCPRIM_400000_NS6detail17trampoline_kernelINS0_14default_configENS1_29reduce_by_key_config_selectorIjjN6thrust23THRUST_200600_302600_NS4plusIjEEEEZZNS1_33reduce_by_key_impl_wrapped_configILNS1_25lookback_scan_determinismE0ES3_S9_NS6_6detail15normal_iteratorINS6_10device_ptrIjEEEESG_SG_SG_PmS8_NS6_8equal_toIjEEEE10hipError_tPvRmT2_T3_mT4_T5_T6_T7_T8_P12ihipStream_tbENKUlT_T0_E_clISt17integral_constantIbLb1EES11_EEDaSW_SX_EUlSW_E_NS1_11comp_targetILNS1_3genE10ELNS1_11target_archE1200ELNS1_3gpuE4ELNS1_3repE0EEENS1_30default_config_static_selectorELNS0_4arch9wavefront6targetE1EEEvT1_,"axG",@progbits,_ZN7rocprim17ROCPRIM_400000_NS6detail17trampoline_kernelINS0_14default_configENS1_29reduce_by_key_config_selectorIjjN6thrust23THRUST_200600_302600_NS4plusIjEEEEZZNS1_33reduce_by_key_impl_wrapped_configILNS1_25lookback_scan_determinismE0ES3_S9_NS6_6detail15normal_iteratorINS6_10device_ptrIjEEEESG_SG_SG_PmS8_NS6_8equal_toIjEEEE10hipError_tPvRmT2_T3_mT4_T5_T6_T7_T8_P12ihipStream_tbENKUlT_T0_E_clISt17integral_constantIbLb1EES11_EEDaSW_SX_EUlSW_E_NS1_11comp_targetILNS1_3genE10ELNS1_11target_archE1200ELNS1_3gpuE4ELNS1_3repE0EEENS1_30default_config_static_selectorELNS0_4arch9wavefront6targetE1EEEvT1_,comdat
.Lfunc_end331:
	.size	_ZN7rocprim17ROCPRIM_400000_NS6detail17trampoline_kernelINS0_14default_configENS1_29reduce_by_key_config_selectorIjjN6thrust23THRUST_200600_302600_NS4plusIjEEEEZZNS1_33reduce_by_key_impl_wrapped_configILNS1_25lookback_scan_determinismE0ES3_S9_NS6_6detail15normal_iteratorINS6_10device_ptrIjEEEESG_SG_SG_PmS8_NS6_8equal_toIjEEEE10hipError_tPvRmT2_T3_mT4_T5_T6_T7_T8_P12ihipStream_tbENKUlT_T0_E_clISt17integral_constantIbLb1EES11_EEDaSW_SX_EUlSW_E_NS1_11comp_targetILNS1_3genE10ELNS1_11target_archE1200ELNS1_3gpuE4ELNS1_3repE0EEENS1_30default_config_static_selectorELNS0_4arch9wavefront6targetE1EEEvT1_, .Lfunc_end331-_ZN7rocprim17ROCPRIM_400000_NS6detail17trampoline_kernelINS0_14default_configENS1_29reduce_by_key_config_selectorIjjN6thrust23THRUST_200600_302600_NS4plusIjEEEEZZNS1_33reduce_by_key_impl_wrapped_configILNS1_25lookback_scan_determinismE0ES3_S9_NS6_6detail15normal_iteratorINS6_10device_ptrIjEEEESG_SG_SG_PmS8_NS6_8equal_toIjEEEE10hipError_tPvRmT2_T3_mT4_T5_T6_T7_T8_P12ihipStream_tbENKUlT_T0_E_clISt17integral_constantIbLb1EES11_EEDaSW_SX_EUlSW_E_NS1_11comp_targetILNS1_3genE10ELNS1_11target_archE1200ELNS1_3gpuE4ELNS1_3repE0EEENS1_30default_config_static_selectorELNS0_4arch9wavefront6targetE1EEEvT1_
                                        ; -- End function
	.section	.AMDGPU.csdata,"",@progbits
; Kernel info:
; codeLenInByte = 0
; NumSgprs: 4
; NumVgprs: 0
; NumAgprs: 0
; TotalNumVgprs: 0
; ScratchSize: 0
; MemoryBound: 0
; FloatMode: 240
; IeeeMode: 1
; LDSByteSize: 0 bytes/workgroup (compile time only)
; SGPRBlocks: 0
; VGPRBlocks: 0
; NumSGPRsForWavesPerEU: 4
; NumVGPRsForWavesPerEU: 1
; AccumOffset: 4
; Occupancy: 8
; WaveLimiterHint : 0
; COMPUTE_PGM_RSRC2:SCRATCH_EN: 0
; COMPUTE_PGM_RSRC2:USER_SGPR: 6
; COMPUTE_PGM_RSRC2:TRAP_HANDLER: 0
; COMPUTE_PGM_RSRC2:TGID_X_EN: 1
; COMPUTE_PGM_RSRC2:TGID_Y_EN: 0
; COMPUTE_PGM_RSRC2:TGID_Z_EN: 0
; COMPUTE_PGM_RSRC2:TIDIG_COMP_CNT: 0
; COMPUTE_PGM_RSRC3_GFX90A:ACCUM_OFFSET: 0
; COMPUTE_PGM_RSRC3_GFX90A:TG_SPLIT: 0
	.section	.text._ZN7rocprim17ROCPRIM_400000_NS6detail17trampoline_kernelINS0_14default_configENS1_29reduce_by_key_config_selectorIjjN6thrust23THRUST_200600_302600_NS4plusIjEEEEZZNS1_33reduce_by_key_impl_wrapped_configILNS1_25lookback_scan_determinismE0ES3_S9_NS6_6detail15normal_iteratorINS6_10device_ptrIjEEEESG_SG_SG_PmS8_NS6_8equal_toIjEEEE10hipError_tPvRmT2_T3_mT4_T5_T6_T7_T8_P12ihipStream_tbENKUlT_T0_E_clISt17integral_constantIbLb1EES11_EEDaSW_SX_EUlSW_E_NS1_11comp_targetILNS1_3genE9ELNS1_11target_archE1100ELNS1_3gpuE3ELNS1_3repE0EEENS1_30default_config_static_selectorELNS0_4arch9wavefront6targetE1EEEvT1_,"axG",@progbits,_ZN7rocprim17ROCPRIM_400000_NS6detail17trampoline_kernelINS0_14default_configENS1_29reduce_by_key_config_selectorIjjN6thrust23THRUST_200600_302600_NS4plusIjEEEEZZNS1_33reduce_by_key_impl_wrapped_configILNS1_25lookback_scan_determinismE0ES3_S9_NS6_6detail15normal_iteratorINS6_10device_ptrIjEEEESG_SG_SG_PmS8_NS6_8equal_toIjEEEE10hipError_tPvRmT2_T3_mT4_T5_T6_T7_T8_P12ihipStream_tbENKUlT_T0_E_clISt17integral_constantIbLb1EES11_EEDaSW_SX_EUlSW_E_NS1_11comp_targetILNS1_3genE9ELNS1_11target_archE1100ELNS1_3gpuE3ELNS1_3repE0EEENS1_30default_config_static_selectorELNS0_4arch9wavefront6targetE1EEEvT1_,comdat
	.protected	_ZN7rocprim17ROCPRIM_400000_NS6detail17trampoline_kernelINS0_14default_configENS1_29reduce_by_key_config_selectorIjjN6thrust23THRUST_200600_302600_NS4plusIjEEEEZZNS1_33reduce_by_key_impl_wrapped_configILNS1_25lookback_scan_determinismE0ES3_S9_NS6_6detail15normal_iteratorINS6_10device_ptrIjEEEESG_SG_SG_PmS8_NS6_8equal_toIjEEEE10hipError_tPvRmT2_T3_mT4_T5_T6_T7_T8_P12ihipStream_tbENKUlT_T0_E_clISt17integral_constantIbLb1EES11_EEDaSW_SX_EUlSW_E_NS1_11comp_targetILNS1_3genE9ELNS1_11target_archE1100ELNS1_3gpuE3ELNS1_3repE0EEENS1_30default_config_static_selectorELNS0_4arch9wavefront6targetE1EEEvT1_ ; -- Begin function _ZN7rocprim17ROCPRIM_400000_NS6detail17trampoline_kernelINS0_14default_configENS1_29reduce_by_key_config_selectorIjjN6thrust23THRUST_200600_302600_NS4plusIjEEEEZZNS1_33reduce_by_key_impl_wrapped_configILNS1_25lookback_scan_determinismE0ES3_S9_NS6_6detail15normal_iteratorINS6_10device_ptrIjEEEESG_SG_SG_PmS8_NS6_8equal_toIjEEEE10hipError_tPvRmT2_T3_mT4_T5_T6_T7_T8_P12ihipStream_tbENKUlT_T0_E_clISt17integral_constantIbLb1EES11_EEDaSW_SX_EUlSW_E_NS1_11comp_targetILNS1_3genE9ELNS1_11target_archE1100ELNS1_3gpuE3ELNS1_3repE0EEENS1_30default_config_static_selectorELNS0_4arch9wavefront6targetE1EEEvT1_
	.globl	_ZN7rocprim17ROCPRIM_400000_NS6detail17trampoline_kernelINS0_14default_configENS1_29reduce_by_key_config_selectorIjjN6thrust23THRUST_200600_302600_NS4plusIjEEEEZZNS1_33reduce_by_key_impl_wrapped_configILNS1_25lookback_scan_determinismE0ES3_S9_NS6_6detail15normal_iteratorINS6_10device_ptrIjEEEESG_SG_SG_PmS8_NS6_8equal_toIjEEEE10hipError_tPvRmT2_T3_mT4_T5_T6_T7_T8_P12ihipStream_tbENKUlT_T0_E_clISt17integral_constantIbLb1EES11_EEDaSW_SX_EUlSW_E_NS1_11comp_targetILNS1_3genE9ELNS1_11target_archE1100ELNS1_3gpuE3ELNS1_3repE0EEENS1_30default_config_static_selectorELNS0_4arch9wavefront6targetE1EEEvT1_
	.p2align	8
	.type	_ZN7rocprim17ROCPRIM_400000_NS6detail17trampoline_kernelINS0_14default_configENS1_29reduce_by_key_config_selectorIjjN6thrust23THRUST_200600_302600_NS4plusIjEEEEZZNS1_33reduce_by_key_impl_wrapped_configILNS1_25lookback_scan_determinismE0ES3_S9_NS6_6detail15normal_iteratorINS6_10device_ptrIjEEEESG_SG_SG_PmS8_NS6_8equal_toIjEEEE10hipError_tPvRmT2_T3_mT4_T5_T6_T7_T8_P12ihipStream_tbENKUlT_T0_E_clISt17integral_constantIbLb1EES11_EEDaSW_SX_EUlSW_E_NS1_11comp_targetILNS1_3genE9ELNS1_11target_archE1100ELNS1_3gpuE3ELNS1_3repE0EEENS1_30default_config_static_selectorELNS0_4arch9wavefront6targetE1EEEvT1_,@function
_ZN7rocprim17ROCPRIM_400000_NS6detail17trampoline_kernelINS0_14default_configENS1_29reduce_by_key_config_selectorIjjN6thrust23THRUST_200600_302600_NS4plusIjEEEEZZNS1_33reduce_by_key_impl_wrapped_configILNS1_25lookback_scan_determinismE0ES3_S9_NS6_6detail15normal_iteratorINS6_10device_ptrIjEEEESG_SG_SG_PmS8_NS6_8equal_toIjEEEE10hipError_tPvRmT2_T3_mT4_T5_T6_T7_T8_P12ihipStream_tbENKUlT_T0_E_clISt17integral_constantIbLb1EES11_EEDaSW_SX_EUlSW_E_NS1_11comp_targetILNS1_3genE9ELNS1_11target_archE1100ELNS1_3gpuE3ELNS1_3repE0EEENS1_30default_config_static_selectorELNS0_4arch9wavefront6targetE1EEEvT1_: ; @_ZN7rocprim17ROCPRIM_400000_NS6detail17trampoline_kernelINS0_14default_configENS1_29reduce_by_key_config_selectorIjjN6thrust23THRUST_200600_302600_NS4plusIjEEEEZZNS1_33reduce_by_key_impl_wrapped_configILNS1_25lookback_scan_determinismE0ES3_S9_NS6_6detail15normal_iteratorINS6_10device_ptrIjEEEESG_SG_SG_PmS8_NS6_8equal_toIjEEEE10hipError_tPvRmT2_T3_mT4_T5_T6_T7_T8_P12ihipStream_tbENKUlT_T0_E_clISt17integral_constantIbLb1EES11_EEDaSW_SX_EUlSW_E_NS1_11comp_targetILNS1_3genE9ELNS1_11target_archE1100ELNS1_3gpuE3ELNS1_3repE0EEENS1_30default_config_static_selectorELNS0_4arch9wavefront6targetE1EEEvT1_
; %bb.0:
	.section	.rodata,"a",@progbits
	.p2align	6, 0x0
	.amdhsa_kernel _ZN7rocprim17ROCPRIM_400000_NS6detail17trampoline_kernelINS0_14default_configENS1_29reduce_by_key_config_selectorIjjN6thrust23THRUST_200600_302600_NS4plusIjEEEEZZNS1_33reduce_by_key_impl_wrapped_configILNS1_25lookback_scan_determinismE0ES3_S9_NS6_6detail15normal_iteratorINS6_10device_ptrIjEEEESG_SG_SG_PmS8_NS6_8equal_toIjEEEE10hipError_tPvRmT2_T3_mT4_T5_T6_T7_T8_P12ihipStream_tbENKUlT_T0_E_clISt17integral_constantIbLb1EES11_EEDaSW_SX_EUlSW_E_NS1_11comp_targetILNS1_3genE9ELNS1_11target_archE1100ELNS1_3gpuE3ELNS1_3repE0EEENS1_30default_config_static_selectorELNS0_4arch9wavefront6targetE1EEEvT1_
		.amdhsa_group_segment_fixed_size 0
		.amdhsa_private_segment_fixed_size 0
		.amdhsa_kernarg_size 120
		.amdhsa_user_sgpr_count 6
		.amdhsa_user_sgpr_private_segment_buffer 1
		.amdhsa_user_sgpr_dispatch_ptr 0
		.amdhsa_user_sgpr_queue_ptr 0
		.amdhsa_user_sgpr_kernarg_segment_ptr 1
		.amdhsa_user_sgpr_dispatch_id 0
		.amdhsa_user_sgpr_flat_scratch_init 0
		.amdhsa_user_sgpr_kernarg_preload_length 0
		.amdhsa_user_sgpr_kernarg_preload_offset 0
		.amdhsa_user_sgpr_private_segment_size 0
		.amdhsa_uses_dynamic_stack 0
		.amdhsa_system_sgpr_private_segment_wavefront_offset 0
		.amdhsa_system_sgpr_workgroup_id_x 1
		.amdhsa_system_sgpr_workgroup_id_y 0
		.amdhsa_system_sgpr_workgroup_id_z 0
		.amdhsa_system_sgpr_workgroup_info 0
		.amdhsa_system_vgpr_workitem_id 0
		.amdhsa_next_free_vgpr 1
		.amdhsa_next_free_sgpr 0
		.amdhsa_accum_offset 4
		.amdhsa_reserve_vcc 0
		.amdhsa_reserve_flat_scratch 0
		.amdhsa_float_round_mode_32 0
		.amdhsa_float_round_mode_16_64 0
		.amdhsa_float_denorm_mode_32 3
		.amdhsa_float_denorm_mode_16_64 3
		.amdhsa_dx10_clamp 1
		.amdhsa_ieee_mode 1
		.amdhsa_fp16_overflow 0
		.amdhsa_tg_split 0
		.amdhsa_exception_fp_ieee_invalid_op 0
		.amdhsa_exception_fp_denorm_src 0
		.amdhsa_exception_fp_ieee_div_zero 0
		.amdhsa_exception_fp_ieee_overflow 0
		.amdhsa_exception_fp_ieee_underflow 0
		.amdhsa_exception_fp_ieee_inexact 0
		.amdhsa_exception_int_div_zero 0
	.end_amdhsa_kernel
	.section	.text._ZN7rocprim17ROCPRIM_400000_NS6detail17trampoline_kernelINS0_14default_configENS1_29reduce_by_key_config_selectorIjjN6thrust23THRUST_200600_302600_NS4plusIjEEEEZZNS1_33reduce_by_key_impl_wrapped_configILNS1_25lookback_scan_determinismE0ES3_S9_NS6_6detail15normal_iteratorINS6_10device_ptrIjEEEESG_SG_SG_PmS8_NS6_8equal_toIjEEEE10hipError_tPvRmT2_T3_mT4_T5_T6_T7_T8_P12ihipStream_tbENKUlT_T0_E_clISt17integral_constantIbLb1EES11_EEDaSW_SX_EUlSW_E_NS1_11comp_targetILNS1_3genE9ELNS1_11target_archE1100ELNS1_3gpuE3ELNS1_3repE0EEENS1_30default_config_static_selectorELNS0_4arch9wavefront6targetE1EEEvT1_,"axG",@progbits,_ZN7rocprim17ROCPRIM_400000_NS6detail17trampoline_kernelINS0_14default_configENS1_29reduce_by_key_config_selectorIjjN6thrust23THRUST_200600_302600_NS4plusIjEEEEZZNS1_33reduce_by_key_impl_wrapped_configILNS1_25lookback_scan_determinismE0ES3_S9_NS6_6detail15normal_iteratorINS6_10device_ptrIjEEEESG_SG_SG_PmS8_NS6_8equal_toIjEEEE10hipError_tPvRmT2_T3_mT4_T5_T6_T7_T8_P12ihipStream_tbENKUlT_T0_E_clISt17integral_constantIbLb1EES11_EEDaSW_SX_EUlSW_E_NS1_11comp_targetILNS1_3genE9ELNS1_11target_archE1100ELNS1_3gpuE3ELNS1_3repE0EEENS1_30default_config_static_selectorELNS0_4arch9wavefront6targetE1EEEvT1_,comdat
.Lfunc_end332:
	.size	_ZN7rocprim17ROCPRIM_400000_NS6detail17trampoline_kernelINS0_14default_configENS1_29reduce_by_key_config_selectorIjjN6thrust23THRUST_200600_302600_NS4plusIjEEEEZZNS1_33reduce_by_key_impl_wrapped_configILNS1_25lookback_scan_determinismE0ES3_S9_NS6_6detail15normal_iteratorINS6_10device_ptrIjEEEESG_SG_SG_PmS8_NS6_8equal_toIjEEEE10hipError_tPvRmT2_T3_mT4_T5_T6_T7_T8_P12ihipStream_tbENKUlT_T0_E_clISt17integral_constantIbLb1EES11_EEDaSW_SX_EUlSW_E_NS1_11comp_targetILNS1_3genE9ELNS1_11target_archE1100ELNS1_3gpuE3ELNS1_3repE0EEENS1_30default_config_static_selectorELNS0_4arch9wavefront6targetE1EEEvT1_, .Lfunc_end332-_ZN7rocprim17ROCPRIM_400000_NS6detail17trampoline_kernelINS0_14default_configENS1_29reduce_by_key_config_selectorIjjN6thrust23THRUST_200600_302600_NS4plusIjEEEEZZNS1_33reduce_by_key_impl_wrapped_configILNS1_25lookback_scan_determinismE0ES3_S9_NS6_6detail15normal_iteratorINS6_10device_ptrIjEEEESG_SG_SG_PmS8_NS6_8equal_toIjEEEE10hipError_tPvRmT2_T3_mT4_T5_T6_T7_T8_P12ihipStream_tbENKUlT_T0_E_clISt17integral_constantIbLb1EES11_EEDaSW_SX_EUlSW_E_NS1_11comp_targetILNS1_3genE9ELNS1_11target_archE1100ELNS1_3gpuE3ELNS1_3repE0EEENS1_30default_config_static_selectorELNS0_4arch9wavefront6targetE1EEEvT1_
                                        ; -- End function
	.section	.AMDGPU.csdata,"",@progbits
; Kernel info:
; codeLenInByte = 0
; NumSgprs: 4
; NumVgprs: 0
; NumAgprs: 0
; TotalNumVgprs: 0
; ScratchSize: 0
; MemoryBound: 0
; FloatMode: 240
; IeeeMode: 1
; LDSByteSize: 0 bytes/workgroup (compile time only)
; SGPRBlocks: 0
; VGPRBlocks: 0
; NumSGPRsForWavesPerEU: 4
; NumVGPRsForWavesPerEU: 1
; AccumOffset: 4
; Occupancy: 8
; WaveLimiterHint : 0
; COMPUTE_PGM_RSRC2:SCRATCH_EN: 0
; COMPUTE_PGM_RSRC2:USER_SGPR: 6
; COMPUTE_PGM_RSRC2:TRAP_HANDLER: 0
; COMPUTE_PGM_RSRC2:TGID_X_EN: 1
; COMPUTE_PGM_RSRC2:TGID_Y_EN: 0
; COMPUTE_PGM_RSRC2:TGID_Z_EN: 0
; COMPUTE_PGM_RSRC2:TIDIG_COMP_CNT: 0
; COMPUTE_PGM_RSRC3_GFX90A:ACCUM_OFFSET: 0
; COMPUTE_PGM_RSRC3_GFX90A:TG_SPLIT: 0
	.section	.text._ZN7rocprim17ROCPRIM_400000_NS6detail17trampoline_kernelINS0_14default_configENS1_29reduce_by_key_config_selectorIjjN6thrust23THRUST_200600_302600_NS4plusIjEEEEZZNS1_33reduce_by_key_impl_wrapped_configILNS1_25lookback_scan_determinismE0ES3_S9_NS6_6detail15normal_iteratorINS6_10device_ptrIjEEEESG_SG_SG_PmS8_NS6_8equal_toIjEEEE10hipError_tPvRmT2_T3_mT4_T5_T6_T7_T8_P12ihipStream_tbENKUlT_T0_E_clISt17integral_constantIbLb1EES11_EEDaSW_SX_EUlSW_E_NS1_11comp_targetILNS1_3genE8ELNS1_11target_archE1030ELNS1_3gpuE2ELNS1_3repE0EEENS1_30default_config_static_selectorELNS0_4arch9wavefront6targetE1EEEvT1_,"axG",@progbits,_ZN7rocprim17ROCPRIM_400000_NS6detail17trampoline_kernelINS0_14default_configENS1_29reduce_by_key_config_selectorIjjN6thrust23THRUST_200600_302600_NS4plusIjEEEEZZNS1_33reduce_by_key_impl_wrapped_configILNS1_25lookback_scan_determinismE0ES3_S9_NS6_6detail15normal_iteratorINS6_10device_ptrIjEEEESG_SG_SG_PmS8_NS6_8equal_toIjEEEE10hipError_tPvRmT2_T3_mT4_T5_T6_T7_T8_P12ihipStream_tbENKUlT_T0_E_clISt17integral_constantIbLb1EES11_EEDaSW_SX_EUlSW_E_NS1_11comp_targetILNS1_3genE8ELNS1_11target_archE1030ELNS1_3gpuE2ELNS1_3repE0EEENS1_30default_config_static_selectorELNS0_4arch9wavefront6targetE1EEEvT1_,comdat
	.protected	_ZN7rocprim17ROCPRIM_400000_NS6detail17trampoline_kernelINS0_14default_configENS1_29reduce_by_key_config_selectorIjjN6thrust23THRUST_200600_302600_NS4plusIjEEEEZZNS1_33reduce_by_key_impl_wrapped_configILNS1_25lookback_scan_determinismE0ES3_S9_NS6_6detail15normal_iteratorINS6_10device_ptrIjEEEESG_SG_SG_PmS8_NS6_8equal_toIjEEEE10hipError_tPvRmT2_T3_mT4_T5_T6_T7_T8_P12ihipStream_tbENKUlT_T0_E_clISt17integral_constantIbLb1EES11_EEDaSW_SX_EUlSW_E_NS1_11comp_targetILNS1_3genE8ELNS1_11target_archE1030ELNS1_3gpuE2ELNS1_3repE0EEENS1_30default_config_static_selectorELNS0_4arch9wavefront6targetE1EEEvT1_ ; -- Begin function _ZN7rocprim17ROCPRIM_400000_NS6detail17trampoline_kernelINS0_14default_configENS1_29reduce_by_key_config_selectorIjjN6thrust23THRUST_200600_302600_NS4plusIjEEEEZZNS1_33reduce_by_key_impl_wrapped_configILNS1_25lookback_scan_determinismE0ES3_S9_NS6_6detail15normal_iteratorINS6_10device_ptrIjEEEESG_SG_SG_PmS8_NS6_8equal_toIjEEEE10hipError_tPvRmT2_T3_mT4_T5_T6_T7_T8_P12ihipStream_tbENKUlT_T0_E_clISt17integral_constantIbLb1EES11_EEDaSW_SX_EUlSW_E_NS1_11comp_targetILNS1_3genE8ELNS1_11target_archE1030ELNS1_3gpuE2ELNS1_3repE0EEENS1_30default_config_static_selectorELNS0_4arch9wavefront6targetE1EEEvT1_
	.globl	_ZN7rocprim17ROCPRIM_400000_NS6detail17trampoline_kernelINS0_14default_configENS1_29reduce_by_key_config_selectorIjjN6thrust23THRUST_200600_302600_NS4plusIjEEEEZZNS1_33reduce_by_key_impl_wrapped_configILNS1_25lookback_scan_determinismE0ES3_S9_NS6_6detail15normal_iteratorINS6_10device_ptrIjEEEESG_SG_SG_PmS8_NS6_8equal_toIjEEEE10hipError_tPvRmT2_T3_mT4_T5_T6_T7_T8_P12ihipStream_tbENKUlT_T0_E_clISt17integral_constantIbLb1EES11_EEDaSW_SX_EUlSW_E_NS1_11comp_targetILNS1_3genE8ELNS1_11target_archE1030ELNS1_3gpuE2ELNS1_3repE0EEENS1_30default_config_static_selectorELNS0_4arch9wavefront6targetE1EEEvT1_
	.p2align	8
	.type	_ZN7rocprim17ROCPRIM_400000_NS6detail17trampoline_kernelINS0_14default_configENS1_29reduce_by_key_config_selectorIjjN6thrust23THRUST_200600_302600_NS4plusIjEEEEZZNS1_33reduce_by_key_impl_wrapped_configILNS1_25lookback_scan_determinismE0ES3_S9_NS6_6detail15normal_iteratorINS6_10device_ptrIjEEEESG_SG_SG_PmS8_NS6_8equal_toIjEEEE10hipError_tPvRmT2_T3_mT4_T5_T6_T7_T8_P12ihipStream_tbENKUlT_T0_E_clISt17integral_constantIbLb1EES11_EEDaSW_SX_EUlSW_E_NS1_11comp_targetILNS1_3genE8ELNS1_11target_archE1030ELNS1_3gpuE2ELNS1_3repE0EEENS1_30default_config_static_selectorELNS0_4arch9wavefront6targetE1EEEvT1_,@function
_ZN7rocprim17ROCPRIM_400000_NS6detail17trampoline_kernelINS0_14default_configENS1_29reduce_by_key_config_selectorIjjN6thrust23THRUST_200600_302600_NS4plusIjEEEEZZNS1_33reduce_by_key_impl_wrapped_configILNS1_25lookback_scan_determinismE0ES3_S9_NS6_6detail15normal_iteratorINS6_10device_ptrIjEEEESG_SG_SG_PmS8_NS6_8equal_toIjEEEE10hipError_tPvRmT2_T3_mT4_T5_T6_T7_T8_P12ihipStream_tbENKUlT_T0_E_clISt17integral_constantIbLb1EES11_EEDaSW_SX_EUlSW_E_NS1_11comp_targetILNS1_3genE8ELNS1_11target_archE1030ELNS1_3gpuE2ELNS1_3repE0EEENS1_30default_config_static_selectorELNS0_4arch9wavefront6targetE1EEEvT1_: ; @_ZN7rocprim17ROCPRIM_400000_NS6detail17trampoline_kernelINS0_14default_configENS1_29reduce_by_key_config_selectorIjjN6thrust23THRUST_200600_302600_NS4plusIjEEEEZZNS1_33reduce_by_key_impl_wrapped_configILNS1_25lookback_scan_determinismE0ES3_S9_NS6_6detail15normal_iteratorINS6_10device_ptrIjEEEESG_SG_SG_PmS8_NS6_8equal_toIjEEEE10hipError_tPvRmT2_T3_mT4_T5_T6_T7_T8_P12ihipStream_tbENKUlT_T0_E_clISt17integral_constantIbLb1EES11_EEDaSW_SX_EUlSW_E_NS1_11comp_targetILNS1_3genE8ELNS1_11target_archE1030ELNS1_3gpuE2ELNS1_3repE0EEENS1_30default_config_static_selectorELNS0_4arch9wavefront6targetE1EEEvT1_
; %bb.0:
	.section	.rodata,"a",@progbits
	.p2align	6, 0x0
	.amdhsa_kernel _ZN7rocprim17ROCPRIM_400000_NS6detail17trampoline_kernelINS0_14default_configENS1_29reduce_by_key_config_selectorIjjN6thrust23THRUST_200600_302600_NS4plusIjEEEEZZNS1_33reduce_by_key_impl_wrapped_configILNS1_25lookback_scan_determinismE0ES3_S9_NS6_6detail15normal_iteratorINS6_10device_ptrIjEEEESG_SG_SG_PmS8_NS6_8equal_toIjEEEE10hipError_tPvRmT2_T3_mT4_T5_T6_T7_T8_P12ihipStream_tbENKUlT_T0_E_clISt17integral_constantIbLb1EES11_EEDaSW_SX_EUlSW_E_NS1_11comp_targetILNS1_3genE8ELNS1_11target_archE1030ELNS1_3gpuE2ELNS1_3repE0EEENS1_30default_config_static_selectorELNS0_4arch9wavefront6targetE1EEEvT1_
		.amdhsa_group_segment_fixed_size 0
		.amdhsa_private_segment_fixed_size 0
		.amdhsa_kernarg_size 120
		.amdhsa_user_sgpr_count 6
		.amdhsa_user_sgpr_private_segment_buffer 1
		.amdhsa_user_sgpr_dispatch_ptr 0
		.amdhsa_user_sgpr_queue_ptr 0
		.amdhsa_user_sgpr_kernarg_segment_ptr 1
		.amdhsa_user_sgpr_dispatch_id 0
		.amdhsa_user_sgpr_flat_scratch_init 0
		.amdhsa_user_sgpr_kernarg_preload_length 0
		.amdhsa_user_sgpr_kernarg_preload_offset 0
		.amdhsa_user_sgpr_private_segment_size 0
		.amdhsa_uses_dynamic_stack 0
		.amdhsa_system_sgpr_private_segment_wavefront_offset 0
		.amdhsa_system_sgpr_workgroup_id_x 1
		.amdhsa_system_sgpr_workgroup_id_y 0
		.amdhsa_system_sgpr_workgroup_id_z 0
		.amdhsa_system_sgpr_workgroup_info 0
		.amdhsa_system_vgpr_workitem_id 0
		.amdhsa_next_free_vgpr 1
		.amdhsa_next_free_sgpr 0
		.amdhsa_accum_offset 4
		.amdhsa_reserve_vcc 0
		.amdhsa_reserve_flat_scratch 0
		.amdhsa_float_round_mode_32 0
		.amdhsa_float_round_mode_16_64 0
		.amdhsa_float_denorm_mode_32 3
		.amdhsa_float_denorm_mode_16_64 3
		.amdhsa_dx10_clamp 1
		.amdhsa_ieee_mode 1
		.amdhsa_fp16_overflow 0
		.amdhsa_tg_split 0
		.amdhsa_exception_fp_ieee_invalid_op 0
		.amdhsa_exception_fp_denorm_src 0
		.amdhsa_exception_fp_ieee_div_zero 0
		.amdhsa_exception_fp_ieee_overflow 0
		.amdhsa_exception_fp_ieee_underflow 0
		.amdhsa_exception_fp_ieee_inexact 0
		.amdhsa_exception_int_div_zero 0
	.end_amdhsa_kernel
	.section	.text._ZN7rocprim17ROCPRIM_400000_NS6detail17trampoline_kernelINS0_14default_configENS1_29reduce_by_key_config_selectorIjjN6thrust23THRUST_200600_302600_NS4plusIjEEEEZZNS1_33reduce_by_key_impl_wrapped_configILNS1_25lookback_scan_determinismE0ES3_S9_NS6_6detail15normal_iteratorINS6_10device_ptrIjEEEESG_SG_SG_PmS8_NS6_8equal_toIjEEEE10hipError_tPvRmT2_T3_mT4_T5_T6_T7_T8_P12ihipStream_tbENKUlT_T0_E_clISt17integral_constantIbLb1EES11_EEDaSW_SX_EUlSW_E_NS1_11comp_targetILNS1_3genE8ELNS1_11target_archE1030ELNS1_3gpuE2ELNS1_3repE0EEENS1_30default_config_static_selectorELNS0_4arch9wavefront6targetE1EEEvT1_,"axG",@progbits,_ZN7rocprim17ROCPRIM_400000_NS6detail17trampoline_kernelINS0_14default_configENS1_29reduce_by_key_config_selectorIjjN6thrust23THRUST_200600_302600_NS4plusIjEEEEZZNS1_33reduce_by_key_impl_wrapped_configILNS1_25lookback_scan_determinismE0ES3_S9_NS6_6detail15normal_iteratorINS6_10device_ptrIjEEEESG_SG_SG_PmS8_NS6_8equal_toIjEEEE10hipError_tPvRmT2_T3_mT4_T5_T6_T7_T8_P12ihipStream_tbENKUlT_T0_E_clISt17integral_constantIbLb1EES11_EEDaSW_SX_EUlSW_E_NS1_11comp_targetILNS1_3genE8ELNS1_11target_archE1030ELNS1_3gpuE2ELNS1_3repE0EEENS1_30default_config_static_selectorELNS0_4arch9wavefront6targetE1EEEvT1_,comdat
.Lfunc_end333:
	.size	_ZN7rocprim17ROCPRIM_400000_NS6detail17trampoline_kernelINS0_14default_configENS1_29reduce_by_key_config_selectorIjjN6thrust23THRUST_200600_302600_NS4plusIjEEEEZZNS1_33reduce_by_key_impl_wrapped_configILNS1_25lookback_scan_determinismE0ES3_S9_NS6_6detail15normal_iteratorINS6_10device_ptrIjEEEESG_SG_SG_PmS8_NS6_8equal_toIjEEEE10hipError_tPvRmT2_T3_mT4_T5_T6_T7_T8_P12ihipStream_tbENKUlT_T0_E_clISt17integral_constantIbLb1EES11_EEDaSW_SX_EUlSW_E_NS1_11comp_targetILNS1_3genE8ELNS1_11target_archE1030ELNS1_3gpuE2ELNS1_3repE0EEENS1_30default_config_static_selectorELNS0_4arch9wavefront6targetE1EEEvT1_, .Lfunc_end333-_ZN7rocprim17ROCPRIM_400000_NS6detail17trampoline_kernelINS0_14default_configENS1_29reduce_by_key_config_selectorIjjN6thrust23THRUST_200600_302600_NS4plusIjEEEEZZNS1_33reduce_by_key_impl_wrapped_configILNS1_25lookback_scan_determinismE0ES3_S9_NS6_6detail15normal_iteratorINS6_10device_ptrIjEEEESG_SG_SG_PmS8_NS6_8equal_toIjEEEE10hipError_tPvRmT2_T3_mT4_T5_T6_T7_T8_P12ihipStream_tbENKUlT_T0_E_clISt17integral_constantIbLb1EES11_EEDaSW_SX_EUlSW_E_NS1_11comp_targetILNS1_3genE8ELNS1_11target_archE1030ELNS1_3gpuE2ELNS1_3repE0EEENS1_30default_config_static_selectorELNS0_4arch9wavefront6targetE1EEEvT1_
                                        ; -- End function
	.section	.AMDGPU.csdata,"",@progbits
; Kernel info:
; codeLenInByte = 0
; NumSgprs: 4
; NumVgprs: 0
; NumAgprs: 0
; TotalNumVgprs: 0
; ScratchSize: 0
; MemoryBound: 0
; FloatMode: 240
; IeeeMode: 1
; LDSByteSize: 0 bytes/workgroup (compile time only)
; SGPRBlocks: 0
; VGPRBlocks: 0
; NumSGPRsForWavesPerEU: 4
; NumVGPRsForWavesPerEU: 1
; AccumOffset: 4
; Occupancy: 8
; WaveLimiterHint : 0
; COMPUTE_PGM_RSRC2:SCRATCH_EN: 0
; COMPUTE_PGM_RSRC2:USER_SGPR: 6
; COMPUTE_PGM_RSRC2:TRAP_HANDLER: 0
; COMPUTE_PGM_RSRC2:TGID_X_EN: 1
; COMPUTE_PGM_RSRC2:TGID_Y_EN: 0
; COMPUTE_PGM_RSRC2:TGID_Z_EN: 0
; COMPUTE_PGM_RSRC2:TIDIG_COMP_CNT: 0
; COMPUTE_PGM_RSRC3_GFX90A:ACCUM_OFFSET: 0
; COMPUTE_PGM_RSRC3_GFX90A:TG_SPLIT: 0
	.section	.text._ZN7rocprim17ROCPRIM_400000_NS6detail25reduce_by_key_init_kernelINS1_19lookback_scan_stateINS0_5tupleIJjjEEELb1ELb1EEEjNS1_16block_id_wrapperIjLb0EEEEEvT_jbjPmPT0_T1_,"axG",@progbits,_ZN7rocprim17ROCPRIM_400000_NS6detail25reduce_by_key_init_kernelINS1_19lookback_scan_stateINS0_5tupleIJjjEEELb1ELb1EEEjNS1_16block_id_wrapperIjLb0EEEEEvT_jbjPmPT0_T1_,comdat
	.protected	_ZN7rocprim17ROCPRIM_400000_NS6detail25reduce_by_key_init_kernelINS1_19lookback_scan_stateINS0_5tupleIJjjEEELb1ELb1EEEjNS1_16block_id_wrapperIjLb0EEEEEvT_jbjPmPT0_T1_ ; -- Begin function _ZN7rocprim17ROCPRIM_400000_NS6detail25reduce_by_key_init_kernelINS1_19lookback_scan_stateINS0_5tupleIJjjEEELb1ELb1EEEjNS1_16block_id_wrapperIjLb0EEEEEvT_jbjPmPT0_T1_
	.globl	_ZN7rocprim17ROCPRIM_400000_NS6detail25reduce_by_key_init_kernelINS1_19lookback_scan_stateINS0_5tupleIJjjEEELb1ELb1EEEjNS1_16block_id_wrapperIjLb0EEEEEvT_jbjPmPT0_T1_
	.p2align	8
	.type	_ZN7rocprim17ROCPRIM_400000_NS6detail25reduce_by_key_init_kernelINS1_19lookback_scan_stateINS0_5tupleIJjjEEELb1ELb1EEEjNS1_16block_id_wrapperIjLb0EEEEEvT_jbjPmPT0_T1_,@function
_ZN7rocprim17ROCPRIM_400000_NS6detail25reduce_by_key_init_kernelINS1_19lookback_scan_stateINS0_5tupleIJjjEEELb1ELb1EEEjNS1_16block_id_wrapperIjLb0EEEEEvT_jbjPmPT0_T1_: ; @_ZN7rocprim17ROCPRIM_400000_NS6detail25reduce_by_key_init_kernelINS1_19lookback_scan_stateINS0_5tupleIJjjEEELb1ELb1EEEjNS1_16block_id_wrapperIjLb0EEEEEvT_jbjPmPT0_T1_
; %bb.0:
	s_load_dwordx8 s[8:15], s[4:5], 0x8
	s_load_dword s2, s[4:5], 0x3c
	s_load_dwordx2 s[0:1], s[4:5], 0x0
	s_waitcnt lgkmcnt(0)
	s_and_b32 s3, s9, 1
	s_and_b32 s2, s2, 0xffff
	s_mul_i32 s6, s6, s2
	s_cmp_eq_u32 s3, 0
	v_add_u32_e32 v0, s6, v0
	s_mov_b64 s[2:3], -1
	s_cbranch_scc1 .LBB334_5
; %bb.1:
	s_andn2_b64 vcc, exec, s[2:3]
	s_cbranch_vccz .LBB334_14
.LBB334_2:
	v_cmp_gt_u32_e32 vcc, s8, v0
	s_and_saveexec_b64 s[2:3], vcc
	s_cbranch_execnz .LBB334_17
.LBB334_3:
	s_or_b64 exec, exec, s[2:3]
	v_cmp_gt_u32_e32 vcc, 64, v0
	s_and_saveexec_b64 s[2:3], vcc
	s_cbranch_execnz .LBB334_18
.LBB334_4:
	s_endpgm
.LBB334_5:
	s_cmp_lt_u32 s10, s8
	s_cselect_b32 s2, s10, 0
	v_cmp_eq_u32_e32 vcc, s2, v0
	s_and_saveexec_b64 s[2:3], vcc
	s_cbranch_execz .LBB334_13
; %bb.6:
	s_add_i32 s4, s10, 64
	s_mov_b32 s5, 0
	s_lshl_b64 s[4:5], s[4:5], 4
	s_add_u32 s10, s0, s4
	s_addc_u32 s11, s1, s5
	v_pk_mov_b32 v[2:3], s[10:11], s[10:11] op_sel:[0,1]
	;;#ASMSTART
	global_load_dwordx4 v[2:5], v[2:3] off glc	
s_waitcnt vmcnt(0)
	;;#ASMEND
	v_mov_b32_e32 v7, 0
	v_and_b32_e32 v6, 0xff, v4
	s_mov_b64 s[6:7], 0
	v_cmp_eq_u64_e32 vcc, 0, v[6:7]
	s_and_saveexec_b64 s[4:5], vcc
	s_cbranch_execz .LBB334_12
; %bb.7:
	s_mov_b32 s9, 1
	v_pk_mov_b32 v[8:9], s[10:11], s[10:11] op_sel:[0,1]
.LBB334_8:                              ; =>This Loop Header: Depth=1
                                        ;     Child Loop BB334_9 Depth 2
	s_max_u32 s10, s9, 1
.LBB334_9:                              ;   Parent Loop BB334_8 Depth=1
                                        ; =>  This Inner Loop Header: Depth=2
	s_add_i32 s10, s10, -1
	s_cmp_eq_u32 s10, 0
	s_sleep 1
	s_cbranch_scc0 .LBB334_9
; %bb.10:                               ;   in Loop: Header=BB334_8 Depth=1
	s_cmp_lt_u32 s9, 32
	s_cselect_b64 s[10:11], -1, 0
	s_cmp_lg_u64 s[10:11], 0
	;;#ASMSTART
	global_load_dwordx4 v[2:5], v[8:9] off glc	
s_waitcnt vmcnt(0)
	;;#ASMEND
	v_and_b32_e32 v6, 0xff, v4
	s_addc_u32 s9, s9, 0
	v_cmp_ne_u64_e32 vcc, 0, v[6:7]
	s_or_b64 s[6:7], vcc, s[6:7]
	s_andn2_b64 exec, exec, s[6:7]
	s_cbranch_execnz .LBB334_8
; %bb.11:
	s_or_b64 exec, exec, s[6:7]
.LBB334_12:
	s_or_b64 exec, exec, s[4:5]
	v_mov_b32_e32 v1, 0
	global_load_dwordx2 v[4:5], v1, s[12:13]
	s_waitcnt vmcnt(0)
	v_add_co_u32_e32 v4, vcc, v4, v2
	v_addc_co_u32_e32 v5, vcc, 0, v5, vcc
	global_store_dwordx2 v1, v[4:5], s[12:13]
	global_store_dword v1, v3, s[14:15]
.LBB334_13:
	s_or_b64 exec, exec, s[2:3]
	s_cbranch_execnz .LBB334_2
.LBB334_14:
	s_cmp_lg_u64 s[12:13], 0
	s_cselect_b64 s[2:3], -1, 0
	v_cmp_eq_u32_e32 vcc, 0, v0
	s_and_b64 s[4:5], s[2:3], vcc
	s_and_saveexec_b64 s[2:3], s[4:5]
	s_cbranch_execz .LBB334_16
; %bb.15:
	v_mov_b32_e32 v2, 0
	v_mov_b32_e32 v3, v2
	global_store_dwordx2 v2, v[2:3], s[12:13]
.LBB334_16:
	s_or_b64 exec, exec, s[2:3]
	v_cmp_gt_u32_e32 vcc, s8, v0
	s_and_saveexec_b64 s[2:3], vcc
	s_cbranch_execz .LBB334_3
.LBB334_17:
	v_add_u32_e32 v2, 64, v0
	v_mov_b32_e32 v3, 0
	v_lshlrev_b64 v[4:5], 4, v[2:3]
	v_mov_b32_e32 v1, s1
	v_add_co_u32_e32 v6, vcc, s0, v4
	v_addc_co_u32_e32 v7, vcc, v1, v5, vcc
	v_mov_b32_e32 v2, v3
	v_mov_b32_e32 v4, v3
	;; [unrolled: 1-line block ×3, first 2 shown]
	global_store_dwordx4 v[6:7], v[2:5], off
	s_or_b64 exec, exec, s[2:3]
	v_cmp_gt_u32_e32 vcc, 64, v0
	s_and_saveexec_b64 s[2:3], vcc
	s_cbranch_execz .LBB334_4
.LBB334_18:
	v_mov_b32_e32 v1, 0
	v_lshlrev_b64 v[2:3], 4, v[0:1]
	v_mov_b32_e32 v0, s1
	v_add_co_u32_e32 v4, vcc, s0, v2
	v_addc_co_u32_e32 v5, vcc, v0, v3, vcc
	v_mov_b32_e32 v2, 0xff
	v_mov_b32_e32 v0, v1
	;; [unrolled: 1-line block ×3, first 2 shown]
	global_store_dwordx4 v[4:5], v[0:3], off
	s_endpgm
	.section	.rodata,"a",@progbits
	.p2align	6, 0x0
	.amdhsa_kernel _ZN7rocprim17ROCPRIM_400000_NS6detail25reduce_by_key_init_kernelINS1_19lookback_scan_stateINS0_5tupleIJjjEEELb1ELb1EEEjNS1_16block_id_wrapperIjLb0EEEEEvT_jbjPmPT0_T1_
		.amdhsa_group_segment_fixed_size 0
		.amdhsa_private_segment_fixed_size 0
		.amdhsa_kernarg_size 304
		.amdhsa_user_sgpr_count 6
		.amdhsa_user_sgpr_private_segment_buffer 1
		.amdhsa_user_sgpr_dispatch_ptr 0
		.amdhsa_user_sgpr_queue_ptr 0
		.amdhsa_user_sgpr_kernarg_segment_ptr 1
		.amdhsa_user_sgpr_dispatch_id 0
		.amdhsa_user_sgpr_flat_scratch_init 0
		.amdhsa_user_sgpr_kernarg_preload_length 0
		.amdhsa_user_sgpr_kernarg_preload_offset 0
		.amdhsa_user_sgpr_private_segment_size 0
		.amdhsa_uses_dynamic_stack 0
		.amdhsa_system_sgpr_private_segment_wavefront_offset 0
		.amdhsa_system_sgpr_workgroup_id_x 1
		.amdhsa_system_sgpr_workgroup_id_y 0
		.amdhsa_system_sgpr_workgroup_id_z 0
		.amdhsa_system_sgpr_workgroup_info 0
		.amdhsa_system_vgpr_workitem_id 0
		.amdhsa_next_free_vgpr 10
		.amdhsa_next_free_sgpr 16
		.amdhsa_accum_offset 12
		.amdhsa_reserve_vcc 1
		.amdhsa_reserve_flat_scratch 0
		.amdhsa_float_round_mode_32 0
		.amdhsa_float_round_mode_16_64 0
		.amdhsa_float_denorm_mode_32 3
		.amdhsa_float_denorm_mode_16_64 3
		.amdhsa_dx10_clamp 1
		.amdhsa_ieee_mode 1
		.amdhsa_fp16_overflow 0
		.amdhsa_tg_split 0
		.amdhsa_exception_fp_ieee_invalid_op 0
		.amdhsa_exception_fp_denorm_src 0
		.amdhsa_exception_fp_ieee_div_zero 0
		.amdhsa_exception_fp_ieee_overflow 0
		.amdhsa_exception_fp_ieee_underflow 0
		.amdhsa_exception_fp_ieee_inexact 0
		.amdhsa_exception_int_div_zero 0
	.end_amdhsa_kernel
	.section	.text._ZN7rocprim17ROCPRIM_400000_NS6detail25reduce_by_key_init_kernelINS1_19lookback_scan_stateINS0_5tupleIJjjEEELb1ELb1EEEjNS1_16block_id_wrapperIjLb0EEEEEvT_jbjPmPT0_T1_,"axG",@progbits,_ZN7rocprim17ROCPRIM_400000_NS6detail25reduce_by_key_init_kernelINS1_19lookback_scan_stateINS0_5tupleIJjjEEELb1ELb1EEEjNS1_16block_id_wrapperIjLb0EEEEEvT_jbjPmPT0_T1_,comdat
.Lfunc_end334:
	.size	_ZN7rocprim17ROCPRIM_400000_NS6detail25reduce_by_key_init_kernelINS1_19lookback_scan_stateINS0_5tupleIJjjEEELb1ELb1EEEjNS1_16block_id_wrapperIjLb0EEEEEvT_jbjPmPT0_T1_, .Lfunc_end334-_ZN7rocprim17ROCPRIM_400000_NS6detail25reduce_by_key_init_kernelINS1_19lookback_scan_stateINS0_5tupleIJjjEEELb1ELb1EEEjNS1_16block_id_wrapperIjLb0EEEEEvT_jbjPmPT0_T1_
                                        ; -- End function
	.section	.AMDGPU.csdata,"",@progbits
; Kernel info:
; codeLenInByte = 508
; NumSgprs: 20
; NumVgprs: 10
; NumAgprs: 0
; TotalNumVgprs: 10
; ScratchSize: 0
; MemoryBound: 0
; FloatMode: 240
; IeeeMode: 1
; LDSByteSize: 0 bytes/workgroup (compile time only)
; SGPRBlocks: 2
; VGPRBlocks: 1
; NumSGPRsForWavesPerEU: 20
; NumVGPRsForWavesPerEU: 10
; AccumOffset: 12
; Occupancy: 8
; WaveLimiterHint : 0
; COMPUTE_PGM_RSRC2:SCRATCH_EN: 0
; COMPUTE_PGM_RSRC2:USER_SGPR: 6
; COMPUTE_PGM_RSRC2:TRAP_HANDLER: 0
; COMPUTE_PGM_RSRC2:TGID_X_EN: 1
; COMPUTE_PGM_RSRC2:TGID_Y_EN: 0
; COMPUTE_PGM_RSRC2:TGID_Z_EN: 0
; COMPUTE_PGM_RSRC2:TIDIG_COMP_CNT: 0
; COMPUTE_PGM_RSRC3_GFX90A:ACCUM_OFFSET: 2
; COMPUTE_PGM_RSRC3_GFX90A:TG_SPLIT: 0
	.section	.text._ZN7rocprim17ROCPRIM_400000_NS6detail17trampoline_kernelINS0_14default_configENS1_29reduce_by_key_config_selectorIjjN6thrust23THRUST_200600_302600_NS4plusIjEEEEZZNS1_33reduce_by_key_impl_wrapped_configILNS1_25lookback_scan_determinismE0ES3_S9_NS6_6detail15normal_iteratorINS6_10device_ptrIjEEEESG_SG_SG_PmS8_NS6_8equal_toIjEEEE10hipError_tPvRmT2_T3_mT4_T5_T6_T7_T8_P12ihipStream_tbENKUlT_T0_E_clISt17integral_constantIbLb1EES10_IbLb0EEEEDaSW_SX_EUlSW_E_NS1_11comp_targetILNS1_3genE0ELNS1_11target_archE4294967295ELNS1_3gpuE0ELNS1_3repE0EEENS1_30default_config_static_selectorELNS0_4arch9wavefront6targetE1EEEvT1_,"axG",@progbits,_ZN7rocprim17ROCPRIM_400000_NS6detail17trampoline_kernelINS0_14default_configENS1_29reduce_by_key_config_selectorIjjN6thrust23THRUST_200600_302600_NS4plusIjEEEEZZNS1_33reduce_by_key_impl_wrapped_configILNS1_25lookback_scan_determinismE0ES3_S9_NS6_6detail15normal_iteratorINS6_10device_ptrIjEEEESG_SG_SG_PmS8_NS6_8equal_toIjEEEE10hipError_tPvRmT2_T3_mT4_T5_T6_T7_T8_P12ihipStream_tbENKUlT_T0_E_clISt17integral_constantIbLb1EES10_IbLb0EEEEDaSW_SX_EUlSW_E_NS1_11comp_targetILNS1_3genE0ELNS1_11target_archE4294967295ELNS1_3gpuE0ELNS1_3repE0EEENS1_30default_config_static_selectorELNS0_4arch9wavefront6targetE1EEEvT1_,comdat
	.protected	_ZN7rocprim17ROCPRIM_400000_NS6detail17trampoline_kernelINS0_14default_configENS1_29reduce_by_key_config_selectorIjjN6thrust23THRUST_200600_302600_NS4plusIjEEEEZZNS1_33reduce_by_key_impl_wrapped_configILNS1_25lookback_scan_determinismE0ES3_S9_NS6_6detail15normal_iteratorINS6_10device_ptrIjEEEESG_SG_SG_PmS8_NS6_8equal_toIjEEEE10hipError_tPvRmT2_T3_mT4_T5_T6_T7_T8_P12ihipStream_tbENKUlT_T0_E_clISt17integral_constantIbLb1EES10_IbLb0EEEEDaSW_SX_EUlSW_E_NS1_11comp_targetILNS1_3genE0ELNS1_11target_archE4294967295ELNS1_3gpuE0ELNS1_3repE0EEENS1_30default_config_static_selectorELNS0_4arch9wavefront6targetE1EEEvT1_ ; -- Begin function _ZN7rocprim17ROCPRIM_400000_NS6detail17trampoline_kernelINS0_14default_configENS1_29reduce_by_key_config_selectorIjjN6thrust23THRUST_200600_302600_NS4plusIjEEEEZZNS1_33reduce_by_key_impl_wrapped_configILNS1_25lookback_scan_determinismE0ES3_S9_NS6_6detail15normal_iteratorINS6_10device_ptrIjEEEESG_SG_SG_PmS8_NS6_8equal_toIjEEEE10hipError_tPvRmT2_T3_mT4_T5_T6_T7_T8_P12ihipStream_tbENKUlT_T0_E_clISt17integral_constantIbLb1EES10_IbLb0EEEEDaSW_SX_EUlSW_E_NS1_11comp_targetILNS1_3genE0ELNS1_11target_archE4294967295ELNS1_3gpuE0ELNS1_3repE0EEENS1_30default_config_static_selectorELNS0_4arch9wavefront6targetE1EEEvT1_
	.globl	_ZN7rocprim17ROCPRIM_400000_NS6detail17trampoline_kernelINS0_14default_configENS1_29reduce_by_key_config_selectorIjjN6thrust23THRUST_200600_302600_NS4plusIjEEEEZZNS1_33reduce_by_key_impl_wrapped_configILNS1_25lookback_scan_determinismE0ES3_S9_NS6_6detail15normal_iteratorINS6_10device_ptrIjEEEESG_SG_SG_PmS8_NS6_8equal_toIjEEEE10hipError_tPvRmT2_T3_mT4_T5_T6_T7_T8_P12ihipStream_tbENKUlT_T0_E_clISt17integral_constantIbLb1EES10_IbLb0EEEEDaSW_SX_EUlSW_E_NS1_11comp_targetILNS1_3genE0ELNS1_11target_archE4294967295ELNS1_3gpuE0ELNS1_3repE0EEENS1_30default_config_static_selectorELNS0_4arch9wavefront6targetE1EEEvT1_
	.p2align	8
	.type	_ZN7rocprim17ROCPRIM_400000_NS6detail17trampoline_kernelINS0_14default_configENS1_29reduce_by_key_config_selectorIjjN6thrust23THRUST_200600_302600_NS4plusIjEEEEZZNS1_33reduce_by_key_impl_wrapped_configILNS1_25lookback_scan_determinismE0ES3_S9_NS6_6detail15normal_iteratorINS6_10device_ptrIjEEEESG_SG_SG_PmS8_NS6_8equal_toIjEEEE10hipError_tPvRmT2_T3_mT4_T5_T6_T7_T8_P12ihipStream_tbENKUlT_T0_E_clISt17integral_constantIbLb1EES10_IbLb0EEEEDaSW_SX_EUlSW_E_NS1_11comp_targetILNS1_3genE0ELNS1_11target_archE4294967295ELNS1_3gpuE0ELNS1_3repE0EEENS1_30default_config_static_selectorELNS0_4arch9wavefront6targetE1EEEvT1_,@function
_ZN7rocprim17ROCPRIM_400000_NS6detail17trampoline_kernelINS0_14default_configENS1_29reduce_by_key_config_selectorIjjN6thrust23THRUST_200600_302600_NS4plusIjEEEEZZNS1_33reduce_by_key_impl_wrapped_configILNS1_25lookback_scan_determinismE0ES3_S9_NS6_6detail15normal_iteratorINS6_10device_ptrIjEEEESG_SG_SG_PmS8_NS6_8equal_toIjEEEE10hipError_tPvRmT2_T3_mT4_T5_T6_T7_T8_P12ihipStream_tbENKUlT_T0_E_clISt17integral_constantIbLb1EES10_IbLb0EEEEDaSW_SX_EUlSW_E_NS1_11comp_targetILNS1_3genE0ELNS1_11target_archE4294967295ELNS1_3gpuE0ELNS1_3repE0EEENS1_30default_config_static_selectorELNS0_4arch9wavefront6targetE1EEEvT1_: ; @_ZN7rocprim17ROCPRIM_400000_NS6detail17trampoline_kernelINS0_14default_configENS1_29reduce_by_key_config_selectorIjjN6thrust23THRUST_200600_302600_NS4plusIjEEEEZZNS1_33reduce_by_key_impl_wrapped_configILNS1_25lookback_scan_determinismE0ES3_S9_NS6_6detail15normal_iteratorINS6_10device_ptrIjEEEESG_SG_SG_PmS8_NS6_8equal_toIjEEEE10hipError_tPvRmT2_T3_mT4_T5_T6_T7_T8_P12ihipStream_tbENKUlT_T0_E_clISt17integral_constantIbLb1EES10_IbLb0EEEEDaSW_SX_EUlSW_E_NS1_11comp_targetILNS1_3genE0ELNS1_11target_archE4294967295ELNS1_3gpuE0ELNS1_3repE0EEENS1_30default_config_static_selectorELNS0_4arch9wavefront6targetE1EEEvT1_
; %bb.0:
	.section	.rodata,"a",@progbits
	.p2align	6, 0x0
	.amdhsa_kernel _ZN7rocprim17ROCPRIM_400000_NS6detail17trampoline_kernelINS0_14default_configENS1_29reduce_by_key_config_selectorIjjN6thrust23THRUST_200600_302600_NS4plusIjEEEEZZNS1_33reduce_by_key_impl_wrapped_configILNS1_25lookback_scan_determinismE0ES3_S9_NS6_6detail15normal_iteratorINS6_10device_ptrIjEEEESG_SG_SG_PmS8_NS6_8equal_toIjEEEE10hipError_tPvRmT2_T3_mT4_T5_T6_T7_T8_P12ihipStream_tbENKUlT_T0_E_clISt17integral_constantIbLb1EES10_IbLb0EEEEDaSW_SX_EUlSW_E_NS1_11comp_targetILNS1_3genE0ELNS1_11target_archE4294967295ELNS1_3gpuE0ELNS1_3repE0EEENS1_30default_config_static_selectorELNS0_4arch9wavefront6targetE1EEEvT1_
		.amdhsa_group_segment_fixed_size 0
		.amdhsa_private_segment_fixed_size 0
		.amdhsa_kernarg_size 120
		.amdhsa_user_sgpr_count 6
		.amdhsa_user_sgpr_private_segment_buffer 1
		.amdhsa_user_sgpr_dispatch_ptr 0
		.amdhsa_user_sgpr_queue_ptr 0
		.amdhsa_user_sgpr_kernarg_segment_ptr 1
		.amdhsa_user_sgpr_dispatch_id 0
		.amdhsa_user_sgpr_flat_scratch_init 0
		.amdhsa_user_sgpr_kernarg_preload_length 0
		.amdhsa_user_sgpr_kernarg_preload_offset 0
		.amdhsa_user_sgpr_private_segment_size 0
		.amdhsa_uses_dynamic_stack 0
		.amdhsa_system_sgpr_private_segment_wavefront_offset 0
		.amdhsa_system_sgpr_workgroup_id_x 1
		.amdhsa_system_sgpr_workgroup_id_y 0
		.amdhsa_system_sgpr_workgroup_id_z 0
		.amdhsa_system_sgpr_workgroup_info 0
		.amdhsa_system_vgpr_workitem_id 0
		.amdhsa_next_free_vgpr 1
		.amdhsa_next_free_sgpr 0
		.amdhsa_accum_offset 4
		.amdhsa_reserve_vcc 0
		.amdhsa_reserve_flat_scratch 0
		.amdhsa_float_round_mode_32 0
		.amdhsa_float_round_mode_16_64 0
		.amdhsa_float_denorm_mode_32 3
		.amdhsa_float_denorm_mode_16_64 3
		.amdhsa_dx10_clamp 1
		.amdhsa_ieee_mode 1
		.amdhsa_fp16_overflow 0
		.amdhsa_tg_split 0
		.amdhsa_exception_fp_ieee_invalid_op 0
		.amdhsa_exception_fp_denorm_src 0
		.amdhsa_exception_fp_ieee_div_zero 0
		.amdhsa_exception_fp_ieee_overflow 0
		.amdhsa_exception_fp_ieee_underflow 0
		.amdhsa_exception_fp_ieee_inexact 0
		.amdhsa_exception_int_div_zero 0
	.end_amdhsa_kernel
	.section	.text._ZN7rocprim17ROCPRIM_400000_NS6detail17trampoline_kernelINS0_14default_configENS1_29reduce_by_key_config_selectorIjjN6thrust23THRUST_200600_302600_NS4plusIjEEEEZZNS1_33reduce_by_key_impl_wrapped_configILNS1_25lookback_scan_determinismE0ES3_S9_NS6_6detail15normal_iteratorINS6_10device_ptrIjEEEESG_SG_SG_PmS8_NS6_8equal_toIjEEEE10hipError_tPvRmT2_T3_mT4_T5_T6_T7_T8_P12ihipStream_tbENKUlT_T0_E_clISt17integral_constantIbLb1EES10_IbLb0EEEEDaSW_SX_EUlSW_E_NS1_11comp_targetILNS1_3genE0ELNS1_11target_archE4294967295ELNS1_3gpuE0ELNS1_3repE0EEENS1_30default_config_static_selectorELNS0_4arch9wavefront6targetE1EEEvT1_,"axG",@progbits,_ZN7rocprim17ROCPRIM_400000_NS6detail17trampoline_kernelINS0_14default_configENS1_29reduce_by_key_config_selectorIjjN6thrust23THRUST_200600_302600_NS4plusIjEEEEZZNS1_33reduce_by_key_impl_wrapped_configILNS1_25lookback_scan_determinismE0ES3_S9_NS6_6detail15normal_iteratorINS6_10device_ptrIjEEEESG_SG_SG_PmS8_NS6_8equal_toIjEEEE10hipError_tPvRmT2_T3_mT4_T5_T6_T7_T8_P12ihipStream_tbENKUlT_T0_E_clISt17integral_constantIbLb1EES10_IbLb0EEEEDaSW_SX_EUlSW_E_NS1_11comp_targetILNS1_3genE0ELNS1_11target_archE4294967295ELNS1_3gpuE0ELNS1_3repE0EEENS1_30default_config_static_selectorELNS0_4arch9wavefront6targetE1EEEvT1_,comdat
.Lfunc_end335:
	.size	_ZN7rocprim17ROCPRIM_400000_NS6detail17trampoline_kernelINS0_14default_configENS1_29reduce_by_key_config_selectorIjjN6thrust23THRUST_200600_302600_NS4plusIjEEEEZZNS1_33reduce_by_key_impl_wrapped_configILNS1_25lookback_scan_determinismE0ES3_S9_NS6_6detail15normal_iteratorINS6_10device_ptrIjEEEESG_SG_SG_PmS8_NS6_8equal_toIjEEEE10hipError_tPvRmT2_T3_mT4_T5_T6_T7_T8_P12ihipStream_tbENKUlT_T0_E_clISt17integral_constantIbLb1EES10_IbLb0EEEEDaSW_SX_EUlSW_E_NS1_11comp_targetILNS1_3genE0ELNS1_11target_archE4294967295ELNS1_3gpuE0ELNS1_3repE0EEENS1_30default_config_static_selectorELNS0_4arch9wavefront6targetE1EEEvT1_, .Lfunc_end335-_ZN7rocprim17ROCPRIM_400000_NS6detail17trampoline_kernelINS0_14default_configENS1_29reduce_by_key_config_selectorIjjN6thrust23THRUST_200600_302600_NS4plusIjEEEEZZNS1_33reduce_by_key_impl_wrapped_configILNS1_25lookback_scan_determinismE0ES3_S9_NS6_6detail15normal_iteratorINS6_10device_ptrIjEEEESG_SG_SG_PmS8_NS6_8equal_toIjEEEE10hipError_tPvRmT2_T3_mT4_T5_T6_T7_T8_P12ihipStream_tbENKUlT_T0_E_clISt17integral_constantIbLb1EES10_IbLb0EEEEDaSW_SX_EUlSW_E_NS1_11comp_targetILNS1_3genE0ELNS1_11target_archE4294967295ELNS1_3gpuE0ELNS1_3repE0EEENS1_30default_config_static_selectorELNS0_4arch9wavefront6targetE1EEEvT1_
                                        ; -- End function
	.section	.AMDGPU.csdata,"",@progbits
; Kernel info:
; codeLenInByte = 0
; NumSgprs: 4
; NumVgprs: 0
; NumAgprs: 0
; TotalNumVgprs: 0
; ScratchSize: 0
; MemoryBound: 0
; FloatMode: 240
; IeeeMode: 1
; LDSByteSize: 0 bytes/workgroup (compile time only)
; SGPRBlocks: 0
; VGPRBlocks: 0
; NumSGPRsForWavesPerEU: 4
; NumVGPRsForWavesPerEU: 1
; AccumOffset: 4
; Occupancy: 8
; WaveLimiterHint : 0
; COMPUTE_PGM_RSRC2:SCRATCH_EN: 0
; COMPUTE_PGM_RSRC2:USER_SGPR: 6
; COMPUTE_PGM_RSRC2:TRAP_HANDLER: 0
; COMPUTE_PGM_RSRC2:TGID_X_EN: 1
; COMPUTE_PGM_RSRC2:TGID_Y_EN: 0
; COMPUTE_PGM_RSRC2:TGID_Z_EN: 0
; COMPUTE_PGM_RSRC2:TIDIG_COMP_CNT: 0
; COMPUTE_PGM_RSRC3_GFX90A:ACCUM_OFFSET: 0
; COMPUTE_PGM_RSRC3_GFX90A:TG_SPLIT: 0
	.section	.text._ZN7rocprim17ROCPRIM_400000_NS6detail17trampoline_kernelINS0_14default_configENS1_29reduce_by_key_config_selectorIjjN6thrust23THRUST_200600_302600_NS4plusIjEEEEZZNS1_33reduce_by_key_impl_wrapped_configILNS1_25lookback_scan_determinismE0ES3_S9_NS6_6detail15normal_iteratorINS6_10device_ptrIjEEEESG_SG_SG_PmS8_NS6_8equal_toIjEEEE10hipError_tPvRmT2_T3_mT4_T5_T6_T7_T8_P12ihipStream_tbENKUlT_T0_E_clISt17integral_constantIbLb1EES10_IbLb0EEEEDaSW_SX_EUlSW_E_NS1_11comp_targetILNS1_3genE5ELNS1_11target_archE942ELNS1_3gpuE9ELNS1_3repE0EEENS1_30default_config_static_selectorELNS0_4arch9wavefront6targetE1EEEvT1_,"axG",@progbits,_ZN7rocprim17ROCPRIM_400000_NS6detail17trampoline_kernelINS0_14default_configENS1_29reduce_by_key_config_selectorIjjN6thrust23THRUST_200600_302600_NS4plusIjEEEEZZNS1_33reduce_by_key_impl_wrapped_configILNS1_25lookback_scan_determinismE0ES3_S9_NS6_6detail15normal_iteratorINS6_10device_ptrIjEEEESG_SG_SG_PmS8_NS6_8equal_toIjEEEE10hipError_tPvRmT2_T3_mT4_T5_T6_T7_T8_P12ihipStream_tbENKUlT_T0_E_clISt17integral_constantIbLb1EES10_IbLb0EEEEDaSW_SX_EUlSW_E_NS1_11comp_targetILNS1_3genE5ELNS1_11target_archE942ELNS1_3gpuE9ELNS1_3repE0EEENS1_30default_config_static_selectorELNS0_4arch9wavefront6targetE1EEEvT1_,comdat
	.protected	_ZN7rocprim17ROCPRIM_400000_NS6detail17trampoline_kernelINS0_14default_configENS1_29reduce_by_key_config_selectorIjjN6thrust23THRUST_200600_302600_NS4plusIjEEEEZZNS1_33reduce_by_key_impl_wrapped_configILNS1_25lookback_scan_determinismE0ES3_S9_NS6_6detail15normal_iteratorINS6_10device_ptrIjEEEESG_SG_SG_PmS8_NS6_8equal_toIjEEEE10hipError_tPvRmT2_T3_mT4_T5_T6_T7_T8_P12ihipStream_tbENKUlT_T0_E_clISt17integral_constantIbLb1EES10_IbLb0EEEEDaSW_SX_EUlSW_E_NS1_11comp_targetILNS1_3genE5ELNS1_11target_archE942ELNS1_3gpuE9ELNS1_3repE0EEENS1_30default_config_static_selectorELNS0_4arch9wavefront6targetE1EEEvT1_ ; -- Begin function _ZN7rocprim17ROCPRIM_400000_NS6detail17trampoline_kernelINS0_14default_configENS1_29reduce_by_key_config_selectorIjjN6thrust23THRUST_200600_302600_NS4plusIjEEEEZZNS1_33reduce_by_key_impl_wrapped_configILNS1_25lookback_scan_determinismE0ES3_S9_NS6_6detail15normal_iteratorINS6_10device_ptrIjEEEESG_SG_SG_PmS8_NS6_8equal_toIjEEEE10hipError_tPvRmT2_T3_mT4_T5_T6_T7_T8_P12ihipStream_tbENKUlT_T0_E_clISt17integral_constantIbLb1EES10_IbLb0EEEEDaSW_SX_EUlSW_E_NS1_11comp_targetILNS1_3genE5ELNS1_11target_archE942ELNS1_3gpuE9ELNS1_3repE0EEENS1_30default_config_static_selectorELNS0_4arch9wavefront6targetE1EEEvT1_
	.globl	_ZN7rocprim17ROCPRIM_400000_NS6detail17trampoline_kernelINS0_14default_configENS1_29reduce_by_key_config_selectorIjjN6thrust23THRUST_200600_302600_NS4plusIjEEEEZZNS1_33reduce_by_key_impl_wrapped_configILNS1_25lookback_scan_determinismE0ES3_S9_NS6_6detail15normal_iteratorINS6_10device_ptrIjEEEESG_SG_SG_PmS8_NS6_8equal_toIjEEEE10hipError_tPvRmT2_T3_mT4_T5_T6_T7_T8_P12ihipStream_tbENKUlT_T0_E_clISt17integral_constantIbLb1EES10_IbLb0EEEEDaSW_SX_EUlSW_E_NS1_11comp_targetILNS1_3genE5ELNS1_11target_archE942ELNS1_3gpuE9ELNS1_3repE0EEENS1_30default_config_static_selectorELNS0_4arch9wavefront6targetE1EEEvT1_
	.p2align	8
	.type	_ZN7rocprim17ROCPRIM_400000_NS6detail17trampoline_kernelINS0_14default_configENS1_29reduce_by_key_config_selectorIjjN6thrust23THRUST_200600_302600_NS4plusIjEEEEZZNS1_33reduce_by_key_impl_wrapped_configILNS1_25lookback_scan_determinismE0ES3_S9_NS6_6detail15normal_iteratorINS6_10device_ptrIjEEEESG_SG_SG_PmS8_NS6_8equal_toIjEEEE10hipError_tPvRmT2_T3_mT4_T5_T6_T7_T8_P12ihipStream_tbENKUlT_T0_E_clISt17integral_constantIbLb1EES10_IbLb0EEEEDaSW_SX_EUlSW_E_NS1_11comp_targetILNS1_3genE5ELNS1_11target_archE942ELNS1_3gpuE9ELNS1_3repE0EEENS1_30default_config_static_selectorELNS0_4arch9wavefront6targetE1EEEvT1_,@function
_ZN7rocprim17ROCPRIM_400000_NS6detail17trampoline_kernelINS0_14default_configENS1_29reduce_by_key_config_selectorIjjN6thrust23THRUST_200600_302600_NS4plusIjEEEEZZNS1_33reduce_by_key_impl_wrapped_configILNS1_25lookback_scan_determinismE0ES3_S9_NS6_6detail15normal_iteratorINS6_10device_ptrIjEEEESG_SG_SG_PmS8_NS6_8equal_toIjEEEE10hipError_tPvRmT2_T3_mT4_T5_T6_T7_T8_P12ihipStream_tbENKUlT_T0_E_clISt17integral_constantIbLb1EES10_IbLb0EEEEDaSW_SX_EUlSW_E_NS1_11comp_targetILNS1_3genE5ELNS1_11target_archE942ELNS1_3gpuE9ELNS1_3repE0EEENS1_30default_config_static_selectorELNS0_4arch9wavefront6targetE1EEEvT1_: ; @_ZN7rocprim17ROCPRIM_400000_NS6detail17trampoline_kernelINS0_14default_configENS1_29reduce_by_key_config_selectorIjjN6thrust23THRUST_200600_302600_NS4plusIjEEEEZZNS1_33reduce_by_key_impl_wrapped_configILNS1_25lookback_scan_determinismE0ES3_S9_NS6_6detail15normal_iteratorINS6_10device_ptrIjEEEESG_SG_SG_PmS8_NS6_8equal_toIjEEEE10hipError_tPvRmT2_T3_mT4_T5_T6_T7_T8_P12ihipStream_tbENKUlT_T0_E_clISt17integral_constantIbLb1EES10_IbLb0EEEEDaSW_SX_EUlSW_E_NS1_11comp_targetILNS1_3genE5ELNS1_11target_archE942ELNS1_3gpuE9ELNS1_3repE0EEENS1_30default_config_static_selectorELNS0_4arch9wavefront6targetE1EEEvT1_
; %bb.0:
	.section	.rodata,"a",@progbits
	.p2align	6, 0x0
	.amdhsa_kernel _ZN7rocprim17ROCPRIM_400000_NS6detail17trampoline_kernelINS0_14default_configENS1_29reduce_by_key_config_selectorIjjN6thrust23THRUST_200600_302600_NS4plusIjEEEEZZNS1_33reduce_by_key_impl_wrapped_configILNS1_25lookback_scan_determinismE0ES3_S9_NS6_6detail15normal_iteratorINS6_10device_ptrIjEEEESG_SG_SG_PmS8_NS6_8equal_toIjEEEE10hipError_tPvRmT2_T3_mT4_T5_T6_T7_T8_P12ihipStream_tbENKUlT_T0_E_clISt17integral_constantIbLb1EES10_IbLb0EEEEDaSW_SX_EUlSW_E_NS1_11comp_targetILNS1_3genE5ELNS1_11target_archE942ELNS1_3gpuE9ELNS1_3repE0EEENS1_30default_config_static_selectorELNS0_4arch9wavefront6targetE1EEEvT1_
		.amdhsa_group_segment_fixed_size 0
		.amdhsa_private_segment_fixed_size 0
		.amdhsa_kernarg_size 120
		.amdhsa_user_sgpr_count 6
		.amdhsa_user_sgpr_private_segment_buffer 1
		.amdhsa_user_sgpr_dispatch_ptr 0
		.amdhsa_user_sgpr_queue_ptr 0
		.amdhsa_user_sgpr_kernarg_segment_ptr 1
		.amdhsa_user_sgpr_dispatch_id 0
		.amdhsa_user_sgpr_flat_scratch_init 0
		.amdhsa_user_sgpr_kernarg_preload_length 0
		.amdhsa_user_sgpr_kernarg_preload_offset 0
		.amdhsa_user_sgpr_private_segment_size 0
		.amdhsa_uses_dynamic_stack 0
		.amdhsa_system_sgpr_private_segment_wavefront_offset 0
		.amdhsa_system_sgpr_workgroup_id_x 1
		.amdhsa_system_sgpr_workgroup_id_y 0
		.amdhsa_system_sgpr_workgroup_id_z 0
		.amdhsa_system_sgpr_workgroup_info 0
		.amdhsa_system_vgpr_workitem_id 0
		.amdhsa_next_free_vgpr 1
		.amdhsa_next_free_sgpr 0
		.amdhsa_accum_offset 4
		.amdhsa_reserve_vcc 0
		.amdhsa_reserve_flat_scratch 0
		.amdhsa_float_round_mode_32 0
		.amdhsa_float_round_mode_16_64 0
		.amdhsa_float_denorm_mode_32 3
		.amdhsa_float_denorm_mode_16_64 3
		.amdhsa_dx10_clamp 1
		.amdhsa_ieee_mode 1
		.amdhsa_fp16_overflow 0
		.amdhsa_tg_split 0
		.amdhsa_exception_fp_ieee_invalid_op 0
		.amdhsa_exception_fp_denorm_src 0
		.amdhsa_exception_fp_ieee_div_zero 0
		.amdhsa_exception_fp_ieee_overflow 0
		.amdhsa_exception_fp_ieee_underflow 0
		.amdhsa_exception_fp_ieee_inexact 0
		.amdhsa_exception_int_div_zero 0
	.end_amdhsa_kernel
	.section	.text._ZN7rocprim17ROCPRIM_400000_NS6detail17trampoline_kernelINS0_14default_configENS1_29reduce_by_key_config_selectorIjjN6thrust23THRUST_200600_302600_NS4plusIjEEEEZZNS1_33reduce_by_key_impl_wrapped_configILNS1_25lookback_scan_determinismE0ES3_S9_NS6_6detail15normal_iteratorINS6_10device_ptrIjEEEESG_SG_SG_PmS8_NS6_8equal_toIjEEEE10hipError_tPvRmT2_T3_mT4_T5_T6_T7_T8_P12ihipStream_tbENKUlT_T0_E_clISt17integral_constantIbLb1EES10_IbLb0EEEEDaSW_SX_EUlSW_E_NS1_11comp_targetILNS1_3genE5ELNS1_11target_archE942ELNS1_3gpuE9ELNS1_3repE0EEENS1_30default_config_static_selectorELNS0_4arch9wavefront6targetE1EEEvT1_,"axG",@progbits,_ZN7rocprim17ROCPRIM_400000_NS6detail17trampoline_kernelINS0_14default_configENS1_29reduce_by_key_config_selectorIjjN6thrust23THRUST_200600_302600_NS4plusIjEEEEZZNS1_33reduce_by_key_impl_wrapped_configILNS1_25lookback_scan_determinismE0ES3_S9_NS6_6detail15normal_iteratorINS6_10device_ptrIjEEEESG_SG_SG_PmS8_NS6_8equal_toIjEEEE10hipError_tPvRmT2_T3_mT4_T5_T6_T7_T8_P12ihipStream_tbENKUlT_T0_E_clISt17integral_constantIbLb1EES10_IbLb0EEEEDaSW_SX_EUlSW_E_NS1_11comp_targetILNS1_3genE5ELNS1_11target_archE942ELNS1_3gpuE9ELNS1_3repE0EEENS1_30default_config_static_selectorELNS0_4arch9wavefront6targetE1EEEvT1_,comdat
.Lfunc_end336:
	.size	_ZN7rocprim17ROCPRIM_400000_NS6detail17trampoline_kernelINS0_14default_configENS1_29reduce_by_key_config_selectorIjjN6thrust23THRUST_200600_302600_NS4plusIjEEEEZZNS1_33reduce_by_key_impl_wrapped_configILNS1_25lookback_scan_determinismE0ES3_S9_NS6_6detail15normal_iteratorINS6_10device_ptrIjEEEESG_SG_SG_PmS8_NS6_8equal_toIjEEEE10hipError_tPvRmT2_T3_mT4_T5_T6_T7_T8_P12ihipStream_tbENKUlT_T0_E_clISt17integral_constantIbLb1EES10_IbLb0EEEEDaSW_SX_EUlSW_E_NS1_11comp_targetILNS1_3genE5ELNS1_11target_archE942ELNS1_3gpuE9ELNS1_3repE0EEENS1_30default_config_static_selectorELNS0_4arch9wavefront6targetE1EEEvT1_, .Lfunc_end336-_ZN7rocprim17ROCPRIM_400000_NS6detail17trampoline_kernelINS0_14default_configENS1_29reduce_by_key_config_selectorIjjN6thrust23THRUST_200600_302600_NS4plusIjEEEEZZNS1_33reduce_by_key_impl_wrapped_configILNS1_25lookback_scan_determinismE0ES3_S9_NS6_6detail15normal_iteratorINS6_10device_ptrIjEEEESG_SG_SG_PmS8_NS6_8equal_toIjEEEE10hipError_tPvRmT2_T3_mT4_T5_T6_T7_T8_P12ihipStream_tbENKUlT_T0_E_clISt17integral_constantIbLb1EES10_IbLb0EEEEDaSW_SX_EUlSW_E_NS1_11comp_targetILNS1_3genE5ELNS1_11target_archE942ELNS1_3gpuE9ELNS1_3repE0EEENS1_30default_config_static_selectorELNS0_4arch9wavefront6targetE1EEEvT1_
                                        ; -- End function
	.section	.AMDGPU.csdata,"",@progbits
; Kernel info:
; codeLenInByte = 0
; NumSgprs: 4
; NumVgprs: 0
; NumAgprs: 0
; TotalNumVgprs: 0
; ScratchSize: 0
; MemoryBound: 0
; FloatMode: 240
; IeeeMode: 1
; LDSByteSize: 0 bytes/workgroup (compile time only)
; SGPRBlocks: 0
; VGPRBlocks: 0
; NumSGPRsForWavesPerEU: 4
; NumVGPRsForWavesPerEU: 1
; AccumOffset: 4
; Occupancy: 8
; WaveLimiterHint : 0
; COMPUTE_PGM_RSRC2:SCRATCH_EN: 0
; COMPUTE_PGM_RSRC2:USER_SGPR: 6
; COMPUTE_PGM_RSRC2:TRAP_HANDLER: 0
; COMPUTE_PGM_RSRC2:TGID_X_EN: 1
; COMPUTE_PGM_RSRC2:TGID_Y_EN: 0
; COMPUTE_PGM_RSRC2:TGID_Z_EN: 0
; COMPUTE_PGM_RSRC2:TIDIG_COMP_CNT: 0
; COMPUTE_PGM_RSRC3_GFX90A:ACCUM_OFFSET: 0
; COMPUTE_PGM_RSRC3_GFX90A:TG_SPLIT: 0
	.section	.text._ZN7rocprim17ROCPRIM_400000_NS6detail17trampoline_kernelINS0_14default_configENS1_29reduce_by_key_config_selectorIjjN6thrust23THRUST_200600_302600_NS4plusIjEEEEZZNS1_33reduce_by_key_impl_wrapped_configILNS1_25lookback_scan_determinismE0ES3_S9_NS6_6detail15normal_iteratorINS6_10device_ptrIjEEEESG_SG_SG_PmS8_NS6_8equal_toIjEEEE10hipError_tPvRmT2_T3_mT4_T5_T6_T7_T8_P12ihipStream_tbENKUlT_T0_E_clISt17integral_constantIbLb1EES10_IbLb0EEEEDaSW_SX_EUlSW_E_NS1_11comp_targetILNS1_3genE4ELNS1_11target_archE910ELNS1_3gpuE8ELNS1_3repE0EEENS1_30default_config_static_selectorELNS0_4arch9wavefront6targetE1EEEvT1_,"axG",@progbits,_ZN7rocprim17ROCPRIM_400000_NS6detail17trampoline_kernelINS0_14default_configENS1_29reduce_by_key_config_selectorIjjN6thrust23THRUST_200600_302600_NS4plusIjEEEEZZNS1_33reduce_by_key_impl_wrapped_configILNS1_25lookback_scan_determinismE0ES3_S9_NS6_6detail15normal_iteratorINS6_10device_ptrIjEEEESG_SG_SG_PmS8_NS6_8equal_toIjEEEE10hipError_tPvRmT2_T3_mT4_T5_T6_T7_T8_P12ihipStream_tbENKUlT_T0_E_clISt17integral_constantIbLb1EES10_IbLb0EEEEDaSW_SX_EUlSW_E_NS1_11comp_targetILNS1_3genE4ELNS1_11target_archE910ELNS1_3gpuE8ELNS1_3repE0EEENS1_30default_config_static_selectorELNS0_4arch9wavefront6targetE1EEEvT1_,comdat
	.protected	_ZN7rocprim17ROCPRIM_400000_NS6detail17trampoline_kernelINS0_14default_configENS1_29reduce_by_key_config_selectorIjjN6thrust23THRUST_200600_302600_NS4plusIjEEEEZZNS1_33reduce_by_key_impl_wrapped_configILNS1_25lookback_scan_determinismE0ES3_S9_NS6_6detail15normal_iteratorINS6_10device_ptrIjEEEESG_SG_SG_PmS8_NS6_8equal_toIjEEEE10hipError_tPvRmT2_T3_mT4_T5_T6_T7_T8_P12ihipStream_tbENKUlT_T0_E_clISt17integral_constantIbLb1EES10_IbLb0EEEEDaSW_SX_EUlSW_E_NS1_11comp_targetILNS1_3genE4ELNS1_11target_archE910ELNS1_3gpuE8ELNS1_3repE0EEENS1_30default_config_static_selectorELNS0_4arch9wavefront6targetE1EEEvT1_ ; -- Begin function _ZN7rocprim17ROCPRIM_400000_NS6detail17trampoline_kernelINS0_14default_configENS1_29reduce_by_key_config_selectorIjjN6thrust23THRUST_200600_302600_NS4plusIjEEEEZZNS1_33reduce_by_key_impl_wrapped_configILNS1_25lookback_scan_determinismE0ES3_S9_NS6_6detail15normal_iteratorINS6_10device_ptrIjEEEESG_SG_SG_PmS8_NS6_8equal_toIjEEEE10hipError_tPvRmT2_T3_mT4_T5_T6_T7_T8_P12ihipStream_tbENKUlT_T0_E_clISt17integral_constantIbLb1EES10_IbLb0EEEEDaSW_SX_EUlSW_E_NS1_11comp_targetILNS1_3genE4ELNS1_11target_archE910ELNS1_3gpuE8ELNS1_3repE0EEENS1_30default_config_static_selectorELNS0_4arch9wavefront6targetE1EEEvT1_
	.globl	_ZN7rocprim17ROCPRIM_400000_NS6detail17trampoline_kernelINS0_14default_configENS1_29reduce_by_key_config_selectorIjjN6thrust23THRUST_200600_302600_NS4plusIjEEEEZZNS1_33reduce_by_key_impl_wrapped_configILNS1_25lookback_scan_determinismE0ES3_S9_NS6_6detail15normal_iteratorINS6_10device_ptrIjEEEESG_SG_SG_PmS8_NS6_8equal_toIjEEEE10hipError_tPvRmT2_T3_mT4_T5_T6_T7_T8_P12ihipStream_tbENKUlT_T0_E_clISt17integral_constantIbLb1EES10_IbLb0EEEEDaSW_SX_EUlSW_E_NS1_11comp_targetILNS1_3genE4ELNS1_11target_archE910ELNS1_3gpuE8ELNS1_3repE0EEENS1_30default_config_static_selectorELNS0_4arch9wavefront6targetE1EEEvT1_
	.p2align	8
	.type	_ZN7rocprim17ROCPRIM_400000_NS6detail17trampoline_kernelINS0_14default_configENS1_29reduce_by_key_config_selectorIjjN6thrust23THRUST_200600_302600_NS4plusIjEEEEZZNS1_33reduce_by_key_impl_wrapped_configILNS1_25lookback_scan_determinismE0ES3_S9_NS6_6detail15normal_iteratorINS6_10device_ptrIjEEEESG_SG_SG_PmS8_NS6_8equal_toIjEEEE10hipError_tPvRmT2_T3_mT4_T5_T6_T7_T8_P12ihipStream_tbENKUlT_T0_E_clISt17integral_constantIbLb1EES10_IbLb0EEEEDaSW_SX_EUlSW_E_NS1_11comp_targetILNS1_3genE4ELNS1_11target_archE910ELNS1_3gpuE8ELNS1_3repE0EEENS1_30default_config_static_selectorELNS0_4arch9wavefront6targetE1EEEvT1_,@function
_ZN7rocprim17ROCPRIM_400000_NS6detail17trampoline_kernelINS0_14default_configENS1_29reduce_by_key_config_selectorIjjN6thrust23THRUST_200600_302600_NS4plusIjEEEEZZNS1_33reduce_by_key_impl_wrapped_configILNS1_25lookback_scan_determinismE0ES3_S9_NS6_6detail15normal_iteratorINS6_10device_ptrIjEEEESG_SG_SG_PmS8_NS6_8equal_toIjEEEE10hipError_tPvRmT2_T3_mT4_T5_T6_T7_T8_P12ihipStream_tbENKUlT_T0_E_clISt17integral_constantIbLb1EES10_IbLb0EEEEDaSW_SX_EUlSW_E_NS1_11comp_targetILNS1_3genE4ELNS1_11target_archE910ELNS1_3gpuE8ELNS1_3repE0EEENS1_30default_config_static_selectorELNS0_4arch9wavefront6targetE1EEEvT1_: ; @_ZN7rocprim17ROCPRIM_400000_NS6detail17trampoline_kernelINS0_14default_configENS1_29reduce_by_key_config_selectorIjjN6thrust23THRUST_200600_302600_NS4plusIjEEEEZZNS1_33reduce_by_key_impl_wrapped_configILNS1_25lookback_scan_determinismE0ES3_S9_NS6_6detail15normal_iteratorINS6_10device_ptrIjEEEESG_SG_SG_PmS8_NS6_8equal_toIjEEEE10hipError_tPvRmT2_T3_mT4_T5_T6_T7_T8_P12ihipStream_tbENKUlT_T0_E_clISt17integral_constantIbLb1EES10_IbLb0EEEEDaSW_SX_EUlSW_E_NS1_11comp_targetILNS1_3genE4ELNS1_11target_archE910ELNS1_3gpuE8ELNS1_3repE0EEENS1_30default_config_static_selectorELNS0_4arch9wavefront6targetE1EEEvT1_
; %bb.0:
	s_load_dwordx8 s[36:43], s[4:5], 0x0
	s_load_dwordx4 s[52:55], s[4:5], 0x20
	s_load_dwordx8 s[44:51], s[4:5], 0x38
	s_load_dwordx2 s[60:61], s[4:5], 0x68
	s_load_dwordx4 s[56:59], s[4:5], 0x58
	s_waitcnt lgkmcnt(0)
	s_lshl_b64 s[0:1], s[38:39], 2
	s_add_u32 s2, s36, s0
	s_addc_u32 s3, s37, s1
	s_add_u32 s4, s40, s0
	s_addc_u32 s5, s41, s1
	s_mul_i32 s0, s48, s47
	s_mul_hi_u32 s1, s48, s46
	s_add_i32 s0, s1, s0
	s_mul_i32 s1, s49, s46
	s_add_i32 s8, s0, s1
	s_mul_i32 s0, s6, 0xf00
	s_mov_b32 s1, 0
	s_lshl_b64 s[0:1], s[0:1], 2
	s_add_u32 s7, s2, s0
	s_mul_i32 s9, s48, s46
	s_addc_u32 s48, s3, s1
	s_add_u32 s49, s4, s0
	s_addc_u32 s62, s5, s1
	s_add_u32 s38, s9, s6
	s_addc_u32 s39, s8, 0
	s_add_u32 s2, s50, -1
	s_addc_u32 s3, s51, -1
	s_cmp_eq_u64 s[38:39], s[2:3]
	s_cselect_b64 s[34:35], -1, 0
	s_cmp_lg_u64 s[38:39], s[2:3]
	s_mov_b64 s[0:1], -1
	s_cselect_b64 s[40:41], -1, 0
	s_mul_i32 s33, s2, 0xfffff100
	s_and_b64 vcc, exec, s[34:35]
	s_cbranch_vccnz .LBB337_2
; %bb.1:
	v_lshlrev_b32_e32 v24, 2, v0
	v_mov_b32_e32 v1, s48
	v_add_co_u32_e32 v2, vcc, s7, v24
	v_addc_co_u32_e32 v3, vcc, 0, v1, vcc
	v_add_co_u32_e32 v4, vcc, 0x1000, v2
	v_addc_co_u32_e32 v5, vcc, 0, v3, vcc
	flat_load_dword v1, v[2:3]
	flat_load_dword v8, v[2:3] offset:1024
	flat_load_dword v9, v[2:3] offset:2048
	flat_load_dword v10, v[2:3] offset:3072
	flat_load_dword v11, v[4:5]
	flat_load_dword v12, v[4:5] offset:1024
	flat_load_dword v13, v[4:5] offset:2048
	;; [unrolled: 1-line block ×3, first 2 shown]
	v_add_co_u32_e32 v4, vcc, 0x2000, v2
	v_addc_co_u32_e32 v5, vcc, 0, v3, vcc
	v_add_co_u32_e32 v2, vcc, 0x3000, v2
	v_addc_co_u32_e32 v3, vcc, 0, v3, vcc
	flat_load_dword v15, v[4:5]
	flat_load_dword v16, v[4:5] offset:1024
	flat_load_dword v17, v[4:5] offset:2048
	;; [unrolled: 1-line block ×3, first 2 shown]
	flat_load_dword v19, v[2:3]
	flat_load_dword v20, v[2:3] offset:1024
	flat_load_dword v21, v[2:3] offset:2048
	v_mov_b32_e32 v3, s62
	v_add_co_u32_e32 v2, vcc, s49, v24
	s_movk_i32 s0, 0x1000
	v_addc_co_u32_e32 v3, vcc, 0, v3, vcc
	v_add_co_u32_e32 v4, vcc, s0, v2
	s_movk_i32 s1, 0x2000
	v_addc_co_u32_e32 v5, vcc, 0, v3, vcc
	;; [unrolled: 3-line block ×3, first 2 shown]
	v_mad_u32_u24 v38, v0, 56, v24
	v_add_co_u32_e32 v22, vcc, s2, v2
	v_addc_co_u32_e32 v23, vcc, 0, v3, vcc
	s_waitcnt vmcnt(0) lgkmcnt(0)
	ds_write2st64_b32 v24, v1, v8 offset1:4
	ds_write2st64_b32 v24, v9, v10 offset0:8 offset1:12
	ds_write2st64_b32 v24, v11, v12 offset0:16 offset1:20
	;; [unrolled: 1-line block ×6, first 2 shown]
	ds_write_b32 v24, v21 offset:14336
	s_waitcnt lgkmcnt(0)
	s_barrier
	ds_read2_b32 v[20:21], v38 offset1:1
	ds_read2_b32 v[18:19], v38 offset0:2 offset1:3
	ds_read2_b32 v[16:17], v38 offset0:4 offset1:5
	ds_read2_b32 v[14:15], v38 offset0:6 offset1:7
	ds_read2_b32 v[12:13], v38 offset0:8 offset1:9
	ds_read2_b32 v[10:11], v38 offset0:10 offset1:11
	ds_read2_b32 v[8:9], v38 offset0:12 offset1:13
	ds_read_b32 v1, v38 offset:56
	s_waitcnt lgkmcnt(0)
	s_barrier
	flat_load_dword v25, v[2:3]
	flat_load_dword v26, v[2:3] offset:1024
	flat_load_dword v27, v[2:3] offset:2048
	flat_load_dword v28, v[2:3] offset:3072
	flat_load_dword v29, v[4:5]
	flat_load_dword v30, v[4:5] offset:1024
	flat_load_dword v31, v[4:5] offset:2048
	flat_load_dword v32, v[4:5] offset:3072
	;; [unrolled: 4-line block ×3, first 2 shown]
	flat_load_dword v40, v[22:23]
	flat_load_dword v41, v[22:23] offset:1024
	flat_load_dword v42, v[22:23] offset:2048
	v_mov_b32_e32 v36, v20
	v_mov_b32_e32 v37, v18
	;; [unrolled: 1-line block ×7, first 2 shown]
	s_waitcnt vmcnt(0) lgkmcnt(0)
	ds_write2st64_b32 v24, v25, v26 offset1:4
	ds_write2st64_b32 v24, v27, v28 offset0:8 offset1:12
	ds_write2st64_b32 v24, v29, v30 offset0:16 offset1:20
	;; [unrolled: 1-line block ×6, first 2 shown]
	ds_write_b32 v24, v42 offset:14336
	s_waitcnt lgkmcnt(0)
	s_barrier
	s_add_i32 s33, s33, s56
	s_cbranch_execz .LBB337_3
	s_branch .LBB337_50
.LBB337_2:
                                        ; implicit-def: $vgpr1
                                        ; implicit-def: $vgpr8
                                        ; implicit-def: $vgpr10
                                        ; implicit-def: $vgpr12
                                        ; implicit-def: $vgpr14
                                        ; implicit-def: $vgpr16
                                        ; implicit-def: $vgpr18
                                        ; implicit-def: $vgpr20
                                        ; implicit-def: $vgpr38
                                        ; implicit-def: $vgpr2_vgpr3
                                        ; implicit-def: $vgpr4_vgpr5
                                        ; implicit-def: $vgpr36_vgpr37
                                        ; implicit-def: $vgpr6_vgpr7
	s_andn2_b64 vcc, exec, s[0:1]
	s_add_i32 s33, s33, s56
	s_cbranch_vccnz .LBB337_50
.LBB337_3:
	v_cmp_gt_u32_e32 vcc, s33, v0
                                        ; implicit-def: $vgpr1
	s_and_saveexec_b64 s[2:3], vcc
	s_cbranch_execz .LBB337_5
; %bb.4:
	v_lshlrev_b32_e32 v1, 2, v0
	v_mov_b32_e32 v3, s48
	v_add_co_u32_e64 v2, s[0:1], s7, v1
	v_addc_co_u32_e64 v3, s[0:1], 0, v3, s[0:1]
	flat_load_dword v1, v[2:3]
.LBB337_5:
	s_or_b64 exec, exec, s[2:3]
	v_or_b32_e32 v2, 0x100, v0
	v_cmp_gt_u32_e64 s[0:1], s33, v2
                                        ; implicit-def: $vgpr8
	s_and_saveexec_b64 s[4:5], s[0:1]
	s_cbranch_execz .LBB337_7
; %bb.6:
	v_lshlrev_b32_e32 v2, 2, v0
	v_mov_b32_e32 v3, s48
	v_add_co_u32_e64 v2, s[2:3], s7, v2
	v_addc_co_u32_e64 v3, s[2:3], 0, v3, s[2:3]
	flat_load_dword v8, v[2:3] offset:1024
.LBB337_7:
	s_or_b64 exec, exec, s[4:5]
	v_or_b32_e32 v2, 0x200, v0
	v_cmp_gt_u32_e64 s[2:3], s33, v2
                                        ; implicit-def: $vgpr9
	s_and_saveexec_b64 s[8:9], s[2:3]
	s_cbranch_execz .LBB337_9
; %bb.8:
	v_lshlrev_b32_e32 v2, 2, v0
	v_mov_b32_e32 v3, s48
	v_add_co_u32_e64 v2, s[4:5], s7, v2
	v_addc_co_u32_e64 v3, s[4:5], 0, v3, s[4:5]
	flat_load_dword v9, v[2:3] offset:2048
.LBB337_9:
	s_or_b64 exec, exec, s[8:9]
	v_or_b32_e32 v2, 0x300, v0
	v_cmp_gt_u32_e64 s[4:5], s33, v2
                                        ; implicit-def: $vgpr10
	s_and_saveexec_b64 s[10:11], s[4:5]
	s_cbranch_execz .LBB337_11
; %bb.10:
	v_lshlrev_b32_e32 v2, 2, v0
	v_mov_b32_e32 v3, s48
	v_add_co_u32_e64 v2, s[8:9], s7, v2
	v_addc_co_u32_e64 v3, s[8:9], 0, v3, s[8:9]
	flat_load_dword v10, v[2:3] offset:3072
.LBB337_11:
	s_or_b64 exec, exec, s[10:11]
	v_or_b32_e32 v2, 0x400, v0
	v_cmp_gt_u32_e64 s[28:29], s33, v2
                                        ; implicit-def: $vgpr11
	s_and_saveexec_b64 s[10:11], s[28:29]
	s_cbranch_execz .LBB337_13
; %bb.12:
	v_lshlrev_b32_e32 v3, 2, v2
	v_mov_b32_e32 v5, s48
	v_add_co_u32_e64 v4, s[8:9], s7, v3
	v_addc_co_u32_e64 v5, s[8:9], 0, v5, s[8:9]
	flat_load_dword v11, v[4:5]
.LBB337_13:
	s_or_b64 exec, exec, s[10:11]
	v_or_b32_e32 v3, 0x500, v0
	v_cmp_gt_u32_e64 s[8:9], s33, v3
                                        ; implicit-def: $vgpr12
	s_and_saveexec_b64 s[12:13], s[8:9]
	s_cbranch_execz .LBB337_15
; %bb.14:
	v_lshlrev_b32_e32 v4, 2, v3
	v_mov_b32_e32 v5, s48
	v_add_co_u32_e64 v4, s[10:11], s7, v4
	v_addc_co_u32_e64 v5, s[10:11], 0, v5, s[10:11]
	flat_load_dword v12, v[4:5]
.LBB337_15:
	s_or_b64 exec, exec, s[12:13]
	v_or_b32_e32 v4, 0x600, v0
	v_cmp_gt_u32_e64 s[10:11], s33, v4
                                        ; implicit-def: $vgpr13
	s_and_saveexec_b64 s[14:15], s[10:11]
	s_cbranch_execz .LBB337_17
; %bb.16:
	v_lshlrev_b32_e32 v5, 2, v4
	v_mov_b32_e32 v7, s48
	v_add_co_u32_e64 v6, s[12:13], s7, v5
	v_addc_co_u32_e64 v7, s[12:13], 0, v7, s[12:13]
	flat_load_dword v13, v[6:7]
.LBB337_17:
	s_or_b64 exec, exec, s[14:15]
	v_or_b32_e32 v5, 0x700, v0
	v_cmp_gt_u32_e64 s[12:13], s33, v5
                                        ; implicit-def: $vgpr14
	s_and_saveexec_b64 s[16:17], s[12:13]
	s_cbranch_execz .LBB337_19
; %bb.18:
	v_lshlrev_b32_e32 v6, 2, v5
	v_mov_b32_e32 v7, s48
	v_add_co_u32_e64 v6, s[14:15], s7, v6
	v_addc_co_u32_e64 v7, s[14:15], 0, v7, s[14:15]
	flat_load_dword v14, v[6:7]
.LBB337_19:
	s_or_b64 exec, exec, s[16:17]
	v_or_b32_e32 v6, 0x800, v0
	v_cmp_gt_u32_e64 s[14:15], s33, v6
                                        ; implicit-def: $vgpr15
	s_and_saveexec_b64 s[18:19], s[14:15]
	s_cbranch_execz .LBB337_21
; %bb.20:
	v_lshlrev_b32_e32 v7, 2, v6
	v_mov_b32_e32 v15, s48
	v_add_co_u32_e64 v16, s[16:17], s7, v7
	v_addc_co_u32_e64 v17, s[16:17], 0, v15, s[16:17]
	flat_load_dword v15, v[16:17]
.LBB337_21:
	s_or_b64 exec, exec, s[18:19]
	v_or_b32_e32 v22, 0x900, v0
	v_cmp_gt_u32_e64 s[16:17], s33, v22
                                        ; implicit-def: $vgpr16
	s_and_saveexec_b64 s[20:21], s[16:17]
	s_cbranch_execz .LBB337_23
; %bb.22:
	v_lshlrev_b32_e32 v7, 2, v22
	v_mov_b32_e32 v17, s48
	v_add_co_u32_e64 v16, s[18:19], s7, v7
	v_addc_co_u32_e64 v17, s[18:19], 0, v17, s[18:19]
	flat_load_dword v16, v[16:17]
.LBB337_23:
	s_or_b64 exec, exec, s[20:21]
	v_or_b32_e32 v23, 0xa00, v0
	v_cmp_gt_u32_e64 s[18:19], s33, v23
                                        ; implicit-def: $vgpr17
	s_and_saveexec_b64 s[22:23], s[18:19]
	s_cbranch_execz .LBB337_25
; %bb.24:
	v_lshlrev_b32_e32 v7, 2, v23
	v_mov_b32_e32 v17, s48
	v_add_co_u32_e64 v18, s[20:21], s7, v7
	v_addc_co_u32_e64 v19, s[20:21], 0, v17, s[20:21]
	flat_load_dword v17, v[18:19]
.LBB337_25:
	s_or_b64 exec, exec, s[22:23]
	v_or_b32_e32 v24, 0xb00, v0
	v_cmp_gt_u32_e64 s[20:21], s33, v24
                                        ; implicit-def: $vgpr18
	s_and_saveexec_b64 s[24:25], s[20:21]
	s_cbranch_execz .LBB337_27
; %bb.26:
	v_lshlrev_b32_e32 v7, 2, v24
	v_mov_b32_e32 v19, s48
	v_add_co_u32_e64 v18, s[22:23], s7, v7
	v_addc_co_u32_e64 v19, s[22:23], 0, v19, s[22:23]
	flat_load_dword v18, v[18:19]
.LBB337_27:
	s_or_b64 exec, exec, s[24:25]
	v_or_b32_e32 v25, 0xc00, v0
	v_cmp_gt_u32_e64 s[22:23], s33, v25
                                        ; implicit-def: $vgpr19
	s_and_saveexec_b64 s[26:27], s[22:23]
	s_cbranch_execz .LBB337_29
; %bb.28:
	v_lshlrev_b32_e32 v7, 2, v25
	v_mov_b32_e32 v19, s48
	v_add_co_u32_e64 v20, s[24:25], s7, v7
	v_addc_co_u32_e64 v21, s[24:25], 0, v19, s[24:25]
	flat_load_dword v19, v[20:21]
.LBB337_29:
	s_or_b64 exec, exec, s[26:27]
	v_or_b32_e32 v26, 0xd00, v0
	v_cmp_gt_u32_e64 s[24:25], s33, v26
                                        ; implicit-def: $vgpr20
	s_and_saveexec_b64 s[30:31], s[24:25]
	s_cbranch_execz .LBB337_31
; %bb.30:
	v_lshlrev_b32_e32 v7, 2, v26
	v_mov_b32_e32 v21, s48
	v_add_co_u32_e64 v20, s[26:27], s7, v7
	v_addc_co_u32_e64 v21, s[26:27], 0, v21, s[26:27]
	flat_load_dword v20, v[20:21]
.LBB337_31:
	s_or_b64 exec, exec, s[30:31]
	v_or_b32_e32 v27, 0xe00, v0
	v_cmp_gt_u32_e64 s[26:27], s33, v27
                                        ; implicit-def: $vgpr21
	s_and_saveexec_b64 s[36:37], s[26:27]
	s_cbranch_execz .LBB337_33
; %bb.32:
	v_lshlrev_b32_e32 v7, 2, v27
	v_mov_b32_e32 v21, s48
	v_add_co_u32_e64 v28, s[30:31], s7, v7
	v_addc_co_u32_e64 v29, s[30:31], 0, v21, s[30:31]
	flat_load_dword v21, v[28:29]
.LBB337_33:
	s_or_b64 exec, exec, s[36:37]
	v_lshlrev_b32_e32 v7, 2, v0
	v_mad_u32_u24 v38, v0, 56, v7
	s_waitcnt vmcnt(0) lgkmcnt(0)
	ds_write2st64_b32 v7, v1, v8 offset1:4
	ds_write2st64_b32 v7, v9, v10 offset0:8 offset1:12
	ds_write2st64_b32 v7, v11, v12 offset0:16 offset1:20
	;; [unrolled: 1-line block ×6, first 2 shown]
	ds_write_b32 v7, v21 offset:14336
	s_waitcnt lgkmcnt(0)
	s_barrier
	ds_read2_b32 v[20:21], v38 offset1:1
	ds_read2_b32 v[18:19], v38 offset0:2 offset1:3
	ds_read2_b32 v[16:17], v38 offset0:4 offset1:5
	;; [unrolled: 1-line block ×6, first 2 shown]
	ds_read_b32 v1, v38 offset:56
	s_waitcnt lgkmcnt(0)
	s_barrier
	s_waitcnt lgkmcnt(0)
                                        ; implicit-def: $vgpr28
	s_and_saveexec_b64 s[30:31], vcc
	s_cbranch_execnz .LBB337_57
; %bb.34:
	s_or_b64 exec, exec, s[30:31]
                                        ; implicit-def: $vgpr29
	s_and_saveexec_b64 s[30:31], s[0:1]
	s_cbranch_execnz .LBB337_58
.LBB337_35:
	s_or_b64 exec, exec, s[30:31]
                                        ; implicit-def: $vgpr30
	s_and_saveexec_b64 s[0:1], s[2:3]
	s_cbranch_execnz .LBB337_59
.LBB337_36:
	s_or_b64 exec, exec, s[0:1]
                                        ; implicit-def: $vgpr31
	s_and_saveexec_b64 s[0:1], s[4:5]
	s_cbranch_execnz .LBB337_60
.LBB337_37:
	s_or_b64 exec, exec, s[0:1]
                                        ; implicit-def: $vgpr32
	s_and_saveexec_b64 s[0:1], s[28:29]
	s_cbranch_execnz .LBB337_61
.LBB337_38:
	s_or_b64 exec, exec, s[0:1]
                                        ; implicit-def: $vgpr2
	s_and_saveexec_b64 s[0:1], s[8:9]
	s_cbranch_execnz .LBB337_62
.LBB337_39:
	s_or_b64 exec, exec, s[0:1]
                                        ; implicit-def: $vgpr3
	s_and_saveexec_b64 s[0:1], s[10:11]
	s_cbranch_execnz .LBB337_63
.LBB337_40:
	s_or_b64 exec, exec, s[0:1]
                                        ; implicit-def: $vgpr4
	s_and_saveexec_b64 s[0:1], s[12:13]
	s_cbranch_execnz .LBB337_64
.LBB337_41:
	s_or_b64 exec, exec, s[0:1]
                                        ; implicit-def: $vgpr5
	s_and_saveexec_b64 s[0:1], s[14:15]
	s_cbranch_execnz .LBB337_65
.LBB337_42:
	s_or_b64 exec, exec, s[0:1]
                                        ; implicit-def: $vgpr6
	s_and_saveexec_b64 s[0:1], s[16:17]
	s_cbranch_execnz .LBB337_66
.LBB337_43:
	s_or_b64 exec, exec, s[0:1]
                                        ; implicit-def: $vgpr22
	s_and_saveexec_b64 s[0:1], s[18:19]
	s_cbranch_execnz .LBB337_67
.LBB337_44:
	s_or_b64 exec, exec, s[0:1]
                                        ; implicit-def: $vgpr23
	s_and_saveexec_b64 s[0:1], s[20:21]
	s_cbranch_execnz .LBB337_68
.LBB337_45:
	s_or_b64 exec, exec, s[0:1]
                                        ; implicit-def: $vgpr24
	s_and_saveexec_b64 s[0:1], s[22:23]
	s_cbranch_execnz .LBB337_69
.LBB337_46:
	s_or_b64 exec, exec, s[0:1]
                                        ; implicit-def: $vgpr25
	s_and_saveexec_b64 s[0:1], s[24:25]
	s_cbranch_execnz .LBB337_70
.LBB337_47:
	s_or_b64 exec, exec, s[0:1]
                                        ; implicit-def: $vgpr26
	s_and_saveexec_b64 s[0:1], s[26:27]
	s_cbranch_execz .LBB337_49
.LBB337_48:
	v_lshlrev_b32_e32 v26, 2, v27
	v_mov_b32_e32 v27, s62
	v_add_co_u32_e32 v26, vcc, s49, v26
	v_addc_co_u32_e32 v27, vcc, 0, v27, vcc
	flat_load_dword v26, v[26:27]
.LBB337_49:
	s_or_b64 exec, exec, s[0:1]
	s_waitcnt vmcnt(0) lgkmcnt(0)
	ds_write2st64_b32 v7, v28, v29 offset1:4
	ds_write2st64_b32 v7, v30, v31 offset0:8 offset1:12
	ds_write2st64_b32 v7, v32, v2 offset0:16 offset1:20
	;; [unrolled: 1-line block ×6, first 2 shown]
	ds_write_b32 v7, v26 offset:14336
	v_mov_b32_e32 v36, v20
	v_mov_b32_e32 v37, v18
	;; [unrolled: 1-line block ×7, first 2 shown]
	s_waitcnt lgkmcnt(0)
	s_barrier
.LBB337_50:
	ds_read2_b32 v[34:35], v38 offset1:1
	ds_read2_b32 v[32:33], v38 offset0:2 offset1:3
	ds_read2_b32 v[30:31], v38 offset0:4 offset1:5
	;; [unrolled: 1-line block ×6, first 2 shown]
	ds_read_b32 v82, v38 offset:56
	s_cmp_eq_u64 s[38:39], 0
	s_cselect_b64 s[36:37], -1, 0
	s_cmp_lg_u64 s[38:39], 0
	s_mov_b64 s[2:3], 0
	s_cselect_b64 s[4:5], -1, 0
	s_and_b64 vcc, exec, s[40:41]
	s_waitcnt lgkmcnt(0)
	s_barrier
	s_cbranch_vccz .LBB337_56
; %bb.51:
	s_and_b64 vcc, exec, s[4:5]
	s_cbranch_vccz .LBB337_71
; %bb.52:
	v_mov_b32_e32 v7, s48
	v_add_co_u32_e64 v38, vcc, -4, s7
	v_addc_co_u32_e32 v39, vcc, -1, v7, vcc
	flat_load_dword v7, v[38:39]
	v_lshlrev_b32_e32 v38, 2, v0
	v_cmp_ne_u32_e32 vcc, 0, v0
	ds_write_b32 v38, v1
	s_waitcnt lgkmcnt(0)
	s_barrier
	s_and_saveexec_b64 s[0:1], vcc
	s_cbranch_execz .LBB337_54
; %bb.53:
	s_waitcnt vmcnt(0)
	v_add_u32_e32 v7, -4, v38
	ds_read_b32 v7, v7
.LBB337_54:
	s_or_b64 exec, exec, s[0:1]
	v_cmp_ne_u32_e32 vcc, v36, v21
	v_cndmask_b32_e64 v79, 0, 1, vcc
	v_cmp_ne_u32_e32 vcc, v37, v21
	v_cndmask_b32_e64 v78, 0, 1, vcc
	;; [unrolled: 2-line block ×14, first 2 shown]
	s_waitcnt vmcnt(0) lgkmcnt(0)
	v_cmp_ne_u32_e64 s[0:1], v7, v20
	s_mov_b64 s[2:3], -1
.LBB337_55:
                                        ; implicit-def: $sgpr10
	s_branch .LBB337_83
.LBB337_56:
                                        ; implicit-def: $sgpr0_sgpr1
                                        ; implicit-def: $vgpr66
                                        ; implicit-def: $vgpr67
                                        ; implicit-def: $vgpr68
                                        ; implicit-def: $vgpr69
                                        ; implicit-def: $vgpr70
                                        ; implicit-def: $vgpr71
                                        ; implicit-def: $vgpr72
                                        ; implicit-def: $vgpr73
                                        ; implicit-def: $vgpr74
                                        ; implicit-def: $vgpr75
                                        ; implicit-def: $vgpr76
                                        ; implicit-def: $vgpr77
                                        ; implicit-def: $vgpr78
                                        ; implicit-def: $vgpr79
                                        ; implicit-def: $sgpr10
	s_cbranch_execnz .LBB337_75
	s_branch .LBB337_83
.LBB337_57:
	v_mov_b32_e32 v29, s62
	v_add_co_u32_e32 v28, vcc, s49, v7
	v_addc_co_u32_e32 v29, vcc, 0, v29, vcc
	flat_load_dword v28, v[28:29]
	s_or_b64 exec, exec, s[30:31]
                                        ; implicit-def: $vgpr29
	s_and_saveexec_b64 s[30:31], s[0:1]
	s_cbranch_execz .LBB337_35
.LBB337_58:
	v_mov_b32_e32 v29, s62
	v_add_co_u32_e32 v30, vcc, s49, v7
	v_addc_co_u32_e32 v31, vcc, 0, v29, vcc
	flat_load_dword v29, v[30:31] offset:1024
	s_or_b64 exec, exec, s[30:31]
                                        ; implicit-def: $vgpr30
	s_and_saveexec_b64 s[0:1], s[2:3]
	s_cbranch_execz .LBB337_36
.LBB337_59:
	v_mov_b32_e32 v31, s62
	v_add_co_u32_e32 v30, vcc, s49, v7
	v_addc_co_u32_e32 v31, vcc, 0, v31, vcc
	flat_load_dword v30, v[30:31] offset:2048
	s_or_b64 exec, exec, s[0:1]
                                        ; implicit-def: $vgpr31
	s_and_saveexec_b64 s[0:1], s[4:5]
	s_cbranch_execz .LBB337_37
.LBB337_60:
	v_mov_b32_e32 v31, s62
	v_add_co_u32_e32 v32, vcc, s49, v7
	v_addc_co_u32_e32 v33, vcc, 0, v31, vcc
	flat_load_dword v31, v[32:33] offset:3072
	s_or_b64 exec, exec, s[0:1]
                                        ; implicit-def: $vgpr32
	s_and_saveexec_b64 s[0:1], s[28:29]
	s_cbranch_execz .LBB337_38
.LBB337_61:
	v_lshlrev_b32_e32 v2, 2, v2
	v_mov_b32_e32 v33, s62
	v_add_co_u32_e32 v32, vcc, s49, v2
	v_addc_co_u32_e32 v33, vcc, 0, v33, vcc
	flat_load_dword v32, v[32:33]
	s_or_b64 exec, exec, s[0:1]
                                        ; implicit-def: $vgpr2
	s_and_saveexec_b64 s[0:1], s[8:9]
	s_cbranch_execz .LBB337_39
.LBB337_62:
	v_lshlrev_b32_e32 v2, 2, v3
	v_mov_b32_e32 v3, s62
	v_add_co_u32_e32 v2, vcc, s49, v2
	v_addc_co_u32_e32 v3, vcc, 0, v3, vcc
	flat_load_dword v2, v[2:3]
	s_or_b64 exec, exec, s[0:1]
                                        ; implicit-def: $vgpr3
	s_and_saveexec_b64 s[0:1], s[10:11]
	s_cbranch_execz .LBB337_40
.LBB337_63:
	v_lshlrev_b32_e32 v3, 2, v4
	v_mov_b32_e32 v4, s62
	v_add_co_u32_e32 v34, vcc, s49, v3
	v_addc_co_u32_e32 v35, vcc, 0, v4, vcc
	flat_load_dword v3, v[34:35]
	s_or_b64 exec, exec, s[0:1]
                                        ; implicit-def: $vgpr4
	s_and_saveexec_b64 s[0:1], s[12:13]
	s_cbranch_execz .LBB337_41
.LBB337_64:
	v_lshlrev_b32_e32 v4, 2, v5
	v_mov_b32_e32 v5, s62
	v_add_co_u32_e32 v4, vcc, s49, v4
	v_addc_co_u32_e32 v5, vcc, 0, v5, vcc
	flat_load_dword v4, v[4:5]
	s_or_b64 exec, exec, s[0:1]
                                        ; implicit-def: $vgpr5
	s_and_saveexec_b64 s[0:1], s[14:15]
	s_cbranch_execz .LBB337_42
.LBB337_65:
	v_lshlrev_b32_e32 v5, 2, v6
	v_mov_b32_e32 v6, s62
	v_add_co_u32_e32 v34, vcc, s49, v5
	v_addc_co_u32_e32 v35, vcc, 0, v6, vcc
	flat_load_dword v5, v[34:35]
	s_or_b64 exec, exec, s[0:1]
                                        ; implicit-def: $vgpr6
	s_and_saveexec_b64 s[0:1], s[16:17]
	s_cbranch_execz .LBB337_43
.LBB337_66:
	v_lshlrev_b32_e32 v6, 2, v22
	v_mov_b32_e32 v22, s62
	v_add_co_u32_e32 v34, vcc, s49, v6
	v_addc_co_u32_e32 v35, vcc, 0, v22, vcc
	flat_load_dword v6, v[34:35]
	s_or_b64 exec, exec, s[0:1]
                                        ; implicit-def: $vgpr22
	s_and_saveexec_b64 s[0:1], s[18:19]
	s_cbranch_execz .LBB337_44
.LBB337_67:
	v_lshlrev_b32_e32 v22, 2, v23
	v_mov_b32_e32 v23, s62
	v_add_co_u32_e32 v22, vcc, s49, v22
	v_addc_co_u32_e32 v23, vcc, 0, v23, vcc
	flat_load_dword v22, v[22:23]
	s_or_b64 exec, exec, s[0:1]
                                        ; implicit-def: $vgpr23
	s_and_saveexec_b64 s[0:1], s[20:21]
	s_cbranch_execz .LBB337_45
.LBB337_68:
	v_lshlrev_b32_e32 v23, 2, v24
	v_mov_b32_e32 v24, s62
	v_add_co_u32_e32 v34, vcc, s49, v23
	v_addc_co_u32_e32 v35, vcc, 0, v24, vcc
	flat_load_dword v23, v[34:35]
	s_or_b64 exec, exec, s[0:1]
                                        ; implicit-def: $vgpr24
	s_and_saveexec_b64 s[0:1], s[22:23]
	s_cbranch_execz .LBB337_46
.LBB337_69:
	v_lshlrev_b32_e32 v24, 2, v25
	v_mov_b32_e32 v25, s62
	v_add_co_u32_e32 v24, vcc, s49, v24
	v_addc_co_u32_e32 v25, vcc, 0, v25, vcc
	flat_load_dword v24, v[24:25]
	s_or_b64 exec, exec, s[0:1]
                                        ; implicit-def: $vgpr25
	s_and_saveexec_b64 s[0:1], s[24:25]
	s_cbranch_execz .LBB337_47
.LBB337_70:
	v_lshlrev_b32_e32 v25, 2, v26
	v_mov_b32_e32 v26, s62
	v_add_co_u32_e32 v34, vcc, s49, v25
	v_addc_co_u32_e32 v35, vcc, 0, v26, vcc
	flat_load_dword v25, v[34:35]
	s_or_b64 exec, exec, s[0:1]
                                        ; implicit-def: $vgpr26
	s_and_saveexec_b64 s[0:1], s[26:27]
	s_cbranch_execnz .LBB337_48
	s_branch .LBB337_49
.LBB337_71:
                                        ; implicit-def: $sgpr0_sgpr1
                                        ; implicit-def: $vgpr66
                                        ; implicit-def: $vgpr67
                                        ; implicit-def: $vgpr68
                                        ; implicit-def: $vgpr69
                                        ; implicit-def: $vgpr70
                                        ; implicit-def: $vgpr71
                                        ; implicit-def: $vgpr72
                                        ; implicit-def: $vgpr73
                                        ; implicit-def: $vgpr74
                                        ; implicit-def: $vgpr75
                                        ; implicit-def: $vgpr76
                                        ; implicit-def: $vgpr77
                                        ; implicit-def: $vgpr78
                                        ; implicit-def: $vgpr79
	s_cbranch_execz .LBB337_55
; %bb.72:
	v_cmp_ne_u32_e32 vcc, v21, v36
	v_cndmask_b32_e64 v79, 0, 1, vcc
	v_cmp_ne_u32_e32 vcc, v21, v37
	v_cndmask_b32_e64 v78, 0, 1, vcc
	;; [unrolled: 2-line block ×13, first 2 shown]
	v_cmp_ne_u32_e32 vcc, v9, v1
	v_lshlrev_b32_e32 v7, 2, v0
	v_cndmask_b32_e64 v66, 0, 1, vcc
	v_cmp_ne_u32_e32 vcc, 0, v0
	ds_write_b32 v7, v1
	s_waitcnt lgkmcnt(0)
	s_barrier
	s_waitcnt lgkmcnt(0)
                                        ; implicit-def: $sgpr0_sgpr1
	s_and_saveexec_b64 s[8:9], vcc
	s_xor_b64 s[8:9], exec, s[8:9]
	s_cbranch_execz .LBB337_74
; %bb.73:
	v_add_u32_e32 v2, -4, v7
	ds_read_b32 v2, v2
	s_or_b64 s[2:3], s[2:3], exec
	s_waitcnt lgkmcnt(0)
	v_cmp_ne_u32_e32 vcc, v2, v20
	s_and_b64 s[0:1], vcc, exec
.LBB337_74:
	s_or_b64 exec, exec, s[8:9]
	s_mov_b32 s10, 1
	s_branch .LBB337_83
.LBB337_75:
	s_mul_hi_u32 s1, s38, 0xfffff100
	s_mul_i32 s0, s39, 0xfffff100
	s_sub_i32 s1, s1, s38
	s_add_i32 s1, s1, s0
	s_mul_i32 s0, s38, 0xfffff100
	s_add_u32 s8, s0, s56
	s_addc_u32 s9, s1, s57
	s_and_b64 vcc, exec, s[4:5]
	s_cbranch_vccz .LBB337_80
; %bb.76:
	v_mov_b32_e32 v3, s48
	v_add_co_u32_e64 v2, vcc, -4, s7
	v_addc_co_u32_e32 v3, vcc, -1, v3, vcc
	flat_load_dword v6, v[2:3]
	v_mad_u32_u24 v4, v0, 15, 14
	v_mov_b32_e32 v5, 0
	v_cmp_gt_u64_e32 vcc, s[8:9], v[4:5]
	v_cmp_ne_u32_e64 s[0:1], v9, v1
	v_mad_u32_u24 v4, v0, 15, 13
	s_and_b64 s[2:3], vcc, s[0:1]
	v_cmp_gt_u64_e32 vcc, s[8:9], v[4:5]
	v_cmp_ne_u32_e64 s[0:1], v8, v9
	v_mad_u32_u24 v4, v0, 15, 12
	s_and_b64 s[4:5], vcc, s[0:1]
	;; [unrolled: 4-line block ×13, first 2 shown]
	v_cmp_gt_u64_e32 vcc, s[8:9], v[4:5]
	v_cmp_ne_u32_e64 s[0:1], v20, v21
	v_lshlrev_b32_e32 v3, 2, v0
	v_mul_u32_u24_e32 v2, 15, v0
	s_and_b64 s[0:1], vcc, s[0:1]
	v_cmp_ne_u32_e32 vcc, 0, v0
	ds_write_b32 v3, v1
	s_waitcnt lgkmcnt(0)
	s_barrier
	s_and_saveexec_b64 s[38:39], vcc
	s_cbranch_execz .LBB337_78
; %bb.77:
	v_add_u32_e32 v3, -4, v3
	s_waitcnt vmcnt(0)
	ds_read_b32 v6, v3
.LBB337_78:
	s_or_b64 exec, exec, s[38:39]
	v_mov_b32_e32 v3, v5
	v_cndmask_b32_e64 v79, 0, 1, s[0:1]
	v_cmp_gt_u64_e32 vcc, s[8:9], v[2:3]
	s_waitcnt vmcnt(0) lgkmcnt(0)
	v_cmp_ne_u32_e64 s[0:1], v6, v20
	v_cndmask_b32_e64 v66, 0, 1, s[2:3]
	v_cndmask_b32_e64 v67, 0, 1, s[4:5]
	;; [unrolled: 1-line block ×13, first 2 shown]
	s_and_b64 s[0:1], vcc, s[0:1]
	s_mov_b64 s[2:3], -1
.LBB337_79:
                                        ; implicit-def: $sgpr10
	v_mov_b32_e32 v81, s10
	s_and_saveexec_b64 s[4:5], s[2:3]
	s_cbranch_execnz .LBB337_84
	s_branch .LBB337_85
.LBB337_80:
                                        ; implicit-def: $sgpr0_sgpr1
                                        ; implicit-def: $vgpr66
                                        ; implicit-def: $vgpr67
                                        ; implicit-def: $vgpr68
                                        ; implicit-def: $vgpr69
                                        ; implicit-def: $vgpr70
                                        ; implicit-def: $vgpr71
                                        ; implicit-def: $vgpr72
                                        ; implicit-def: $vgpr73
                                        ; implicit-def: $vgpr74
                                        ; implicit-def: $vgpr75
                                        ; implicit-def: $vgpr76
                                        ; implicit-def: $vgpr77
                                        ; implicit-def: $vgpr78
                                        ; implicit-def: $vgpr79
	s_cbranch_execz .LBB337_79
; %bb.81:
	v_mad_u32_u24 v2, v0, 15, 14
	v_mov_b32_e32 v3, 0
	v_cmp_gt_u64_e32 vcc, s[8:9], v[2:3]
	v_cmp_ne_u32_e64 s[0:1], v9, v1
	s_and_b64 s[0:1], vcc, s[0:1]
	v_mad_u32_u24 v2, v0, 15, 13
	v_cndmask_b32_e64 v66, 0, 1, s[0:1]
	v_cmp_gt_u64_e32 vcc, s[8:9], v[2:3]
	v_cmp_ne_u32_e64 s[0:1], v8, v9
	s_and_b64 s[0:1], vcc, s[0:1]
	v_mad_u32_u24 v2, v0, 15, 12
	v_cndmask_b32_e64 v67, 0, 1, s[0:1]
	;; [unrolled: 5-line block ×13, first 2 shown]
	v_cmp_gt_u64_e32 vcc, s[8:9], v[2:3]
	v_cmp_ne_u32_e64 s[0:1], v20, v21
	s_and_b64 s[0:1], vcc, s[0:1]
	v_lshlrev_b32_e32 v4, 2, v0
	s_mov_b32 s10, 1
	v_cndmask_b32_e64 v79, 0, 1, s[0:1]
	v_cmp_ne_u32_e32 vcc, 0, v0
	ds_write_b32 v4, v1
	s_waitcnt lgkmcnt(0)
	s_barrier
	s_waitcnt lgkmcnt(0)
                                        ; implicit-def: $sgpr0_sgpr1
	s_and_saveexec_b64 s[4:5], vcc
	s_cbranch_execz .LBB337_192
; %bb.82:
	v_add_u32_e32 v2, -4, v4
	ds_read_b32 v4, v2
	v_mul_u32_u24_e32 v2, 15, v0
	v_cmp_gt_u64_e32 vcc, s[8:9], v[2:3]
	s_or_b64 s[2:3], s[2:3], exec
	s_waitcnt lgkmcnt(0)
	v_cmp_ne_u32_e64 s[0:1], v4, v20
	s_and_b64 s[0:1], vcc, s[0:1]
	s_and_b64 s[0:1], s[0:1], exec
	s_or_b64 exec, exec, s[4:5]
.LBB337_83:
	v_mov_b32_e32 v81, s10
	s_and_saveexec_b64 s[4:5], s[2:3]
.LBB337_84:
	v_cndmask_b32_e64 v81, 0, 1, s[0:1]
.LBB337_85:
	s_or_b64 exec, exec, s[4:5]
	s_cmp_eq_u64 s[46:47], 0
	v_add3_u32 v2, v79, v81, v78
	s_cselect_b64 s[38:39], -1, 0
	s_cmp_lg_u32 s6, 0
	v_cmp_eq_u32_e64 s[24:25], 0, v79
	v_cmp_eq_u32_e64 s[22:23], 0, v78
	;; [unrolled: 1-line block ×3, first 2 shown]
	v_add3_u32 v86, v2, v77, v76
	v_cmp_eq_u32_e64 s[18:19], 0, v76
	v_cmp_eq_u32_e64 s[16:17], 0, v75
	;; [unrolled: 1-line block ×10, first 2 shown]
	v_cmp_eq_u32_e32 vcc, 0, v66
	v_mbcnt_lo_u32_b32 v85, -1, 0
	v_lshrrev_b32_e32 v83, 6, v0
	v_or_b32_e32 v84, 63, v0
	s_cbranch_scc0 .LBB337_116
; %bb.86:
	v_cndmask_b32_e64 v2, 0, v34, s[24:25]
	v_add_u32_e32 v2, v2, v35
	v_cndmask_b32_e64 v2, 0, v2, s[22:23]
	v_add_u32_e32 v2, v2, v32
	;; [unrolled: 2-line block ×11, first 2 shown]
	v_cndmask_b32_e64 v2, 0, v2, s[2:3]
	v_add3_u32 v3, v86, v75, v74
	v_add_u32_e32 v2, v2, v22
	v_add3_u32 v3, v3, v73, v72
	v_cndmask_b32_e64 v2, 0, v2, s[0:1]
	v_add3_u32 v3, v3, v71, v70
	v_add_u32_e32 v2, v2, v23
	v_add3_u32 v3, v3, v69, v68
	v_cndmask_b32_e32 v2, 0, v2, vcc
	v_add3_u32 v3, v3, v67, v66
	v_add_u32_e32 v2, v2, v82
	v_mbcnt_hi_u32_b32 v39, -1, v85
	v_and_b32_e32 v4, 15, v39
	v_mov_b32_dpp v6, v2 row_shr:1 row_mask:0xf bank_mask:0xf
	v_cmp_eq_u32_e32 vcc, 0, v3
	v_mov_b32_dpp v5, v3 row_shr:1 row_mask:0xf bank_mask:0xf
	v_cndmask_b32_e32 v6, 0, v6, vcc
	v_cmp_eq_u32_e32 vcc, 0, v4
	v_cndmask_b32_e64 v5, v5, 0, vcc
	v_add_u32_e32 v3, v5, v3
	v_cndmask_b32_e64 v5, v6, 0, vcc
	v_add_u32_e32 v2, v5, v2
	v_cmp_eq_u32_e32 vcc, 0, v3
	v_mov_b32_dpp v5, v3 row_shr:2 row_mask:0xf bank_mask:0xf
	v_cmp_lt_u32_e64 s[26:27], 1, v4
	v_mov_b32_dpp v6, v2 row_shr:2 row_mask:0xf bank_mask:0xf
	v_cndmask_b32_e64 v5, 0, v5, s[26:27]
	s_and_b64 vcc, s[26:27], vcc
	v_cndmask_b32_e32 v6, 0, v6, vcc
	v_add_u32_e32 v3, v3, v5
	v_add_u32_e32 v2, v6, v2
	v_cmp_eq_u32_e32 vcc, 0, v3
	v_mov_b32_dpp v5, v3 row_shr:4 row_mask:0xf bank_mask:0xf
	v_cmp_lt_u32_e64 s[26:27], 3, v4
	v_mov_b32_dpp v6, v2 row_shr:4 row_mask:0xf bank_mask:0xf
	v_cndmask_b32_e64 v5, 0, v5, s[26:27]
	s_and_b64 vcc, s[26:27], vcc
	v_cndmask_b32_e32 v6, 0, v6, vcc
	v_add_u32_e32 v3, v5, v3
	v_add_u32_e32 v2, v2, v6
	v_cmp_eq_u32_e32 vcc, 0, v3
	v_cmp_lt_u32_e64 s[26:27], 7, v4
	v_mov_b32_dpp v5, v3 row_shr:8 row_mask:0xf bank_mask:0xf
	v_mov_b32_dpp v6, v2 row_shr:8 row_mask:0xf bank_mask:0xf
	s_and_b64 vcc, s[26:27], vcc
	v_cndmask_b32_e64 v4, 0, v5, s[26:27]
	v_cndmask_b32_e32 v5, 0, v6, vcc
	v_add_u32_e32 v2, v5, v2
	v_add_u32_e32 v3, v4, v3
	v_bfe_i32 v6, v39, 4, 1
	v_mov_b32_dpp v5, v2 row_bcast:15 row_mask:0xf bank_mask:0xf
	v_mov_b32_dpp v4, v3 row_bcast:15 row_mask:0xf bank_mask:0xf
	v_cmp_eq_u32_e32 vcc, 0, v3
	v_cndmask_b32_e32 v5, 0, v5, vcc
	v_and_b32_e32 v4, v6, v4
	v_add_u32_e32 v3, v4, v3
	v_and_b32_e32 v4, v6, v5
	v_add_u32_e32 v4, v4, v2
	v_mov_b32_dpp v2, v3 row_bcast:31 row_mask:0xf bank_mask:0xf
	v_cmp_eq_u32_e32 vcc, 0, v3
	v_cmp_lt_u32_e64 s[26:27], 31, v39
	v_mov_b32_dpp v5, v4 row_bcast:31 row_mask:0xf bank_mask:0xf
	v_cndmask_b32_e64 v2, 0, v2, s[26:27]
	s_and_b64 vcc, s[26:27], vcc
	v_add_u32_e32 v2, v2, v3
	v_cndmask_b32_e32 v3, 0, v5, vcc
	v_add_u32_e32 v3, v3, v4
	v_cmp_eq_u32_e32 vcc, v84, v0
	v_lshlrev_b32_e32 v4, 3, v83
	s_and_saveexec_b64 s[26:27], vcc
	s_cbranch_execz .LBB337_88
; %bb.87:
	ds_write_b64 v4, v[2:3] offset:2064
.LBB337_88:
	s_or_b64 exec, exec, s[26:27]
	v_cmp_gt_u32_e32 vcc, 4, v0
	s_waitcnt lgkmcnt(0)
	s_barrier
	s_and_saveexec_b64 s[30:31], vcc
	s_cbranch_execz .LBB337_90
; %bb.89:
	v_lshlrev_b32_e32 v5, 3, v0
	ds_read_b64 v[6:7], v5 offset:2064
	v_and_b32_e32 v36, 3, v39
	v_cmp_lt_u32_e64 s[26:27], 1, v36
	s_waitcnt lgkmcnt(0)
	v_mov_b32_dpp v38, v7 row_shr:1 row_mask:0xf bank_mask:0xf
	v_cmp_eq_u32_e32 vcc, 0, v6
	v_mov_b32_dpp v37, v6 row_shr:1 row_mask:0xf bank_mask:0xf
	v_cndmask_b32_e32 v38, 0, v38, vcc
	v_cmp_eq_u32_e32 vcc, 0, v36
	v_cndmask_b32_e64 v37, v37, 0, vcc
	v_add_u32_e32 v6, v37, v6
	v_cndmask_b32_e64 v37, v38, 0, vcc
	v_add_u32_e32 v7, v37, v7
	v_cmp_eq_u32_e32 vcc, 0, v6
	v_mov_b32_dpp v37, v6 row_shr:2 row_mask:0xf bank_mask:0xf
	v_mov_b32_dpp v38, v7 row_shr:2 row_mask:0xf bank_mask:0xf
	v_cndmask_b32_e64 v36, 0, v37, s[26:27]
	s_and_b64 vcc, s[26:27], vcc
	v_add_u32_e32 v6, v36, v6
	v_cndmask_b32_e32 v36, 0, v38, vcc
	v_add_u32_e32 v7, v36, v7
	ds_write_b64 v5, v[6:7] offset:2064
.LBB337_90:
	s_or_b64 exec, exec, s[30:31]
	v_cmp_gt_u32_e32 vcc, 64, v0
	v_cmp_lt_u32_e64 s[26:27], 63, v0
	v_mov_b32_e32 v36, 0
	v_mov_b32_e32 v37, 0
	s_waitcnt lgkmcnt(0)
	s_barrier
	s_and_saveexec_b64 s[30:31], s[26:27]
	s_cbranch_execz .LBB337_92
; %bb.91:
	ds_read_b64 v[36:37], v4 offset:2056
	v_cmp_eq_u32_e64 s[26:27], 0, v2
	s_waitcnt lgkmcnt(0)
	v_add_u32_e32 v4, v36, v2
	v_cndmask_b32_e64 v2, 0, v37, s[26:27]
	v_add_u32_e32 v3, v2, v3
	v_mov_b32_e32 v2, v4
.LBB337_92:
	s_or_b64 exec, exec, s[30:31]
	v_add_u32_e32 v4, -1, v39
	v_and_b32_e32 v5, 64, v39
	v_cmp_lt_i32_e64 s[26:27], v4, v5
	v_cndmask_b32_e64 v4, v4, v39, s[26:27]
	v_lshlrev_b32_e32 v4, 2, v4
	ds_bpermute_b32 v44, v4, v2
	ds_bpermute_b32 v45, v4, v3
	v_cmp_eq_u32_e64 s[26:27], 0, v39
	s_and_saveexec_b64 s[40:41], vcc
	s_cbranch_execz .LBB337_115
; %bb.93:
	v_mov_b32_e32 v7, 0
	ds_read_b64 v[2:3], v7 offset:2088
	s_waitcnt lgkmcnt(0)
	v_readfirstlane_b32 s7, v2
	v_readfirstlane_b32 s48, v3
	s_and_saveexec_b64 s[30:31], s[26:27]
	s_cbranch_execz .LBB337_95
; %bb.94:
	s_add_i32 s46, s6, 64
	s_mov_b32 s47, 0
	s_lshl_b64 s[50:51], s[46:47], 4
	s_add_u32 s50, s44, s50
	s_addc_u32 s51, s45, s51
	s_and_b32 s57, s48, 0xff000000
	s_mov_b32 s56, s47
	s_and_b32 s63, s48, 0xff0000
	s_mov_b32 s62, s47
	s_or_b64 s[56:57], s[62:63], s[56:57]
	s_and_b32 s63, s48, 0xff00
	s_or_b64 s[56:57], s[56:57], s[62:63]
	s_and_b32 s63, s48, 0xff
	s_or_b64 s[46:47], s[56:57], s[62:63]
	v_mov_b32_e32 v4, s7
	v_mov_b32_e32 v5, s47
	;; [unrolled: 1-line block ×3, first 2 shown]
	v_pk_mov_b32 v[2:3], s[50:51], s[50:51] op_sel:[0,1]
	;;#ASMSTART
	global_store_dwordx4 v[2:3], v[4:7] off	
s_waitcnt vmcnt(0)
	;;#ASMEND
.LBB337_95:
	s_or_b64 exec, exec, s[30:31]
	v_xad_u32 v38, v39, -1, s6
	v_add_u32_e32 v6, 64, v38
	v_lshlrev_b64 v[2:3], 4, v[6:7]
	v_mov_b32_e32 v4, s45
	v_add_co_u32_e32 v40, vcc, s44, v2
	v_addc_co_u32_e32 v41, vcc, v4, v3, vcc
	;;#ASMSTART
	global_load_dwordx4 v[2:5], v[40:41] off glc	
s_waitcnt vmcnt(0)
	;;#ASMEND
	v_and_b32_e32 v5, 0xff, v3
	v_and_b32_e32 v6, 0xff00, v3
	;; [unrolled: 1-line block ×3, first 2 shown]
	v_or3_b32 v5, 0, v5, v6
	v_or3_b32 v2, v2, 0, 0
	v_and_b32_e32 v3, 0xff000000, v3
	v_or3_b32 v3, v5, v42, v3
	v_or3_b32 v2, v2, 0, 0
	v_cmp_eq_u16_sdwa s[46:47], v4, v7 src0_sel:BYTE_0 src1_sel:DWORD
	s_and_saveexec_b64 s[30:31], s[46:47]
	s_cbranch_execz .LBB337_101
; %bb.96:
	s_mov_b32 s49, 1
	s_mov_b64 s[46:47], 0
	v_mov_b32_e32 v6, 0
.LBB337_97:                             ; =>This Loop Header: Depth=1
                                        ;     Child Loop BB337_98 Depth 2
	s_max_u32 s50, s49, 1
.LBB337_98:                             ;   Parent Loop BB337_97 Depth=1
                                        ; =>  This Inner Loop Header: Depth=2
	s_add_i32 s50, s50, -1
	s_cmp_eq_u32 s50, 0
	s_sleep 1
	s_cbranch_scc0 .LBB337_98
; %bb.99:                               ;   in Loop: Header=BB337_97 Depth=1
	s_cmp_lt_u32 s49, 32
	s_cselect_b64 s[50:51], -1, 0
	s_cmp_lg_u64 s[50:51], 0
	s_addc_u32 s49, s49, 0
	;;#ASMSTART
	global_load_dwordx4 v[2:5], v[40:41] off glc	
s_waitcnt vmcnt(0)
	;;#ASMEND
	v_cmp_ne_u16_sdwa s[50:51], v4, v6 src0_sel:BYTE_0 src1_sel:DWORD
	s_or_b64 s[46:47], s[50:51], s[46:47]
	s_andn2_b64 exec, exec, s[46:47]
	s_cbranch_execnz .LBB337_97
; %bb.100:
	s_or_b64 exec, exec, s[46:47]
.LBB337_101:
	s_or_b64 exec, exec, s[30:31]
	v_mov_b32_e32 v46, 2
	v_cmp_eq_u16_sdwa s[30:31], v4, v46 src0_sel:BYTE_0 src1_sel:DWORD
	v_lshlrev_b64 v[40:41], v39, -1
	v_and_b32_e32 v5, s31, v41
	v_and_b32_e32 v47, 63, v39
	v_or_b32_e32 v5, 0x80000000, v5
	v_cmp_ne_u32_e32 vcc, 63, v47
	v_and_b32_e32 v6, s30, v40
	v_ffbl_b32_e32 v5, v5
	v_addc_co_u32_e32 v7, vcc, 0, v39, vcc
	v_add_u32_e32 v5, 32, v5
	v_ffbl_b32_e32 v6, v6
	v_lshlrev_b32_e32 v48, 2, v7
	v_min_u32_e32 v5, v6, v5
	ds_bpermute_b32 v6, v48, v3
	v_cmp_eq_u32_e32 vcc, 0, v2
	v_cmp_lt_u32_e64 s[30:31], v47, v5
	ds_bpermute_b32 v7, v48, v2
	s_and_b64 vcc, s[30:31], vcc
	s_waitcnt lgkmcnt(1)
	v_cndmask_b32_e32 v6, 0, v6, vcc
	v_cmp_gt_u32_e32 vcc, 62, v47
	v_add_u32_e32 v3, v6, v3
	v_cndmask_b32_e64 v6, 0, 1, vcc
	v_lshlrev_b32_e32 v6, 1, v6
	v_add_lshl_u32 v49, v6, v39, 2
	s_waitcnt lgkmcnt(0)
	v_cndmask_b32_e64 v7, 0, v7, s[30:31]
	ds_bpermute_b32 v6, v49, v3
	v_add_u32_e32 v2, v7, v2
	ds_bpermute_b32 v7, v49, v2
	v_add_u32_e32 v50, 2, v47
	v_cmp_eq_u32_e32 vcc, 0, v2
	s_waitcnt lgkmcnt(1)
	v_cndmask_b32_e32 v6, 0, v6, vcc
	v_cmp_gt_u32_e32 vcc, v50, v5
	v_cndmask_b32_e64 v6, v6, 0, vcc
	v_add_u32_e32 v3, v6, v3
	s_waitcnt lgkmcnt(0)
	v_cndmask_b32_e64 v6, v7, 0, vcc
	v_cmp_gt_u32_e32 vcc, 60, v47
	v_cndmask_b32_e64 v7, 0, 1, vcc
	v_lshlrev_b32_e32 v7, 2, v7
	v_add_lshl_u32 v51, v7, v39, 2
	ds_bpermute_b32 v7, v51, v3
	v_add_u32_e32 v2, v2, v6
	ds_bpermute_b32 v6, v51, v2
	v_add_u32_e32 v52, 4, v47
	v_cmp_eq_u32_e32 vcc, 0, v2
	s_waitcnt lgkmcnt(1)
	v_cndmask_b32_e32 v7, 0, v7, vcc
	v_cmp_gt_u32_e32 vcc, v52, v5
	v_cndmask_b32_e64 v7, v7, 0, vcc
	s_waitcnt lgkmcnt(0)
	v_cndmask_b32_e64 v6, v6, 0, vcc
	v_cmp_gt_u32_e32 vcc, 56, v47
	v_add_u32_e32 v3, v3, v7
	v_cndmask_b32_e64 v7, 0, 1, vcc
	v_lshlrev_b32_e32 v7, 3, v7
	v_add_lshl_u32 v53, v7, v39, 2
	ds_bpermute_b32 v7, v53, v3
	v_add_u32_e32 v2, v2, v6
	ds_bpermute_b32 v6, v53, v2
	v_add_u32_e32 v54, 8, v47
	v_cmp_eq_u32_e32 vcc, 0, v2
	s_waitcnt lgkmcnt(1)
	v_cndmask_b32_e32 v7, 0, v7, vcc
	v_cmp_gt_u32_e32 vcc, v54, v5
	v_cndmask_b32_e64 v7, v7, 0, vcc
	s_waitcnt lgkmcnt(0)
	v_cndmask_b32_e64 v6, v6, 0, vcc
	v_cmp_gt_u32_e32 vcc, 48, v47
	v_add_u32_e32 v3, v3, v7
	;; [unrolled: 16-line block ×3, first 2 shown]
	v_cndmask_b32_e64 v7, 0, 1, vcc
	v_lshlrev_b32_e32 v7, 5, v7
	v_add_lshl_u32 v57, v7, v39, 2
	ds_bpermute_b32 v7, v57, v3
	v_add_u32_e32 v2, v2, v6
	ds_bpermute_b32 v6, v57, v2
	v_add_u32_e32 v58, 32, v47
	v_cmp_eq_u32_e32 vcc, 0, v2
	s_waitcnt lgkmcnt(1)
	v_cndmask_b32_e32 v7, 0, v7, vcc
	v_cmp_gt_u32_e32 vcc, v58, v5
	v_cndmask_b32_e64 v5, v7, 0, vcc
	v_add_u32_e32 v3, v5, v3
	s_waitcnt lgkmcnt(0)
	v_cndmask_b32_e64 v5, v6, 0, vcc
	v_add_u32_e32 v2, v5, v2
	v_mov_b32_e32 v39, 0
	s_branch .LBB337_103
.LBB337_102:                            ;   in Loop: Header=BB337_103 Depth=1
	s_or_b64 exec, exec, s[30:31]
	v_cmp_eq_u16_sdwa s[30:31], v4, v46 src0_sel:BYTE_0 src1_sel:DWORD
	v_and_b32_e32 v5, s31, v41
	v_or_b32_e32 v5, 0x80000000, v5
	v_and_b32_e32 v42, s30, v40
	v_ffbl_b32_e32 v5, v5
	v_add_u32_e32 v5, 32, v5
	v_ffbl_b32_e32 v42, v42
	v_min_u32_e32 v5, v42, v5
	ds_bpermute_b32 v42, v48, v3
	v_cmp_eq_u32_e32 vcc, 0, v2
	v_cmp_lt_u32_e64 s[30:31], v47, v5
	ds_bpermute_b32 v43, v48, v2
	s_and_b64 vcc, s[30:31], vcc
	s_waitcnt lgkmcnt(1)
	v_cndmask_b32_e32 v42, 0, v42, vcc
	v_add_u32_e32 v3, v42, v3
	ds_bpermute_b32 v42, v49, v3
	s_waitcnt lgkmcnt(1)
	v_cndmask_b32_e64 v43, 0, v43, s[30:31]
	v_add_u32_e32 v2, v43, v2
	v_cmp_eq_u32_e32 vcc, 0, v2
	ds_bpermute_b32 v43, v49, v2
	s_waitcnt lgkmcnt(1)
	v_cndmask_b32_e32 v42, 0, v42, vcc
	v_cmp_gt_u32_e32 vcc, v50, v5
	v_cndmask_b32_e64 v42, v42, 0, vcc
	v_add_u32_e32 v3, v42, v3
	ds_bpermute_b32 v42, v51, v3
	s_waitcnt lgkmcnt(1)
	v_cndmask_b32_e64 v43, v43, 0, vcc
	v_add_u32_e32 v2, v2, v43
	v_cmp_eq_u32_e32 vcc, 0, v2
	ds_bpermute_b32 v43, v51, v2
	s_waitcnt lgkmcnt(1)
	v_cndmask_b32_e32 v42, 0, v42, vcc
	v_cmp_gt_u32_e32 vcc, v52, v5
	v_cndmask_b32_e64 v42, v42, 0, vcc
	v_add_u32_e32 v3, v3, v42
	ds_bpermute_b32 v42, v53, v3
	s_waitcnt lgkmcnt(1)
	v_cndmask_b32_e64 v43, v43, 0, vcc
	v_add_u32_e32 v2, v2, v43
	ds_bpermute_b32 v43, v53, v2
	v_cmp_eq_u32_e32 vcc, 0, v2
	s_waitcnt lgkmcnt(1)
	v_cndmask_b32_e32 v42, 0, v42, vcc
	v_cmp_gt_u32_e32 vcc, v54, v5
	v_cndmask_b32_e64 v42, v42, 0, vcc
	v_add_u32_e32 v3, v3, v42
	ds_bpermute_b32 v42, v55, v3
	s_waitcnt lgkmcnt(1)
	v_cndmask_b32_e64 v43, v43, 0, vcc
	v_add_u32_e32 v2, v2, v43
	ds_bpermute_b32 v43, v55, v2
	v_cmp_eq_u32_e32 vcc, 0, v2
	;; [unrolled: 11-line block ×3, first 2 shown]
	s_waitcnt lgkmcnt(1)
	v_cndmask_b32_e32 v42, 0, v42, vcc
	v_cmp_gt_u32_e32 vcc, v58, v5
	v_cndmask_b32_e64 v5, v42, 0, vcc
	v_add_u32_e32 v3, v5, v3
	s_waitcnt lgkmcnt(0)
	v_cndmask_b32_e64 v5, v43, 0, vcc
	v_cmp_eq_u32_e32 vcc, 0, v6
	v_cndmask_b32_e32 v3, 0, v3, vcc
	v_subrev_u32_e32 v38, 64, v38
	v_add3_u32 v2, v2, v6, v5
	v_add_u32_e32 v3, v3, v7
.LBB337_103:                            ; =>This Loop Header: Depth=1
                                        ;     Child Loop BB337_106 Depth 2
                                        ;       Child Loop BB337_107 Depth 3
	v_cmp_ne_u16_sdwa s[30:31], v4, v46 src0_sel:BYTE_0 src1_sel:DWORD
	v_mov_b32_e32 v7, v3
	v_cndmask_b32_e64 v3, 0, 1, s[30:31]
	;;#ASMSTART
	;;#ASMEND
	v_cmp_ne_u32_e32 vcc, 0, v3
	s_cmp_lg_u64 vcc, exec
	v_mov_b32_e32 v6, v2
	s_cbranch_scc1 .LBB337_110
; %bb.104:                              ;   in Loop: Header=BB337_103 Depth=1
	v_lshlrev_b64 v[2:3], 4, v[38:39]
	v_mov_b32_e32 v4, s45
	v_add_co_u32_e32 v42, vcc, s44, v2
	v_addc_co_u32_e32 v43, vcc, v4, v3, vcc
	;;#ASMSTART
	global_load_dwordx4 v[2:5], v[42:43] off glc	
s_waitcnt vmcnt(0)
	;;#ASMEND
	v_and_b32_e32 v5, 0xff, v3
	v_and_b32_e32 v59, 0xff00, v3
	;; [unrolled: 1-line block ×3, first 2 shown]
	v_or3_b32 v5, 0, v5, v59
	v_or3_b32 v2, v2, 0, 0
	v_and_b32_e32 v3, 0xff000000, v3
	v_or3_b32 v3, v5, v60, v3
	v_or3_b32 v2, v2, 0, 0
	v_cmp_eq_u16_sdwa s[46:47], v4, v39 src0_sel:BYTE_0 src1_sel:DWORD
	s_and_saveexec_b64 s[30:31], s[46:47]
	s_cbranch_execz .LBB337_102
; %bb.105:                              ;   in Loop: Header=BB337_103 Depth=1
	s_mov_b32 s49, 1
	s_mov_b64 s[46:47], 0
.LBB337_106:                            ;   Parent Loop BB337_103 Depth=1
                                        ; =>  This Loop Header: Depth=2
                                        ;       Child Loop BB337_107 Depth 3
	s_max_u32 s50, s49, 1
.LBB337_107:                            ;   Parent Loop BB337_103 Depth=1
                                        ;     Parent Loop BB337_106 Depth=2
                                        ; =>    This Inner Loop Header: Depth=3
	s_add_i32 s50, s50, -1
	s_cmp_eq_u32 s50, 0
	s_sleep 1
	s_cbranch_scc0 .LBB337_107
; %bb.108:                              ;   in Loop: Header=BB337_106 Depth=2
	s_cmp_lt_u32 s49, 32
	s_cselect_b64 s[50:51], -1, 0
	s_cmp_lg_u64 s[50:51], 0
	s_addc_u32 s49, s49, 0
	;;#ASMSTART
	global_load_dwordx4 v[2:5], v[42:43] off glc	
s_waitcnt vmcnt(0)
	;;#ASMEND
	v_cmp_ne_u16_sdwa s[50:51], v4, v39 src0_sel:BYTE_0 src1_sel:DWORD
	s_or_b64 s[46:47], s[50:51], s[46:47]
	s_andn2_b64 exec, exec, s[46:47]
	s_cbranch_execnz .LBB337_106
; %bb.109:                              ;   in Loop: Header=BB337_103 Depth=1
	s_or_b64 exec, exec, s[46:47]
	s_branch .LBB337_102
.LBB337_110:                            ;   in Loop: Header=BB337_103 Depth=1
                                        ; implicit-def: $vgpr3
                                        ; implicit-def: $vgpr2
                                        ; implicit-def: $vgpr4
	s_cbranch_execz .LBB337_103
; %bb.111:
	s_and_saveexec_b64 s[30:31], s[26:27]
	s_cbranch_execz .LBB337_113
; %bb.112:
	s_cmp_eq_u32 s7, 0
	s_cselect_b64 vcc, -1, 0
	s_mov_b32 s47, 0
	v_cndmask_b32_e32 v2, 0, v7, vcc
	s_add_i32 s46, s6, 64
	v_add_u32_e32 v2, s48, v2
	s_lshl_b64 s[46:47], s[46:47], 4
	s_add_u32 s46, s44, s46
	v_and_b32_e32 v3, 0xff000000, v2
	v_and_b32_e32 v4, 0xff0000, v2
	s_addc_u32 s47, s45, s47
	v_or_b32_e32 v3, v4, v3
	v_and_b32_e32 v4, 0xff00, v2
	v_and_b32_e32 v2, 0xff, v2
	v_add_u32_e32 v38, s7, v6
	v_mov_b32_e32 v41, 0
	v_or3_b32 v39, v3, v4, v2
	v_mov_b32_e32 v40, 2
	v_pk_mov_b32 v[2:3], s[46:47], s[46:47] op_sel:[0,1]
	;;#ASMSTART
	global_store_dwordx4 v[2:3], v[38:41] off	
s_waitcnt vmcnt(0)
	;;#ASMEND
	v_mov_b32_e32 v4, s7
	v_mov_b32_e32 v5, s48
	ds_write_b128 v41, v[4:7] offset:2048
.LBB337_113:
	s_or_b64 exec, exec, s[30:31]
	v_cmp_eq_u32_e32 vcc, 0, v0
	s_and_b64 exec, exec, vcc
	s_cbranch_execz .LBB337_115
; %bb.114:
	v_mov_b32_e32 v2, 0
	ds_write_b64 v2, v[6:7] offset:2088
.LBB337_115:
	s_or_b64 exec, exec, s[40:41]
	v_mov_b32_e32 v4, 0
	s_waitcnt lgkmcnt(0)
	s_barrier
	ds_read_b64 v[2:3], v4 offset:2088
	v_cndmask_b32_e64 v6, v44, v36, s[26:27]
	v_cmp_eq_u32_e32 vcc, 0, v6
	v_cndmask_b32_e64 v5, v45, v37, s[26:27]
	s_waitcnt lgkmcnt(0)
	v_cndmask_b32_e32 v7, 0, v3, vcc
	v_add_u32_e32 v5, v7, v5
	v_cmp_eq_u32_e32 vcc, 0, v0
	v_cndmask_b32_e32 v65, v5, v3, vcc
	v_cndmask_b32_e64 v3, v6, 0, vcc
	v_cmp_eq_u32_e32 vcc, 0, v81
	v_add_u32_e32 v64, v2, v3
	v_cndmask_b32_e32 v2, 0, v65, vcc
	v_add_u32_e32 v63, v2, v34
	v_cndmask_b32_e64 v2, 0, v63, s[24:25]
	v_add_u32_e32 v61, v2, v35
	v_cndmask_b32_e64 v2, 0, v61, s[22:23]
	;; [unrolled: 2-line block ×8, first 2 shown]
	v_add_u32_e32 v62, v64, v81
	v_add_u32_e32 v47, v2, v26
	v_add_u32_e32 v60, v62, v79
	v_cndmask_b32_e64 v2, 0, v47, s[8:9]
	v_add_u32_e32 v58, v60, v78
	v_add_u32_e32 v45, v2, v27
	v_add_u32_e32 v56, v58, v77
	v_cndmask_b32_e64 v2, 0, v45, s[28:29]
	;; [unrolled: 4-line block ×3, first 2 shown]
	v_add_u32_e32 v50, v52, v74
	v_add_u32_e32 v41, v2, v25
	s_barrier
	ds_read_b128 v[2:5], v4 offset:2048
	v_add_u32_e32 v48, v50, v73
	v_add_u32_e32 v46, v48, v72
	;; [unrolled: 1-line block ×4, first 2 shown]
	v_cndmask_b32_e64 v6, 0, v41, s[2:3]
	v_add_u32_e32 v40, v42, v69
	v_add_u32_e32 v39, v6, v22
	s_waitcnt lgkmcnt(0)
	v_cmp_eq_u32_e32 vcc, 0, v2
	v_add_u32_e32 v38, v40, v68
	v_cndmask_b32_e64 v6, 0, v39, s[0:1]
	v_cndmask_b32_e32 v5, 0, v5, vcc
	v_add_u32_e32 v36, v38, v67
	v_add_u32_e32 v37, v6, v23
	;; [unrolled: 1-line block ×3, first 2 shown]
	s_branch .LBB337_128
.LBB337_116:
                                        ; implicit-def: $vgpr2
                                        ; implicit-def: $vgpr80
                                        ; implicit-def: $vgpr64_vgpr65
                                        ; implicit-def: $vgpr62_vgpr63
                                        ; implicit-def: $vgpr60_vgpr61
                                        ; implicit-def: $vgpr58_vgpr59
                                        ; implicit-def: $vgpr56_vgpr57
                                        ; implicit-def: $vgpr54_vgpr55
                                        ; implicit-def: $vgpr52_vgpr53
                                        ; implicit-def: $vgpr50_vgpr51
                                        ; implicit-def: $vgpr48_vgpr49
                                        ; implicit-def: $vgpr46_vgpr47
                                        ; implicit-def: $vgpr44_vgpr45
                                        ; implicit-def: $vgpr42_vgpr43
                                        ; implicit-def: $vgpr40_vgpr41
                                        ; implicit-def: $vgpr38_vgpr39
                                        ; implicit-def: $vgpr36_vgpr37
	s_cbranch_execz .LBB337_128
; %bb.117:
	s_and_b64 s[0:1], s[38:39], exec
	s_cselect_b32 s1, 0, s61
	s_cselect_b32 s0, 0, s60
	s_cmp_eq_u64 s[0:1], 0
	v_mov_b32_e32 v6, v34
	s_cbranch_scc1 .LBB337_119
; %bb.118:
	v_mov_b32_e32 v2, 0
	global_load_dword v6, v2, s[0:1]
.LBB337_119:
	v_cmp_eq_u32_e64 s[0:1], 0, v79
	v_cndmask_b32_e64 v2, 0, v34, s[0:1]
	v_add_u32_e32 v2, v2, v35
	v_cmp_eq_u32_e64 s[2:3], 0, v78
	v_cndmask_b32_e64 v2, 0, v2, s[2:3]
	v_add_u32_e32 v2, v2, v32
	;; [unrolled: 3-line block ×11, first 2 shown]
	v_cmp_eq_u32_e64 s[22:23], 0, v68
	v_cndmask_b32_e64 v2, 0, v2, s[22:23]
	v_add3_u32 v3, v86, v75, v74
	v_add_u32_e32 v2, v2, v22
	v_cmp_eq_u32_e32 vcc, 0, v67
	v_add3_u32 v3, v3, v73, v72
	v_cndmask_b32_e32 v2, 0, v2, vcc
	v_add3_u32 v3, v3, v71, v70
	v_add_u32_e32 v2, v2, v23
	v_cmp_eq_u32_e64 s[24:25], 0, v66
	v_add3_u32 v3, v3, v69, v68
	v_cndmask_b32_e64 v2, 0, v2, s[24:25]
	v_add3_u32 v3, v3, v67, v66
	v_add_u32_e32 v2, v2, v82
	v_mbcnt_hi_u32_b32 v7, -1, v85
	v_and_b32_e32 v4, 15, v7
	v_mov_b32_dpp v36, v2 row_shr:1 row_mask:0xf bank_mask:0xf
	v_cmp_eq_u32_e64 s[24:25], 0, v3
	v_mov_b32_dpp v5, v3 row_shr:1 row_mask:0xf bank_mask:0xf
	v_cndmask_b32_e64 v36, 0, v36, s[24:25]
	v_cmp_eq_u32_e64 s[24:25], 0, v4
	v_cndmask_b32_e64 v5, v5, 0, s[24:25]
	v_add_u32_e32 v3, v5, v3
	v_cndmask_b32_e64 v5, v36, 0, s[24:25]
	v_add_u32_e32 v2, v5, v2
	v_cmp_eq_u32_e64 s[24:25], 0, v3
	v_mov_b32_dpp v5, v3 row_shr:2 row_mask:0xf bank_mask:0xf
	v_cmp_lt_u32_e64 s[26:27], 1, v4
	v_mov_b32_dpp v36, v2 row_shr:2 row_mask:0xf bank_mask:0xf
	v_cndmask_b32_e64 v5, 0, v5, s[26:27]
	s_and_b64 s[24:25], s[26:27], s[24:25]
	v_cndmask_b32_e64 v36, 0, v36, s[24:25]
	v_add_u32_e32 v3, v3, v5
	v_add_u32_e32 v2, v36, v2
	v_cmp_eq_u32_e64 s[24:25], 0, v3
	v_mov_b32_dpp v5, v3 row_shr:4 row_mask:0xf bank_mask:0xf
	v_cmp_lt_u32_e64 s[26:27], 3, v4
	v_mov_b32_dpp v36, v2 row_shr:4 row_mask:0xf bank_mask:0xf
	v_cndmask_b32_e64 v5, 0, v5, s[26:27]
	s_and_b64 s[24:25], s[26:27], s[24:25]
	v_cndmask_b32_e64 v36, 0, v36, s[24:25]
	v_add_u32_e32 v3, v5, v3
	v_add_u32_e32 v2, v2, v36
	v_cmp_eq_u32_e64 s[24:25], 0, v3
	v_cmp_lt_u32_e64 s[26:27], 7, v4
	v_mov_b32_dpp v5, v3 row_shr:8 row_mask:0xf bank_mask:0xf
	v_mov_b32_dpp v36, v2 row_shr:8 row_mask:0xf bank_mask:0xf
	s_and_b64 s[24:25], s[26:27], s[24:25]
	v_cndmask_b32_e64 v4, 0, v5, s[26:27]
	v_cndmask_b32_e64 v5, 0, v36, s[24:25]
	v_add_u32_e32 v2, v5, v2
	v_add_u32_e32 v3, v4, v3
	v_bfe_i32 v36, v7, 4, 1
	v_mov_b32_dpp v5, v2 row_bcast:15 row_mask:0xf bank_mask:0xf
	v_mov_b32_dpp v4, v3 row_bcast:15 row_mask:0xf bank_mask:0xf
	v_cmp_eq_u32_e64 s[24:25], 0, v3
	v_cndmask_b32_e64 v5, 0, v5, s[24:25]
	v_and_b32_e32 v4, v36, v4
	v_add_u32_e32 v3, v4, v3
	v_and_b32_e32 v4, v36, v5
	v_add_u32_e32 v4, v4, v2
	v_mov_b32_dpp v2, v3 row_bcast:31 row_mask:0xf bank_mask:0xf
	v_cmp_eq_u32_e64 s[24:25], 0, v3
	v_cmp_lt_u32_e64 s[26:27], 31, v7
	v_mov_b32_dpp v5, v4 row_bcast:31 row_mask:0xf bank_mask:0xf
	v_cndmask_b32_e64 v2, 0, v2, s[26:27]
	s_and_b64 s[24:25], s[26:27], s[24:25]
	v_add_u32_e32 v2, v2, v3
	v_cndmask_b32_e64 v3, 0, v5, s[24:25]
	v_add_u32_e32 v3, v3, v4
	v_cmp_eq_u32_e64 s[24:25], v84, v0
	s_and_saveexec_b64 s[26:27], s[24:25]
	s_cbranch_execz .LBB337_121
; %bb.120:
	v_lshlrev_b32_e32 v4, 3, v83
	ds_write_b64 v4, v[2:3] offset:2064
.LBB337_121:
	s_or_b64 exec, exec, s[26:27]
	v_cmp_gt_u32_e64 s[24:25], 4, v0
	s_waitcnt lgkmcnt(0)
	s_barrier
	s_and_saveexec_b64 s[28:29], s[24:25]
	s_cbranch_execz .LBB337_123
; %bb.122:
	v_lshlrev_b32_e32 v36, 3, v0
	ds_read_b64 v[4:5], v36 offset:2064
	v_and_b32_e32 v37, 3, v7
	v_cmp_lt_u32_e64 s[26:27], 1, v37
	s_waitcnt lgkmcnt(0)
	v_mov_b32_dpp v39, v5 row_shr:1 row_mask:0xf bank_mask:0xf
	v_cmp_eq_u32_e64 s[24:25], 0, v4
	v_mov_b32_dpp v38, v4 row_shr:1 row_mask:0xf bank_mask:0xf
	v_cndmask_b32_e64 v39, 0, v39, s[24:25]
	v_cmp_eq_u32_e64 s[24:25], 0, v37
	v_cndmask_b32_e64 v38, v38, 0, s[24:25]
	v_add_u32_e32 v4, v38, v4
	v_cndmask_b32_e64 v38, v39, 0, s[24:25]
	v_add_u32_e32 v5, v38, v5
	v_cmp_eq_u32_e64 s[24:25], 0, v4
	v_mov_b32_dpp v38, v4 row_shr:2 row_mask:0xf bank_mask:0xf
	v_mov_b32_dpp v39, v5 row_shr:2 row_mask:0xf bank_mask:0xf
	v_cndmask_b32_e64 v37, 0, v38, s[26:27]
	s_and_b64 s[24:25], s[26:27], s[24:25]
	v_add_u32_e32 v4, v37, v4
	v_cndmask_b32_e64 v37, 0, v39, s[24:25]
	v_add_u32_e32 v5, v37, v5
	ds_write_b64 v36, v[4:5] offset:2064
.LBB337_123:
	s_or_b64 exec, exec, s[28:29]
	v_cmp_lt_u32_e64 s[24:25], 63, v0
	v_mov_b32_e32 v36, 0
	v_mov_b32_e32 v4, 0
	s_waitcnt vmcnt(0)
	v_mov_b32_e32 v5, v6
	s_waitcnt lgkmcnt(0)
	s_barrier
	s_and_saveexec_b64 s[26:27], s[24:25]
	s_cbranch_execz .LBB337_125
; %bb.124:
	v_lshlrev_b32_e32 v4, 3, v83
	ds_read_b64 v[4:5], v4 offset:2056
	s_waitcnt lgkmcnt(0)
	v_cmp_eq_u32_e64 s[24:25], 0, v4
	v_cndmask_b32_e64 v37, 0, v6, s[24:25]
	v_add_u32_e32 v5, v37, v5
.LBB337_125:
	s_or_b64 exec, exec, s[26:27]
	v_cmp_eq_u32_e64 s[24:25], 0, v2
	v_add_u32_e32 v37, v4, v2
	v_cndmask_b32_e64 v2, 0, v5, s[24:25]
	v_add_u32_e32 v2, v2, v3
	v_add_u32_e32 v3, -1, v7
	v_and_b32_e32 v38, 64, v7
	v_cmp_lt_i32_e64 s[24:25], v3, v38
	v_cndmask_b32_e64 v3, v3, v7, s[24:25]
	v_lshlrev_b32_e32 v3, 2, v3
	ds_bpermute_b32 v37, v3, v37
	ds_bpermute_b32 v2, v3, v2
	v_cmp_eq_u32_e64 s[24:25], 0, v7
	v_cmp_eq_u32_e64 s[26:27], 0, v81
	s_waitcnt lgkmcnt(1)
	v_cndmask_b32_e64 v3, v37, v4, s[24:25]
	s_waitcnt lgkmcnt(0)
	v_cndmask_b32_e64 v2, v2, v5, s[24:25]
	v_cmp_eq_u32_e64 s[24:25], 0, v0
	v_cndmask_b32_e64 v65, v2, v6, s[24:25]
	v_cndmask_b32_e64 v2, 0, v65, s[26:27]
	v_add_u32_e32 v63, v2, v34
	v_cndmask_b32_e64 v2, 0, v63, s[0:1]
	v_add_u32_e32 v61, v2, v35
	;; [unrolled: 2-line block ×8, first 2 shown]
	v_cndmask_b32_e64 v64, v3, 0, s[24:25]
	v_cndmask_b32_e64 v2, 0, v49, s[14:15]
	v_add_u32_e32 v62, v64, v81
	v_add_u32_e32 v47, v2, v26
	v_add_u32_e32 v60, v62, v79
	v_cndmask_b32_e64 v2, 0, v47, s[16:17]
	v_add_u32_e32 v58, v60, v78
	v_add_u32_e32 v45, v2, v27
	v_add_u32_e32 v56, v58, v77
	;; [unrolled: 4-line block ×3, first 2 shown]
	v_cndmask_b32_e64 v2, 0, v43, s[20:21]
	v_add_u32_e32 v50, v52, v74
	v_add_u32_e32 v41, v2, v25
	ds_read_b64 v[2:3], v36 offset:2088
	v_add_u32_e32 v48, v50, v73
	v_add_u32_e32 v46, v48, v72
	;; [unrolled: 1-line block ×3, first 2 shown]
	v_cndmask_b32_e64 v4, 0, v41, s[22:23]
	v_add_u32_e32 v42, v44, v70
	v_add_u32_e32 v39, v4, v22
	v_add_u32_e32 v40, v42, v69
	v_cndmask_b32_e32 v4, 0, v39, vcc
	s_waitcnt lgkmcnt(0)
	v_cmp_eq_u32_e32 vcc, 0, v2
	v_add_u32_e32 v38, v40, v68
	v_add_u32_e32 v37, v4, v23
	v_cndmask_b32_e32 v4, 0, v6, vcc
	v_add_u32_e32 v36, v38, v67
	v_add_u32_e32 v80, v4, v3
	s_and_saveexec_b64 s[0:1], s[24:25]
	s_cbranch_execz .LBB337_127
; %bb.126:
	s_add_u32 s2, s44, 0x400
	v_and_b32_e32 v3, 0xff000000, v80
	v_and_b32_e32 v4, 0xff0000, v80
	s_addc_u32 s3, s45, 0
	v_or_b32_e32 v3, v4, v3
	v_and_b32_e32 v4, 0xff00, v80
	v_and_b32_e32 v6, 0xff, v80
	v_mov_b32_e32 v5, 0
	v_or3_b32 v3, v3, v4, v6
	v_mov_b32_e32 v4, 2
	v_pk_mov_b32 v[6:7], s[2:3], s[2:3] op_sel:[0,1]
	;;#ASMSTART
	global_store_dwordx4 v[6:7], v[2:5] off	
s_waitcnt vmcnt(0)
	;;#ASMEND
.LBB337_127:
	s_or_b64 exec, exec, s[0:1]
	v_mov_b32_e32 v4, 0
.LBB337_128:
	s_and_b64 s[0:1], s[38:39], exec
	s_cselect_b32 s1, 0, s59
	s_cselect_b32 s0, 0, s58
	s_cmp_eq_u64 s[0:1], 0
	v_pk_mov_b32 v[6:7], 0, 0
	s_barrier
	s_cbranch_scc1 .LBB337_130
; %bb.129:
	v_mov_b32_e32 v3, 0
	global_load_dwordx2 v[6:7], v3, s[0:1]
.LBB337_130:
	s_waitcnt vmcnt(0)
	v_lshlrev_b64 v[22:23], 2, v[6:7]
	v_mov_b32_e32 v3, s43
	v_add_co_u32_e32 v26, vcc, s42, v22
	v_mov_b32_e32 v5, 0
	v_addc_co_u32_e32 v27, vcc, v3, v23, vcc
	v_lshlrev_b64 v[24:25], 2, v[4:5]
	v_add_co_u32_e32 v3, vcc, v26, v24
	v_addc_co_u32_e32 v5, vcc, v27, v25, vcc
	v_cmp_eq_u32_e32 vcc, 0, v81
	v_cndmask_b32_e64 v26, 1, 2, vcc
	v_cmp_eq_u32_e32 vcc, 0, v79
	v_cndmask_b32_e64 v27, 1, 2, vcc
	v_cmp_eq_u32_e32 vcc, 0, v78
	v_and_b32_e32 v26, v27, v26
	v_cndmask_b32_e64 v27, 1, 2, vcc
	v_cmp_eq_u32_e32 vcc, 0, v77
	v_and_b32_e32 v26, v26, v27
	;; [unrolled: 3-line block ×13, first 2 shown]
	v_cndmask_b32_e64 v27, 1, 2, vcc
	s_movk_i32 s30, 0x100
	v_and_b32_e32 v26, v26, v27
	v_cmp_gt_u32_e32 vcc, s30, v2
	v_cmp_ne_u32_e64 s[28:29], 0, v81
	v_cmp_ne_u32_e64 s[26:27], 0, v79
	;; [unrolled: 1-line block ×15, first 2 shown]
	s_mov_b64 s[38:39], -1
	v_cmp_gt_i16_e64 s[30:31], 2, v26
	s_cbranch_vccz .LBB337_137
; %bb.131:
	s_and_saveexec_b64 s[38:39], s[30:31]
	s_cbranch_execz .LBB337_136
; %bb.132:
	v_cmp_ne_u16_e32 vcc, 1, v26
	s_mov_b64 s[40:41], 0
	s_and_saveexec_b64 s[30:31], vcc
	s_xor_b64 s[30:31], exec, s[30:31]
	s_cbranch_execnz .LBB337_193
; %bb.133:
	s_andn2_saveexec_b64 s[30:31], s[30:31]
	s_cbranch_execnz .LBB337_209
.LBB337_134:
	s_or_b64 exec, exec, s[30:31]
	s_and_b64 exec, exec, s[40:41]
	s_cbranch_execz .LBB337_136
.LBB337_135:
	v_sub_u32_e32 v28, v36, v4
	v_mov_b32_e32 v29, 0
	v_lshlrev_b64 v[28:29], 2, v[28:29]
	v_add_co_u32_e32 v28, vcc, v3, v28
	v_addc_co_u32_e32 v29, vcc, v5, v29, vcc
	global_store_dword v[28:29], v1, off
.LBB337_136:
	s_or_b64 exec, exec, s[38:39]
	s_mov_b64 s[38:39], 0
.LBB337_137:
	s_and_b64 vcc, exec, s[38:39]
	s_cbranch_vccz .LBB337_159
; %bb.138:
	v_cmp_gt_i16_e32 vcc, 2, v26
	s_and_saveexec_b64 s[30:31], vcc
	s_cbranch_execz .LBB337_143
; %bb.139:
	v_cmp_ne_u16_e32 vcc, 1, v26
	s_mov_b64 s[40:41], 0
	s_and_saveexec_b64 s[38:39], vcc
	s_xor_b64 s[38:39], exec, s[38:39]
	s_cbranch_execnz .LBB337_210
; %bb.140:
	s_andn2_saveexec_b64 s[0:1], s[38:39]
	s_cbranch_execnz .LBB337_226
.LBB337_141:
	s_or_b64 exec, exec, s[0:1]
	s_and_b64 exec, exec, s[40:41]
	s_cbranch_execz .LBB337_143
.LBB337_142:
	v_sub_u32_e32 v8, v36, v4
	v_lshlrev_b32_e32 v8, 2, v8
	ds_write_b32 v8, v1
.LBB337_143:
	s_or_b64 exec, exec, s[30:31]
	v_cmp_lt_u32_e32 vcc, v0, v2
	s_waitcnt lgkmcnt(0)
	s_barrier
	s_and_saveexec_b64 s[2:3], vcc
	s_cbranch_execz .LBB337_158
; %bb.144:
	v_xad_u32 v1, v0, -1, v2
	s_movk_i32 s0, 0x1700
	v_cmp_gt_u32_e64 s[4:5], s0, v1
	s_movk_i32 s0, 0x16ff
	v_cmp_lt_u32_e32 vcc, s0, v1
	v_mov_b32_e32 v8, v0
	s_and_saveexec_b64 s[6:7], vcc
	s_cbranch_execz .LBB337_155
; %bb.145:
	v_sub_u32_e32 v8, v0, v2
	v_or_b32_e32 v8, 0xff, v8
	v_cmp_ge_u32_e32 vcc, v8, v0
	s_mov_b64 s[0:1], -1
	v_mov_b32_e32 v8, v0
	s_and_saveexec_b64 s[8:9], vcc
	s_cbranch_execz .LBB337_154
; %bb.146:
	v_lshrrev_b32_e32 v12, 8, v1
	v_add_u32_e32 v8, -1, v12
	v_or_b32_e32 v1, 0x100, v0
	v_lshrrev_b32_e32 v9, 1, v8
	v_add_u32_e32 v13, 1, v9
	v_cmp_lt_u32_e32 vcc, 13, v8
	v_mov_b32_e32 v16, 0
	v_pk_mov_b32 v[8:9], v[0:1], v[0:1] op_sel:[0,1]
	s_and_saveexec_b64 s[10:11], vcc
	s_cbranch_execz .LBB337_150
; %bb.147:
	v_and_b32_e32 v14, -8, v13
	v_lshlrev_b32_e32 v15, 2, v0
	s_mov_b32 s14, 0
	s_mov_b64 s[12:13], 0
	v_mov_b32_e32 v11, 0
	v_pk_mov_b32 v[8:9], v[0:1], v[0:1] op_sel:[0,1]
.LBB337_148:                            ; =>This Inner Loop Header: Depth=1
	v_mov_b32_e32 v10, v8
	v_add_u32_e32 v14, -8, v14
	v_lshlrev_b64 v[96:97], 2, v[10:11]
	v_mov_b32_e32 v10, v9
	ds_read2st64_b32 v[18:19], v15 offset1:4
	s_add_i32 s14, s14, 16
	v_cmp_eq_u32_e32 vcc, 0, v14
	v_lshlrev_b64 v[100:101], 2, v[10:11]
	v_add_u32_e32 v10, 0x200, v8
	s_or_b64 s[12:13], vcc, s[12:13]
	v_add_co_u32_e32 v100, vcc, v3, v100
	v_add_u32_e32 v16, 0x200, v9
	v_mov_b32_e32 v17, v11
	ds_read2st64_b32 v[20:21], v15 offset0:8 offset1:12
	ds_read2st64_b32 v[28:29], v15 offset0:16 offset1:20
	v_add_co_u32_e64 v96, s[0:1], v3, v96
	v_addc_co_u32_e32 v101, vcc, v5, v101, vcc
	v_lshlrev_b64 v[102:103], 2, v[10:11]
	v_lshlrev_b64 v[98:99], 2, v[16:17]
	v_addc_co_u32_e64 v97, s[0:1], v5, v97, s[0:1]
	v_add_u32_e32 v10, 0x400, v8
	v_add_co_u32_e32 v102, vcc, v3, v102
	v_add_u32_e32 v26, 0x400, v9
	v_mov_b32_e32 v27, v11
	ds_read2st64_b32 v[32:33], v15 offset0:24 offset1:28
	v_add_co_u32_e64 v98, s[0:1], v3, v98
	v_addc_co_u32_e32 v103, vcc, v5, v103, vcc
	v_lshlrev_b64 v[104:105], 2, v[10:11]
	ds_read2st64_b32 v[82:83], v15 offset0:32 offset1:36
	ds_read2st64_b32 v[86:87], v15 offset0:40 offset1:44
	;; [unrolled: 1-line block ×4, first 2 shown]
	v_lshlrev_b64 v[26:27], 2, v[26:27]
	v_addc_co_u32_e64 v99, s[0:1], v5, v99, s[0:1]
	v_add_u32_e32 v10, 0x600, v8
	s_waitcnt lgkmcnt(7)
	global_store_dword v[96:97], v18, off
	global_store_dword v[100:101], v19, off
	s_waitcnt lgkmcnt(6)
	global_store_dword v[102:103], v20, off
	global_store_dword v[98:99], v21, off
	v_add_co_u32_e32 v18, vcc, v3, v104
	v_add_u32_e32 v30, 0x600, v9
	v_mov_b32_e32 v31, v11
	v_add_co_u32_e64 v26, s[0:1], v3, v26
	v_addc_co_u32_e32 v19, vcc, v5, v105, vcc
	v_lshlrev_b64 v[20:21], 2, v[10:11]
	v_lshlrev_b64 v[30:31], 2, v[30:31]
	v_addc_co_u32_e64 v27, s[0:1], v5, v27, s[0:1]
	v_add_u32_e32 v10, 0x800, v8
	s_waitcnt lgkmcnt(5)
	global_store_dword v[18:19], v28, off
	global_store_dword v[26:27], v29, off
	v_add_co_u32_e32 v18, vcc, v3, v20
	v_add_u32_e32 v34, 0x800, v9
	v_mov_b32_e32 v35, v11
	v_add_co_u32_e64 v30, s[0:1], v3, v30
	v_addc_co_u32_e32 v19, vcc, v5, v21, vcc
	v_lshlrev_b64 v[20:21], 2, v[10:11]
	v_lshlrev_b64 v[34:35], 2, v[34:35]
	v_addc_co_u32_e64 v31, s[0:1], v5, v31, s[0:1]
	v_add_u32_e32 v10, 0xa00, v8
	;; [unrolled: 12-line block ×4, first 2 shown]
	s_waitcnt lgkmcnt(2)
	global_store_dword v[18:19], v86, off
	global_store_dword v[84:85], v87, off
	v_add_co_u32_e32 v18, vcc, v3, v20
	v_add_u32_e32 v92, 0xe00, v9
	v_mov_b32_e32 v93, v11
	v_add_co_u32_e64 v88, s[0:1], v3, v88
	v_addc_co_u32_e32 v19, vcc, v5, v21, vcc
	v_lshlrev_b64 v[20:21], 2, v[10:11]
	v_lshlrev_b64 v[92:93], 2, v[92:93]
	v_addc_co_u32_e64 v89, s[0:1], v5, v89, s[0:1]
	s_waitcnt lgkmcnt(1)
	global_store_dword v[18:19], v90, off
	global_store_dword v[88:89], v91, off
	v_add_co_u32_e32 v18, vcc, v3, v20
	v_add_u32_e32 v15, 0x4000, v15
	v_add_u32_e32 v9, 0x1000, v9
	v_mov_b32_e32 v16, s14
	v_add_co_u32_e64 v92, s[0:1], v3, v92
	v_add_u32_e32 v8, 0x1000, v8
	v_addc_co_u32_e32 v19, vcc, v5, v21, vcc
	v_addc_co_u32_e64 v93, s[0:1], v5, v93, s[0:1]
	s_waitcnt lgkmcnt(0)
	global_store_dword v[18:19], v94, off
	global_store_dword v[92:93], v95, off
	s_andn2_b64 exec, exec, s[12:13]
	s_cbranch_execnz .LBB337_148
; %bb.149:
	s_or_b64 exec, exec, s[12:13]
.LBB337_150:
	s_or_b64 exec, exec, s[10:11]
	v_and_b32_e32 v1, 7, v13
	v_cmp_ne_u32_e32 vcc, 0, v1
	s_and_saveexec_b64 s[10:11], vcc
	s_cbranch_execz .LBB337_153
; %bb.151:
	v_lshlrev_b32_e32 v10, 2, v0
	v_lshl_or_b32 v13, v16, 10, v10
	s_mov_b64 s[12:13], 0
	v_mov_b32_e32 v11, 0
.LBB337_152:                            ; =>This Inner Loop Header: Depth=1
	ds_read2st64_b32 v[14:15], v13 offset1:4
	v_mov_b32_e32 v10, v8
	v_add_u32_e32 v1, -1, v1
	v_lshlrev_b64 v[16:17], 2, v[10:11]
	v_mov_b32_e32 v10, v9
	v_cmp_eq_u32_e32 vcc, 0, v1
	v_add_co_u32_e64 v16, s[0:1], v3, v16
	v_lshlrev_b64 v[18:19], 2, v[10:11]
	v_add_u32_e32 v8, 0x200, v8
	v_add_u32_e32 v13, 0x800, v13
	;; [unrolled: 1-line block ×3, first 2 shown]
	v_addc_co_u32_e64 v17, s[0:1], v5, v17, s[0:1]
	s_or_b64 s[12:13], vcc, s[12:13]
	v_add_co_u32_e32 v18, vcc, v3, v18
	v_addc_co_u32_e32 v19, vcc, v5, v19, vcc
	s_waitcnt lgkmcnt(0)
	global_store_dword v[16:17], v14, off
	global_store_dword v[18:19], v15, off
	s_andn2_b64 exec, exec, s[12:13]
	s_cbranch_execnz .LBB337_152
.LBB337_153:
	s_or_b64 exec, exec, s[10:11]
	v_add_u32_e32 v1, 1, v12
	v_and_b32_e32 v9, 0x1fffffe, v1
	v_cmp_ne_u32_e32 vcc, v1, v9
	v_lshl_or_b32 v8, v9, 8, v0
	s_orn2_b64 s[0:1], vcc, exec
.LBB337_154:
	s_or_b64 exec, exec, s[8:9]
	s_andn2_b64 s[4:5], s[4:5], exec
	s_and_b64 s[0:1], s[0:1], exec
	s_or_b64 s[4:5], s[4:5], s[0:1]
.LBB337_155:
	s_or_b64 exec, exec, s[6:7]
	s_and_b64 exec, exec, s[4:5]
	s_cbranch_execz .LBB337_158
; %bb.156:
	v_lshlrev_b32_e32 v1, 2, v8
	s_mov_b64 s[0:1], 0
	v_mov_b32_e32 v9, 0
.LBB337_157:                            ; =>This Inner Loop Header: Depth=1
	v_lshlrev_b64 v[10:11], 2, v[8:9]
	ds_read_b32 v12, v1
	v_add_co_u32_e32 v10, vcc, v3, v10
	v_add_u32_e32 v8, 0x100, v8
	v_addc_co_u32_e32 v11, vcc, v5, v11, vcc
	v_cmp_ge_u32_e32 vcc, v8, v2
	v_add_u32_e32 v1, 0x400, v1
	s_or_b64 s[0:1], vcc, s[0:1]
	s_waitcnt lgkmcnt(0)
	global_store_dword v[10:11], v12, off
	s_andn2_b64 exec, exec, s[0:1]
	s_cbranch_execnz .LBB337_157
.LBB337_158:
	s_or_b64 exec, exec, s[2:3]
.LBB337_159:
	s_cmpk_lg_i32 s33, 0xf00
	s_cselect_b64 s[0:1], -1, 0
	s_and_b64 s[0:1], s[34:35], s[0:1]
	v_cmp_eq_u32_e32 vcc, 0, v0
	v_cndmask_b32_e64 v8, 0, 1, s[0:1]
	s_and_b64 s[0:1], vcc, s[36:37]
	v_cndmask_b32_e64 v5, v81, 0, s[0:1]
	s_mul_hi_u32 s0, s33, 0x88888889
	s_lshr_b32 s0, s0, 3
	v_mad_i32_i24 v9, v0, -15, s33
	v_cmp_eq_u32_e32 vcc, s0, v0
	v_cmp_ne_u32_e64 s[0:1], 0, v9
	v_cndmask_b32_e64 v10, 1, v5, s[0:1]
	v_cmp_ne_u32_e64 s[0:1], 1, v9
	v_cndmask_b32_e64 v11, 1, v79, s[0:1]
	;; [unrolled: 2-line block ×15, first 2 shown]
	s_and_b64 vcc, s[34:35], vcc
	v_cndmask_b32_e32 v28, v66, v9, vcc
	v_cndmask_b32_e32 v27, v67, v27, vcc
	;; [unrolled: 1-line block ×15, first 2 shown]
	v_mov_b32_e32 v5, s53
	v_add_co_u32_e32 v9, vcc, s52, v22
	v_addc_co_u32_e32 v12, vcc, v5, v23, vcc
	v_cndmask_b32_e64 v1, 0, 1, s[36:37]
	v_add_co_u32_e32 v5, vcc, v9, v24
	v_addc_co_u32_e32 v12, vcc, v12, v25, vcc
	v_lshlrev_b32_e32 v9, 2, v1
	v_add_co_u32_e32 v9, vcc, v9, v5
	v_addc_co_u32_e32 v14, vcc, 0, v12, vcc
	v_add_co_u32_e32 v13, vcc, -4, v9
	v_addc_co_u32_e32 v14, vcc, -1, v14, vcc
	v_cmp_eq_u32_e32 vcc, 0, v10
	v_cmp_ne_u32_e64 s[28:29], 0, v10
	v_cndmask_b32_e64 v10, 1, 2, vcc
	v_cmp_eq_u32_e32 vcc, 0, v11
	v_cmp_ne_u32_e64 s[26:27], 0, v11
	v_cndmask_b32_e64 v11, 1, 2, vcc
	v_cmp_eq_u32_e32 vcc, 0, v31
	v_and_b32_e32 v10, v11, v10
	v_cndmask_b32_e64 v11, 1, 2, vcc
	v_cmp_eq_u32_e32 vcc, 0, v30
	v_and_b32_e32 v10, v10, v11
	;; [unrolled: 3-line block ×11, first 2 shown]
	v_cndmask_b32_e64 v11, 1, 2, vcc
	v_cmp_eq_u32_e32 vcc, 0, v27
	v_sub_u32_e32 v3, v2, v1
	v_and_b32_e32 v10, v10, v11
	v_cndmask_b32_e64 v11, 1, 2, vcc
	v_cmp_eq_u32_e32 vcc, 0, v28
	v_add_u32_e32 v3, v3, v8
	v_and_b32_e32 v10, v10, v11
	v_cndmask_b32_e64 v11, 1, 2, vcc
	s_movk_i32 s30, 0x100
	v_and_b32_e32 v10, v10, v11
	v_cmp_gt_u32_e32 vcc, s30, v3
	v_add_u32_e32 v9, v4, v1
	v_cmp_ne_u32_e64 s[24:25], 0, v31
	v_cmp_ne_u32_e64 s[22:23], 0, v30
	;; [unrolled: 1-line block ×13, first 2 shown]
	s_mov_b64 s[36:37], -1
	v_cmp_gt_i16_e64 s[30:31], 2, v10
	s_barrier
	s_cbranch_vccz .LBB337_166
; %bb.160:
	s_and_saveexec_b64 s[36:37], s[30:31]
	s_cbranch_execz .LBB337_165
; %bb.161:
	v_cmp_ne_u16_e32 vcc, 1, v10
	s_mov_b64 s[38:39], 0
	s_and_saveexec_b64 s[30:31], vcc
	s_xor_b64 s[30:31], exec, s[30:31]
	s_cbranch_execnz .LBB337_227
; %bb.162:
	s_andn2_saveexec_b64 s[30:31], s[30:31]
	s_cbranch_execnz .LBB337_243
.LBB337_163:
	s_or_b64 exec, exec, s[30:31]
	s_and_b64 exec, exec, s[38:39]
	s_cbranch_execz .LBB337_165
.LBB337_164:
	v_sub_u32_e32 v16, v36, v9
	v_mov_b32_e32 v17, 0
	v_lshlrev_b64 v[16:17], 2, v[16:17]
	v_add_co_u32_e32 v16, vcc, v13, v16
	v_addc_co_u32_e32 v17, vcc, v14, v17, vcc
	global_store_dword v[16:17], v37, off
.LBB337_165:
	s_or_b64 exec, exec, s[36:37]
	s_mov_b64 s[36:37], 0
.LBB337_166:
	s_and_b64 vcc, exec, s[36:37]
	s_cbranch_vccz .LBB337_188
; %bb.167:
	v_cmp_gt_i16_e32 vcc, 2, v10
	s_and_saveexec_b64 s[30:31], vcc
	s_cbranch_execz .LBB337_172
; %bb.168:
	v_cmp_ne_u16_e32 vcc, 1, v10
	s_mov_b64 s[38:39], 0
	s_and_saveexec_b64 s[36:37], vcc
	s_xor_b64 s[36:37], exec, s[36:37]
	s_cbranch_execnz .LBB337_244
; %bb.169:
	s_andn2_saveexec_b64 s[0:1], s[36:37]
	s_cbranch_execnz .LBB337_260
.LBB337_170:
	s_or_b64 exec, exec, s[0:1]
	s_and_b64 exec, exec, s[38:39]
	s_cbranch_execz .LBB337_172
.LBB337_171:
	v_sub_u32_e32 v9, v36, v9
	v_lshlrev_b32_e32 v9, 2, v9
	ds_write_b32 v9, v37
.LBB337_172:
	s_or_b64 exec, exec, s[30:31]
	v_cmp_lt_u32_e32 vcc, v0, v3
	s_waitcnt lgkmcnt(0)
	s_barrier
	s_and_saveexec_b64 s[2:3], vcc
	s_cbranch_execz .LBB337_187
; %bb.173:
	v_add_u32_e32 v10, v2, v8
	v_xad_u32 v8, v0, -1, v10
	v_sub_u32_e32 v9, v8, v1
	s_movk_i32 s0, 0x1900
	v_cmp_gt_u32_e64 s[4:5], s0, v9
	s_movk_i32 s0, 0x18ff
	v_cmp_lt_u32_e32 vcc, s0, v9
	v_mov_b32_e32 v8, v0
	s_and_saveexec_b64 s[6:7], vcc
	s_cbranch_execz .LBB337_184
; %bb.174:
	v_sub_u32_e32 v8, v0, v10
	v_add_u32_e32 v1, v8, v1
	v_or_b32_e32 v1, 0xff, v1
	v_cmp_ge_u32_e32 vcc, v1, v0
	s_mov_b64 s[0:1], -1
	v_mov_b32_e32 v8, v0
	s_and_saveexec_b64 s[8:9], vcc
	s_cbranch_execz .LBB337_183
; %bb.175:
	v_lshrrev_b32_e32 v15, 8, v9
	v_add_u32_e32 v8, -1, v15
	v_or_b32_e32 v1, 0x100, v0
	v_lshrrev_b32_e32 v9, 1, v8
	v_add_u32_e32 v17, 1, v9
	v_cmp_lt_u32_e32 vcc, 13, v8
	v_mov_b32_e32 v20, 0
	v_lshlrev_b32_e32 v16, 2, v0
	v_pk_mov_b32 v[8:9], v[0:1], v[0:1] op_sel:[0,1]
	s_and_saveexec_b64 s[10:11], vcc
	s_cbranch_execz .LBB337_179
; %bb.176:
	v_and_b32_e32 v18, -8, v17
	s_mov_b32 s14, 0
	s_mov_b64 s[12:13], 0
	v_mov_b32_e32 v11, 0
	v_mov_b32_e32 v19, v16
	v_pk_mov_b32 v[8:9], v[0:1], v[0:1] op_sel:[0,1]
.LBB337_177:                            ; =>This Inner Loop Header: Depth=1
	v_mov_b32_e32 v10, v8
	v_add_u32_e32 v18, -8, v18
	v_lshlrev_b64 v[50:51], 2, v[10:11]
	v_mov_b32_e32 v10, v9
	ds_read2st64_b32 v[22:23], v19 offset1:4
	s_add_i32 s14, s14, 16
	v_cmp_eq_u32_e32 vcc, 0, v18
	v_lshlrev_b64 v[54:55], 2, v[10:11]
	v_add_u32_e32 v10, 0x200, v8
	s_or_b64 s[12:13], vcc, s[12:13]
	v_add_co_u32_e32 v54, vcc, v13, v54
	v_add_u32_e32 v20, 0x200, v9
	v_mov_b32_e32 v21, v11
	ds_read2st64_b32 v[24:25], v19 offset0:8 offset1:12
	ds_read2st64_b32 v[28:29], v19 offset0:16 offset1:20
	v_add_co_u32_e64 v50, s[0:1], v13, v50
	v_addc_co_u32_e32 v55, vcc, v14, v55, vcc
	v_lshlrev_b64 v[56:57], 2, v[10:11]
	v_lshlrev_b64 v[52:53], 2, v[20:21]
	v_addc_co_u32_e64 v51, s[0:1], v14, v51, s[0:1]
	v_add_u32_e32 v10, 0x400, v8
	v_add_co_u32_e32 v56, vcc, v13, v56
	v_add_u32_e32 v26, 0x400, v9
	v_mov_b32_e32 v27, v11
	ds_read2st64_b32 v[32:33], v19 offset0:24 offset1:28
	v_add_co_u32_e64 v52, s[0:1], v13, v52
	v_addc_co_u32_e32 v57, vcc, v14, v57, vcc
	v_lshlrev_b64 v[58:59], 2, v[10:11]
	ds_read2st64_b32 v[36:37], v19 offset0:32 offset1:36
	ds_read2st64_b32 v[40:41], v19 offset0:40 offset1:44
	;; [unrolled: 1-line block ×4, first 2 shown]
	v_lshlrev_b64 v[26:27], 2, v[26:27]
	v_addc_co_u32_e64 v53, s[0:1], v14, v53, s[0:1]
	v_add_u32_e32 v10, 0x600, v8
	s_waitcnt lgkmcnt(7)
	global_store_dword v[50:51], v22, off
	global_store_dword v[54:55], v23, off
	s_waitcnt lgkmcnt(6)
	global_store_dword v[56:57], v24, off
	global_store_dword v[52:53], v25, off
	v_add_co_u32_e32 v22, vcc, v13, v58
	v_add_u32_e32 v30, 0x600, v9
	v_mov_b32_e32 v31, v11
	v_add_co_u32_e64 v26, s[0:1], v13, v26
	v_addc_co_u32_e32 v23, vcc, v14, v59, vcc
	v_lshlrev_b64 v[24:25], 2, v[10:11]
	v_lshlrev_b64 v[30:31], 2, v[30:31]
	v_addc_co_u32_e64 v27, s[0:1], v14, v27, s[0:1]
	v_add_u32_e32 v10, 0x800, v8
	s_waitcnt lgkmcnt(5)
	global_store_dword v[22:23], v28, off
	global_store_dword v[26:27], v29, off
	v_add_co_u32_e32 v22, vcc, v13, v24
	v_add_u32_e32 v34, 0x800, v9
	v_mov_b32_e32 v35, v11
	v_add_co_u32_e64 v30, s[0:1], v13, v30
	v_addc_co_u32_e32 v23, vcc, v14, v25, vcc
	v_lshlrev_b64 v[24:25], 2, v[10:11]
	v_lshlrev_b64 v[34:35], 2, v[34:35]
	v_addc_co_u32_e64 v31, s[0:1], v14, v31, s[0:1]
	v_add_u32_e32 v10, 0xa00, v8
	s_waitcnt lgkmcnt(4)
	global_store_dword v[22:23], v32, off
	global_store_dword v[30:31], v33, off
	v_add_co_u32_e32 v22, vcc, v13, v24
	v_add_u32_e32 v38, 0xa00, v9
	v_mov_b32_e32 v39, v11
	v_add_co_u32_e64 v34, s[0:1], v13, v34
	v_addc_co_u32_e32 v23, vcc, v14, v25, vcc
	v_lshlrev_b64 v[24:25], 2, v[10:11]
	v_lshlrev_b64 v[38:39], 2, v[38:39]
	v_addc_co_u32_e64 v35, s[0:1], v14, v35, s[0:1]
	v_add_u32_e32 v10, 0xc00, v8
	s_waitcnt lgkmcnt(3)
	global_store_dword v[22:23], v36, off
	global_store_dword v[34:35], v37, off
	v_add_co_u32_e32 v22, vcc, v13, v24
	v_add_u32_e32 v42, 0xc00, v9
	v_mov_b32_e32 v43, v11
	v_add_co_u32_e64 v38, s[0:1], v13, v38
	v_addc_co_u32_e32 v23, vcc, v14, v25, vcc
	v_lshlrev_b64 v[24:25], 2, v[10:11]
	v_lshlrev_b64 v[42:43], 2, v[42:43]
	v_addc_co_u32_e64 v39, s[0:1], v14, v39, s[0:1]
	v_add_u32_e32 v10, 0xe00, v8
	s_waitcnt lgkmcnt(2)
	global_store_dword v[22:23], v40, off
	global_store_dword v[38:39], v41, off
	v_add_co_u32_e32 v22, vcc, v13, v24
	v_add_u32_e32 v46, 0xe00, v9
	v_mov_b32_e32 v47, v11
	v_add_co_u32_e64 v42, s[0:1], v13, v42
	v_addc_co_u32_e32 v23, vcc, v14, v25, vcc
	v_lshlrev_b64 v[24:25], 2, v[10:11]
	v_lshlrev_b64 v[46:47], 2, v[46:47]
	v_addc_co_u32_e64 v43, s[0:1], v14, v43, s[0:1]
	s_waitcnt lgkmcnt(1)
	global_store_dword v[22:23], v44, off
	global_store_dword v[42:43], v45, off
	v_add_co_u32_e32 v22, vcc, v13, v24
	v_add_u32_e32 v19, 0x4000, v19
	v_add_u32_e32 v9, 0x1000, v9
	v_mov_b32_e32 v20, s14
	v_add_co_u32_e64 v46, s[0:1], v13, v46
	v_add_u32_e32 v8, 0x1000, v8
	v_addc_co_u32_e32 v23, vcc, v14, v25, vcc
	v_addc_co_u32_e64 v47, s[0:1], v14, v47, s[0:1]
	s_waitcnt lgkmcnt(0)
	global_store_dword v[22:23], v48, off
	global_store_dword v[46:47], v49, off
	s_andn2_b64 exec, exec, s[12:13]
	s_cbranch_execnz .LBB337_177
; %bb.178:
	s_or_b64 exec, exec, s[12:13]
.LBB337_179:
	s_or_b64 exec, exec, s[10:11]
	v_and_b32_e32 v1, 7, v17
	v_cmp_ne_u32_e32 vcc, 0, v1
	s_and_saveexec_b64 s[10:11], vcc
	s_cbranch_execz .LBB337_182
; %bb.180:
	v_lshl_or_b32 v16, v20, 10, v16
	s_mov_b64 s[12:13], 0
	v_mov_b32_e32 v11, 0
.LBB337_181:                            ; =>This Inner Loop Header: Depth=1
	ds_read2st64_b32 v[18:19], v16 offset1:4
	v_mov_b32_e32 v10, v8
	v_add_u32_e32 v1, -1, v1
	v_lshlrev_b64 v[20:21], 2, v[10:11]
	v_mov_b32_e32 v10, v9
	v_cmp_eq_u32_e32 vcc, 0, v1
	v_add_co_u32_e64 v20, s[0:1], v13, v20
	v_lshlrev_b64 v[22:23], 2, v[10:11]
	v_add_u32_e32 v8, 0x200, v8
	v_add_u32_e32 v16, 0x800, v16
	v_add_u32_e32 v9, 0x200, v9
	v_addc_co_u32_e64 v21, s[0:1], v14, v21, s[0:1]
	s_or_b64 s[12:13], vcc, s[12:13]
	v_add_co_u32_e32 v22, vcc, v13, v22
	v_addc_co_u32_e32 v23, vcc, v14, v23, vcc
	s_waitcnt lgkmcnt(0)
	global_store_dword v[20:21], v18, off
	global_store_dword v[22:23], v19, off
	s_andn2_b64 exec, exec, s[12:13]
	s_cbranch_execnz .LBB337_181
.LBB337_182:
	s_or_b64 exec, exec, s[10:11]
	v_add_u32_e32 v1, 1, v15
	v_and_b32_e32 v9, 0x1fffffe, v1
	v_cmp_ne_u32_e32 vcc, v1, v9
	v_lshl_or_b32 v8, v9, 8, v0
	s_orn2_b64 s[0:1], vcc, exec
.LBB337_183:
	s_or_b64 exec, exec, s[8:9]
	s_andn2_b64 s[4:5], s[4:5], exec
	s_and_b64 s[0:1], s[0:1], exec
	s_or_b64 s[4:5], s[4:5], s[0:1]
.LBB337_184:
	s_or_b64 exec, exec, s[6:7]
	s_and_b64 exec, exec, s[4:5]
	s_cbranch_execz .LBB337_187
; %bb.185:
	v_lshlrev_b32_e32 v1, 2, v8
	s_mov_b64 s[0:1], 0
	v_mov_b32_e32 v9, 0
.LBB337_186:                            ; =>This Inner Loop Header: Depth=1
	v_lshlrev_b64 v[10:11], 2, v[8:9]
	ds_read_b32 v15, v1
	v_add_co_u32_e32 v10, vcc, v13, v10
	v_add_u32_e32 v8, 0x100, v8
	v_addc_co_u32_e32 v11, vcc, v14, v11, vcc
	v_cmp_ge_u32_e32 vcc, v8, v3
	v_add_u32_e32 v1, 0x400, v1
	s_or_b64 s[0:1], vcc, s[0:1]
	s_waitcnt lgkmcnt(0)
	global_store_dword v[10:11], v15, off
	s_andn2_b64 exec, exec, s[0:1]
	s_cbranch_execnz .LBB337_186
.LBB337_187:
	s_or_b64 exec, exec, s[2:3]
.LBB337_188:
	s_movk_i32 s0, 0xff
	v_cmp_eq_u32_e32 vcc, s0, v0
	s_and_b64 s[0:1], vcc, s[34:35]
	s_and_saveexec_b64 s[2:3], s[0:1]
	s_cbranch_execz .LBB337_191
; %bb.189:
	v_add_co_u32_e32 v0, vcc, v2, v4
	v_addc_co_u32_e64 v1, s[0:1], 0, 0, vcc
	v_add_co_u32_e32 v0, vcc, v0, v6
	v_mov_b32_e32 v3, 0
	v_addc_co_u32_e32 v1, vcc, v1, v7, vcc
	s_cmpk_lg_i32 s33, 0xf00
	global_store_dwordx2 v3, v[0:1], s[54:55]
	s_cbranch_scc1 .LBB337_191
; %bb.190:
	v_lshlrev_b64 v[0:1], 2, v[2:3]
	v_add_co_u32_e32 v0, vcc, v5, v0
	v_addc_co_u32_e32 v1, vcc, v12, v1, vcc
	global_store_dword v[0:1], v80, off offset:-4
.LBB337_191:
	s_endpgm
.LBB337_192:
	s_or_b64 exec, exec, s[4:5]
	v_mov_b32_e32 v81, s10
	s_and_saveexec_b64 s[4:5], s[2:3]
	s_cbranch_execnz .LBB337_84
	s_branch .LBB337_85
.LBB337_193:
	s_and_saveexec_b64 s[40:41], s[28:29]
	s_cbranch_execnz .LBB337_261
; %bb.194:
	s_or_b64 exec, exec, s[40:41]
	s_and_saveexec_b64 s[40:41], s[26:27]
	s_cbranch_execnz .LBB337_262
.LBB337_195:
	s_or_b64 exec, exec, s[40:41]
	s_and_saveexec_b64 s[40:41], s[24:25]
	s_cbranch_execnz .LBB337_263
.LBB337_196:
	s_or_b64 exec, exec, s[40:41]
	s_and_saveexec_b64 s[40:41], s[22:23]
	s_cbranch_execnz .LBB337_264
.LBB337_197:
	s_or_b64 exec, exec, s[40:41]
	s_and_saveexec_b64 s[40:41], s[20:21]
	s_cbranch_execnz .LBB337_265
.LBB337_198:
	s_or_b64 exec, exec, s[40:41]
	s_and_saveexec_b64 s[40:41], s[18:19]
	s_cbranch_execnz .LBB337_266
.LBB337_199:
	s_or_b64 exec, exec, s[40:41]
	s_and_saveexec_b64 s[40:41], s[16:17]
	s_cbranch_execnz .LBB337_267
.LBB337_200:
	s_or_b64 exec, exec, s[40:41]
	s_and_saveexec_b64 s[40:41], s[14:15]
	s_cbranch_execnz .LBB337_268
.LBB337_201:
	s_or_b64 exec, exec, s[40:41]
	s_and_saveexec_b64 s[40:41], s[12:13]
	s_cbranch_execnz .LBB337_269
.LBB337_202:
	s_or_b64 exec, exec, s[40:41]
	s_and_saveexec_b64 s[40:41], s[10:11]
	s_cbranch_execnz .LBB337_270
.LBB337_203:
	s_or_b64 exec, exec, s[40:41]
	s_and_saveexec_b64 s[40:41], s[8:9]
	s_cbranch_execnz .LBB337_271
.LBB337_204:
	s_or_b64 exec, exec, s[40:41]
	s_and_saveexec_b64 s[40:41], s[6:7]
	s_cbranch_execnz .LBB337_272
.LBB337_205:
	s_or_b64 exec, exec, s[40:41]
	s_and_saveexec_b64 s[40:41], s[4:5]
	s_cbranch_execnz .LBB337_273
.LBB337_206:
	s_or_b64 exec, exec, s[40:41]
	s_and_saveexec_b64 s[40:41], s[2:3]
	s_cbranch_execz .LBB337_208
.LBB337_207:
	v_sub_u32_e32 v28, v38, v4
	v_mov_b32_e32 v29, 0
	v_lshlrev_b64 v[28:29], 2, v[28:29]
	v_add_co_u32_e32 v28, vcc, v3, v28
	v_addc_co_u32_e32 v29, vcc, v5, v29, vcc
	global_store_dword v[28:29], v9, off
.LBB337_208:
	s_or_b64 exec, exec, s[40:41]
	s_and_b64 s[40:41], s[0:1], exec
	s_andn2_saveexec_b64 s[30:31], s[30:31]
	s_cbranch_execz .LBB337_134
.LBB337_209:
	v_sub_u32_e32 v28, v64, v4
	v_mov_b32_e32 v29, 0
	v_lshlrev_b64 v[30:31], 2, v[28:29]
	v_add_co_u32_e32 v30, vcc, v3, v30
	v_addc_co_u32_e32 v31, vcc, v5, v31, vcc
	v_sub_u32_e32 v28, v62, v4
	global_store_dword v[30:31], v20, off
	v_lshlrev_b64 v[30:31], 2, v[28:29]
	v_add_co_u32_e32 v30, vcc, v3, v30
	v_addc_co_u32_e32 v31, vcc, v5, v31, vcc
	v_sub_u32_e32 v28, v60, v4
	global_store_dword v[30:31], v21, off
	;; [unrolled: 5-line block ×12, first 2 shown]
	v_lshlrev_b64 v[30:31], 2, v[28:29]
	v_add_co_u32_e32 v30, vcc, v3, v30
	v_sub_u32_e32 v28, v38, v4
	v_addc_co_u32_e32 v31, vcc, v5, v31, vcc
	v_lshlrev_b64 v[28:29], 2, v[28:29]
	v_add_co_u32_e32 v28, vcc, v3, v28
	v_addc_co_u32_e32 v29, vcc, v5, v29, vcc
	s_or_b64 s[40:41], s[40:41], exec
	global_store_dword v[30:31], v8, off
	global_store_dword v[28:29], v9, off
	s_or_b64 exec, exec, s[30:31]
	s_and_b64 exec, exec, s[40:41]
	s_cbranch_execnz .LBB337_135
	s_branch .LBB337_136
.LBB337_210:
	s_and_saveexec_b64 s[40:41], s[28:29]
	s_cbranch_execnz .LBB337_274
; %bb.211:
	s_or_b64 exec, exec, s[40:41]
	s_and_saveexec_b64 s[28:29], s[26:27]
	s_cbranch_execnz .LBB337_275
.LBB337_212:
	s_or_b64 exec, exec, s[28:29]
	s_and_saveexec_b64 s[26:27], s[24:25]
	s_cbranch_execnz .LBB337_276
.LBB337_213:
	s_or_b64 exec, exec, s[26:27]
	s_and_saveexec_b64 s[24:25], s[22:23]
	s_cbranch_execnz .LBB337_277
.LBB337_214:
	s_or_b64 exec, exec, s[24:25]
	s_and_saveexec_b64 s[22:23], s[20:21]
	s_cbranch_execnz .LBB337_278
.LBB337_215:
	s_or_b64 exec, exec, s[22:23]
	s_and_saveexec_b64 s[20:21], s[18:19]
	s_cbranch_execnz .LBB337_279
.LBB337_216:
	s_or_b64 exec, exec, s[20:21]
	s_and_saveexec_b64 s[18:19], s[16:17]
	s_cbranch_execnz .LBB337_280
.LBB337_217:
	s_or_b64 exec, exec, s[18:19]
	s_and_saveexec_b64 s[16:17], s[14:15]
	s_cbranch_execnz .LBB337_281
.LBB337_218:
	s_or_b64 exec, exec, s[16:17]
	s_and_saveexec_b64 s[14:15], s[12:13]
	s_cbranch_execnz .LBB337_282
.LBB337_219:
	s_or_b64 exec, exec, s[14:15]
	s_and_saveexec_b64 s[12:13], s[10:11]
	s_cbranch_execnz .LBB337_283
.LBB337_220:
	s_or_b64 exec, exec, s[12:13]
	s_and_saveexec_b64 s[10:11], s[8:9]
	s_cbranch_execnz .LBB337_284
.LBB337_221:
	s_or_b64 exec, exec, s[10:11]
	s_and_saveexec_b64 s[8:9], s[6:7]
	s_cbranch_execnz .LBB337_285
.LBB337_222:
	s_or_b64 exec, exec, s[8:9]
	s_and_saveexec_b64 s[6:7], s[4:5]
	s_cbranch_execnz .LBB337_286
.LBB337_223:
	s_or_b64 exec, exec, s[6:7]
	s_and_saveexec_b64 s[4:5], s[2:3]
	s_cbranch_execz .LBB337_225
.LBB337_224:
	v_sub_u32_e32 v8, v38, v4
	v_lshlrev_b32_e32 v8, 2, v8
	ds_write_b32 v8, v9
.LBB337_225:
	s_or_b64 exec, exec, s[4:5]
	s_and_b64 s[40:41], s[0:1], exec
                                        ; implicit-def: $vgpr8
                                        ; implicit-def: $vgpr10
                                        ; implicit-def: $vgpr12
                                        ; implicit-def: $vgpr14
                                        ; implicit-def: $vgpr16
                                        ; implicit-def: $vgpr18
                                        ; implicit-def: $vgpr20
	s_andn2_saveexec_b64 s[0:1], s[38:39]
	s_cbranch_execz .LBB337_141
.LBB337_226:
	v_sub_u32_e32 v26, v64, v4
	v_lshlrev_b32_e32 v26, 2, v26
	ds_write_b32 v26, v20
	v_sub_u32_e32 v20, v62, v4
	v_lshlrev_b32_e32 v20, 2, v20
	ds_write_b32 v20, v21
	;; [unrolled: 3-line block ×13, first 2 shown]
	v_sub_u32_e32 v8, v38, v4
	v_lshlrev_b32_e32 v8, 2, v8
	s_or_b64 s[40:41], s[40:41], exec
	ds_write_b32 v8, v9
	s_or_b64 exec, exec, s[0:1]
	s_and_b64 exec, exec, s[40:41]
	s_cbranch_execnz .LBB337_142
	s_branch .LBB337_143
.LBB337_227:
	s_and_saveexec_b64 s[38:39], s[28:29]
	s_cbranch_execnz .LBB337_287
; %bb.228:
	s_or_b64 exec, exec, s[38:39]
	s_and_saveexec_b64 s[38:39], s[26:27]
	s_cbranch_execnz .LBB337_288
.LBB337_229:
	s_or_b64 exec, exec, s[38:39]
	s_and_saveexec_b64 s[38:39], s[24:25]
	s_cbranch_execnz .LBB337_289
.LBB337_230:
	s_or_b64 exec, exec, s[38:39]
	s_and_saveexec_b64 s[38:39], s[22:23]
	s_cbranch_execnz .LBB337_290
.LBB337_231:
	s_or_b64 exec, exec, s[38:39]
	s_and_saveexec_b64 s[38:39], s[20:21]
	s_cbranch_execnz .LBB337_291
.LBB337_232:
	s_or_b64 exec, exec, s[38:39]
	s_and_saveexec_b64 s[38:39], s[18:19]
	s_cbranch_execnz .LBB337_292
.LBB337_233:
	s_or_b64 exec, exec, s[38:39]
	s_and_saveexec_b64 s[38:39], s[16:17]
	s_cbranch_execnz .LBB337_293
.LBB337_234:
	s_or_b64 exec, exec, s[38:39]
	s_and_saveexec_b64 s[38:39], s[14:15]
	s_cbranch_execnz .LBB337_294
.LBB337_235:
	s_or_b64 exec, exec, s[38:39]
	s_and_saveexec_b64 s[38:39], s[12:13]
	s_cbranch_execnz .LBB337_295
.LBB337_236:
	s_or_b64 exec, exec, s[38:39]
	s_and_saveexec_b64 s[38:39], s[10:11]
	s_cbranch_execnz .LBB337_296
.LBB337_237:
	s_or_b64 exec, exec, s[38:39]
	s_and_saveexec_b64 s[38:39], s[8:9]
	s_cbranch_execnz .LBB337_297
.LBB337_238:
	s_or_b64 exec, exec, s[38:39]
	s_and_saveexec_b64 s[38:39], s[6:7]
	s_cbranch_execnz .LBB337_298
.LBB337_239:
	s_or_b64 exec, exec, s[38:39]
	s_and_saveexec_b64 s[38:39], s[4:5]
	s_cbranch_execnz .LBB337_299
.LBB337_240:
	s_or_b64 exec, exec, s[38:39]
	s_and_saveexec_b64 s[38:39], s[2:3]
	s_cbranch_execz .LBB337_242
.LBB337_241:
	v_sub_u32_e32 v16, v38, v9
	v_mov_b32_e32 v17, 0
	v_lshlrev_b64 v[16:17], 2, v[16:17]
	v_add_co_u32_e32 v16, vcc, v13, v16
	v_addc_co_u32_e32 v17, vcc, v14, v17, vcc
	global_store_dword v[16:17], v39, off
.LBB337_242:
	s_or_b64 exec, exec, s[38:39]
	s_and_b64 s[38:39], s[0:1], exec
	s_andn2_saveexec_b64 s[30:31], s[30:31]
	s_cbranch_execz .LBB337_163
.LBB337_243:
	v_sub_u32_e32 v16, v64, v9
	v_mov_b32_e32 v17, 0
	v_lshlrev_b64 v[18:19], 2, v[16:17]
	v_add_co_u32_e32 v18, vcc, v13, v18
	v_addc_co_u32_e32 v19, vcc, v14, v19, vcc
	v_sub_u32_e32 v16, v62, v9
	global_store_dword v[18:19], v65, off
	v_lshlrev_b64 v[18:19], 2, v[16:17]
	v_add_co_u32_e32 v18, vcc, v13, v18
	v_addc_co_u32_e32 v19, vcc, v14, v19, vcc
	v_sub_u32_e32 v16, v60, v9
	global_store_dword v[18:19], v63, off
	;; [unrolled: 5-line block ×12, first 2 shown]
	v_lshlrev_b64 v[18:19], 2, v[16:17]
	v_add_co_u32_e32 v18, vcc, v13, v18
	v_sub_u32_e32 v16, v38, v9
	v_addc_co_u32_e32 v19, vcc, v14, v19, vcc
	v_lshlrev_b64 v[16:17], 2, v[16:17]
	v_add_co_u32_e32 v16, vcc, v13, v16
	v_addc_co_u32_e32 v17, vcc, v14, v17, vcc
	s_or_b64 s[38:39], s[38:39], exec
	global_store_dword v[18:19], v41, off
	global_store_dword v[16:17], v39, off
	s_or_b64 exec, exec, s[30:31]
	s_and_b64 exec, exec, s[38:39]
	s_cbranch_execnz .LBB337_164
	s_branch .LBB337_165
.LBB337_244:
	s_and_saveexec_b64 s[38:39], s[28:29]
	s_cbranch_execnz .LBB337_300
; %bb.245:
	s_or_b64 exec, exec, s[38:39]
	s_and_saveexec_b64 s[28:29], s[26:27]
	s_cbranch_execnz .LBB337_301
.LBB337_246:
	s_or_b64 exec, exec, s[28:29]
	s_and_saveexec_b64 s[26:27], s[24:25]
	s_cbranch_execnz .LBB337_302
.LBB337_247:
	s_or_b64 exec, exec, s[26:27]
	s_and_saveexec_b64 s[24:25], s[22:23]
	s_cbranch_execnz .LBB337_303
.LBB337_248:
	s_or_b64 exec, exec, s[24:25]
	s_and_saveexec_b64 s[22:23], s[20:21]
	s_cbranch_execnz .LBB337_304
.LBB337_249:
	s_or_b64 exec, exec, s[22:23]
	s_and_saveexec_b64 s[20:21], s[18:19]
	s_cbranch_execnz .LBB337_305
.LBB337_250:
	s_or_b64 exec, exec, s[20:21]
	s_and_saveexec_b64 s[18:19], s[16:17]
	s_cbranch_execnz .LBB337_306
.LBB337_251:
	s_or_b64 exec, exec, s[18:19]
	s_and_saveexec_b64 s[16:17], s[14:15]
	s_cbranch_execnz .LBB337_307
.LBB337_252:
	s_or_b64 exec, exec, s[16:17]
	s_and_saveexec_b64 s[14:15], s[12:13]
	s_cbranch_execnz .LBB337_308
.LBB337_253:
	s_or_b64 exec, exec, s[14:15]
	s_and_saveexec_b64 s[12:13], s[10:11]
	s_cbranch_execnz .LBB337_309
.LBB337_254:
	s_or_b64 exec, exec, s[12:13]
	s_and_saveexec_b64 s[10:11], s[8:9]
	s_cbranch_execnz .LBB337_310
.LBB337_255:
	s_or_b64 exec, exec, s[10:11]
	s_and_saveexec_b64 s[8:9], s[6:7]
	s_cbranch_execnz .LBB337_311
.LBB337_256:
	s_or_b64 exec, exec, s[8:9]
	s_and_saveexec_b64 s[6:7], s[4:5]
	s_cbranch_execnz .LBB337_312
.LBB337_257:
	s_or_b64 exec, exec, s[6:7]
	s_and_saveexec_b64 s[4:5], s[2:3]
	s_cbranch_execz .LBB337_259
.LBB337_258:
	v_sub_u32_e32 v10, v38, v9
	v_lshlrev_b32_e32 v10, 2, v10
	ds_write_b32 v10, v39
.LBB337_259:
	s_or_b64 exec, exec, s[4:5]
	s_and_b64 s[38:39], s[0:1], exec
                                        ; implicit-def: $vgpr64_vgpr65
                                        ; implicit-def: $vgpr62_vgpr63
                                        ; implicit-def: $vgpr60_vgpr61
                                        ; implicit-def: $vgpr58_vgpr59
                                        ; implicit-def: $vgpr56_vgpr57
                                        ; implicit-def: $vgpr54_vgpr55
                                        ; implicit-def: $vgpr52_vgpr53
                                        ; implicit-def: $vgpr50_vgpr51
                                        ; implicit-def: $vgpr48_vgpr49
                                        ; implicit-def: $vgpr46_vgpr47
                                        ; implicit-def: $vgpr44_vgpr45
                                        ; implicit-def: $vgpr42_vgpr43
                                        ; implicit-def: $vgpr40_vgpr41
                                        ; implicit-def: $vgpr38_vgpr39
	s_andn2_saveexec_b64 s[0:1], s[36:37]
	s_cbranch_execz .LBB337_170
.LBB337_260:
	v_sub_u32_e32 v10, v64, v9
	v_lshlrev_b32_e32 v10, 2, v10
	ds_write_b32 v10, v65
	v_sub_u32_e32 v10, v62, v9
	v_lshlrev_b32_e32 v10, 2, v10
	ds_write_b32 v10, v63
	;; [unrolled: 3-line block ×13, first 2 shown]
	v_sub_u32_e32 v10, v38, v9
	v_lshlrev_b32_e32 v10, 2, v10
	s_or_b64 s[38:39], s[38:39], exec
	ds_write_b32 v10, v39
	s_or_b64 exec, exec, s[0:1]
	s_and_b64 exec, exec, s[38:39]
	s_cbranch_execnz .LBB337_171
	s_branch .LBB337_172
.LBB337_261:
	v_sub_u32_e32 v28, v64, v4
	v_mov_b32_e32 v29, 0
	v_lshlrev_b64 v[28:29], 2, v[28:29]
	v_add_co_u32_e32 v28, vcc, v3, v28
	v_addc_co_u32_e32 v29, vcc, v5, v29, vcc
	global_store_dword v[28:29], v20, off
	s_or_b64 exec, exec, s[40:41]
	s_and_saveexec_b64 s[40:41], s[26:27]
	s_cbranch_execz .LBB337_195
.LBB337_262:
	v_sub_u32_e32 v28, v62, v4
	v_mov_b32_e32 v29, 0
	v_lshlrev_b64 v[28:29], 2, v[28:29]
	v_add_co_u32_e32 v28, vcc, v3, v28
	v_addc_co_u32_e32 v29, vcc, v5, v29, vcc
	global_store_dword v[28:29], v21, off
	s_or_b64 exec, exec, s[40:41]
	s_and_saveexec_b64 s[40:41], s[24:25]
	s_cbranch_execz .LBB337_196
.LBB337_263:
	v_sub_u32_e32 v28, v60, v4
	v_mov_b32_e32 v29, 0
	v_lshlrev_b64 v[28:29], 2, v[28:29]
	v_add_co_u32_e32 v28, vcc, v3, v28
	v_addc_co_u32_e32 v29, vcc, v5, v29, vcc
	global_store_dword v[28:29], v18, off
	s_or_b64 exec, exec, s[40:41]
	s_and_saveexec_b64 s[40:41], s[22:23]
	s_cbranch_execz .LBB337_197
.LBB337_264:
	v_sub_u32_e32 v28, v58, v4
	v_mov_b32_e32 v29, 0
	v_lshlrev_b64 v[28:29], 2, v[28:29]
	v_add_co_u32_e32 v28, vcc, v3, v28
	v_addc_co_u32_e32 v29, vcc, v5, v29, vcc
	global_store_dword v[28:29], v19, off
	s_or_b64 exec, exec, s[40:41]
	s_and_saveexec_b64 s[40:41], s[20:21]
	s_cbranch_execz .LBB337_198
.LBB337_265:
	v_sub_u32_e32 v28, v56, v4
	v_mov_b32_e32 v29, 0
	v_lshlrev_b64 v[28:29], 2, v[28:29]
	v_add_co_u32_e32 v28, vcc, v3, v28
	v_addc_co_u32_e32 v29, vcc, v5, v29, vcc
	global_store_dword v[28:29], v16, off
	s_or_b64 exec, exec, s[40:41]
	s_and_saveexec_b64 s[40:41], s[18:19]
	s_cbranch_execz .LBB337_199
.LBB337_266:
	v_sub_u32_e32 v28, v54, v4
	v_mov_b32_e32 v29, 0
	v_lshlrev_b64 v[28:29], 2, v[28:29]
	v_add_co_u32_e32 v28, vcc, v3, v28
	v_addc_co_u32_e32 v29, vcc, v5, v29, vcc
	global_store_dword v[28:29], v17, off
	s_or_b64 exec, exec, s[40:41]
	s_and_saveexec_b64 s[40:41], s[16:17]
	s_cbranch_execz .LBB337_200
.LBB337_267:
	v_sub_u32_e32 v28, v52, v4
	v_mov_b32_e32 v29, 0
	v_lshlrev_b64 v[28:29], 2, v[28:29]
	v_add_co_u32_e32 v28, vcc, v3, v28
	v_addc_co_u32_e32 v29, vcc, v5, v29, vcc
	global_store_dword v[28:29], v14, off
	s_or_b64 exec, exec, s[40:41]
	s_and_saveexec_b64 s[40:41], s[14:15]
	s_cbranch_execz .LBB337_201
.LBB337_268:
	v_sub_u32_e32 v28, v50, v4
	v_mov_b32_e32 v29, 0
	v_lshlrev_b64 v[28:29], 2, v[28:29]
	v_add_co_u32_e32 v28, vcc, v3, v28
	v_addc_co_u32_e32 v29, vcc, v5, v29, vcc
	global_store_dword v[28:29], v15, off
	s_or_b64 exec, exec, s[40:41]
	s_and_saveexec_b64 s[40:41], s[12:13]
	s_cbranch_execz .LBB337_202
.LBB337_269:
	v_sub_u32_e32 v28, v48, v4
	v_mov_b32_e32 v29, 0
	v_lshlrev_b64 v[28:29], 2, v[28:29]
	v_add_co_u32_e32 v28, vcc, v3, v28
	v_addc_co_u32_e32 v29, vcc, v5, v29, vcc
	global_store_dword v[28:29], v12, off
	s_or_b64 exec, exec, s[40:41]
	s_and_saveexec_b64 s[40:41], s[10:11]
	s_cbranch_execz .LBB337_203
.LBB337_270:
	v_sub_u32_e32 v28, v46, v4
	v_mov_b32_e32 v29, 0
	v_lshlrev_b64 v[28:29], 2, v[28:29]
	v_add_co_u32_e32 v28, vcc, v3, v28
	v_addc_co_u32_e32 v29, vcc, v5, v29, vcc
	global_store_dword v[28:29], v13, off
	s_or_b64 exec, exec, s[40:41]
	s_and_saveexec_b64 s[40:41], s[8:9]
	s_cbranch_execz .LBB337_204
.LBB337_271:
	v_sub_u32_e32 v28, v44, v4
	v_mov_b32_e32 v29, 0
	v_lshlrev_b64 v[28:29], 2, v[28:29]
	v_add_co_u32_e32 v28, vcc, v3, v28
	v_addc_co_u32_e32 v29, vcc, v5, v29, vcc
	global_store_dword v[28:29], v10, off
	s_or_b64 exec, exec, s[40:41]
	s_and_saveexec_b64 s[40:41], s[6:7]
	s_cbranch_execz .LBB337_205
.LBB337_272:
	v_sub_u32_e32 v28, v42, v4
	v_mov_b32_e32 v29, 0
	v_lshlrev_b64 v[28:29], 2, v[28:29]
	v_add_co_u32_e32 v28, vcc, v3, v28
	v_addc_co_u32_e32 v29, vcc, v5, v29, vcc
	global_store_dword v[28:29], v11, off
	s_or_b64 exec, exec, s[40:41]
	s_and_saveexec_b64 s[40:41], s[4:5]
	s_cbranch_execz .LBB337_206
.LBB337_273:
	v_sub_u32_e32 v28, v40, v4
	v_mov_b32_e32 v29, 0
	v_lshlrev_b64 v[28:29], 2, v[28:29]
	v_add_co_u32_e32 v28, vcc, v3, v28
	v_addc_co_u32_e32 v29, vcc, v5, v29, vcc
	global_store_dword v[28:29], v8, off
	s_or_b64 exec, exec, s[40:41]
	s_and_saveexec_b64 s[40:41], s[2:3]
	s_cbranch_execnz .LBB337_207
	s_branch .LBB337_208
.LBB337_274:
	v_sub_u32_e32 v26, v64, v4
	v_lshlrev_b32_e32 v26, 2, v26
	ds_write_b32 v26, v20
	s_or_b64 exec, exec, s[40:41]
	s_and_saveexec_b64 s[28:29], s[26:27]
	s_cbranch_execz .LBB337_212
.LBB337_275:
	v_sub_u32_e32 v20, v62, v4
	v_lshlrev_b32_e32 v20, 2, v20
	ds_write_b32 v20, v21
	s_or_b64 exec, exec, s[28:29]
	s_and_saveexec_b64 s[26:27], s[24:25]
	s_cbranch_execz .LBB337_213
.LBB337_276:
	v_sub_u32_e32 v20, v60, v4
	v_lshlrev_b32_e32 v20, 2, v20
	ds_write_b32 v20, v18
	s_or_b64 exec, exec, s[26:27]
	s_and_saveexec_b64 s[24:25], s[22:23]
	s_cbranch_execz .LBB337_214
.LBB337_277:
	v_sub_u32_e32 v18, v58, v4
	v_lshlrev_b32_e32 v18, 2, v18
	ds_write_b32 v18, v19
	s_or_b64 exec, exec, s[24:25]
	s_and_saveexec_b64 s[22:23], s[20:21]
	s_cbranch_execz .LBB337_215
.LBB337_278:
	v_sub_u32_e32 v18, v56, v4
	v_lshlrev_b32_e32 v18, 2, v18
	ds_write_b32 v18, v16
	s_or_b64 exec, exec, s[22:23]
	s_and_saveexec_b64 s[20:21], s[18:19]
	s_cbranch_execz .LBB337_216
.LBB337_279:
	v_sub_u32_e32 v16, v54, v4
	v_lshlrev_b32_e32 v16, 2, v16
	ds_write_b32 v16, v17
	s_or_b64 exec, exec, s[20:21]
	s_and_saveexec_b64 s[18:19], s[16:17]
	s_cbranch_execz .LBB337_217
.LBB337_280:
	v_sub_u32_e32 v16, v52, v4
	v_lshlrev_b32_e32 v16, 2, v16
	ds_write_b32 v16, v14
	s_or_b64 exec, exec, s[18:19]
	s_and_saveexec_b64 s[16:17], s[14:15]
	s_cbranch_execz .LBB337_218
.LBB337_281:
	v_sub_u32_e32 v14, v50, v4
	v_lshlrev_b32_e32 v14, 2, v14
	ds_write_b32 v14, v15
	s_or_b64 exec, exec, s[16:17]
	s_and_saveexec_b64 s[14:15], s[12:13]
	s_cbranch_execz .LBB337_219
.LBB337_282:
	v_sub_u32_e32 v14, v48, v4
	v_lshlrev_b32_e32 v14, 2, v14
	ds_write_b32 v14, v12
	s_or_b64 exec, exec, s[14:15]
	s_and_saveexec_b64 s[12:13], s[10:11]
	s_cbranch_execz .LBB337_220
.LBB337_283:
	v_sub_u32_e32 v12, v46, v4
	v_lshlrev_b32_e32 v12, 2, v12
	ds_write_b32 v12, v13
	s_or_b64 exec, exec, s[12:13]
	s_and_saveexec_b64 s[10:11], s[8:9]
	s_cbranch_execz .LBB337_221
.LBB337_284:
	v_sub_u32_e32 v12, v44, v4
	v_lshlrev_b32_e32 v12, 2, v12
	ds_write_b32 v12, v10
	s_or_b64 exec, exec, s[10:11]
	s_and_saveexec_b64 s[8:9], s[6:7]
	s_cbranch_execz .LBB337_222
.LBB337_285:
	v_sub_u32_e32 v10, v42, v4
	v_lshlrev_b32_e32 v10, 2, v10
	ds_write_b32 v10, v11
	s_or_b64 exec, exec, s[8:9]
	s_and_saveexec_b64 s[6:7], s[4:5]
	s_cbranch_execz .LBB337_223
.LBB337_286:
	v_sub_u32_e32 v10, v40, v4
	v_lshlrev_b32_e32 v10, 2, v10
	ds_write_b32 v10, v8
	s_or_b64 exec, exec, s[6:7]
	s_and_saveexec_b64 s[4:5], s[2:3]
	s_cbranch_execnz .LBB337_224
	s_branch .LBB337_225
.LBB337_287:
	v_sub_u32_e32 v16, v64, v9
	v_mov_b32_e32 v17, 0
	v_lshlrev_b64 v[16:17], 2, v[16:17]
	v_add_co_u32_e32 v16, vcc, v13, v16
	v_addc_co_u32_e32 v17, vcc, v14, v17, vcc
	global_store_dword v[16:17], v65, off
	s_or_b64 exec, exec, s[38:39]
	s_and_saveexec_b64 s[38:39], s[26:27]
	s_cbranch_execz .LBB337_229
.LBB337_288:
	v_sub_u32_e32 v16, v62, v9
	v_mov_b32_e32 v17, 0
	v_lshlrev_b64 v[16:17], 2, v[16:17]
	v_add_co_u32_e32 v16, vcc, v13, v16
	v_addc_co_u32_e32 v17, vcc, v14, v17, vcc
	global_store_dword v[16:17], v63, off
	s_or_b64 exec, exec, s[38:39]
	s_and_saveexec_b64 s[38:39], s[24:25]
	s_cbranch_execz .LBB337_230
.LBB337_289:
	v_sub_u32_e32 v16, v60, v9
	v_mov_b32_e32 v17, 0
	v_lshlrev_b64 v[16:17], 2, v[16:17]
	v_add_co_u32_e32 v16, vcc, v13, v16
	v_addc_co_u32_e32 v17, vcc, v14, v17, vcc
	global_store_dword v[16:17], v61, off
	s_or_b64 exec, exec, s[38:39]
	s_and_saveexec_b64 s[38:39], s[22:23]
	s_cbranch_execz .LBB337_231
.LBB337_290:
	v_sub_u32_e32 v16, v58, v9
	v_mov_b32_e32 v17, 0
	v_lshlrev_b64 v[16:17], 2, v[16:17]
	v_add_co_u32_e32 v16, vcc, v13, v16
	v_addc_co_u32_e32 v17, vcc, v14, v17, vcc
	global_store_dword v[16:17], v59, off
	s_or_b64 exec, exec, s[38:39]
	s_and_saveexec_b64 s[38:39], s[20:21]
	s_cbranch_execz .LBB337_232
.LBB337_291:
	v_sub_u32_e32 v16, v56, v9
	v_mov_b32_e32 v17, 0
	v_lshlrev_b64 v[16:17], 2, v[16:17]
	v_add_co_u32_e32 v16, vcc, v13, v16
	v_addc_co_u32_e32 v17, vcc, v14, v17, vcc
	global_store_dword v[16:17], v57, off
	s_or_b64 exec, exec, s[38:39]
	s_and_saveexec_b64 s[38:39], s[18:19]
	s_cbranch_execz .LBB337_233
.LBB337_292:
	v_sub_u32_e32 v16, v54, v9
	v_mov_b32_e32 v17, 0
	v_lshlrev_b64 v[16:17], 2, v[16:17]
	v_add_co_u32_e32 v16, vcc, v13, v16
	v_addc_co_u32_e32 v17, vcc, v14, v17, vcc
	global_store_dword v[16:17], v55, off
	s_or_b64 exec, exec, s[38:39]
	s_and_saveexec_b64 s[38:39], s[16:17]
	s_cbranch_execz .LBB337_234
.LBB337_293:
	v_sub_u32_e32 v16, v52, v9
	v_mov_b32_e32 v17, 0
	v_lshlrev_b64 v[16:17], 2, v[16:17]
	v_add_co_u32_e32 v16, vcc, v13, v16
	v_addc_co_u32_e32 v17, vcc, v14, v17, vcc
	global_store_dword v[16:17], v53, off
	s_or_b64 exec, exec, s[38:39]
	s_and_saveexec_b64 s[38:39], s[14:15]
	s_cbranch_execz .LBB337_235
.LBB337_294:
	v_sub_u32_e32 v16, v50, v9
	v_mov_b32_e32 v17, 0
	v_lshlrev_b64 v[16:17], 2, v[16:17]
	v_add_co_u32_e32 v16, vcc, v13, v16
	v_addc_co_u32_e32 v17, vcc, v14, v17, vcc
	global_store_dword v[16:17], v51, off
	s_or_b64 exec, exec, s[38:39]
	s_and_saveexec_b64 s[38:39], s[12:13]
	s_cbranch_execz .LBB337_236
.LBB337_295:
	v_sub_u32_e32 v16, v48, v9
	v_mov_b32_e32 v17, 0
	v_lshlrev_b64 v[16:17], 2, v[16:17]
	v_add_co_u32_e32 v16, vcc, v13, v16
	v_addc_co_u32_e32 v17, vcc, v14, v17, vcc
	global_store_dword v[16:17], v49, off
	s_or_b64 exec, exec, s[38:39]
	s_and_saveexec_b64 s[38:39], s[10:11]
	s_cbranch_execz .LBB337_237
.LBB337_296:
	v_sub_u32_e32 v16, v46, v9
	v_mov_b32_e32 v17, 0
	v_lshlrev_b64 v[16:17], 2, v[16:17]
	v_add_co_u32_e32 v16, vcc, v13, v16
	v_addc_co_u32_e32 v17, vcc, v14, v17, vcc
	global_store_dword v[16:17], v47, off
	s_or_b64 exec, exec, s[38:39]
	s_and_saveexec_b64 s[38:39], s[8:9]
	s_cbranch_execz .LBB337_238
.LBB337_297:
	v_sub_u32_e32 v16, v44, v9
	v_mov_b32_e32 v17, 0
	v_lshlrev_b64 v[16:17], 2, v[16:17]
	v_add_co_u32_e32 v16, vcc, v13, v16
	v_addc_co_u32_e32 v17, vcc, v14, v17, vcc
	global_store_dword v[16:17], v45, off
	s_or_b64 exec, exec, s[38:39]
	s_and_saveexec_b64 s[38:39], s[6:7]
	s_cbranch_execz .LBB337_239
.LBB337_298:
	v_sub_u32_e32 v16, v42, v9
	v_mov_b32_e32 v17, 0
	v_lshlrev_b64 v[16:17], 2, v[16:17]
	v_add_co_u32_e32 v16, vcc, v13, v16
	v_addc_co_u32_e32 v17, vcc, v14, v17, vcc
	global_store_dword v[16:17], v43, off
	s_or_b64 exec, exec, s[38:39]
	s_and_saveexec_b64 s[38:39], s[4:5]
	s_cbranch_execz .LBB337_240
.LBB337_299:
	v_sub_u32_e32 v16, v40, v9
	v_mov_b32_e32 v17, 0
	v_lshlrev_b64 v[16:17], 2, v[16:17]
	v_add_co_u32_e32 v16, vcc, v13, v16
	v_addc_co_u32_e32 v17, vcc, v14, v17, vcc
	global_store_dword v[16:17], v41, off
	s_or_b64 exec, exec, s[38:39]
	s_and_saveexec_b64 s[38:39], s[2:3]
	s_cbranch_execnz .LBB337_241
	s_branch .LBB337_242
.LBB337_300:
	v_sub_u32_e32 v10, v64, v9
	v_lshlrev_b32_e32 v10, 2, v10
	ds_write_b32 v10, v65
	s_or_b64 exec, exec, s[38:39]
	s_and_saveexec_b64 s[28:29], s[26:27]
	s_cbranch_execz .LBB337_246
.LBB337_301:
	v_sub_u32_e32 v10, v62, v9
	v_lshlrev_b32_e32 v10, 2, v10
	ds_write_b32 v10, v63
	s_or_b64 exec, exec, s[28:29]
	s_and_saveexec_b64 s[26:27], s[24:25]
	s_cbranch_execz .LBB337_247
.LBB337_302:
	v_sub_u32_e32 v10, v60, v9
	v_lshlrev_b32_e32 v10, 2, v10
	ds_write_b32 v10, v61
	s_or_b64 exec, exec, s[26:27]
	s_and_saveexec_b64 s[24:25], s[22:23]
	s_cbranch_execz .LBB337_248
.LBB337_303:
	v_sub_u32_e32 v10, v58, v9
	v_lshlrev_b32_e32 v10, 2, v10
	ds_write_b32 v10, v59
	s_or_b64 exec, exec, s[24:25]
	s_and_saveexec_b64 s[22:23], s[20:21]
	s_cbranch_execz .LBB337_249
.LBB337_304:
	v_sub_u32_e32 v10, v56, v9
	v_lshlrev_b32_e32 v10, 2, v10
	ds_write_b32 v10, v57
	s_or_b64 exec, exec, s[22:23]
	s_and_saveexec_b64 s[20:21], s[18:19]
	s_cbranch_execz .LBB337_250
.LBB337_305:
	v_sub_u32_e32 v10, v54, v9
	v_lshlrev_b32_e32 v10, 2, v10
	ds_write_b32 v10, v55
	s_or_b64 exec, exec, s[20:21]
	s_and_saveexec_b64 s[18:19], s[16:17]
	s_cbranch_execz .LBB337_251
.LBB337_306:
	v_sub_u32_e32 v10, v52, v9
	v_lshlrev_b32_e32 v10, 2, v10
	ds_write_b32 v10, v53
	s_or_b64 exec, exec, s[18:19]
	s_and_saveexec_b64 s[16:17], s[14:15]
	s_cbranch_execz .LBB337_252
.LBB337_307:
	v_sub_u32_e32 v10, v50, v9
	v_lshlrev_b32_e32 v10, 2, v10
	ds_write_b32 v10, v51
	s_or_b64 exec, exec, s[16:17]
	s_and_saveexec_b64 s[14:15], s[12:13]
	s_cbranch_execz .LBB337_253
.LBB337_308:
	v_sub_u32_e32 v10, v48, v9
	v_lshlrev_b32_e32 v10, 2, v10
	ds_write_b32 v10, v49
	s_or_b64 exec, exec, s[14:15]
	s_and_saveexec_b64 s[12:13], s[10:11]
	s_cbranch_execz .LBB337_254
.LBB337_309:
	v_sub_u32_e32 v10, v46, v9
	v_lshlrev_b32_e32 v10, 2, v10
	ds_write_b32 v10, v47
	s_or_b64 exec, exec, s[12:13]
	s_and_saveexec_b64 s[10:11], s[8:9]
	s_cbranch_execz .LBB337_255
.LBB337_310:
	v_sub_u32_e32 v10, v44, v9
	v_lshlrev_b32_e32 v10, 2, v10
	ds_write_b32 v10, v45
	s_or_b64 exec, exec, s[10:11]
	s_and_saveexec_b64 s[8:9], s[6:7]
	s_cbranch_execz .LBB337_256
.LBB337_311:
	v_sub_u32_e32 v10, v42, v9
	v_lshlrev_b32_e32 v10, 2, v10
	ds_write_b32 v10, v43
	s_or_b64 exec, exec, s[8:9]
	s_and_saveexec_b64 s[6:7], s[4:5]
	s_cbranch_execz .LBB337_257
.LBB337_312:
	v_sub_u32_e32 v10, v40, v9
	v_lshlrev_b32_e32 v10, 2, v10
	ds_write_b32 v10, v41
	s_or_b64 exec, exec, s[6:7]
	s_and_saveexec_b64 s[4:5], s[2:3]
	s_cbranch_execnz .LBB337_258
	s_branch .LBB337_259
	.section	.rodata,"a",@progbits
	.p2align	6, 0x0
	.amdhsa_kernel _ZN7rocprim17ROCPRIM_400000_NS6detail17trampoline_kernelINS0_14default_configENS1_29reduce_by_key_config_selectorIjjN6thrust23THRUST_200600_302600_NS4plusIjEEEEZZNS1_33reduce_by_key_impl_wrapped_configILNS1_25lookback_scan_determinismE0ES3_S9_NS6_6detail15normal_iteratorINS6_10device_ptrIjEEEESG_SG_SG_PmS8_NS6_8equal_toIjEEEE10hipError_tPvRmT2_T3_mT4_T5_T6_T7_T8_P12ihipStream_tbENKUlT_T0_E_clISt17integral_constantIbLb1EES10_IbLb0EEEEDaSW_SX_EUlSW_E_NS1_11comp_targetILNS1_3genE4ELNS1_11target_archE910ELNS1_3gpuE8ELNS1_3repE0EEENS1_30default_config_static_selectorELNS0_4arch9wavefront6targetE1EEEvT1_
		.amdhsa_group_segment_fixed_size 15360
		.amdhsa_private_segment_fixed_size 0
		.amdhsa_kernarg_size 120
		.amdhsa_user_sgpr_count 6
		.amdhsa_user_sgpr_private_segment_buffer 1
		.amdhsa_user_sgpr_dispatch_ptr 0
		.amdhsa_user_sgpr_queue_ptr 0
		.amdhsa_user_sgpr_kernarg_segment_ptr 1
		.amdhsa_user_sgpr_dispatch_id 0
		.amdhsa_user_sgpr_flat_scratch_init 0
		.amdhsa_user_sgpr_kernarg_preload_length 0
		.amdhsa_user_sgpr_kernarg_preload_offset 0
		.amdhsa_user_sgpr_private_segment_size 0
		.amdhsa_uses_dynamic_stack 0
		.amdhsa_system_sgpr_private_segment_wavefront_offset 0
		.amdhsa_system_sgpr_workgroup_id_x 1
		.amdhsa_system_sgpr_workgroup_id_y 0
		.amdhsa_system_sgpr_workgroup_id_z 0
		.amdhsa_system_sgpr_workgroup_info 0
		.amdhsa_system_vgpr_workitem_id 0
		.amdhsa_next_free_vgpr 106
		.amdhsa_next_free_sgpr 64
		.amdhsa_accum_offset 108
		.amdhsa_reserve_vcc 1
		.amdhsa_reserve_flat_scratch 0
		.amdhsa_float_round_mode_32 0
		.amdhsa_float_round_mode_16_64 0
		.amdhsa_float_denorm_mode_32 3
		.amdhsa_float_denorm_mode_16_64 3
		.amdhsa_dx10_clamp 1
		.amdhsa_ieee_mode 1
		.amdhsa_fp16_overflow 0
		.amdhsa_tg_split 0
		.amdhsa_exception_fp_ieee_invalid_op 0
		.amdhsa_exception_fp_denorm_src 0
		.amdhsa_exception_fp_ieee_div_zero 0
		.amdhsa_exception_fp_ieee_overflow 0
		.amdhsa_exception_fp_ieee_underflow 0
		.amdhsa_exception_fp_ieee_inexact 0
		.amdhsa_exception_int_div_zero 0
	.end_amdhsa_kernel
	.section	.text._ZN7rocprim17ROCPRIM_400000_NS6detail17trampoline_kernelINS0_14default_configENS1_29reduce_by_key_config_selectorIjjN6thrust23THRUST_200600_302600_NS4plusIjEEEEZZNS1_33reduce_by_key_impl_wrapped_configILNS1_25lookback_scan_determinismE0ES3_S9_NS6_6detail15normal_iteratorINS6_10device_ptrIjEEEESG_SG_SG_PmS8_NS6_8equal_toIjEEEE10hipError_tPvRmT2_T3_mT4_T5_T6_T7_T8_P12ihipStream_tbENKUlT_T0_E_clISt17integral_constantIbLb1EES10_IbLb0EEEEDaSW_SX_EUlSW_E_NS1_11comp_targetILNS1_3genE4ELNS1_11target_archE910ELNS1_3gpuE8ELNS1_3repE0EEENS1_30default_config_static_selectorELNS0_4arch9wavefront6targetE1EEEvT1_,"axG",@progbits,_ZN7rocprim17ROCPRIM_400000_NS6detail17trampoline_kernelINS0_14default_configENS1_29reduce_by_key_config_selectorIjjN6thrust23THRUST_200600_302600_NS4plusIjEEEEZZNS1_33reduce_by_key_impl_wrapped_configILNS1_25lookback_scan_determinismE0ES3_S9_NS6_6detail15normal_iteratorINS6_10device_ptrIjEEEESG_SG_SG_PmS8_NS6_8equal_toIjEEEE10hipError_tPvRmT2_T3_mT4_T5_T6_T7_T8_P12ihipStream_tbENKUlT_T0_E_clISt17integral_constantIbLb1EES10_IbLb0EEEEDaSW_SX_EUlSW_E_NS1_11comp_targetILNS1_3genE4ELNS1_11target_archE910ELNS1_3gpuE8ELNS1_3repE0EEENS1_30default_config_static_selectorELNS0_4arch9wavefront6targetE1EEEvT1_,comdat
.Lfunc_end337:
	.size	_ZN7rocprim17ROCPRIM_400000_NS6detail17trampoline_kernelINS0_14default_configENS1_29reduce_by_key_config_selectorIjjN6thrust23THRUST_200600_302600_NS4plusIjEEEEZZNS1_33reduce_by_key_impl_wrapped_configILNS1_25lookback_scan_determinismE0ES3_S9_NS6_6detail15normal_iteratorINS6_10device_ptrIjEEEESG_SG_SG_PmS8_NS6_8equal_toIjEEEE10hipError_tPvRmT2_T3_mT4_T5_T6_T7_T8_P12ihipStream_tbENKUlT_T0_E_clISt17integral_constantIbLb1EES10_IbLb0EEEEDaSW_SX_EUlSW_E_NS1_11comp_targetILNS1_3genE4ELNS1_11target_archE910ELNS1_3gpuE8ELNS1_3repE0EEENS1_30default_config_static_selectorELNS0_4arch9wavefront6targetE1EEEvT1_, .Lfunc_end337-_ZN7rocprim17ROCPRIM_400000_NS6detail17trampoline_kernelINS0_14default_configENS1_29reduce_by_key_config_selectorIjjN6thrust23THRUST_200600_302600_NS4plusIjEEEEZZNS1_33reduce_by_key_impl_wrapped_configILNS1_25lookback_scan_determinismE0ES3_S9_NS6_6detail15normal_iteratorINS6_10device_ptrIjEEEESG_SG_SG_PmS8_NS6_8equal_toIjEEEE10hipError_tPvRmT2_T3_mT4_T5_T6_T7_T8_P12ihipStream_tbENKUlT_T0_E_clISt17integral_constantIbLb1EES10_IbLb0EEEEDaSW_SX_EUlSW_E_NS1_11comp_targetILNS1_3genE4ELNS1_11target_archE910ELNS1_3gpuE8ELNS1_3repE0EEENS1_30default_config_static_selectorELNS0_4arch9wavefront6targetE1EEEvT1_
                                        ; -- End function
	.section	.AMDGPU.csdata,"",@progbits
; Kernel info:
; codeLenInByte = 17272
; NumSgprs: 68
; NumVgprs: 106
; NumAgprs: 0
; TotalNumVgprs: 106
; ScratchSize: 0
; MemoryBound: 0
; FloatMode: 240
; IeeeMode: 1
; LDSByteSize: 15360 bytes/workgroup (compile time only)
; SGPRBlocks: 8
; VGPRBlocks: 13
; NumSGPRsForWavesPerEU: 68
; NumVGPRsForWavesPerEU: 106
; AccumOffset: 108
; Occupancy: 4
; WaveLimiterHint : 1
; COMPUTE_PGM_RSRC2:SCRATCH_EN: 0
; COMPUTE_PGM_RSRC2:USER_SGPR: 6
; COMPUTE_PGM_RSRC2:TRAP_HANDLER: 0
; COMPUTE_PGM_RSRC2:TGID_X_EN: 1
; COMPUTE_PGM_RSRC2:TGID_Y_EN: 0
; COMPUTE_PGM_RSRC2:TGID_Z_EN: 0
; COMPUTE_PGM_RSRC2:TIDIG_COMP_CNT: 0
; COMPUTE_PGM_RSRC3_GFX90A:ACCUM_OFFSET: 26
; COMPUTE_PGM_RSRC3_GFX90A:TG_SPLIT: 0
	.section	.text._ZN7rocprim17ROCPRIM_400000_NS6detail17trampoline_kernelINS0_14default_configENS1_29reduce_by_key_config_selectorIjjN6thrust23THRUST_200600_302600_NS4plusIjEEEEZZNS1_33reduce_by_key_impl_wrapped_configILNS1_25lookback_scan_determinismE0ES3_S9_NS6_6detail15normal_iteratorINS6_10device_ptrIjEEEESG_SG_SG_PmS8_NS6_8equal_toIjEEEE10hipError_tPvRmT2_T3_mT4_T5_T6_T7_T8_P12ihipStream_tbENKUlT_T0_E_clISt17integral_constantIbLb1EES10_IbLb0EEEEDaSW_SX_EUlSW_E_NS1_11comp_targetILNS1_3genE3ELNS1_11target_archE908ELNS1_3gpuE7ELNS1_3repE0EEENS1_30default_config_static_selectorELNS0_4arch9wavefront6targetE1EEEvT1_,"axG",@progbits,_ZN7rocprim17ROCPRIM_400000_NS6detail17trampoline_kernelINS0_14default_configENS1_29reduce_by_key_config_selectorIjjN6thrust23THRUST_200600_302600_NS4plusIjEEEEZZNS1_33reduce_by_key_impl_wrapped_configILNS1_25lookback_scan_determinismE0ES3_S9_NS6_6detail15normal_iteratorINS6_10device_ptrIjEEEESG_SG_SG_PmS8_NS6_8equal_toIjEEEE10hipError_tPvRmT2_T3_mT4_T5_T6_T7_T8_P12ihipStream_tbENKUlT_T0_E_clISt17integral_constantIbLb1EES10_IbLb0EEEEDaSW_SX_EUlSW_E_NS1_11comp_targetILNS1_3genE3ELNS1_11target_archE908ELNS1_3gpuE7ELNS1_3repE0EEENS1_30default_config_static_selectorELNS0_4arch9wavefront6targetE1EEEvT1_,comdat
	.protected	_ZN7rocprim17ROCPRIM_400000_NS6detail17trampoline_kernelINS0_14default_configENS1_29reduce_by_key_config_selectorIjjN6thrust23THRUST_200600_302600_NS4plusIjEEEEZZNS1_33reduce_by_key_impl_wrapped_configILNS1_25lookback_scan_determinismE0ES3_S9_NS6_6detail15normal_iteratorINS6_10device_ptrIjEEEESG_SG_SG_PmS8_NS6_8equal_toIjEEEE10hipError_tPvRmT2_T3_mT4_T5_T6_T7_T8_P12ihipStream_tbENKUlT_T0_E_clISt17integral_constantIbLb1EES10_IbLb0EEEEDaSW_SX_EUlSW_E_NS1_11comp_targetILNS1_3genE3ELNS1_11target_archE908ELNS1_3gpuE7ELNS1_3repE0EEENS1_30default_config_static_selectorELNS0_4arch9wavefront6targetE1EEEvT1_ ; -- Begin function _ZN7rocprim17ROCPRIM_400000_NS6detail17trampoline_kernelINS0_14default_configENS1_29reduce_by_key_config_selectorIjjN6thrust23THRUST_200600_302600_NS4plusIjEEEEZZNS1_33reduce_by_key_impl_wrapped_configILNS1_25lookback_scan_determinismE0ES3_S9_NS6_6detail15normal_iteratorINS6_10device_ptrIjEEEESG_SG_SG_PmS8_NS6_8equal_toIjEEEE10hipError_tPvRmT2_T3_mT4_T5_T6_T7_T8_P12ihipStream_tbENKUlT_T0_E_clISt17integral_constantIbLb1EES10_IbLb0EEEEDaSW_SX_EUlSW_E_NS1_11comp_targetILNS1_3genE3ELNS1_11target_archE908ELNS1_3gpuE7ELNS1_3repE0EEENS1_30default_config_static_selectorELNS0_4arch9wavefront6targetE1EEEvT1_
	.globl	_ZN7rocprim17ROCPRIM_400000_NS6detail17trampoline_kernelINS0_14default_configENS1_29reduce_by_key_config_selectorIjjN6thrust23THRUST_200600_302600_NS4plusIjEEEEZZNS1_33reduce_by_key_impl_wrapped_configILNS1_25lookback_scan_determinismE0ES3_S9_NS6_6detail15normal_iteratorINS6_10device_ptrIjEEEESG_SG_SG_PmS8_NS6_8equal_toIjEEEE10hipError_tPvRmT2_T3_mT4_T5_T6_T7_T8_P12ihipStream_tbENKUlT_T0_E_clISt17integral_constantIbLb1EES10_IbLb0EEEEDaSW_SX_EUlSW_E_NS1_11comp_targetILNS1_3genE3ELNS1_11target_archE908ELNS1_3gpuE7ELNS1_3repE0EEENS1_30default_config_static_selectorELNS0_4arch9wavefront6targetE1EEEvT1_
	.p2align	8
	.type	_ZN7rocprim17ROCPRIM_400000_NS6detail17trampoline_kernelINS0_14default_configENS1_29reduce_by_key_config_selectorIjjN6thrust23THRUST_200600_302600_NS4plusIjEEEEZZNS1_33reduce_by_key_impl_wrapped_configILNS1_25lookback_scan_determinismE0ES3_S9_NS6_6detail15normal_iteratorINS6_10device_ptrIjEEEESG_SG_SG_PmS8_NS6_8equal_toIjEEEE10hipError_tPvRmT2_T3_mT4_T5_T6_T7_T8_P12ihipStream_tbENKUlT_T0_E_clISt17integral_constantIbLb1EES10_IbLb0EEEEDaSW_SX_EUlSW_E_NS1_11comp_targetILNS1_3genE3ELNS1_11target_archE908ELNS1_3gpuE7ELNS1_3repE0EEENS1_30default_config_static_selectorELNS0_4arch9wavefront6targetE1EEEvT1_,@function
_ZN7rocprim17ROCPRIM_400000_NS6detail17trampoline_kernelINS0_14default_configENS1_29reduce_by_key_config_selectorIjjN6thrust23THRUST_200600_302600_NS4plusIjEEEEZZNS1_33reduce_by_key_impl_wrapped_configILNS1_25lookback_scan_determinismE0ES3_S9_NS6_6detail15normal_iteratorINS6_10device_ptrIjEEEESG_SG_SG_PmS8_NS6_8equal_toIjEEEE10hipError_tPvRmT2_T3_mT4_T5_T6_T7_T8_P12ihipStream_tbENKUlT_T0_E_clISt17integral_constantIbLb1EES10_IbLb0EEEEDaSW_SX_EUlSW_E_NS1_11comp_targetILNS1_3genE3ELNS1_11target_archE908ELNS1_3gpuE7ELNS1_3repE0EEENS1_30default_config_static_selectorELNS0_4arch9wavefront6targetE1EEEvT1_: ; @_ZN7rocprim17ROCPRIM_400000_NS6detail17trampoline_kernelINS0_14default_configENS1_29reduce_by_key_config_selectorIjjN6thrust23THRUST_200600_302600_NS4plusIjEEEEZZNS1_33reduce_by_key_impl_wrapped_configILNS1_25lookback_scan_determinismE0ES3_S9_NS6_6detail15normal_iteratorINS6_10device_ptrIjEEEESG_SG_SG_PmS8_NS6_8equal_toIjEEEE10hipError_tPvRmT2_T3_mT4_T5_T6_T7_T8_P12ihipStream_tbENKUlT_T0_E_clISt17integral_constantIbLb1EES10_IbLb0EEEEDaSW_SX_EUlSW_E_NS1_11comp_targetILNS1_3genE3ELNS1_11target_archE908ELNS1_3gpuE7ELNS1_3repE0EEENS1_30default_config_static_selectorELNS0_4arch9wavefront6targetE1EEEvT1_
; %bb.0:
	.section	.rodata,"a",@progbits
	.p2align	6, 0x0
	.amdhsa_kernel _ZN7rocprim17ROCPRIM_400000_NS6detail17trampoline_kernelINS0_14default_configENS1_29reduce_by_key_config_selectorIjjN6thrust23THRUST_200600_302600_NS4plusIjEEEEZZNS1_33reduce_by_key_impl_wrapped_configILNS1_25lookback_scan_determinismE0ES3_S9_NS6_6detail15normal_iteratorINS6_10device_ptrIjEEEESG_SG_SG_PmS8_NS6_8equal_toIjEEEE10hipError_tPvRmT2_T3_mT4_T5_T6_T7_T8_P12ihipStream_tbENKUlT_T0_E_clISt17integral_constantIbLb1EES10_IbLb0EEEEDaSW_SX_EUlSW_E_NS1_11comp_targetILNS1_3genE3ELNS1_11target_archE908ELNS1_3gpuE7ELNS1_3repE0EEENS1_30default_config_static_selectorELNS0_4arch9wavefront6targetE1EEEvT1_
		.amdhsa_group_segment_fixed_size 0
		.amdhsa_private_segment_fixed_size 0
		.amdhsa_kernarg_size 120
		.amdhsa_user_sgpr_count 6
		.amdhsa_user_sgpr_private_segment_buffer 1
		.amdhsa_user_sgpr_dispatch_ptr 0
		.amdhsa_user_sgpr_queue_ptr 0
		.amdhsa_user_sgpr_kernarg_segment_ptr 1
		.amdhsa_user_sgpr_dispatch_id 0
		.amdhsa_user_sgpr_flat_scratch_init 0
		.amdhsa_user_sgpr_kernarg_preload_length 0
		.amdhsa_user_sgpr_kernarg_preload_offset 0
		.amdhsa_user_sgpr_private_segment_size 0
		.amdhsa_uses_dynamic_stack 0
		.amdhsa_system_sgpr_private_segment_wavefront_offset 0
		.amdhsa_system_sgpr_workgroup_id_x 1
		.amdhsa_system_sgpr_workgroup_id_y 0
		.amdhsa_system_sgpr_workgroup_id_z 0
		.amdhsa_system_sgpr_workgroup_info 0
		.amdhsa_system_vgpr_workitem_id 0
		.amdhsa_next_free_vgpr 1
		.amdhsa_next_free_sgpr 0
		.amdhsa_accum_offset 4
		.amdhsa_reserve_vcc 0
		.amdhsa_reserve_flat_scratch 0
		.amdhsa_float_round_mode_32 0
		.amdhsa_float_round_mode_16_64 0
		.amdhsa_float_denorm_mode_32 3
		.amdhsa_float_denorm_mode_16_64 3
		.amdhsa_dx10_clamp 1
		.amdhsa_ieee_mode 1
		.amdhsa_fp16_overflow 0
		.amdhsa_tg_split 0
		.amdhsa_exception_fp_ieee_invalid_op 0
		.amdhsa_exception_fp_denorm_src 0
		.amdhsa_exception_fp_ieee_div_zero 0
		.amdhsa_exception_fp_ieee_overflow 0
		.amdhsa_exception_fp_ieee_underflow 0
		.amdhsa_exception_fp_ieee_inexact 0
		.amdhsa_exception_int_div_zero 0
	.end_amdhsa_kernel
	.section	.text._ZN7rocprim17ROCPRIM_400000_NS6detail17trampoline_kernelINS0_14default_configENS1_29reduce_by_key_config_selectorIjjN6thrust23THRUST_200600_302600_NS4plusIjEEEEZZNS1_33reduce_by_key_impl_wrapped_configILNS1_25lookback_scan_determinismE0ES3_S9_NS6_6detail15normal_iteratorINS6_10device_ptrIjEEEESG_SG_SG_PmS8_NS6_8equal_toIjEEEE10hipError_tPvRmT2_T3_mT4_T5_T6_T7_T8_P12ihipStream_tbENKUlT_T0_E_clISt17integral_constantIbLb1EES10_IbLb0EEEEDaSW_SX_EUlSW_E_NS1_11comp_targetILNS1_3genE3ELNS1_11target_archE908ELNS1_3gpuE7ELNS1_3repE0EEENS1_30default_config_static_selectorELNS0_4arch9wavefront6targetE1EEEvT1_,"axG",@progbits,_ZN7rocprim17ROCPRIM_400000_NS6detail17trampoline_kernelINS0_14default_configENS1_29reduce_by_key_config_selectorIjjN6thrust23THRUST_200600_302600_NS4plusIjEEEEZZNS1_33reduce_by_key_impl_wrapped_configILNS1_25lookback_scan_determinismE0ES3_S9_NS6_6detail15normal_iteratorINS6_10device_ptrIjEEEESG_SG_SG_PmS8_NS6_8equal_toIjEEEE10hipError_tPvRmT2_T3_mT4_T5_T6_T7_T8_P12ihipStream_tbENKUlT_T0_E_clISt17integral_constantIbLb1EES10_IbLb0EEEEDaSW_SX_EUlSW_E_NS1_11comp_targetILNS1_3genE3ELNS1_11target_archE908ELNS1_3gpuE7ELNS1_3repE0EEENS1_30default_config_static_selectorELNS0_4arch9wavefront6targetE1EEEvT1_,comdat
.Lfunc_end338:
	.size	_ZN7rocprim17ROCPRIM_400000_NS6detail17trampoline_kernelINS0_14default_configENS1_29reduce_by_key_config_selectorIjjN6thrust23THRUST_200600_302600_NS4plusIjEEEEZZNS1_33reduce_by_key_impl_wrapped_configILNS1_25lookback_scan_determinismE0ES3_S9_NS6_6detail15normal_iteratorINS6_10device_ptrIjEEEESG_SG_SG_PmS8_NS6_8equal_toIjEEEE10hipError_tPvRmT2_T3_mT4_T5_T6_T7_T8_P12ihipStream_tbENKUlT_T0_E_clISt17integral_constantIbLb1EES10_IbLb0EEEEDaSW_SX_EUlSW_E_NS1_11comp_targetILNS1_3genE3ELNS1_11target_archE908ELNS1_3gpuE7ELNS1_3repE0EEENS1_30default_config_static_selectorELNS0_4arch9wavefront6targetE1EEEvT1_, .Lfunc_end338-_ZN7rocprim17ROCPRIM_400000_NS6detail17trampoline_kernelINS0_14default_configENS1_29reduce_by_key_config_selectorIjjN6thrust23THRUST_200600_302600_NS4plusIjEEEEZZNS1_33reduce_by_key_impl_wrapped_configILNS1_25lookback_scan_determinismE0ES3_S9_NS6_6detail15normal_iteratorINS6_10device_ptrIjEEEESG_SG_SG_PmS8_NS6_8equal_toIjEEEE10hipError_tPvRmT2_T3_mT4_T5_T6_T7_T8_P12ihipStream_tbENKUlT_T0_E_clISt17integral_constantIbLb1EES10_IbLb0EEEEDaSW_SX_EUlSW_E_NS1_11comp_targetILNS1_3genE3ELNS1_11target_archE908ELNS1_3gpuE7ELNS1_3repE0EEENS1_30default_config_static_selectorELNS0_4arch9wavefront6targetE1EEEvT1_
                                        ; -- End function
	.section	.AMDGPU.csdata,"",@progbits
; Kernel info:
; codeLenInByte = 0
; NumSgprs: 4
; NumVgprs: 0
; NumAgprs: 0
; TotalNumVgprs: 0
; ScratchSize: 0
; MemoryBound: 0
; FloatMode: 240
; IeeeMode: 1
; LDSByteSize: 0 bytes/workgroup (compile time only)
; SGPRBlocks: 0
; VGPRBlocks: 0
; NumSGPRsForWavesPerEU: 4
; NumVGPRsForWavesPerEU: 1
; AccumOffset: 4
; Occupancy: 8
; WaveLimiterHint : 0
; COMPUTE_PGM_RSRC2:SCRATCH_EN: 0
; COMPUTE_PGM_RSRC2:USER_SGPR: 6
; COMPUTE_PGM_RSRC2:TRAP_HANDLER: 0
; COMPUTE_PGM_RSRC2:TGID_X_EN: 1
; COMPUTE_PGM_RSRC2:TGID_Y_EN: 0
; COMPUTE_PGM_RSRC2:TGID_Z_EN: 0
; COMPUTE_PGM_RSRC2:TIDIG_COMP_CNT: 0
; COMPUTE_PGM_RSRC3_GFX90A:ACCUM_OFFSET: 0
; COMPUTE_PGM_RSRC3_GFX90A:TG_SPLIT: 0
	.section	.text._ZN7rocprim17ROCPRIM_400000_NS6detail17trampoline_kernelINS0_14default_configENS1_29reduce_by_key_config_selectorIjjN6thrust23THRUST_200600_302600_NS4plusIjEEEEZZNS1_33reduce_by_key_impl_wrapped_configILNS1_25lookback_scan_determinismE0ES3_S9_NS6_6detail15normal_iteratorINS6_10device_ptrIjEEEESG_SG_SG_PmS8_NS6_8equal_toIjEEEE10hipError_tPvRmT2_T3_mT4_T5_T6_T7_T8_P12ihipStream_tbENKUlT_T0_E_clISt17integral_constantIbLb1EES10_IbLb0EEEEDaSW_SX_EUlSW_E_NS1_11comp_targetILNS1_3genE2ELNS1_11target_archE906ELNS1_3gpuE6ELNS1_3repE0EEENS1_30default_config_static_selectorELNS0_4arch9wavefront6targetE1EEEvT1_,"axG",@progbits,_ZN7rocprim17ROCPRIM_400000_NS6detail17trampoline_kernelINS0_14default_configENS1_29reduce_by_key_config_selectorIjjN6thrust23THRUST_200600_302600_NS4plusIjEEEEZZNS1_33reduce_by_key_impl_wrapped_configILNS1_25lookback_scan_determinismE0ES3_S9_NS6_6detail15normal_iteratorINS6_10device_ptrIjEEEESG_SG_SG_PmS8_NS6_8equal_toIjEEEE10hipError_tPvRmT2_T3_mT4_T5_T6_T7_T8_P12ihipStream_tbENKUlT_T0_E_clISt17integral_constantIbLb1EES10_IbLb0EEEEDaSW_SX_EUlSW_E_NS1_11comp_targetILNS1_3genE2ELNS1_11target_archE906ELNS1_3gpuE6ELNS1_3repE0EEENS1_30default_config_static_selectorELNS0_4arch9wavefront6targetE1EEEvT1_,comdat
	.protected	_ZN7rocprim17ROCPRIM_400000_NS6detail17trampoline_kernelINS0_14default_configENS1_29reduce_by_key_config_selectorIjjN6thrust23THRUST_200600_302600_NS4plusIjEEEEZZNS1_33reduce_by_key_impl_wrapped_configILNS1_25lookback_scan_determinismE0ES3_S9_NS6_6detail15normal_iteratorINS6_10device_ptrIjEEEESG_SG_SG_PmS8_NS6_8equal_toIjEEEE10hipError_tPvRmT2_T3_mT4_T5_T6_T7_T8_P12ihipStream_tbENKUlT_T0_E_clISt17integral_constantIbLb1EES10_IbLb0EEEEDaSW_SX_EUlSW_E_NS1_11comp_targetILNS1_3genE2ELNS1_11target_archE906ELNS1_3gpuE6ELNS1_3repE0EEENS1_30default_config_static_selectorELNS0_4arch9wavefront6targetE1EEEvT1_ ; -- Begin function _ZN7rocprim17ROCPRIM_400000_NS6detail17trampoline_kernelINS0_14default_configENS1_29reduce_by_key_config_selectorIjjN6thrust23THRUST_200600_302600_NS4plusIjEEEEZZNS1_33reduce_by_key_impl_wrapped_configILNS1_25lookback_scan_determinismE0ES3_S9_NS6_6detail15normal_iteratorINS6_10device_ptrIjEEEESG_SG_SG_PmS8_NS6_8equal_toIjEEEE10hipError_tPvRmT2_T3_mT4_T5_T6_T7_T8_P12ihipStream_tbENKUlT_T0_E_clISt17integral_constantIbLb1EES10_IbLb0EEEEDaSW_SX_EUlSW_E_NS1_11comp_targetILNS1_3genE2ELNS1_11target_archE906ELNS1_3gpuE6ELNS1_3repE0EEENS1_30default_config_static_selectorELNS0_4arch9wavefront6targetE1EEEvT1_
	.globl	_ZN7rocprim17ROCPRIM_400000_NS6detail17trampoline_kernelINS0_14default_configENS1_29reduce_by_key_config_selectorIjjN6thrust23THRUST_200600_302600_NS4plusIjEEEEZZNS1_33reduce_by_key_impl_wrapped_configILNS1_25lookback_scan_determinismE0ES3_S9_NS6_6detail15normal_iteratorINS6_10device_ptrIjEEEESG_SG_SG_PmS8_NS6_8equal_toIjEEEE10hipError_tPvRmT2_T3_mT4_T5_T6_T7_T8_P12ihipStream_tbENKUlT_T0_E_clISt17integral_constantIbLb1EES10_IbLb0EEEEDaSW_SX_EUlSW_E_NS1_11comp_targetILNS1_3genE2ELNS1_11target_archE906ELNS1_3gpuE6ELNS1_3repE0EEENS1_30default_config_static_selectorELNS0_4arch9wavefront6targetE1EEEvT1_
	.p2align	8
	.type	_ZN7rocprim17ROCPRIM_400000_NS6detail17trampoline_kernelINS0_14default_configENS1_29reduce_by_key_config_selectorIjjN6thrust23THRUST_200600_302600_NS4plusIjEEEEZZNS1_33reduce_by_key_impl_wrapped_configILNS1_25lookback_scan_determinismE0ES3_S9_NS6_6detail15normal_iteratorINS6_10device_ptrIjEEEESG_SG_SG_PmS8_NS6_8equal_toIjEEEE10hipError_tPvRmT2_T3_mT4_T5_T6_T7_T8_P12ihipStream_tbENKUlT_T0_E_clISt17integral_constantIbLb1EES10_IbLb0EEEEDaSW_SX_EUlSW_E_NS1_11comp_targetILNS1_3genE2ELNS1_11target_archE906ELNS1_3gpuE6ELNS1_3repE0EEENS1_30default_config_static_selectorELNS0_4arch9wavefront6targetE1EEEvT1_,@function
_ZN7rocprim17ROCPRIM_400000_NS6detail17trampoline_kernelINS0_14default_configENS1_29reduce_by_key_config_selectorIjjN6thrust23THRUST_200600_302600_NS4plusIjEEEEZZNS1_33reduce_by_key_impl_wrapped_configILNS1_25lookback_scan_determinismE0ES3_S9_NS6_6detail15normal_iteratorINS6_10device_ptrIjEEEESG_SG_SG_PmS8_NS6_8equal_toIjEEEE10hipError_tPvRmT2_T3_mT4_T5_T6_T7_T8_P12ihipStream_tbENKUlT_T0_E_clISt17integral_constantIbLb1EES10_IbLb0EEEEDaSW_SX_EUlSW_E_NS1_11comp_targetILNS1_3genE2ELNS1_11target_archE906ELNS1_3gpuE6ELNS1_3repE0EEENS1_30default_config_static_selectorELNS0_4arch9wavefront6targetE1EEEvT1_: ; @_ZN7rocprim17ROCPRIM_400000_NS6detail17trampoline_kernelINS0_14default_configENS1_29reduce_by_key_config_selectorIjjN6thrust23THRUST_200600_302600_NS4plusIjEEEEZZNS1_33reduce_by_key_impl_wrapped_configILNS1_25lookback_scan_determinismE0ES3_S9_NS6_6detail15normal_iteratorINS6_10device_ptrIjEEEESG_SG_SG_PmS8_NS6_8equal_toIjEEEE10hipError_tPvRmT2_T3_mT4_T5_T6_T7_T8_P12ihipStream_tbENKUlT_T0_E_clISt17integral_constantIbLb1EES10_IbLb0EEEEDaSW_SX_EUlSW_E_NS1_11comp_targetILNS1_3genE2ELNS1_11target_archE906ELNS1_3gpuE6ELNS1_3repE0EEENS1_30default_config_static_selectorELNS0_4arch9wavefront6targetE1EEEvT1_
; %bb.0:
	.section	.rodata,"a",@progbits
	.p2align	6, 0x0
	.amdhsa_kernel _ZN7rocprim17ROCPRIM_400000_NS6detail17trampoline_kernelINS0_14default_configENS1_29reduce_by_key_config_selectorIjjN6thrust23THRUST_200600_302600_NS4plusIjEEEEZZNS1_33reduce_by_key_impl_wrapped_configILNS1_25lookback_scan_determinismE0ES3_S9_NS6_6detail15normal_iteratorINS6_10device_ptrIjEEEESG_SG_SG_PmS8_NS6_8equal_toIjEEEE10hipError_tPvRmT2_T3_mT4_T5_T6_T7_T8_P12ihipStream_tbENKUlT_T0_E_clISt17integral_constantIbLb1EES10_IbLb0EEEEDaSW_SX_EUlSW_E_NS1_11comp_targetILNS1_3genE2ELNS1_11target_archE906ELNS1_3gpuE6ELNS1_3repE0EEENS1_30default_config_static_selectorELNS0_4arch9wavefront6targetE1EEEvT1_
		.amdhsa_group_segment_fixed_size 0
		.amdhsa_private_segment_fixed_size 0
		.amdhsa_kernarg_size 120
		.amdhsa_user_sgpr_count 6
		.amdhsa_user_sgpr_private_segment_buffer 1
		.amdhsa_user_sgpr_dispatch_ptr 0
		.amdhsa_user_sgpr_queue_ptr 0
		.amdhsa_user_sgpr_kernarg_segment_ptr 1
		.amdhsa_user_sgpr_dispatch_id 0
		.amdhsa_user_sgpr_flat_scratch_init 0
		.amdhsa_user_sgpr_kernarg_preload_length 0
		.amdhsa_user_sgpr_kernarg_preload_offset 0
		.amdhsa_user_sgpr_private_segment_size 0
		.amdhsa_uses_dynamic_stack 0
		.amdhsa_system_sgpr_private_segment_wavefront_offset 0
		.amdhsa_system_sgpr_workgroup_id_x 1
		.amdhsa_system_sgpr_workgroup_id_y 0
		.amdhsa_system_sgpr_workgroup_id_z 0
		.amdhsa_system_sgpr_workgroup_info 0
		.amdhsa_system_vgpr_workitem_id 0
		.amdhsa_next_free_vgpr 1
		.amdhsa_next_free_sgpr 0
		.amdhsa_accum_offset 4
		.amdhsa_reserve_vcc 0
		.amdhsa_reserve_flat_scratch 0
		.amdhsa_float_round_mode_32 0
		.amdhsa_float_round_mode_16_64 0
		.amdhsa_float_denorm_mode_32 3
		.amdhsa_float_denorm_mode_16_64 3
		.amdhsa_dx10_clamp 1
		.amdhsa_ieee_mode 1
		.amdhsa_fp16_overflow 0
		.amdhsa_tg_split 0
		.amdhsa_exception_fp_ieee_invalid_op 0
		.amdhsa_exception_fp_denorm_src 0
		.amdhsa_exception_fp_ieee_div_zero 0
		.amdhsa_exception_fp_ieee_overflow 0
		.amdhsa_exception_fp_ieee_underflow 0
		.amdhsa_exception_fp_ieee_inexact 0
		.amdhsa_exception_int_div_zero 0
	.end_amdhsa_kernel
	.section	.text._ZN7rocprim17ROCPRIM_400000_NS6detail17trampoline_kernelINS0_14default_configENS1_29reduce_by_key_config_selectorIjjN6thrust23THRUST_200600_302600_NS4plusIjEEEEZZNS1_33reduce_by_key_impl_wrapped_configILNS1_25lookback_scan_determinismE0ES3_S9_NS6_6detail15normal_iteratorINS6_10device_ptrIjEEEESG_SG_SG_PmS8_NS6_8equal_toIjEEEE10hipError_tPvRmT2_T3_mT4_T5_T6_T7_T8_P12ihipStream_tbENKUlT_T0_E_clISt17integral_constantIbLb1EES10_IbLb0EEEEDaSW_SX_EUlSW_E_NS1_11comp_targetILNS1_3genE2ELNS1_11target_archE906ELNS1_3gpuE6ELNS1_3repE0EEENS1_30default_config_static_selectorELNS0_4arch9wavefront6targetE1EEEvT1_,"axG",@progbits,_ZN7rocprim17ROCPRIM_400000_NS6detail17trampoline_kernelINS0_14default_configENS1_29reduce_by_key_config_selectorIjjN6thrust23THRUST_200600_302600_NS4plusIjEEEEZZNS1_33reduce_by_key_impl_wrapped_configILNS1_25lookback_scan_determinismE0ES3_S9_NS6_6detail15normal_iteratorINS6_10device_ptrIjEEEESG_SG_SG_PmS8_NS6_8equal_toIjEEEE10hipError_tPvRmT2_T3_mT4_T5_T6_T7_T8_P12ihipStream_tbENKUlT_T0_E_clISt17integral_constantIbLb1EES10_IbLb0EEEEDaSW_SX_EUlSW_E_NS1_11comp_targetILNS1_3genE2ELNS1_11target_archE906ELNS1_3gpuE6ELNS1_3repE0EEENS1_30default_config_static_selectorELNS0_4arch9wavefront6targetE1EEEvT1_,comdat
.Lfunc_end339:
	.size	_ZN7rocprim17ROCPRIM_400000_NS6detail17trampoline_kernelINS0_14default_configENS1_29reduce_by_key_config_selectorIjjN6thrust23THRUST_200600_302600_NS4plusIjEEEEZZNS1_33reduce_by_key_impl_wrapped_configILNS1_25lookback_scan_determinismE0ES3_S9_NS6_6detail15normal_iteratorINS6_10device_ptrIjEEEESG_SG_SG_PmS8_NS6_8equal_toIjEEEE10hipError_tPvRmT2_T3_mT4_T5_T6_T7_T8_P12ihipStream_tbENKUlT_T0_E_clISt17integral_constantIbLb1EES10_IbLb0EEEEDaSW_SX_EUlSW_E_NS1_11comp_targetILNS1_3genE2ELNS1_11target_archE906ELNS1_3gpuE6ELNS1_3repE0EEENS1_30default_config_static_selectorELNS0_4arch9wavefront6targetE1EEEvT1_, .Lfunc_end339-_ZN7rocprim17ROCPRIM_400000_NS6detail17trampoline_kernelINS0_14default_configENS1_29reduce_by_key_config_selectorIjjN6thrust23THRUST_200600_302600_NS4plusIjEEEEZZNS1_33reduce_by_key_impl_wrapped_configILNS1_25lookback_scan_determinismE0ES3_S9_NS6_6detail15normal_iteratorINS6_10device_ptrIjEEEESG_SG_SG_PmS8_NS6_8equal_toIjEEEE10hipError_tPvRmT2_T3_mT4_T5_T6_T7_T8_P12ihipStream_tbENKUlT_T0_E_clISt17integral_constantIbLb1EES10_IbLb0EEEEDaSW_SX_EUlSW_E_NS1_11comp_targetILNS1_3genE2ELNS1_11target_archE906ELNS1_3gpuE6ELNS1_3repE0EEENS1_30default_config_static_selectorELNS0_4arch9wavefront6targetE1EEEvT1_
                                        ; -- End function
	.section	.AMDGPU.csdata,"",@progbits
; Kernel info:
; codeLenInByte = 0
; NumSgprs: 4
; NumVgprs: 0
; NumAgprs: 0
; TotalNumVgprs: 0
; ScratchSize: 0
; MemoryBound: 0
; FloatMode: 240
; IeeeMode: 1
; LDSByteSize: 0 bytes/workgroup (compile time only)
; SGPRBlocks: 0
; VGPRBlocks: 0
; NumSGPRsForWavesPerEU: 4
; NumVGPRsForWavesPerEU: 1
; AccumOffset: 4
; Occupancy: 8
; WaveLimiterHint : 0
; COMPUTE_PGM_RSRC2:SCRATCH_EN: 0
; COMPUTE_PGM_RSRC2:USER_SGPR: 6
; COMPUTE_PGM_RSRC2:TRAP_HANDLER: 0
; COMPUTE_PGM_RSRC2:TGID_X_EN: 1
; COMPUTE_PGM_RSRC2:TGID_Y_EN: 0
; COMPUTE_PGM_RSRC2:TGID_Z_EN: 0
; COMPUTE_PGM_RSRC2:TIDIG_COMP_CNT: 0
; COMPUTE_PGM_RSRC3_GFX90A:ACCUM_OFFSET: 0
; COMPUTE_PGM_RSRC3_GFX90A:TG_SPLIT: 0
	.section	.text._ZN7rocprim17ROCPRIM_400000_NS6detail17trampoline_kernelINS0_14default_configENS1_29reduce_by_key_config_selectorIjjN6thrust23THRUST_200600_302600_NS4plusIjEEEEZZNS1_33reduce_by_key_impl_wrapped_configILNS1_25lookback_scan_determinismE0ES3_S9_NS6_6detail15normal_iteratorINS6_10device_ptrIjEEEESG_SG_SG_PmS8_NS6_8equal_toIjEEEE10hipError_tPvRmT2_T3_mT4_T5_T6_T7_T8_P12ihipStream_tbENKUlT_T0_E_clISt17integral_constantIbLb1EES10_IbLb0EEEEDaSW_SX_EUlSW_E_NS1_11comp_targetILNS1_3genE10ELNS1_11target_archE1201ELNS1_3gpuE5ELNS1_3repE0EEENS1_30default_config_static_selectorELNS0_4arch9wavefront6targetE1EEEvT1_,"axG",@progbits,_ZN7rocprim17ROCPRIM_400000_NS6detail17trampoline_kernelINS0_14default_configENS1_29reduce_by_key_config_selectorIjjN6thrust23THRUST_200600_302600_NS4plusIjEEEEZZNS1_33reduce_by_key_impl_wrapped_configILNS1_25lookback_scan_determinismE0ES3_S9_NS6_6detail15normal_iteratorINS6_10device_ptrIjEEEESG_SG_SG_PmS8_NS6_8equal_toIjEEEE10hipError_tPvRmT2_T3_mT4_T5_T6_T7_T8_P12ihipStream_tbENKUlT_T0_E_clISt17integral_constantIbLb1EES10_IbLb0EEEEDaSW_SX_EUlSW_E_NS1_11comp_targetILNS1_3genE10ELNS1_11target_archE1201ELNS1_3gpuE5ELNS1_3repE0EEENS1_30default_config_static_selectorELNS0_4arch9wavefront6targetE1EEEvT1_,comdat
	.protected	_ZN7rocprim17ROCPRIM_400000_NS6detail17trampoline_kernelINS0_14default_configENS1_29reduce_by_key_config_selectorIjjN6thrust23THRUST_200600_302600_NS4plusIjEEEEZZNS1_33reduce_by_key_impl_wrapped_configILNS1_25lookback_scan_determinismE0ES3_S9_NS6_6detail15normal_iteratorINS6_10device_ptrIjEEEESG_SG_SG_PmS8_NS6_8equal_toIjEEEE10hipError_tPvRmT2_T3_mT4_T5_T6_T7_T8_P12ihipStream_tbENKUlT_T0_E_clISt17integral_constantIbLb1EES10_IbLb0EEEEDaSW_SX_EUlSW_E_NS1_11comp_targetILNS1_3genE10ELNS1_11target_archE1201ELNS1_3gpuE5ELNS1_3repE0EEENS1_30default_config_static_selectorELNS0_4arch9wavefront6targetE1EEEvT1_ ; -- Begin function _ZN7rocprim17ROCPRIM_400000_NS6detail17trampoline_kernelINS0_14default_configENS1_29reduce_by_key_config_selectorIjjN6thrust23THRUST_200600_302600_NS4plusIjEEEEZZNS1_33reduce_by_key_impl_wrapped_configILNS1_25lookback_scan_determinismE0ES3_S9_NS6_6detail15normal_iteratorINS6_10device_ptrIjEEEESG_SG_SG_PmS8_NS6_8equal_toIjEEEE10hipError_tPvRmT2_T3_mT4_T5_T6_T7_T8_P12ihipStream_tbENKUlT_T0_E_clISt17integral_constantIbLb1EES10_IbLb0EEEEDaSW_SX_EUlSW_E_NS1_11comp_targetILNS1_3genE10ELNS1_11target_archE1201ELNS1_3gpuE5ELNS1_3repE0EEENS1_30default_config_static_selectorELNS0_4arch9wavefront6targetE1EEEvT1_
	.globl	_ZN7rocprim17ROCPRIM_400000_NS6detail17trampoline_kernelINS0_14default_configENS1_29reduce_by_key_config_selectorIjjN6thrust23THRUST_200600_302600_NS4plusIjEEEEZZNS1_33reduce_by_key_impl_wrapped_configILNS1_25lookback_scan_determinismE0ES3_S9_NS6_6detail15normal_iteratorINS6_10device_ptrIjEEEESG_SG_SG_PmS8_NS6_8equal_toIjEEEE10hipError_tPvRmT2_T3_mT4_T5_T6_T7_T8_P12ihipStream_tbENKUlT_T0_E_clISt17integral_constantIbLb1EES10_IbLb0EEEEDaSW_SX_EUlSW_E_NS1_11comp_targetILNS1_3genE10ELNS1_11target_archE1201ELNS1_3gpuE5ELNS1_3repE0EEENS1_30default_config_static_selectorELNS0_4arch9wavefront6targetE1EEEvT1_
	.p2align	8
	.type	_ZN7rocprim17ROCPRIM_400000_NS6detail17trampoline_kernelINS0_14default_configENS1_29reduce_by_key_config_selectorIjjN6thrust23THRUST_200600_302600_NS4plusIjEEEEZZNS1_33reduce_by_key_impl_wrapped_configILNS1_25lookback_scan_determinismE0ES3_S9_NS6_6detail15normal_iteratorINS6_10device_ptrIjEEEESG_SG_SG_PmS8_NS6_8equal_toIjEEEE10hipError_tPvRmT2_T3_mT4_T5_T6_T7_T8_P12ihipStream_tbENKUlT_T0_E_clISt17integral_constantIbLb1EES10_IbLb0EEEEDaSW_SX_EUlSW_E_NS1_11comp_targetILNS1_3genE10ELNS1_11target_archE1201ELNS1_3gpuE5ELNS1_3repE0EEENS1_30default_config_static_selectorELNS0_4arch9wavefront6targetE1EEEvT1_,@function
_ZN7rocprim17ROCPRIM_400000_NS6detail17trampoline_kernelINS0_14default_configENS1_29reduce_by_key_config_selectorIjjN6thrust23THRUST_200600_302600_NS4plusIjEEEEZZNS1_33reduce_by_key_impl_wrapped_configILNS1_25lookback_scan_determinismE0ES3_S9_NS6_6detail15normal_iteratorINS6_10device_ptrIjEEEESG_SG_SG_PmS8_NS6_8equal_toIjEEEE10hipError_tPvRmT2_T3_mT4_T5_T6_T7_T8_P12ihipStream_tbENKUlT_T0_E_clISt17integral_constantIbLb1EES10_IbLb0EEEEDaSW_SX_EUlSW_E_NS1_11comp_targetILNS1_3genE10ELNS1_11target_archE1201ELNS1_3gpuE5ELNS1_3repE0EEENS1_30default_config_static_selectorELNS0_4arch9wavefront6targetE1EEEvT1_: ; @_ZN7rocprim17ROCPRIM_400000_NS6detail17trampoline_kernelINS0_14default_configENS1_29reduce_by_key_config_selectorIjjN6thrust23THRUST_200600_302600_NS4plusIjEEEEZZNS1_33reduce_by_key_impl_wrapped_configILNS1_25lookback_scan_determinismE0ES3_S9_NS6_6detail15normal_iteratorINS6_10device_ptrIjEEEESG_SG_SG_PmS8_NS6_8equal_toIjEEEE10hipError_tPvRmT2_T3_mT4_T5_T6_T7_T8_P12ihipStream_tbENKUlT_T0_E_clISt17integral_constantIbLb1EES10_IbLb0EEEEDaSW_SX_EUlSW_E_NS1_11comp_targetILNS1_3genE10ELNS1_11target_archE1201ELNS1_3gpuE5ELNS1_3repE0EEENS1_30default_config_static_selectorELNS0_4arch9wavefront6targetE1EEEvT1_
; %bb.0:
	.section	.rodata,"a",@progbits
	.p2align	6, 0x0
	.amdhsa_kernel _ZN7rocprim17ROCPRIM_400000_NS6detail17trampoline_kernelINS0_14default_configENS1_29reduce_by_key_config_selectorIjjN6thrust23THRUST_200600_302600_NS4plusIjEEEEZZNS1_33reduce_by_key_impl_wrapped_configILNS1_25lookback_scan_determinismE0ES3_S9_NS6_6detail15normal_iteratorINS6_10device_ptrIjEEEESG_SG_SG_PmS8_NS6_8equal_toIjEEEE10hipError_tPvRmT2_T3_mT4_T5_T6_T7_T8_P12ihipStream_tbENKUlT_T0_E_clISt17integral_constantIbLb1EES10_IbLb0EEEEDaSW_SX_EUlSW_E_NS1_11comp_targetILNS1_3genE10ELNS1_11target_archE1201ELNS1_3gpuE5ELNS1_3repE0EEENS1_30default_config_static_selectorELNS0_4arch9wavefront6targetE1EEEvT1_
		.amdhsa_group_segment_fixed_size 0
		.amdhsa_private_segment_fixed_size 0
		.amdhsa_kernarg_size 120
		.amdhsa_user_sgpr_count 6
		.amdhsa_user_sgpr_private_segment_buffer 1
		.amdhsa_user_sgpr_dispatch_ptr 0
		.amdhsa_user_sgpr_queue_ptr 0
		.amdhsa_user_sgpr_kernarg_segment_ptr 1
		.amdhsa_user_sgpr_dispatch_id 0
		.amdhsa_user_sgpr_flat_scratch_init 0
		.amdhsa_user_sgpr_kernarg_preload_length 0
		.amdhsa_user_sgpr_kernarg_preload_offset 0
		.amdhsa_user_sgpr_private_segment_size 0
		.amdhsa_uses_dynamic_stack 0
		.amdhsa_system_sgpr_private_segment_wavefront_offset 0
		.amdhsa_system_sgpr_workgroup_id_x 1
		.amdhsa_system_sgpr_workgroup_id_y 0
		.amdhsa_system_sgpr_workgroup_id_z 0
		.amdhsa_system_sgpr_workgroup_info 0
		.amdhsa_system_vgpr_workitem_id 0
		.amdhsa_next_free_vgpr 1
		.amdhsa_next_free_sgpr 0
		.amdhsa_accum_offset 4
		.amdhsa_reserve_vcc 0
		.amdhsa_reserve_flat_scratch 0
		.amdhsa_float_round_mode_32 0
		.amdhsa_float_round_mode_16_64 0
		.amdhsa_float_denorm_mode_32 3
		.amdhsa_float_denorm_mode_16_64 3
		.amdhsa_dx10_clamp 1
		.amdhsa_ieee_mode 1
		.amdhsa_fp16_overflow 0
		.amdhsa_tg_split 0
		.amdhsa_exception_fp_ieee_invalid_op 0
		.amdhsa_exception_fp_denorm_src 0
		.amdhsa_exception_fp_ieee_div_zero 0
		.amdhsa_exception_fp_ieee_overflow 0
		.amdhsa_exception_fp_ieee_underflow 0
		.amdhsa_exception_fp_ieee_inexact 0
		.amdhsa_exception_int_div_zero 0
	.end_amdhsa_kernel
	.section	.text._ZN7rocprim17ROCPRIM_400000_NS6detail17trampoline_kernelINS0_14default_configENS1_29reduce_by_key_config_selectorIjjN6thrust23THRUST_200600_302600_NS4plusIjEEEEZZNS1_33reduce_by_key_impl_wrapped_configILNS1_25lookback_scan_determinismE0ES3_S9_NS6_6detail15normal_iteratorINS6_10device_ptrIjEEEESG_SG_SG_PmS8_NS6_8equal_toIjEEEE10hipError_tPvRmT2_T3_mT4_T5_T6_T7_T8_P12ihipStream_tbENKUlT_T0_E_clISt17integral_constantIbLb1EES10_IbLb0EEEEDaSW_SX_EUlSW_E_NS1_11comp_targetILNS1_3genE10ELNS1_11target_archE1201ELNS1_3gpuE5ELNS1_3repE0EEENS1_30default_config_static_selectorELNS0_4arch9wavefront6targetE1EEEvT1_,"axG",@progbits,_ZN7rocprim17ROCPRIM_400000_NS6detail17trampoline_kernelINS0_14default_configENS1_29reduce_by_key_config_selectorIjjN6thrust23THRUST_200600_302600_NS4plusIjEEEEZZNS1_33reduce_by_key_impl_wrapped_configILNS1_25lookback_scan_determinismE0ES3_S9_NS6_6detail15normal_iteratorINS6_10device_ptrIjEEEESG_SG_SG_PmS8_NS6_8equal_toIjEEEE10hipError_tPvRmT2_T3_mT4_T5_T6_T7_T8_P12ihipStream_tbENKUlT_T0_E_clISt17integral_constantIbLb1EES10_IbLb0EEEEDaSW_SX_EUlSW_E_NS1_11comp_targetILNS1_3genE10ELNS1_11target_archE1201ELNS1_3gpuE5ELNS1_3repE0EEENS1_30default_config_static_selectorELNS0_4arch9wavefront6targetE1EEEvT1_,comdat
.Lfunc_end340:
	.size	_ZN7rocprim17ROCPRIM_400000_NS6detail17trampoline_kernelINS0_14default_configENS1_29reduce_by_key_config_selectorIjjN6thrust23THRUST_200600_302600_NS4plusIjEEEEZZNS1_33reduce_by_key_impl_wrapped_configILNS1_25lookback_scan_determinismE0ES3_S9_NS6_6detail15normal_iteratorINS6_10device_ptrIjEEEESG_SG_SG_PmS8_NS6_8equal_toIjEEEE10hipError_tPvRmT2_T3_mT4_T5_T6_T7_T8_P12ihipStream_tbENKUlT_T0_E_clISt17integral_constantIbLb1EES10_IbLb0EEEEDaSW_SX_EUlSW_E_NS1_11comp_targetILNS1_3genE10ELNS1_11target_archE1201ELNS1_3gpuE5ELNS1_3repE0EEENS1_30default_config_static_selectorELNS0_4arch9wavefront6targetE1EEEvT1_, .Lfunc_end340-_ZN7rocprim17ROCPRIM_400000_NS6detail17trampoline_kernelINS0_14default_configENS1_29reduce_by_key_config_selectorIjjN6thrust23THRUST_200600_302600_NS4plusIjEEEEZZNS1_33reduce_by_key_impl_wrapped_configILNS1_25lookback_scan_determinismE0ES3_S9_NS6_6detail15normal_iteratorINS6_10device_ptrIjEEEESG_SG_SG_PmS8_NS6_8equal_toIjEEEE10hipError_tPvRmT2_T3_mT4_T5_T6_T7_T8_P12ihipStream_tbENKUlT_T0_E_clISt17integral_constantIbLb1EES10_IbLb0EEEEDaSW_SX_EUlSW_E_NS1_11comp_targetILNS1_3genE10ELNS1_11target_archE1201ELNS1_3gpuE5ELNS1_3repE0EEENS1_30default_config_static_selectorELNS0_4arch9wavefront6targetE1EEEvT1_
                                        ; -- End function
	.section	.AMDGPU.csdata,"",@progbits
; Kernel info:
; codeLenInByte = 0
; NumSgprs: 4
; NumVgprs: 0
; NumAgprs: 0
; TotalNumVgprs: 0
; ScratchSize: 0
; MemoryBound: 0
; FloatMode: 240
; IeeeMode: 1
; LDSByteSize: 0 bytes/workgroup (compile time only)
; SGPRBlocks: 0
; VGPRBlocks: 0
; NumSGPRsForWavesPerEU: 4
; NumVGPRsForWavesPerEU: 1
; AccumOffset: 4
; Occupancy: 8
; WaveLimiterHint : 0
; COMPUTE_PGM_RSRC2:SCRATCH_EN: 0
; COMPUTE_PGM_RSRC2:USER_SGPR: 6
; COMPUTE_PGM_RSRC2:TRAP_HANDLER: 0
; COMPUTE_PGM_RSRC2:TGID_X_EN: 1
; COMPUTE_PGM_RSRC2:TGID_Y_EN: 0
; COMPUTE_PGM_RSRC2:TGID_Z_EN: 0
; COMPUTE_PGM_RSRC2:TIDIG_COMP_CNT: 0
; COMPUTE_PGM_RSRC3_GFX90A:ACCUM_OFFSET: 0
; COMPUTE_PGM_RSRC3_GFX90A:TG_SPLIT: 0
	.section	.text._ZN7rocprim17ROCPRIM_400000_NS6detail17trampoline_kernelINS0_14default_configENS1_29reduce_by_key_config_selectorIjjN6thrust23THRUST_200600_302600_NS4plusIjEEEEZZNS1_33reduce_by_key_impl_wrapped_configILNS1_25lookback_scan_determinismE0ES3_S9_NS6_6detail15normal_iteratorINS6_10device_ptrIjEEEESG_SG_SG_PmS8_NS6_8equal_toIjEEEE10hipError_tPvRmT2_T3_mT4_T5_T6_T7_T8_P12ihipStream_tbENKUlT_T0_E_clISt17integral_constantIbLb1EES10_IbLb0EEEEDaSW_SX_EUlSW_E_NS1_11comp_targetILNS1_3genE10ELNS1_11target_archE1200ELNS1_3gpuE4ELNS1_3repE0EEENS1_30default_config_static_selectorELNS0_4arch9wavefront6targetE1EEEvT1_,"axG",@progbits,_ZN7rocprim17ROCPRIM_400000_NS6detail17trampoline_kernelINS0_14default_configENS1_29reduce_by_key_config_selectorIjjN6thrust23THRUST_200600_302600_NS4plusIjEEEEZZNS1_33reduce_by_key_impl_wrapped_configILNS1_25lookback_scan_determinismE0ES3_S9_NS6_6detail15normal_iteratorINS6_10device_ptrIjEEEESG_SG_SG_PmS8_NS6_8equal_toIjEEEE10hipError_tPvRmT2_T3_mT4_T5_T6_T7_T8_P12ihipStream_tbENKUlT_T0_E_clISt17integral_constantIbLb1EES10_IbLb0EEEEDaSW_SX_EUlSW_E_NS1_11comp_targetILNS1_3genE10ELNS1_11target_archE1200ELNS1_3gpuE4ELNS1_3repE0EEENS1_30default_config_static_selectorELNS0_4arch9wavefront6targetE1EEEvT1_,comdat
	.protected	_ZN7rocprim17ROCPRIM_400000_NS6detail17trampoline_kernelINS0_14default_configENS1_29reduce_by_key_config_selectorIjjN6thrust23THRUST_200600_302600_NS4plusIjEEEEZZNS1_33reduce_by_key_impl_wrapped_configILNS1_25lookback_scan_determinismE0ES3_S9_NS6_6detail15normal_iteratorINS6_10device_ptrIjEEEESG_SG_SG_PmS8_NS6_8equal_toIjEEEE10hipError_tPvRmT2_T3_mT4_T5_T6_T7_T8_P12ihipStream_tbENKUlT_T0_E_clISt17integral_constantIbLb1EES10_IbLb0EEEEDaSW_SX_EUlSW_E_NS1_11comp_targetILNS1_3genE10ELNS1_11target_archE1200ELNS1_3gpuE4ELNS1_3repE0EEENS1_30default_config_static_selectorELNS0_4arch9wavefront6targetE1EEEvT1_ ; -- Begin function _ZN7rocprim17ROCPRIM_400000_NS6detail17trampoline_kernelINS0_14default_configENS1_29reduce_by_key_config_selectorIjjN6thrust23THRUST_200600_302600_NS4plusIjEEEEZZNS1_33reduce_by_key_impl_wrapped_configILNS1_25lookback_scan_determinismE0ES3_S9_NS6_6detail15normal_iteratorINS6_10device_ptrIjEEEESG_SG_SG_PmS8_NS6_8equal_toIjEEEE10hipError_tPvRmT2_T3_mT4_T5_T6_T7_T8_P12ihipStream_tbENKUlT_T0_E_clISt17integral_constantIbLb1EES10_IbLb0EEEEDaSW_SX_EUlSW_E_NS1_11comp_targetILNS1_3genE10ELNS1_11target_archE1200ELNS1_3gpuE4ELNS1_3repE0EEENS1_30default_config_static_selectorELNS0_4arch9wavefront6targetE1EEEvT1_
	.globl	_ZN7rocprim17ROCPRIM_400000_NS6detail17trampoline_kernelINS0_14default_configENS1_29reduce_by_key_config_selectorIjjN6thrust23THRUST_200600_302600_NS4plusIjEEEEZZNS1_33reduce_by_key_impl_wrapped_configILNS1_25lookback_scan_determinismE0ES3_S9_NS6_6detail15normal_iteratorINS6_10device_ptrIjEEEESG_SG_SG_PmS8_NS6_8equal_toIjEEEE10hipError_tPvRmT2_T3_mT4_T5_T6_T7_T8_P12ihipStream_tbENKUlT_T0_E_clISt17integral_constantIbLb1EES10_IbLb0EEEEDaSW_SX_EUlSW_E_NS1_11comp_targetILNS1_3genE10ELNS1_11target_archE1200ELNS1_3gpuE4ELNS1_3repE0EEENS1_30default_config_static_selectorELNS0_4arch9wavefront6targetE1EEEvT1_
	.p2align	8
	.type	_ZN7rocprim17ROCPRIM_400000_NS6detail17trampoline_kernelINS0_14default_configENS1_29reduce_by_key_config_selectorIjjN6thrust23THRUST_200600_302600_NS4plusIjEEEEZZNS1_33reduce_by_key_impl_wrapped_configILNS1_25lookback_scan_determinismE0ES3_S9_NS6_6detail15normal_iteratorINS6_10device_ptrIjEEEESG_SG_SG_PmS8_NS6_8equal_toIjEEEE10hipError_tPvRmT2_T3_mT4_T5_T6_T7_T8_P12ihipStream_tbENKUlT_T0_E_clISt17integral_constantIbLb1EES10_IbLb0EEEEDaSW_SX_EUlSW_E_NS1_11comp_targetILNS1_3genE10ELNS1_11target_archE1200ELNS1_3gpuE4ELNS1_3repE0EEENS1_30default_config_static_selectorELNS0_4arch9wavefront6targetE1EEEvT1_,@function
_ZN7rocprim17ROCPRIM_400000_NS6detail17trampoline_kernelINS0_14default_configENS1_29reduce_by_key_config_selectorIjjN6thrust23THRUST_200600_302600_NS4plusIjEEEEZZNS1_33reduce_by_key_impl_wrapped_configILNS1_25lookback_scan_determinismE0ES3_S9_NS6_6detail15normal_iteratorINS6_10device_ptrIjEEEESG_SG_SG_PmS8_NS6_8equal_toIjEEEE10hipError_tPvRmT2_T3_mT4_T5_T6_T7_T8_P12ihipStream_tbENKUlT_T0_E_clISt17integral_constantIbLb1EES10_IbLb0EEEEDaSW_SX_EUlSW_E_NS1_11comp_targetILNS1_3genE10ELNS1_11target_archE1200ELNS1_3gpuE4ELNS1_3repE0EEENS1_30default_config_static_selectorELNS0_4arch9wavefront6targetE1EEEvT1_: ; @_ZN7rocprim17ROCPRIM_400000_NS6detail17trampoline_kernelINS0_14default_configENS1_29reduce_by_key_config_selectorIjjN6thrust23THRUST_200600_302600_NS4plusIjEEEEZZNS1_33reduce_by_key_impl_wrapped_configILNS1_25lookback_scan_determinismE0ES3_S9_NS6_6detail15normal_iteratorINS6_10device_ptrIjEEEESG_SG_SG_PmS8_NS6_8equal_toIjEEEE10hipError_tPvRmT2_T3_mT4_T5_T6_T7_T8_P12ihipStream_tbENKUlT_T0_E_clISt17integral_constantIbLb1EES10_IbLb0EEEEDaSW_SX_EUlSW_E_NS1_11comp_targetILNS1_3genE10ELNS1_11target_archE1200ELNS1_3gpuE4ELNS1_3repE0EEENS1_30default_config_static_selectorELNS0_4arch9wavefront6targetE1EEEvT1_
; %bb.0:
	.section	.rodata,"a",@progbits
	.p2align	6, 0x0
	.amdhsa_kernel _ZN7rocprim17ROCPRIM_400000_NS6detail17trampoline_kernelINS0_14default_configENS1_29reduce_by_key_config_selectorIjjN6thrust23THRUST_200600_302600_NS4plusIjEEEEZZNS1_33reduce_by_key_impl_wrapped_configILNS1_25lookback_scan_determinismE0ES3_S9_NS6_6detail15normal_iteratorINS6_10device_ptrIjEEEESG_SG_SG_PmS8_NS6_8equal_toIjEEEE10hipError_tPvRmT2_T3_mT4_T5_T6_T7_T8_P12ihipStream_tbENKUlT_T0_E_clISt17integral_constantIbLb1EES10_IbLb0EEEEDaSW_SX_EUlSW_E_NS1_11comp_targetILNS1_3genE10ELNS1_11target_archE1200ELNS1_3gpuE4ELNS1_3repE0EEENS1_30default_config_static_selectorELNS0_4arch9wavefront6targetE1EEEvT1_
		.amdhsa_group_segment_fixed_size 0
		.amdhsa_private_segment_fixed_size 0
		.amdhsa_kernarg_size 120
		.amdhsa_user_sgpr_count 6
		.amdhsa_user_sgpr_private_segment_buffer 1
		.amdhsa_user_sgpr_dispatch_ptr 0
		.amdhsa_user_sgpr_queue_ptr 0
		.amdhsa_user_sgpr_kernarg_segment_ptr 1
		.amdhsa_user_sgpr_dispatch_id 0
		.amdhsa_user_sgpr_flat_scratch_init 0
		.amdhsa_user_sgpr_kernarg_preload_length 0
		.amdhsa_user_sgpr_kernarg_preload_offset 0
		.amdhsa_user_sgpr_private_segment_size 0
		.amdhsa_uses_dynamic_stack 0
		.amdhsa_system_sgpr_private_segment_wavefront_offset 0
		.amdhsa_system_sgpr_workgroup_id_x 1
		.amdhsa_system_sgpr_workgroup_id_y 0
		.amdhsa_system_sgpr_workgroup_id_z 0
		.amdhsa_system_sgpr_workgroup_info 0
		.amdhsa_system_vgpr_workitem_id 0
		.amdhsa_next_free_vgpr 1
		.amdhsa_next_free_sgpr 0
		.amdhsa_accum_offset 4
		.amdhsa_reserve_vcc 0
		.amdhsa_reserve_flat_scratch 0
		.amdhsa_float_round_mode_32 0
		.amdhsa_float_round_mode_16_64 0
		.amdhsa_float_denorm_mode_32 3
		.amdhsa_float_denorm_mode_16_64 3
		.amdhsa_dx10_clamp 1
		.amdhsa_ieee_mode 1
		.amdhsa_fp16_overflow 0
		.amdhsa_tg_split 0
		.amdhsa_exception_fp_ieee_invalid_op 0
		.amdhsa_exception_fp_denorm_src 0
		.amdhsa_exception_fp_ieee_div_zero 0
		.amdhsa_exception_fp_ieee_overflow 0
		.amdhsa_exception_fp_ieee_underflow 0
		.amdhsa_exception_fp_ieee_inexact 0
		.amdhsa_exception_int_div_zero 0
	.end_amdhsa_kernel
	.section	.text._ZN7rocprim17ROCPRIM_400000_NS6detail17trampoline_kernelINS0_14default_configENS1_29reduce_by_key_config_selectorIjjN6thrust23THRUST_200600_302600_NS4plusIjEEEEZZNS1_33reduce_by_key_impl_wrapped_configILNS1_25lookback_scan_determinismE0ES3_S9_NS6_6detail15normal_iteratorINS6_10device_ptrIjEEEESG_SG_SG_PmS8_NS6_8equal_toIjEEEE10hipError_tPvRmT2_T3_mT4_T5_T6_T7_T8_P12ihipStream_tbENKUlT_T0_E_clISt17integral_constantIbLb1EES10_IbLb0EEEEDaSW_SX_EUlSW_E_NS1_11comp_targetILNS1_3genE10ELNS1_11target_archE1200ELNS1_3gpuE4ELNS1_3repE0EEENS1_30default_config_static_selectorELNS0_4arch9wavefront6targetE1EEEvT1_,"axG",@progbits,_ZN7rocprim17ROCPRIM_400000_NS6detail17trampoline_kernelINS0_14default_configENS1_29reduce_by_key_config_selectorIjjN6thrust23THRUST_200600_302600_NS4plusIjEEEEZZNS1_33reduce_by_key_impl_wrapped_configILNS1_25lookback_scan_determinismE0ES3_S9_NS6_6detail15normal_iteratorINS6_10device_ptrIjEEEESG_SG_SG_PmS8_NS6_8equal_toIjEEEE10hipError_tPvRmT2_T3_mT4_T5_T6_T7_T8_P12ihipStream_tbENKUlT_T0_E_clISt17integral_constantIbLb1EES10_IbLb0EEEEDaSW_SX_EUlSW_E_NS1_11comp_targetILNS1_3genE10ELNS1_11target_archE1200ELNS1_3gpuE4ELNS1_3repE0EEENS1_30default_config_static_selectorELNS0_4arch9wavefront6targetE1EEEvT1_,comdat
.Lfunc_end341:
	.size	_ZN7rocprim17ROCPRIM_400000_NS6detail17trampoline_kernelINS0_14default_configENS1_29reduce_by_key_config_selectorIjjN6thrust23THRUST_200600_302600_NS4plusIjEEEEZZNS1_33reduce_by_key_impl_wrapped_configILNS1_25lookback_scan_determinismE0ES3_S9_NS6_6detail15normal_iteratorINS6_10device_ptrIjEEEESG_SG_SG_PmS8_NS6_8equal_toIjEEEE10hipError_tPvRmT2_T3_mT4_T5_T6_T7_T8_P12ihipStream_tbENKUlT_T0_E_clISt17integral_constantIbLb1EES10_IbLb0EEEEDaSW_SX_EUlSW_E_NS1_11comp_targetILNS1_3genE10ELNS1_11target_archE1200ELNS1_3gpuE4ELNS1_3repE0EEENS1_30default_config_static_selectorELNS0_4arch9wavefront6targetE1EEEvT1_, .Lfunc_end341-_ZN7rocprim17ROCPRIM_400000_NS6detail17trampoline_kernelINS0_14default_configENS1_29reduce_by_key_config_selectorIjjN6thrust23THRUST_200600_302600_NS4plusIjEEEEZZNS1_33reduce_by_key_impl_wrapped_configILNS1_25lookback_scan_determinismE0ES3_S9_NS6_6detail15normal_iteratorINS6_10device_ptrIjEEEESG_SG_SG_PmS8_NS6_8equal_toIjEEEE10hipError_tPvRmT2_T3_mT4_T5_T6_T7_T8_P12ihipStream_tbENKUlT_T0_E_clISt17integral_constantIbLb1EES10_IbLb0EEEEDaSW_SX_EUlSW_E_NS1_11comp_targetILNS1_3genE10ELNS1_11target_archE1200ELNS1_3gpuE4ELNS1_3repE0EEENS1_30default_config_static_selectorELNS0_4arch9wavefront6targetE1EEEvT1_
                                        ; -- End function
	.section	.AMDGPU.csdata,"",@progbits
; Kernel info:
; codeLenInByte = 0
; NumSgprs: 4
; NumVgprs: 0
; NumAgprs: 0
; TotalNumVgprs: 0
; ScratchSize: 0
; MemoryBound: 0
; FloatMode: 240
; IeeeMode: 1
; LDSByteSize: 0 bytes/workgroup (compile time only)
; SGPRBlocks: 0
; VGPRBlocks: 0
; NumSGPRsForWavesPerEU: 4
; NumVGPRsForWavesPerEU: 1
; AccumOffset: 4
; Occupancy: 8
; WaveLimiterHint : 0
; COMPUTE_PGM_RSRC2:SCRATCH_EN: 0
; COMPUTE_PGM_RSRC2:USER_SGPR: 6
; COMPUTE_PGM_RSRC2:TRAP_HANDLER: 0
; COMPUTE_PGM_RSRC2:TGID_X_EN: 1
; COMPUTE_PGM_RSRC2:TGID_Y_EN: 0
; COMPUTE_PGM_RSRC2:TGID_Z_EN: 0
; COMPUTE_PGM_RSRC2:TIDIG_COMP_CNT: 0
; COMPUTE_PGM_RSRC3_GFX90A:ACCUM_OFFSET: 0
; COMPUTE_PGM_RSRC3_GFX90A:TG_SPLIT: 0
	.section	.text._ZN7rocprim17ROCPRIM_400000_NS6detail17trampoline_kernelINS0_14default_configENS1_29reduce_by_key_config_selectorIjjN6thrust23THRUST_200600_302600_NS4plusIjEEEEZZNS1_33reduce_by_key_impl_wrapped_configILNS1_25lookback_scan_determinismE0ES3_S9_NS6_6detail15normal_iteratorINS6_10device_ptrIjEEEESG_SG_SG_PmS8_NS6_8equal_toIjEEEE10hipError_tPvRmT2_T3_mT4_T5_T6_T7_T8_P12ihipStream_tbENKUlT_T0_E_clISt17integral_constantIbLb1EES10_IbLb0EEEEDaSW_SX_EUlSW_E_NS1_11comp_targetILNS1_3genE9ELNS1_11target_archE1100ELNS1_3gpuE3ELNS1_3repE0EEENS1_30default_config_static_selectorELNS0_4arch9wavefront6targetE1EEEvT1_,"axG",@progbits,_ZN7rocprim17ROCPRIM_400000_NS6detail17trampoline_kernelINS0_14default_configENS1_29reduce_by_key_config_selectorIjjN6thrust23THRUST_200600_302600_NS4plusIjEEEEZZNS1_33reduce_by_key_impl_wrapped_configILNS1_25lookback_scan_determinismE0ES3_S9_NS6_6detail15normal_iteratorINS6_10device_ptrIjEEEESG_SG_SG_PmS8_NS6_8equal_toIjEEEE10hipError_tPvRmT2_T3_mT4_T5_T6_T7_T8_P12ihipStream_tbENKUlT_T0_E_clISt17integral_constantIbLb1EES10_IbLb0EEEEDaSW_SX_EUlSW_E_NS1_11comp_targetILNS1_3genE9ELNS1_11target_archE1100ELNS1_3gpuE3ELNS1_3repE0EEENS1_30default_config_static_selectorELNS0_4arch9wavefront6targetE1EEEvT1_,comdat
	.protected	_ZN7rocprim17ROCPRIM_400000_NS6detail17trampoline_kernelINS0_14default_configENS1_29reduce_by_key_config_selectorIjjN6thrust23THRUST_200600_302600_NS4plusIjEEEEZZNS1_33reduce_by_key_impl_wrapped_configILNS1_25lookback_scan_determinismE0ES3_S9_NS6_6detail15normal_iteratorINS6_10device_ptrIjEEEESG_SG_SG_PmS8_NS6_8equal_toIjEEEE10hipError_tPvRmT2_T3_mT4_T5_T6_T7_T8_P12ihipStream_tbENKUlT_T0_E_clISt17integral_constantIbLb1EES10_IbLb0EEEEDaSW_SX_EUlSW_E_NS1_11comp_targetILNS1_3genE9ELNS1_11target_archE1100ELNS1_3gpuE3ELNS1_3repE0EEENS1_30default_config_static_selectorELNS0_4arch9wavefront6targetE1EEEvT1_ ; -- Begin function _ZN7rocprim17ROCPRIM_400000_NS6detail17trampoline_kernelINS0_14default_configENS1_29reduce_by_key_config_selectorIjjN6thrust23THRUST_200600_302600_NS4plusIjEEEEZZNS1_33reduce_by_key_impl_wrapped_configILNS1_25lookback_scan_determinismE0ES3_S9_NS6_6detail15normal_iteratorINS6_10device_ptrIjEEEESG_SG_SG_PmS8_NS6_8equal_toIjEEEE10hipError_tPvRmT2_T3_mT4_T5_T6_T7_T8_P12ihipStream_tbENKUlT_T0_E_clISt17integral_constantIbLb1EES10_IbLb0EEEEDaSW_SX_EUlSW_E_NS1_11comp_targetILNS1_3genE9ELNS1_11target_archE1100ELNS1_3gpuE3ELNS1_3repE0EEENS1_30default_config_static_selectorELNS0_4arch9wavefront6targetE1EEEvT1_
	.globl	_ZN7rocprim17ROCPRIM_400000_NS6detail17trampoline_kernelINS0_14default_configENS1_29reduce_by_key_config_selectorIjjN6thrust23THRUST_200600_302600_NS4plusIjEEEEZZNS1_33reduce_by_key_impl_wrapped_configILNS1_25lookback_scan_determinismE0ES3_S9_NS6_6detail15normal_iteratorINS6_10device_ptrIjEEEESG_SG_SG_PmS8_NS6_8equal_toIjEEEE10hipError_tPvRmT2_T3_mT4_T5_T6_T7_T8_P12ihipStream_tbENKUlT_T0_E_clISt17integral_constantIbLb1EES10_IbLb0EEEEDaSW_SX_EUlSW_E_NS1_11comp_targetILNS1_3genE9ELNS1_11target_archE1100ELNS1_3gpuE3ELNS1_3repE0EEENS1_30default_config_static_selectorELNS0_4arch9wavefront6targetE1EEEvT1_
	.p2align	8
	.type	_ZN7rocprim17ROCPRIM_400000_NS6detail17trampoline_kernelINS0_14default_configENS1_29reduce_by_key_config_selectorIjjN6thrust23THRUST_200600_302600_NS4plusIjEEEEZZNS1_33reduce_by_key_impl_wrapped_configILNS1_25lookback_scan_determinismE0ES3_S9_NS6_6detail15normal_iteratorINS6_10device_ptrIjEEEESG_SG_SG_PmS8_NS6_8equal_toIjEEEE10hipError_tPvRmT2_T3_mT4_T5_T6_T7_T8_P12ihipStream_tbENKUlT_T0_E_clISt17integral_constantIbLb1EES10_IbLb0EEEEDaSW_SX_EUlSW_E_NS1_11comp_targetILNS1_3genE9ELNS1_11target_archE1100ELNS1_3gpuE3ELNS1_3repE0EEENS1_30default_config_static_selectorELNS0_4arch9wavefront6targetE1EEEvT1_,@function
_ZN7rocprim17ROCPRIM_400000_NS6detail17trampoline_kernelINS0_14default_configENS1_29reduce_by_key_config_selectorIjjN6thrust23THRUST_200600_302600_NS4plusIjEEEEZZNS1_33reduce_by_key_impl_wrapped_configILNS1_25lookback_scan_determinismE0ES3_S9_NS6_6detail15normal_iteratorINS6_10device_ptrIjEEEESG_SG_SG_PmS8_NS6_8equal_toIjEEEE10hipError_tPvRmT2_T3_mT4_T5_T6_T7_T8_P12ihipStream_tbENKUlT_T0_E_clISt17integral_constantIbLb1EES10_IbLb0EEEEDaSW_SX_EUlSW_E_NS1_11comp_targetILNS1_3genE9ELNS1_11target_archE1100ELNS1_3gpuE3ELNS1_3repE0EEENS1_30default_config_static_selectorELNS0_4arch9wavefront6targetE1EEEvT1_: ; @_ZN7rocprim17ROCPRIM_400000_NS6detail17trampoline_kernelINS0_14default_configENS1_29reduce_by_key_config_selectorIjjN6thrust23THRUST_200600_302600_NS4plusIjEEEEZZNS1_33reduce_by_key_impl_wrapped_configILNS1_25lookback_scan_determinismE0ES3_S9_NS6_6detail15normal_iteratorINS6_10device_ptrIjEEEESG_SG_SG_PmS8_NS6_8equal_toIjEEEE10hipError_tPvRmT2_T3_mT4_T5_T6_T7_T8_P12ihipStream_tbENKUlT_T0_E_clISt17integral_constantIbLb1EES10_IbLb0EEEEDaSW_SX_EUlSW_E_NS1_11comp_targetILNS1_3genE9ELNS1_11target_archE1100ELNS1_3gpuE3ELNS1_3repE0EEENS1_30default_config_static_selectorELNS0_4arch9wavefront6targetE1EEEvT1_
; %bb.0:
	.section	.rodata,"a",@progbits
	.p2align	6, 0x0
	.amdhsa_kernel _ZN7rocprim17ROCPRIM_400000_NS6detail17trampoline_kernelINS0_14default_configENS1_29reduce_by_key_config_selectorIjjN6thrust23THRUST_200600_302600_NS4plusIjEEEEZZNS1_33reduce_by_key_impl_wrapped_configILNS1_25lookback_scan_determinismE0ES3_S9_NS6_6detail15normal_iteratorINS6_10device_ptrIjEEEESG_SG_SG_PmS8_NS6_8equal_toIjEEEE10hipError_tPvRmT2_T3_mT4_T5_T6_T7_T8_P12ihipStream_tbENKUlT_T0_E_clISt17integral_constantIbLb1EES10_IbLb0EEEEDaSW_SX_EUlSW_E_NS1_11comp_targetILNS1_3genE9ELNS1_11target_archE1100ELNS1_3gpuE3ELNS1_3repE0EEENS1_30default_config_static_selectorELNS0_4arch9wavefront6targetE1EEEvT1_
		.amdhsa_group_segment_fixed_size 0
		.amdhsa_private_segment_fixed_size 0
		.amdhsa_kernarg_size 120
		.amdhsa_user_sgpr_count 6
		.amdhsa_user_sgpr_private_segment_buffer 1
		.amdhsa_user_sgpr_dispatch_ptr 0
		.amdhsa_user_sgpr_queue_ptr 0
		.amdhsa_user_sgpr_kernarg_segment_ptr 1
		.amdhsa_user_sgpr_dispatch_id 0
		.amdhsa_user_sgpr_flat_scratch_init 0
		.amdhsa_user_sgpr_kernarg_preload_length 0
		.amdhsa_user_sgpr_kernarg_preload_offset 0
		.amdhsa_user_sgpr_private_segment_size 0
		.amdhsa_uses_dynamic_stack 0
		.amdhsa_system_sgpr_private_segment_wavefront_offset 0
		.amdhsa_system_sgpr_workgroup_id_x 1
		.amdhsa_system_sgpr_workgroup_id_y 0
		.amdhsa_system_sgpr_workgroup_id_z 0
		.amdhsa_system_sgpr_workgroup_info 0
		.amdhsa_system_vgpr_workitem_id 0
		.amdhsa_next_free_vgpr 1
		.amdhsa_next_free_sgpr 0
		.amdhsa_accum_offset 4
		.amdhsa_reserve_vcc 0
		.amdhsa_reserve_flat_scratch 0
		.amdhsa_float_round_mode_32 0
		.amdhsa_float_round_mode_16_64 0
		.amdhsa_float_denorm_mode_32 3
		.amdhsa_float_denorm_mode_16_64 3
		.amdhsa_dx10_clamp 1
		.amdhsa_ieee_mode 1
		.amdhsa_fp16_overflow 0
		.amdhsa_tg_split 0
		.amdhsa_exception_fp_ieee_invalid_op 0
		.amdhsa_exception_fp_denorm_src 0
		.amdhsa_exception_fp_ieee_div_zero 0
		.amdhsa_exception_fp_ieee_overflow 0
		.amdhsa_exception_fp_ieee_underflow 0
		.amdhsa_exception_fp_ieee_inexact 0
		.amdhsa_exception_int_div_zero 0
	.end_amdhsa_kernel
	.section	.text._ZN7rocprim17ROCPRIM_400000_NS6detail17trampoline_kernelINS0_14default_configENS1_29reduce_by_key_config_selectorIjjN6thrust23THRUST_200600_302600_NS4plusIjEEEEZZNS1_33reduce_by_key_impl_wrapped_configILNS1_25lookback_scan_determinismE0ES3_S9_NS6_6detail15normal_iteratorINS6_10device_ptrIjEEEESG_SG_SG_PmS8_NS6_8equal_toIjEEEE10hipError_tPvRmT2_T3_mT4_T5_T6_T7_T8_P12ihipStream_tbENKUlT_T0_E_clISt17integral_constantIbLb1EES10_IbLb0EEEEDaSW_SX_EUlSW_E_NS1_11comp_targetILNS1_3genE9ELNS1_11target_archE1100ELNS1_3gpuE3ELNS1_3repE0EEENS1_30default_config_static_selectorELNS0_4arch9wavefront6targetE1EEEvT1_,"axG",@progbits,_ZN7rocprim17ROCPRIM_400000_NS6detail17trampoline_kernelINS0_14default_configENS1_29reduce_by_key_config_selectorIjjN6thrust23THRUST_200600_302600_NS4plusIjEEEEZZNS1_33reduce_by_key_impl_wrapped_configILNS1_25lookback_scan_determinismE0ES3_S9_NS6_6detail15normal_iteratorINS6_10device_ptrIjEEEESG_SG_SG_PmS8_NS6_8equal_toIjEEEE10hipError_tPvRmT2_T3_mT4_T5_T6_T7_T8_P12ihipStream_tbENKUlT_T0_E_clISt17integral_constantIbLb1EES10_IbLb0EEEEDaSW_SX_EUlSW_E_NS1_11comp_targetILNS1_3genE9ELNS1_11target_archE1100ELNS1_3gpuE3ELNS1_3repE0EEENS1_30default_config_static_selectorELNS0_4arch9wavefront6targetE1EEEvT1_,comdat
.Lfunc_end342:
	.size	_ZN7rocprim17ROCPRIM_400000_NS6detail17trampoline_kernelINS0_14default_configENS1_29reduce_by_key_config_selectorIjjN6thrust23THRUST_200600_302600_NS4plusIjEEEEZZNS1_33reduce_by_key_impl_wrapped_configILNS1_25lookback_scan_determinismE0ES3_S9_NS6_6detail15normal_iteratorINS6_10device_ptrIjEEEESG_SG_SG_PmS8_NS6_8equal_toIjEEEE10hipError_tPvRmT2_T3_mT4_T5_T6_T7_T8_P12ihipStream_tbENKUlT_T0_E_clISt17integral_constantIbLb1EES10_IbLb0EEEEDaSW_SX_EUlSW_E_NS1_11comp_targetILNS1_3genE9ELNS1_11target_archE1100ELNS1_3gpuE3ELNS1_3repE0EEENS1_30default_config_static_selectorELNS0_4arch9wavefront6targetE1EEEvT1_, .Lfunc_end342-_ZN7rocprim17ROCPRIM_400000_NS6detail17trampoline_kernelINS0_14default_configENS1_29reduce_by_key_config_selectorIjjN6thrust23THRUST_200600_302600_NS4plusIjEEEEZZNS1_33reduce_by_key_impl_wrapped_configILNS1_25lookback_scan_determinismE0ES3_S9_NS6_6detail15normal_iteratorINS6_10device_ptrIjEEEESG_SG_SG_PmS8_NS6_8equal_toIjEEEE10hipError_tPvRmT2_T3_mT4_T5_T6_T7_T8_P12ihipStream_tbENKUlT_T0_E_clISt17integral_constantIbLb1EES10_IbLb0EEEEDaSW_SX_EUlSW_E_NS1_11comp_targetILNS1_3genE9ELNS1_11target_archE1100ELNS1_3gpuE3ELNS1_3repE0EEENS1_30default_config_static_selectorELNS0_4arch9wavefront6targetE1EEEvT1_
                                        ; -- End function
	.section	.AMDGPU.csdata,"",@progbits
; Kernel info:
; codeLenInByte = 0
; NumSgprs: 4
; NumVgprs: 0
; NumAgprs: 0
; TotalNumVgprs: 0
; ScratchSize: 0
; MemoryBound: 0
; FloatMode: 240
; IeeeMode: 1
; LDSByteSize: 0 bytes/workgroup (compile time only)
; SGPRBlocks: 0
; VGPRBlocks: 0
; NumSGPRsForWavesPerEU: 4
; NumVGPRsForWavesPerEU: 1
; AccumOffset: 4
; Occupancy: 8
; WaveLimiterHint : 0
; COMPUTE_PGM_RSRC2:SCRATCH_EN: 0
; COMPUTE_PGM_RSRC2:USER_SGPR: 6
; COMPUTE_PGM_RSRC2:TRAP_HANDLER: 0
; COMPUTE_PGM_RSRC2:TGID_X_EN: 1
; COMPUTE_PGM_RSRC2:TGID_Y_EN: 0
; COMPUTE_PGM_RSRC2:TGID_Z_EN: 0
; COMPUTE_PGM_RSRC2:TIDIG_COMP_CNT: 0
; COMPUTE_PGM_RSRC3_GFX90A:ACCUM_OFFSET: 0
; COMPUTE_PGM_RSRC3_GFX90A:TG_SPLIT: 0
	.section	.text._ZN7rocprim17ROCPRIM_400000_NS6detail17trampoline_kernelINS0_14default_configENS1_29reduce_by_key_config_selectorIjjN6thrust23THRUST_200600_302600_NS4plusIjEEEEZZNS1_33reduce_by_key_impl_wrapped_configILNS1_25lookback_scan_determinismE0ES3_S9_NS6_6detail15normal_iteratorINS6_10device_ptrIjEEEESG_SG_SG_PmS8_NS6_8equal_toIjEEEE10hipError_tPvRmT2_T3_mT4_T5_T6_T7_T8_P12ihipStream_tbENKUlT_T0_E_clISt17integral_constantIbLb1EES10_IbLb0EEEEDaSW_SX_EUlSW_E_NS1_11comp_targetILNS1_3genE8ELNS1_11target_archE1030ELNS1_3gpuE2ELNS1_3repE0EEENS1_30default_config_static_selectorELNS0_4arch9wavefront6targetE1EEEvT1_,"axG",@progbits,_ZN7rocprim17ROCPRIM_400000_NS6detail17trampoline_kernelINS0_14default_configENS1_29reduce_by_key_config_selectorIjjN6thrust23THRUST_200600_302600_NS4plusIjEEEEZZNS1_33reduce_by_key_impl_wrapped_configILNS1_25lookback_scan_determinismE0ES3_S9_NS6_6detail15normal_iteratorINS6_10device_ptrIjEEEESG_SG_SG_PmS8_NS6_8equal_toIjEEEE10hipError_tPvRmT2_T3_mT4_T5_T6_T7_T8_P12ihipStream_tbENKUlT_T0_E_clISt17integral_constantIbLb1EES10_IbLb0EEEEDaSW_SX_EUlSW_E_NS1_11comp_targetILNS1_3genE8ELNS1_11target_archE1030ELNS1_3gpuE2ELNS1_3repE0EEENS1_30default_config_static_selectorELNS0_4arch9wavefront6targetE1EEEvT1_,comdat
	.protected	_ZN7rocprim17ROCPRIM_400000_NS6detail17trampoline_kernelINS0_14default_configENS1_29reduce_by_key_config_selectorIjjN6thrust23THRUST_200600_302600_NS4plusIjEEEEZZNS1_33reduce_by_key_impl_wrapped_configILNS1_25lookback_scan_determinismE0ES3_S9_NS6_6detail15normal_iteratorINS6_10device_ptrIjEEEESG_SG_SG_PmS8_NS6_8equal_toIjEEEE10hipError_tPvRmT2_T3_mT4_T5_T6_T7_T8_P12ihipStream_tbENKUlT_T0_E_clISt17integral_constantIbLb1EES10_IbLb0EEEEDaSW_SX_EUlSW_E_NS1_11comp_targetILNS1_3genE8ELNS1_11target_archE1030ELNS1_3gpuE2ELNS1_3repE0EEENS1_30default_config_static_selectorELNS0_4arch9wavefront6targetE1EEEvT1_ ; -- Begin function _ZN7rocprim17ROCPRIM_400000_NS6detail17trampoline_kernelINS0_14default_configENS1_29reduce_by_key_config_selectorIjjN6thrust23THRUST_200600_302600_NS4plusIjEEEEZZNS1_33reduce_by_key_impl_wrapped_configILNS1_25lookback_scan_determinismE0ES3_S9_NS6_6detail15normal_iteratorINS6_10device_ptrIjEEEESG_SG_SG_PmS8_NS6_8equal_toIjEEEE10hipError_tPvRmT2_T3_mT4_T5_T6_T7_T8_P12ihipStream_tbENKUlT_T0_E_clISt17integral_constantIbLb1EES10_IbLb0EEEEDaSW_SX_EUlSW_E_NS1_11comp_targetILNS1_3genE8ELNS1_11target_archE1030ELNS1_3gpuE2ELNS1_3repE0EEENS1_30default_config_static_selectorELNS0_4arch9wavefront6targetE1EEEvT1_
	.globl	_ZN7rocprim17ROCPRIM_400000_NS6detail17trampoline_kernelINS0_14default_configENS1_29reduce_by_key_config_selectorIjjN6thrust23THRUST_200600_302600_NS4plusIjEEEEZZNS1_33reduce_by_key_impl_wrapped_configILNS1_25lookback_scan_determinismE0ES3_S9_NS6_6detail15normal_iteratorINS6_10device_ptrIjEEEESG_SG_SG_PmS8_NS6_8equal_toIjEEEE10hipError_tPvRmT2_T3_mT4_T5_T6_T7_T8_P12ihipStream_tbENKUlT_T0_E_clISt17integral_constantIbLb1EES10_IbLb0EEEEDaSW_SX_EUlSW_E_NS1_11comp_targetILNS1_3genE8ELNS1_11target_archE1030ELNS1_3gpuE2ELNS1_3repE0EEENS1_30default_config_static_selectorELNS0_4arch9wavefront6targetE1EEEvT1_
	.p2align	8
	.type	_ZN7rocprim17ROCPRIM_400000_NS6detail17trampoline_kernelINS0_14default_configENS1_29reduce_by_key_config_selectorIjjN6thrust23THRUST_200600_302600_NS4plusIjEEEEZZNS1_33reduce_by_key_impl_wrapped_configILNS1_25lookback_scan_determinismE0ES3_S9_NS6_6detail15normal_iteratorINS6_10device_ptrIjEEEESG_SG_SG_PmS8_NS6_8equal_toIjEEEE10hipError_tPvRmT2_T3_mT4_T5_T6_T7_T8_P12ihipStream_tbENKUlT_T0_E_clISt17integral_constantIbLb1EES10_IbLb0EEEEDaSW_SX_EUlSW_E_NS1_11comp_targetILNS1_3genE8ELNS1_11target_archE1030ELNS1_3gpuE2ELNS1_3repE0EEENS1_30default_config_static_selectorELNS0_4arch9wavefront6targetE1EEEvT1_,@function
_ZN7rocprim17ROCPRIM_400000_NS6detail17trampoline_kernelINS0_14default_configENS1_29reduce_by_key_config_selectorIjjN6thrust23THRUST_200600_302600_NS4plusIjEEEEZZNS1_33reduce_by_key_impl_wrapped_configILNS1_25lookback_scan_determinismE0ES3_S9_NS6_6detail15normal_iteratorINS6_10device_ptrIjEEEESG_SG_SG_PmS8_NS6_8equal_toIjEEEE10hipError_tPvRmT2_T3_mT4_T5_T6_T7_T8_P12ihipStream_tbENKUlT_T0_E_clISt17integral_constantIbLb1EES10_IbLb0EEEEDaSW_SX_EUlSW_E_NS1_11comp_targetILNS1_3genE8ELNS1_11target_archE1030ELNS1_3gpuE2ELNS1_3repE0EEENS1_30default_config_static_selectorELNS0_4arch9wavefront6targetE1EEEvT1_: ; @_ZN7rocprim17ROCPRIM_400000_NS6detail17trampoline_kernelINS0_14default_configENS1_29reduce_by_key_config_selectorIjjN6thrust23THRUST_200600_302600_NS4plusIjEEEEZZNS1_33reduce_by_key_impl_wrapped_configILNS1_25lookback_scan_determinismE0ES3_S9_NS6_6detail15normal_iteratorINS6_10device_ptrIjEEEESG_SG_SG_PmS8_NS6_8equal_toIjEEEE10hipError_tPvRmT2_T3_mT4_T5_T6_T7_T8_P12ihipStream_tbENKUlT_T0_E_clISt17integral_constantIbLb1EES10_IbLb0EEEEDaSW_SX_EUlSW_E_NS1_11comp_targetILNS1_3genE8ELNS1_11target_archE1030ELNS1_3gpuE2ELNS1_3repE0EEENS1_30default_config_static_selectorELNS0_4arch9wavefront6targetE1EEEvT1_
; %bb.0:
	.section	.rodata,"a",@progbits
	.p2align	6, 0x0
	.amdhsa_kernel _ZN7rocprim17ROCPRIM_400000_NS6detail17trampoline_kernelINS0_14default_configENS1_29reduce_by_key_config_selectorIjjN6thrust23THRUST_200600_302600_NS4plusIjEEEEZZNS1_33reduce_by_key_impl_wrapped_configILNS1_25lookback_scan_determinismE0ES3_S9_NS6_6detail15normal_iteratorINS6_10device_ptrIjEEEESG_SG_SG_PmS8_NS6_8equal_toIjEEEE10hipError_tPvRmT2_T3_mT4_T5_T6_T7_T8_P12ihipStream_tbENKUlT_T0_E_clISt17integral_constantIbLb1EES10_IbLb0EEEEDaSW_SX_EUlSW_E_NS1_11comp_targetILNS1_3genE8ELNS1_11target_archE1030ELNS1_3gpuE2ELNS1_3repE0EEENS1_30default_config_static_selectorELNS0_4arch9wavefront6targetE1EEEvT1_
		.amdhsa_group_segment_fixed_size 0
		.amdhsa_private_segment_fixed_size 0
		.amdhsa_kernarg_size 120
		.amdhsa_user_sgpr_count 6
		.amdhsa_user_sgpr_private_segment_buffer 1
		.amdhsa_user_sgpr_dispatch_ptr 0
		.amdhsa_user_sgpr_queue_ptr 0
		.amdhsa_user_sgpr_kernarg_segment_ptr 1
		.amdhsa_user_sgpr_dispatch_id 0
		.amdhsa_user_sgpr_flat_scratch_init 0
		.amdhsa_user_sgpr_kernarg_preload_length 0
		.amdhsa_user_sgpr_kernarg_preload_offset 0
		.amdhsa_user_sgpr_private_segment_size 0
		.amdhsa_uses_dynamic_stack 0
		.amdhsa_system_sgpr_private_segment_wavefront_offset 0
		.amdhsa_system_sgpr_workgroup_id_x 1
		.amdhsa_system_sgpr_workgroup_id_y 0
		.amdhsa_system_sgpr_workgroup_id_z 0
		.amdhsa_system_sgpr_workgroup_info 0
		.amdhsa_system_vgpr_workitem_id 0
		.amdhsa_next_free_vgpr 1
		.amdhsa_next_free_sgpr 0
		.amdhsa_accum_offset 4
		.amdhsa_reserve_vcc 0
		.amdhsa_reserve_flat_scratch 0
		.amdhsa_float_round_mode_32 0
		.amdhsa_float_round_mode_16_64 0
		.amdhsa_float_denorm_mode_32 3
		.amdhsa_float_denorm_mode_16_64 3
		.amdhsa_dx10_clamp 1
		.amdhsa_ieee_mode 1
		.amdhsa_fp16_overflow 0
		.amdhsa_tg_split 0
		.amdhsa_exception_fp_ieee_invalid_op 0
		.amdhsa_exception_fp_denorm_src 0
		.amdhsa_exception_fp_ieee_div_zero 0
		.amdhsa_exception_fp_ieee_overflow 0
		.amdhsa_exception_fp_ieee_underflow 0
		.amdhsa_exception_fp_ieee_inexact 0
		.amdhsa_exception_int_div_zero 0
	.end_amdhsa_kernel
	.section	.text._ZN7rocprim17ROCPRIM_400000_NS6detail17trampoline_kernelINS0_14default_configENS1_29reduce_by_key_config_selectorIjjN6thrust23THRUST_200600_302600_NS4plusIjEEEEZZNS1_33reduce_by_key_impl_wrapped_configILNS1_25lookback_scan_determinismE0ES3_S9_NS6_6detail15normal_iteratorINS6_10device_ptrIjEEEESG_SG_SG_PmS8_NS6_8equal_toIjEEEE10hipError_tPvRmT2_T3_mT4_T5_T6_T7_T8_P12ihipStream_tbENKUlT_T0_E_clISt17integral_constantIbLb1EES10_IbLb0EEEEDaSW_SX_EUlSW_E_NS1_11comp_targetILNS1_3genE8ELNS1_11target_archE1030ELNS1_3gpuE2ELNS1_3repE0EEENS1_30default_config_static_selectorELNS0_4arch9wavefront6targetE1EEEvT1_,"axG",@progbits,_ZN7rocprim17ROCPRIM_400000_NS6detail17trampoline_kernelINS0_14default_configENS1_29reduce_by_key_config_selectorIjjN6thrust23THRUST_200600_302600_NS4plusIjEEEEZZNS1_33reduce_by_key_impl_wrapped_configILNS1_25lookback_scan_determinismE0ES3_S9_NS6_6detail15normal_iteratorINS6_10device_ptrIjEEEESG_SG_SG_PmS8_NS6_8equal_toIjEEEE10hipError_tPvRmT2_T3_mT4_T5_T6_T7_T8_P12ihipStream_tbENKUlT_T0_E_clISt17integral_constantIbLb1EES10_IbLb0EEEEDaSW_SX_EUlSW_E_NS1_11comp_targetILNS1_3genE8ELNS1_11target_archE1030ELNS1_3gpuE2ELNS1_3repE0EEENS1_30default_config_static_selectorELNS0_4arch9wavefront6targetE1EEEvT1_,comdat
.Lfunc_end343:
	.size	_ZN7rocprim17ROCPRIM_400000_NS6detail17trampoline_kernelINS0_14default_configENS1_29reduce_by_key_config_selectorIjjN6thrust23THRUST_200600_302600_NS4plusIjEEEEZZNS1_33reduce_by_key_impl_wrapped_configILNS1_25lookback_scan_determinismE0ES3_S9_NS6_6detail15normal_iteratorINS6_10device_ptrIjEEEESG_SG_SG_PmS8_NS6_8equal_toIjEEEE10hipError_tPvRmT2_T3_mT4_T5_T6_T7_T8_P12ihipStream_tbENKUlT_T0_E_clISt17integral_constantIbLb1EES10_IbLb0EEEEDaSW_SX_EUlSW_E_NS1_11comp_targetILNS1_3genE8ELNS1_11target_archE1030ELNS1_3gpuE2ELNS1_3repE0EEENS1_30default_config_static_selectorELNS0_4arch9wavefront6targetE1EEEvT1_, .Lfunc_end343-_ZN7rocprim17ROCPRIM_400000_NS6detail17trampoline_kernelINS0_14default_configENS1_29reduce_by_key_config_selectorIjjN6thrust23THRUST_200600_302600_NS4plusIjEEEEZZNS1_33reduce_by_key_impl_wrapped_configILNS1_25lookback_scan_determinismE0ES3_S9_NS6_6detail15normal_iteratorINS6_10device_ptrIjEEEESG_SG_SG_PmS8_NS6_8equal_toIjEEEE10hipError_tPvRmT2_T3_mT4_T5_T6_T7_T8_P12ihipStream_tbENKUlT_T0_E_clISt17integral_constantIbLb1EES10_IbLb0EEEEDaSW_SX_EUlSW_E_NS1_11comp_targetILNS1_3genE8ELNS1_11target_archE1030ELNS1_3gpuE2ELNS1_3repE0EEENS1_30default_config_static_selectorELNS0_4arch9wavefront6targetE1EEEvT1_
                                        ; -- End function
	.section	.AMDGPU.csdata,"",@progbits
; Kernel info:
; codeLenInByte = 0
; NumSgprs: 4
; NumVgprs: 0
; NumAgprs: 0
; TotalNumVgprs: 0
; ScratchSize: 0
; MemoryBound: 0
; FloatMode: 240
; IeeeMode: 1
; LDSByteSize: 0 bytes/workgroup (compile time only)
; SGPRBlocks: 0
; VGPRBlocks: 0
; NumSGPRsForWavesPerEU: 4
; NumVGPRsForWavesPerEU: 1
; AccumOffset: 4
; Occupancy: 8
; WaveLimiterHint : 0
; COMPUTE_PGM_RSRC2:SCRATCH_EN: 0
; COMPUTE_PGM_RSRC2:USER_SGPR: 6
; COMPUTE_PGM_RSRC2:TRAP_HANDLER: 0
; COMPUTE_PGM_RSRC2:TGID_X_EN: 1
; COMPUTE_PGM_RSRC2:TGID_Y_EN: 0
; COMPUTE_PGM_RSRC2:TGID_Z_EN: 0
; COMPUTE_PGM_RSRC2:TIDIG_COMP_CNT: 0
; COMPUTE_PGM_RSRC3_GFX90A:ACCUM_OFFSET: 0
; COMPUTE_PGM_RSRC3_GFX90A:TG_SPLIT: 0
	.section	.text._ZN7rocprim17ROCPRIM_400000_NS6detail25reduce_by_key_init_kernelINS1_19lookback_scan_stateINS0_5tupleIJjjEEELb0ELb1EEEjNS1_16block_id_wrapperIjLb1EEEEEvT_jbjPmPT0_T1_,"axG",@progbits,_ZN7rocprim17ROCPRIM_400000_NS6detail25reduce_by_key_init_kernelINS1_19lookback_scan_stateINS0_5tupleIJjjEEELb0ELb1EEEjNS1_16block_id_wrapperIjLb1EEEEEvT_jbjPmPT0_T1_,comdat
	.protected	_ZN7rocprim17ROCPRIM_400000_NS6detail25reduce_by_key_init_kernelINS1_19lookback_scan_stateINS0_5tupleIJjjEEELb0ELb1EEEjNS1_16block_id_wrapperIjLb1EEEEEvT_jbjPmPT0_T1_ ; -- Begin function _ZN7rocprim17ROCPRIM_400000_NS6detail25reduce_by_key_init_kernelINS1_19lookback_scan_stateINS0_5tupleIJjjEEELb0ELb1EEEjNS1_16block_id_wrapperIjLb1EEEEEvT_jbjPmPT0_T1_
	.globl	_ZN7rocprim17ROCPRIM_400000_NS6detail25reduce_by_key_init_kernelINS1_19lookback_scan_stateINS0_5tupleIJjjEEELb0ELb1EEEjNS1_16block_id_wrapperIjLb1EEEEEvT_jbjPmPT0_T1_
	.p2align	8
	.type	_ZN7rocprim17ROCPRIM_400000_NS6detail25reduce_by_key_init_kernelINS1_19lookback_scan_stateINS0_5tupleIJjjEEELb0ELb1EEEjNS1_16block_id_wrapperIjLb1EEEEEvT_jbjPmPT0_T1_,@function
_ZN7rocprim17ROCPRIM_400000_NS6detail25reduce_by_key_init_kernelINS1_19lookback_scan_stateINS0_5tupleIJjjEEELb0ELb1EEEjNS1_16block_id_wrapperIjLb1EEEEEvT_jbjPmPT0_T1_: ; @_ZN7rocprim17ROCPRIM_400000_NS6detail25reduce_by_key_init_kernelINS1_19lookback_scan_stateINS0_5tupleIJjjEEELb0ELb1EEEjNS1_16block_id_wrapperIjLb1EEEEEvT_jbjPmPT0_T1_
; %bb.0:
	s_load_dwordx8 s[8:15], s[4:5], 0x8
	s_load_dword s0, s[4:5], 0x3c
	s_load_dwordx2 s[16:17], s[4:5], 0x28
	s_load_dwordx2 s[2:3], s[4:5], 0x0
	s_waitcnt lgkmcnt(0)
	s_and_b32 s1, s9, 1
	s_and_b32 s0, s0, 0xffff
	s_mul_i32 s6, s6, s0
	s_cmp_eq_u32 s1, 0
	v_add_u32_e32 v0, s6, v0
	s_mov_b64 s[0:1], -1
	s_cbranch_scc1 .LBB344_6
; %bb.1:
	s_andn2_b64 vcc, exec, s[0:1]
	v_cmp_eq_u32_e64 s[0:1], 0, v0
	s_cbranch_vccz .LBB344_13
.LBB344_2:
	v_cmp_eq_u32_e32 vcc, 0, v0
	s_and_saveexec_b64 s[0:1], vcc
	s_cbranch_execnz .LBB344_16
.LBB344_3:
	s_or_b64 exec, exec, s[0:1]
	v_cmp_gt_u32_e32 vcc, s8, v0
	s_and_saveexec_b64 s[0:1], vcc
	s_cbranch_execnz .LBB344_17
.LBB344_4:
	s_or_b64 exec, exec, s[0:1]
	v_cmp_gt_u32_e32 vcc, 64, v0
	s_and_saveexec_b64 s[0:1], vcc
	s_cbranch_execnz .LBB344_18
.LBB344_5:
	s_endpgm
.LBB344_6:
	s_cmp_lt_u32 s10, s8
	s_cselect_b32 s0, s10, 0
	v_cmp_eq_u32_e32 vcc, s0, v0
	s_and_saveexec_b64 s[0:1], vcc
	s_cbranch_execz .LBB344_12
; %bb.7:
	s_add_i32 s4, s10, 64
	s_mov_b32 s5, 0
	s_lshl_b64 s[4:5], s[4:5], 4
	s_add_u32 s10, s2, s4
	s_addc_u32 s11, s3, s5
	v_pk_mov_b32 v[2:3], s[10:11], s[10:11] op_sel:[0,1]
	;;#ASMSTART
	global_load_dwordx4 v[2:5], v[2:3] off glc	
s_waitcnt vmcnt(0)
	;;#ASMEND
	v_mov_b32_e32 v7, 0
	v_and_b32_e32 v6, 0xff, v4
	s_mov_b64 s[6:7], 0
	v_cmp_eq_u64_e32 vcc, 0, v[6:7]
	s_and_saveexec_b64 s[4:5], vcc
	s_cbranch_execz .LBB344_11
; %bb.8:
	v_pk_mov_b32 v[8:9], s[10:11], s[10:11] op_sel:[0,1]
.LBB344_9:                              ; =>This Inner Loop Header: Depth=1
	;;#ASMSTART
	global_load_dwordx4 v[2:5], v[8:9] off glc	
s_waitcnt vmcnt(0)
	;;#ASMEND
	v_and_b32_e32 v6, 0xff, v4
	v_cmp_ne_u64_e32 vcc, 0, v[6:7]
	s_or_b64 s[6:7], vcc, s[6:7]
	s_andn2_b64 exec, exec, s[6:7]
	s_cbranch_execnz .LBB344_9
; %bb.10:
	s_or_b64 exec, exec, s[6:7]
.LBB344_11:
	s_or_b64 exec, exec, s[4:5]
	v_mov_b32_e32 v1, 0
	global_load_dwordx2 v[4:5], v1, s[12:13]
	s_waitcnt vmcnt(0)
	v_add_co_u32_e32 v4, vcc, v4, v2
	v_addc_co_u32_e32 v5, vcc, 0, v5, vcc
	global_store_dwordx2 v1, v[4:5], s[12:13]
	global_store_dword v1, v3, s[14:15]
.LBB344_12:
	s_or_b64 exec, exec, s[0:1]
	v_cmp_eq_u32_e64 s[0:1], 0, v0
	s_cbranch_execnz .LBB344_2
.LBB344_13:
	s_cmp_lg_u64 s[12:13], 0
	s_cselect_b64 s[4:5], -1, 0
	s_and_b64 s[4:5], s[4:5], s[0:1]
	s_and_saveexec_b64 s[0:1], s[4:5]
	s_cbranch_execz .LBB344_15
; %bb.14:
	v_mov_b32_e32 v2, 0
	v_mov_b32_e32 v3, v2
	global_store_dwordx2 v2, v[2:3], s[12:13]
.LBB344_15:
	s_or_b64 exec, exec, s[0:1]
	v_cmp_eq_u32_e32 vcc, 0, v0
	s_and_saveexec_b64 s[0:1], vcc
	s_cbranch_execz .LBB344_3
.LBB344_16:
	v_mov_b32_e32 v1, 0
	global_store_dword v1, v1, s[16:17]
	s_or_b64 exec, exec, s[0:1]
	v_cmp_gt_u32_e32 vcc, s8, v0
	s_and_saveexec_b64 s[0:1], vcc
	s_cbranch_execz .LBB344_4
.LBB344_17:
	v_add_u32_e32 v2, 64, v0
	v_mov_b32_e32 v3, 0
	v_lshlrev_b64 v[4:5], 4, v[2:3]
	v_mov_b32_e32 v1, s3
	v_add_co_u32_e32 v6, vcc, s2, v4
	v_addc_co_u32_e32 v7, vcc, v1, v5, vcc
	v_mov_b32_e32 v2, v3
	v_mov_b32_e32 v4, v3
	;; [unrolled: 1-line block ×3, first 2 shown]
	global_store_dwordx4 v[6:7], v[2:5], off
	s_or_b64 exec, exec, s[0:1]
	v_cmp_gt_u32_e32 vcc, 64, v0
	s_and_saveexec_b64 s[0:1], vcc
	s_cbranch_execz .LBB344_5
.LBB344_18:
	v_mov_b32_e32 v1, 0
	v_lshlrev_b64 v[2:3], 4, v[0:1]
	v_mov_b32_e32 v0, s3
	v_add_co_u32_e32 v4, vcc, s2, v2
	v_addc_co_u32_e32 v5, vcc, v0, v3, vcc
	v_mov_b32_e32 v2, 0xff
	v_mov_b32_e32 v0, v1
	;; [unrolled: 1-line block ×3, first 2 shown]
	global_store_dwordx4 v[4:5], v[0:3], off
	s_endpgm
	.section	.rodata,"a",@progbits
	.p2align	6, 0x0
	.amdhsa_kernel _ZN7rocprim17ROCPRIM_400000_NS6detail25reduce_by_key_init_kernelINS1_19lookback_scan_stateINS0_5tupleIJjjEEELb0ELb1EEEjNS1_16block_id_wrapperIjLb1EEEEEvT_jbjPmPT0_T1_
		.amdhsa_group_segment_fixed_size 0
		.amdhsa_private_segment_fixed_size 0
		.amdhsa_kernarg_size 304
		.amdhsa_user_sgpr_count 6
		.amdhsa_user_sgpr_private_segment_buffer 1
		.amdhsa_user_sgpr_dispatch_ptr 0
		.amdhsa_user_sgpr_queue_ptr 0
		.amdhsa_user_sgpr_kernarg_segment_ptr 1
		.amdhsa_user_sgpr_dispatch_id 0
		.amdhsa_user_sgpr_flat_scratch_init 0
		.amdhsa_user_sgpr_kernarg_preload_length 0
		.amdhsa_user_sgpr_kernarg_preload_offset 0
		.amdhsa_user_sgpr_private_segment_size 0
		.amdhsa_uses_dynamic_stack 0
		.amdhsa_system_sgpr_private_segment_wavefront_offset 0
		.amdhsa_system_sgpr_workgroup_id_x 1
		.amdhsa_system_sgpr_workgroup_id_y 0
		.amdhsa_system_sgpr_workgroup_id_z 0
		.amdhsa_system_sgpr_workgroup_info 0
		.amdhsa_system_vgpr_workitem_id 0
		.amdhsa_next_free_vgpr 10
		.amdhsa_next_free_sgpr 18
		.amdhsa_accum_offset 12
		.amdhsa_reserve_vcc 1
		.amdhsa_reserve_flat_scratch 0
		.amdhsa_float_round_mode_32 0
		.amdhsa_float_round_mode_16_64 0
		.amdhsa_float_denorm_mode_32 3
		.amdhsa_float_denorm_mode_16_64 3
		.amdhsa_dx10_clamp 1
		.amdhsa_ieee_mode 1
		.amdhsa_fp16_overflow 0
		.amdhsa_tg_split 0
		.amdhsa_exception_fp_ieee_invalid_op 0
		.amdhsa_exception_fp_denorm_src 0
		.amdhsa_exception_fp_ieee_div_zero 0
		.amdhsa_exception_fp_ieee_overflow 0
		.amdhsa_exception_fp_ieee_underflow 0
		.amdhsa_exception_fp_ieee_inexact 0
		.amdhsa_exception_int_div_zero 0
	.end_amdhsa_kernel
	.section	.text._ZN7rocprim17ROCPRIM_400000_NS6detail25reduce_by_key_init_kernelINS1_19lookback_scan_stateINS0_5tupleIJjjEEELb0ELb1EEEjNS1_16block_id_wrapperIjLb1EEEEEvT_jbjPmPT0_T1_,"axG",@progbits,_ZN7rocprim17ROCPRIM_400000_NS6detail25reduce_by_key_init_kernelINS1_19lookback_scan_stateINS0_5tupleIJjjEEELb0ELb1EEEjNS1_16block_id_wrapperIjLb1EEEEEvT_jbjPmPT0_T1_,comdat
.Lfunc_end344:
	.size	_ZN7rocprim17ROCPRIM_400000_NS6detail25reduce_by_key_init_kernelINS1_19lookback_scan_stateINS0_5tupleIJjjEEELb0ELb1EEEjNS1_16block_id_wrapperIjLb1EEEEEvT_jbjPmPT0_T1_, .Lfunc_end344-_ZN7rocprim17ROCPRIM_400000_NS6detail25reduce_by_key_init_kernelINS1_19lookback_scan_stateINS0_5tupleIJjjEEELb0ELb1EEEjNS1_16block_id_wrapperIjLb1EEEEEvT_jbjPmPT0_T1_
                                        ; -- End function
	.section	.AMDGPU.csdata,"",@progbits
; Kernel info:
; codeLenInByte = 532
; NumSgprs: 22
; NumVgprs: 10
; NumAgprs: 0
; TotalNumVgprs: 10
; ScratchSize: 0
; MemoryBound: 0
; FloatMode: 240
; IeeeMode: 1
; LDSByteSize: 0 bytes/workgroup (compile time only)
; SGPRBlocks: 2
; VGPRBlocks: 1
; NumSGPRsForWavesPerEU: 22
; NumVGPRsForWavesPerEU: 10
; AccumOffset: 12
; Occupancy: 8
; WaveLimiterHint : 0
; COMPUTE_PGM_RSRC2:SCRATCH_EN: 0
; COMPUTE_PGM_RSRC2:USER_SGPR: 6
; COMPUTE_PGM_RSRC2:TRAP_HANDLER: 0
; COMPUTE_PGM_RSRC2:TGID_X_EN: 1
; COMPUTE_PGM_RSRC2:TGID_Y_EN: 0
; COMPUTE_PGM_RSRC2:TGID_Z_EN: 0
; COMPUTE_PGM_RSRC2:TIDIG_COMP_CNT: 0
; COMPUTE_PGM_RSRC3_GFX90A:ACCUM_OFFSET: 2
; COMPUTE_PGM_RSRC3_GFX90A:TG_SPLIT: 0
	.section	.text._ZN7rocprim17ROCPRIM_400000_NS6detail17trampoline_kernelINS0_14default_configENS1_29reduce_by_key_config_selectorIjjN6thrust23THRUST_200600_302600_NS4plusIjEEEEZZNS1_33reduce_by_key_impl_wrapped_configILNS1_25lookback_scan_determinismE0ES3_S9_NS6_6detail15normal_iteratorINS6_10device_ptrIjEEEESG_SG_SG_PmS8_NS6_8equal_toIjEEEE10hipError_tPvRmT2_T3_mT4_T5_T6_T7_T8_P12ihipStream_tbENKUlT_T0_E_clISt17integral_constantIbLb0EES10_IbLb1EEEEDaSW_SX_EUlSW_E_NS1_11comp_targetILNS1_3genE0ELNS1_11target_archE4294967295ELNS1_3gpuE0ELNS1_3repE0EEENS1_30default_config_static_selectorELNS0_4arch9wavefront6targetE1EEEvT1_,"axG",@progbits,_ZN7rocprim17ROCPRIM_400000_NS6detail17trampoline_kernelINS0_14default_configENS1_29reduce_by_key_config_selectorIjjN6thrust23THRUST_200600_302600_NS4plusIjEEEEZZNS1_33reduce_by_key_impl_wrapped_configILNS1_25lookback_scan_determinismE0ES3_S9_NS6_6detail15normal_iteratorINS6_10device_ptrIjEEEESG_SG_SG_PmS8_NS6_8equal_toIjEEEE10hipError_tPvRmT2_T3_mT4_T5_T6_T7_T8_P12ihipStream_tbENKUlT_T0_E_clISt17integral_constantIbLb0EES10_IbLb1EEEEDaSW_SX_EUlSW_E_NS1_11comp_targetILNS1_3genE0ELNS1_11target_archE4294967295ELNS1_3gpuE0ELNS1_3repE0EEENS1_30default_config_static_selectorELNS0_4arch9wavefront6targetE1EEEvT1_,comdat
	.protected	_ZN7rocprim17ROCPRIM_400000_NS6detail17trampoline_kernelINS0_14default_configENS1_29reduce_by_key_config_selectorIjjN6thrust23THRUST_200600_302600_NS4plusIjEEEEZZNS1_33reduce_by_key_impl_wrapped_configILNS1_25lookback_scan_determinismE0ES3_S9_NS6_6detail15normal_iteratorINS6_10device_ptrIjEEEESG_SG_SG_PmS8_NS6_8equal_toIjEEEE10hipError_tPvRmT2_T3_mT4_T5_T6_T7_T8_P12ihipStream_tbENKUlT_T0_E_clISt17integral_constantIbLb0EES10_IbLb1EEEEDaSW_SX_EUlSW_E_NS1_11comp_targetILNS1_3genE0ELNS1_11target_archE4294967295ELNS1_3gpuE0ELNS1_3repE0EEENS1_30default_config_static_selectorELNS0_4arch9wavefront6targetE1EEEvT1_ ; -- Begin function _ZN7rocprim17ROCPRIM_400000_NS6detail17trampoline_kernelINS0_14default_configENS1_29reduce_by_key_config_selectorIjjN6thrust23THRUST_200600_302600_NS4plusIjEEEEZZNS1_33reduce_by_key_impl_wrapped_configILNS1_25lookback_scan_determinismE0ES3_S9_NS6_6detail15normal_iteratorINS6_10device_ptrIjEEEESG_SG_SG_PmS8_NS6_8equal_toIjEEEE10hipError_tPvRmT2_T3_mT4_T5_T6_T7_T8_P12ihipStream_tbENKUlT_T0_E_clISt17integral_constantIbLb0EES10_IbLb1EEEEDaSW_SX_EUlSW_E_NS1_11comp_targetILNS1_3genE0ELNS1_11target_archE4294967295ELNS1_3gpuE0ELNS1_3repE0EEENS1_30default_config_static_selectorELNS0_4arch9wavefront6targetE1EEEvT1_
	.globl	_ZN7rocprim17ROCPRIM_400000_NS6detail17trampoline_kernelINS0_14default_configENS1_29reduce_by_key_config_selectorIjjN6thrust23THRUST_200600_302600_NS4plusIjEEEEZZNS1_33reduce_by_key_impl_wrapped_configILNS1_25lookback_scan_determinismE0ES3_S9_NS6_6detail15normal_iteratorINS6_10device_ptrIjEEEESG_SG_SG_PmS8_NS6_8equal_toIjEEEE10hipError_tPvRmT2_T3_mT4_T5_T6_T7_T8_P12ihipStream_tbENKUlT_T0_E_clISt17integral_constantIbLb0EES10_IbLb1EEEEDaSW_SX_EUlSW_E_NS1_11comp_targetILNS1_3genE0ELNS1_11target_archE4294967295ELNS1_3gpuE0ELNS1_3repE0EEENS1_30default_config_static_selectorELNS0_4arch9wavefront6targetE1EEEvT1_
	.p2align	8
	.type	_ZN7rocprim17ROCPRIM_400000_NS6detail17trampoline_kernelINS0_14default_configENS1_29reduce_by_key_config_selectorIjjN6thrust23THRUST_200600_302600_NS4plusIjEEEEZZNS1_33reduce_by_key_impl_wrapped_configILNS1_25lookback_scan_determinismE0ES3_S9_NS6_6detail15normal_iteratorINS6_10device_ptrIjEEEESG_SG_SG_PmS8_NS6_8equal_toIjEEEE10hipError_tPvRmT2_T3_mT4_T5_T6_T7_T8_P12ihipStream_tbENKUlT_T0_E_clISt17integral_constantIbLb0EES10_IbLb1EEEEDaSW_SX_EUlSW_E_NS1_11comp_targetILNS1_3genE0ELNS1_11target_archE4294967295ELNS1_3gpuE0ELNS1_3repE0EEENS1_30default_config_static_selectorELNS0_4arch9wavefront6targetE1EEEvT1_,@function
_ZN7rocprim17ROCPRIM_400000_NS6detail17trampoline_kernelINS0_14default_configENS1_29reduce_by_key_config_selectorIjjN6thrust23THRUST_200600_302600_NS4plusIjEEEEZZNS1_33reduce_by_key_impl_wrapped_configILNS1_25lookback_scan_determinismE0ES3_S9_NS6_6detail15normal_iteratorINS6_10device_ptrIjEEEESG_SG_SG_PmS8_NS6_8equal_toIjEEEE10hipError_tPvRmT2_T3_mT4_T5_T6_T7_T8_P12ihipStream_tbENKUlT_T0_E_clISt17integral_constantIbLb0EES10_IbLb1EEEEDaSW_SX_EUlSW_E_NS1_11comp_targetILNS1_3genE0ELNS1_11target_archE4294967295ELNS1_3gpuE0ELNS1_3repE0EEENS1_30default_config_static_selectorELNS0_4arch9wavefront6targetE1EEEvT1_: ; @_ZN7rocprim17ROCPRIM_400000_NS6detail17trampoline_kernelINS0_14default_configENS1_29reduce_by_key_config_selectorIjjN6thrust23THRUST_200600_302600_NS4plusIjEEEEZZNS1_33reduce_by_key_impl_wrapped_configILNS1_25lookback_scan_determinismE0ES3_S9_NS6_6detail15normal_iteratorINS6_10device_ptrIjEEEESG_SG_SG_PmS8_NS6_8equal_toIjEEEE10hipError_tPvRmT2_T3_mT4_T5_T6_T7_T8_P12ihipStream_tbENKUlT_T0_E_clISt17integral_constantIbLb0EES10_IbLb1EEEEDaSW_SX_EUlSW_E_NS1_11comp_targetILNS1_3genE0ELNS1_11target_archE4294967295ELNS1_3gpuE0ELNS1_3repE0EEENS1_30default_config_static_selectorELNS0_4arch9wavefront6targetE1EEEvT1_
; %bb.0:
	.section	.rodata,"a",@progbits
	.p2align	6, 0x0
	.amdhsa_kernel _ZN7rocprim17ROCPRIM_400000_NS6detail17trampoline_kernelINS0_14default_configENS1_29reduce_by_key_config_selectorIjjN6thrust23THRUST_200600_302600_NS4plusIjEEEEZZNS1_33reduce_by_key_impl_wrapped_configILNS1_25lookback_scan_determinismE0ES3_S9_NS6_6detail15normal_iteratorINS6_10device_ptrIjEEEESG_SG_SG_PmS8_NS6_8equal_toIjEEEE10hipError_tPvRmT2_T3_mT4_T5_T6_T7_T8_P12ihipStream_tbENKUlT_T0_E_clISt17integral_constantIbLb0EES10_IbLb1EEEEDaSW_SX_EUlSW_E_NS1_11comp_targetILNS1_3genE0ELNS1_11target_archE4294967295ELNS1_3gpuE0ELNS1_3repE0EEENS1_30default_config_static_selectorELNS0_4arch9wavefront6targetE1EEEvT1_
		.amdhsa_group_segment_fixed_size 0
		.amdhsa_private_segment_fixed_size 0
		.amdhsa_kernarg_size 120
		.amdhsa_user_sgpr_count 6
		.amdhsa_user_sgpr_private_segment_buffer 1
		.amdhsa_user_sgpr_dispatch_ptr 0
		.amdhsa_user_sgpr_queue_ptr 0
		.amdhsa_user_sgpr_kernarg_segment_ptr 1
		.amdhsa_user_sgpr_dispatch_id 0
		.amdhsa_user_sgpr_flat_scratch_init 0
		.amdhsa_user_sgpr_kernarg_preload_length 0
		.amdhsa_user_sgpr_kernarg_preload_offset 0
		.amdhsa_user_sgpr_private_segment_size 0
		.amdhsa_uses_dynamic_stack 0
		.amdhsa_system_sgpr_private_segment_wavefront_offset 0
		.amdhsa_system_sgpr_workgroup_id_x 1
		.amdhsa_system_sgpr_workgroup_id_y 0
		.amdhsa_system_sgpr_workgroup_id_z 0
		.amdhsa_system_sgpr_workgroup_info 0
		.amdhsa_system_vgpr_workitem_id 0
		.amdhsa_next_free_vgpr 1
		.amdhsa_next_free_sgpr 0
		.amdhsa_accum_offset 4
		.amdhsa_reserve_vcc 0
		.amdhsa_reserve_flat_scratch 0
		.amdhsa_float_round_mode_32 0
		.amdhsa_float_round_mode_16_64 0
		.amdhsa_float_denorm_mode_32 3
		.amdhsa_float_denorm_mode_16_64 3
		.amdhsa_dx10_clamp 1
		.amdhsa_ieee_mode 1
		.amdhsa_fp16_overflow 0
		.amdhsa_tg_split 0
		.amdhsa_exception_fp_ieee_invalid_op 0
		.amdhsa_exception_fp_denorm_src 0
		.amdhsa_exception_fp_ieee_div_zero 0
		.amdhsa_exception_fp_ieee_overflow 0
		.amdhsa_exception_fp_ieee_underflow 0
		.amdhsa_exception_fp_ieee_inexact 0
		.amdhsa_exception_int_div_zero 0
	.end_amdhsa_kernel
	.section	.text._ZN7rocprim17ROCPRIM_400000_NS6detail17trampoline_kernelINS0_14default_configENS1_29reduce_by_key_config_selectorIjjN6thrust23THRUST_200600_302600_NS4plusIjEEEEZZNS1_33reduce_by_key_impl_wrapped_configILNS1_25lookback_scan_determinismE0ES3_S9_NS6_6detail15normal_iteratorINS6_10device_ptrIjEEEESG_SG_SG_PmS8_NS6_8equal_toIjEEEE10hipError_tPvRmT2_T3_mT4_T5_T6_T7_T8_P12ihipStream_tbENKUlT_T0_E_clISt17integral_constantIbLb0EES10_IbLb1EEEEDaSW_SX_EUlSW_E_NS1_11comp_targetILNS1_3genE0ELNS1_11target_archE4294967295ELNS1_3gpuE0ELNS1_3repE0EEENS1_30default_config_static_selectorELNS0_4arch9wavefront6targetE1EEEvT1_,"axG",@progbits,_ZN7rocprim17ROCPRIM_400000_NS6detail17trampoline_kernelINS0_14default_configENS1_29reduce_by_key_config_selectorIjjN6thrust23THRUST_200600_302600_NS4plusIjEEEEZZNS1_33reduce_by_key_impl_wrapped_configILNS1_25lookback_scan_determinismE0ES3_S9_NS6_6detail15normal_iteratorINS6_10device_ptrIjEEEESG_SG_SG_PmS8_NS6_8equal_toIjEEEE10hipError_tPvRmT2_T3_mT4_T5_T6_T7_T8_P12ihipStream_tbENKUlT_T0_E_clISt17integral_constantIbLb0EES10_IbLb1EEEEDaSW_SX_EUlSW_E_NS1_11comp_targetILNS1_3genE0ELNS1_11target_archE4294967295ELNS1_3gpuE0ELNS1_3repE0EEENS1_30default_config_static_selectorELNS0_4arch9wavefront6targetE1EEEvT1_,comdat
.Lfunc_end345:
	.size	_ZN7rocprim17ROCPRIM_400000_NS6detail17trampoline_kernelINS0_14default_configENS1_29reduce_by_key_config_selectorIjjN6thrust23THRUST_200600_302600_NS4plusIjEEEEZZNS1_33reduce_by_key_impl_wrapped_configILNS1_25lookback_scan_determinismE0ES3_S9_NS6_6detail15normal_iteratorINS6_10device_ptrIjEEEESG_SG_SG_PmS8_NS6_8equal_toIjEEEE10hipError_tPvRmT2_T3_mT4_T5_T6_T7_T8_P12ihipStream_tbENKUlT_T0_E_clISt17integral_constantIbLb0EES10_IbLb1EEEEDaSW_SX_EUlSW_E_NS1_11comp_targetILNS1_3genE0ELNS1_11target_archE4294967295ELNS1_3gpuE0ELNS1_3repE0EEENS1_30default_config_static_selectorELNS0_4arch9wavefront6targetE1EEEvT1_, .Lfunc_end345-_ZN7rocprim17ROCPRIM_400000_NS6detail17trampoline_kernelINS0_14default_configENS1_29reduce_by_key_config_selectorIjjN6thrust23THRUST_200600_302600_NS4plusIjEEEEZZNS1_33reduce_by_key_impl_wrapped_configILNS1_25lookback_scan_determinismE0ES3_S9_NS6_6detail15normal_iteratorINS6_10device_ptrIjEEEESG_SG_SG_PmS8_NS6_8equal_toIjEEEE10hipError_tPvRmT2_T3_mT4_T5_T6_T7_T8_P12ihipStream_tbENKUlT_T0_E_clISt17integral_constantIbLb0EES10_IbLb1EEEEDaSW_SX_EUlSW_E_NS1_11comp_targetILNS1_3genE0ELNS1_11target_archE4294967295ELNS1_3gpuE0ELNS1_3repE0EEENS1_30default_config_static_selectorELNS0_4arch9wavefront6targetE1EEEvT1_
                                        ; -- End function
	.section	.AMDGPU.csdata,"",@progbits
; Kernel info:
; codeLenInByte = 0
; NumSgprs: 4
; NumVgprs: 0
; NumAgprs: 0
; TotalNumVgprs: 0
; ScratchSize: 0
; MemoryBound: 0
; FloatMode: 240
; IeeeMode: 1
; LDSByteSize: 0 bytes/workgroup (compile time only)
; SGPRBlocks: 0
; VGPRBlocks: 0
; NumSGPRsForWavesPerEU: 4
; NumVGPRsForWavesPerEU: 1
; AccumOffset: 4
; Occupancy: 8
; WaveLimiterHint : 0
; COMPUTE_PGM_RSRC2:SCRATCH_EN: 0
; COMPUTE_PGM_RSRC2:USER_SGPR: 6
; COMPUTE_PGM_RSRC2:TRAP_HANDLER: 0
; COMPUTE_PGM_RSRC2:TGID_X_EN: 1
; COMPUTE_PGM_RSRC2:TGID_Y_EN: 0
; COMPUTE_PGM_RSRC2:TGID_Z_EN: 0
; COMPUTE_PGM_RSRC2:TIDIG_COMP_CNT: 0
; COMPUTE_PGM_RSRC3_GFX90A:ACCUM_OFFSET: 0
; COMPUTE_PGM_RSRC3_GFX90A:TG_SPLIT: 0
	.section	.text._ZN7rocprim17ROCPRIM_400000_NS6detail17trampoline_kernelINS0_14default_configENS1_29reduce_by_key_config_selectorIjjN6thrust23THRUST_200600_302600_NS4plusIjEEEEZZNS1_33reduce_by_key_impl_wrapped_configILNS1_25lookback_scan_determinismE0ES3_S9_NS6_6detail15normal_iteratorINS6_10device_ptrIjEEEESG_SG_SG_PmS8_NS6_8equal_toIjEEEE10hipError_tPvRmT2_T3_mT4_T5_T6_T7_T8_P12ihipStream_tbENKUlT_T0_E_clISt17integral_constantIbLb0EES10_IbLb1EEEEDaSW_SX_EUlSW_E_NS1_11comp_targetILNS1_3genE5ELNS1_11target_archE942ELNS1_3gpuE9ELNS1_3repE0EEENS1_30default_config_static_selectorELNS0_4arch9wavefront6targetE1EEEvT1_,"axG",@progbits,_ZN7rocprim17ROCPRIM_400000_NS6detail17trampoline_kernelINS0_14default_configENS1_29reduce_by_key_config_selectorIjjN6thrust23THRUST_200600_302600_NS4plusIjEEEEZZNS1_33reduce_by_key_impl_wrapped_configILNS1_25lookback_scan_determinismE0ES3_S9_NS6_6detail15normal_iteratorINS6_10device_ptrIjEEEESG_SG_SG_PmS8_NS6_8equal_toIjEEEE10hipError_tPvRmT2_T3_mT4_T5_T6_T7_T8_P12ihipStream_tbENKUlT_T0_E_clISt17integral_constantIbLb0EES10_IbLb1EEEEDaSW_SX_EUlSW_E_NS1_11comp_targetILNS1_3genE5ELNS1_11target_archE942ELNS1_3gpuE9ELNS1_3repE0EEENS1_30default_config_static_selectorELNS0_4arch9wavefront6targetE1EEEvT1_,comdat
	.protected	_ZN7rocprim17ROCPRIM_400000_NS6detail17trampoline_kernelINS0_14default_configENS1_29reduce_by_key_config_selectorIjjN6thrust23THRUST_200600_302600_NS4plusIjEEEEZZNS1_33reduce_by_key_impl_wrapped_configILNS1_25lookback_scan_determinismE0ES3_S9_NS6_6detail15normal_iteratorINS6_10device_ptrIjEEEESG_SG_SG_PmS8_NS6_8equal_toIjEEEE10hipError_tPvRmT2_T3_mT4_T5_T6_T7_T8_P12ihipStream_tbENKUlT_T0_E_clISt17integral_constantIbLb0EES10_IbLb1EEEEDaSW_SX_EUlSW_E_NS1_11comp_targetILNS1_3genE5ELNS1_11target_archE942ELNS1_3gpuE9ELNS1_3repE0EEENS1_30default_config_static_selectorELNS0_4arch9wavefront6targetE1EEEvT1_ ; -- Begin function _ZN7rocprim17ROCPRIM_400000_NS6detail17trampoline_kernelINS0_14default_configENS1_29reduce_by_key_config_selectorIjjN6thrust23THRUST_200600_302600_NS4plusIjEEEEZZNS1_33reduce_by_key_impl_wrapped_configILNS1_25lookback_scan_determinismE0ES3_S9_NS6_6detail15normal_iteratorINS6_10device_ptrIjEEEESG_SG_SG_PmS8_NS6_8equal_toIjEEEE10hipError_tPvRmT2_T3_mT4_T5_T6_T7_T8_P12ihipStream_tbENKUlT_T0_E_clISt17integral_constantIbLb0EES10_IbLb1EEEEDaSW_SX_EUlSW_E_NS1_11comp_targetILNS1_3genE5ELNS1_11target_archE942ELNS1_3gpuE9ELNS1_3repE0EEENS1_30default_config_static_selectorELNS0_4arch9wavefront6targetE1EEEvT1_
	.globl	_ZN7rocprim17ROCPRIM_400000_NS6detail17trampoline_kernelINS0_14default_configENS1_29reduce_by_key_config_selectorIjjN6thrust23THRUST_200600_302600_NS4plusIjEEEEZZNS1_33reduce_by_key_impl_wrapped_configILNS1_25lookback_scan_determinismE0ES3_S9_NS6_6detail15normal_iteratorINS6_10device_ptrIjEEEESG_SG_SG_PmS8_NS6_8equal_toIjEEEE10hipError_tPvRmT2_T3_mT4_T5_T6_T7_T8_P12ihipStream_tbENKUlT_T0_E_clISt17integral_constantIbLb0EES10_IbLb1EEEEDaSW_SX_EUlSW_E_NS1_11comp_targetILNS1_3genE5ELNS1_11target_archE942ELNS1_3gpuE9ELNS1_3repE0EEENS1_30default_config_static_selectorELNS0_4arch9wavefront6targetE1EEEvT1_
	.p2align	8
	.type	_ZN7rocprim17ROCPRIM_400000_NS6detail17trampoline_kernelINS0_14default_configENS1_29reduce_by_key_config_selectorIjjN6thrust23THRUST_200600_302600_NS4plusIjEEEEZZNS1_33reduce_by_key_impl_wrapped_configILNS1_25lookback_scan_determinismE0ES3_S9_NS6_6detail15normal_iteratorINS6_10device_ptrIjEEEESG_SG_SG_PmS8_NS6_8equal_toIjEEEE10hipError_tPvRmT2_T3_mT4_T5_T6_T7_T8_P12ihipStream_tbENKUlT_T0_E_clISt17integral_constantIbLb0EES10_IbLb1EEEEDaSW_SX_EUlSW_E_NS1_11comp_targetILNS1_3genE5ELNS1_11target_archE942ELNS1_3gpuE9ELNS1_3repE0EEENS1_30default_config_static_selectorELNS0_4arch9wavefront6targetE1EEEvT1_,@function
_ZN7rocprim17ROCPRIM_400000_NS6detail17trampoline_kernelINS0_14default_configENS1_29reduce_by_key_config_selectorIjjN6thrust23THRUST_200600_302600_NS4plusIjEEEEZZNS1_33reduce_by_key_impl_wrapped_configILNS1_25lookback_scan_determinismE0ES3_S9_NS6_6detail15normal_iteratorINS6_10device_ptrIjEEEESG_SG_SG_PmS8_NS6_8equal_toIjEEEE10hipError_tPvRmT2_T3_mT4_T5_T6_T7_T8_P12ihipStream_tbENKUlT_T0_E_clISt17integral_constantIbLb0EES10_IbLb1EEEEDaSW_SX_EUlSW_E_NS1_11comp_targetILNS1_3genE5ELNS1_11target_archE942ELNS1_3gpuE9ELNS1_3repE0EEENS1_30default_config_static_selectorELNS0_4arch9wavefront6targetE1EEEvT1_: ; @_ZN7rocprim17ROCPRIM_400000_NS6detail17trampoline_kernelINS0_14default_configENS1_29reduce_by_key_config_selectorIjjN6thrust23THRUST_200600_302600_NS4plusIjEEEEZZNS1_33reduce_by_key_impl_wrapped_configILNS1_25lookback_scan_determinismE0ES3_S9_NS6_6detail15normal_iteratorINS6_10device_ptrIjEEEESG_SG_SG_PmS8_NS6_8equal_toIjEEEE10hipError_tPvRmT2_T3_mT4_T5_T6_T7_T8_P12ihipStream_tbENKUlT_T0_E_clISt17integral_constantIbLb0EES10_IbLb1EEEEDaSW_SX_EUlSW_E_NS1_11comp_targetILNS1_3genE5ELNS1_11target_archE942ELNS1_3gpuE9ELNS1_3repE0EEENS1_30default_config_static_selectorELNS0_4arch9wavefront6targetE1EEEvT1_
; %bb.0:
	.section	.rodata,"a",@progbits
	.p2align	6, 0x0
	.amdhsa_kernel _ZN7rocprim17ROCPRIM_400000_NS6detail17trampoline_kernelINS0_14default_configENS1_29reduce_by_key_config_selectorIjjN6thrust23THRUST_200600_302600_NS4plusIjEEEEZZNS1_33reduce_by_key_impl_wrapped_configILNS1_25lookback_scan_determinismE0ES3_S9_NS6_6detail15normal_iteratorINS6_10device_ptrIjEEEESG_SG_SG_PmS8_NS6_8equal_toIjEEEE10hipError_tPvRmT2_T3_mT4_T5_T6_T7_T8_P12ihipStream_tbENKUlT_T0_E_clISt17integral_constantIbLb0EES10_IbLb1EEEEDaSW_SX_EUlSW_E_NS1_11comp_targetILNS1_3genE5ELNS1_11target_archE942ELNS1_3gpuE9ELNS1_3repE0EEENS1_30default_config_static_selectorELNS0_4arch9wavefront6targetE1EEEvT1_
		.amdhsa_group_segment_fixed_size 0
		.amdhsa_private_segment_fixed_size 0
		.amdhsa_kernarg_size 120
		.amdhsa_user_sgpr_count 6
		.amdhsa_user_sgpr_private_segment_buffer 1
		.amdhsa_user_sgpr_dispatch_ptr 0
		.amdhsa_user_sgpr_queue_ptr 0
		.amdhsa_user_sgpr_kernarg_segment_ptr 1
		.amdhsa_user_sgpr_dispatch_id 0
		.amdhsa_user_sgpr_flat_scratch_init 0
		.amdhsa_user_sgpr_kernarg_preload_length 0
		.amdhsa_user_sgpr_kernarg_preload_offset 0
		.amdhsa_user_sgpr_private_segment_size 0
		.amdhsa_uses_dynamic_stack 0
		.amdhsa_system_sgpr_private_segment_wavefront_offset 0
		.amdhsa_system_sgpr_workgroup_id_x 1
		.amdhsa_system_sgpr_workgroup_id_y 0
		.amdhsa_system_sgpr_workgroup_id_z 0
		.amdhsa_system_sgpr_workgroup_info 0
		.amdhsa_system_vgpr_workitem_id 0
		.amdhsa_next_free_vgpr 1
		.amdhsa_next_free_sgpr 0
		.amdhsa_accum_offset 4
		.amdhsa_reserve_vcc 0
		.amdhsa_reserve_flat_scratch 0
		.amdhsa_float_round_mode_32 0
		.amdhsa_float_round_mode_16_64 0
		.amdhsa_float_denorm_mode_32 3
		.amdhsa_float_denorm_mode_16_64 3
		.amdhsa_dx10_clamp 1
		.amdhsa_ieee_mode 1
		.amdhsa_fp16_overflow 0
		.amdhsa_tg_split 0
		.amdhsa_exception_fp_ieee_invalid_op 0
		.amdhsa_exception_fp_denorm_src 0
		.amdhsa_exception_fp_ieee_div_zero 0
		.amdhsa_exception_fp_ieee_overflow 0
		.amdhsa_exception_fp_ieee_underflow 0
		.amdhsa_exception_fp_ieee_inexact 0
		.amdhsa_exception_int_div_zero 0
	.end_amdhsa_kernel
	.section	.text._ZN7rocprim17ROCPRIM_400000_NS6detail17trampoline_kernelINS0_14default_configENS1_29reduce_by_key_config_selectorIjjN6thrust23THRUST_200600_302600_NS4plusIjEEEEZZNS1_33reduce_by_key_impl_wrapped_configILNS1_25lookback_scan_determinismE0ES3_S9_NS6_6detail15normal_iteratorINS6_10device_ptrIjEEEESG_SG_SG_PmS8_NS6_8equal_toIjEEEE10hipError_tPvRmT2_T3_mT4_T5_T6_T7_T8_P12ihipStream_tbENKUlT_T0_E_clISt17integral_constantIbLb0EES10_IbLb1EEEEDaSW_SX_EUlSW_E_NS1_11comp_targetILNS1_3genE5ELNS1_11target_archE942ELNS1_3gpuE9ELNS1_3repE0EEENS1_30default_config_static_selectorELNS0_4arch9wavefront6targetE1EEEvT1_,"axG",@progbits,_ZN7rocprim17ROCPRIM_400000_NS6detail17trampoline_kernelINS0_14default_configENS1_29reduce_by_key_config_selectorIjjN6thrust23THRUST_200600_302600_NS4plusIjEEEEZZNS1_33reduce_by_key_impl_wrapped_configILNS1_25lookback_scan_determinismE0ES3_S9_NS6_6detail15normal_iteratorINS6_10device_ptrIjEEEESG_SG_SG_PmS8_NS6_8equal_toIjEEEE10hipError_tPvRmT2_T3_mT4_T5_T6_T7_T8_P12ihipStream_tbENKUlT_T0_E_clISt17integral_constantIbLb0EES10_IbLb1EEEEDaSW_SX_EUlSW_E_NS1_11comp_targetILNS1_3genE5ELNS1_11target_archE942ELNS1_3gpuE9ELNS1_3repE0EEENS1_30default_config_static_selectorELNS0_4arch9wavefront6targetE1EEEvT1_,comdat
.Lfunc_end346:
	.size	_ZN7rocprim17ROCPRIM_400000_NS6detail17trampoline_kernelINS0_14default_configENS1_29reduce_by_key_config_selectorIjjN6thrust23THRUST_200600_302600_NS4plusIjEEEEZZNS1_33reduce_by_key_impl_wrapped_configILNS1_25lookback_scan_determinismE0ES3_S9_NS6_6detail15normal_iteratorINS6_10device_ptrIjEEEESG_SG_SG_PmS8_NS6_8equal_toIjEEEE10hipError_tPvRmT2_T3_mT4_T5_T6_T7_T8_P12ihipStream_tbENKUlT_T0_E_clISt17integral_constantIbLb0EES10_IbLb1EEEEDaSW_SX_EUlSW_E_NS1_11comp_targetILNS1_3genE5ELNS1_11target_archE942ELNS1_3gpuE9ELNS1_3repE0EEENS1_30default_config_static_selectorELNS0_4arch9wavefront6targetE1EEEvT1_, .Lfunc_end346-_ZN7rocprim17ROCPRIM_400000_NS6detail17trampoline_kernelINS0_14default_configENS1_29reduce_by_key_config_selectorIjjN6thrust23THRUST_200600_302600_NS4plusIjEEEEZZNS1_33reduce_by_key_impl_wrapped_configILNS1_25lookback_scan_determinismE0ES3_S9_NS6_6detail15normal_iteratorINS6_10device_ptrIjEEEESG_SG_SG_PmS8_NS6_8equal_toIjEEEE10hipError_tPvRmT2_T3_mT4_T5_T6_T7_T8_P12ihipStream_tbENKUlT_T0_E_clISt17integral_constantIbLb0EES10_IbLb1EEEEDaSW_SX_EUlSW_E_NS1_11comp_targetILNS1_3genE5ELNS1_11target_archE942ELNS1_3gpuE9ELNS1_3repE0EEENS1_30default_config_static_selectorELNS0_4arch9wavefront6targetE1EEEvT1_
                                        ; -- End function
	.section	.AMDGPU.csdata,"",@progbits
; Kernel info:
; codeLenInByte = 0
; NumSgprs: 4
; NumVgprs: 0
; NumAgprs: 0
; TotalNumVgprs: 0
; ScratchSize: 0
; MemoryBound: 0
; FloatMode: 240
; IeeeMode: 1
; LDSByteSize: 0 bytes/workgroup (compile time only)
; SGPRBlocks: 0
; VGPRBlocks: 0
; NumSGPRsForWavesPerEU: 4
; NumVGPRsForWavesPerEU: 1
; AccumOffset: 4
; Occupancy: 8
; WaveLimiterHint : 0
; COMPUTE_PGM_RSRC2:SCRATCH_EN: 0
; COMPUTE_PGM_RSRC2:USER_SGPR: 6
; COMPUTE_PGM_RSRC2:TRAP_HANDLER: 0
; COMPUTE_PGM_RSRC2:TGID_X_EN: 1
; COMPUTE_PGM_RSRC2:TGID_Y_EN: 0
; COMPUTE_PGM_RSRC2:TGID_Z_EN: 0
; COMPUTE_PGM_RSRC2:TIDIG_COMP_CNT: 0
; COMPUTE_PGM_RSRC3_GFX90A:ACCUM_OFFSET: 0
; COMPUTE_PGM_RSRC3_GFX90A:TG_SPLIT: 0
	.section	.text._ZN7rocprim17ROCPRIM_400000_NS6detail17trampoline_kernelINS0_14default_configENS1_29reduce_by_key_config_selectorIjjN6thrust23THRUST_200600_302600_NS4plusIjEEEEZZNS1_33reduce_by_key_impl_wrapped_configILNS1_25lookback_scan_determinismE0ES3_S9_NS6_6detail15normal_iteratorINS6_10device_ptrIjEEEESG_SG_SG_PmS8_NS6_8equal_toIjEEEE10hipError_tPvRmT2_T3_mT4_T5_T6_T7_T8_P12ihipStream_tbENKUlT_T0_E_clISt17integral_constantIbLb0EES10_IbLb1EEEEDaSW_SX_EUlSW_E_NS1_11comp_targetILNS1_3genE4ELNS1_11target_archE910ELNS1_3gpuE8ELNS1_3repE0EEENS1_30default_config_static_selectorELNS0_4arch9wavefront6targetE1EEEvT1_,"axG",@progbits,_ZN7rocprim17ROCPRIM_400000_NS6detail17trampoline_kernelINS0_14default_configENS1_29reduce_by_key_config_selectorIjjN6thrust23THRUST_200600_302600_NS4plusIjEEEEZZNS1_33reduce_by_key_impl_wrapped_configILNS1_25lookback_scan_determinismE0ES3_S9_NS6_6detail15normal_iteratorINS6_10device_ptrIjEEEESG_SG_SG_PmS8_NS6_8equal_toIjEEEE10hipError_tPvRmT2_T3_mT4_T5_T6_T7_T8_P12ihipStream_tbENKUlT_T0_E_clISt17integral_constantIbLb0EES10_IbLb1EEEEDaSW_SX_EUlSW_E_NS1_11comp_targetILNS1_3genE4ELNS1_11target_archE910ELNS1_3gpuE8ELNS1_3repE0EEENS1_30default_config_static_selectorELNS0_4arch9wavefront6targetE1EEEvT1_,comdat
	.protected	_ZN7rocprim17ROCPRIM_400000_NS6detail17trampoline_kernelINS0_14default_configENS1_29reduce_by_key_config_selectorIjjN6thrust23THRUST_200600_302600_NS4plusIjEEEEZZNS1_33reduce_by_key_impl_wrapped_configILNS1_25lookback_scan_determinismE0ES3_S9_NS6_6detail15normal_iteratorINS6_10device_ptrIjEEEESG_SG_SG_PmS8_NS6_8equal_toIjEEEE10hipError_tPvRmT2_T3_mT4_T5_T6_T7_T8_P12ihipStream_tbENKUlT_T0_E_clISt17integral_constantIbLb0EES10_IbLb1EEEEDaSW_SX_EUlSW_E_NS1_11comp_targetILNS1_3genE4ELNS1_11target_archE910ELNS1_3gpuE8ELNS1_3repE0EEENS1_30default_config_static_selectorELNS0_4arch9wavefront6targetE1EEEvT1_ ; -- Begin function _ZN7rocprim17ROCPRIM_400000_NS6detail17trampoline_kernelINS0_14default_configENS1_29reduce_by_key_config_selectorIjjN6thrust23THRUST_200600_302600_NS4plusIjEEEEZZNS1_33reduce_by_key_impl_wrapped_configILNS1_25lookback_scan_determinismE0ES3_S9_NS6_6detail15normal_iteratorINS6_10device_ptrIjEEEESG_SG_SG_PmS8_NS6_8equal_toIjEEEE10hipError_tPvRmT2_T3_mT4_T5_T6_T7_T8_P12ihipStream_tbENKUlT_T0_E_clISt17integral_constantIbLb0EES10_IbLb1EEEEDaSW_SX_EUlSW_E_NS1_11comp_targetILNS1_3genE4ELNS1_11target_archE910ELNS1_3gpuE8ELNS1_3repE0EEENS1_30default_config_static_selectorELNS0_4arch9wavefront6targetE1EEEvT1_
	.globl	_ZN7rocprim17ROCPRIM_400000_NS6detail17trampoline_kernelINS0_14default_configENS1_29reduce_by_key_config_selectorIjjN6thrust23THRUST_200600_302600_NS4plusIjEEEEZZNS1_33reduce_by_key_impl_wrapped_configILNS1_25lookback_scan_determinismE0ES3_S9_NS6_6detail15normal_iteratorINS6_10device_ptrIjEEEESG_SG_SG_PmS8_NS6_8equal_toIjEEEE10hipError_tPvRmT2_T3_mT4_T5_T6_T7_T8_P12ihipStream_tbENKUlT_T0_E_clISt17integral_constantIbLb0EES10_IbLb1EEEEDaSW_SX_EUlSW_E_NS1_11comp_targetILNS1_3genE4ELNS1_11target_archE910ELNS1_3gpuE8ELNS1_3repE0EEENS1_30default_config_static_selectorELNS0_4arch9wavefront6targetE1EEEvT1_
	.p2align	8
	.type	_ZN7rocprim17ROCPRIM_400000_NS6detail17trampoline_kernelINS0_14default_configENS1_29reduce_by_key_config_selectorIjjN6thrust23THRUST_200600_302600_NS4plusIjEEEEZZNS1_33reduce_by_key_impl_wrapped_configILNS1_25lookback_scan_determinismE0ES3_S9_NS6_6detail15normal_iteratorINS6_10device_ptrIjEEEESG_SG_SG_PmS8_NS6_8equal_toIjEEEE10hipError_tPvRmT2_T3_mT4_T5_T6_T7_T8_P12ihipStream_tbENKUlT_T0_E_clISt17integral_constantIbLb0EES10_IbLb1EEEEDaSW_SX_EUlSW_E_NS1_11comp_targetILNS1_3genE4ELNS1_11target_archE910ELNS1_3gpuE8ELNS1_3repE0EEENS1_30default_config_static_selectorELNS0_4arch9wavefront6targetE1EEEvT1_,@function
_ZN7rocprim17ROCPRIM_400000_NS6detail17trampoline_kernelINS0_14default_configENS1_29reduce_by_key_config_selectorIjjN6thrust23THRUST_200600_302600_NS4plusIjEEEEZZNS1_33reduce_by_key_impl_wrapped_configILNS1_25lookback_scan_determinismE0ES3_S9_NS6_6detail15normal_iteratorINS6_10device_ptrIjEEEESG_SG_SG_PmS8_NS6_8equal_toIjEEEE10hipError_tPvRmT2_T3_mT4_T5_T6_T7_T8_P12ihipStream_tbENKUlT_T0_E_clISt17integral_constantIbLb0EES10_IbLb1EEEEDaSW_SX_EUlSW_E_NS1_11comp_targetILNS1_3genE4ELNS1_11target_archE910ELNS1_3gpuE8ELNS1_3repE0EEENS1_30default_config_static_selectorELNS0_4arch9wavefront6targetE1EEEvT1_: ; @_ZN7rocprim17ROCPRIM_400000_NS6detail17trampoline_kernelINS0_14default_configENS1_29reduce_by_key_config_selectorIjjN6thrust23THRUST_200600_302600_NS4plusIjEEEEZZNS1_33reduce_by_key_impl_wrapped_configILNS1_25lookback_scan_determinismE0ES3_S9_NS6_6detail15normal_iteratorINS6_10device_ptrIjEEEESG_SG_SG_PmS8_NS6_8equal_toIjEEEE10hipError_tPvRmT2_T3_mT4_T5_T6_T7_T8_P12ihipStream_tbENKUlT_T0_E_clISt17integral_constantIbLb0EES10_IbLb1EEEEDaSW_SX_EUlSW_E_NS1_11comp_targetILNS1_3genE4ELNS1_11target_archE910ELNS1_3gpuE8ELNS1_3repE0EEENS1_30default_config_static_selectorELNS0_4arch9wavefront6targetE1EEEvT1_
; %bb.0:
	s_load_dwordx8 s[36:43], s[4:5], 0x0
	s_load_dwordx4 s[52:55], s[4:5], 0x20
	s_load_dwordx8 s[44:51], s[4:5], 0x38
	s_load_dwordx2 s[60:61], s[4:5], 0x68
	s_load_dwordx4 s[56:59], s[4:5], 0x58
	v_cmp_ne_u32_e64 s[2:3], 0, v0
	v_cmp_eq_u32_e64 s[0:1], 0, v0
	s_and_saveexec_b64 s[6:7], s[0:1]
	s_cbranch_execz .LBB347_4
; %bb.1:
	s_mov_b64 s[10:11], exec
	v_mbcnt_lo_u32_b32 v1, s10, 0
	v_mbcnt_hi_u32_b32 v1, s11, v1
	v_cmp_eq_u32_e32 vcc, 0, v1
                                        ; implicit-def: $vgpr2
	s_and_saveexec_b64 s[8:9], vcc
	s_cbranch_execz .LBB347_3
; %bb.2:
	s_load_dwordx2 s[4:5], s[4:5], 0x70
	s_bcnt1_i32_b64 s10, s[10:11]
	v_mov_b32_e32 v2, 0
	v_mov_b32_e32 v3, s10
	s_waitcnt lgkmcnt(0)
	global_atomic_add v2, v2, v3, s[4:5] glc
.LBB347_3:
	s_or_b64 exec, exec, s[8:9]
	s_waitcnt vmcnt(0)
	v_readfirstlane_b32 s4, v2
	v_add_u32_e32 v1, s4, v1
	v_mov_b32_e32 v2, 0
	ds_write_b32 v2, v1
.LBB347_4:
	s_or_b64 exec, exec, s[6:7]
	v_mov_b32_e32 v3, 0
	s_waitcnt lgkmcnt(0)
	s_lshl_b64 s[4:5], s[38:39], 2
	s_barrier
	ds_read_b32 v1, v3
	s_add_u32 s6, s36, s4
	s_addc_u32 s7, s37, s5
	s_add_u32 s4, s40, s4
	s_mul_i32 s8, s48, s47
	s_mul_hi_u32 s9, s48, s46
	s_addc_u32 s5, s41, s5
	s_add_i32 s8, s9, s8
	s_mul_i32 s9, s49, s46
	s_add_i32 s8, s8, s9
	s_mul_i32 s9, s48, s46
	s_waitcnt lgkmcnt(0)
	v_readfirstlane_b32 s62, v1
	s_movk_i32 s10, 0xf00
	v_mul_lo_u32 v2, v1, s10
	s_add_u32 s40, s9, s62
	v_lshlrev_b64 v[2:3], 2, v[2:3]
	s_addc_u32 s41, s8, 0
	v_mov_b32_e32 v1, s7
	v_add_co_u32_e32 v31, vcc, s6, v2
	s_add_u32 s6, s50, -1
	v_addc_co_u32_e32 v35, vcc, v1, v3, vcc
	s_addc_u32 s7, s51, -1
	v_mov_b32_e32 v1, s5
	v_add_co_u32_e32 v22, vcc, s4, v2
	s_cmp_eq_u64 s[40:41], s[6:7]
	v_addc_co_u32_e32 v23, vcc, v1, v3, vcc
	s_cselect_b64 s[36:37], -1, 0
	s_cmp_lg_u64 s[40:41], s[6:7]
	s_mov_b64 s[4:5], -1
	s_cselect_b64 s[48:49], -1, 0
	s_mul_i32 s33, s6, 0xfffff100
	s_and_b64 vcc, exec, s[36:37]
	s_barrier
	s_cbranch_vccnz .LBB347_6
; %bb.5:
	v_lshlrev_b32_e32 v28, 2, v0
	v_add_co_u32_e32 v2, vcc, v31, v28
	v_addc_co_u32_e32 v3, vcc, 0, v35, vcc
	v_add_co_u32_e32 v4, vcc, 0x1000, v2
	v_addc_co_u32_e32 v5, vcc, 0, v3, vcc
	flat_load_dword v1, v[2:3]
	flat_load_dword v8, v[2:3] offset:1024
	flat_load_dword v9, v[2:3] offset:2048
	;; [unrolled: 1-line block ×3, first 2 shown]
	flat_load_dword v11, v[4:5]
	flat_load_dword v12, v[4:5] offset:1024
	flat_load_dword v13, v[4:5] offset:2048
	;; [unrolled: 1-line block ×3, first 2 shown]
	v_add_co_u32_e32 v4, vcc, 0x2000, v2
	v_addc_co_u32_e32 v5, vcc, 0, v3, vcc
	v_add_co_u32_e32 v2, vcc, 0x3000, v2
	v_addc_co_u32_e32 v3, vcc, 0, v3, vcc
	flat_load_dword v15, v[4:5]
	flat_load_dword v16, v[4:5] offset:1024
	flat_load_dword v17, v[4:5] offset:2048
	;; [unrolled: 1-line block ×3, first 2 shown]
	flat_load_dword v19, v[2:3]
	flat_load_dword v20, v[2:3] offset:1024
	flat_load_dword v21, v[2:3] offset:2048
	v_add_co_u32_e32 v2, vcc, v22, v28
	s_movk_i32 s4, 0x1000
	v_addc_co_u32_e32 v3, vcc, 0, v23, vcc
	v_add_co_u32_e32 v4, vcc, s4, v2
	s_movk_i32 s5, 0x2000
	v_addc_co_u32_e32 v5, vcc, 0, v3, vcc
	;; [unrolled: 3-line block ×3, first 2 shown]
	v_mad_u32_u24 v30, v0, 56, v28
	v_add_co_u32_e32 v24, vcc, s6, v2
	v_addc_co_u32_e32 v25, vcc, 0, v3, vcc
	s_waitcnt vmcnt(0) lgkmcnt(0)
	ds_write2st64_b32 v28, v1, v8 offset1:4
	ds_write2st64_b32 v28, v9, v10 offset0:8 offset1:12
	ds_write2st64_b32 v28, v11, v12 offset0:16 offset1:20
	;; [unrolled: 1-line block ×6, first 2 shown]
	ds_write_b32 v28, v21 offset:14336
	s_waitcnt lgkmcnt(0)
	s_barrier
	ds_read2_b32 v[20:21], v30 offset1:1
	ds_read2_b32 v[18:19], v30 offset0:2 offset1:3
	ds_read2_b32 v[16:17], v30 offset0:4 offset1:5
	;; [unrolled: 1-line block ×6, first 2 shown]
	ds_read_b32 v1, v30 offset:56
	s_waitcnt lgkmcnt(0)
	s_barrier
	flat_load_dword v29, v[2:3]
	flat_load_dword v32, v[2:3] offset:1024
	flat_load_dword v33, v[2:3] offset:2048
	flat_load_dword v34, v[2:3] offset:3072
	flat_load_dword v36, v[4:5]
	flat_load_dword v37, v[4:5] offset:1024
	flat_load_dword v38, v[4:5] offset:2048
	flat_load_dword v39, v[4:5] offset:3072
	;; [unrolled: 4-line block ×3, first 2 shown]
	flat_load_dword v44, v[24:25]
	flat_load_dword v45, v[24:25] offset:1024
	flat_load_dword v46, v[24:25] offset:2048
	v_mov_b32_e32 v26, v20
	v_mov_b32_e32 v27, v18
	;; [unrolled: 1-line block ×7, first 2 shown]
	s_waitcnt vmcnt(0) lgkmcnt(0)
	ds_write2st64_b32 v28, v29, v32 offset1:4
	ds_write2st64_b32 v28, v33, v34 offset0:8 offset1:12
	ds_write2st64_b32 v28, v36, v37 offset0:16 offset1:20
	;; [unrolled: 1-line block ×6, first 2 shown]
	ds_write_b32 v28, v46 offset:14336
	s_waitcnt lgkmcnt(0)
	s_barrier
	s_add_i32 s33, s33, s56
	s_cbranch_execz .LBB347_7
	s_branch .LBB347_54
.LBB347_6:
                                        ; implicit-def: $vgpr1
                                        ; implicit-def: $vgpr8
                                        ; implicit-def: $vgpr10
                                        ; implicit-def: $vgpr12
                                        ; implicit-def: $vgpr14
                                        ; implicit-def: $vgpr16
                                        ; implicit-def: $vgpr18
                                        ; implicit-def: $vgpr20
                                        ; implicit-def: $vgpr30
                                        ; implicit-def: $vgpr2_vgpr3
                                        ; implicit-def: $vgpr4_vgpr5
                                        ; implicit-def: $vgpr26_vgpr27
                                        ; implicit-def: $vgpr6_vgpr7
	s_andn2_b64 vcc, exec, s[4:5]
	s_add_i32 s33, s33, s56
	s_cbranch_vccnz .LBB347_54
.LBB347_7:
	v_cmp_gt_u32_e32 vcc, s33, v0
                                        ; implicit-def: $vgpr1
	s_and_saveexec_b64 s[6:7], vcc
	s_cbranch_execz .LBB347_9
; %bb.8:
	v_lshlrev_b32_e32 v1, 2, v0
	v_add_co_u32_e64 v2, s[4:5], v31, v1
	v_addc_co_u32_e64 v3, s[4:5], 0, v35, s[4:5]
	flat_load_dword v1, v[2:3]
.LBB347_9:
	s_or_b64 exec, exec, s[6:7]
	v_or_b32_e32 v2, 0x100, v0
	v_cmp_gt_u32_e64 s[4:5], s33, v2
                                        ; implicit-def: $vgpr8
	s_and_saveexec_b64 s[8:9], s[4:5]
	s_cbranch_execz .LBB347_11
; %bb.10:
	v_lshlrev_b32_e32 v2, 2, v0
	v_add_co_u32_e64 v2, s[6:7], v31, v2
	v_addc_co_u32_e64 v3, s[6:7], 0, v35, s[6:7]
	flat_load_dword v8, v[2:3] offset:1024
.LBB347_11:
	s_or_b64 exec, exec, s[8:9]
	v_or_b32_e32 v2, 0x200, v0
	v_cmp_gt_u32_e64 s[6:7], s33, v2
                                        ; implicit-def: $vgpr9
	s_and_saveexec_b64 s[10:11], s[6:7]
	s_cbranch_execz .LBB347_13
; %bb.12:
	v_lshlrev_b32_e32 v2, 2, v0
	v_add_co_u32_e64 v2, s[8:9], v31, v2
	v_addc_co_u32_e64 v3, s[8:9], 0, v35, s[8:9]
	flat_load_dword v9, v[2:3] offset:2048
.LBB347_13:
	s_or_b64 exec, exec, s[10:11]
	v_or_b32_e32 v2, 0x300, v0
	v_cmp_gt_u32_e64 s[8:9], s33, v2
                                        ; implicit-def: $vgpr10
	s_and_saveexec_b64 s[12:13], s[8:9]
	s_cbranch_execz .LBB347_15
; %bb.14:
	v_lshlrev_b32_e32 v2, 2, v0
	v_add_co_u32_e64 v2, s[10:11], v31, v2
	v_addc_co_u32_e64 v3, s[10:11], 0, v35, s[10:11]
	flat_load_dword v10, v[2:3] offset:3072
.LBB347_15:
	s_or_b64 exec, exec, s[12:13]
	v_or_b32_e32 v2, 0x400, v0
	v_cmp_gt_u32_e64 s[10:11], s33, v2
	v_lshlrev_b32_e32 v2, 2, v2
                                        ; implicit-def: $vgpr11
	s_and_saveexec_b64 s[14:15], s[10:11]
	s_cbranch_execz .LBB347_17
; %bb.16:
	v_add_co_u32_e64 v4, s[12:13], v31, v2
	v_addc_co_u32_e64 v5, s[12:13], 0, v35, s[12:13]
	flat_load_dword v11, v[4:5]
.LBB347_17:
	s_or_b64 exec, exec, s[14:15]
	v_or_b32_e32 v3, 0x500, v0
	v_cmp_gt_u32_e64 s[12:13], s33, v3
	v_lshlrev_b32_e32 v3, 2, v3
                                        ; implicit-def: $vgpr12
	s_and_saveexec_b64 s[16:17], s[12:13]
	s_cbranch_execz .LBB347_19
; %bb.18:
	v_add_co_u32_e64 v4, s[14:15], v31, v3
	v_addc_co_u32_e64 v5, s[14:15], 0, v35, s[14:15]
	flat_load_dword v12, v[4:5]
.LBB347_19:
	s_or_b64 exec, exec, s[16:17]
	v_or_b32_e32 v4, 0x600, v0
	v_cmp_gt_u32_e64 s[14:15], s33, v4
	v_lshlrev_b32_e32 v4, 2, v4
                                        ; implicit-def: $vgpr13
	s_and_saveexec_b64 s[18:19], s[14:15]
	s_cbranch_execz .LBB347_21
; %bb.20:
	v_add_co_u32_e64 v6, s[16:17], v31, v4
	v_addc_co_u32_e64 v7, s[16:17], 0, v35, s[16:17]
	flat_load_dword v13, v[6:7]
.LBB347_21:
	s_or_b64 exec, exec, s[18:19]
	v_or_b32_e32 v5, 0x700, v0
	v_cmp_gt_u32_e64 s[16:17], s33, v5
	v_lshlrev_b32_e32 v5, 2, v5
                                        ; implicit-def: $vgpr14
	s_and_saveexec_b64 s[20:21], s[16:17]
	s_cbranch_execz .LBB347_23
; %bb.22:
	v_add_co_u32_e64 v6, s[18:19], v31, v5
	v_addc_co_u32_e64 v7, s[18:19], 0, v35, s[18:19]
	flat_load_dword v14, v[6:7]
.LBB347_23:
	s_or_b64 exec, exec, s[20:21]
	v_or_b32_e32 v6, 0x800, v0
	v_cmp_gt_u32_e64 s[18:19], s33, v6
	v_lshlrev_b32_e32 v6, 2, v6
                                        ; implicit-def: $vgpr15
	s_and_saveexec_b64 s[22:23], s[18:19]
	s_cbranch_execz .LBB347_25
; %bb.24:
	v_add_co_u32_e64 v16, s[20:21], v31, v6
	v_addc_co_u32_e64 v17, s[20:21], 0, v35, s[20:21]
	flat_load_dword v15, v[16:17]
.LBB347_25:
	s_or_b64 exec, exec, s[22:23]
	v_or_b32_e32 v7, 0x900, v0
	v_cmp_gt_u32_e64 s[20:21], s33, v7
	v_lshlrev_b32_e32 v7, 2, v7
                                        ; implicit-def: $vgpr16
	s_and_saveexec_b64 s[24:25], s[20:21]
	s_cbranch_execz .LBB347_27
; %bb.26:
	v_add_co_u32_e64 v16, s[22:23], v31, v7
	v_addc_co_u32_e64 v17, s[22:23], 0, v35, s[22:23]
	flat_load_dword v16, v[16:17]
.LBB347_27:
	s_or_b64 exec, exec, s[24:25]
	v_or_b32_e32 v17, 0xa00, v0
	v_cmp_gt_u32_e64 s[22:23], s33, v17
	v_lshlrev_b32_e32 v25, 2, v17
                                        ; implicit-def: $vgpr17
	s_and_saveexec_b64 s[26:27], s[22:23]
	s_cbranch_execz .LBB347_29
; %bb.28:
	v_add_co_u32_e64 v18, s[24:25], v31, v25
	v_addc_co_u32_e64 v19, s[24:25], 0, v35, s[24:25]
	flat_load_dword v17, v[18:19]
.LBB347_29:
	s_or_b64 exec, exec, s[26:27]
	v_or_b32_e32 v18, 0xb00, v0
	v_cmp_gt_u32_e64 s[24:25], s33, v18
	v_lshlrev_b32_e32 v26, 2, v18
                                        ; implicit-def: $vgpr18
	s_and_saveexec_b64 s[28:29], s[24:25]
	s_cbranch_execz .LBB347_31
; %bb.30:
	v_add_co_u32_e64 v18, s[26:27], v31, v26
	v_addc_co_u32_e64 v19, s[26:27], 0, v35, s[26:27]
	flat_load_dword v18, v[18:19]
.LBB347_31:
	s_or_b64 exec, exec, s[28:29]
	v_or_b32_e32 v19, 0xc00, v0
	v_cmp_gt_u32_e64 s[26:27], s33, v19
	v_lshlrev_b32_e32 v27, 2, v19
                                        ; implicit-def: $vgpr19
	s_and_saveexec_b64 s[30:31], s[26:27]
	s_cbranch_execz .LBB347_33
; %bb.32:
	v_add_co_u32_e64 v20, s[28:29], v31, v27
	v_addc_co_u32_e64 v21, s[28:29], 0, v35, s[28:29]
	flat_load_dword v19, v[20:21]
.LBB347_33:
	s_or_b64 exec, exec, s[30:31]
	v_or_b32_e32 v20, 0xd00, v0
	v_cmp_gt_u32_e64 s[28:29], s33, v20
	v_lshlrev_b32_e32 v28, 2, v20
                                        ; implicit-def: $vgpr20
	s_and_saveexec_b64 s[34:35], s[28:29]
	s_cbranch_execz .LBB347_35
; %bb.34:
	v_add_co_u32_e64 v20, s[30:31], v31, v28
	v_addc_co_u32_e64 v21, s[30:31], 0, v35, s[30:31]
	flat_load_dword v20, v[20:21]
.LBB347_35:
	s_or_b64 exec, exec, s[34:35]
	v_or_b32_e32 v21, 0xe00, v0
	v_cmp_gt_u32_e64 s[30:31], s33, v21
	v_lshlrev_b32_e32 v29, 2, v21
                                        ; implicit-def: $vgpr21
	s_and_saveexec_b64 s[38:39], s[30:31]
	s_cbranch_execz .LBB347_37
; %bb.36:
	v_add_co_u32_e64 v32, s[34:35], v31, v29
	v_addc_co_u32_e64 v33, s[34:35], 0, v35, s[34:35]
	flat_load_dword v21, v[32:33]
.LBB347_37:
	s_or_b64 exec, exec, s[38:39]
	v_lshlrev_b32_e32 v24, 2, v0
	v_mad_u32_u24 v30, v0, 56, v24
	s_waitcnt vmcnt(0) lgkmcnt(0)
	ds_write2st64_b32 v24, v1, v8 offset1:4
	ds_write2st64_b32 v24, v9, v10 offset0:8 offset1:12
	ds_write2st64_b32 v24, v11, v12 offset0:16 offset1:20
	;; [unrolled: 1-line block ×6, first 2 shown]
	ds_write_b32 v24, v21 offset:14336
	s_waitcnt lgkmcnt(0)
	s_barrier
	ds_read2_b32 v[20:21], v30 offset1:1
	ds_read2_b32 v[18:19], v30 offset0:2 offset1:3
	ds_read2_b32 v[16:17], v30 offset0:4 offset1:5
	;; [unrolled: 1-line block ×6, first 2 shown]
	ds_read_b32 v1, v30 offset:56
	s_waitcnt lgkmcnt(0)
	s_barrier
	s_waitcnt lgkmcnt(0)
                                        ; implicit-def: $vgpr32
	s_and_saveexec_b64 s[34:35], vcc
	s_cbranch_execnz .LBB347_61
; %bb.38:
	s_or_b64 exec, exec, s[34:35]
                                        ; implicit-def: $vgpr33
	s_and_saveexec_b64 s[34:35], s[4:5]
	s_cbranch_execnz .LBB347_62
.LBB347_39:
	s_or_b64 exec, exec, s[34:35]
                                        ; implicit-def: $vgpr34
	s_and_saveexec_b64 s[4:5], s[6:7]
	s_cbranch_execnz .LBB347_63
.LBB347_40:
	s_or_b64 exec, exec, s[4:5]
                                        ; implicit-def: $vgpr36
	s_and_saveexec_b64 s[4:5], s[8:9]
	s_cbranch_execnz .LBB347_64
.LBB347_41:
	s_or_b64 exec, exec, s[4:5]
                                        ; implicit-def: $vgpr37
	s_and_saveexec_b64 s[4:5], s[10:11]
	s_cbranch_execnz .LBB347_65
.LBB347_42:
	s_or_b64 exec, exec, s[4:5]
                                        ; implicit-def: $vgpr2
	s_and_saveexec_b64 s[4:5], s[12:13]
	s_cbranch_execnz .LBB347_66
.LBB347_43:
	s_or_b64 exec, exec, s[4:5]
                                        ; implicit-def: $vgpr3
	s_and_saveexec_b64 s[4:5], s[14:15]
	s_cbranch_execnz .LBB347_67
.LBB347_44:
	s_or_b64 exec, exec, s[4:5]
                                        ; implicit-def: $vgpr4
	s_and_saveexec_b64 s[4:5], s[16:17]
	s_cbranch_execnz .LBB347_68
.LBB347_45:
	s_or_b64 exec, exec, s[4:5]
                                        ; implicit-def: $vgpr5
	s_and_saveexec_b64 s[4:5], s[18:19]
	s_cbranch_execnz .LBB347_69
.LBB347_46:
	s_or_b64 exec, exec, s[4:5]
                                        ; implicit-def: $vgpr6
	s_and_saveexec_b64 s[4:5], s[20:21]
	s_cbranch_execnz .LBB347_70
.LBB347_47:
	s_or_b64 exec, exec, s[4:5]
                                        ; implicit-def: $vgpr7
	s_and_saveexec_b64 s[4:5], s[22:23]
	s_cbranch_execnz .LBB347_71
.LBB347_48:
	s_or_b64 exec, exec, s[4:5]
                                        ; implicit-def: $vgpr25
	s_and_saveexec_b64 s[4:5], s[24:25]
	s_cbranch_execnz .LBB347_72
.LBB347_49:
	s_or_b64 exec, exec, s[4:5]
                                        ; implicit-def: $vgpr26
	s_and_saveexec_b64 s[4:5], s[26:27]
	s_cbranch_execnz .LBB347_73
.LBB347_50:
	s_or_b64 exec, exec, s[4:5]
                                        ; implicit-def: $vgpr27
	s_and_saveexec_b64 s[4:5], s[28:29]
	s_cbranch_execnz .LBB347_74
.LBB347_51:
	s_or_b64 exec, exec, s[4:5]
                                        ; implicit-def: $vgpr28
	s_and_saveexec_b64 s[4:5], s[30:31]
	s_cbranch_execz .LBB347_53
.LBB347_52:
	v_add_co_u32_e32 v22, vcc, v22, v29
	v_addc_co_u32_e32 v23, vcc, 0, v23, vcc
	flat_load_dword v28, v[22:23]
.LBB347_53:
	s_or_b64 exec, exec, s[4:5]
	s_waitcnt vmcnt(0) lgkmcnt(0)
	ds_write2st64_b32 v24, v32, v33 offset1:4
	ds_write2st64_b32 v24, v34, v36 offset0:8 offset1:12
	ds_write2st64_b32 v24, v37, v2 offset0:16 offset1:20
	;; [unrolled: 1-line block ×6, first 2 shown]
	ds_write_b32 v24, v28 offset:14336
	v_mov_b32_e32 v26, v20
	v_mov_b32_e32 v27, v18
	;; [unrolled: 1-line block ×7, first 2 shown]
	s_waitcnt lgkmcnt(0)
	s_barrier
.LBB347_54:
	ds_read2_b32 v[48:49], v30 offset1:1
	ds_read2_b32 v[42:43], v30 offset0:2 offset1:3
	ds_read2_b32 v[36:37], v30 offset0:4 offset1:5
	;; [unrolled: 1-line block ×6, first 2 shown]
	ds_read_b32 v82, v30 offset:56
	s_cmp_eq_u64 s[40:41], 0
	s_cselect_b64 s[38:39], -1, 0
	s_cmp_lg_u64 s[40:41], 0
	s_mov_b64 s[34:35], 0
	s_cselect_b64 s[6:7], -1, 0
	s_and_b64 vcc, exec, s[48:49]
	s_waitcnt lgkmcnt(0)
	s_barrier
	s_cbranch_vccz .LBB347_60
; %bb.55:
	s_and_b64 vcc, exec, s[6:7]
	s_cbranch_vccz .LBB347_75
; %bb.56:
	v_add_co_u32_e32 v38, vcc, -4, v31
	v_addc_co_u32_e32 v39, vcc, -1, v35, vcc
	flat_load_dword v7, v[38:39]
	v_lshlrev_b32_e32 v30, 2, v0
	ds_write_b32 v30, v1
	s_waitcnt lgkmcnt(0)
	s_barrier
	s_and_saveexec_b64 s[4:5], s[2:3]
	s_cbranch_execz .LBB347_58
; %bb.57:
	s_waitcnt vmcnt(0)
	v_add_u32_e32 v7, -4, v30
	ds_read_b32 v7, v7
.LBB347_58:
	s_or_b64 exec, exec, s[4:5]
	v_cmp_ne_u32_e32 vcc, v26, v21
	v_cndmask_b32_e64 v79, 0, 1, vcc
	v_cmp_ne_u32_e32 vcc, v27, v21
	v_cndmask_b32_e64 v78, 0, 1, vcc
	;; [unrolled: 2-line block ×14, first 2 shown]
	s_waitcnt vmcnt(0) lgkmcnt(0)
	v_cmp_ne_u32_e64 s[4:5], v7, v20
	s_mov_b64 s[34:35], -1
.LBB347_59:
                                        ; implicit-def: $sgpr10
	s_branch .LBB347_87
.LBB347_60:
                                        ; implicit-def: $sgpr4_sgpr5
                                        ; implicit-def: $vgpr66
                                        ; implicit-def: $vgpr67
                                        ; implicit-def: $vgpr68
                                        ; implicit-def: $vgpr69
                                        ; implicit-def: $vgpr70
                                        ; implicit-def: $vgpr71
                                        ; implicit-def: $vgpr72
                                        ; implicit-def: $vgpr73
                                        ; implicit-def: $vgpr74
                                        ; implicit-def: $vgpr75
                                        ; implicit-def: $vgpr76
                                        ; implicit-def: $vgpr77
                                        ; implicit-def: $vgpr78
                                        ; implicit-def: $vgpr79
                                        ; implicit-def: $sgpr10
	s_cbranch_execnz .LBB347_79
	s_branch .LBB347_87
.LBB347_61:
	v_add_co_u32_e32 v32, vcc, v22, v24
	v_addc_co_u32_e32 v33, vcc, 0, v23, vcc
	flat_load_dword v32, v[32:33]
	s_or_b64 exec, exec, s[34:35]
                                        ; implicit-def: $vgpr33
	s_and_saveexec_b64 s[34:35], s[4:5]
	s_cbranch_execz .LBB347_39
.LBB347_62:
	v_add_co_u32_e32 v36, vcc, v22, v24
	v_addc_co_u32_e32 v37, vcc, 0, v23, vcc
	flat_load_dword v33, v[36:37] offset:1024
	s_or_b64 exec, exec, s[34:35]
                                        ; implicit-def: $vgpr34
	s_and_saveexec_b64 s[4:5], s[6:7]
	s_cbranch_execz .LBB347_40
.LBB347_63:
	v_add_co_u32_e32 v36, vcc, v22, v24
	v_addc_co_u32_e32 v37, vcc, 0, v23, vcc
	flat_load_dword v34, v[36:37] offset:2048
	s_or_b64 exec, exec, s[4:5]
                                        ; implicit-def: $vgpr36
	s_and_saveexec_b64 s[4:5], s[8:9]
	s_cbranch_execz .LBB347_41
.LBB347_64:
	v_add_co_u32_e32 v36, vcc, v22, v24
	v_addc_co_u32_e32 v37, vcc, 0, v23, vcc
	flat_load_dword v36, v[36:37] offset:3072
	s_or_b64 exec, exec, s[4:5]
                                        ; implicit-def: $vgpr37
	s_and_saveexec_b64 s[4:5], s[10:11]
	s_cbranch_execz .LBB347_42
.LBB347_65:
	v_add_co_u32_e32 v38, vcc, v22, v2
	v_addc_co_u32_e32 v39, vcc, 0, v23, vcc
	flat_load_dword v37, v[38:39]
	s_or_b64 exec, exec, s[4:5]
                                        ; implicit-def: $vgpr2
	s_and_saveexec_b64 s[4:5], s[12:13]
	s_cbranch_execz .LBB347_43
.LBB347_66:
	v_add_co_u32_e32 v2, vcc, v22, v3
	v_addc_co_u32_e32 v3, vcc, 0, v23, vcc
	flat_load_dword v2, v[2:3]
	s_or_b64 exec, exec, s[4:5]
                                        ; implicit-def: $vgpr3
	s_and_saveexec_b64 s[4:5], s[14:15]
	s_cbranch_execz .LBB347_44
.LBB347_67:
	v_add_co_u32_e32 v38, vcc, v22, v4
	v_addc_co_u32_e32 v39, vcc, 0, v23, vcc
	flat_load_dword v3, v[38:39]
	s_or_b64 exec, exec, s[4:5]
                                        ; implicit-def: $vgpr4
	s_and_saveexec_b64 s[4:5], s[16:17]
	s_cbranch_execz .LBB347_45
.LBB347_68:
	v_add_co_u32_e32 v4, vcc, v22, v5
	v_addc_co_u32_e32 v5, vcc, 0, v23, vcc
	flat_load_dword v4, v[4:5]
	s_or_b64 exec, exec, s[4:5]
                                        ; implicit-def: $vgpr5
	s_and_saveexec_b64 s[4:5], s[18:19]
	s_cbranch_execz .LBB347_46
.LBB347_69:
	v_add_co_u32_e32 v38, vcc, v22, v6
	v_addc_co_u32_e32 v39, vcc, 0, v23, vcc
	flat_load_dword v5, v[38:39]
	s_or_b64 exec, exec, s[4:5]
                                        ; implicit-def: $vgpr6
	s_and_saveexec_b64 s[4:5], s[20:21]
	s_cbranch_execz .LBB347_47
.LBB347_70:
	v_add_co_u32_e32 v6, vcc, v22, v7
	v_addc_co_u32_e32 v7, vcc, 0, v23, vcc
	flat_load_dword v6, v[6:7]
	s_or_b64 exec, exec, s[4:5]
                                        ; implicit-def: $vgpr7
	s_and_saveexec_b64 s[4:5], s[22:23]
	s_cbranch_execz .LBB347_48
.LBB347_71:
	v_add_co_u32_e32 v38, vcc, v22, v25
	v_addc_co_u32_e32 v39, vcc, 0, v23, vcc
	flat_load_dword v7, v[38:39]
	s_or_b64 exec, exec, s[4:5]
                                        ; implicit-def: $vgpr25
	s_and_saveexec_b64 s[4:5], s[24:25]
	s_cbranch_execz .LBB347_49
.LBB347_72:
	v_add_co_u32_e32 v38, vcc, v22, v26
	v_addc_co_u32_e32 v39, vcc, 0, v23, vcc
	flat_load_dword v25, v[38:39]
	s_or_b64 exec, exec, s[4:5]
                                        ; implicit-def: $vgpr26
	s_and_saveexec_b64 s[4:5], s[26:27]
	s_cbranch_execz .LBB347_50
.LBB347_73:
	v_add_co_u32_e32 v26, vcc, v22, v27
	v_addc_co_u32_e32 v27, vcc, 0, v23, vcc
	flat_load_dword v26, v[26:27]
	s_or_b64 exec, exec, s[4:5]
                                        ; implicit-def: $vgpr27
	s_and_saveexec_b64 s[4:5], s[28:29]
	s_cbranch_execz .LBB347_51
.LBB347_74:
	v_add_co_u32_e32 v38, vcc, v22, v28
	v_addc_co_u32_e32 v39, vcc, 0, v23, vcc
	flat_load_dword v27, v[38:39]
	s_or_b64 exec, exec, s[4:5]
                                        ; implicit-def: $vgpr28
	s_and_saveexec_b64 s[4:5], s[30:31]
	s_cbranch_execnz .LBB347_52
	s_branch .LBB347_53
.LBB347_75:
                                        ; implicit-def: $sgpr4_sgpr5
                                        ; implicit-def: $vgpr66
                                        ; implicit-def: $vgpr67
                                        ; implicit-def: $vgpr68
                                        ; implicit-def: $vgpr69
                                        ; implicit-def: $vgpr70
                                        ; implicit-def: $vgpr71
                                        ; implicit-def: $vgpr72
                                        ; implicit-def: $vgpr73
                                        ; implicit-def: $vgpr74
                                        ; implicit-def: $vgpr75
                                        ; implicit-def: $vgpr76
                                        ; implicit-def: $vgpr77
                                        ; implicit-def: $vgpr78
                                        ; implicit-def: $vgpr79
	s_cbranch_execz .LBB347_59
; %bb.76:
	v_cmp_ne_u32_e32 vcc, v21, v26
	v_cndmask_b32_e64 v79, 0, 1, vcc
	v_cmp_ne_u32_e32 vcc, v21, v27
	v_cndmask_b32_e64 v78, 0, 1, vcc
	;; [unrolled: 2-line block ×13, first 2 shown]
	v_cmp_ne_u32_e32 vcc, v9, v1
	v_lshlrev_b32_e32 v7, 2, v0
	v_cndmask_b32_e64 v66, 0, 1, vcc
	ds_write_b32 v7, v1
	s_waitcnt lgkmcnt(0)
	s_barrier
	s_waitcnt lgkmcnt(0)
                                        ; implicit-def: $sgpr4_sgpr5
	s_and_saveexec_b64 s[8:9], s[2:3]
	s_xor_b64 s[8:9], exec, s[8:9]
	s_cbranch_execz .LBB347_78
; %bb.77:
	v_add_u32_e32 v2, -4, v7
	ds_read_b32 v2, v2
	s_or_b64 s[34:35], s[34:35], exec
	s_waitcnt lgkmcnt(0)
	v_cmp_ne_u32_e32 vcc, v2, v20
	s_and_b64 s[4:5], vcc, exec
.LBB347_78:
	s_or_b64 exec, exec, s[8:9]
	s_mov_b32 s10, 1
	s_branch .LBB347_87
.LBB347_79:
	s_mul_hi_u32 s5, s40, 0xfffff100
	s_mul_i32 s4, s41, 0xfffff100
	s_sub_i32 s5, s5, s40
	s_add_i32 s5, s5, s4
	s_mul_i32 s4, s40, 0xfffff100
	s_add_u32 s40, s4, s56
	s_addc_u32 s41, s5, s57
	s_and_b64 vcc, exec, s[6:7]
	v_cmp_ne_u32_e64 s[30:31], v9, v1
	v_cmp_ne_u32_e64 s[28:29], v8, v9
	;; [unrolled: 1-line block ×14, first 2 shown]
	v_mad_u32_u24 v2, v0, 15, 14
	v_mad_u32_u24 v56, v0, 15, 13
	;; [unrolled: 1-line block ×14, first 2 shown]
	s_cbranch_vccz .LBB347_84
; %bb.80:
	v_add_co_u32_e32 v58, vcc, -4, v31
	v_addc_co_u32_e32 v59, vcc, -1, v35, vcc
	flat_load_dword v60, v[58:59]
	v_mov_b32_e32 v3, 0
	v_cmp_gt_u64_e32 vcc, s[40:41], v[2:3]
	v_mov_b32_e32 v57, v3
	s_and_b64 s[30:31], vcc, s[30:31]
	v_cmp_gt_u64_e32 vcc, s[40:41], v[56:57]
	v_mov_b32_e32 v55, v3
	s_and_b64 s[28:29], vcc, s[28:29]
	;; [unrolled: 3-line block ×13, first 2 shown]
	v_cmp_gt_u64_e32 vcc, s[40:41], v[4:5]
	v_lshlrev_b32_e32 v59, 2, v0
	v_mul_u32_u24_e32 v58, 15, v0
	s_and_b64 s[4:5], vcc, s[4:5]
	ds_write_b32 v59, v1
	s_waitcnt lgkmcnt(0)
	s_barrier
	s_and_saveexec_b64 s[34:35], s[2:3]
	s_cbranch_execz .LBB347_82
; %bb.81:
	v_add_u32_e32 v5, -4, v59
	s_waitcnt vmcnt(0)
	ds_read_b32 v60, v5
.LBB347_82:
	s_or_b64 exec, exec, s[34:35]
	v_mov_b32_e32 v59, v3
	v_cndmask_b32_e64 v79, 0, 1, s[4:5]
	v_cmp_gt_u64_e32 vcc, s[40:41], v[58:59]
	s_waitcnt vmcnt(0) lgkmcnt(0)
	v_cmp_ne_u32_e64 s[4:5], v60, v20
	v_cndmask_b32_e64 v66, 0, 1, s[30:31]
	v_cndmask_b32_e64 v67, 0, 1, s[28:29]
	;; [unrolled: 1-line block ×13, first 2 shown]
	s_and_b64 s[4:5], vcc, s[4:5]
	s_mov_b64 s[34:35], -1
.LBB347_83:
                                        ; implicit-def: $sgpr10
	v_mov_b32_e32 v81, s10
	s_and_saveexec_b64 s[2:3], s[34:35]
	s_cbranch_execnz .LBB347_88
	s_branch .LBB347_89
.LBB347_84:
                                        ; implicit-def: $sgpr4_sgpr5
                                        ; implicit-def: $vgpr66
                                        ; implicit-def: $vgpr67
                                        ; implicit-def: $vgpr68
                                        ; implicit-def: $vgpr69
                                        ; implicit-def: $vgpr70
                                        ; implicit-def: $vgpr71
                                        ; implicit-def: $vgpr72
                                        ; implicit-def: $vgpr73
                                        ; implicit-def: $vgpr74
                                        ; implicit-def: $vgpr75
                                        ; implicit-def: $vgpr76
                                        ; implicit-def: $vgpr77
                                        ; implicit-def: $vgpr78
                                        ; implicit-def: $vgpr79
	s_cbranch_execz .LBB347_83
; %bb.85:
	v_mov_b32_e32 v3, 0
	v_cmp_gt_u64_e32 vcc, s[40:41], v[2:3]
	v_cmp_ne_u32_e64 s[4:5], v9, v1
	s_and_b64 s[4:5], vcc, s[4:5]
	v_mov_b32_e32 v57, v3
	v_cndmask_b32_e64 v66, 0, 1, s[4:5]
	v_cmp_gt_u64_e32 vcc, s[40:41], v[56:57]
	v_cmp_ne_u32_e64 s[4:5], v8, v9
	s_and_b64 s[4:5], vcc, s[4:5]
	v_mov_b32_e32 v55, v3
	v_cndmask_b32_e64 v67, 0, 1, s[4:5]
	;; [unrolled: 5-line block ×13, first 2 shown]
	v_cmp_gt_u64_e32 vcc, s[40:41], v[4:5]
	v_cmp_ne_u32_e64 s[4:5], v20, v21
	s_and_b64 s[4:5], vcc, s[4:5]
	v_lshlrev_b32_e32 v58, 2, v0
	s_mov_b32 s10, 1
	v_cndmask_b32_e64 v79, 0, 1, s[4:5]
	ds_write_b32 v58, v1
	s_waitcnt lgkmcnt(0)
	s_barrier
	s_waitcnt lgkmcnt(0)
                                        ; implicit-def: $sgpr4_sgpr5
	s_and_saveexec_b64 s[6:7], s[2:3]
	s_cbranch_execz .LBB347_192
; %bb.86:
	v_add_u32_e32 v2, -4, v58
	ds_read_b32 v4, v2
	v_mul_u32_u24_e32 v2, 15, v0
	v_cmp_gt_u64_e32 vcc, s[40:41], v[2:3]
	s_or_b64 s[34:35], s[34:35], exec
	s_waitcnt lgkmcnt(0)
	v_cmp_ne_u32_e64 s[2:3], v4, v20
	s_and_b64 s[2:3], vcc, s[2:3]
	s_and_b64 s[4:5], s[2:3], exec
	s_or_b64 exec, exec, s[6:7]
.LBB347_87:
	v_mov_b32_e32 v81, s10
	s_and_saveexec_b64 s[2:3], s[34:35]
.LBB347_88:
	v_cndmask_b32_e64 v81, 0, 1, s[4:5]
.LBB347_89:
	s_or_b64 exec, exec, s[2:3]
	s_cmp_eq_u64 s[46:47], 0
	v_add3_u32 v2, v79, v81, v78
	s_cselect_b64 s[34:35], -1, 0
	s_cmp_lg_u32 s62, 0
	v_cmp_eq_u32_e64 s[26:27], 0, v79
	v_cmp_eq_u32_e64 s[24:25], 0, v78
	;; [unrolled: 1-line block ×3, first 2 shown]
	v_add3_u32 v86, v2, v77, v76
	v_cmp_eq_u32_e64 s[20:21], 0, v76
	v_cmp_eq_u32_e64 s[18:19], 0, v75
	;; [unrolled: 1-line block ×10, first 2 shown]
	v_cmp_eq_u32_e32 vcc, 0, v66
	v_mbcnt_lo_u32_b32 v85, -1, 0
	v_lshrrev_b32_e32 v83, 6, v0
	v_or_b32_e32 v84, 63, v0
	s_cbranch_scc0 .LBB347_116
; %bb.90:
	v_cndmask_b32_e64 v2, 0, v48, s[26:27]
	v_add_u32_e32 v2, v2, v49
	v_cndmask_b32_e64 v2, 0, v2, s[24:25]
	v_add_u32_e32 v2, v2, v42
	;; [unrolled: 2-line block ×11, first 2 shown]
	v_cndmask_b32_e64 v2, 0, v2, s[4:5]
	v_add3_u32 v3, v86, v75, v74
	v_add_u32_e32 v2, v2, v22
	v_add3_u32 v3, v3, v73, v72
	v_cndmask_b32_e64 v2, 0, v2, s[2:3]
	v_add3_u32 v3, v3, v71, v70
	v_add_u32_e32 v2, v2, v23
	v_add3_u32 v3, v3, v69, v68
	v_cndmask_b32_e32 v2, 0, v2, vcc
	v_add3_u32 v3, v3, v67, v66
	v_add_u32_e32 v2, v2, v82
	v_mbcnt_hi_u32_b32 v31, -1, v85
	v_and_b32_e32 v4, 15, v31
	v_mov_b32_dpp v6, v2 row_shr:1 row_mask:0xf bank_mask:0xf
	v_cmp_eq_u32_e32 vcc, 0, v3
	v_mov_b32_dpp v5, v3 row_shr:1 row_mask:0xf bank_mask:0xf
	v_cndmask_b32_e32 v6, 0, v6, vcc
	v_cmp_eq_u32_e32 vcc, 0, v4
	v_cndmask_b32_e64 v5, v5, 0, vcc
	v_add_u32_e32 v3, v5, v3
	v_cndmask_b32_e64 v5, v6, 0, vcc
	v_add_u32_e32 v2, v5, v2
	v_cmp_eq_u32_e32 vcc, 0, v3
	v_mov_b32_dpp v5, v3 row_shr:2 row_mask:0xf bank_mask:0xf
	v_cmp_lt_u32_e64 s[28:29], 1, v4
	v_mov_b32_dpp v6, v2 row_shr:2 row_mask:0xf bank_mask:0xf
	v_cndmask_b32_e64 v5, 0, v5, s[28:29]
	s_and_b64 vcc, s[28:29], vcc
	v_cndmask_b32_e32 v6, 0, v6, vcc
	v_add_u32_e32 v3, v3, v5
	v_add_u32_e32 v2, v6, v2
	v_cmp_eq_u32_e32 vcc, 0, v3
	v_mov_b32_dpp v5, v3 row_shr:4 row_mask:0xf bank_mask:0xf
	v_cmp_lt_u32_e64 s[28:29], 3, v4
	v_mov_b32_dpp v6, v2 row_shr:4 row_mask:0xf bank_mask:0xf
	v_cndmask_b32_e64 v5, 0, v5, s[28:29]
	s_and_b64 vcc, s[28:29], vcc
	v_cndmask_b32_e32 v6, 0, v6, vcc
	v_add_u32_e32 v3, v5, v3
	v_add_u32_e32 v2, v2, v6
	v_cmp_eq_u32_e32 vcc, 0, v3
	v_cmp_lt_u32_e64 s[28:29], 7, v4
	v_mov_b32_dpp v5, v3 row_shr:8 row_mask:0xf bank_mask:0xf
	v_mov_b32_dpp v6, v2 row_shr:8 row_mask:0xf bank_mask:0xf
	s_and_b64 vcc, s[28:29], vcc
	v_cndmask_b32_e64 v4, 0, v5, s[28:29]
	v_cndmask_b32_e32 v5, 0, v6, vcc
	v_add_u32_e32 v2, v5, v2
	v_add_u32_e32 v3, v4, v3
	v_bfe_i32 v6, v31, 4, 1
	v_mov_b32_dpp v5, v2 row_bcast:15 row_mask:0xf bank_mask:0xf
	v_mov_b32_dpp v4, v3 row_bcast:15 row_mask:0xf bank_mask:0xf
	v_cmp_eq_u32_e32 vcc, 0, v3
	v_cndmask_b32_e32 v5, 0, v5, vcc
	v_and_b32_e32 v4, v6, v4
	v_add_u32_e32 v3, v4, v3
	v_and_b32_e32 v4, v6, v5
	v_add_u32_e32 v4, v4, v2
	v_mov_b32_dpp v2, v3 row_bcast:31 row_mask:0xf bank_mask:0xf
	v_cmp_eq_u32_e32 vcc, 0, v3
	v_cmp_lt_u32_e64 s[28:29], 31, v31
	v_mov_b32_dpp v5, v4 row_bcast:31 row_mask:0xf bank_mask:0xf
	v_cndmask_b32_e64 v2, 0, v2, s[28:29]
	s_and_b64 vcc, s[28:29], vcc
	v_add_u32_e32 v2, v2, v3
	v_cndmask_b32_e32 v3, 0, v5, vcc
	v_add_u32_e32 v3, v3, v4
	v_cmp_eq_u32_e32 vcc, v84, v0
	v_lshlrev_b32_e32 v4, 3, v83
	s_and_saveexec_b64 s[28:29], vcc
	s_cbranch_execz .LBB347_92
; %bb.91:
	ds_write_b64 v4, v[2:3] offset:2064
.LBB347_92:
	s_or_b64 exec, exec, s[28:29]
	v_cmp_gt_u32_e32 vcc, 4, v0
	s_waitcnt lgkmcnt(0)
	s_barrier
	s_and_saveexec_b64 s[30:31], vcc
	s_cbranch_execz .LBB347_94
; %bb.93:
	v_lshlrev_b32_e32 v5, 3, v0
	ds_read_b64 v[6:7], v5 offset:2064
	v_and_b32_e32 v26, 3, v31
	v_cmp_lt_u32_e64 s[28:29], 1, v26
	s_waitcnt lgkmcnt(0)
	v_mov_b32_dpp v30, v7 row_shr:1 row_mask:0xf bank_mask:0xf
	v_cmp_eq_u32_e32 vcc, 0, v6
	v_mov_b32_dpp v27, v6 row_shr:1 row_mask:0xf bank_mask:0xf
	v_cndmask_b32_e32 v30, 0, v30, vcc
	v_cmp_eq_u32_e32 vcc, 0, v26
	v_cndmask_b32_e64 v27, v27, 0, vcc
	v_add_u32_e32 v6, v27, v6
	v_cndmask_b32_e64 v27, v30, 0, vcc
	v_add_u32_e32 v7, v27, v7
	v_cmp_eq_u32_e32 vcc, 0, v6
	v_mov_b32_dpp v27, v6 row_shr:2 row_mask:0xf bank_mask:0xf
	v_mov_b32_dpp v30, v7 row_shr:2 row_mask:0xf bank_mask:0xf
	v_cndmask_b32_e64 v26, 0, v27, s[28:29]
	s_and_b64 vcc, s[28:29], vcc
	v_add_u32_e32 v6, v26, v6
	v_cndmask_b32_e32 v26, 0, v30, vcc
	v_add_u32_e32 v7, v26, v7
	ds_write_b64 v5, v[6:7] offset:2064
.LBB347_94:
	s_or_b64 exec, exec, s[30:31]
	v_cmp_gt_u32_e32 vcc, 64, v0
	v_cmp_lt_u32_e64 s[28:29], 63, v0
	v_mov_b32_e32 v26, 0
	v_mov_b32_e32 v27, 0
	s_waitcnt lgkmcnt(0)
	s_barrier
	s_and_saveexec_b64 s[30:31], s[28:29]
	s_cbranch_execz .LBB347_96
; %bb.95:
	ds_read_b64 v[26:27], v4 offset:2056
	v_cmp_eq_u32_e64 s[28:29], 0, v2
	s_waitcnt lgkmcnt(0)
	v_add_u32_e32 v4, v26, v2
	v_cndmask_b32_e64 v2, 0, v27, s[28:29]
	v_add_u32_e32 v3, v2, v3
	v_mov_b32_e32 v2, v4
.LBB347_96:
	s_or_b64 exec, exec, s[30:31]
	v_add_u32_e32 v4, -1, v31
	v_and_b32_e32 v5, 64, v31
	v_cmp_lt_i32_e64 s[28:29], v4, v5
	v_cndmask_b32_e64 v4, v4, v31, s[28:29]
	v_lshlrev_b32_e32 v4, 2, v4
	ds_bpermute_b32 v40, v4, v2
	ds_bpermute_b32 v41, v4, v3
	v_cmp_eq_u32_e64 s[28:29], 0, v31
	s_and_saveexec_b64 s[40:41], vcc
	s_cbranch_execz .LBB347_115
; %bb.97:
	v_mov_b32_e32 v7, 0
	ds_read_b64 v[2:3], v7 offset:2088
	s_waitcnt lgkmcnt(0)
	v_readfirstlane_b32 s48, v2
	v_readfirstlane_b32 s49, v3
	s_and_saveexec_b64 s[30:31], s[28:29]
	s_cbranch_execz .LBB347_99
; %bb.98:
	s_add_i32 s46, s62, 64
	s_mov_b32 s47, 0
	s_lshl_b64 s[50:51], s[46:47], 4
	s_add_u32 s50, s44, s50
	s_addc_u32 s51, s45, s51
	s_and_b32 s57, s49, 0xff000000
	s_mov_b32 s56, s47
	s_and_b32 s65, s49, 0xff0000
	s_mov_b32 s64, s47
	s_or_b64 s[56:57], s[64:65], s[56:57]
	s_and_b32 s65, s49, 0xff00
	s_or_b64 s[56:57], s[56:57], s[64:65]
	s_and_b32 s65, s49, 0xff
	s_or_b64 s[46:47], s[56:57], s[64:65]
	v_mov_b32_e32 v4, s48
	v_mov_b32_e32 v5, s47
	;; [unrolled: 1-line block ×3, first 2 shown]
	v_pk_mov_b32 v[2:3], s[50:51], s[50:51] op_sel:[0,1]
	;;#ASMSTART
	global_store_dwordx4 v[2:3], v[4:7] off	
s_waitcnt vmcnt(0)
	;;#ASMEND
.LBB347_99:
	s_or_b64 exec, exec, s[30:31]
	v_xad_u32 v30, v31, -1, s62
	v_add_u32_e32 v6, 64, v30
	v_lshlrev_b64 v[2:3], 4, v[6:7]
	v_mov_b32_e32 v4, s45
	v_add_co_u32_e32 v34, vcc, s44, v2
	v_addc_co_u32_e32 v35, vcc, v4, v3, vcc
	;;#ASMSTART
	global_load_dwordx4 v[2:5], v[34:35] off glc	
s_waitcnt vmcnt(0)
	;;#ASMEND
	v_and_b32_e32 v5, 0xff, v3
	v_and_b32_e32 v6, 0xff00, v3
	;; [unrolled: 1-line block ×3, first 2 shown]
	v_or3_b32 v5, 0, v5, v6
	v_or3_b32 v2, v2, 0, 0
	v_and_b32_e32 v3, 0xff000000, v3
	v_or3_b32 v3, v5, v38, v3
	v_or3_b32 v2, v2, 0, 0
	v_cmp_eq_u16_sdwa s[46:47], v4, v7 src0_sel:BYTE_0 src1_sel:DWORD
	s_and_saveexec_b64 s[30:31], s[46:47]
	s_cbranch_execz .LBB347_103
; %bb.100:
	s_mov_b64 s[46:47], 0
	v_mov_b32_e32 v6, 0
.LBB347_101:                            ; =>This Inner Loop Header: Depth=1
	;;#ASMSTART
	global_load_dwordx4 v[2:5], v[34:35] off glc	
s_waitcnt vmcnt(0)
	;;#ASMEND
	v_cmp_ne_u16_sdwa s[50:51], v4, v6 src0_sel:BYTE_0 src1_sel:DWORD
	s_or_b64 s[46:47], s[50:51], s[46:47]
	s_andn2_b64 exec, exec, s[46:47]
	s_cbranch_execnz .LBB347_101
; %bb.102:
	s_or_b64 exec, exec, s[46:47]
.LBB347_103:
	s_or_b64 exec, exec, s[30:31]
	v_mov_b32_e32 v44, 2
	v_cmp_eq_u16_sdwa s[30:31], v4, v44 src0_sel:BYTE_0 src1_sel:DWORD
	v_lshlrev_b64 v[34:35], v31, -1
	v_and_b32_e32 v5, s31, v35
	v_and_b32_e32 v45, 63, v31
	v_or_b32_e32 v5, 0x80000000, v5
	v_cmp_ne_u32_e32 vcc, 63, v45
	v_and_b32_e32 v6, s30, v34
	v_ffbl_b32_e32 v5, v5
	v_addc_co_u32_e32 v7, vcc, 0, v31, vcc
	v_add_u32_e32 v5, 32, v5
	v_ffbl_b32_e32 v6, v6
	v_lshlrev_b32_e32 v46, 2, v7
	v_min_u32_e32 v5, v6, v5
	ds_bpermute_b32 v6, v46, v3
	v_cmp_eq_u32_e32 vcc, 0, v2
	v_cmp_lt_u32_e64 s[30:31], v45, v5
	ds_bpermute_b32 v7, v46, v2
	s_and_b64 vcc, s[30:31], vcc
	s_waitcnt lgkmcnt(1)
	v_cndmask_b32_e32 v6, 0, v6, vcc
	v_cmp_gt_u32_e32 vcc, 62, v45
	v_add_u32_e32 v3, v6, v3
	v_cndmask_b32_e64 v6, 0, 1, vcc
	v_lshlrev_b32_e32 v6, 1, v6
	v_add_lshl_u32 v47, v6, v31, 2
	s_waitcnt lgkmcnt(0)
	v_cndmask_b32_e64 v7, 0, v7, s[30:31]
	ds_bpermute_b32 v6, v47, v3
	v_add_u32_e32 v2, v7, v2
	ds_bpermute_b32 v7, v47, v2
	v_add_u32_e32 v50, 2, v45
	v_cmp_eq_u32_e32 vcc, 0, v2
	s_waitcnt lgkmcnt(1)
	v_cndmask_b32_e32 v6, 0, v6, vcc
	v_cmp_gt_u32_e32 vcc, v50, v5
	v_cndmask_b32_e64 v6, v6, 0, vcc
	v_add_u32_e32 v3, v6, v3
	s_waitcnt lgkmcnt(0)
	v_cndmask_b32_e64 v6, v7, 0, vcc
	v_cmp_gt_u32_e32 vcc, 60, v45
	v_cndmask_b32_e64 v7, 0, 1, vcc
	v_lshlrev_b32_e32 v7, 2, v7
	v_add_lshl_u32 v51, v7, v31, 2
	ds_bpermute_b32 v7, v51, v3
	v_add_u32_e32 v2, v2, v6
	ds_bpermute_b32 v6, v51, v2
	v_add_u32_e32 v52, 4, v45
	v_cmp_eq_u32_e32 vcc, 0, v2
	s_waitcnt lgkmcnt(1)
	v_cndmask_b32_e32 v7, 0, v7, vcc
	v_cmp_gt_u32_e32 vcc, v52, v5
	v_cndmask_b32_e64 v7, v7, 0, vcc
	s_waitcnt lgkmcnt(0)
	v_cndmask_b32_e64 v6, v6, 0, vcc
	v_cmp_gt_u32_e32 vcc, 56, v45
	v_add_u32_e32 v3, v3, v7
	v_cndmask_b32_e64 v7, 0, 1, vcc
	v_lshlrev_b32_e32 v7, 3, v7
	v_add_lshl_u32 v53, v7, v31, 2
	ds_bpermute_b32 v7, v53, v3
	v_add_u32_e32 v2, v2, v6
	ds_bpermute_b32 v6, v53, v2
	v_add_u32_e32 v54, 8, v45
	v_cmp_eq_u32_e32 vcc, 0, v2
	s_waitcnt lgkmcnt(1)
	v_cndmask_b32_e32 v7, 0, v7, vcc
	v_cmp_gt_u32_e32 vcc, v54, v5
	v_cndmask_b32_e64 v7, v7, 0, vcc
	s_waitcnt lgkmcnt(0)
	v_cndmask_b32_e64 v6, v6, 0, vcc
	v_cmp_gt_u32_e32 vcc, 48, v45
	v_add_u32_e32 v3, v3, v7
	;; [unrolled: 16-line block ×3, first 2 shown]
	v_cndmask_b32_e64 v7, 0, 1, vcc
	v_lshlrev_b32_e32 v7, 5, v7
	v_add_lshl_u32 v57, v7, v31, 2
	ds_bpermute_b32 v7, v57, v3
	v_add_u32_e32 v2, v2, v6
	ds_bpermute_b32 v6, v57, v2
	v_add_u32_e32 v58, 32, v45
	v_cmp_eq_u32_e32 vcc, 0, v2
	s_waitcnt lgkmcnt(1)
	v_cndmask_b32_e32 v7, 0, v7, vcc
	v_cmp_gt_u32_e32 vcc, v58, v5
	v_cndmask_b32_e64 v5, v7, 0, vcc
	v_add_u32_e32 v3, v5, v3
	s_waitcnt lgkmcnt(0)
	v_cndmask_b32_e64 v5, v6, 0, vcc
	v_add_u32_e32 v2, v5, v2
	v_mov_b32_e32 v31, 0
	s_branch .LBB347_105
.LBB347_104:                            ;   in Loop: Header=BB347_105 Depth=1
	s_or_b64 exec, exec, s[30:31]
	v_cmp_eq_u16_sdwa s[30:31], v4, v44 src0_sel:BYTE_0 src1_sel:DWORD
	v_and_b32_e32 v5, s31, v35
	v_or_b32_e32 v5, 0x80000000, v5
	v_and_b32_e32 v38, s30, v34
	v_ffbl_b32_e32 v5, v5
	v_add_u32_e32 v5, 32, v5
	v_ffbl_b32_e32 v38, v38
	v_min_u32_e32 v5, v38, v5
	ds_bpermute_b32 v38, v46, v3
	v_cmp_eq_u32_e32 vcc, 0, v2
	v_cmp_lt_u32_e64 s[30:31], v45, v5
	ds_bpermute_b32 v39, v46, v2
	s_and_b64 vcc, s[30:31], vcc
	s_waitcnt lgkmcnt(1)
	v_cndmask_b32_e32 v38, 0, v38, vcc
	v_add_u32_e32 v3, v38, v3
	ds_bpermute_b32 v38, v47, v3
	s_waitcnt lgkmcnt(1)
	v_cndmask_b32_e64 v39, 0, v39, s[30:31]
	v_add_u32_e32 v2, v39, v2
	v_cmp_eq_u32_e32 vcc, 0, v2
	ds_bpermute_b32 v39, v47, v2
	s_waitcnt lgkmcnt(1)
	v_cndmask_b32_e32 v38, 0, v38, vcc
	v_cmp_gt_u32_e32 vcc, v50, v5
	v_cndmask_b32_e64 v38, v38, 0, vcc
	v_add_u32_e32 v3, v38, v3
	ds_bpermute_b32 v38, v51, v3
	s_waitcnt lgkmcnt(1)
	v_cndmask_b32_e64 v39, v39, 0, vcc
	v_add_u32_e32 v2, v2, v39
	v_cmp_eq_u32_e32 vcc, 0, v2
	ds_bpermute_b32 v39, v51, v2
	s_waitcnt lgkmcnt(1)
	v_cndmask_b32_e32 v38, 0, v38, vcc
	v_cmp_gt_u32_e32 vcc, v52, v5
	v_cndmask_b32_e64 v38, v38, 0, vcc
	v_add_u32_e32 v3, v3, v38
	ds_bpermute_b32 v38, v53, v3
	s_waitcnt lgkmcnt(1)
	v_cndmask_b32_e64 v39, v39, 0, vcc
	v_add_u32_e32 v2, v2, v39
	ds_bpermute_b32 v39, v53, v2
	v_cmp_eq_u32_e32 vcc, 0, v2
	s_waitcnt lgkmcnt(1)
	v_cndmask_b32_e32 v38, 0, v38, vcc
	v_cmp_gt_u32_e32 vcc, v54, v5
	v_cndmask_b32_e64 v38, v38, 0, vcc
	v_add_u32_e32 v3, v3, v38
	ds_bpermute_b32 v38, v55, v3
	s_waitcnt lgkmcnt(1)
	v_cndmask_b32_e64 v39, v39, 0, vcc
	v_add_u32_e32 v2, v2, v39
	ds_bpermute_b32 v39, v55, v2
	v_cmp_eq_u32_e32 vcc, 0, v2
	;; [unrolled: 11-line block ×3, first 2 shown]
	s_waitcnt lgkmcnt(1)
	v_cndmask_b32_e32 v38, 0, v38, vcc
	v_cmp_gt_u32_e32 vcc, v58, v5
	v_cndmask_b32_e64 v5, v38, 0, vcc
	v_add_u32_e32 v3, v5, v3
	s_waitcnt lgkmcnt(0)
	v_cndmask_b32_e64 v5, v39, 0, vcc
	v_cmp_eq_u32_e32 vcc, 0, v6
	v_cndmask_b32_e32 v3, 0, v3, vcc
	v_subrev_u32_e32 v30, 64, v30
	v_add3_u32 v2, v2, v6, v5
	v_add_u32_e32 v3, v3, v7
.LBB347_105:                            ; =>This Loop Header: Depth=1
                                        ;     Child Loop BB347_108 Depth 2
	v_cmp_ne_u16_sdwa s[30:31], v4, v44 src0_sel:BYTE_0 src1_sel:DWORD
	v_mov_b32_e32 v7, v3
	v_cndmask_b32_e64 v3, 0, 1, s[30:31]
	;;#ASMSTART
	;;#ASMEND
	v_cmp_ne_u32_e32 vcc, 0, v3
	s_cmp_lg_u64 vcc, exec
	v_mov_b32_e32 v6, v2
	s_cbranch_scc1 .LBB347_110
; %bb.106:                              ;   in Loop: Header=BB347_105 Depth=1
	v_lshlrev_b64 v[2:3], 4, v[30:31]
	v_mov_b32_e32 v4, s45
	v_add_co_u32_e32 v38, vcc, s44, v2
	v_addc_co_u32_e32 v39, vcc, v4, v3, vcc
	;;#ASMSTART
	global_load_dwordx4 v[2:5], v[38:39] off glc	
s_waitcnt vmcnt(0)
	;;#ASMEND
	v_and_b32_e32 v5, 0xff, v3
	v_and_b32_e32 v59, 0xff00, v3
	v_and_b32_e32 v60, 0xff0000, v3
	v_or3_b32 v5, 0, v5, v59
	v_or3_b32 v2, v2, 0, 0
	v_and_b32_e32 v3, 0xff000000, v3
	v_or3_b32 v3, v5, v60, v3
	v_or3_b32 v2, v2, 0, 0
	v_cmp_eq_u16_sdwa s[46:47], v4, v31 src0_sel:BYTE_0 src1_sel:DWORD
	s_and_saveexec_b64 s[30:31], s[46:47]
	s_cbranch_execz .LBB347_104
; %bb.107:                              ;   in Loop: Header=BB347_105 Depth=1
	s_mov_b64 s[46:47], 0
.LBB347_108:                            ;   Parent Loop BB347_105 Depth=1
                                        ; =>  This Inner Loop Header: Depth=2
	;;#ASMSTART
	global_load_dwordx4 v[2:5], v[38:39] off glc	
s_waitcnt vmcnt(0)
	;;#ASMEND
	v_cmp_ne_u16_sdwa s[50:51], v4, v31 src0_sel:BYTE_0 src1_sel:DWORD
	s_or_b64 s[46:47], s[50:51], s[46:47]
	s_andn2_b64 exec, exec, s[46:47]
	s_cbranch_execnz .LBB347_108
; %bb.109:                              ;   in Loop: Header=BB347_105 Depth=1
	s_or_b64 exec, exec, s[46:47]
	s_branch .LBB347_104
.LBB347_110:                            ;   in Loop: Header=BB347_105 Depth=1
                                        ; implicit-def: $vgpr3
                                        ; implicit-def: $vgpr2
                                        ; implicit-def: $vgpr4
	s_cbranch_execz .LBB347_105
; %bb.111:
	s_and_saveexec_b64 s[30:31], s[28:29]
	s_cbranch_execz .LBB347_113
; %bb.112:
	s_cmp_eq_u32 s48, 0
	s_cselect_b64 vcc, -1, 0
	s_mov_b32 s47, 0
	v_cndmask_b32_e32 v2, 0, v7, vcc
	s_add_i32 s46, s62, 64
	v_add_u32_e32 v2, s49, v2
	s_lshl_b64 s[46:47], s[46:47], 4
	s_add_u32 s46, s44, s46
	v_and_b32_e32 v3, 0xff000000, v2
	v_and_b32_e32 v4, 0xff0000, v2
	s_addc_u32 s47, s45, s47
	v_or_b32_e32 v3, v4, v3
	v_and_b32_e32 v4, 0xff00, v2
	v_and_b32_e32 v2, 0xff, v2
	v_add_u32_e32 v44, s48, v6
	v_mov_b32_e32 v47, 0
	v_or3_b32 v45, v3, v4, v2
	v_mov_b32_e32 v46, 2
	v_pk_mov_b32 v[2:3], s[46:47], s[46:47] op_sel:[0,1]
	;;#ASMSTART
	global_store_dwordx4 v[2:3], v[44:47] off	
s_waitcnt vmcnt(0)
	;;#ASMEND
	v_mov_b32_e32 v4, s48
	v_mov_b32_e32 v5, s49
	ds_write_b128 v47, v[4:7] offset:2048
.LBB347_113:
	s_or_b64 exec, exec, s[30:31]
	s_and_b64 exec, exec, s[0:1]
	s_cbranch_execz .LBB347_115
; %bb.114:
	v_mov_b32_e32 v2, 0
	ds_write_b64 v2, v[6:7] offset:2088
.LBB347_115:
	s_or_b64 exec, exec, s[40:41]
	v_mov_b32_e32 v4, 0
	s_waitcnt lgkmcnt(0)
	s_barrier
	ds_read_b64 v[2:3], v4 offset:2088
	v_cndmask_b32_e64 v6, v40, v26, s[28:29]
	v_cmp_eq_u32_e32 vcc, 0, v6
	v_cndmask_b32_e64 v5, v41, v27, s[28:29]
	s_waitcnt lgkmcnt(0)
	v_cndmask_b32_e32 v7, 0, v3, vcc
	v_add_u32_e32 v5, v7, v5
	v_cndmask_b32_e64 v65, v5, v3, s[0:1]
	v_cndmask_b32_e64 v3, v6, 0, s[0:1]
	v_cmp_eq_u32_e32 vcc, 0, v81
	v_add_u32_e32 v64, v2, v3
	v_cndmask_b32_e32 v2, 0, v65, vcc
	v_add_u32_e32 v63, v2, v48
	v_cndmask_b32_e64 v2, 0, v63, s[26:27]
	v_add_u32_e32 v61, v2, v49
	v_cndmask_b32_e64 v2, 0, v61, s[24:25]
	;; [unrolled: 2-line block ×8, first 2 shown]
	v_add_u32_e32 v62, v64, v81
	v_add_u32_e32 v45, v2, v28
	v_add_u32_e32 v60, v62, v79
	v_cndmask_b32_e64 v2, 0, v45, s[10:11]
	v_add_u32_e32 v58, v60, v78
	v_add_u32_e32 v41, v2, v29
	v_add_u32_e32 v56, v58, v77
	v_cndmask_b32_e64 v2, 0, v41, s[8:9]
	;; [unrolled: 4-line block ×3, first 2 shown]
	v_add_u32_e32 v50, v52, v74
	v_add_u32_e32 v35, v2, v25
	s_barrier
	ds_read_b128 v[2:5], v4 offset:2048
	v_add_u32_e32 v46, v50, v73
	v_add_u32_e32 v44, v46, v72
	;; [unrolled: 1-line block ×4, first 2 shown]
	v_cndmask_b32_e64 v6, 0, v35, s[4:5]
	v_add_u32_e32 v34, v38, v69
	v_add_u32_e32 v31, v6, v22
	s_waitcnt lgkmcnt(0)
	v_cmp_eq_u32_e32 vcc, 0, v2
	v_add_u32_e32 v30, v34, v68
	v_cndmask_b32_e64 v6, 0, v31, s[2:3]
	v_cndmask_b32_e32 v5, 0, v5, vcc
	v_add_u32_e32 v26, v30, v67
	v_add_u32_e32 v27, v6, v23
	;; [unrolled: 1-line block ×3, first 2 shown]
	s_branch .LBB347_128
.LBB347_116:
                                        ; implicit-def: $vgpr2
                                        ; implicit-def: $vgpr80
                                        ; implicit-def: $vgpr64_vgpr65
                                        ; implicit-def: $vgpr62_vgpr63
                                        ; implicit-def: $vgpr60_vgpr61
                                        ; implicit-def: $vgpr58_vgpr59
                                        ; implicit-def: $vgpr56_vgpr57
                                        ; implicit-def: $vgpr54_vgpr55
                                        ; implicit-def: $vgpr52_vgpr53
                                        ; implicit-def: $vgpr50_vgpr51
                                        ; implicit-def: $vgpr46_vgpr47
                                        ; implicit-def: $vgpr44_vgpr45
                                        ; implicit-def: $vgpr40_vgpr41
                                        ; implicit-def: $vgpr38_vgpr39
                                        ; implicit-def: $vgpr34_vgpr35
                                        ; implicit-def: $vgpr30_vgpr31
                                        ; implicit-def: $vgpr26_vgpr27
	s_cbranch_execz .LBB347_128
; %bb.117:
	s_and_b64 s[2:3], s[34:35], exec
	s_cselect_b32 s3, 0, s61
	s_cselect_b32 s2, 0, s60
	s_cmp_eq_u64 s[2:3], 0
	v_mov_b32_e32 v6, v48
	s_cbranch_scc1 .LBB347_119
; %bb.118:
	v_mov_b32_e32 v2, 0
	global_load_dword v6, v2, s[2:3]
.LBB347_119:
	v_cmp_eq_u32_e64 s[2:3], 0, v79
	v_cndmask_b32_e64 v2, 0, v48, s[2:3]
	v_add_u32_e32 v2, v2, v49
	v_cmp_eq_u32_e64 s[4:5], 0, v78
	v_cndmask_b32_e64 v2, 0, v2, s[4:5]
	v_add_u32_e32 v2, v2, v42
	;; [unrolled: 3-line block ×11, first 2 shown]
	v_cmp_eq_u32_e64 s[24:25], 0, v68
	v_cndmask_b32_e64 v2, 0, v2, s[24:25]
	v_add3_u32 v3, v86, v75, v74
	v_add_u32_e32 v2, v2, v22
	v_cmp_eq_u32_e32 vcc, 0, v67
	v_add3_u32 v3, v3, v73, v72
	v_cndmask_b32_e32 v2, 0, v2, vcc
	v_add3_u32 v3, v3, v71, v70
	v_add_u32_e32 v2, v2, v23
	v_cmp_eq_u32_e64 s[26:27], 0, v66
	v_add3_u32 v3, v3, v69, v68
	v_cndmask_b32_e64 v2, 0, v2, s[26:27]
	v_add3_u32 v3, v3, v67, v66
	v_add_u32_e32 v2, v2, v82
	v_mbcnt_hi_u32_b32 v7, -1, v85
	v_and_b32_e32 v4, 15, v7
	v_mov_b32_dpp v26, v2 row_shr:1 row_mask:0xf bank_mask:0xf
	v_cmp_eq_u32_e64 s[26:27], 0, v3
	v_mov_b32_dpp v5, v3 row_shr:1 row_mask:0xf bank_mask:0xf
	v_cndmask_b32_e64 v26, 0, v26, s[26:27]
	v_cmp_eq_u32_e64 s[26:27], 0, v4
	v_cndmask_b32_e64 v5, v5, 0, s[26:27]
	v_add_u32_e32 v3, v5, v3
	v_cndmask_b32_e64 v5, v26, 0, s[26:27]
	v_add_u32_e32 v2, v5, v2
	v_cmp_eq_u32_e64 s[26:27], 0, v3
	v_mov_b32_dpp v5, v3 row_shr:2 row_mask:0xf bank_mask:0xf
	v_cmp_lt_u32_e64 s[28:29], 1, v4
	v_mov_b32_dpp v26, v2 row_shr:2 row_mask:0xf bank_mask:0xf
	v_cndmask_b32_e64 v5, 0, v5, s[28:29]
	s_and_b64 s[26:27], s[28:29], s[26:27]
	v_cndmask_b32_e64 v26, 0, v26, s[26:27]
	v_add_u32_e32 v3, v3, v5
	v_add_u32_e32 v2, v26, v2
	v_cmp_eq_u32_e64 s[26:27], 0, v3
	v_mov_b32_dpp v5, v3 row_shr:4 row_mask:0xf bank_mask:0xf
	v_cmp_lt_u32_e64 s[28:29], 3, v4
	v_mov_b32_dpp v26, v2 row_shr:4 row_mask:0xf bank_mask:0xf
	v_cndmask_b32_e64 v5, 0, v5, s[28:29]
	s_and_b64 s[26:27], s[28:29], s[26:27]
	v_cndmask_b32_e64 v26, 0, v26, s[26:27]
	v_add_u32_e32 v3, v5, v3
	v_add_u32_e32 v2, v2, v26
	v_cmp_eq_u32_e64 s[26:27], 0, v3
	v_cmp_lt_u32_e64 s[28:29], 7, v4
	v_mov_b32_dpp v5, v3 row_shr:8 row_mask:0xf bank_mask:0xf
	v_mov_b32_dpp v26, v2 row_shr:8 row_mask:0xf bank_mask:0xf
	s_and_b64 s[26:27], s[28:29], s[26:27]
	v_cndmask_b32_e64 v4, 0, v5, s[28:29]
	v_cndmask_b32_e64 v5, 0, v26, s[26:27]
	v_add_u32_e32 v2, v5, v2
	v_add_u32_e32 v3, v4, v3
	v_bfe_i32 v26, v7, 4, 1
	v_mov_b32_dpp v5, v2 row_bcast:15 row_mask:0xf bank_mask:0xf
	v_mov_b32_dpp v4, v3 row_bcast:15 row_mask:0xf bank_mask:0xf
	v_cmp_eq_u32_e64 s[26:27], 0, v3
	v_cndmask_b32_e64 v5, 0, v5, s[26:27]
	v_and_b32_e32 v4, v26, v4
	v_add_u32_e32 v3, v4, v3
	v_and_b32_e32 v4, v26, v5
	v_add_u32_e32 v4, v4, v2
	v_mov_b32_dpp v2, v3 row_bcast:31 row_mask:0xf bank_mask:0xf
	v_cmp_eq_u32_e64 s[26:27], 0, v3
	v_cmp_lt_u32_e64 s[28:29], 31, v7
	v_mov_b32_dpp v5, v4 row_bcast:31 row_mask:0xf bank_mask:0xf
	v_cndmask_b32_e64 v2, 0, v2, s[28:29]
	s_and_b64 s[26:27], s[28:29], s[26:27]
	v_add_u32_e32 v2, v2, v3
	v_cndmask_b32_e64 v3, 0, v5, s[26:27]
	v_add_u32_e32 v3, v3, v4
	v_cmp_eq_u32_e64 s[26:27], v84, v0
	v_lshlrev_b32_e32 v5, 3, v83
	s_and_saveexec_b64 s[28:29], s[26:27]
	s_cbranch_execz .LBB347_121
; %bb.120:
	ds_write_b64 v5, v[2:3] offset:2064
.LBB347_121:
	s_or_b64 exec, exec, s[28:29]
	v_cmp_gt_u32_e64 s[26:27], 4, v0
	s_waitcnt lgkmcnt(0)
	s_barrier
	s_and_saveexec_b64 s[30:31], s[26:27]
	s_cbranch_execz .LBB347_123
; %bb.122:
	v_lshlrev_b32_e32 v4, 3, v0
	ds_read_b64 v[26:27], v4 offset:2064
	v_and_b32_e32 v30, 3, v7
	v_cmp_lt_u32_e64 s[28:29], 1, v30
	s_waitcnt lgkmcnt(0)
	v_mov_b32_dpp v34, v27 row_shr:1 row_mask:0xf bank_mask:0xf
	v_cmp_eq_u32_e64 s[26:27], 0, v26
	v_mov_b32_dpp v31, v26 row_shr:1 row_mask:0xf bank_mask:0xf
	v_cndmask_b32_e64 v34, 0, v34, s[26:27]
	v_cmp_eq_u32_e64 s[26:27], 0, v30
	v_cndmask_b32_e64 v31, v31, 0, s[26:27]
	v_add_u32_e32 v26, v31, v26
	v_cndmask_b32_e64 v31, v34, 0, s[26:27]
	v_add_u32_e32 v27, v31, v27
	v_cmp_eq_u32_e64 s[26:27], 0, v26
	v_mov_b32_dpp v31, v26 row_shr:2 row_mask:0xf bank_mask:0xf
	v_mov_b32_dpp v34, v27 row_shr:2 row_mask:0xf bank_mask:0xf
	v_cndmask_b32_e64 v30, 0, v31, s[28:29]
	s_and_b64 s[26:27], s[28:29], s[26:27]
	v_add_u32_e32 v26, v30, v26
	v_cndmask_b32_e64 v30, 0, v34, s[26:27]
	v_add_u32_e32 v27, v30, v27
	ds_write_b64 v4, v[26:27] offset:2064
.LBB347_123:
	s_or_b64 exec, exec, s[30:31]
	v_cmp_lt_u32_e64 s[26:27], 63, v0
	v_mov_b32_e32 v26, 0
	v_mov_b32_e32 v4, 0
	s_waitcnt vmcnt(0)
	v_mov_b32_e32 v27, v6
	s_waitcnt lgkmcnt(0)
	s_barrier
	s_and_saveexec_b64 s[28:29], s[26:27]
	s_cbranch_execz .LBB347_125
; %bb.124:
	ds_read_b64 v[4:5], v5 offset:2056
	s_waitcnt lgkmcnt(0)
	v_cmp_eq_u32_e64 s[26:27], 0, v4
	v_cndmask_b32_e64 v27, 0, v6, s[26:27]
	v_add_u32_e32 v27, v27, v5
.LBB347_125:
	s_or_b64 exec, exec, s[28:29]
	v_cmp_eq_u32_e64 s[26:27], 0, v2
	v_add_u32_e32 v5, v4, v2
	v_cndmask_b32_e64 v2, 0, v27, s[26:27]
	v_add_u32_e32 v2, v2, v3
	v_add_u32_e32 v3, -1, v7
	v_and_b32_e32 v30, 64, v7
	v_cmp_lt_i32_e64 s[26:27], v3, v30
	v_cndmask_b32_e64 v3, v3, v7, s[26:27]
	v_lshlrev_b32_e32 v3, 2, v3
	ds_bpermute_b32 v2, v3, v2
	ds_bpermute_b32 v5, v3, v5
	v_cmp_eq_u32_e64 s[26:27], 0, v7
	s_waitcnt lgkmcnt(1)
	v_cndmask_b32_e64 v2, v2, v27, s[26:27]
	s_waitcnt lgkmcnt(0)
	v_cndmask_b32_e64 v3, v5, v4, s[26:27]
	v_cndmask_b32_e64 v65, v2, v6, s[0:1]
	v_cmp_eq_u32_e64 s[26:27], 0, v81
	v_cndmask_b32_e64 v2, 0, v65, s[26:27]
	v_add_u32_e32 v63, v2, v48
	v_cndmask_b32_e64 v2, 0, v63, s[2:3]
	v_add_u32_e32 v61, v2, v49
	;; [unrolled: 2-line block ×8, first 2 shown]
	v_cndmask_b32_e64 v64, v3, 0, s[0:1]
	v_cndmask_b32_e64 v2, 0, v47, s[16:17]
	v_add_u32_e32 v62, v64, v81
	v_add_u32_e32 v45, v2, v28
	v_add_u32_e32 v60, v62, v79
	v_cndmask_b32_e64 v2, 0, v45, s[18:19]
	v_add_u32_e32 v58, v60, v78
	v_add_u32_e32 v41, v2, v29
	v_add_u32_e32 v56, v58, v77
	;; [unrolled: 4-line block ×3, first 2 shown]
	v_cndmask_b32_e64 v2, 0, v39, s[22:23]
	v_add_u32_e32 v50, v52, v74
	v_add_u32_e32 v35, v2, v25
	ds_read_b64 v[2:3], v26 offset:2088
	v_add_u32_e32 v46, v50, v73
	v_add_u32_e32 v44, v46, v72
	;; [unrolled: 1-line block ×3, first 2 shown]
	v_cndmask_b32_e64 v4, 0, v35, s[24:25]
	v_add_u32_e32 v38, v40, v70
	v_add_u32_e32 v31, v4, v22
	;; [unrolled: 1-line block ×3, first 2 shown]
	v_cndmask_b32_e32 v4, 0, v31, vcc
	s_waitcnt lgkmcnt(0)
	v_cmp_eq_u32_e32 vcc, 0, v2
	v_add_u32_e32 v30, v34, v68
	v_add_u32_e32 v27, v4, v23
	v_cndmask_b32_e32 v4, 0, v6, vcc
	v_add_u32_e32 v26, v30, v67
	v_add_u32_e32 v80, v4, v3
	s_and_saveexec_b64 s[2:3], s[0:1]
	s_cbranch_execz .LBB347_127
; %bb.126:
	s_add_u32 s4, s44, 0x400
	v_and_b32_e32 v3, 0xff000000, v80
	v_and_b32_e32 v4, 0xff0000, v80
	s_addc_u32 s5, s45, 0
	v_or_b32_e32 v3, v4, v3
	v_and_b32_e32 v4, 0xff00, v80
	v_and_b32_e32 v6, 0xff, v80
	v_mov_b32_e32 v5, 0
	v_or3_b32 v3, v3, v4, v6
	v_mov_b32_e32 v4, 2
	v_pk_mov_b32 v[6:7], s[4:5], s[4:5] op_sel:[0,1]
	;;#ASMSTART
	global_store_dwordx4 v[6:7], v[2:5] off	
s_waitcnt vmcnt(0)
	;;#ASMEND
.LBB347_127:
	s_or_b64 exec, exec, s[2:3]
	v_mov_b32_e32 v4, 0
.LBB347_128:
	s_and_b64 s[2:3], s[34:35], exec
	s_cselect_b32 s3, 0, s59
	s_cselect_b32 s2, 0, s58
	s_cmp_eq_u64 s[2:3], 0
	v_pk_mov_b32 v[6:7], 0, 0
	s_barrier
	s_cbranch_scc1 .LBB347_130
; %bb.129:
	v_mov_b32_e32 v3, 0
	global_load_dwordx2 v[6:7], v3, s[2:3]
.LBB347_130:
	s_waitcnt vmcnt(0)
	v_lshlrev_b64 v[22:23], 2, v[6:7]
	v_mov_b32_e32 v3, s43
	v_add_co_u32_e32 v28, vcc, s42, v22
	v_mov_b32_e32 v5, 0
	v_addc_co_u32_e32 v29, vcc, v3, v23, vcc
	v_lshlrev_b64 v[24:25], 2, v[4:5]
	v_add_co_u32_e32 v3, vcc, v28, v24
	v_addc_co_u32_e32 v5, vcc, v29, v25, vcc
	v_cmp_eq_u32_e32 vcc, 0, v81
	v_cndmask_b32_e64 v28, 1, 2, vcc
	v_cmp_eq_u32_e32 vcc, 0, v79
	v_cndmask_b32_e64 v29, 1, 2, vcc
	v_cmp_eq_u32_e32 vcc, 0, v78
	v_and_b32_e32 v28, v29, v28
	v_cndmask_b32_e64 v29, 1, 2, vcc
	v_cmp_eq_u32_e32 vcc, 0, v77
	v_and_b32_e32 v28, v28, v29
	;; [unrolled: 3-line block ×13, first 2 shown]
	v_cndmask_b32_e64 v29, 1, 2, vcc
	s_movk_i32 s34, 0x100
	v_and_b32_e32 v28, v28, v29
	v_cmp_gt_u32_e32 vcc, s34, v2
	v_cmp_ne_u32_e64 s[30:31], 0, v81
	v_cmp_ne_u32_e64 s[28:29], 0, v79
	v_cmp_ne_u32_e64 s[26:27], 0, v78
	v_cmp_ne_u32_e64 s[24:25], 0, v77
	v_cmp_ne_u32_e64 s[22:23], 0, v76
	v_cmp_ne_u32_e64 s[20:21], 0, v75
	v_cmp_ne_u32_e64 s[18:19], 0, v74
	v_cmp_ne_u32_e64 s[16:17], 0, v73
	v_cmp_ne_u32_e64 s[14:15], 0, v72
	v_cmp_ne_u32_e64 s[12:13], 0, v71
	v_cmp_ne_u32_e64 s[10:11], 0, v70
	v_cmp_ne_u32_e64 s[8:9], 0, v69
	v_cmp_ne_u32_e64 s[6:7], 0, v68
	v_cmp_ne_u32_e64 s[4:5], 0, v67
	v_cmp_ne_u32_e64 s[2:3], 0, v66
	s_mov_b64 s[40:41], -1
	v_cmp_gt_i16_e64 s[34:35], 2, v28
	s_cbranch_vccz .LBB347_137
; %bb.131:
	s_and_saveexec_b64 s[40:41], s[34:35]
	s_cbranch_execz .LBB347_136
; %bb.132:
	v_cmp_ne_u16_e32 vcc, 1, v28
	s_mov_b64 s[42:43], 0
	s_and_saveexec_b64 s[34:35], vcc
	s_xor_b64 s[34:35], exec, s[34:35]
	s_cbranch_execnz .LBB347_193
; %bb.133:
	s_andn2_saveexec_b64 s[34:35], s[34:35]
	s_cbranch_execnz .LBB347_209
.LBB347_134:
	s_or_b64 exec, exec, s[34:35]
	s_and_b64 exec, exec, s[42:43]
	s_cbranch_execz .LBB347_136
.LBB347_135:
	v_sub_u32_e32 v32, v26, v4
	v_mov_b32_e32 v33, 0
	v_lshlrev_b64 v[32:33], 2, v[32:33]
	v_add_co_u32_e32 v32, vcc, v3, v32
	v_addc_co_u32_e32 v33, vcc, v5, v33, vcc
	global_store_dword v[32:33], v1, off
.LBB347_136:
	s_or_b64 exec, exec, s[40:41]
	s_mov_b64 s[40:41], 0
.LBB347_137:
	s_and_b64 vcc, exec, s[40:41]
	s_cbranch_vccz .LBB347_159
; %bb.138:
	v_cmp_gt_i16_e32 vcc, 2, v28
	s_and_saveexec_b64 s[34:35], vcc
	s_cbranch_execz .LBB347_143
; %bb.139:
	v_cmp_ne_u16_e32 vcc, 1, v28
	s_mov_b64 s[42:43], 0
	s_and_saveexec_b64 s[40:41], vcc
	s_xor_b64 s[40:41], exec, s[40:41]
	s_cbranch_execnz .LBB347_210
; %bb.140:
	s_andn2_saveexec_b64 s[2:3], s[40:41]
	s_cbranch_execnz .LBB347_226
.LBB347_141:
	s_or_b64 exec, exec, s[2:3]
	s_and_b64 exec, exec, s[42:43]
	s_cbranch_execz .LBB347_143
.LBB347_142:
	v_sub_u32_e32 v8, v26, v4
	v_lshlrev_b32_e32 v8, 2, v8
	ds_write_b32 v8, v1
.LBB347_143:
	s_or_b64 exec, exec, s[34:35]
	v_cmp_lt_u32_e32 vcc, v0, v2
	s_waitcnt lgkmcnt(0)
	s_barrier
	s_and_saveexec_b64 s[4:5], vcc
	s_cbranch_execz .LBB347_158
; %bb.144:
	v_xad_u32 v1, v0, -1, v2
	s_movk_i32 s2, 0x1700
	v_cmp_gt_u32_e64 s[6:7], s2, v1
	s_movk_i32 s2, 0x16ff
	v_cmp_lt_u32_e32 vcc, s2, v1
	v_mov_b32_e32 v8, v0
	s_and_saveexec_b64 s[8:9], vcc
	s_cbranch_execz .LBB347_155
; %bb.145:
	v_sub_u32_e32 v8, v0, v2
	v_or_b32_e32 v8, 0xff, v8
	v_cmp_ge_u32_e32 vcc, v8, v0
	s_mov_b64 s[2:3], -1
	v_mov_b32_e32 v8, v0
	s_and_saveexec_b64 s[10:11], vcc
	s_cbranch_execz .LBB347_154
; %bb.146:
	v_lshrrev_b32_e32 v12, 8, v1
	v_add_u32_e32 v8, -1, v12
	v_or_b32_e32 v1, 0x100, v0
	v_lshrrev_b32_e32 v9, 1, v8
	v_add_u32_e32 v13, 1, v9
	v_cmp_lt_u32_e32 vcc, 13, v8
	v_mov_b32_e32 v16, 0
	v_pk_mov_b32 v[8:9], v[0:1], v[0:1] op_sel:[0,1]
	s_and_saveexec_b64 s[12:13], vcc
	s_cbranch_execz .LBB347_150
; %bb.147:
	v_and_b32_e32 v14, -8, v13
	v_lshlrev_b32_e32 v15, 2, v0
	s_mov_b32 s16, 0
	s_mov_b64 s[14:15], 0
	v_mov_b32_e32 v11, 0
	v_pk_mov_b32 v[8:9], v[0:1], v[0:1] op_sel:[0,1]
.LBB347_148:                            ; =>This Inner Loop Header: Depth=1
	v_mov_b32_e32 v10, v8
	v_add_u32_e32 v14, -8, v14
	v_lshlrev_b64 v[96:97], 2, v[10:11]
	v_mov_b32_e32 v10, v9
	ds_read2st64_b32 v[18:19], v15 offset1:4
	s_add_i32 s16, s16, 16
	v_cmp_eq_u32_e32 vcc, 0, v14
	v_lshlrev_b64 v[100:101], 2, v[10:11]
	v_add_u32_e32 v10, 0x200, v8
	s_or_b64 s[14:15], vcc, s[14:15]
	v_add_co_u32_e32 v100, vcc, v3, v100
	v_add_u32_e32 v16, 0x200, v9
	v_mov_b32_e32 v17, v11
	ds_read2st64_b32 v[20:21], v15 offset0:8 offset1:12
	ds_read2st64_b32 v[32:33], v15 offset0:16 offset1:20
	v_add_co_u32_e64 v96, s[2:3], v3, v96
	v_addc_co_u32_e32 v101, vcc, v5, v101, vcc
	v_lshlrev_b64 v[102:103], 2, v[10:11]
	v_lshlrev_b64 v[98:99], 2, v[16:17]
	v_addc_co_u32_e64 v97, s[2:3], v5, v97, s[2:3]
	v_add_u32_e32 v10, 0x400, v8
	v_add_co_u32_e32 v102, vcc, v3, v102
	v_add_u32_e32 v28, 0x400, v9
	v_mov_b32_e32 v29, v11
	ds_read2st64_b32 v[42:43], v15 offset0:24 offset1:28
	v_add_co_u32_e64 v98, s[2:3], v3, v98
	v_addc_co_u32_e32 v103, vcc, v5, v103, vcc
	v_lshlrev_b64 v[104:105], 2, v[10:11]
	ds_read2st64_b32 v[82:83], v15 offset0:32 offset1:36
	ds_read2st64_b32 v[86:87], v15 offset0:40 offset1:44
	;; [unrolled: 1-line block ×4, first 2 shown]
	v_lshlrev_b64 v[28:29], 2, v[28:29]
	v_addc_co_u32_e64 v99, s[2:3], v5, v99, s[2:3]
	v_add_u32_e32 v10, 0x600, v8
	s_waitcnt lgkmcnt(7)
	global_store_dword v[96:97], v18, off
	global_store_dword v[100:101], v19, off
	s_waitcnt lgkmcnt(6)
	global_store_dword v[102:103], v20, off
	global_store_dword v[98:99], v21, off
	v_add_co_u32_e32 v18, vcc, v3, v104
	v_add_u32_e32 v36, 0x600, v9
	v_mov_b32_e32 v37, v11
	v_add_co_u32_e64 v28, s[2:3], v3, v28
	v_addc_co_u32_e32 v19, vcc, v5, v105, vcc
	v_lshlrev_b64 v[20:21], 2, v[10:11]
	v_lshlrev_b64 v[36:37], 2, v[36:37]
	v_addc_co_u32_e64 v29, s[2:3], v5, v29, s[2:3]
	v_add_u32_e32 v10, 0x800, v8
	s_waitcnt lgkmcnt(5)
	global_store_dword v[18:19], v32, off
	global_store_dword v[28:29], v33, off
	v_add_co_u32_e32 v18, vcc, v3, v20
	v_add_u32_e32 v48, 0x800, v9
	v_mov_b32_e32 v49, v11
	v_add_co_u32_e64 v36, s[2:3], v3, v36
	v_addc_co_u32_e32 v19, vcc, v5, v21, vcc
	v_lshlrev_b64 v[20:21], 2, v[10:11]
	v_lshlrev_b64 v[48:49], 2, v[48:49]
	v_addc_co_u32_e64 v37, s[2:3], v5, v37, s[2:3]
	v_add_u32_e32 v10, 0xa00, v8
	;; [unrolled: 12-line block ×4, first 2 shown]
	s_waitcnt lgkmcnt(2)
	global_store_dword v[18:19], v86, off
	global_store_dword v[84:85], v87, off
	v_add_co_u32_e32 v18, vcc, v3, v20
	v_add_u32_e32 v92, 0xe00, v9
	v_mov_b32_e32 v93, v11
	v_add_co_u32_e64 v88, s[2:3], v3, v88
	v_addc_co_u32_e32 v19, vcc, v5, v21, vcc
	v_lshlrev_b64 v[20:21], 2, v[10:11]
	v_lshlrev_b64 v[92:93], 2, v[92:93]
	v_addc_co_u32_e64 v89, s[2:3], v5, v89, s[2:3]
	s_waitcnt lgkmcnt(1)
	global_store_dword v[18:19], v90, off
	global_store_dword v[88:89], v91, off
	v_add_co_u32_e32 v18, vcc, v3, v20
	v_add_u32_e32 v15, 0x4000, v15
	v_add_u32_e32 v9, 0x1000, v9
	v_mov_b32_e32 v16, s16
	v_add_co_u32_e64 v92, s[2:3], v3, v92
	v_add_u32_e32 v8, 0x1000, v8
	v_addc_co_u32_e32 v19, vcc, v5, v21, vcc
	v_addc_co_u32_e64 v93, s[2:3], v5, v93, s[2:3]
	s_waitcnt lgkmcnt(0)
	global_store_dword v[18:19], v94, off
	global_store_dword v[92:93], v95, off
	s_andn2_b64 exec, exec, s[14:15]
	s_cbranch_execnz .LBB347_148
; %bb.149:
	s_or_b64 exec, exec, s[14:15]
.LBB347_150:
	s_or_b64 exec, exec, s[12:13]
	v_and_b32_e32 v1, 7, v13
	v_cmp_ne_u32_e32 vcc, 0, v1
	s_and_saveexec_b64 s[12:13], vcc
	s_cbranch_execz .LBB347_153
; %bb.151:
	v_lshlrev_b32_e32 v10, 2, v0
	v_lshl_or_b32 v13, v16, 10, v10
	s_mov_b64 s[14:15], 0
	v_mov_b32_e32 v11, 0
.LBB347_152:                            ; =>This Inner Loop Header: Depth=1
	ds_read2st64_b32 v[14:15], v13 offset1:4
	v_mov_b32_e32 v10, v8
	v_add_u32_e32 v1, -1, v1
	v_lshlrev_b64 v[16:17], 2, v[10:11]
	v_mov_b32_e32 v10, v9
	v_cmp_eq_u32_e32 vcc, 0, v1
	v_add_co_u32_e64 v16, s[2:3], v3, v16
	v_lshlrev_b64 v[18:19], 2, v[10:11]
	v_add_u32_e32 v8, 0x200, v8
	v_add_u32_e32 v13, 0x800, v13
	;; [unrolled: 1-line block ×3, first 2 shown]
	v_addc_co_u32_e64 v17, s[2:3], v5, v17, s[2:3]
	s_or_b64 s[14:15], vcc, s[14:15]
	v_add_co_u32_e32 v18, vcc, v3, v18
	v_addc_co_u32_e32 v19, vcc, v5, v19, vcc
	s_waitcnt lgkmcnt(0)
	global_store_dword v[16:17], v14, off
	global_store_dword v[18:19], v15, off
	s_andn2_b64 exec, exec, s[14:15]
	s_cbranch_execnz .LBB347_152
.LBB347_153:
	s_or_b64 exec, exec, s[12:13]
	v_add_u32_e32 v1, 1, v12
	v_and_b32_e32 v9, 0x1fffffe, v1
	v_cmp_ne_u32_e32 vcc, v1, v9
	v_lshl_or_b32 v8, v9, 8, v0
	s_orn2_b64 s[2:3], vcc, exec
.LBB347_154:
	s_or_b64 exec, exec, s[10:11]
	s_andn2_b64 s[6:7], s[6:7], exec
	s_and_b64 s[2:3], s[2:3], exec
	s_or_b64 s[6:7], s[6:7], s[2:3]
.LBB347_155:
	s_or_b64 exec, exec, s[8:9]
	s_and_b64 exec, exec, s[6:7]
	s_cbranch_execz .LBB347_158
; %bb.156:
	v_lshlrev_b32_e32 v1, 2, v8
	s_mov_b64 s[2:3], 0
	v_mov_b32_e32 v9, 0
.LBB347_157:                            ; =>This Inner Loop Header: Depth=1
	v_lshlrev_b64 v[10:11], 2, v[8:9]
	ds_read_b32 v12, v1
	v_add_co_u32_e32 v10, vcc, v3, v10
	v_add_u32_e32 v8, 0x100, v8
	v_addc_co_u32_e32 v11, vcc, v5, v11, vcc
	v_cmp_ge_u32_e32 vcc, v8, v2
	v_add_u32_e32 v1, 0x400, v1
	s_or_b64 s[2:3], vcc, s[2:3]
	s_waitcnt lgkmcnt(0)
	global_store_dword v[10:11], v12, off
	s_andn2_b64 exec, exec, s[2:3]
	s_cbranch_execnz .LBB347_157
.LBB347_158:
	s_or_b64 exec, exec, s[4:5]
.LBB347_159:
	s_cmpk_lg_i32 s33, 0xf00
	s_cselect_b64 s[2:3], -1, 0
	s_and_b64 s[0:1], s[0:1], s[38:39]
	v_cndmask_b32_e64 v5, v81, 0, s[0:1]
	s_mul_hi_u32 s0, s33, 0x88888889
	s_lshr_b32 s0, s0, 3
	v_mad_i32_i24 v9, v0, -15, s33
	v_cmp_eq_u32_e32 vcc, s0, v0
	v_cmp_ne_u32_e64 s[0:1], 0, v9
	v_cndmask_b32_e64 v10, 1, v5, s[0:1]
	v_cmp_ne_u32_e64 s[0:1], 1, v9
	v_cndmask_b32_e64 v11, 1, v79, s[0:1]
	;; [unrolled: 2-line block ×15, first 2 shown]
	s_and_b64 vcc, vcc, s[36:37]
	v_cndmask_b32_e32 v32, v66, v9, vcc
	v_cndmask_b32_e32 v29, v67, v29, vcc
	;; [unrolled: 1-line block ×15, first 2 shown]
	v_mov_b32_e32 v5, s53
	v_add_co_u32_e32 v9, vcc, s52, v22
	v_addc_co_u32_e32 v12, vcc, v5, v23, vcc
	v_cndmask_b32_e64 v1, 0, 1, s[38:39]
	v_add_co_u32_e32 v5, vcc, v9, v24
	v_addc_co_u32_e32 v12, vcc, v12, v25, vcc
	v_lshlrev_b32_e32 v9, 2, v1
	v_add_co_u32_e32 v9, vcc, v9, v5
	v_addc_co_u32_e32 v14, vcc, 0, v12, vcc
	v_add_co_u32_e32 v13, vcc, -4, v9
	v_addc_co_u32_e32 v14, vcc, -1, v14, vcc
	v_cmp_eq_u32_e32 vcc, 0, v10
	v_cmp_ne_u32_e64 s[28:29], 0, v10
	v_cndmask_b32_e64 v10, 1, 2, vcc
	v_cmp_eq_u32_e32 vcc, 0, v11
	v_cmp_ne_u32_e64 s[26:27], 0, v11
	v_cndmask_b32_e64 v11, 1, 2, vcc
	v_cmp_eq_u32_e32 vcc, 0, v37
	v_and_b32_e32 v10, v11, v10
	v_cndmask_b32_e64 v11, 1, 2, vcc
	v_cmp_eq_u32_e32 vcc, 0, v36
	v_and_b32_e32 v10, v10, v11
	;; [unrolled: 3-line block ×10, first 2 shown]
	v_cndmask_b32_e64 v11, 1, 2, vcc
	v_cmp_eq_u32_e32 vcc, 0, v28
	s_and_b64 s[2:3], s[2:3], s[36:37]
	v_and_b32_e32 v10, v10, v11
	v_cndmask_b32_e64 v11, 1, 2, vcc
	v_cmp_eq_u32_e32 vcc, 0, v29
	v_sub_u32_e32 v3, v2, v1
	v_cndmask_b32_e64 v8, 0, 1, s[2:3]
	v_and_b32_e32 v10, v10, v11
	v_cndmask_b32_e64 v11, 1, 2, vcc
	v_cmp_eq_u32_e32 vcc, 0, v32
	v_add_u32_e32 v3, v3, v8
	v_and_b32_e32 v10, v10, v11
	v_cndmask_b32_e64 v11, 1, 2, vcc
	s_movk_i32 s30, 0x100
	v_and_b32_e32 v10, v10, v11
	v_cmp_gt_u32_e32 vcc, s30, v3
	v_add_u32_e32 v9, v4, v1
	v_cmp_ne_u32_e64 s[24:25], 0, v37
	v_cmp_ne_u32_e64 s[22:23], 0, v36
	;; [unrolled: 1-line block ×13, first 2 shown]
	s_mov_b64 s[34:35], -1
	v_cmp_gt_i16_e64 s[30:31], 2, v10
	s_barrier
	s_cbranch_vccz .LBB347_166
; %bb.160:
	s_and_saveexec_b64 s[34:35], s[30:31]
	s_cbranch_execz .LBB347_165
; %bb.161:
	v_cmp_ne_u16_e32 vcc, 1, v10
	s_mov_b64 s[38:39], 0
	s_and_saveexec_b64 s[30:31], vcc
	s_xor_b64 s[30:31], exec, s[30:31]
	s_cbranch_execnz .LBB347_227
; %bb.162:
	s_andn2_saveexec_b64 s[30:31], s[30:31]
	s_cbranch_execnz .LBB347_243
.LBB347_163:
	s_or_b64 exec, exec, s[30:31]
	s_and_b64 exec, exec, s[38:39]
	s_cbranch_execz .LBB347_165
.LBB347_164:
	v_sub_u32_e32 v16, v26, v9
	v_mov_b32_e32 v17, 0
	v_lshlrev_b64 v[16:17], 2, v[16:17]
	v_add_co_u32_e32 v16, vcc, v13, v16
	v_addc_co_u32_e32 v17, vcc, v14, v17, vcc
	global_store_dword v[16:17], v27, off
.LBB347_165:
	s_or_b64 exec, exec, s[34:35]
	s_mov_b64 s[34:35], 0
.LBB347_166:
	s_and_b64 vcc, exec, s[34:35]
	s_cbranch_vccz .LBB347_188
; %bb.167:
	v_cmp_gt_i16_e32 vcc, 2, v10
	s_and_saveexec_b64 s[30:31], vcc
	s_cbranch_execz .LBB347_172
; %bb.168:
	v_cmp_ne_u16_e32 vcc, 1, v10
	s_mov_b64 s[38:39], 0
	s_and_saveexec_b64 s[34:35], vcc
	s_xor_b64 s[34:35], exec, s[34:35]
	s_cbranch_execnz .LBB347_244
; %bb.169:
	s_andn2_saveexec_b64 s[0:1], s[34:35]
	s_cbranch_execnz .LBB347_260
.LBB347_170:
	s_or_b64 exec, exec, s[0:1]
	s_and_b64 exec, exec, s[38:39]
	s_cbranch_execz .LBB347_172
.LBB347_171:
	v_sub_u32_e32 v9, v26, v9
	v_lshlrev_b32_e32 v9, 2, v9
	ds_write_b32 v9, v27
.LBB347_172:
	s_or_b64 exec, exec, s[30:31]
	v_cmp_lt_u32_e32 vcc, v0, v3
	s_waitcnt lgkmcnt(0)
	s_barrier
	s_and_saveexec_b64 s[2:3], vcc
	s_cbranch_execz .LBB347_187
; %bb.173:
	v_add_u32_e32 v10, v2, v8
	v_xad_u32 v8, v0, -1, v10
	v_sub_u32_e32 v9, v8, v1
	s_movk_i32 s0, 0x1900
	v_cmp_gt_u32_e64 s[4:5], s0, v9
	s_movk_i32 s0, 0x18ff
	v_cmp_lt_u32_e32 vcc, s0, v9
	v_mov_b32_e32 v8, v0
	s_and_saveexec_b64 s[6:7], vcc
	s_cbranch_execz .LBB347_184
; %bb.174:
	v_sub_u32_e32 v8, v0, v10
	v_add_u32_e32 v1, v8, v1
	v_or_b32_e32 v1, 0xff, v1
	v_cmp_ge_u32_e32 vcc, v1, v0
	s_mov_b64 s[0:1], -1
	v_mov_b32_e32 v8, v0
	s_and_saveexec_b64 s[8:9], vcc
	s_cbranch_execz .LBB347_183
; %bb.175:
	v_lshrrev_b32_e32 v15, 8, v9
	v_add_u32_e32 v8, -1, v15
	v_or_b32_e32 v1, 0x100, v0
	v_lshrrev_b32_e32 v9, 1, v8
	v_add_u32_e32 v17, 1, v9
	v_cmp_lt_u32_e32 vcc, 13, v8
	v_mov_b32_e32 v20, 0
	v_lshlrev_b32_e32 v16, 2, v0
	v_pk_mov_b32 v[8:9], v[0:1], v[0:1] op_sel:[0,1]
	s_and_saveexec_b64 s[10:11], vcc
	s_cbranch_execz .LBB347_179
; %bb.176:
	v_and_b32_e32 v18, -8, v17
	s_mov_b32 s14, 0
	s_mov_b64 s[12:13], 0
	v_mov_b32_e32 v11, 0
	v_mov_b32_e32 v19, v16
	v_pk_mov_b32 v[8:9], v[0:1], v[0:1] op_sel:[0,1]
.LBB347_177:                            ; =>This Inner Loop Header: Depth=1
	v_mov_b32_e32 v10, v8
	v_add_u32_e32 v18, -8, v18
	v_lshlrev_b64 v[50:51], 2, v[10:11]
	v_mov_b32_e32 v10, v9
	ds_read2st64_b32 v[22:23], v19 offset1:4
	s_add_i32 s14, s14, 16
	v_cmp_eq_u32_e32 vcc, 0, v18
	v_lshlrev_b64 v[54:55], 2, v[10:11]
	v_add_u32_e32 v10, 0x200, v8
	s_or_b64 s[12:13], vcc, s[12:13]
	v_add_co_u32_e32 v54, vcc, v13, v54
	v_add_u32_e32 v20, 0x200, v9
	v_mov_b32_e32 v21, v11
	ds_read2st64_b32 v[24:25], v19 offset0:8 offset1:12
	ds_read2st64_b32 v[28:29], v19 offset0:16 offset1:20
	v_add_co_u32_e64 v50, s[0:1], v13, v50
	v_addc_co_u32_e32 v55, vcc, v14, v55, vcc
	v_lshlrev_b64 v[56:57], 2, v[10:11]
	v_lshlrev_b64 v[52:53], 2, v[20:21]
	v_addc_co_u32_e64 v51, s[0:1], v14, v51, s[0:1]
	v_add_u32_e32 v10, 0x400, v8
	v_add_co_u32_e32 v56, vcc, v13, v56
	v_add_u32_e32 v26, 0x400, v9
	v_mov_b32_e32 v27, v11
	ds_read2st64_b32 v[32:33], v19 offset0:24 offset1:28
	v_add_co_u32_e64 v52, s[0:1], v13, v52
	v_addc_co_u32_e32 v57, vcc, v14, v57, vcc
	v_lshlrev_b64 v[58:59], 2, v[10:11]
	ds_read2st64_b32 v[36:37], v19 offset0:32 offset1:36
	ds_read2st64_b32 v[40:41], v19 offset0:40 offset1:44
	;; [unrolled: 1-line block ×4, first 2 shown]
	v_lshlrev_b64 v[26:27], 2, v[26:27]
	v_addc_co_u32_e64 v53, s[0:1], v14, v53, s[0:1]
	v_add_u32_e32 v10, 0x600, v8
	s_waitcnt lgkmcnt(7)
	global_store_dword v[50:51], v22, off
	global_store_dword v[54:55], v23, off
	s_waitcnt lgkmcnt(6)
	global_store_dword v[56:57], v24, off
	global_store_dword v[52:53], v25, off
	v_add_co_u32_e32 v22, vcc, v13, v58
	v_add_u32_e32 v30, 0x600, v9
	v_mov_b32_e32 v31, v11
	v_add_co_u32_e64 v26, s[0:1], v13, v26
	v_addc_co_u32_e32 v23, vcc, v14, v59, vcc
	v_lshlrev_b64 v[24:25], 2, v[10:11]
	v_lshlrev_b64 v[30:31], 2, v[30:31]
	v_addc_co_u32_e64 v27, s[0:1], v14, v27, s[0:1]
	v_add_u32_e32 v10, 0x800, v8
	s_waitcnt lgkmcnt(5)
	global_store_dword v[22:23], v28, off
	global_store_dword v[26:27], v29, off
	v_add_co_u32_e32 v22, vcc, v13, v24
	v_add_u32_e32 v34, 0x800, v9
	v_mov_b32_e32 v35, v11
	v_add_co_u32_e64 v30, s[0:1], v13, v30
	v_addc_co_u32_e32 v23, vcc, v14, v25, vcc
	v_lshlrev_b64 v[24:25], 2, v[10:11]
	v_lshlrev_b64 v[34:35], 2, v[34:35]
	v_addc_co_u32_e64 v31, s[0:1], v14, v31, s[0:1]
	v_add_u32_e32 v10, 0xa00, v8
	;; [unrolled: 12-line block ×4, first 2 shown]
	s_waitcnt lgkmcnt(2)
	global_store_dword v[22:23], v40, off
	global_store_dword v[38:39], v41, off
	v_add_co_u32_e32 v22, vcc, v13, v24
	v_add_u32_e32 v46, 0xe00, v9
	v_mov_b32_e32 v47, v11
	v_add_co_u32_e64 v42, s[0:1], v13, v42
	v_addc_co_u32_e32 v23, vcc, v14, v25, vcc
	v_lshlrev_b64 v[24:25], 2, v[10:11]
	v_lshlrev_b64 v[46:47], 2, v[46:47]
	v_addc_co_u32_e64 v43, s[0:1], v14, v43, s[0:1]
	s_waitcnt lgkmcnt(1)
	global_store_dword v[22:23], v44, off
	global_store_dword v[42:43], v45, off
	v_add_co_u32_e32 v22, vcc, v13, v24
	v_add_u32_e32 v19, 0x4000, v19
	v_add_u32_e32 v9, 0x1000, v9
	v_mov_b32_e32 v20, s14
	v_add_co_u32_e64 v46, s[0:1], v13, v46
	v_add_u32_e32 v8, 0x1000, v8
	v_addc_co_u32_e32 v23, vcc, v14, v25, vcc
	v_addc_co_u32_e64 v47, s[0:1], v14, v47, s[0:1]
	s_waitcnt lgkmcnt(0)
	global_store_dword v[22:23], v48, off
	global_store_dword v[46:47], v49, off
	s_andn2_b64 exec, exec, s[12:13]
	s_cbranch_execnz .LBB347_177
; %bb.178:
	s_or_b64 exec, exec, s[12:13]
.LBB347_179:
	s_or_b64 exec, exec, s[10:11]
	v_and_b32_e32 v1, 7, v17
	v_cmp_ne_u32_e32 vcc, 0, v1
	s_and_saveexec_b64 s[10:11], vcc
	s_cbranch_execz .LBB347_182
; %bb.180:
	v_lshl_or_b32 v16, v20, 10, v16
	s_mov_b64 s[12:13], 0
	v_mov_b32_e32 v11, 0
.LBB347_181:                            ; =>This Inner Loop Header: Depth=1
	ds_read2st64_b32 v[18:19], v16 offset1:4
	v_mov_b32_e32 v10, v8
	v_add_u32_e32 v1, -1, v1
	v_lshlrev_b64 v[20:21], 2, v[10:11]
	v_mov_b32_e32 v10, v9
	v_cmp_eq_u32_e32 vcc, 0, v1
	v_add_co_u32_e64 v20, s[0:1], v13, v20
	v_lshlrev_b64 v[22:23], 2, v[10:11]
	v_add_u32_e32 v8, 0x200, v8
	v_add_u32_e32 v16, 0x800, v16
	;; [unrolled: 1-line block ×3, first 2 shown]
	v_addc_co_u32_e64 v21, s[0:1], v14, v21, s[0:1]
	s_or_b64 s[12:13], vcc, s[12:13]
	v_add_co_u32_e32 v22, vcc, v13, v22
	v_addc_co_u32_e32 v23, vcc, v14, v23, vcc
	s_waitcnt lgkmcnt(0)
	global_store_dword v[20:21], v18, off
	global_store_dword v[22:23], v19, off
	s_andn2_b64 exec, exec, s[12:13]
	s_cbranch_execnz .LBB347_181
.LBB347_182:
	s_or_b64 exec, exec, s[10:11]
	v_add_u32_e32 v1, 1, v15
	v_and_b32_e32 v9, 0x1fffffe, v1
	v_cmp_ne_u32_e32 vcc, v1, v9
	v_lshl_or_b32 v8, v9, 8, v0
	s_orn2_b64 s[0:1], vcc, exec
.LBB347_183:
	s_or_b64 exec, exec, s[8:9]
	s_andn2_b64 s[4:5], s[4:5], exec
	s_and_b64 s[0:1], s[0:1], exec
	s_or_b64 s[4:5], s[4:5], s[0:1]
.LBB347_184:
	s_or_b64 exec, exec, s[6:7]
	s_and_b64 exec, exec, s[4:5]
	s_cbranch_execz .LBB347_187
; %bb.185:
	v_lshlrev_b32_e32 v1, 2, v8
	s_mov_b64 s[0:1], 0
	v_mov_b32_e32 v9, 0
.LBB347_186:                            ; =>This Inner Loop Header: Depth=1
	v_lshlrev_b64 v[10:11], 2, v[8:9]
	ds_read_b32 v15, v1
	v_add_co_u32_e32 v10, vcc, v13, v10
	v_add_u32_e32 v8, 0x100, v8
	v_addc_co_u32_e32 v11, vcc, v14, v11, vcc
	v_cmp_ge_u32_e32 vcc, v8, v3
	v_add_u32_e32 v1, 0x400, v1
	s_or_b64 s[0:1], vcc, s[0:1]
	s_waitcnt lgkmcnt(0)
	global_store_dword v[10:11], v15, off
	s_andn2_b64 exec, exec, s[0:1]
	s_cbranch_execnz .LBB347_186
.LBB347_187:
	s_or_b64 exec, exec, s[2:3]
.LBB347_188:
	s_movk_i32 s0, 0xff
	v_cmp_eq_u32_e32 vcc, s0, v0
	s_and_b64 s[0:1], vcc, s[36:37]
	s_and_saveexec_b64 s[2:3], s[0:1]
	s_cbranch_execz .LBB347_191
; %bb.189:
	v_add_co_u32_e32 v0, vcc, v2, v4
	v_addc_co_u32_e64 v1, s[0:1], 0, 0, vcc
	v_add_co_u32_e32 v0, vcc, v0, v6
	v_mov_b32_e32 v3, 0
	v_addc_co_u32_e32 v1, vcc, v1, v7, vcc
	s_cmpk_lg_i32 s33, 0xf00
	global_store_dwordx2 v3, v[0:1], s[54:55]
	s_cbranch_scc1 .LBB347_191
; %bb.190:
	v_lshlrev_b64 v[0:1], 2, v[2:3]
	v_add_co_u32_e32 v0, vcc, v5, v0
	v_addc_co_u32_e32 v1, vcc, v12, v1, vcc
	global_store_dword v[0:1], v80, off offset:-4
.LBB347_191:
	s_endpgm
.LBB347_192:
	s_or_b64 exec, exec, s[6:7]
	v_mov_b32_e32 v81, s10
	s_and_saveexec_b64 s[2:3], s[34:35]
	s_cbranch_execnz .LBB347_88
	s_branch .LBB347_89
.LBB347_193:
	s_and_saveexec_b64 s[42:43], s[30:31]
	s_cbranch_execnz .LBB347_261
; %bb.194:
	s_or_b64 exec, exec, s[42:43]
	s_and_saveexec_b64 s[42:43], s[28:29]
	s_cbranch_execnz .LBB347_262
.LBB347_195:
	s_or_b64 exec, exec, s[42:43]
	s_and_saveexec_b64 s[42:43], s[26:27]
	s_cbranch_execnz .LBB347_263
.LBB347_196:
	s_or_b64 exec, exec, s[42:43]
	s_and_saveexec_b64 s[42:43], s[24:25]
	s_cbranch_execnz .LBB347_264
.LBB347_197:
	s_or_b64 exec, exec, s[42:43]
	s_and_saveexec_b64 s[42:43], s[22:23]
	s_cbranch_execnz .LBB347_265
.LBB347_198:
	s_or_b64 exec, exec, s[42:43]
	s_and_saveexec_b64 s[42:43], s[20:21]
	s_cbranch_execnz .LBB347_266
.LBB347_199:
	s_or_b64 exec, exec, s[42:43]
	s_and_saveexec_b64 s[42:43], s[18:19]
	s_cbranch_execnz .LBB347_267
.LBB347_200:
	s_or_b64 exec, exec, s[42:43]
	s_and_saveexec_b64 s[42:43], s[16:17]
	s_cbranch_execnz .LBB347_268
.LBB347_201:
	s_or_b64 exec, exec, s[42:43]
	s_and_saveexec_b64 s[42:43], s[14:15]
	s_cbranch_execnz .LBB347_269
.LBB347_202:
	s_or_b64 exec, exec, s[42:43]
	s_and_saveexec_b64 s[42:43], s[12:13]
	s_cbranch_execnz .LBB347_270
.LBB347_203:
	s_or_b64 exec, exec, s[42:43]
	s_and_saveexec_b64 s[42:43], s[10:11]
	s_cbranch_execnz .LBB347_271
.LBB347_204:
	s_or_b64 exec, exec, s[42:43]
	s_and_saveexec_b64 s[42:43], s[8:9]
	s_cbranch_execnz .LBB347_272
.LBB347_205:
	s_or_b64 exec, exec, s[42:43]
	s_and_saveexec_b64 s[42:43], s[6:7]
	s_cbranch_execnz .LBB347_273
.LBB347_206:
	s_or_b64 exec, exec, s[42:43]
	s_and_saveexec_b64 s[42:43], s[4:5]
	s_cbranch_execz .LBB347_208
.LBB347_207:
	v_sub_u32_e32 v32, v30, v4
	v_mov_b32_e32 v33, 0
	v_lshlrev_b64 v[32:33], 2, v[32:33]
	v_add_co_u32_e32 v32, vcc, v3, v32
	v_addc_co_u32_e32 v33, vcc, v5, v33, vcc
	global_store_dword v[32:33], v9, off
.LBB347_208:
	s_or_b64 exec, exec, s[42:43]
	s_and_b64 s[42:43], s[2:3], exec
	s_andn2_saveexec_b64 s[34:35], s[34:35]
	s_cbranch_execz .LBB347_134
.LBB347_209:
	v_sub_u32_e32 v32, v64, v4
	v_mov_b32_e32 v33, 0
	v_lshlrev_b64 v[36:37], 2, v[32:33]
	v_add_co_u32_e32 v36, vcc, v3, v36
	v_addc_co_u32_e32 v37, vcc, v5, v37, vcc
	v_sub_u32_e32 v32, v62, v4
	global_store_dword v[36:37], v20, off
	v_lshlrev_b64 v[36:37], 2, v[32:33]
	v_add_co_u32_e32 v36, vcc, v3, v36
	v_addc_co_u32_e32 v37, vcc, v5, v37, vcc
	v_sub_u32_e32 v32, v60, v4
	global_store_dword v[36:37], v21, off
	;; [unrolled: 5-line block ×12, first 2 shown]
	v_lshlrev_b64 v[36:37], 2, v[32:33]
	v_add_co_u32_e32 v36, vcc, v3, v36
	v_sub_u32_e32 v32, v30, v4
	v_addc_co_u32_e32 v37, vcc, v5, v37, vcc
	v_lshlrev_b64 v[32:33], 2, v[32:33]
	v_add_co_u32_e32 v32, vcc, v3, v32
	v_addc_co_u32_e32 v33, vcc, v5, v33, vcc
	s_or_b64 s[42:43], s[42:43], exec
	global_store_dword v[36:37], v8, off
	global_store_dword v[32:33], v9, off
	s_or_b64 exec, exec, s[34:35]
	s_and_b64 exec, exec, s[42:43]
	s_cbranch_execnz .LBB347_135
	s_branch .LBB347_136
.LBB347_210:
	s_and_saveexec_b64 s[42:43], s[30:31]
	s_cbranch_execnz .LBB347_274
; %bb.211:
	s_or_b64 exec, exec, s[42:43]
	s_and_saveexec_b64 s[30:31], s[28:29]
	s_cbranch_execnz .LBB347_275
.LBB347_212:
	s_or_b64 exec, exec, s[30:31]
	s_and_saveexec_b64 s[28:29], s[26:27]
	s_cbranch_execnz .LBB347_276
.LBB347_213:
	s_or_b64 exec, exec, s[28:29]
	s_and_saveexec_b64 s[26:27], s[24:25]
	s_cbranch_execnz .LBB347_277
.LBB347_214:
	s_or_b64 exec, exec, s[26:27]
	s_and_saveexec_b64 s[24:25], s[22:23]
	s_cbranch_execnz .LBB347_278
.LBB347_215:
	s_or_b64 exec, exec, s[24:25]
	s_and_saveexec_b64 s[22:23], s[20:21]
	s_cbranch_execnz .LBB347_279
.LBB347_216:
	s_or_b64 exec, exec, s[22:23]
	s_and_saveexec_b64 s[20:21], s[18:19]
	s_cbranch_execnz .LBB347_280
.LBB347_217:
	s_or_b64 exec, exec, s[20:21]
	s_and_saveexec_b64 s[18:19], s[16:17]
	s_cbranch_execnz .LBB347_281
.LBB347_218:
	s_or_b64 exec, exec, s[18:19]
	s_and_saveexec_b64 s[16:17], s[14:15]
	s_cbranch_execnz .LBB347_282
.LBB347_219:
	s_or_b64 exec, exec, s[16:17]
	s_and_saveexec_b64 s[14:15], s[12:13]
	s_cbranch_execnz .LBB347_283
.LBB347_220:
	s_or_b64 exec, exec, s[14:15]
	s_and_saveexec_b64 s[12:13], s[10:11]
	s_cbranch_execnz .LBB347_284
.LBB347_221:
	s_or_b64 exec, exec, s[12:13]
	s_and_saveexec_b64 s[10:11], s[8:9]
	s_cbranch_execnz .LBB347_285
.LBB347_222:
	s_or_b64 exec, exec, s[10:11]
	s_and_saveexec_b64 s[8:9], s[6:7]
	s_cbranch_execnz .LBB347_286
.LBB347_223:
	s_or_b64 exec, exec, s[8:9]
	s_and_saveexec_b64 s[6:7], s[4:5]
	s_cbranch_execz .LBB347_225
.LBB347_224:
	v_sub_u32_e32 v8, v30, v4
	v_lshlrev_b32_e32 v8, 2, v8
	ds_write_b32 v8, v9
.LBB347_225:
	s_or_b64 exec, exec, s[6:7]
	s_and_b64 s[42:43], s[2:3], exec
                                        ; implicit-def: $vgpr8
                                        ; implicit-def: $vgpr10
                                        ; implicit-def: $vgpr12
                                        ; implicit-def: $vgpr14
                                        ; implicit-def: $vgpr16
                                        ; implicit-def: $vgpr18
                                        ; implicit-def: $vgpr20
	s_andn2_saveexec_b64 s[2:3], s[40:41]
	s_cbranch_execz .LBB347_141
.LBB347_226:
	v_sub_u32_e32 v28, v64, v4
	v_lshlrev_b32_e32 v28, 2, v28
	ds_write_b32 v28, v20
	v_sub_u32_e32 v20, v62, v4
	v_lshlrev_b32_e32 v20, 2, v20
	ds_write_b32 v20, v21
	;; [unrolled: 3-line block ×13, first 2 shown]
	v_sub_u32_e32 v8, v30, v4
	v_lshlrev_b32_e32 v8, 2, v8
	s_or_b64 s[42:43], s[42:43], exec
	ds_write_b32 v8, v9
	s_or_b64 exec, exec, s[2:3]
	s_and_b64 exec, exec, s[42:43]
	s_cbranch_execnz .LBB347_142
	s_branch .LBB347_143
.LBB347_227:
	s_and_saveexec_b64 s[38:39], s[28:29]
	s_cbranch_execnz .LBB347_287
; %bb.228:
	s_or_b64 exec, exec, s[38:39]
	s_and_saveexec_b64 s[38:39], s[26:27]
	s_cbranch_execnz .LBB347_288
.LBB347_229:
	s_or_b64 exec, exec, s[38:39]
	s_and_saveexec_b64 s[38:39], s[24:25]
	s_cbranch_execnz .LBB347_289
.LBB347_230:
	s_or_b64 exec, exec, s[38:39]
	s_and_saveexec_b64 s[38:39], s[22:23]
	s_cbranch_execnz .LBB347_290
.LBB347_231:
	s_or_b64 exec, exec, s[38:39]
	s_and_saveexec_b64 s[38:39], s[20:21]
	s_cbranch_execnz .LBB347_291
.LBB347_232:
	s_or_b64 exec, exec, s[38:39]
	s_and_saveexec_b64 s[38:39], s[18:19]
	s_cbranch_execnz .LBB347_292
.LBB347_233:
	s_or_b64 exec, exec, s[38:39]
	s_and_saveexec_b64 s[38:39], s[16:17]
	s_cbranch_execnz .LBB347_293
.LBB347_234:
	s_or_b64 exec, exec, s[38:39]
	s_and_saveexec_b64 s[38:39], s[14:15]
	s_cbranch_execnz .LBB347_294
.LBB347_235:
	s_or_b64 exec, exec, s[38:39]
	s_and_saveexec_b64 s[38:39], s[12:13]
	s_cbranch_execnz .LBB347_295
.LBB347_236:
	s_or_b64 exec, exec, s[38:39]
	s_and_saveexec_b64 s[38:39], s[10:11]
	s_cbranch_execnz .LBB347_296
.LBB347_237:
	s_or_b64 exec, exec, s[38:39]
	s_and_saveexec_b64 s[38:39], s[8:9]
	s_cbranch_execnz .LBB347_297
.LBB347_238:
	s_or_b64 exec, exec, s[38:39]
	s_and_saveexec_b64 s[38:39], s[6:7]
	s_cbranch_execnz .LBB347_298
.LBB347_239:
	s_or_b64 exec, exec, s[38:39]
	s_and_saveexec_b64 s[38:39], s[4:5]
	s_cbranch_execnz .LBB347_299
.LBB347_240:
	s_or_b64 exec, exec, s[38:39]
	s_and_saveexec_b64 s[38:39], s[2:3]
	s_cbranch_execz .LBB347_242
.LBB347_241:
	v_sub_u32_e32 v16, v30, v9
	v_mov_b32_e32 v17, 0
	v_lshlrev_b64 v[16:17], 2, v[16:17]
	v_add_co_u32_e32 v16, vcc, v13, v16
	v_addc_co_u32_e32 v17, vcc, v14, v17, vcc
	global_store_dword v[16:17], v31, off
.LBB347_242:
	s_or_b64 exec, exec, s[38:39]
	s_and_b64 s[38:39], s[0:1], exec
	s_andn2_saveexec_b64 s[30:31], s[30:31]
	s_cbranch_execz .LBB347_163
.LBB347_243:
	v_sub_u32_e32 v16, v64, v9
	v_mov_b32_e32 v17, 0
	v_lshlrev_b64 v[18:19], 2, v[16:17]
	v_add_co_u32_e32 v18, vcc, v13, v18
	v_addc_co_u32_e32 v19, vcc, v14, v19, vcc
	v_sub_u32_e32 v16, v62, v9
	global_store_dword v[18:19], v65, off
	v_lshlrev_b64 v[18:19], 2, v[16:17]
	v_add_co_u32_e32 v18, vcc, v13, v18
	v_addc_co_u32_e32 v19, vcc, v14, v19, vcc
	v_sub_u32_e32 v16, v60, v9
	global_store_dword v[18:19], v63, off
	;; [unrolled: 5-line block ×12, first 2 shown]
	v_lshlrev_b64 v[18:19], 2, v[16:17]
	v_add_co_u32_e32 v18, vcc, v13, v18
	v_sub_u32_e32 v16, v30, v9
	v_addc_co_u32_e32 v19, vcc, v14, v19, vcc
	v_lshlrev_b64 v[16:17], 2, v[16:17]
	v_add_co_u32_e32 v16, vcc, v13, v16
	v_addc_co_u32_e32 v17, vcc, v14, v17, vcc
	s_or_b64 s[38:39], s[38:39], exec
	global_store_dword v[18:19], v35, off
	global_store_dword v[16:17], v31, off
	s_or_b64 exec, exec, s[30:31]
	s_and_b64 exec, exec, s[38:39]
	s_cbranch_execnz .LBB347_164
	s_branch .LBB347_165
.LBB347_244:
	s_and_saveexec_b64 s[38:39], s[28:29]
	s_cbranch_execnz .LBB347_300
; %bb.245:
	s_or_b64 exec, exec, s[38:39]
	s_and_saveexec_b64 s[28:29], s[26:27]
	s_cbranch_execnz .LBB347_301
.LBB347_246:
	s_or_b64 exec, exec, s[28:29]
	s_and_saveexec_b64 s[26:27], s[24:25]
	s_cbranch_execnz .LBB347_302
.LBB347_247:
	s_or_b64 exec, exec, s[26:27]
	s_and_saveexec_b64 s[24:25], s[22:23]
	s_cbranch_execnz .LBB347_303
.LBB347_248:
	s_or_b64 exec, exec, s[24:25]
	s_and_saveexec_b64 s[22:23], s[20:21]
	s_cbranch_execnz .LBB347_304
.LBB347_249:
	s_or_b64 exec, exec, s[22:23]
	s_and_saveexec_b64 s[20:21], s[18:19]
	s_cbranch_execnz .LBB347_305
.LBB347_250:
	s_or_b64 exec, exec, s[20:21]
	s_and_saveexec_b64 s[18:19], s[16:17]
	s_cbranch_execnz .LBB347_306
.LBB347_251:
	s_or_b64 exec, exec, s[18:19]
	s_and_saveexec_b64 s[16:17], s[14:15]
	s_cbranch_execnz .LBB347_307
.LBB347_252:
	s_or_b64 exec, exec, s[16:17]
	s_and_saveexec_b64 s[14:15], s[12:13]
	s_cbranch_execnz .LBB347_308
.LBB347_253:
	s_or_b64 exec, exec, s[14:15]
	s_and_saveexec_b64 s[12:13], s[10:11]
	s_cbranch_execnz .LBB347_309
.LBB347_254:
	s_or_b64 exec, exec, s[12:13]
	s_and_saveexec_b64 s[10:11], s[8:9]
	s_cbranch_execnz .LBB347_310
.LBB347_255:
	s_or_b64 exec, exec, s[10:11]
	s_and_saveexec_b64 s[8:9], s[6:7]
	s_cbranch_execnz .LBB347_311
.LBB347_256:
	s_or_b64 exec, exec, s[8:9]
	s_and_saveexec_b64 s[6:7], s[4:5]
	s_cbranch_execnz .LBB347_312
.LBB347_257:
	s_or_b64 exec, exec, s[6:7]
	s_and_saveexec_b64 s[4:5], s[2:3]
	s_cbranch_execz .LBB347_259
.LBB347_258:
	v_sub_u32_e32 v10, v30, v9
	v_lshlrev_b32_e32 v10, 2, v10
	ds_write_b32 v10, v31
.LBB347_259:
	s_or_b64 exec, exec, s[4:5]
	s_and_b64 s[38:39], s[0:1], exec
                                        ; implicit-def: $vgpr64_vgpr65
                                        ; implicit-def: $vgpr62_vgpr63
                                        ; implicit-def: $vgpr60_vgpr61
                                        ; implicit-def: $vgpr58_vgpr59
                                        ; implicit-def: $vgpr56_vgpr57
                                        ; implicit-def: $vgpr54_vgpr55
                                        ; implicit-def: $vgpr52_vgpr53
                                        ; implicit-def: $vgpr50_vgpr51
                                        ; implicit-def: $vgpr46_vgpr47
                                        ; implicit-def: $vgpr44_vgpr45
                                        ; implicit-def: $vgpr40_vgpr41
                                        ; implicit-def: $vgpr38_vgpr39
                                        ; implicit-def: $vgpr34_vgpr35
                                        ; implicit-def: $vgpr30_vgpr31
	s_andn2_saveexec_b64 s[0:1], s[34:35]
	s_cbranch_execz .LBB347_170
.LBB347_260:
	v_sub_u32_e32 v10, v64, v9
	v_lshlrev_b32_e32 v10, 2, v10
	ds_write_b32 v10, v65
	v_sub_u32_e32 v10, v62, v9
	v_lshlrev_b32_e32 v10, 2, v10
	ds_write_b32 v10, v63
	;; [unrolled: 3-line block ×13, first 2 shown]
	v_sub_u32_e32 v10, v30, v9
	v_lshlrev_b32_e32 v10, 2, v10
	s_or_b64 s[38:39], s[38:39], exec
	ds_write_b32 v10, v31
	s_or_b64 exec, exec, s[0:1]
	s_and_b64 exec, exec, s[38:39]
	s_cbranch_execnz .LBB347_171
	s_branch .LBB347_172
.LBB347_261:
	v_sub_u32_e32 v32, v64, v4
	v_mov_b32_e32 v33, 0
	v_lshlrev_b64 v[32:33], 2, v[32:33]
	v_add_co_u32_e32 v32, vcc, v3, v32
	v_addc_co_u32_e32 v33, vcc, v5, v33, vcc
	global_store_dword v[32:33], v20, off
	s_or_b64 exec, exec, s[42:43]
	s_and_saveexec_b64 s[42:43], s[28:29]
	s_cbranch_execz .LBB347_195
.LBB347_262:
	v_sub_u32_e32 v32, v62, v4
	v_mov_b32_e32 v33, 0
	v_lshlrev_b64 v[32:33], 2, v[32:33]
	v_add_co_u32_e32 v32, vcc, v3, v32
	v_addc_co_u32_e32 v33, vcc, v5, v33, vcc
	global_store_dword v[32:33], v21, off
	s_or_b64 exec, exec, s[42:43]
	s_and_saveexec_b64 s[42:43], s[26:27]
	s_cbranch_execz .LBB347_196
.LBB347_263:
	v_sub_u32_e32 v32, v60, v4
	v_mov_b32_e32 v33, 0
	v_lshlrev_b64 v[32:33], 2, v[32:33]
	v_add_co_u32_e32 v32, vcc, v3, v32
	v_addc_co_u32_e32 v33, vcc, v5, v33, vcc
	global_store_dword v[32:33], v18, off
	s_or_b64 exec, exec, s[42:43]
	s_and_saveexec_b64 s[42:43], s[24:25]
	s_cbranch_execz .LBB347_197
.LBB347_264:
	v_sub_u32_e32 v32, v58, v4
	v_mov_b32_e32 v33, 0
	v_lshlrev_b64 v[32:33], 2, v[32:33]
	v_add_co_u32_e32 v32, vcc, v3, v32
	v_addc_co_u32_e32 v33, vcc, v5, v33, vcc
	global_store_dword v[32:33], v19, off
	s_or_b64 exec, exec, s[42:43]
	s_and_saveexec_b64 s[42:43], s[22:23]
	s_cbranch_execz .LBB347_198
.LBB347_265:
	v_sub_u32_e32 v32, v56, v4
	v_mov_b32_e32 v33, 0
	v_lshlrev_b64 v[32:33], 2, v[32:33]
	v_add_co_u32_e32 v32, vcc, v3, v32
	v_addc_co_u32_e32 v33, vcc, v5, v33, vcc
	global_store_dword v[32:33], v16, off
	s_or_b64 exec, exec, s[42:43]
	s_and_saveexec_b64 s[42:43], s[20:21]
	s_cbranch_execz .LBB347_199
.LBB347_266:
	v_sub_u32_e32 v32, v54, v4
	v_mov_b32_e32 v33, 0
	v_lshlrev_b64 v[32:33], 2, v[32:33]
	v_add_co_u32_e32 v32, vcc, v3, v32
	v_addc_co_u32_e32 v33, vcc, v5, v33, vcc
	global_store_dword v[32:33], v17, off
	s_or_b64 exec, exec, s[42:43]
	s_and_saveexec_b64 s[42:43], s[18:19]
	s_cbranch_execz .LBB347_200
.LBB347_267:
	v_sub_u32_e32 v32, v52, v4
	v_mov_b32_e32 v33, 0
	v_lshlrev_b64 v[32:33], 2, v[32:33]
	v_add_co_u32_e32 v32, vcc, v3, v32
	v_addc_co_u32_e32 v33, vcc, v5, v33, vcc
	global_store_dword v[32:33], v14, off
	s_or_b64 exec, exec, s[42:43]
	s_and_saveexec_b64 s[42:43], s[16:17]
	s_cbranch_execz .LBB347_201
.LBB347_268:
	v_sub_u32_e32 v32, v50, v4
	v_mov_b32_e32 v33, 0
	v_lshlrev_b64 v[32:33], 2, v[32:33]
	v_add_co_u32_e32 v32, vcc, v3, v32
	v_addc_co_u32_e32 v33, vcc, v5, v33, vcc
	global_store_dword v[32:33], v15, off
	s_or_b64 exec, exec, s[42:43]
	s_and_saveexec_b64 s[42:43], s[14:15]
	s_cbranch_execz .LBB347_202
.LBB347_269:
	v_sub_u32_e32 v32, v46, v4
	v_mov_b32_e32 v33, 0
	v_lshlrev_b64 v[32:33], 2, v[32:33]
	v_add_co_u32_e32 v32, vcc, v3, v32
	v_addc_co_u32_e32 v33, vcc, v5, v33, vcc
	global_store_dword v[32:33], v12, off
	s_or_b64 exec, exec, s[42:43]
	s_and_saveexec_b64 s[42:43], s[12:13]
	s_cbranch_execz .LBB347_203
.LBB347_270:
	v_sub_u32_e32 v32, v44, v4
	v_mov_b32_e32 v33, 0
	v_lshlrev_b64 v[32:33], 2, v[32:33]
	v_add_co_u32_e32 v32, vcc, v3, v32
	v_addc_co_u32_e32 v33, vcc, v5, v33, vcc
	global_store_dword v[32:33], v13, off
	s_or_b64 exec, exec, s[42:43]
	s_and_saveexec_b64 s[42:43], s[10:11]
	s_cbranch_execz .LBB347_204
.LBB347_271:
	v_sub_u32_e32 v32, v40, v4
	v_mov_b32_e32 v33, 0
	v_lshlrev_b64 v[32:33], 2, v[32:33]
	v_add_co_u32_e32 v32, vcc, v3, v32
	v_addc_co_u32_e32 v33, vcc, v5, v33, vcc
	global_store_dword v[32:33], v10, off
	s_or_b64 exec, exec, s[42:43]
	s_and_saveexec_b64 s[42:43], s[8:9]
	s_cbranch_execz .LBB347_205
.LBB347_272:
	v_sub_u32_e32 v32, v38, v4
	v_mov_b32_e32 v33, 0
	v_lshlrev_b64 v[32:33], 2, v[32:33]
	v_add_co_u32_e32 v32, vcc, v3, v32
	v_addc_co_u32_e32 v33, vcc, v5, v33, vcc
	global_store_dword v[32:33], v11, off
	s_or_b64 exec, exec, s[42:43]
	s_and_saveexec_b64 s[42:43], s[6:7]
	s_cbranch_execz .LBB347_206
.LBB347_273:
	v_sub_u32_e32 v32, v34, v4
	v_mov_b32_e32 v33, 0
	v_lshlrev_b64 v[32:33], 2, v[32:33]
	v_add_co_u32_e32 v32, vcc, v3, v32
	v_addc_co_u32_e32 v33, vcc, v5, v33, vcc
	global_store_dword v[32:33], v8, off
	s_or_b64 exec, exec, s[42:43]
	s_and_saveexec_b64 s[42:43], s[4:5]
	s_cbranch_execnz .LBB347_207
	s_branch .LBB347_208
.LBB347_274:
	v_sub_u32_e32 v28, v64, v4
	v_lshlrev_b32_e32 v28, 2, v28
	ds_write_b32 v28, v20
	s_or_b64 exec, exec, s[42:43]
	s_and_saveexec_b64 s[30:31], s[28:29]
	s_cbranch_execz .LBB347_212
.LBB347_275:
	v_sub_u32_e32 v20, v62, v4
	v_lshlrev_b32_e32 v20, 2, v20
	ds_write_b32 v20, v21
	s_or_b64 exec, exec, s[30:31]
	s_and_saveexec_b64 s[28:29], s[26:27]
	s_cbranch_execz .LBB347_213
.LBB347_276:
	v_sub_u32_e32 v20, v60, v4
	v_lshlrev_b32_e32 v20, 2, v20
	ds_write_b32 v20, v18
	s_or_b64 exec, exec, s[28:29]
	s_and_saveexec_b64 s[26:27], s[24:25]
	s_cbranch_execz .LBB347_214
.LBB347_277:
	v_sub_u32_e32 v18, v58, v4
	v_lshlrev_b32_e32 v18, 2, v18
	ds_write_b32 v18, v19
	s_or_b64 exec, exec, s[26:27]
	s_and_saveexec_b64 s[24:25], s[22:23]
	s_cbranch_execz .LBB347_215
.LBB347_278:
	v_sub_u32_e32 v18, v56, v4
	v_lshlrev_b32_e32 v18, 2, v18
	ds_write_b32 v18, v16
	s_or_b64 exec, exec, s[24:25]
	s_and_saveexec_b64 s[22:23], s[20:21]
	s_cbranch_execz .LBB347_216
.LBB347_279:
	v_sub_u32_e32 v16, v54, v4
	v_lshlrev_b32_e32 v16, 2, v16
	ds_write_b32 v16, v17
	s_or_b64 exec, exec, s[22:23]
	s_and_saveexec_b64 s[20:21], s[18:19]
	s_cbranch_execz .LBB347_217
.LBB347_280:
	v_sub_u32_e32 v16, v52, v4
	v_lshlrev_b32_e32 v16, 2, v16
	ds_write_b32 v16, v14
	s_or_b64 exec, exec, s[20:21]
	s_and_saveexec_b64 s[18:19], s[16:17]
	s_cbranch_execz .LBB347_218
.LBB347_281:
	v_sub_u32_e32 v14, v50, v4
	v_lshlrev_b32_e32 v14, 2, v14
	ds_write_b32 v14, v15
	s_or_b64 exec, exec, s[18:19]
	s_and_saveexec_b64 s[16:17], s[14:15]
	s_cbranch_execz .LBB347_219
.LBB347_282:
	v_sub_u32_e32 v14, v46, v4
	v_lshlrev_b32_e32 v14, 2, v14
	ds_write_b32 v14, v12
	s_or_b64 exec, exec, s[16:17]
	s_and_saveexec_b64 s[14:15], s[12:13]
	s_cbranch_execz .LBB347_220
.LBB347_283:
	v_sub_u32_e32 v12, v44, v4
	v_lshlrev_b32_e32 v12, 2, v12
	ds_write_b32 v12, v13
	s_or_b64 exec, exec, s[14:15]
	s_and_saveexec_b64 s[12:13], s[10:11]
	s_cbranch_execz .LBB347_221
.LBB347_284:
	v_sub_u32_e32 v12, v40, v4
	v_lshlrev_b32_e32 v12, 2, v12
	ds_write_b32 v12, v10
	s_or_b64 exec, exec, s[12:13]
	s_and_saveexec_b64 s[10:11], s[8:9]
	s_cbranch_execz .LBB347_222
.LBB347_285:
	v_sub_u32_e32 v10, v38, v4
	v_lshlrev_b32_e32 v10, 2, v10
	ds_write_b32 v10, v11
	s_or_b64 exec, exec, s[10:11]
	s_and_saveexec_b64 s[8:9], s[6:7]
	s_cbranch_execz .LBB347_223
.LBB347_286:
	v_sub_u32_e32 v10, v34, v4
	v_lshlrev_b32_e32 v10, 2, v10
	ds_write_b32 v10, v8
	s_or_b64 exec, exec, s[8:9]
	s_and_saveexec_b64 s[6:7], s[4:5]
	s_cbranch_execnz .LBB347_224
	s_branch .LBB347_225
.LBB347_287:
	v_sub_u32_e32 v16, v64, v9
	v_mov_b32_e32 v17, 0
	v_lshlrev_b64 v[16:17], 2, v[16:17]
	v_add_co_u32_e32 v16, vcc, v13, v16
	v_addc_co_u32_e32 v17, vcc, v14, v17, vcc
	global_store_dword v[16:17], v65, off
	s_or_b64 exec, exec, s[38:39]
	s_and_saveexec_b64 s[38:39], s[26:27]
	s_cbranch_execz .LBB347_229
.LBB347_288:
	v_sub_u32_e32 v16, v62, v9
	v_mov_b32_e32 v17, 0
	v_lshlrev_b64 v[16:17], 2, v[16:17]
	v_add_co_u32_e32 v16, vcc, v13, v16
	v_addc_co_u32_e32 v17, vcc, v14, v17, vcc
	global_store_dword v[16:17], v63, off
	s_or_b64 exec, exec, s[38:39]
	s_and_saveexec_b64 s[38:39], s[24:25]
	s_cbranch_execz .LBB347_230
.LBB347_289:
	v_sub_u32_e32 v16, v60, v9
	v_mov_b32_e32 v17, 0
	v_lshlrev_b64 v[16:17], 2, v[16:17]
	v_add_co_u32_e32 v16, vcc, v13, v16
	v_addc_co_u32_e32 v17, vcc, v14, v17, vcc
	global_store_dword v[16:17], v61, off
	s_or_b64 exec, exec, s[38:39]
	s_and_saveexec_b64 s[38:39], s[22:23]
	s_cbranch_execz .LBB347_231
.LBB347_290:
	v_sub_u32_e32 v16, v58, v9
	v_mov_b32_e32 v17, 0
	v_lshlrev_b64 v[16:17], 2, v[16:17]
	v_add_co_u32_e32 v16, vcc, v13, v16
	v_addc_co_u32_e32 v17, vcc, v14, v17, vcc
	global_store_dword v[16:17], v59, off
	s_or_b64 exec, exec, s[38:39]
	s_and_saveexec_b64 s[38:39], s[20:21]
	s_cbranch_execz .LBB347_232
.LBB347_291:
	v_sub_u32_e32 v16, v56, v9
	v_mov_b32_e32 v17, 0
	v_lshlrev_b64 v[16:17], 2, v[16:17]
	v_add_co_u32_e32 v16, vcc, v13, v16
	v_addc_co_u32_e32 v17, vcc, v14, v17, vcc
	global_store_dword v[16:17], v57, off
	s_or_b64 exec, exec, s[38:39]
	s_and_saveexec_b64 s[38:39], s[18:19]
	s_cbranch_execz .LBB347_233
.LBB347_292:
	v_sub_u32_e32 v16, v54, v9
	v_mov_b32_e32 v17, 0
	v_lshlrev_b64 v[16:17], 2, v[16:17]
	v_add_co_u32_e32 v16, vcc, v13, v16
	v_addc_co_u32_e32 v17, vcc, v14, v17, vcc
	global_store_dword v[16:17], v55, off
	s_or_b64 exec, exec, s[38:39]
	s_and_saveexec_b64 s[38:39], s[16:17]
	s_cbranch_execz .LBB347_234
.LBB347_293:
	v_sub_u32_e32 v16, v52, v9
	v_mov_b32_e32 v17, 0
	v_lshlrev_b64 v[16:17], 2, v[16:17]
	v_add_co_u32_e32 v16, vcc, v13, v16
	v_addc_co_u32_e32 v17, vcc, v14, v17, vcc
	global_store_dword v[16:17], v53, off
	s_or_b64 exec, exec, s[38:39]
	s_and_saveexec_b64 s[38:39], s[14:15]
	s_cbranch_execz .LBB347_235
.LBB347_294:
	v_sub_u32_e32 v16, v50, v9
	v_mov_b32_e32 v17, 0
	v_lshlrev_b64 v[16:17], 2, v[16:17]
	v_add_co_u32_e32 v16, vcc, v13, v16
	v_addc_co_u32_e32 v17, vcc, v14, v17, vcc
	global_store_dword v[16:17], v51, off
	s_or_b64 exec, exec, s[38:39]
	s_and_saveexec_b64 s[38:39], s[12:13]
	s_cbranch_execz .LBB347_236
.LBB347_295:
	v_sub_u32_e32 v16, v46, v9
	v_mov_b32_e32 v17, 0
	v_lshlrev_b64 v[16:17], 2, v[16:17]
	v_add_co_u32_e32 v16, vcc, v13, v16
	v_addc_co_u32_e32 v17, vcc, v14, v17, vcc
	global_store_dword v[16:17], v47, off
	s_or_b64 exec, exec, s[38:39]
	s_and_saveexec_b64 s[38:39], s[10:11]
	s_cbranch_execz .LBB347_237
.LBB347_296:
	v_sub_u32_e32 v16, v44, v9
	v_mov_b32_e32 v17, 0
	v_lshlrev_b64 v[16:17], 2, v[16:17]
	v_add_co_u32_e32 v16, vcc, v13, v16
	v_addc_co_u32_e32 v17, vcc, v14, v17, vcc
	global_store_dword v[16:17], v45, off
	s_or_b64 exec, exec, s[38:39]
	s_and_saveexec_b64 s[38:39], s[8:9]
	s_cbranch_execz .LBB347_238
.LBB347_297:
	v_sub_u32_e32 v16, v40, v9
	v_mov_b32_e32 v17, 0
	v_lshlrev_b64 v[16:17], 2, v[16:17]
	v_add_co_u32_e32 v16, vcc, v13, v16
	v_addc_co_u32_e32 v17, vcc, v14, v17, vcc
	global_store_dword v[16:17], v41, off
	s_or_b64 exec, exec, s[38:39]
	s_and_saveexec_b64 s[38:39], s[6:7]
	s_cbranch_execz .LBB347_239
.LBB347_298:
	v_sub_u32_e32 v16, v38, v9
	v_mov_b32_e32 v17, 0
	v_lshlrev_b64 v[16:17], 2, v[16:17]
	v_add_co_u32_e32 v16, vcc, v13, v16
	v_addc_co_u32_e32 v17, vcc, v14, v17, vcc
	global_store_dword v[16:17], v39, off
	s_or_b64 exec, exec, s[38:39]
	s_and_saveexec_b64 s[38:39], s[4:5]
	s_cbranch_execz .LBB347_240
.LBB347_299:
	v_sub_u32_e32 v16, v34, v9
	v_mov_b32_e32 v17, 0
	v_lshlrev_b64 v[16:17], 2, v[16:17]
	v_add_co_u32_e32 v16, vcc, v13, v16
	v_addc_co_u32_e32 v17, vcc, v14, v17, vcc
	global_store_dword v[16:17], v35, off
	s_or_b64 exec, exec, s[38:39]
	s_and_saveexec_b64 s[38:39], s[2:3]
	s_cbranch_execnz .LBB347_241
	s_branch .LBB347_242
.LBB347_300:
	v_sub_u32_e32 v10, v64, v9
	v_lshlrev_b32_e32 v10, 2, v10
	ds_write_b32 v10, v65
	s_or_b64 exec, exec, s[38:39]
	s_and_saveexec_b64 s[28:29], s[26:27]
	s_cbranch_execz .LBB347_246
.LBB347_301:
	v_sub_u32_e32 v10, v62, v9
	v_lshlrev_b32_e32 v10, 2, v10
	ds_write_b32 v10, v63
	s_or_b64 exec, exec, s[28:29]
	s_and_saveexec_b64 s[26:27], s[24:25]
	s_cbranch_execz .LBB347_247
.LBB347_302:
	v_sub_u32_e32 v10, v60, v9
	v_lshlrev_b32_e32 v10, 2, v10
	ds_write_b32 v10, v61
	s_or_b64 exec, exec, s[26:27]
	s_and_saveexec_b64 s[24:25], s[22:23]
	s_cbranch_execz .LBB347_248
.LBB347_303:
	v_sub_u32_e32 v10, v58, v9
	v_lshlrev_b32_e32 v10, 2, v10
	ds_write_b32 v10, v59
	s_or_b64 exec, exec, s[24:25]
	s_and_saveexec_b64 s[22:23], s[20:21]
	s_cbranch_execz .LBB347_249
.LBB347_304:
	v_sub_u32_e32 v10, v56, v9
	v_lshlrev_b32_e32 v10, 2, v10
	ds_write_b32 v10, v57
	s_or_b64 exec, exec, s[22:23]
	s_and_saveexec_b64 s[20:21], s[18:19]
	s_cbranch_execz .LBB347_250
.LBB347_305:
	v_sub_u32_e32 v10, v54, v9
	v_lshlrev_b32_e32 v10, 2, v10
	ds_write_b32 v10, v55
	s_or_b64 exec, exec, s[20:21]
	s_and_saveexec_b64 s[18:19], s[16:17]
	s_cbranch_execz .LBB347_251
.LBB347_306:
	v_sub_u32_e32 v10, v52, v9
	v_lshlrev_b32_e32 v10, 2, v10
	ds_write_b32 v10, v53
	s_or_b64 exec, exec, s[18:19]
	s_and_saveexec_b64 s[16:17], s[14:15]
	s_cbranch_execz .LBB347_252
.LBB347_307:
	v_sub_u32_e32 v10, v50, v9
	v_lshlrev_b32_e32 v10, 2, v10
	ds_write_b32 v10, v51
	s_or_b64 exec, exec, s[16:17]
	s_and_saveexec_b64 s[14:15], s[12:13]
	s_cbranch_execz .LBB347_253
.LBB347_308:
	v_sub_u32_e32 v10, v46, v9
	v_lshlrev_b32_e32 v10, 2, v10
	ds_write_b32 v10, v47
	s_or_b64 exec, exec, s[14:15]
	s_and_saveexec_b64 s[12:13], s[10:11]
	s_cbranch_execz .LBB347_254
.LBB347_309:
	v_sub_u32_e32 v10, v44, v9
	v_lshlrev_b32_e32 v10, 2, v10
	ds_write_b32 v10, v45
	s_or_b64 exec, exec, s[12:13]
	s_and_saveexec_b64 s[10:11], s[8:9]
	s_cbranch_execz .LBB347_255
.LBB347_310:
	v_sub_u32_e32 v10, v40, v9
	v_lshlrev_b32_e32 v10, 2, v10
	ds_write_b32 v10, v41
	s_or_b64 exec, exec, s[10:11]
	s_and_saveexec_b64 s[8:9], s[6:7]
	s_cbranch_execz .LBB347_256
.LBB347_311:
	v_sub_u32_e32 v10, v38, v9
	v_lshlrev_b32_e32 v10, 2, v10
	ds_write_b32 v10, v39
	s_or_b64 exec, exec, s[8:9]
	s_and_saveexec_b64 s[6:7], s[4:5]
	s_cbranch_execz .LBB347_257
.LBB347_312:
	v_sub_u32_e32 v10, v34, v9
	v_lshlrev_b32_e32 v10, 2, v10
	ds_write_b32 v10, v35
	s_or_b64 exec, exec, s[6:7]
	s_and_saveexec_b64 s[4:5], s[2:3]
	s_cbranch_execnz .LBB347_258
	s_branch .LBB347_259
	.section	.rodata,"a",@progbits
	.p2align	6, 0x0
	.amdhsa_kernel _ZN7rocprim17ROCPRIM_400000_NS6detail17trampoline_kernelINS0_14default_configENS1_29reduce_by_key_config_selectorIjjN6thrust23THRUST_200600_302600_NS4plusIjEEEEZZNS1_33reduce_by_key_impl_wrapped_configILNS1_25lookback_scan_determinismE0ES3_S9_NS6_6detail15normal_iteratorINS6_10device_ptrIjEEEESG_SG_SG_PmS8_NS6_8equal_toIjEEEE10hipError_tPvRmT2_T3_mT4_T5_T6_T7_T8_P12ihipStream_tbENKUlT_T0_E_clISt17integral_constantIbLb0EES10_IbLb1EEEEDaSW_SX_EUlSW_E_NS1_11comp_targetILNS1_3genE4ELNS1_11target_archE910ELNS1_3gpuE8ELNS1_3repE0EEENS1_30default_config_static_selectorELNS0_4arch9wavefront6targetE1EEEvT1_
		.amdhsa_group_segment_fixed_size 15360
		.amdhsa_private_segment_fixed_size 0
		.amdhsa_kernarg_size 120
		.amdhsa_user_sgpr_count 6
		.amdhsa_user_sgpr_private_segment_buffer 1
		.amdhsa_user_sgpr_dispatch_ptr 0
		.amdhsa_user_sgpr_queue_ptr 0
		.amdhsa_user_sgpr_kernarg_segment_ptr 1
		.amdhsa_user_sgpr_dispatch_id 0
		.amdhsa_user_sgpr_flat_scratch_init 0
		.amdhsa_user_sgpr_kernarg_preload_length 0
		.amdhsa_user_sgpr_kernarg_preload_offset 0
		.amdhsa_user_sgpr_private_segment_size 0
		.amdhsa_uses_dynamic_stack 0
		.amdhsa_system_sgpr_private_segment_wavefront_offset 0
		.amdhsa_system_sgpr_workgroup_id_x 1
		.amdhsa_system_sgpr_workgroup_id_y 0
		.amdhsa_system_sgpr_workgroup_id_z 0
		.amdhsa_system_sgpr_workgroup_info 0
		.amdhsa_system_vgpr_workitem_id 0
		.amdhsa_next_free_vgpr 106
		.amdhsa_next_free_sgpr 66
		.amdhsa_accum_offset 108
		.amdhsa_reserve_vcc 1
		.amdhsa_reserve_flat_scratch 0
		.amdhsa_float_round_mode_32 0
		.amdhsa_float_round_mode_16_64 0
		.amdhsa_float_denorm_mode_32 3
		.amdhsa_float_denorm_mode_16_64 3
		.amdhsa_dx10_clamp 1
		.amdhsa_ieee_mode 1
		.amdhsa_fp16_overflow 0
		.amdhsa_tg_split 0
		.amdhsa_exception_fp_ieee_invalid_op 0
		.amdhsa_exception_fp_denorm_src 0
		.amdhsa_exception_fp_ieee_div_zero 0
		.amdhsa_exception_fp_ieee_overflow 0
		.amdhsa_exception_fp_ieee_underflow 0
		.amdhsa_exception_fp_ieee_inexact 0
		.amdhsa_exception_int_div_zero 0
	.end_amdhsa_kernel
	.section	.text._ZN7rocprim17ROCPRIM_400000_NS6detail17trampoline_kernelINS0_14default_configENS1_29reduce_by_key_config_selectorIjjN6thrust23THRUST_200600_302600_NS4plusIjEEEEZZNS1_33reduce_by_key_impl_wrapped_configILNS1_25lookback_scan_determinismE0ES3_S9_NS6_6detail15normal_iteratorINS6_10device_ptrIjEEEESG_SG_SG_PmS8_NS6_8equal_toIjEEEE10hipError_tPvRmT2_T3_mT4_T5_T6_T7_T8_P12ihipStream_tbENKUlT_T0_E_clISt17integral_constantIbLb0EES10_IbLb1EEEEDaSW_SX_EUlSW_E_NS1_11comp_targetILNS1_3genE4ELNS1_11target_archE910ELNS1_3gpuE8ELNS1_3repE0EEENS1_30default_config_static_selectorELNS0_4arch9wavefront6targetE1EEEvT1_,"axG",@progbits,_ZN7rocprim17ROCPRIM_400000_NS6detail17trampoline_kernelINS0_14default_configENS1_29reduce_by_key_config_selectorIjjN6thrust23THRUST_200600_302600_NS4plusIjEEEEZZNS1_33reduce_by_key_impl_wrapped_configILNS1_25lookback_scan_determinismE0ES3_S9_NS6_6detail15normal_iteratorINS6_10device_ptrIjEEEESG_SG_SG_PmS8_NS6_8equal_toIjEEEE10hipError_tPvRmT2_T3_mT4_T5_T6_T7_T8_P12ihipStream_tbENKUlT_T0_E_clISt17integral_constantIbLb0EES10_IbLb1EEEEDaSW_SX_EUlSW_E_NS1_11comp_targetILNS1_3genE4ELNS1_11target_archE910ELNS1_3gpuE8ELNS1_3repE0EEENS1_30default_config_static_selectorELNS0_4arch9wavefront6targetE1EEEvT1_,comdat
.Lfunc_end347:
	.size	_ZN7rocprim17ROCPRIM_400000_NS6detail17trampoline_kernelINS0_14default_configENS1_29reduce_by_key_config_selectorIjjN6thrust23THRUST_200600_302600_NS4plusIjEEEEZZNS1_33reduce_by_key_impl_wrapped_configILNS1_25lookback_scan_determinismE0ES3_S9_NS6_6detail15normal_iteratorINS6_10device_ptrIjEEEESG_SG_SG_PmS8_NS6_8equal_toIjEEEE10hipError_tPvRmT2_T3_mT4_T5_T6_T7_T8_P12ihipStream_tbENKUlT_T0_E_clISt17integral_constantIbLb0EES10_IbLb1EEEEDaSW_SX_EUlSW_E_NS1_11comp_targetILNS1_3genE4ELNS1_11target_archE910ELNS1_3gpuE8ELNS1_3repE0EEENS1_30default_config_static_selectorELNS0_4arch9wavefront6targetE1EEEvT1_, .Lfunc_end347-_ZN7rocprim17ROCPRIM_400000_NS6detail17trampoline_kernelINS0_14default_configENS1_29reduce_by_key_config_selectorIjjN6thrust23THRUST_200600_302600_NS4plusIjEEEEZZNS1_33reduce_by_key_impl_wrapped_configILNS1_25lookback_scan_determinismE0ES3_S9_NS6_6detail15normal_iteratorINS6_10device_ptrIjEEEESG_SG_SG_PmS8_NS6_8equal_toIjEEEE10hipError_tPvRmT2_T3_mT4_T5_T6_T7_T8_P12ihipStream_tbENKUlT_T0_E_clISt17integral_constantIbLb0EES10_IbLb1EEEEDaSW_SX_EUlSW_E_NS1_11comp_targetILNS1_3genE4ELNS1_11target_archE910ELNS1_3gpuE8ELNS1_3repE0EEENS1_30default_config_static_selectorELNS0_4arch9wavefront6targetE1EEEvT1_
                                        ; -- End function
	.section	.AMDGPU.csdata,"",@progbits
; Kernel info:
; codeLenInByte = 17120
; NumSgprs: 70
; NumVgprs: 106
; NumAgprs: 0
; TotalNumVgprs: 106
; ScratchSize: 0
; MemoryBound: 0
; FloatMode: 240
; IeeeMode: 1
; LDSByteSize: 15360 bytes/workgroup (compile time only)
; SGPRBlocks: 8
; VGPRBlocks: 13
; NumSGPRsForWavesPerEU: 70
; NumVGPRsForWavesPerEU: 106
; AccumOffset: 108
; Occupancy: 4
; WaveLimiterHint : 1
; COMPUTE_PGM_RSRC2:SCRATCH_EN: 0
; COMPUTE_PGM_RSRC2:USER_SGPR: 6
; COMPUTE_PGM_RSRC2:TRAP_HANDLER: 0
; COMPUTE_PGM_RSRC2:TGID_X_EN: 1
; COMPUTE_PGM_RSRC2:TGID_Y_EN: 0
; COMPUTE_PGM_RSRC2:TGID_Z_EN: 0
; COMPUTE_PGM_RSRC2:TIDIG_COMP_CNT: 0
; COMPUTE_PGM_RSRC3_GFX90A:ACCUM_OFFSET: 26
; COMPUTE_PGM_RSRC3_GFX90A:TG_SPLIT: 0
	.section	.text._ZN7rocprim17ROCPRIM_400000_NS6detail17trampoline_kernelINS0_14default_configENS1_29reduce_by_key_config_selectorIjjN6thrust23THRUST_200600_302600_NS4plusIjEEEEZZNS1_33reduce_by_key_impl_wrapped_configILNS1_25lookback_scan_determinismE0ES3_S9_NS6_6detail15normal_iteratorINS6_10device_ptrIjEEEESG_SG_SG_PmS8_NS6_8equal_toIjEEEE10hipError_tPvRmT2_T3_mT4_T5_T6_T7_T8_P12ihipStream_tbENKUlT_T0_E_clISt17integral_constantIbLb0EES10_IbLb1EEEEDaSW_SX_EUlSW_E_NS1_11comp_targetILNS1_3genE3ELNS1_11target_archE908ELNS1_3gpuE7ELNS1_3repE0EEENS1_30default_config_static_selectorELNS0_4arch9wavefront6targetE1EEEvT1_,"axG",@progbits,_ZN7rocprim17ROCPRIM_400000_NS6detail17trampoline_kernelINS0_14default_configENS1_29reduce_by_key_config_selectorIjjN6thrust23THRUST_200600_302600_NS4plusIjEEEEZZNS1_33reduce_by_key_impl_wrapped_configILNS1_25lookback_scan_determinismE0ES3_S9_NS6_6detail15normal_iteratorINS6_10device_ptrIjEEEESG_SG_SG_PmS8_NS6_8equal_toIjEEEE10hipError_tPvRmT2_T3_mT4_T5_T6_T7_T8_P12ihipStream_tbENKUlT_T0_E_clISt17integral_constantIbLb0EES10_IbLb1EEEEDaSW_SX_EUlSW_E_NS1_11comp_targetILNS1_3genE3ELNS1_11target_archE908ELNS1_3gpuE7ELNS1_3repE0EEENS1_30default_config_static_selectorELNS0_4arch9wavefront6targetE1EEEvT1_,comdat
	.protected	_ZN7rocprim17ROCPRIM_400000_NS6detail17trampoline_kernelINS0_14default_configENS1_29reduce_by_key_config_selectorIjjN6thrust23THRUST_200600_302600_NS4plusIjEEEEZZNS1_33reduce_by_key_impl_wrapped_configILNS1_25lookback_scan_determinismE0ES3_S9_NS6_6detail15normal_iteratorINS6_10device_ptrIjEEEESG_SG_SG_PmS8_NS6_8equal_toIjEEEE10hipError_tPvRmT2_T3_mT4_T5_T6_T7_T8_P12ihipStream_tbENKUlT_T0_E_clISt17integral_constantIbLb0EES10_IbLb1EEEEDaSW_SX_EUlSW_E_NS1_11comp_targetILNS1_3genE3ELNS1_11target_archE908ELNS1_3gpuE7ELNS1_3repE0EEENS1_30default_config_static_selectorELNS0_4arch9wavefront6targetE1EEEvT1_ ; -- Begin function _ZN7rocprim17ROCPRIM_400000_NS6detail17trampoline_kernelINS0_14default_configENS1_29reduce_by_key_config_selectorIjjN6thrust23THRUST_200600_302600_NS4plusIjEEEEZZNS1_33reduce_by_key_impl_wrapped_configILNS1_25lookback_scan_determinismE0ES3_S9_NS6_6detail15normal_iteratorINS6_10device_ptrIjEEEESG_SG_SG_PmS8_NS6_8equal_toIjEEEE10hipError_tPvRmT2_T3_mT4_T5_T6_T7_T8_P12ihipStream_tbENKUlT_T0_E_clISt17integral_constantIbLb0EES10_IbLb1EEEEDaSW_SX_EUlSW_E_NS1_11comp_targetILNS1_3genE3ELNS1_11target_archE908ELNS1_3gpuE7ELNS1_3repE0EEENS1_30default_config_static_selectorELNS0_4arch9wavefront6targetE1EEEvT1_
	.globl	_ZN7rocprim17ROCPRIM_400000_NS6detail17trampoline_kernelINS0_14default_configENS1_29reduce_by_key_config_selectorIjjN6thrust23THRUST_200600_302600_NS4plusIjEEEEZZNS1_33reduce_by_key_impl_wrapped_configILNS1_25lookback_scan_determinismE0ES3_S9_NS6_6detail15normal_iteratorINS6_10device_ptrIjEEEESG_SG_SG_PmS8_NS6_8equal_toIjEEEE10hipError_tPvRmT2_T3_mT4_T5_T6_T7_T8_P12ihipStream_tbENKUlT_T0_E_clISt17integral_constantIbLb0EES10_IbLb1EEEEDaSW_SX_EUlSW_E_NS1_11comp_targetILNS1_3genE3ELNS1_11target_archE908ELNS1_3gpuE7ELNS1_3repE0EEENS1_30default_config_static_selectorELNS0_4arch9wavefront6targetE1EEEvT1_
	.p2align	8
	.type	_ZN7rocprim17ROCPRIM_400000_NS6detail17trampoline_kernelINS0_14default_configENS1_29reduce_by_key_config_selectorIjjN6thrust23THRUST_200600_302600_NS4plusIjEEEEZZNS1_33reduce_by_key_impl_wrapped_configILNS1_25lookback_scan_determinismE0ES3_S9_NS6_6detail15normal_iteratorINS6_10device_ptrIjEEEESG_SG_SG_PmS8_NS6_8equal_toIjEEEE10hipError_tPvRmT2_T3_mT4_T5_T6_T7_T8_P12ihipStream_tbENKUlT_T0_E_clISt17integral_constantIbLb0EES10_IbLb1EEEEDaSW_SX_EUlSW_E_NS1_11comp_targetILNS1_3genE3ELNS1_11target_archE908ELNS1_3gpuE7ELNS1_3repE0EEENS1_30default_config_static_selectorELNS0_4arch9wavefront6targetE1EEEvT1_,@function
_ZN7rocprim17ROCPRIM_400000_NS6detail17trampoline_kernelINS0_14default_configENS1_29reduce_by_key_config_selectorIjjN6thrust23THRUST_200600_302600_NS4plusIjEEEEZZNS1_33reduce_by_key_impl_wrapped_configILNS1_25lookback_scan_determinismE0ES3_S9_NS6_6detail15normal_iteratorINS6_10device_ptrIjEEEESG_SG_SG_PmS8_NS6_8equal_toIjEEEE10hipError_tPvRmT2_T3_mT4_T5_T6_T7_T8_P12ihipStream_tbENKUlT_T0_E_clISt17integral_constantIbLb0EES10_IbLb1EEEEDaSW_SX_EUlSW_E_NS1_11comp_targetILNS1_3genE3ELNS1_11target_archE908ELNS1_3gpuE7ELNS1_3repE0EEENS1_30default_config_static_selectorELNS0_4arch9wavefront6targetE1EEEvT1_: ; @_ZN7rocprim17ROCPRIM_400000_NS6detail17trampoline_kernelINS0_14default_configENS1_29reduce_by_key_config_selectorIjjN6thrust23THRUST_200600_302600_NS4plusIjEEEEZZNS1_33reduce_by_key_impl_wrapped_configILNS1_25lookback_scan_determinismE0ES3_S9_NS6_6detail15normal_iteratorINS6_10device_ptrIjEEEESG_SG_SG_PmS8_NS6_8equal_toIjEEEE10hipError_tPvRmT2_T3_mT4_T5_T6_T7_T8_P12ihipStream_tbENKUlT_T0_E_clISt17integral_constantIbLb0EES10_IbLb1EEEEDaSW_SX_EUlSW_E_NS1_11comp_targetILNS1_3genE3ELNS1_11target_archE908ELNS1_3gpuE7ELNS1_3repE0EEENS1_30default_config_static_selectorELNS0_4arch9wavefront6targetE1EEEvT1_
; %bb.0:
	.section	.rodata,"a",@progbits
	.p2align	6, 0x0
	.amdhsa_kernel _ZN7rocprim17ROCPRIM_400000_NS6detail17trampoline_kernelINS0_14default_configENS1_29reduce_by_key_config_selectorIjjN6thrust23THRUST_200600_302600_NS4plusIjEEEEZZNS1_33reduce_by_key_impl_wrapped_configILNS1_25lookback_scan_determinismE0ES3_S9_NS6_6detail15normal_iteratorINS6_10device_ptrIjEEEESG_SG_SG_PmS8_NS6_8equal_toIjEEEE10hipError_tPvRmT2_T3_mT4_T5_T6_T7_T8_P12ihipStream_tbENKUlT_T0_E_clISt17integral_constantIbLb0EES10_IbLb1EEEEDaSW_SX_EUlSW_E_NS1_11comp_targetILNS1_3genE3ELNS1_11target_archE908ELNS1_3gpuE7ELNS1_3repE0EEENS1_30default_config_static_selectorELNS0_4arch9wavefront6targetE1EEEvT1_
		.amdhsa_group_segment_fixed_size 0
		.amdhsa_private_segment_fixed_size 0
		.amdhsa_kernarg_size 120
		.amdhsa_user_sgpr_count 6
		.amdhsa_user_sgpr_private_segment_buffer 1
		.amdhsa_user_sgpr_dispatch_ptr 0
		.amdhsa_user_sgpr_queue_ptr 0
		.amdhsa_user_sgpr_kernarg_segment_ptr 1
		.amdhsa_user_sgpr_dispatch_id 0
		.amdhsa_user_sgpr_flat_scratch_init 0
		.amdhsa_user_sgpr_kernarg_preload_length 0
		.amdhsa_user_sgpr_kernarg_preload_offset 0
		.amdhsa_user_sgpr_private_segment_size 0
		.amdhsa_uses_dynamic_stack 0
		.amdhsa_system_sgpr_private_segment_wavefront_offset 0
		.amdhsa_system_sgpr_workgroup_id_x 1
		.amdhsa_system_sgpr_workgroup_id_y 0
		.amdhsa_system_sgpr_workgroup_id_z 0
		.amdhsa_system_sgpr_workgroup_info 0
		.amdhsa_system_vgpr_workitem_id 0
		.amdhsa_next_free_vgpr 1
		.amdhsa_next_free_sgpr 0
		.amdhsa_accum_offset 4
		.amdhsa_reserve_vcc 0
		.amdhsa_reserve_flat_scratch 0
		.amdhsa_float_round_mode_32 0
		.amdhsa_float_round_mode_16_64 0
		.amdhsa_float_denorm_mode_32 3
		.amdhsa_float_denorm_mode_16_64 3
		.amdhsa_dx10_clamp 1
		.amdhsa_ieee_mode 1
		.amdhsa_fp16_overflow 0
		.amdhsa_tg_split 0
		.amdhsa_exception_fp_ieee_invalid_op 0
		.amdhsa_exception_fp_denorm_src 0
		.amdhsa_exception_fp_ieee_div_zero 0
		.amdhsa_exception_fp_ieee_overflow 0
		.amdhsa_exception_fp_ieee_underflow 0
		.amdhsa_exception_fp_ieee_inexact 0
		.amdhsa_exception_int_div_zero 0
	.end_amdhsa_kernel
	.section	.text._ZN7rocprim17ROCPRIM_400000_NS6detail17trampoline_kernelINS0_14default_configENS1_29reduce_by_key_config_selectorIjjN6thrust23THRUST_200600_302600_NS4plusIjEEEEZZNS1_33reduce_by_key_impl_wrapped_configILNS1_25lookback_scan_determinismE0ES3_S9_NS6_6detail15normal_iteratorINS6_10device_ptrIjEEEESG_SG_SG_PmS8_NS6_8equal_toIjEEEE10hipError_tPvRmT2_T3_mT4_T5_T6_T7_T8_P12ihipStream_tbENKUlT_T0_E_clISt17integral_constantIbLb0EES10_IbLb1EEEEDaSW_SX_EUlSW_E_NS1_11comp_targetILNS1_3genE3ELNS1_11target_archE908ELNS1_3gpuE7ELNS1_3repE0EEENS1_30default_config_static_selectorELNS0_4arch9wavefront6targetE1EEEvT1_,"axG",@progbits,_ZN7rocprim17ROCPRIM_400000_NS6detail17trampoline_kernelINS0_14default_configENS1_29reduce_by_key_config_selectorIjjN6thrust23THRUST_200600_302600_NS4plusIjEEEEZZNS1_33reduce_by_key_impl_wrapped_configILNS1_25lookback_scan_determinismE0ES3_S9_NS6_6detail15normal_iteratorINS6_10device_ptrIjEEEESG_SG_SG_PmS8_NS6_8equal_toIjEEEE10hipError_tPvRmT2_T3_mT4_T5_T6_T7_T8_P12ihipStream_tbENKUlT_T0_E_clISt17integral_constantIbLb0EES10_IbLb1EEEEDaSW_SX_EUlSW_E_NS1_11comp_targetILNS1_3genE3ELNS1_11target_archE908ELNS1_3gpuE7ELNS1_3repE0EEENS1_30default_config_static_selectorELNS0_4arch9wavefront6targetE1EEEvT1_,comdat
.Lfunc_end348:
	.size	_ZN7rocprim17ROCPRIM_400000_NS6detail17trampoline_kernelINS0_14default_configENS1_29reduce_by_key_config_selectorIjjN6thrust23THRUST_200600_302600_NS4plusIjEEEEZZNS1_33reduce_by_key_impl_wrapped_configILNS1_25lookback_scan_determinismE0ES3_S9_NS6_6detail15normal_iteratorINS6_10device_ptrIjEEEESG_SG_SG_PmS8_NS6_8equal_toIjEEEE10hipError_tPvRmT2_T3_mT4_T5_T6_T7_T8_P12ihipStream_tbENKUlT_T0_E_clISt17integral_constantIbLb0EES10_IbLb1EEEEDaSW_SX_EUlSW_E_NS1_11comp_targetILNS1_3genE3ELNS1_11target_archE908ELNS1_3gpuE7ELNS1_3repE0EEENS1_30default_config_static_selectorELNS0_4arch9wavefront6targetE1EEEvT1_, .Lfunc_end348-_ZN7rocprim17ROCPRIM_400000_NS6detail17trampoline_kernelINS0_14default_configENS1_29reduce_by_key_config_selectorIjjN6thrust23THRUST_200600_302600_NS4plusIjEEEEZZNS1_33reduce_by_key_impl_wrapped_configILNS1_25lookback_scan_determinismE0ES3_S9_NS6_6detail15normal_iteratorINS6_10device_ptrIjEEEESG_SG_SG_PmS8_NS6_8equal_toIjEEEE10hipError_tPvRmT2_T3_mT4_T5_T6_T7_T8_P12ihipStream_tbENKUlT_T0_E_clISt17integral_constantIbLb0EES10_IbLb1EEEEDaSW_SX_EUlSW_E_NS1_11comp_targetILNS1_3genE3ELNS1_11target_archE908ELNS1_3gpuE7ELNS1_3repE0EEENS1_30default_config_static_selectorELNS0_4arch9wavefront6targetE1EEEvT1_
                                        ; -- End function
	.section	.AMDGPU.csdata,"",@progbits
; Kernel info:
; codeLenInByte = 0
; NumSgprs: 4
; NumVgprs: 0
; NumAgprs: 0
; TotalNumVgprs: 0
; ScratchSize: 0
; MemoryBound: 0
; FloatMode: 240
; IeeeMode: 1
; LDSByteSize: 0 bytes/workgroup (compile time only)
; SGPRBlocks: 0
; VGPRBlocks: 0
; NumSGPRsForWavesPerEU: 4
; NumVGPRsForWavesPerEU: 1
; AccumOffset: 4
; Occupancy: 8
; WaveLimiterHint : 0
; COMPUTE_PGM_RSRC2:SCRATCH_EN: 0
; COMPUTE_PGM_RSRC2:USER_SGPR: 6
; COMPUTE_PGM_RSRC2:TRAP_HANDLER: 0
; COMPUTE_PGM_RSRC2:TGID_X_EN: 1
; COMPUTE_PGM_RSRC2:TGID_Y_EN: 0
; COMPUTE_PGM_RSRC2:TGID_Z_EN: 0
; COMPUTE_PGM_RSRC2:TIDIG_COMP_CNT: 0
; COMPUTE_PGM_RSRC3_GFX90A:ACCUM_OFFSET: 0
; COMPUTE_PGM_RSRC3_GFX90A:TG_SPLIT: 0
	.section	.text._ZN7rocprim17ROCPRIM_400000_NS6detail17trampoline_kernelINS0_14default_configENS1_29reduce_by_key_config_selectorIjjN6thrust23THRUST_200600_302600_NS4plusIjEEEEZZNS1_33reduce_by_key_impl_wrapped_configILNS1_25lookback_scan_determinismE0ES3_S9_NS6_6detail15normal_iteratorINS6_10device_ptrIjEEEESG_SG_SG_PmS8_NS6_8equal_toIjEEEE10hipError_tPvRmT2_T3_mT4_T5_T6_T7_T8_P12ihipStream_tbENKUlT_T0_E_clISt17integral_constantIbLb0EES10_IbLb1EEEEDaSW_SX_EUlSW_E_NS1_11comp_targetILNS1_3genE2ELNS1_11target_archE906ELNS1_3gpuE6ELNS1_3repE0EEENS1_30default_config_static_selectorELNS0_4arch9wavefront6targetE1EEEvT1_,"axG",@progbits,_ZN7rocprim17ROCPRIM_400000_NS6detail17trampoline_kernelINS0_14default_configENS1_29reduce_by_key_config_selectorIjjN6thrust23THRUST_200600_302600_NS4plusIjEEEEZZNS1_33reduce_by_key_impl_wrapped_configILNS1_25lookback_scan_determinismE0ES3_S9_NS6_6detail15normal_iteratorINS6_10device_ptrIjEEEESG_SG_SG_PmS8_NS6_8equal_toIjEEEE10hipError_tPvRmT2_T3_mT4_T5_T6_T7_T8_P12ihipStream_tbENKUlT_T0_E_clISt17integral_constantIbLb0EES10_IbLb1EEEEDaSW_SX_EUlSW_E_NS1_11comp_targetILNS1_3genE2ELNS1_11target_archE906ELNS1_3gpuE6ELNS1_3repE0EEENS1_30default_config_static_selectorELNS0_4arch9wavefront6targetE1EEEvT1_,comdat
	.protected	_ZN7rocprim17ROCPRIM_400000_NS6detail17trampoline_kernelINS0_14default_configENS1_29reduce_by_key_config_selectorIjjN6thrust23THRUST_200600_302600_NS4plusIjEEEEZZNS1_33reduce_by_key_impl_wrapped_configILNS1_25lookback_scan_determinismE0ES3_S9_NS6_6detail15normal_iteratorINS6_10device_ptrIjEEEESG_SG_SG_PmS8_NS6_8equal_toIjEEEE10hipError_tPvRmT2_T3_mT4_T5_T6_T7_T8_P12ihipStream_tbENKUlT_T0_E_clISt17integral_constantIbLb0EES10_IbLb1EEEEDaSW_SX_EUlSW_E_NS1_11comp_targetILNS1_3genE2ELNS1_11target_archE906ELNS1_3gpuE6ELNS1_3repE0EEENS1_30default_config_static_selectorELNS0_4arch9wavefront6targetE1EEEvT1_ ; -- Begin function _ZN7rocprim17ROCPRIM_400000_NS6detail17trampoline_kernelINS0_14default_configENS1_29reduce_by_key_config_selectorIjjN6thrust23THRUST_200600_302600_NS4plusIjEEEEZZNS1_33reduce_by_key_impl_wrapped_configILNS1_25lookback_scan_determinismE0ES3_S9_NS6_6detail15normal_iteratorINS6_10device_ptrIjEEEESG_SG_SG_PmS8_NS6_8equal_toIjEEEE10hipError_tPvRmT2_T3_mT4_T5_T6_T7_T8_P12ihipStream_tbENKUlT_T0_E_clISt17integral_constantIbLb0EES10_IbLb1EEEEDaSW_SX_EUlSW_E_NS1_11comp_targetILNS1_3genE2ELNS1_11target_archE906ELNS1_3gpuE6ELNS1_3repE0EEENS1_30default_config_static_selectorELNS0_4arch9wavefront6targetE1EEEvT1_
	.globl	_ZN7rocprim17ROCPRIM_400000_NS6detail17trampoline_kernelINS0_14default_configENS1_29reduce_by_key_config_selectorIjjN6thrust23THRUST_200600_302600_NS4plusIjEEEEZZNS1_33reduce_by_key_impl_wrapped_configILNS1_25lookback_scan_determinismE0ES3_S9_NS6_6detail15normal_iteratorINS6_10device_ptrIjEEEESG_SG_SG_PmS8_NS6_8equal_toIjEEEE10hipError_tPvRmT2_T3_mT4_T5_T6_T7_T8_P12ihipStream_tbENKUlT_T0_E_clISt17integral_constantIbLb0EES10_IbLb1EEEEDaSW_SX_EUlSW_E_NS1_11comp_targetILNS1_3genE2ELNS1_11target_archE906ELNS1_3gpuE6ELNS1_3repE0EEENS1_30default_config_static_selectorELNS0_4arch9wavefront6targetE1EEEvT1_
	.p2align	8
	.type	_ZN7rocprim17ROCPRIM_400000_NS6detail17trampoline_kernelINS0_14default_configENS1_29reduce_by_key_config_selectorIjjN6thrust23THRUST_200600_302600_NS4plusIjEEEEZZNS1_33reduce_by_key_impl_wrapped_configILNS1_25lookback_scan_determinismE0ES3_S9_NS6_6detail15normal_iteratorINS6_10device_ptrIjEEEESG_SG_SG_PmS8_NS6_8equal_toIjEEEE10hipError_tPvRmT2_T3_mT4_T5_T6_T7_T8_P12ihipStream_tbENKUlT_T0_E_clISt17integral_constantIbLb0EES10_IbLb1EEEEDaSW_SX_EUlSW_E_NS1_11comp_targetILNS1_3genE2ELNS1_11target_archE906ELNS1_3gpuE6ELNS1_3repE0EEENS1_30default_config_static_selectorELNS0_4arch9wavefront6targetE1EEEvT1_,@function
_ZN7rocprim17ROCPRIM_400000_NS6detail17trampoline_kernelINS0_14default_configENS1_29reduce_by_key_config_selectorIjjN6thrust23THRUST_200600_302600_NS4plusIjEEEEZZNS1_33reduce_by_key_impl_wrapped_configILNS1_25lookback_scan_determinismE0ES3_S9_NS6_6detail15normal_iteratorINS6_10device_ptrIjEEEESG_SG_SG_PmS8_NS6_8equal_toIjEEEE10hipError_tPvRmT2_T3_mT4_T5_T6_T7_T8_P12ihipStream_tbENKUlT_T0_E_clISt17integral_constantIbLb0EES10_IbLb1EEEEDaSW_SX_EUlSW_E_NS1_11comp_targetILNS1_3genE2ELNS1_11target_archE906ELNS1_3gpuE6ELNS1_3repE0EEENS1_30default_config_static_selectorELNS0_4arch9wavefront6targetE1EEEvT1_: ; @_ZN7rocprim17ROCPRIM_400000_NS6detail17trampoline_kernelINS0_14default_configENS1_29reduce_by_key_config_selectorIjjN6thrust23THRUST_200600_302600_NS4plusIjEEEEZZNS1_33reduce_by_key_impl_wrapped_configILNS1_25lookback_scan_determinismE0ES3_S9_NS6_6detail15normal_iteratorINS6_10device_ptrIjEEEESG_SG_SG_PmS8_NS6_8equal_toIjEEEE10hipError_tPvRmT2_T3_mT4_T5_T6_T7_T8_P12ihipStream_tbENKUlT_T0_E_clISt17integral_constantIbLb0EES10_IbLb1EEEEDaSW_SX_EUlSW_E_NS1_11comp_targetILNS1_3genE2ELNS1_11target_archE906ELNS1_3gpuE6ELNS1_3repE0EEENS1_30default_config_static_selectorELNS0_4arch9wavefront6targetE1EEEvT1_
; %bb.0:
	.section	.rodata,"a",@progbits
	.p2align	6, 0x0
	.amdhsa_kernel _ZN7rocprim17ROCPRIM_400000_NS6detail17trampoline_kernelINS0_14default_configENS1_29reduce_by_key_config_selectorIjjN6thrust23THRUST_200600_302600_NS4plusIjEEEEZZNS1_33reduce_by_key_impl_wrapped_configILNS1_25lookback_scan_determinismE0ES3_S9_NS6_6detail15normal_iteratorINS6_10device_ptrIjEEEESG_SG_SG_PmS8_NS6_8equal_toIjEEEE10hipError_tPvRmT2_T3_mT4_T5_T6_T7_T8_P12ihipStream_tbENKUlT_T0_E_clISt17integral_constantIbLb0EES10_IbLb1EEEEDaSW_SX_EUlSW_E_NS1_11comp_targetILNS1_3genE2ELNS1_11target_archE906ELNS1_3gpuE6ELNS1_3repE0EEENS1_30default_config_static_selectorELNS0_4arch9wavefront6targetE1EEEvT1_
		.amdhsa_group_segment_fixed_size 0
		.amdhsa_private_segment_fixed_size 0
		.amdhsa_kernarg_size 120
		.amdhsa_user_sgpr_count 6
		.amdhsa_user_sgpr_private_segment_buffer 1
		.amdhsa_user_sgpr_dispatch_ptr 0
		.amdhsa_user_sgpr_queue_ptr 0
		.amdhsa_user_sgpr_kernarg_segment_ptr 1
		.amdhsa_user_sgpr_dispatch_id 0
		.amdhsa_user_sgpr_flat_scratch_init 0
		.amdhsa_user_sgpr_kernarg_preload_length 0
		.amdhsa_user_sgpr_kernarg_preload_offset 0
		.amdhsa_user_sgpr_private_segment_size 0
		.amdhsa_uses_dynamic_stack 0
		.amdhsa_system_sgpr_private_segment_wavefront_offset 0
		.amdhsa_system_sgpr_workgroup_id_x 1
		.amdhsa_system_sgpr_workgroup_id_y 0
		.amdhsa_system_sgpr_workgroup_id_z 0
		.amdhsa_system_sgpr_workgroup_info 0
		.amdhsa_system_vgpr_workitem_id 0
		.amdhsa_next_free_vgpr 1
		.amdhsa_next_free_sgpr 0
		.amdhsa_accum_offset 4
		.amdhsa_reserve_vcc 0
		.amdhsa_reserve_flat_scratch 0
		.amdhsa_float_round_mode_32 0
		.amdhsa_float_round_mode_16_64 0
		.amdhsa_float_denorm_mode_32 3
		.amdhsa_float_denorm_mode_16_64 3
		.amdhsa_dx10_clamp 1
		.amdhsa_ieee_mode 1
		.amdhsa_fp16_overflow 0
		.amdhsa_tg_split 0
		.amdhsa_exception_fp_ieee_invalid_op 0
		.amdhsa_exception_fp_denorm_src 0
		.amdhsa_exception_fp_ieee_div_zero 0
		.amdhsa_exception_fp_ieee_overflow 0
		.amdhsa_exception_fp_ieee_underflow 0
		.amdhsa_exception_fp_ieee_inexact 0
		.amdhsa_exception_int_div_zero 0
	.end_amdhsa_kernel
	.section	.text._ZN7rocprim17ROCPRIM_400000_NS6detail17trampoline_kernelINS0_14default_configENS1_29reduce_by_key_config_selectorIjjN6thrust23THRUST_200600_302600_NS4plusIjEEEEZZNS1_33reduce_by_key_impl_wrapped_configILNS1_25lookback_scan_determinismE0ES3_S9_NS6_6detail15normal_iteratorINS6_10device_ptrIjEEEESG_SG_SG_PmS8_NS6_8equal_toIjEEEE10hipError_tPvRmT2_T3_mT4_T5_T6_T7_T8_P12ihipStream_tbENKUlT_T0_E_clISt17integral_constantIbLb0EES10_IbLb1EEEEDaSW_SX_EUlSW_E_NS1_11comp_targetILNS1_3genE2ELNS1_11target_archE906ELNS1_3gpuE6ELNS1_3repE0EEENS1_30default_config_static_selectorELNS0_4arch9wavefront6targetE1EEEvT1_,"axG",@progbits,_ZN7rocprim17ROCPRIM_400000_NS6detail17trampoline_kernelINS0_14default_configENS1_29reduce_by_key_config_selectorIjjN6thrust23THRUST_200600_302600_NS4plusIjEEEEZZNS1_33reduce_by_key_impl_wrapped_configILNS1_25lookback_scan_determinismE0ES3_S9_NS6_6detail15normal_iteratorINS6_10device_ptrIjEEEESG_SG_SG_PmS8_NS6_8equal_toIjEEEE10hipError_tPvRmT2_T3_mT4_T5_T6_T7_T8_P12ihipStream_tbENKUlT_T0_E_clISt17integral_constantIbLb0EES10_IbLb1EEEEDaSW_SX_EUlSW_E_NS1_11comp_targetILNS1_3genE2ELNS1_11target_archE906ELNS1_3gpuE6ELNS1_3repE0EEENS1_30default_config_static_selectorELNS0_4arch9wavefront6targetE1EEEvT1_,comdat
.Lfunc_end349:
	.size	_ZN7rocprim17ROCPRIM_400000_NS6detail17trampoline_kernelINS0_14default_configENS1_29reduce_by_key_config_selectorIjjN6thrust23THRUST_200600_302600_NS4plusIjEEEEZZNS1_33reduce_by_key_impl_wrapped_configILNS1_25lookback_scan_determinismE0ES3_S9_NS6_6detail15normal_iteratorINS6_10device_ptrIjEEEESG_SG_SG_PmS8_NS6_8equal_toIjEEEE10hipError_tPvRmT2_T3_mT4_T5_T6_T7_T8_P12ihipStream_tbENKUlT_T0_E_clISt17integral_constantIbLb0EES10_IbLb1EEEEDaSW_SX_EUlSW_E_NS1_11comp_targetILNS1_3genE2ELNS1_11target_archE906ELNS1_3gpuE6ELNS1_3repE0EEENS1_30default_config_static_selectorELNS0_4arch9wavefront6targetE1EEEvT1_, .Lfunc_end349-_ZN7rocprim17ROCPRIM_400000_NS6detail17trampoline_kernelINS0_14default_configENS1_29reduce_by_key_config_selectorIjjN6thrust23THRUST_200600_302600_NS4plusIjEEEEZZNS1_33reduce_by_key_impl_wrapped_configILNS1_25lookback_scan_determinismE0ES3_S9_NS6_6detail15normal_iteratorINS6_10device_ptrIjEEEESG_SG_SG_PmS8_NS6_8equal_toIjEEEE10hipError_tPvRmT2_T3_mT4_T5_T6_T7_T8_P12ihipStream_tbENKUlT_T0_E_clISt17integral_constantIbLb0EES10_IbLb1EEEEDaSW_SX_EUlSW_E_NS1_11comp_targetILNS1_3genE2ELNS1_11target_archE906ELNS1_3gpuE6ELNS1_3repE0EEENS1_30default_config_static_selectorELNS0_4arch9wavefront6targetE1EEEvT1_
                                        ; -- End function
	.section	.AMDGPU.csdata,"",@progbits
; Kernel info:
; codeLenInByte = 0
; NumSgprs: 4
; NumVgprs: 0
; NumAgprs: 0
; TotalNumVgprs: 0
; ScratchSize: 0
; MemoryBound: 0
; FloatMode: 240
; IeeeMode: 1
; LDSByteSize: 0 bytes/workgroup (compile time only)
; SGPRBlocks: 0
; VGPRBlocks: 0
; NumSGPRsForWavesPerEU: 4
; NumVGPRsForWavesPerEU: 1
; AccumOffset: 4
; Occupancy: 8
; WaveLimiterHint : 0
; COMPUTE_PGM_RSRC2:SCRATCH_EN: 0
; COMPUTE_PGM_RSRC2:USER_SGPR: 6
; COMPUTE_PGM_RSRC2:TRAP_HANDLER: 0
; COMPUTE_PGM_RSRC2:TGID_X_EN: 1
; COMPUTE_PGM_RSRC2:TGID_Y_EN: 0
; COMPUTE_PGM_RSRC2:TGID_Z_EN: 0
; COMPUTE_PGM_RSRC2:TIDIG_COMP_CNT: 0
; COMPUTE_PGM_RSRC3_GFX90A:ACCUM_OFFSET: 0
; COMPUTE_PGM_RSRC3_GFX90A:TG_SPLIT: 0
	.section	.text._ZN7rocprim17ROCPRIM_400000_NS6detail17trampoline_kernelINS0_14default_configENS1_29reduce_by_key_config_selectorIjjN6thrust23THRUST_200600_302600_NS4plusIjEEEEZZNS1_33reduce_by_key_impl_wrapped_configILNS1_25lookback_scan_determinismE0ES3_S9_NS6_6detail15normal_iteratorINS6_10device_ptrIjEEEESG_SG_SG_PmS8_NS6_8equal_toIjEEEE10hipError_tPvRmT2_T3_mT4_T5_T6_T7_T8_P12ihipStream_tbENKUlT_T0_E_clISt17integral_constantIbLb0EES10_IbLb1EEEEDaSW_SX_EUlSW_E_NS1_11comp_targetILNS1_3genE10ELNS1_11target_archE1201ELNS1_3gpuE5ELNS1_3repE0EEENS1_30default_config_static_selectorELNS0_4arch9wavefront6targetE1EEEvT1_,"axG",@progbits,_ZN7rocprim17ROCPRIM_400000_NS6detail17trampoline_kernelINS0_14default_configENS1_29reduce_by_key_config_selectorIjjN6thrust23THRUST_200600_302600_NS4plusIjEEEEZZNS1_33reduce_by_key_impl_wrapped_configILNS1_25lookback_scan_determinismE0ES3_S9_NS6_6detail15normal_iteratorINS6_10device_ptrIjEEEESG_SG_SG_PmS8_NS6_8equal_toIjEEEE10hipError_tPvRmT2_T3_mT4_T5_T6_T7_T8_P12ihipStream_tbENKUlT_T0_E_clISt17integral_constantIbLb0EES10_IbLb1EEEEDaSW_SX_EUlSW_E_NS1_11comp_targetILNS1_3genE10ELNS1_11target_archE1201ELNS1_3gpuE5ELNS1_3repE0EEENS1_30default_config_static_selectorELNS0_4arch9wavefront6targetE1EEEvT1_,comdat
	.protected	_ZN7rocprim17ROCPRIM_400000_NS6detail17trampoline_kernelINS0_14default_configENS1_29reduce_by_key_config_selectorIjjN6thrust23THRUST_200600_302600_NS4plusIjEEEEZZNS1_33reduce_by_key_impl_wrapped_configILNS1_25lookback_scan_determinismE0ES3_S9_NS6_6detail15normal_iteratorINS6_10device_ptrIjEEEESG_SG_SG_PmS8_NS6_8equal_toIjEEEE10hipError_tPvRmT2_T3_mT4_T5_T6_T7_T8_P12ihipStream_tbENKUlT_T0_E_clISt17integral_constantIbLb0EES10_IbLb1EEEEDaSW_SX_EUlSW_E_NS1_11comp_targetILNS1_3genE10ELNS1_11target_archE1201ELNS1_3gpuE5ELNS1_3repE0EEENS1_30default_config_static_selectorELNS0_4arch9wavefront6targetE1EEEvT1_ ; -- Begin function _ZN7rocprim17ROCPRIM_400000_NS6detail17trampoline_kernelINS0_14default_configENS1_29reduce_by_key_config_selectorIjjN6thrust23THRUST_200600_302600_NS4plusIjEEEEZZNS1_33reduce_by_key_impl_wrapped_configILNS1_25lookback_scan_determinismE0ES3_S9_NS6_6detail15normal_iteratorINS6_10device_ptrIjEEEESG_SG_SG_PmS8_NS6_8equal_toIjEEEE10hipError_tPvRmT2_T3_mT4_T5_T6_T7_T8_P12ihipStream_tbENKUlT_T0_E_clISt17integral_constantIbLb0EES10_IbLb1EEEEDaSW_SX_EUlSW_E_NS1_11comp_targetILNS1_3genE10ELNS1_11target_archE1201ELNS1_3gpuE5ELNS1_3repE0EEENS1_30default_config_static_selectorELNS0_4arch9wavefront6targetE1EEEvT1_
	.globl	_ZN7rocprim17ROCPRIM_400000_NS6detail17trampoline_kernelINS0_14default_configENS1_29reduce_by_key_config_selectorIjjN6thrust23THRUST_200600_302600_NS4plusIjEEEEZZNS1_33reduce_by_key_impl_wrapped_configILNS1_25lookback_scan_determinismE0ES3_S9_NS6_6detail15normal_iteratorINS6_10device_ptrIjEEEESG_SG_SG_PmS8_NS6_8equal_toIjEEEE10hipError_tPvRmT2_T3_mT4_T5_T6_T7_T8_P12ihipStream_tbENKUlT_T0_E_clISt17integral_constantIbLb0EES10_IbLb1EEEEDaSW_SX_EUlSW_E_NS1_11comp_targetILNS1_3genE10ELNS1_11target_archE1201ELNS1_3gpuE5ELNS1_3repE0EEENS1_30default_config_static_selectorELNS0_4arch9wavefront6targetE1EEEvT1_
	.p2align	8
	.type	_ZN7rocprim17ROCPRIM_400000_NS6detail17trampoline_kernelINS0_14default_configENS1_29reduce_by_key_config_selectorIjjN6thrust23THRUST_200600_302600_NS4plusIjEEEEZZNS1_33reduce_by_key_impl_wrapped_configILNS1_25lookback_scan_determinismE0ES3_S9_NS6_6detail15normal_iteratorINS6_10device_ptrIjEEEESG_SG_SG_PmS8_NS6_8equal_toIjEEEE10hipError_tPvRmT2_T3_mT4_T5_T6_T7_T8_P12ihipStream_tbENKUlT_T0_E_clISt17integral_constantIbLb0EES10_IbLb1EEEEDaSW_SX_EUlSW_E_NS1_11comp_targetILNS1_3genE10ELNS1_11target_archE1201ELNS1_3gpuE5ELNS1_3repE0EEENS1_30default_config_static_selectorELNS0_4arch9wavefront6targetE1EEEvT1_,@function
_ZN7rocprim17ROCPRIM_400000_NS6detail17trampoline_kernelINS0_14default_configENS1_29reduce_by_key_config_selectorIjjN6thrust23THRUST_200600_302600_NS4plusIjEEEEZZNS1_33reduce_by_key_impl_wrapped_configILNS1_25lookback_scan_determinismE0ES3_S9_NS6_6detail15normal_iteratorINS6_10device_ptrIjEEEESG_SG_SG_PmS8_NS6_8equal_toIjEEEE10hipError_tPvRmT2_T3_mT4_T5_T6_T7_T8_P12ihipStream_tbENKUlT_T0_E_clISt17integral_constantIbLb0EES10_IbLb1EEEEDaSW_SX_EUlSW_E_NS1_11comp_targetILNS1_3genE10ELNS1_11target_archE1201ELNS1_3gpuE5ELNS1_3repE0EEENS1_30default_config_static_selectorELNS0_4arch9wavefront6targetE1EEEvT1_: ; @_ZN7rocprim17ROCPRIM_400000_NS6detail17trampoline_kernelINS0_14default_configENS1_29reduce_by_key_config_selectorIjjN6thrust23THRUST_200600_302600_NS4plusIjEEEEZZNS1_33reduce_by_key_impl_wrapped_configILNS1_25lookback_scan_determinismE0ES3_S9_NS6_6detail15normal_iteratorINS6_10device_ptrIjEEEESG_SG_SG_PmS8_NS6_8equal_toIjEEEE10hipError_tPvRmT2_T3_mT4_T5_T6_T7_T8_P12ihipStream_tbENKUlT_T0_E_clISt17integral_constantIbLb0EES10_IbLb1EEEEDaSW_SX_EUlSW_E_NS1_11comp_targetILNS1_3genE10ELNS1_11target_archE1201ELNS1_3gpuE5ELNS1_3repE0EEENS1_30default_config_static_selectorELNS0_4arch9wavefront6targetE1EEEvT1_
; %bb.0:
	.section	.rodata,"a",@progbits
	.p2align	6, 0x0
	.amdhsa_kernel _ZN7rocprim17ROCPRIM_400000_NS6detail17trampoline_kernelINS0_14default_configENS1_29reduce_by_key_config_selectorIjjN6thrust23THRUST_200600_302600_NS4plusIjEEEEZZNS1_33reduce_by_key_impl_wrapped_configILNS1_25lookback_scan_determinismE0ES3_S9_NS6_6detail15normal_iteratorINS6_10device_ptrIjEEEESG_SG_SG_PmS8_NS6_8equal_toIjEEEE10hipError_tPvRmT2_T3_mT4_T5_T6_T7_T8_P12ihipStream_tbENKUlT_T0_E_clISt17integral_constantIbLb0EES10_IbLb1EEEEDaSW_SX_EUlSW_E_NS1_11comp_targetILNS1_3genE10ELNS1_11target_archE1201ELNS1_3gpuE5ELNS1_3repE0EEENS1_30default_config_static_selectorELNS0_4arch9wavefront6targetE1EEEvT1_
		.amdhsa_group_segment_fixed_size 0
		.amdhsa_private_segment_fixed_size 0
		.amdhsa_kernarg_size 120
		.amdhsa_user_sgpr_count 6
		.amdhsa_user_sgpr_private_segment_buffer 1
		.amdhsa_user_sgpr_dispatch_ptr 0
		.amdhsa_user_sgpr_queue_ptr 0
		.amdhsa_user_sgpr_kernarg_segment_ptr 1
		.amdhsa_user_sgpr_dispatch_id 0
		.amdhsa_user_sgpr_flat_scratch_init 0
		.amdhsa_user_sgpr_kernarg_preload_length 0
		.amdhsa_user_sgpr_kernarg_preload_offset 0
		.amdhsa_user_sgpr_private_segment_size 0
		.amdhsa_uses_dynamic_stack 0
		.amdhsa_system_sgpr_private_segment_wavefront_offset 0
		.amdhsa_system_sgpr_workgroup_id_x 1
		.amdhsa_system_sgpr_workgroup_id_y 0
		.amdhsa_system_sgpr_workgroup_id_z 0
		.amdhsa_system_sgpr_workgroup_info 0
		.amdhsa_system_vgpr_workitem_id 0
		.amdhsa_next_free_vgpr 1
		.amdhsa_next_free_sgpr 0
		.amdhsa_accum_offset 4
		.amdhsa_reserve_vcc 0
		.amdhsa_reserve_flat_scratch 0
		.amdhsa_float_round_mode_32 0
		.amdhsa_float_round_mode_16_64 0
		.amdhsa_float_denorm_mode_32 3
		.amdhsa_float_denorm_mode_16_64 3
		.amdhsa_dx10_clamp 1
		.amdhsa_ieee_mode 1
		.amdhsa_fp16_overflow 0
		.amdhsa_tg_split 0
		.amdhsa_exception_fp_ieee_invalid_op 0
		.amdhsa_exception_fp_denorm_src 0
		.amdhsa_exception_fp_ieee_div_zero 0
		.amdhsa_exception_fp_ieee_overflow 0
		.amdhsa_exception_fp_ieee_underflow 0
		.amdhsa_exception_fp_ieee_inexact 0
		.amdhsa_exception_int_div_zero 0
	.end_amdhsa_kernel
	.section	.text._ZN7rocprim17ROCPRIM_400000_NS6detail17trampoline_kernelINS0_14default_configENS1_29reduce_by_key_config_selectorIjjN6thrust23THRUST_200600_302600_NS4plusIjEEEEZZNS1_33reduce_by_key_impl_wrapped_configILNS1_25lookback_scan_determinismE0ES3_S9_NS6_6detail15normal_iteratorINS6_10device_ptrIjEEEESG_SG_SG_PmS8_NS6_8equal_toIjEEEE10hipError_tPvRmT2_T3_mT4_T5_T6_T7_T8_P12ihipStream_tbENKUlT_T0_E_clISt17integral_constantIbLb0EES10_IbLb1EEEEDaSW_SX_EUlSW_E_NS1_11comp_targetILNS1_3genE10ELNS1_11target_archE1201ELNS1_3gpuE5ELNS1_3repE0EEENS1_30default_config_static_selectorELNS0_4arch9wavefront6targetE1EEEvT1_,"axG",@progbits,_ZN7rocprim17ROCPRIM_400000_NS6detail17trampoline_kernelINS0_14default_configENS1_29reduce_by_key_config_selectorIjjN6thrust23THRUST_200600_302600_NS4plusIjEEEEZZNS1_33reduce_by_key_impl_wrapped_configILNS1_25lookback_scan_determinismE0ES3_S9_NS6_6detail15normal_iteratorINS6_10device_ptrIjEEEESG_SG_SG_PmS8_NS6_8equal_toIjEEEE10hipError_tPvRmT2_T3_mT4_T5_T6_T7_T8_P12ihipStream_tbENKUlT_T0_E_clISt17integral_constantIbLb0EES10_IbLb1EEEEDaSW_SX_EUlSW_E_NS1_11comp_targetILNS1_3genE10ELNS1_11target_archE1201ELNS1_3gpuE5ELNS1_3repE0EEENS1_30default_config_static_selectorELNS0_4arch9wavefront6targetE1EEEvT1_,comdat
.Lfunc_end350:
	.size	_ZN7rocprim17ROCPRIM_400000_NS6detail17trampoline_kernelINS0_14default_configENS1_29reduce_by_key_config_selectorIjjN6thrust23THRUST_200600_302600_NS4plusIjEEEEZZNS1_33reduce_by_key_impl_wrapped_configILNS1_25lookback_scan_determinismE0ES3_S9_NS6_6detail15normal_iteratorINS6_10device_ptrIjEEEESG_SG_SG_PmS8_NS6_8equal_toIjEEEE10hipError_tPvRmT2_T3_mT4_T5_T6_T7_T8_P12ihipStream_tbENKUlT_T0_E_clISt17integral_constantIbLb0EES10_IbLb1EEEEDaSW_SX_EUlSW_E_NS1_11comp_targetILNS1_3genE10ELNS1_11target_archE1201ELNS1_3gpuE5ELNS1_3repE0EEENS1_30default_config_static_selectorELNS0_4arch9wavefront6targetE1EEEvT1_, .Lfunc_end350-_ZN7rocprim17ROCPRIM_400000_NS6detail17trampoline_kernelINS0_14default_configENS1_29reduce_by_key_config_selectorIjjN6thrust23THRUST_200600_302600_NS4plusIjEEEEZZNS1_33reduce_by_key_impl_wrapped_configILNS1_25lookback_scan_determinismE0ES3_S9_NS6_6detail15normal_iteratorINS6_10device_ptrIjEEEESG_SG_SG_PmS8_NS6_8equal_toIjEEEE10hipError_tPvRmT2_T3_mT4_T5_T6_T7_T8_P12ihipStream_tbENKUlT_T0_E_clISt17integral_constantIbLb0EES10_IbLb1EEEEDaSW_SX_EUlSW_E_NS1_11comp_targetILNS1_3genE10ELNS1_11target_archE1201ELNS1_3gpuE5ELNS1_3repE0EEENS1_30default_config_static_selectorELNS0_4arch9wavefront6targetE1EEEvT1_
                                        ; -- End function
	.section	.AMDGPU.csdata,"",@progbits
; Kernel info:
; codeLenInByte = 0
; NumSgprs: 4
; NumVgprs: 0
; NumAgprs: 0
; TotalNumVgprs: 0
; ScratchSize: 0
; MemoryBound: 0
; FloatMode: 240
; IeeeMode: 1
; LDSByteSize: 0 bytes/workgroup (compile time only)
; SGPRBlocks: 0
; VGPRBlocks: 0
; NumSGPRsForWavesPerEU: 4
; NumVGPRsForWavesPerEU: 1
; AccumOffset: 4
; Occupancy: 8
; WaveLimiterHint : 0
; COMPUTE_PGM_RSRC2:SCRATCH_EN: 0
; COMPUTE_PGM_RSRC2:USER_SGPR: 6
; COMPUTE_PGM_RSRC2:TRAP_HANDLER: 0
; COMPUTE_PGM_RSRC2:TGID_X_EN: 1
; COMPUTE_PGM_RSRC2:TGID_Y_EN: 0
; COMPUTE_PGM_RSRC2:TGID_Z_EN: 0
; COMPUTE_PGM_RSRC2:TIDIG_COMP_CNT: 0
; COMPUTE_PGM_RSRC3_GFX90A:ACCUM_OFFSET: 0
; COMPUTE_PGM_RSRC3_GFX90A:TG_SPLIT: 0
	.section	.text._ZN7rocprim17ROCPRIM_400000_NS6detail17trampoline_kernelINS0_14default_configENS1_29reduce_by_key_config_selectorIjjN6thrust23THRUST_200600_302600_NS4plusIjEEEEZZNS1_33reduce_by_key_impl_wrapped_configILNS1_25lookback_scan_determinismE0ES3_S9_NS6_6detail15normal_iteratorINS6_10device_ptrIjEEEESG_SG_SG_PmS8_NS6_8equal_toIjEEEE10hipError_tPvRmT2_T3_mT4_T5_T6_T7_T8_P12ihipStream_tbENKUlT_T0_E_clISt17integral_constantIbLb0EES10_IbLb1EEEEDaSW_SX_EUlSW_E_NS1_11comp_targetILNS1_3genE10ELNS1_11target_archE1200ELNS1_3gpuE4ELNS1_3repE0EEENS1_30default_config_static_selectorELNS0_4arch9wavefront6targetE1EEEvT1_,"axG",@progbits,_ZN7rocprim17ROCPRIM_400000_NS6detail17trampoline_kernelINS0_14default_configENS1_29reduce_by_key_config_selectorIjjN6thrust23THRUST_200600_302600_NS4plusIjEEEEZZNS1_33reduce_by_key_impl_wrapped_configILNS1_25lookback_scan_determinismE0ES3_S9_NS6_6detail15normal_iteratorINS6_10device_ptrIjEEEESG_SG_SG_PmS8_NS6_8equal_toIjEEEE10hipError_tPvRmT2_T3_mT4_T5_T6_T7_T8_P12ihipStream_tbENKUlT_T0_E_clISt17integral_constantIbLb0EES10_IbLb1EEEEDaSW_SX_EUlSW_E_NS1_11comp_targetILNS1_3genE10ELNS1_11target_archE1200ELNS1_3gpuE4ELNS1_3repE0EEENS1_30default_config_static_selectorELNS0_4arch9wavefront6targetE1EEEvT1_,comdat
	.protected	_ZN7rocprim17ROCPRIM_400000_NS6detail17trampoline_kernelINS0_14default_configENS1_29reduce_by_key_config_selectorIjjN6thrust23THRUST_200600_302600_NS4plusIjEEEEZZNS1_33reduce_by_key_impl_wrapped_configILNS1_25lookback_scan_determinismE0ES3_S9_NS6_6detail15normal_iteratorINS6_10device_ptrIjEEEESG_SG_SG_PmS8_NS6_8equal_toIjEEEE10hipError_tPvRmT2_T3_mT4_T5_T6_T7_T8_P12ihipStream_tbENKUlT_T0_E_clISt17integral_constantIbLb0EES10_IbLb1EEEEDaSW_SX_EUlSW_E_NS1_11comp_targetILNS1_3genE10ELNS1_11target_archE1200ELNS1_3gpuE4ELNS1_3repE0EEENS1_30default_config_static_selectorELNS0_4arch9wavefront6targetE1EEEvT1_ ; -- Begin function _ZN7rocprim17ROCPRIM_400000_NS6detail17trampoline_kernelINS0_14default_configENS1_29reduce_by_key_config_selectorIjjN6thrust23THRUST_200600_302600_NS4plusIjEEEEZZNS1_33reduce_by_key_impl_wrapped_configILNS1_25lookback_scan_determinismE0ES3_S9_NS6_6detail15normal_iteratorINS6_10device_ptrIjEEEESG_SG_SG_PmS8_NS6_8equal_toIjEEEE10hipError_tPvRmT2_T3_mT4_T5_T6_T7_T8_P12ihipStream_tbENKUlT_T0_E_clISt17integral_constantIbLb0EES10_IbLb1EEEEDaSW_SX_EUlSW_E_NS1_11comp_targetILNS1_3genE10ELNS1_11target_archE1200ELNS1_3gpuE4ELNS1_3repE0EEENS1_30default_config_static_selectorELNS0_4arch9wavefront6targetE1EEEvT1_
	.globl	_ZN7rocprim17ROCPRIM_400000_NS6detail17trampoline_kernelINS0_14default_configENS1_29reduce_by_key_config_selectorIjjN6thrust23THRUST_200600_302600_NS4plusIjEEEEZZNS1_33reduce_by_key_impl_wrapped_configILNS1_25lookback_scan_determinismE0ES3_S9_NS6_6detail15normal_iteratorINS6_10device_ptrIjEEEESG_SG_SG_PmS8_NS6_8equal_toIjEEEE10hipError_tPvRmT2_T3_mT4_T5_T6_T7_T8_P12ihipStream_tbENKUlT_T0_E_clISt17integral_constantIbLb0EES10_IbLb1EEEEDaSW_SX_EUlSW_E_NS1_11comp_targetILNS1_3genE10ELNS1_11target_archE1200ELNS1_3gpuE4ELNS1_3repE0EEENS1_30default_config_static_selectorELNS0_4arch9wavefront6targetE1EEEvT1_
	.p2align	8
	.type	_ZN7rocprim17ROCPRIM_400000_NS6detail17trampoline_kernelINS0_14default_configENS1_29reduce_by_key_config_selectorIjjN6thrust23THRUST_200600_302600_NS4plusIjEEEEZZNS1_33reduce_by_key_impl_wrapped_configILNS1_25lookback_scan_determinismE0ES3_S9_NS6_6detail15normal_iteratorINS6_10device_ptrIjEEEESG_SG_SG_PmS8_NS6_8equal_toIjEEEE10hipError_tPvRmT2_T3_mT4_T5_T6_T7_T8_P12ihipStream_tbENKUlT_T0_E_clISt17integral_constantIbLb0EES10_IbLb1EEEEDaSW_SX_EUlSW_E_NS1_11comp_targetILNS1_3genE10ELNS1_11target_archE1200ELNS1_3gpuE4ELNS1_3repE0EEENS1_30default_config_static_selectorELNS0_4arch9wavefront6targetE1EEEvT1_,@function
_ZN7rocprim17ROCPRIM_400000_NS6detail17trampoline_kernelINS0_14default_configENS1_29reduce_by_key_config_selectorIjjN6thrust23THRUST_200600_302600_NS4plusIjEEEEZZNS1_33reduce_by_key_impl_wrapped_configILNS1_25lookback_scan_determinismE0ES3_S9_NS6_6detail15normal_iteratorINS6_10device_ptrIjEEEESG_SG_SG_PmS8_NS6_8equal_toIjEEEE10hipError_tPvRmT2_T3_mT4_T5_T6_T7_T8_P12ihipStream_tbENKUlT_T0_E_clISt17integral_constantIbLb0EES10_IbLb1EEEEDaSW_SX_EUlSW_E_NS1_11comp_targetILNS1_3genE10ELNS1_11target_archE1200ELNS1_3gpuE4ELNS1_3repE0EEENS1_30default_config_static_selectorELNS0_4arch9wavefront6targetE1EEEvT1_: ; @_ZN7rocprim17ROCPRIM_400000_NS6detail17trampoline_kernelINS0_14default_configENS1_29reduce_by_key_config_selectorIjjN6thrust23THRUST_200600_302600_NS4plusIjEEEEZZNS1_33reduce_by_key_impl_wrapped_configILNS1_25lookback_scan_determinismE0ES3_S9_NS6_6detail15normal_iteratorINS6_10device_ptrIjEEEESG_SG_SG_PmS8_NS6_8equal_toIjEEEE10hipError_tPvRmT2_T3_mT4_T5_T6_T7_T8_P12ihipStream_tbENKUlT_T0_E_clISt17integral_constantIbLb0EES10_IbLb1EEEEDaSW_SX_EUlSW_E_NS1_11comp_targetILNS1_3genE10ELNS1_11target_archE1200ELNS1_3gpuE4ELNS1_3repE0EEENS1_30default_config_static_selectorELNS0_4arch9wavefront6targetE1EEEvT1_
; %bb.0:
	.section	.rodata,"a",@progbits
	.p2align	6, 0x0
	.amdhsa_kernel _ZN7rocprim17ROCPRIM_400000_NS6detail17trampoline_kernelINS0_14default_configENS1_29reduce_by_key_config_selectorIjjN6thrust23THRUST_200600_302600_NS4plusIjEEEEZZNS1_33reduce_by_key_impl_wrapped_configILNS1_25lookback_scan_determinismE0ES3_S9_NS6_6detail15normal_iteratorINS6_10device_ptrIjEEEESG_SG_SG_PmS8_NS6_8equal_toIjEEEE10hipError_tPvRmT2_T3_mT4_T5_T6_T7_T8_P12ihipStream_tbENKUlT_T0_E_clISt17integral_constantIbLb0EES10_IbLb1EEEEDaSW_SX_EUlSW_E_NS1_11comp_targetILNS1_3genE10ELNS1_11target_archE1200ELNS1_3gpuE4ELNS1_3repE0EEENS1_30default_config_static_selectorELNS0_4arch9wavefront6targetE1EEEvT1_
		.amdhsa_group_segment_fixed_size 0
		.amdhsa_private_segment_fixed_size 0
		.amdhsa_kernarg_size 120
		.amdhsa_user_sgpr_count 6
		.amdhsa_user_sgpr_private_segment_buffer 1
		.amdhsa_user_sgpr_dispatch_ptr 0
		.amdhsa_user_sgpr_queue_ptr 0
		.amdhsa_user_sgpr_kernarg_segment_ptr 1
		.amdhsa_user_sgpr_dispatch_id 0
		.amdhsa_user_sgpr_flat_scratch_init 0
		.amdhsa_user_sgpr_kernarg_preload_length 0
		.amdhsa_user_sgpr_kernarg_preload_offset 0
		.amdhsa_user_sgpr_private_segment_size 0
		.amdhsa_uses_dynamic_stack 0
		.amdhsa_system_sgpr_private_segment_wavefront_offset 0
		.amdhsa_system_sgpr_workgroup_id_x 1
		.amdhsa_system_sgpr_workgroup_id_y 0
		.amdhsa_system_sgpr_workgroup_id_z 0
		.amdhsa_system_sgpr_workgroup_info 0
		.amdhsa_system_vgpr_workitem_id 0
		.amdhsa_next_free_vgpr 1
		.amdhsa_next_free_sgpr 0
		.amdhsa_accum_offset 4
		.amdhsa_reserve_vcc 0
		.amdhsa_reserve_flat_scratch 0
		.amdhsa_float_round_mode_32 0
		.amdhsa_float_round_mode_16_64 0
		.amdhsa_float_denorm_mode_32 3
		.amdhsa_float_denorm_mode_16_64 3
		.amdhsa_dx10_clamp 1
		.amdhsa_ieee_mode 1
		.amdhsa_fp16_overflow 0
		.amdhsa_tg_split 0
		.amdhsa_exception_fp_ieee_invalid_op 0
		.amdhsa_exception_fp_denorm_src 0
		.amdhsa_exception_fp_ieee_div_zero 0
		.amdhsa_exception_fp_ieee_overflow 0
		.amdhsa_exception_fp_ieee_underflow 0
		.amdhsa_exception_fp_ieee_inexact 0
		.amdhsa_exception_int_div_zero 0
	.end_amdhsa_kernel
	.section	.text._ZN7rocprim17ROCPRIM_400000_NS6detail17trampoline_kernelINS0_14default_configENS1_29reduce_by_key_config_selectorIjjN6thrust23THRUST_200600_302600_NS4plusIjEEEEZZNS1_33reduce_by_key_impl_wrapped_configILNS1_25lookback_scan_determinismE0ES3_S9_NS6_6detail15normal_iteratorINS6_10device_ptrIjEEEESG_SG_SG_PmS8_NS6_8equal_toIjEEEE10hipError_tPvRmT2_T3_mT4_T5_T6_T7_T8_P12ihipStream_tbENKUlT_T0_E_clISt17integral_constantIbLb0EES10_IbLb1EEEEDaSW_SX_EUlSW_E_NS1_11comp_targetILNS1_3genE10ELNS1_11target_archE1200ELNS1_3gpuE4ELNS1_3repE0EEENS1_30default_config_static_selectorELNS0_4arch9wavefront6targetE1EEEvT1_,"axG",@progbits,_ZN7rocprim17ROCPRIM_400000_NS6detail17trampoline_kernelINS0_14default_configENS1_29reduce_by_key_config_selectorIjjN6thrust23THRUST_200600_302600_NS4plusIjEEEEZZNS1_33reduce_by_key_impl_wrapped_configILNS1_25lookback_scan_determinismE0ES3_S9_NS6_6detail15normal_iteratorINS6_10device_ptrIjEEEESG_SG_SG_PmS8_NS6_8equal_toIjEEEE10hipError_tPvRmT2_T3_mT4_T5_T6_T7_T8_P12ihipStream_tbENKUlT_T0_E_clISt17integral_constantIbLb0EES10_IbLb1EEEEDaSW_SX_EUlSW_E_NS1_11comp_targetILNS1_3genE10ELNS1_11target_archE1200ELNS1_3gpuE4ELNS1_3repE0EEENS1_30default_config_static_selectorELNS0_4arch9wavefront6targetE1EEEvT1_,comdat
.Lfunc_end351:
	.size	_ZN7rocprim17ROCPRIM_400000_NS6detail17trampoline_kernelINS0_14default_configENS1_29reduce_by_key_config_selectorIjjN6thrust23THRUST_200600_302600_NS4plusIjEEEEZZNS1_33reduce_by_key_impl_wrapped_configILNS1_25lookback_scan_determinismE0ES3_S9_NS6_6detail15normal_iteratorINS6_10device_ptrIjEEEESG_SG_SG_PmS8_NS6_8equal_toIjEEEE10hipError_tPvRmT2_T3_mT4_T5_T6_T7_T8_P12ihipStream_tbENKUlT_T0_E_clISt17integral_constantIbLb0EES10_IbLb1EEEEDaSW_SX_EUlSW_E_NS1_11comp_targetILNS1_3genE10ELNS1_11target_archE1200ELNS1_3gpuE4ELNS1_3repE0EEENS1_30default_config_static_selectorELNS0_4arch9wavefront6targetE1EEEvT1_, .Lfunc_end351-_ZN7rocprim17ROCPRIM_400000_NS6detail17trampoline_kernelINS0_14default_configENS1_29reduce_by_key_config_selectorIjjN6thrust23THRUST_200600_302600_NS4plusIjEEEEZZNS1_33reduce_by_key_impl_wrapped_configILNS1_25lookback_scan_determinismE0ES3_S9_NS6_6detail15normal_iteratorINS6_10device_ptrIjEEEESG_SG_SG_PmS8_NS6_8equal_toIjEEEE10hipError_tPvRmT2_T3_mT4_T5_T6_T7_T8_P12ihipStream_tbENKUlT_T0_E_clISt17integral_constantIbLb0EES10_IbLb1EEEEDaSW_SX_EUlSW_E_NS1_11comp_targetILNS1_3genE10ELNS1_11target_archE1200ELNS1_3gpuE4ELNS1_3repE0EEENS1_30default_config_static_selectorELNS0_4arch9wavefront6targetE1EEEvT1_
                                        ; -- End function
	.section	.AMDGPU.csdata,"",@progbits
; Kernel info:
; codeLenInByte = 0
; NumSgprs: 4
; NumVgprs: 0
; NumAgprs: 0
; TotalNumVgprs: 0
; ScratchSize: 0
; MemoryBound: 0
; FloatMode: 240
; IeeeMode: 1
; LDSByteSize: 0 bytes/workgroup (compile time only)
; SGPRBlocks: 0
; VGPRBlocks: 0
; NumSGPRsForWavesPerEU: 4
; NumVGPRsForWavesPerEU: 1
; AccumOffset: 4
; Occupancy: 8
; WaveLimiterHint : 0
; COMPUTE_PGM_RSRC2:SCRATCH_EN: 0
; COMPUTE_PGM_RSRC2:USER_SGPR: 6
; COMPUTE_PGM_RSRC2:TRAP_HANDLER: 0
; COMPUTE_PGM_RSRC2:TGID_X_EN: 1
; COMPUTE_PGM_RSRC2:TGID_Y_EN: 0
; COMPUTE_PGM_RSRC2:TGID_Z_EN: 0
; COMPUTE_PGM_RSRC2:TIDIG_COMP_CNT: 0
; COMPUTE_PGM_RSRC3_GFX90A:ACCUM_OFFSET: 0
; COMPUTE_PGM_RSRC3_GFX90A:TG_SPLIT: 0
	.section	.text._ZN7rocprim17ROCPRIM_400000_NS6detail17trampoline_kernelINS0_14default_configENS1_29reduce_by_key_config_selectorIjjN6thrust23THRUST_200600_302600_NS4plusIjEEEEZZNS1_33reduce_by_key_impl_wrapped_configILNS1_25lookback_scan_determinismE0ES3_S9_NS6_6detail15normal_iteratorINS6_10device_ptrIjEEEESG_SG_SG_PmS8_NS6_8equal_toIjEEEE10hipError_tPvRmT2_T3_mT4_T5_T6_T7_T8_P12ihipStream_tbENKUlT_T0_E_clISt17integral_constantIbLb0EES10_IbLb1EEEEDaSW_SX_EUlSW_E_NS1_11comp_targetILNS1_3genE9ELNS1_11target_archE1100ELNS1_3gpuE3ELNS1_3repE0EEENS1_30default_config_static_selectorELNS0_4arch9wavefront6targetE1EEEvT1_,"axG",@progbits,_ZN7rocprim17ROCPRIM_400000_NS6detail17trampoline_kernelINS0_14default_configENS1_29reduce_by_key_config_selectorIjjN6thrust23THRUST_200600_302600_NS4plusIjEEEEZZNS1_33reduce_by_key_impl_wrapped_configILNS1_25lookback_scan_determinismE0ES3_S9_NS6_6detail15normal_iteratorINS6_10device_ptrIjEEEESG_SG_SG_PmS8_NS6_8equal_toIjEEEE10hipError_tPvRmT2_T3_mT4_T5_T6_T7_T8_P12ihipStream_tbENKUlT_T0_E_clISt17integral_constantIbLb0EES10_IbLb1EEEEDaSW_SX_EUlSW_E_NS1_11comp_targetILNS1_3genE9ELNS1_11target_archE1100ELNS1_3gpuE3ELNS1_3repE0EEENS1_30default_config_static_selectorELNS0_4arch9wavefront6targetE1EEEvT1_,comdat
	.protected	_ZN7rocprim17ROCPRIM_400000_NS6detail17trampoline_kernelINS0_14default_configENS1_29reduce_by_key_config_selectorIjjN6thrust23THRUST_200600_302600_NS4plusIjEEEEZZNS1_33reduce_by_key_impl_wrapped_configILNS1_25lookback_scan_determinismE0ES3_S9_NS6_6detail15normal_iteratorINS6_10device_ptrIjEEEESG_SG_SG_PmS8_NS6_8equal_toIjEEEE10hipError_tPvRmT2_T3_mT4_T5_T6_T7_T8_P12ihipStream_tbENKUlT_T0_E_clISt17integral_constantIbLb0EES10_IbLb1EEEEDaSW_SX_EUlSW_E_NS1_11comp_targetILNS1_3genE9ELNS1_11target_archE1100ELNS1_3gpuE3ELNS1_3repE0EEENS1_30default_config_static_selectorELNS0_4arch9wavefront6targetE1EEEvT1_ ; -- Begin function _ZN7rocprim17ROCPRIM_400000_NS6detail17trampoline_kernelINS0_14default_configENS1_29reduce_by_key_config_selectorIjjN6thrust23THRUST_200600_302600_NS4plusIjEEEEZZNS1_33reduce_by_key_impl_wrapped_configILNS1_25lookback_scan_determinismE0ES3_S9_NS6_6detail15normal_iteratorINS6_10device_ptrIjEEEESG_SG_SG_PmS8_NS6_8equal_toIjEEEE10hipError_tPvRmT2_T3_mT4_T5_T6_T7_T8_P12ihipStream_tbENKUlT_T0_E_clISt17integral_constantIbLb0EES10_IbLb1EEEEDaSW_SX_EUlSW_E_NS1_11comp_targetILNS1_3genE9ELNS1_11target_archE1100ELNS1_3gpuE3ELNS1_3repE0EEENS1_30default_config_static_selectorELNS0_4arch9wavefront6targetE1EEEvT1_
	.globl	_ZN7rocprim17ROCPRIM_400000_NS6detail17trampoline_kernelINS0_14default_configENS1_29reduce_by_key_config_selectorIjjN6thrust23THRUST_200600_302600_NS4plusIjEEEEZZNS1_33reduce_by_key_impl_wrapped_configILNS1_25lookback_scan_determinismE0ES3_S9_NS6_6detail15normal_iteratorINS6_10device_ptrIjEEEESG_SG_SG_PmS8_NS6_8equal_toIjEEEE10hipError_tPvRmT2_T3_mT4_T5_T6_T7_T8_P12ihipStream_tbENKUlT_T0_E_clISt17integral_constantIbLb0EES10_IbLb1EEEEDaSW_SX_EUlSW_E_NS1_11comp_targetILNS1_3genE9ELNS1_11target_archE1100ELNS1_3gpuE3ELNS1_3repE0EEENS1_30default_config_static_selectorELNS0_4arch9wavefront6targetE1EEEvT1_
	.p2align	8
	.type	_ZN7rocprim17ROCPRIM_400000_NS6detail17trampoline_kernelINS0_14default_configENS1_29reduce_by_key_config_selectorIjjN6thrust23THRUST_200600_302600_NS4plusIjEEEEZZNS1_33reduce_by_key_impl_wrapped_configILNS1_25lookback_scan_determinismE0ES3_S9_NS6_6detail15normal_iteratorINS6_10device_ptrIjEEEESG_SG_SG_PmS8_NS6_8equal_toIjEEEE10hipError_tPvRmT2_T3_mT4_T5_T6_T7_T8_P12ihipStream_tbENKUlT_T0_E_clISt17integral_constantIbLb0EES10_IbLb1EEEEDaSW_SX_EUlSW_E_NS1_11comp_targetILNS1_3genE9ELNS1_11target_archE1100ELNS1_3gpuE3ELNS1_3repE0EEENS1_30default_config_static_selectorELNS0_4arch9wavefront6targetE1EEEvT1_,@function
_ZN7rocprim17ROCPRIM_400000_NS6detail17trampoline_kernelINS0_14default_configENS1_29reduce_by_key_config_selectorIjjN6thrust23THRUST_200600_302600_NS4plusIjEEEEZZNS1_33reduce_by_key_impl_wrapped_configILNS1_25lookback_scan_determinismE0ES3_S9_NS6_6detail15normal_iteratorINS6_10device_ptrIjEEEESG_SG_SG_PmS8_NS6_8equal_toIjEEEE10hipError_tPvRmT2_T3_mT4_T5_T6_T7_T8_P12ihipStream_tbENKUlT_T0_E_clISt17integral_constantIbLb0EES10_IbLb1EEEEDaSW_SX_EUlSW_E_NS1_11comp_targetILNS1_3genE9ELNS1_11target_archE1100ELNS1_3gpuE3ELNS1_3repE0EEENS1_30default_config_static_selectorELNS0_4arch9wavefront6targetE1EEEvT1_: ; @_ZN7rocprim17ROCPRIM_400000_NS6detail17trampoline_kernelINS0_14default_configENS1_29reduce_by_key_config_selectorIjjN6thrust23THRUST_200600_302600_NS4plusIjEEEEZZNS1_33reduce_by_key_impl_wrapped_configILNS1_25lookback_scan_determinismE0ES3_S9_NS6_6detail15normal_iteratorINS6_10device_ptrIjEEEESG_SG_SG_PmS8_NS6_8equal_toIjEEEE10hipError_tPvRmT2_T3_mT4_T5_T6_T7_T8_P12ihipStream_tbENKUlT_T0_E_clISt17integral_constantIbLb0EES10_IbLb1EEEEDaSW_SX_EUlSW_E_NS1_11comp_targetILNS1_3genE9ELNS1_11target_archE1100ELNS1_3gpuE3ELNS1_3repE0EEENS1_30default_config_static_selectorELNS0_4arch9wavefront6targetE1EEEvT1_
; %bb.0:
	.section	.rodata,"a",@progbits
	.p2align	6, 0x0
	.amdhsa_kernel _ZN7rocprim17ROCPRIM_400000_NS6detail17trampoline_kernelINS0_14default_configENS1_29reduce_by_key_config_selectorIjjN6thrust23THRUST_200600_302600_NS4plusIjEEEEZZNS1_33reduce_by_key_impl_wrapped_configILNS1_25lookback_scan_determinismE0ES3_S9_NS6_6detail15normal_iteratorINS6_10device_ptrIjEEEESG_SG_SG_PmS8_NS6_8equal_toIjEEEE10hipError_tPvRmT2_T3_mT4_T5_T6_T7_T8_P12ihipStream_tbENKUlT_T0_E_clISt17integral_constantIbLb0EES10_IbLb1EEEEDaSW_SX_EUlSW_E_NS1_11comp_targetILNS1_3genE9ELNS1_11target_archE1100ELNS1_3gpuE3ELNS1_3repE0EEENS1_30default_config_static_selectorELNS0_4arch9wavefront6targetE1EEEvT1_
		.amdhsa_group_segment_fixed_size 0
		.amdhsa_private_segment_fixed_size 0
		.amdhsa_kernarg_size 120
		.amdhsa_user_sgpr_count 6
		.amdhsa_user_sgpr_private_segment_buffer 1
		.amdhsa_user_sgpr_dispatch_ptr 0
		.amdhsa_user_sgpr_queue_ptr 0
		.amdhsa_user_sgpr_kernarg_segment_ptr 1
		.amdhsa_user_sgpr_dispatch_id 0
		.amdhsa_user_sgpr_flat_scratch_init 0
		.amdhsa_user_sgpr_kernarg_preload_length 0
		.amdhsa_user_sgpr_kernarg_preload_offset 0
		.amdhsa_user_sgpr_private_segment_size 0
		.amdhsa_uses_dynamic_stack 0
		.amdhsa_system_sgpr_private_segment_wavefront_offset 0
		.amdhsa_system_sgpr_workgroup_id_x 1
		.amdhsa_system_sgpr_workgroup_id_y 0
		.amdhsa_system_sgpr_workgroup_id_z 0
		.amdhsa_system_sgpr_workgroup_info 0
		.amdhsa_system_vgpr_workitem_id 0
		.amdhsa_next_free_vgpr 1
		.amdhsa_next_free_sgpr 0
		.amdhsa_accum_offset 4
		.amdhsa_reserve_vcc 0
		.amdhsa_reserve_flat_scratch 0
		.amdhsa_float_round_mode_32 0
		.amdhsa_float_round_mode_16_64 0
		.amdhsa_float_denorm_mode_32 3
		.amdhsa_float_denorm_mode_16_64 3
		.amdhsa_dx10_clamp 1
		.amdhsa_ieee_mode 1
		.amdhsa_fp16_overflow 0
		.amdhsa_tg_split 0
		.amdhsa_exception_fp_ieee_invalid_op 0
		.amdhsa_exception_fp_denorm_src 0
		.amdhsa_exception_fp_ieee_div_zero 0
		.amdhsa_exception_fp_ieee_overflow 0
		.amdhsa_exception_fp_ieee_underflow 0
		.amdhsa_exception_fp_ieee_inexact 0
		.amdhsa_exception_int_div_zero 0
	.end_amdhsa_kernel
	.section	.text._ZN7rocprim17ROCPRIM_400000_NS6detail17trampoline_kernelINS0_14default_configENS1_29reduce_by_key_config_selectorIjjN6thrust23THRUST_200600_302600_NS4plusIjEEEEZZNS1_33reduce_by_key_impl_wrapped_configILNS1_25lookback_scan_determinismE0ES3_S9_NS6_6detail15normal_iteratorINS6_10device_ptrIjEEEESG_SG_SG_PmS8_NS6_8equal_toIjEEEE10hipError_tPvRmT2_T3_mT4_T5_T6_T7_T8_P12ihipStream_tbENKUlT_T0_E_clISt17integral_constantIbLb0EES10_IbLb1EEEEDaSW_SX_EUlSW_E_NS1_11comp_targetILNS1_3genE9ELNS1_11target_archE1100ELNS1_3gpuE3ELNS1_3repE0EEENS1_30default_config_static_selectorELNS0_4arch9wavefront6targetE1EEEvT1_,"axG",@progbits,_ZN7rocprim17ROCPRIM_400000_NS6detail17trampoline_kernelINS0_14default_configENS1_29reduce_by_key_config_selectorIjjN6thrust23THRUST_200600_302600_NS4plusIjEEEEZZNS1_33reduce_by_key_impl_wrapped_configILNS1_25lookback_scan_determinismE0ES3_S9_NS6_6detail15normal_iteratorINS6_10device_ptrIjEEEESG_SG_SG_PmS8_NS6_8equal_toIjEEEE10hipError_tPvRmT2_T3_mT4_T5_T6_T7_T8_P12ihipStream_tbENKUlT_T0_E_clISt17integral_constantIbLb0EES10_IbLb1EEEEDaSW_SX_EUlSW_E_NS1_11comp_targetILNS1_3genE9ELNS1_11target_archE1100ELNS1_3gpuE3ELNS1_3repE0EEENS1_30default_config_static_selectorELNS0_4arch9wavefront6targetE1EEEvT1_,comdat
.Lfunc_end352:
	.size	_ZN7rocprim17ROCPRIM_400000_NS6detail17trampoline_kernelINS0_14default_configENS1_29reduce_by_key_config_selectorIjjN6thrust23THRUST_200600_302600_NS4plusIjEEEEZZNS1_33reduce_by_key_impl_wrapped_configILNS1_25lookback_scan_determinismE0ES3_S9_NS6_6detail15normal_iteratorINS6_10device_ptrIjEEEESG_SG_SG_PmS8_NS6_8equal_toIjEEEE10hipError_tPvRmT2_T3_mT4_T5_T6_T7_T8_P12ihipStream_tbENKUlT_T0_E_clISt17integral_constantIbLb0EES10_IbLb1EEEEDaSW_SX_EUlSW_E_NS1_11comp_targetILNS1_3genE9ELNS1_11target_archE1100ELNS1_3gpuE3ELNS1_3repE0EEENS1_30default_config_static_selectorELNS0_4arch9wavefront6targetE1EEEvT1_, .Lfunc_end352-_ZN7rocprim17ROCPRIM_400000_NS6detail17trampoline_kernelINS0_14default_configENS1_29reduce_by_key_config_selectorIjjN6thrust23THRUST_200600_302600_NS4plusIjEEEEZZNS1_33reduce_by_key_impl_wrapped_configILNS1_25lookback_scan_determinismE0ES3_S9_NS6_6detail15normal_iteratorINS6_10device_ptrIjEEEESG_SG_SG_PmS8_NS6_8equal_toIjEEEE10hipError_tPvRmT2_T3_mT4_T5_T6_T7_T8_P12ihipStream_tbENKUlT_T0_E_clISt17integral_constantIbLb0EES10_IbLb1EEEEDaSW_SX_EUlSW_E_NS1_11comp_targetILNS1_3genE9ELNS1_11target_archE1100ELNS1_3gpuE3ELNS1_3repE0EEENS1_30default_config_static_selectorELNS0_4arch9wavefront6targetE1EEEvT1_
                                        ; -- End function
	.section	.AMDGPU.csdata,"",@progbits
; Kernel info:
; codeLenInByte = 0
; NumSgprs: 4
; NumVgprs: 0
; NumAgprs: 0
; TotalNumVgprs: 0
; ScratchSize: 0
; MemoryBound: 0
; FloatMode: 240
; IeeeMode: 1
; LDSByteSize: 0 bytes/workgroup (compile time only)
; SGPRBlocks: 0
; VGPRBlocks: 0
; NumSGPRsForWavesPerEU: 4
; NumVGPRsForWavesPerEU: 1
; AccumOffset: 4
; Occupancy: 8
; WaveLimiterHint : 0
; COMPUTE_PGM_RSRC2:SCRATCH_EN: 0
; COMPUTE_PGM_RSRC2:USER_SGPR: 6
; COMPUTE_PGM_RSRC2:TRAP_HANDLER: 0
; COMPUTE_PGM_RSRC2:TGID_X_EN: 1
; COMPUTE_PGM_RSRC2:TGID_Y_EN: 0
; COMPUTE_PGM_RSRC2:TGID_Z_EN: 0
; COMPUTE_PGM_RSRC2:TIDIG_COMP_CNT: 0
; COMPUTE_PGM_RSRC3_GFX90A:ACCUM_OFFSET: 0
; COMPUTE_PGM_RSRC3_GFX90A:TG_SPLIT: 0
	.section	.text._ZN7rocprim17ROCPRIM_400000_NS6detail17trampoline_kernelINS0_14default_configENS1_29reduce_by_key_config_selectorIjjN6thrust23THRUST_200600_302600_NS4plusIjEEEEZZNS1_33reduce_by_key_impl_wrapped_configILNS1_25lookback_scan_determinismE0ES3_S9_NS6_6detail15normal_iteratorINS6_10device_ptrIjEEEESG_SG_SG_PmS8_NS6_8equal_toIjEEEE10hipError_tPvRmT2_T3_mT4_T5_T6_T7_T8_P12ihipStream_tbENKUlT_T0_E_clISt17integral_constantIbLb0EES10_IbLb1EEEEDaSW_SX_EUlSW_E_NS1_11comp_targetILNS1_3genE8ELNS1_11target_archE1030ELNS1_3gpuE2ELNS1_3repE0EEENS1_30default_config_static_selectorELNS0_4arch9wavefront6targetE1EEEvT1_,"axG",@progbits,_ZN7rocprim17ROCPRIM_400000_NS6detail17trampoline_kernelINS0_14default_configENS1_29reduce_by_key_config_selectorIjjN6thrust23THRUST_200600_302600_NS4plusIjEEEEZZNS1_33reduce_by_key_impl_wrapped_configILNS1_25lookback_scan_determinismE0ES3_S9_NS6_6detail15normal_iteratorINS6_10device_ptrIjEEEESG_SG_SG_PmS8_NS6_8equal_toIjEEEE10hipError_tPvRmT2_T3_mT4_T5_T6_T7_T8_P12ihipStream_tbENKUlT_T0_E_clISt17integral_constantIbLb0EES10_IbLb1EEEEDaSW_SX_EUlSW_E_NS1_11comp_targetILNS1_3genE8ELNS1_11target_archE1030ELNS1_3gpuE2ELNS1_3repE0EEENS1_30default_config_static_selectorELNS0_4arch9wavefront6targetE1EEEvT1_,comdat
	.protected	_ZN7rocprim17ROCPRIM_400000_NS6detail17trampoline_kernelINS0_14default_configENS1_29reduce_by_key_config_selectorIjjN6thrust23THRUST_200600_302600_NS4plusIjEEEEZZNS1_33reduce_by_key_impl_wrapped_configILNS1_25lookback_scan_determinismE0ES3_S9_NS6_6detail15normal_iteratorINS6_10device_ptrIjEEEESG_SG_SG_PmS8_NS6_8equal_toIjEEEE10hipError_tPvRmT2_T3_mT4_T5_T6_T7_T8_P12ihipStream_tbENKUlT_T0_E_clISt17integral_constantIbLb0EES10_IbLb1EEEEDaSW_SX_EUlSW_E_NS1_11comp_targetILNS1_3genE8ELNS1_11target_archE1030ELNS1_3gpuE2ELNS1_3repE0EEENS1_30default_config_static_selectorELNS0_4arch9wavefront6targetE1EEEvT1_ ; -- Begin function _ZN7rocprim17ROCPRIM_400000_NS6detail17trampoline_kernelINS0_14default_configENS1_29reduce_by_key_config_selectorIjjN6thrust23THRUST_200600_302600_NS4plusIjEEEEZZNS1_33reduce_by_key_impl_wrapped_configILNS1_25lookback_scan_determinismE0ES3_S9_NS6_6detail15normal_iteratorINS6_10device_ptrIjEEEESG_SG_SG_PmS8_NS6_8equal_toIjEEEE10hipError_tPvRmT2_T3_mT4_T5_T6_T7_T8_P12ihipStream_tbENKUlT_T0_E_clISt17integral_constantIbLb0EES10_IbLb1EEEEDaSW_SX_EUlSW_E_NS1_11comp_targetILNS1_3genE8ELNS1_11target_archE1030ELNS1_3gpuE2ELNS1_3repE0EEENS1_30default_config_static_selectorELNS0_4arch9wavefront6targetE1EEEvT1_
	.globl	_ZN7rocprim17ROCPRIM_400000_NS6detail17trampoline_kernelINS0_14default_configENS1_29reduce_by_key_config_selectorIjjN6thrust23THRUST_200600_302600_NS4plusIjEEEEZZNS1_33reduce_by_key_impl_wrapped_configILNS1_25lookback_scan_determinismE0ES3_S9_NS6_6detail15normal_iteratorINS6_10device_ptrIjEEEESG_SG_SG_PmS8_NS6_8equal_toIjEEEE10hipError_tPvRmT2_T3_mT4_T5_T6_T7_T8_P12ihipStream_tbENKUlT_T0_E_clISt17integral_constantIbLb0EES10_IbLb1EEEEDaSW_SX_EUlSW_E_NS1_11comp_targetILNS1_3genE8ELNS1_11target_archE1030ELNS1_3gpuE2ELNS1_3repE0EEENS1_30default_config_static_selectorELNS0_4arch9wavefront6targetE1EEEvT1_
	.p2align	8
	.type	_ZN7rocprim17ROCPRIM_400000_NS6detail17trampoline_kernelINS0_14default_configENS1_29reduce_by_key_config_selectorIjjN6thrust23THRUST_200600_302600_NS4plusIjEEEEZZNS1_33reduce_by_key_impl_wrapped_configILNS1_25lookback_scan_determinismE0ES3_S9_NS6_6detail15normal_iteratorINS6_10device_ptrIjEEEESG_SG_SG_PmS8_NS6_8equal_toIjEEEE10hipError_tPvRmT2_T3_mT4_T5_T6_T7_T8_P12ihipStream_tbENKUlT_T0_E_clISt17integral_constantIbLb0EES10_IbLb1EEEEDaSW_SX_EUlSW_E_NS1_11comp_targetILNS1_3genE8ELNS1_11target_archE1030ELNS1_3gpuE2ELNS1_3repE0EEENS1_30default_config_static_selectorELNS0_4arch9wavefront6targetE1EEEvT1_,@function
_ZN7rocprim17ROCPRIM_400000_NS6detail17trampoline_kernelINS0_14default_configENS1_29reduce_by_key_config_selectorIjjN6thrust23THRUST_200600_302600_NS4plusIjEEEEZZNS1_33reduce_by_key_impl_wrapped_configILNS1_25lookback_scan_determinismE0ES3_S9_NS6_6detail15normal_iteratorINS6_10device_ptrIjEEEESG_SG_SG_PmS8_NS6_8equal_toIjEEEE10hipError_tPvRmT2_T3_mT4_T5_T6_T7_T8_P12ihipStream_tbENKUlT_T0_E_clISt17integral_constantIbLb0EES10_IbLb1EEEEDaSW_SX_EUlSW_E_NS1_11comp_targetILNS1_3genE8ELNS1_11target_archE1030ELNS1_3gpuE2ELNS1_3repE0EEENS1_30default_config_static_selectorELNS0_4arch9wavefront6targetE1EEEvT1_: ; @_ZN7rocprim17ROCPRIM_400000_NS6detail17trampoline_kernelINS0_14default_configENS1_29reduce_by_key_config_selectorIjjN6thrust23THRUST_200600_302600_NS4plusIjEEEEZZNS1_33reduce_by_key_impl_wrapped_configILNS1_25lookback_scan_determinismE0ES3_S9_NS6_6detail15normal_iteratorINS6_10device_ptrIjEEEESG_SG_SG_PmS8_NS6_8equal_toIjEEEE10hipError_tPvRmT2_T3_mT4_T5_T6_T7_T8_P12ihipStream_tbENKUlT_T0_E_clISt17integral_constantIbLb0EES10_IbLb1EEEEDaSW_SX_EUlSW_E_NS1_11comp_targetILNS1_3genE8ELNS1_11target_archE1030ELNS1_3gpuE2ELNS1_3repE0EEENS1_30default_config_static_selectorELNS0_4arch9wavefront6targetE1EEEvT1_
; %bb.0:
	.section	.rodata,"a",@progbits
	.p2align	6, 0x0
	.amdhsa_kernel _ZN7rocprim17ROCPRIM_400000_NS6detail17trampoline_kernelINS0_14default_configENS1_29reduce_by_key_config_selectorIjjN6thrust23THRUST_200600_302600_NS4plusIjEEEEZZNS1_33reduce_by_key_impl_wrapped_configILNS1_25lookback_scan_determinismE0ES3_S9_NS6_6detail15normal_iteratorINS6_10device_ptrIjEEEESG_SG_SG_PmS8_NS6_8equal_toIjEEEE10hipError_tPvRmT2_T3_mT4_T5_T6_T7_T8_P12ihipStream_tbENKUlT_T0_E_clISt17integral_constantIbLb0EES10_IbLb1EEEEDaSW_SX_EUlSW_E_NS1_11comp_targetILNS1_3genE8ELNS1_11target_archE1030ELNS1_3gpuE2ELNS1_3repE0EEENS1_30default_config_static_selectorELNS0_4arch9wavefront6targetE1EEEvT1_
		.amdhsa_group_segment_fixed_size 0
		.amdhsa_private_segment_fixed_size 0
		.amdhsa_kernarg_size 120
		.amdhsa_user_sgpr_count 6
		.amdhsa_user_sgpr_private_segment_buffer 1
		.amdhsa_user_sgpr_dispatch_ptr 0
		.amdhsa_user_sgpr_queue_ptr 0
		.amdhsa_user_sgpr_kernarg_segment_ptr 1
		.amdhsa_user_sgpr_dispatch_id 0
		.amdhsa_user_sgpr_flat_scratch_init 0
		.amdhsa_user_sgpr_kernarg_preload_length 0
		.amdhsa_user_sgpr_kernarg_preload_offset 0
		.amdhsa_user_sgpr_private_segment_size 0
		.amdhsa_uses_dynamic_stack 0
		.amdhsa_system_sgpr_private_segment_wavefront_offset 0
		.amdhsa_system_sgpr_workgroup_id_x 1
		.amdhsa_system_sgpr_workgroup_id_y 0
		.amdhsa_system_sgpr_workgroup_id_z 0
		.amdhsa_system_sgpr_workgroup_info 0
		.amdhsa_system_vgpr_workitem_id 0
		.amdhsa_next_free_vgpr 1
		.amdhsa_next_free_sgpr 0
		.amdhsa_accum_offset 4
		.amdhsa_reserve_vcc 0
		.amdhsa_reserve_flat_scratch 0
		.amdhsa_float_round_mode_32 0
		.amdhsa_float_round_mode_16_64 0
		.amdhsa_float_denorm_mode_32 3
		.amdhsa_float_denorm_mode_16_64 3
		.amdhsa_dx10_clamp 1
		.amdhsa_ieee_mode 1
		.amdhsa_fp16_overflow 0
		.amdhsa_tg_split 0
		.amdhsa_exception_fp_ieee_invalid_op 0
		.amdhsa_exception_fp_denorm_src 0
		.amdhsa_exception_fp_ieee_div_zero 0
		.amdhsa_exception_fp_ieee_overflow 0
		.amdhsa_exception_fp_ieee_underflow 0
		.amdhsa_exception_fp_ieee_inexact 0
		.amdhsa_exception_int_div_zero 0
	.end_amdhsa_kernel
	.section	.text._ZN7rocprim17ROCPRIM_400000_NS6detail17trampoline_kernelINS0_14default_configENS1_29reduce_by_key_config_selectorIjjN6thrust23THRUST_200600_302600_NS4plusIjEEEEZZNS1_33reduce_by_key_impl_wrapped_configILNS1_25lookback_scan_determinismE0ES3_S9_NS6_6detail15normal_iteratorINS6_10device_ptrIjEEEESG_SG_SG_PmS8_NS6_8equal_toIjEEEE10hipError_tPvRmT2_T3_mT4_T5_T6_T7_T8_P12ihipStream_tbENKUlT_T0_E_clISt17integral_constantIbLb0EES10_IbLb1EEEEDaSW_SX_EUlSW_E_NS1_11comp_targetILNS1_3genE8ELNS1_11target_archE1030ELNS1_3gpuE2ELNS1_3repE0EEENS1_30default_config_static_selectorELNS0_4arch9wavefront6targetE1EEEvT1_,"axG",@progbits,_ZN7rocprim17ROCPRIM_400000_NS6detail17trampoline_kernelINS0_14default_configENS1_29reduce_by_key_config_selectorIjjN6thrust23THRUST_200600_302600_NS4plusIjEEEEZZNS1_33reduce_by_key_impl_wrapped_configILNS1_25lookback_scan_determinismE0ES3_S9_NS6_6detail15normal_iteratorINS6_10device_ptrIjEEEESG_SG_SG_PmS8_NS6_8equal_toIjEEEE10hipError_tPvRmT2_T3_mT4_T5_T6_T7_T8_P12ihipStream_tbENKUlT_T0_E_clISt17integral_constantIbLb0EES10_IbLb1EEEEDaSW_SX_EUlSW_E_NS1_11comp_targetILNS1_3genE8ELNS1_11target_archE1030ELNS1_3gpuE2ELNS1_3repE0EEENS1_30default_config_static_selectorELNS0_4arch9wavefront6targetE1EEEvT1_,comdat
.Lfunc_end353:
	.size	_ZN7rocprim17ROCPRIM_400000_NS6detail17trampoline_kernelINS0_14default_configENS1_29reduce_by_key_config_selectorIjjN6thrust23THRUST_200600_302600_NS4plusIjEEEEZZNS1_33reduce_by_key_impl_wrapped_configILNS1_25lookback_scan_determinismE0ES3_S9_NS6_6detail15normal_iteratorINS6_10device_ptrIjEEEESG_SG_SG_PmS8_NS6_8equal_toIjEEEE10hipError_tPvRmT2_T3_mT4_T5_T6_T7_T8_P12ihipStream_tbENKUlT_T0_E_clISt17integral_constantIbLb0EES10_IbLb1EEEEDaSW_SX_EUlSW_E_NS1_11comp_targetILNS1_3genE8ELNS1_11target_archE1030ELNS1_3gpuE2ELNS1_3repE0EEENS1_30default_config_static_selectorELNS0_4arch9wavefront6targetE1EEEvT1_, .Lfunc_end353-_ZN7rocprim17ROCPRIM_400000_NS6detail17trampoline_kernelINS0_14default_configENS1_29reduce_by_key_config_selectorIjjN6thrust23THRUST_200600_302600_NS4plusIjEEEEZZNS1_33reduce_by_key_impl_wrapped_configILNS1_25lookback_scan_determinismE0ES3_S9_NS6_6detail15normal_iteratorINS6_10device_ptrIjEEEESG_SG_SG_PmS8_NS6_8equal_toIjEEEE10hipError_tPvRmT2_T3_mT4_T5_T6_T7_T8_P12ihipStream_tbENKUlT_T0_E_clISt17integral_constantIbLb0EES10_IbLb1EEEEDaSW_SX_EUlSW_E_NS1_11comp_targetILNS1_3genE8ELNS1_11target_archE1030ELNS1_3gpuE2ELNS1_3repE0EEENS1_30default_config_static_selectorELNS0_4arch9wavefront6targetE1EEEvT1_
                                        ; -- End function
	.section	.AMDGPU.csdata,"",@progbits
; Kernel info:
; codeLenInByte = 0
; NumSgprs: 4
; NumVgprs: 0
; NumAgprs: 0
; TotalNumVgprs: 0
; ScratchSize: 0
; MemoryBound: 0
; FloatMode: 240
; IeeeMode: 1
; LDSByteSize: 0 bytes/workgroup (compile time only)
; SGPRBlocks: 0
; VGPRBlocks: 0
; NumSGPRsForWavesPerEU: 4
; NumVGPRsForWavesPerEU: 1
; AccumOffset: 4
; Occupancy: 8
; WaveLimiterHint : 0
; COMPUTE_PGM_RSRC2:SCRATCH_EN: 0
; COMPUTE_PGM_RSRC2:USER_SGPR: 6
; COMPUTE_PGM_RSRC2:TRAP_HANDLER: 0
; COMPUTE_PGM_RSRC2:TGID_X_EN: 1
; COMPUTE_PGM_RSRC2:TGID_Y_EN: 0
; COMPUTE_PGM_RSRC2:TGID_Z_EN: 0
; COMPUTE_PGM_RSRC2:TIDIG_COMP_CNT: 0
; COMPUTE_PGM_RSRC3_GFX90A:ACCUM_OFFSET: 0
; COMPUTE_PGM_RSRC3_GFX90A:TG_SPLIT: 0
	.section	.text._ZN7rocprim17ROCPRIM_400000_NS6detail17trampoline_kernelINS0_14default_configENS1_29reduce_by_key_config_selectorIjjN6thrust23THRUST_200600_302600_NS4plusIjEEEEZZNS1_33reduce_by_key_impl_wrapped_configILNS1_25lookback_scan_determinismE0ES3_S9_NS6_6detail15normal_iteratorINS6_10device_ptrIjEEEESG_SG_SG_PmS8_22is_equal_div_10_reduceIjEEE10hipError_tPvRmT2_T3_mT4_T5_T6_T7_T8_P12ihipStream_tbENKUlT_T0_E_clISt17integral_constantIbLb0EES11_EEDaSW_SX_EUlSW_E_NS1_11comp_targetILNS1_3genE0ELNS1_11target_archE4294967295ELNS1_3gpuE0ELNS1_3repE0EEENS1_30default_config_static_selectorELNS0_4arch9wavefront6targetE1EEEvT1_,"axG",@progbits,_ZN7rocprim17ROCPRIM_400000_NS6detail17trampoline_kernelINS0_14default_configENS1_29reduce_by_key_config_selectorIjjN6thrust23THRUST_200600_302600_NS4plusIjEEEEZZNS1_33reduce_by_key_impl_wrapped_configILNS1_25lookback_scan_determinismE0ES3_S9_NS6_6detail15normal_iteratorINS6_10device_ptrIjEEEESG_SG_SG_PmS8_22is_equal_div_10_reduceIjEEE10hipError_tPvRmT2_T3_mT4_T5_T6_T7_T8_P12ihipStream_tbENKUlT_T0_E_clISt17integral_constantIbLb0EES11_EEDaSW_SX_EUlSW_E_NS1_11comp_targetILNS1_3genE0ELNS1_11target_archE4294967295ELNS1_3gpuE0ELNS1_3repE0EEENS1_30default_config_static_selectorELNS0_4arch9wavefront6targetE1EEEvT1_,comdat
	.protected	_ZN7rocprim17ROCPRIM_400000_NS6detail17trampoline_kernelINS0_14default_configENS1_29reduce_by_key_config_selectorIjjN6thrust23THRUST_200600_302600_NS4plusIjEEEEZZNS1_33reduce_by_key_impl_wrapped_configILNS1_25lookback_scan_determinismE0ES3_S9_NS6_6detail15normal_iteratorINS6_10device_ptrIjEEEESG_SG_SG_PmS8_22is_equal_div_10_reduceIjEEE10hipError_tPvRmT2_T3_mT4_T5_T6_T7_T8_P12ihipStream_tbENKUlT_T0_E_clISt17integral_constantIbLb0EES11_EEDaSW_SX_EUlSW_E_NS1_11comp_targetILNS1_3genE0ELNS1_11target_archE4294967295ELNS1_3gpuE0ELNS1_3repE0EEENS1_30default_config_static_selectorELNS0_4arch9wavefront6targetE1EEEvT1_ ; -- Begin function _ZN7rocprim17ROCPRIM_400000_NS6detail17trampoline_kernelINS0_14default_configENS1_29reduce_by_key_config_selectorIjjN6thrust23THRUST_200600_302600_NS4plusIjEEEEZZNS1_33reduce_by_key_impl_wrapped_configILNS1_25lookback_scan_determinismE0ES3_S9_NS6_6detail15normal_iteratorINS6_10device_ptrIjEEEESG_SG_SG_PmS8_22is_equal_div_10_reduceIjEEE10hipError_tPvRmT2_T3_mT4_T5_T6_T7_T8_P12ihipStream_tbENKUlT_T0_E_clISt17integral_constantIbLb0EES11_EEDaSW_SX_EUlSW_E_NS1_11comp_targetILNS1_3genE0ELNS1_11target_archE4294967295ELNS1_3gpuE0ELNS1_3repE0EEENS1_30default_config_static_selectorELNS0_4arch9wavefront6targetE1EEEvT1_
	.globl	_ZN7rocprim17ROCPRIM_400000_NS6detail17trampoline_kernelINS0_14default_configENS1_29reduce_by_key_config_selectorIjjN6thrust23THRUST_200600_302600_NS4plusIjEEEEZZNS1_33reduce_by_key_impl_wrapped_configILNS1_25lookback_scan_determinismE0ES3_S9_NS6_6detail15normal_iteratorINS6_10device_ptrIjEEEESG_SG_SG_PmS8_22is_equal_div_10_reduceIjEEE10hipError_tPvRmT2_T3_mT4_T5_T6_T7_T8_P12ihipStream_tbENKUlT_T0_E_clISt17integral_constantIbLb0EES11_EEDaSW_SX_EUlSW_E_NS1_11comp_targetILNS1_3genE0ELNS1_11target_archE4294967295ELNS1_3gpuE0ELNS1_3repE0EEENS1_30default_config_static_selectorELNS0_4arch9wavefront6targetE1EEEvT1_
	.p2align	8
	.type	_ZN7rocprim17ROCPRIM_400000_NS6detail17trampoline_kernelINS0_14default_configENS1_29reduce_by_key_config_selectorIjjN6thrust23THRUST_200600_302600_NS4plusIjEEEEZZNS1_33reduce_by_key_impl_wrapped_configILNS1_25lookback_scan_determinismE0ES3_S9_NS6_6detail15normal_iteratorINS6_10device_ptrIjEEEESG_SG_SG_PmS8_22is_equal_div_10_reduceIjEEE10hipError_tPvRmT2_T3_mT4_T5_T6_T7_T8_P12ihipStream_tbENKUlT_T0_E_clISt17integral_constantIbLb0EES11_EEDaSW_SX_EUlSW_E_NS1_11comp_targetILNS1_3genE0ELNS1_11target_archE4294967295ELNS1_3gpuE0ELNS1_3repE0EEENS1_30default_config_static_selectorELNS0_4arch9wavefront6targetE1EEEvT1_,@function
_ZN7rocprim17ROCPRIM_400000_NS6detail17trampoline_kernelINS0_14default_configENS1_29reduce_by_key_config_selectorIjjN6thrust23THRUST_200600_302600_NS4plusIjEEEEZZNS1_33reduce_by_key_impl_wrapped_configILNS1_25lookback_scan_determinismE0ES3_S9_NS6_6detail15normal_iteratorINS6_10device_ptrIjEEEESG_SG_SG_PmS8_22is_equal_div_10_reduceIjEEE10hipError_tPvRmT2_T3_mT4_T5_T6_T7_T8_P12ihipStream_tbENKUlT_T0_E_clISt17integral_constantIbLb0EES11_EEDaSW_SX_EUlSW_E_NS1_11comp_targetILNS1_3genE0ELNS1_11target_archE4294967295ELNS1_3gpuE0ELNS1_3repE0EEENS1_30default_config_static_selectorELNS0_4arch9wavefront6targetE1EEEvT1_: ; @_ZN7rocprim17ROCPRIM_400000_NS6detail17trampoline_kernelINS0_14default_configENS1_29reduce_by_key_config_selectorIjjN6thrust23THRUST_200600_302600_NS4plusIjEEEEZZNS1_33reduce_by_key_impl_wrapped_configILNS1_25lookback_scan_determinismE0ES3_S9_NS6_6detail15normal_iteratorINS6_10device_ptrIjEEEESG_SG_SG_PmS8_22is_equal_div_10_reduceIjEEE10hipError_tPvRmT2_T3_mT4_T5_T6_T7_T8_P12ihipStream_tbENKUlT_T0_E_clISt17integral_constantIbLb0EES11_EEDaSW_SX_EUlSW_E_NS1_11comp_targetILNS1_3genE0ELNS1_11target_archE4294967295ELNS1_3gpuE0ELNS1_3repE0EEENS1_30default_config_static_selectorELNS0_4arch9wavefront6targetE1EEEvT1_
; %bb.0:
	.section	.rodata,"a",@progbits
	.p2align	6, 0x0
	.amdhsa_kernel _ZN7rocprim17ROCPRIM_400000_NS6detail17trampoline_kernelINS0_14default_configENS1_29reduce_by_key_config_selectorIjjN6thrust23THRUST_200600_302600_NS4plusIjEEEEZZNS1_33reduce_by_key_impl_wrapped_configILNS1_25lookback_scan_determinismE0ES3_S9_NS6_6detail15normal_iteratorINS6_10device_ptrIjEEEESG_SG_SG_PmS8_22is_equal_div_10_reduceIjEEE10hipError_tPvRmT2_T3_mT4_T5_T6_T7_T8_P12ihipStream_tbENKUlT_T0_E_clISt17integral_constantIbLb0EES11_EEDaSW_SX_EUlSW_E_NS1_11comp_targetILNS1_3genE0ELNS1_11target_archE4294967295ELNS1_3gpuE0ELNS1_3repE0EEENS1_30default_config_static_selectorELNS0_4arch9wavefront6targetE1EEEvT1_
		.amdhsa_group_segment_fixed_size 0
		.amdhsa_private_segment_fixed_size 0
		.amdhsa_kernarg_size 120
		.amdhsa_user_sgpr_count 6
		.amdhsa_user_sgpr_private_segment_buffer 1
		.amdhsa_user_sgpr_dispatch_ptr 0
		.amdhsa_user_sgpr_queue_ptr 0
		.amdhsa_user_sgpr_kernarg_segment_ptr 1
		.amdhsa_user_sgpr_dispatch_id 0
		.amdhsa_user_sgpr_flat_scratch_init 0
		.amdhsa_user_sgpr_kernarg_preload_length 0
		.amdhsa_user_sgpr_kernarg_preload_offset 0
		.amdhsa_user_sgpr_private_segment_size 0
		.amdhsa_uses_dynamic_stack 0
		.amdhsa_system_sgpr_private_segment_wavefront_offset 0
		.amdhsa_system_sgpr_workgroup_id_x 1
		.amdhsa_system_sgpr_workgroup_id_y 0
		.amdhsa_system_sgpr_workgroup_id_z 0
		.amdhsa_system_sgpr_workgroup_info 0
		.amdhsa_system_vgpr_workitem_id 0
		.amdhsa_next_free_vgpr 1
		.amdhsa_next_free_sgpr 0
		.amdhsa_accum_offset 4
		.amdhsa_reserve_vcc 0
		.amdhsa_reserve_flat_scratch 0
		.amdhsa_float_round_mode_32 0
		.amdhsa_float_round_mode_16_64 0
		.amdhsa_float_denorm_mode_32 3
		.amdhsa_float_denorm_mode_16_64 3
		.amdhsa_dx10_clamp 1
		.amdhsa_ieee_mode 1
		.amdhsa_fp16_overflow 0
		.amdhsa_tg_split 0
		.amdhsa_exception_fp_ieee_invalid_op 0
		.amdhsa_exception_fp_denorm_src 0
		.amdhsa_exception_fp_ieee_div_zero 0
		.amdhsa_exception_fp_ieee_overflow 0
		.amdhsa_exception_fp_ieee_underflow 0
		.amdhsa_exception_fp_ieee_inexact 0
		.amdhsa_exception_int_div_zero 0
	.end_amdhsa_kernel
	.section	.text._ZN7rocprim17ROCPRIM_400000_NS6detail17trampoline_kernelINS0_14default_configENS1_29reduce_by_key_config_selectorIjjN6thrust23THRUST_200600_302600_NS4plusIjEEEEZZNS1_33reduce_by_key_impl_wrapped_configILNS1_25lookback_scan_determinismE0ES3_S9_NS6_6detail15normal_iteratorINS6_10device_ptrIjEEEESG_SG_SG_PmS8_22is_equal_div_10_reduceIjEEE10hipError_tPvRmT2_T3_mT4_T5_T6_T7_T8_P12ihipStream_tbENKUlT_T0_E_clISt17integral_constantIbLb0EES11_EEDaSW_SX_EUlSW_E_NS1_11comp_targetILNS1_3genE0ELNS1_11target_archE4294967295ELNS1_3gpuE0ELNS1_3repE0EEENS1_30default_config_static_selectorELNS0_4arch9wavefront6targetE1EEEvT1_,"axG",@progbits,_ZN7rocprim17ROCPRIM_400000_NS6detail17trampoline_kernelINS0_14default_configENS1_29reduce_by_key_config_selectorIjjN6thrust23THRUST_200600_302600_NS4plusIjEEEEZZNS1_33reduce_by_key_impl_wrapped_configILNS1_25lookback_scan_determinismE0ES3_S9_NS6_6detail15normal_iteratorINS6_10device_ptrIjEEEESG_SG_SG_PmS8_22is_equal_div_10_reduceIjEEE10hipError_tPvRmT2_T3_mT4_T5_T6_T7_T8_P12ihipStream_tbENKUlT_T0_E_clISt17integral_constantIbLb0EES11_EEDaSW_SX_EUlSW_E_NS1_11comp_targetILNS1_3genE0ELNS1_11target_archE4294967295ELNS1_3gpuE0ELNS1_3repE0EEENS1_30default_config_static_selectorELNS0_4arch9wavefront6targetE1EEEvT1_,comdat
.Lfunc_end354:
	.size	_ZN7rocprim17ROCPRIM_400000_NS6detail17trampoline_kernelINS0_14default_configENS1_29reduce_by_key_config_selectorIjjN6thrust23THRUST_200600_302600_NS4plusIjEEEEZZNS1_33reduce_by_key_impl_wrapped_configILNS1_25lookback_scan_determinismE0ES3_S9_NS6_6detail15normal_iteratorINS6_10device_ptrIjEEEESG_SG_SG_PmS8_22is_equal_div_10_reduceIjEEE10hipError_tPvRmT2_T3_mT4_T5_T6_T7_T8_P12ihipStream_tbENKUlT_T0_E_clISt17integral_constantIbLb0EES11_EEDaSW_SX_EUlSW_E_NS1_11comp_targetILNS1_3genE0ELNS1_11target_archE4294967295ELNS1_3gpuE0ELNS1_3repE0EEENS1_30default_config_static_selectorELNS0_4arch9wavefront6targetE1EEEvT1_, .Lfunc_end354-_ZN7rocprim17ROCPRIM_400000_NS6detail17trampoline_kernelINS0_14default_configENS1_29reduce_by_key_config_selectorIjjN6thrust23THRUST_200600_302600_NS4plusIjEEEEZZNS1_33reduce_by_key_impl_wrapped_configILNS1_25lookback_scan_determinismE0ES3_S9_NS6_6detail15normal_iteratorINS6_10device_ptrIjEEEESG_SG_SG_PmS8_22is_equal_div_10_reduceIjEEE10hipError_tPvRmT2_T3_mT4_T5_T6_T7_T8_P12ihipStream_tbENKUlT_T0_E_clISt17integral_constantIbLb0EES11_EEDaSW_SX_EUlSW_E_NS1_11comp_targetILNS1_3genE0ELNS1_11target_archE4294967295ELNS1_3gpuE0ELNS1_3repE0EEENS1_30default_config_static_selectorELNS0_4arch9wavefront6targetE1EEEvT1_
                                        ; -- End function
	.section	.AMDGPU.csdata,"",@progbits
; Kernel info:
; codeLenInByte = 0
; NumSgprs: 4
; NumVgprs: 0
; NumAgprs: 0
; TotalNumVgprs: 0
; ScratchSize: 0
; MemoryBound: 0
; FloatMode: 240
; IeeeMode: 1
; LDSByteSize: 0 bytes/workgroup (compile time only)
; SGPRBlocks: 0
; VGPRBlocks: 0
; NumSGPRsForWavesPerEU: 4
; NumVGPRsForWavesPerEU: 1
; AccumOffset: 4
; Occupancy: 8
; WaveLimiterHint : 0
; COMPUTE_PGM_RSRC2:SCRATCH_EN: 0
; COMPUTE_PGM_RSRC2:USER_SGPR: 6
; COMPUTE_PGM_RSRC2:TRAP_HANDLER: 0
; COMPUTE_PGM_RSRC2:TGID_X_EN: 1
; COMPUTE_PGM_RSRC2:TGID_Y_EN: 0
; COMPUTE_PGM_RSRC2:TGID_Z_EN: 0
; COMPUTE_PGM_RSRC2:TIDIG_COMP_CNT: 0
; COMPUTE_PGM_RSRC3_GFX90A:ACCUM_OFFSET: 0
; COMPUTE_PGM_RSRC3_GFX90A:TG_SPLIT: 0
	.section	.text._ZN7rocprim17ROCPRIM_400000_NS6detail17trampoline_kernelINS0_14default_configENS1_29reduce_by_key_config_selectorIjjN6thrust23THRUST_200600_302600_NS4plusIjEEEEZZNS1_33reduce_by_key_impl_wrapped_configILNS1_25lookback_scan_determinismE0ES3_S9_NS6_6detail15normal_iteratorINS6_10device_ptrIjEEEESG_SG_SG_PmS8_22is_equal_div_10_reduceIjEEE10hipError_tPvRmT2_T3_mT4_T5_T6_T7_T8_P12ihipStream_tbENKUlT_T0_E_clISt17integral_constantIbLb0EES11_EEDaSW_SX_EUlSW_E_NS1_11comp_targetILNS1_3genE5ELNS1_11target_archE942ELNS1_3gpuE9ELNS1_3repE0EEENS1_30default_config_static_selectorELNS0_4arch9wavefront6targetE1EEEvT1_,"axG",@progbits,_ZN7rocprim17ROCPRIM_400000_NS6detail17trampoline_kernelINS0_14default_configENS1_29reduce_by_key_config_selectorIjjN6thrust23THRUST_200600_302600_NS4plusIjEEEEZZNS1_33reduce_by_key_impl_wrapped_configILNS1_25lookback_scan_determinismE0ES3_S9_NS6_6detail15normal_iteratorINS6_10device_ptrIjEEEESG_SG_SG_PmS8_22is_equal_div_10_reduceIjEEE10hipError_tPvRmT2_T3_mT4_T5_T6_T7_T8_P12ihipStream_tbENKUlT_T0_E_clISt17integral_constantIbLb0EES11_EEDaSW_SX_EUlSW_E_NS1_11comp_targetILNS1_3genE5ELNS1_11target_archE942ELNS1_3gpuE9ELNS1_3repE0EEENS1_30default_config_static_selectorELNS0_4arch9wavefront6targetE1EEEvT1_,comdat
	.protected	_ZN7rocprim17ROCPRIM_400000_NS6detail17trampoline_kernelINS0_14default_configENS1_29reduce_by_key_config_selectorIjjN6thrust23THRUST_200600_302600_NS4plusIjEEEEZZNS1_33reduce_by_key_impl_wrapped_configILNS1_25lookback_scan_determinismE0ES3_S9_NS6_6detail15normal_iteratorINS6_10device_ptrIjEEEESG_SG_SG_PmS8_22is_equal_div_10_reduceIjEEE10hipError_tPvRmT2_T3_mT4_T5_T6_T7_T8_P12ihipStream_tbENKUlT_T0_E_clISt17integral_constantIbLb0EES11_EEDaSW_SX_EUlSW_E_NS1_11comp_targetILNS1_3genE5ELNS1_11target_archE942ELNS1_3gpuE9ELNS1_3repE0EEENS1_30default_config_static_selectorELNS0_4arch9wavefront6targetE1EEEvT1_ ; -- Begin function _ZN7rocprim17ROCPRIM_400000_NS6detail17trampoline_kernelINS0_14default_configENS1_29reduce_by_key_config_selectorIjjN6thrust23THRUST_200600_302600_NS4plusIjEEEEZZNS1_33reduce_by_key_impl_wrapped_configILNS1_25lookback_scan_determinismE0ES3_S9_NS6_6detail15normal_iteratorINS6_10device_ptrIjEEEESG_SG_SG_PmS8_22is_equal_div_10_reduceIjEEE10hipError_tPvRmT2_T3_mT4_T5_T6_T7_T8_P12ihipStream_tbENKUlT_T0_E_clISt17integral_constantIbLb0EES11_EEDaSW_SX_EUlSW_E_NS1_11comp_targetILNS1_3genE5ELNS1_11target_archE942ELNS1_3gpuE9ELNS1_3repE0EEENS1_30default_config_static_selectorELNS0_4arch9wavefront6targetE1EEEvT1_
	.globl	_ZN7rocprim17ROCPRIM_400000_NS6detail17trampoline_kernelINS0_14default_configENS1_29reduce_by_key_config_selectorIjjN6thrust23THRUST_200600_302600_NS4plusIjEEEEZZNS1_33reduce_by_key_impl_wrapped_configILNS1_25lookback_scan_determinismE0ES3_S9_NS6_6detail15normal_iteratorINS6_10device_ptrIjEEEESG_SG_SG_PmS8_22is_equal_div_10_reduceIjEEE10hipError_tPvRmT2_T3_mT4_T5_T6_T7_T8_P12ihipStream_tbENKUlT_T0_E_clISt17integral_constantIbLb0EES11_EEDaSW_SX_EUlSW_E_NS1_11comp_targetILNS1_3genE5ELNS1_11target_archE942ELNS1_3gpuE9ELNS1_3repE0EEENS1_30default_config_static_selectorELNS0_4arch9wavefront6targetE1EEEvT1_
	.p2align	8
	.type	_ZN7rocprim17ROCPRIM_400000_NS6detail17trampoline_kernelINS0_14default_configENS1_29reduce_by_key_config_selectorIjjN6thrust23THRUST_200600_302600_NS4plusIjEEEEZZNS1_33reduce_by_key_impl_wrapped_configILNS1_25lookback_scan_determinismE0ES3_S9_NS6_6detail15normal_iteratorINS6_10device_ptrIjEEEESG_SG_SG_PmS8_22is_equal_div_10_reduceIjEEE10hipError_tPvRmT2_T3_mT4_T5_T6_T7_T8_P12ihipStream_tbENKUlT_T0_E_clISt17integral_constantIbLb0EES11_EEDaSW_SX_EUlSW_E_NS1_11comp_targetILNS1_3genE5ELNS1_11target_archE942ELNS1_3gpuE9ELNS1_3repE0EEENS1_30default_config_static_selectorELNS0_4arch9wavefront6targetE1EEEvT1_,@function
_ZN7rocprim17ROCPRIM_400000_NS6detail17trampoline_kernelINS0_14default_configENS1_29reduce_by_key_config_selectorIjjN6thrust23THRUST_200600_302600_NS4plusIjEEEEZZNS1_33reduce_by_key_impl_wrapped_configILNS1_25lookback_scan_determinismE0ES3_S9_NS6_6detail15normal_iteratorINS6_10device_ptrIjEEEESG_SG_SG_PmS8_22is_equal_div_10_reduceIjEEE10hipError_tPvRmT2_T3_mT4_T5_T6_T7_T8_P12ihipStream_tbENKUlT_T0_E_clISt17integral_constantIbLb0EES11_EEDaSW_SX_EUlSW_E_NS1_11comp_targetILNS1_3genE5ELNS1_11target_archE942ELNS1_3gpuE9ELNS1_3repE0EEENS1_30default_config_static_selectorELNS0_4arch9wavefront6targetE1EEEvT1_: ; @_ZN7rocprim17ROCPRIM_400000_NS6detail17trampoline_kernelINS0_14default_configENS1_29reduce_by_key_config_selectorIjjN6thrust23THRUST_200600_302600_NS4plusIjEEEEZZNS1_33reduce_by_key_impl_wrapped_configILNS1_25lookback_scan_determinismE0ES3_S9_NS6_6detail15normal_iteratorINS6_10device_ptrIjEEEESG_SG_SG_PmS8_22is_equal_div_10_reduceIjEEE10hipError_tPvRmT2_T3_mT4_T5_T6_T7_T8_P12ihipStream_tbENKUlT_T0_E_clISt17integral_constantIbLb0EES11_EEDaSW_SX_EUlSW_E_NS1_11comp_targetILNS1_3genE5ELNS1_11target_archE942ELNS1_3gpuE9ELNS1_3repE0EEENS1_30default_config_static_selectorELNS0_4arch9wavefront6targetE1EEEvT1_
; %bb.0:
	.section	.rodata,"a",@progbits
	.p2align	6, 0x0
	.amdhsa_kernel _ZN7rocprim17ROCPRIM_400000_NS6detail17trampoline_kernelINS0_14default_configENS1_29reduce_by_key_config_selectorIjjN6thrust23THRUST_200600_302600_NS4plusIjEEEEZZNS1_33reduce_by_key_impl_wrapped_configILNS1_25lookback_scan_determinismE0ES3_S9_NS6_6detail15normal_iteratorINS6_10device_ptrIjEEEESG_SG_SG_PmS8_22is_equal_div_10_reduceIjEEE10hipError_tPvRmT2_T3_mT4_T5_T6_T7_T8_P12ihipStream_tbENKUlT_T0_E_clISt17integral_constantIbLb0EES11_EEDaSW_SX_EUlSW_E_NS1_11comp_targetILNS1_3genE5ELNS1_11target_archE942ELNS1_3gpuE9ELNS1_3repE0EEENS1_30default_config_static_selectorELNS0_4arch9wavefront6targetE1EEEvT1_
		.amdhsa_group_segment_fixed_size 0
		.amdhsa_private_segment_fixed_size 0
		.amdhsa_kernarg_size 120
		.amdhsa_user_sgpr_count 6
		.amdhsa_user_sgpr_private_segment_buffer 1
		.amdhsa_user_sgpr_dispatch_ptr 0
		.amdhsa_user_sgpr_queue_ptr 0
		.amdhsa_user_sgpr_kernarg_segment_ptr 1
		.amdhsa_user_sgpr_dispatch_id 0
		.amdhsa_user_sgpr_flat_scratch_init 0
		.amdhsa_user_sgpr_kernarg_preload_length 0
		.amdhsa_user_sgpr_kernarg_preload_offset 0
		.amdhsa_user_sgpr_private_segment_size 0
		.amdhsa_uses_dynamic_stack 0
		.amdhsa_system_sgpr_private_segment_wavefront_offset 0
		.amdhsa_system_sgpr_workgroup_id_x 1
		.amdhsa_system_sgpr_workgroup_id_y 0
		.amdhsa_system_sgpr_workgroup_id_z 0
		.amdhsa_system_sgpr_workgroup_info 0
		.amdhsa_system_vgpr_workitem_id 0
		.amdhsa_next_free_vgpr 1
		.amdhsa_next_free_sgpr 0
		.amdhsa_accum_offset 4
		.amdhsa_reserve_vcc 0
		.amdhsa_reserve_flat_scratch 0
		.amdhsa_float_round_mode_32 0
		.amdhsa_float_round_mode_16_64 0
		.amdhsa_float_denorm_mode_32 3
		.amdhsa_float_denorm_mode_16_64 3
		.amdhsa_dx10_clamp 1
		.amdhsa_ieee_mode 1
		.amdhsa_fp16_overflow 0
		.amdhsa_tg_split 0
		.amdhsa_exception_fp_ieee_invalid_op 0
		.amdhsa_exception_fp_denorm_src 0
		.amdhsa_exception_fp_ieee_div_zero 0
		.amdhsa_exception_fp_ieee_overflow 0
		.amdhsa_exception_fp_ieee_underflow 0
		.amdhsa_exception_fp_ieee_inexact 0
		.amdhsa_exception_int_div_zero 0
	.end_amdhsa_kernel
	.section	.text._ZN7rocprim17ROCPRIM_400000_NS6detail17trampoline_kernelINS0_14default_configENS1_29reduce_by_key_config_selectorIjjN6thrust23THRUST_200600_302600_NS4plusIjEEEEZZNS1_33reduce_by_key_impl_wrapped_configILNS1_25lookback_scan_determinismE0ES3_S9_NS6_6detail15normal_iteratorINS6_10device_ptrIjEEEESG_SG_SG_PmS8_22is_equal_div_10_reduceIjEEE10hipError_tPvRmT2_T3_mT4_T5_T6_T7_T8_P12ihipStream_tbENKUlT_T0_E_clISt17integral_constantIbLb0EES11_EEDaSW_SX_EUlSW_E_NS1_11comp_targetILNS1_3genE5ELNS1_11target_archE942ELNS1_3gpuE9ELNS1_3repE0EEENS1_30default_config_static_selectorELNS0_4arch9wavefront6targetE1EEEvT1_,"axG",@progbits,_ZN7rocprim17ROCPRIM_400000_NS6detail17trampoline_kernelINS0_14default_configENS1_29reduce_by_key_config_selectorIjjN6thrust23THRUST_200600_302600_NS4plusIjEEEEZZNS1_33reduce_by_key_impl_wrapped_configILNS1_25lookback_scan_determinismE0ES3_S9_NS6_6detail15normal_iteratorINS6_10device_ptrIjEEEESG_SG_SG_PmS8_22is_equal_div_10_reduceIjEEE10hipError_tPvRmT2_T3_mT4_T5_T6_T7_T8_P12ihipStream_tbENKUlT_T0_E_clISt17integral_constantIbLb0EES11_EEDaSW_SX_EUlSW_E_NS1_11comp_targetILNS1_3genE5ELNS1_11target_archE942ELNS1_3gpuE9ELNS1_3repE0EEENS1_30default_config_static_selectorELNS0_4arch9wavefront6targetE1EEEvT1_,comdat
.Lfunc_end355:
	.size	_ZN7rocprim17ROCPRIM_400000_NS6detail17trampoline_kernelINS0_14default_configENS1_29reduce_by_key_config_selectorIjjN6thrust23THRUST_200600_302600_NS4plusIjEEEEZZNS1_33reduce_by_key_impl_wrapped_configILNS1_25lookback_scan_determinismE0ES3_S9_NS6_6detail15normal_iteratorINS6_10device_ptrIjEEEESG_SG_SG_PmS8_22is_equal_div_10_reduceIjEEE10hipError_tPvRmT2_T3_mT4_T5_T6_T7_T8_P12ihipStream_tbENKUlT_T0_E_clISt17integral_constantIbLb0EES11_EEDaSW_SX_EUlSW_E_NS1_11comp_targetILNS1_3genE5ELNS1_11target_archE942ELNS1_3gpuE9ELNS1_3repE0EEENS1_30default_config_static_selectorELNS0_4arch9wavefront6targetE1EEEvT1_, .Lfunc_end355-_ZN7rocprim17ROCPRIM_400000_NS6detail17trampoline_kernelINS0_14default_configENS1_29reduce_by_key_config_selectorIjjN6thrust23THRUST_200600_302600_NS4plusIjEEEEZZNS1_33reduce_by_key_impl_wrapped_configILNS1_25lookback_scan_determinismE0ES3_S9_NS6_6detail15normal_iteratorINS6_10device_ptrIjEEEESG_SG_SG_PmS8_22is_equal_div_10_reduceIjEEE10hipError_tPvRmT2_T3_mT4_T5_T6_T7_T8_P12ihipStream_tbENKUlT_T0_E_clISt17integral_constantIbLb0EES11_EEDaSW_SX_EUlSW_E_NS1_11comp_targetILNS1_3genE5ELNS1_11target_archE942ELNS1_3gpuE9ELNS1_3repE0EEENS1_30default_config_static_selectorELNS0_4arch9wavefront6targetE1EEEvT1_
                                        ; -- End function
	.section	.AMDGPU.csdata,"",@progbits
; Kernel info:
; codeLenInByte = 0
; NumSgprs: 4
; NumVgprs: 0
; NumAgprs: 0
; TotalNumVgprs: 0
; ScratchSize: 0
; MemoryBound: 0
; FloatMode: 240
; IeeeMode: 1
; LDSByteSize: 0 bytes/workgroup (compile time only)
; SGPRBlocks: 0
; VGPRBlocks: 0
; NumSGPRsForWavesPerEU: 4
; NumVGPRsForWavesPerEU: 1
; AccumOffset: 4
; Occupancy: 8
; WaveLimiterHint : 0
; COMPUTE_PGM_RSRC2:SCRATCH_EN: 0
; COMPUTE_PGM_RSRC2:USER_SGPR: 6
; COMPUTE_PGM_RSRC2:TRAP_HANDLER: 0
; COMPUTE_PGM_RSRC2:TGID_X_EN: 1
; COMPUTE_PGM_RSRC2:TGID_Y_EN: 0
; COMPUTE_PGM_RSRC2:TGID_Z_EN: 0
; COMPUTE_PGM_RSRC2:TIDIG_COMP_CNT: 0
; COMPUTE_PGM_RSRC3_GFX90A:ACCUM_OFFSET: 0
; COMPUTE_PGM_RSRC3_GFX90A:TG_SPLIT: 0
	.section	.text._ZN7rocprim17ROCPRIM_400000_NS6detail17trampoline_kernelINS0_14default_configENS1_29reduce_by_key_config_selectorIjjN6thrust23THRUST_200600_302600_NS4plusIjEEEEZZNS1_33reduce_by_key_impl_wrapped_configILNS1_25lookback_scan_determinismE0ES3_S9_NS6_6detail15normal_iteratorINS6_10device_ptrIjEEEESG_SG_SG_PmS8_22is_equal_div_10_reduceIjEEE10hipError_tPvRmT2_T3_mT4_T5_T6_T7_T8_P12ihipStream_tbENKUlT_T0_E_clISt17integral_constantIbLb0EES11_EEDaSW_SX_EUlSW_E_NS1_11comp_targetILNS1_3genE4ELNS1_11target_archE910ELNS1_3gpuE8ELNS1_3repE0EEENS1_30default_config_static_selectorELNS0_4arch9wavefront6targetE1EEEvT1_,"axG",@progbits,_ZN7rocprim17ROCPRIM_400000_NS6detail17trampoline_kernelINS0_14default_configENS1_29reduce_by_key_config_selectorIjjN6thrust23THRUST_200600_302600_NS4plusIjEEEEZZNS1_33reduce_by_key_impl_wrapped_configILNS1_25lookback_scan_determinismE0ES3_S9_NS6_6detail15normal_iteratorINS6_10device_ptrIjEEEESG_SG_SG_PmS8_22is_equal_div_10_reduceIjEEE10hipError_tPvRmT2_T3_mT4_T5_T6_T7_T8_P12ihipStream_tbENKUlT_T0_E_clISt17integral_constantIbLb0EES11_EEDaSW_SX_EUlSW_E_NS1_11comp_targetILNS1_3genE4ELNS1_11target_archE910ELNS1_3gpuE8ELNS1_3repE0EEENS1_30default_config_static_selectorELNS0_4arch9wavefront6targetE1EEEvT1_,comdat
	.protected	_ZN7rocprim17ROCPRIM_400000_NS6detail17trampoline_kernelINS0_14default_configENS1_29reduce_by_key_config_selectorIjjN6thrust23THRUST_200600_302600_NS4plusIjEEEEZZNS1_33reduce_by_key_impl_wrapped_configILNS1_25lookback_scan_determinismE0ES3_S9_NS6_6detail15normal_iteratorINS6_10device_ptrIjEEEESG_SG_SG_PmS8_22is_equal_div_10_reduceIjEEE10hipError_tPvRmT2_T3_mT4_T5_T6_T7_T8_P12ihipStream_tbENKUlT_T0_E_clISt17integral_constantIbLb0EES11_EEDaSW_SX_EUlSW_E_NS1_11comp_targetILNS1_3genE4ELNS1_11target_archE910ELNS1_3gpuE8ELNS1_3repE0EEENS1_30default_config_static_selectorELNS0_4arch9wavefront6targetE1EEEvT1_ ; -- Begin function _ZN7rocprim17ROCPRIM_400000_NS6detail17trampoline_kernelINS0_14default_configENS1_29reduce_by_key_config_selectorIjjN6thrust23THRUST_200600_302600_NS4plusIjEEEEZZNS1_33reduce_by_key_impl_wrapped_configILNS1_25lookback_scan_determinismE0ES3_S9_NS6_6detail15normal_iteratorINS6_10device_ptrIjEEEESG_SG_SG_PmS8_22is_equal_div_10_reduceIjEEE10hipError_tPvRmT2_T3_mT4_T5_T6_T7_T8_P12ihipStream_tbENKUlT_T0_E_clISt17integral_constantIbLb0EES11_EEDaSW_SX_EUlSW_E_NS1_11comp_targetILNS1_3genE4ELNS1_11target_archE910ELNS1_3gpuE8ELNS1_3repE0EEENS1_30default_config_static_selectorELNS0_4arch9wavefront6targetE1EEEvT1_
	.globl	_ZN7rocprim17ROCPRIM_400000_NS6detail17trampoline_kernelINS0_14default_configENS1_29reduce_by_key_config_selectorIjjN6thrust23THRUST_200600_302600_NS4plusIjEEEEZZNS1_33reduce_by_key_impl_wrapped_configILNS1_25lookback_scan_determinismE0ES3_S9_NS6_6detail15normal_iteratorINS6_10device_ptrIjEEEESG_SG_SG_PmS8_22is_equal_div_10_reduceIjEEE10hipError_tPvRmT2_T3_mT4_T5_T6_T7_T8_P12ihipStream_tbENKUlT_T0_E_clISt17integral_constantIbLb0EES11_EEDaSW_SX_EUlSW_E_NS1_11comp_targetILNS1_3genE4ELNS1_11target_archE910ELNS1_3gpuE8ELNS1_3repE0EEENS1_30default_config_static_selectorELNS0_4arch9wavefront6targetE1EEEvT1_
	.p2align	8
	.type	_ZN7rocprim17ROCPRIM_400000_NS6detail17trampoline_kernelINS0_14default_configENS1_29reduce_by_key_config_selectorIjjN6thrust23THRUST_200600_302600_NS4plusIjEEEEZZNS1_33reduce_by_key_impl_wrapped_configILNS1_25lookback_scan_determinismE0ES3_S9_NS6_6detail15normal_iteratorINS6_10device_ptrIjEEEESG_SG_SG_PmS8_22is_equal_div_10_reduceIjEEE10hipError_tPvRmT2_T3_mT4_T5_T6_T7_T8_P12ihipStream_tbENKUlT_T0_E_clISt17integral_constantIbLb0EES11_EEDaSW_SX_EUlSW_E_NS1_11comp_targetILNS1_3genE4ELNS1_11target_archE910ELNS1_3gpuE8ELNS1_3repE0EEENS1_30default_config_static_selectorELNS0_4arch9wavefront6targetE1EEEvT1_,@function
_ZN7rocprim17ROCPRIM_400000_NS6detail17trampoline_kernelINS0_14default_configENS1_29reduce_by_key_config_selectorIjjN6thrust23THRUST_200600_302600_NS4plusIjEEEEZZNS1_33reduce_by_key_impl_wrapped_configILNS1_25lookback_scan_determinismE0ES3_S9_NS6_6detail15normal_iteratorINS6_10device_ptrIjEEEESG_SG_SG_PmS8_22is_equal_div_10_reduceIjEEE10hipError_tPvRmT2_T3_mT4_T5_T6_T7_T8_P12ihipStream_tbENKUlT_T0_E_clISt17integral_constantIbLb0EES11_EEDaSW_SX_EUlSW_E_NS1_11comp_targetILNS1_3genE4ELNS1_11target_archE910ELNS1_3gpuE8ELNS1_3repE0EEENS1_30default_config_static_selectorELNS0_4arch9wavefront6targetE1EEEvT1_: ; @_ZN7rocprim17ROCPRIM_400000_NS6detail17trampoline_kernelINS0_14default_configENS1_29reduce_by_key_config_selectorIjjN6thrust23THRUST_200600_302600_NS4plusIjEEEEZZNS1_33reduce_by_key_impl_wrapped_configILNS1_25lookback_scan_determinismE0ES3_S9_NS6_6detail15normal_iteratorINS6_10device_ptrIjEEEESG_SG_SG_PmS8_22is_equal_div_10_reduceIjEEE10hipError_tPvRmT2_T3_mT4_T5_T6_T7_T8_P12ihipStream_tbENKUlT_T0_E_clISt17integral_constantIbLb0EES11_EEDaSW_SX_EUlSW_E_NS1_11comp_targetILNS1_3genE4ELNS1_11target_archE910ELNS1_3gpuE8ELNS1_3repE0EEENS1_30default_config_static_selectorELNS0_4arch9wavefront6targetE1EEEvT1_
; %bb.0:
	s_load_dwordx8 s[36:43], s[4:5], 0x0
	s_load_dwordx4 s[52:55], s[4:5], 0x20
	s_load_dwordx8 s[44:51], s[4:5], 0x38
	s_load_dwordx2 s[60:61], s[4:5], 0x68
	s_load_dwordx4 s[56:59], s[4:5], 0x58
	s_waitcnt lgkmcnt(0)
	s_lshl_b64 s[0:1], s[38:39], 2
	s_add_u32 s2, s36, s0
	s_addc_u32 s3, s37, s1
	s_add_u32 s4, s40, s0
	s_addc_u32 s5, s41, s1
	s_mul_i32 s0, s48, s47
	s_mul_hi_u32 s1, s48, s46
	s_add_i32 s0, s1, s0
	s_mul_i32 s1, s49, s46
	s_add_i32 s8, s0, s1
	s_mul_i32 s0, s6, 0xf00
	s_mov_b32 s1, 0
	s_lshl_b64 s[0:1], s[0:1], 2
	s_add_u32 s7, s2, s0
	s_mul_i32 s9, s48, s46
	s_addc_u32 s48, s3, s1
	s_add_u32 s49, s4, s0
	s_addc_u32 s62, s5, s1
	s_add_u32 s38, s9, s6
	s_addc_u32 s39, s8, 0
	s_add_u32 s2, s50, -1
	s_addc_u32 s3, s51, -1
	s_cmp_eq_u64 s[38:39], s[2:3]
	s_cselect_b64 s[34:35], -1, 0
	s_cmp_lg_u64 s[38:39], s[2:3]
	s_mov_b64 s[0:1], -1
	s_cselect_b64 s[40:41], -1, 0
	s_mul_i32 s33, s2, 0xfffff100
	s_and_b64 vcc, exec, s[34:35]
	v_mul_u32_u24_e32 v2, 15, v0
	s_cbranch_vccnz .LBB356_2
; %bb.1:
	v_lshlrev_b32_e32 v26, 2, v0
	v_mov_b32_e32 v1, s48
	v_add_co_u32_e32 v4, vcc, s7, v26
	v_addc_co_u32_e32 v5, vcc, 0, v1, vcc
	v_add_co_u32_e32 v6, vcc, 0x1000, v4
	v_addc_co_u32_e32 v7, vcc, 0, v5, vcc
	flat_load_dword v1, v[4:5]
	flat_load_dword v8, v[4:5] offset:1024
	flat_load_dword v9, v[4:5] offset:2048
	;; [unrolled: 1-line block ×3, first 2 shown]
	flat_load_dword v11, v[6:7]
	flat_load_dword v12, v[6:7] offset:1024
	flat_load_dword v13, v[6:7] offset:2048
	;; [unrolled: 1-line block ×3, first 2 shown]
	v_add_co_u32_e32 v6, vcc, 0x2000, v4
	v_addc_co_u32_e32 v7, vcc, 0, v5, vcc
	v_add_co_u32_e32 v4, vcc, 0x3000, v4
	v_addc_co_u32_e32 v5, vcc, 0, v5, vcc
	flat_load_dword v15, v[6:7]
	flat_load_dword v16, v[6:7] offset:1024
	flat_load_dword v17, v[6:7] offset:2048
	;; [unrolled: 1-line block ×3, first 2 shown]
	flat_load_dword v19, v[4:5]
	flat_load_dword v20, v[4:5] offset:1024
	flat_load_dword v21, v[4:5] offset:2048
	v_mov_b32_e32 v5, s62
	v_add_co_u32_e32 v4, vcc, s49, v26
	s_movk_i32 s0, 0x1000
	v_addc_co_u32_e32 v5, vcc, 0, v5, vcc
	v_add_co_u32_e32 v6, vcc, s0, v4
	s_movk_i32 s1, 0x2000
	v_addc_co_u32_e32 v7, vcc, 0, v5, vcc
	;; [unrolled: 3-line block ×3, first 2 shown]
	v_mad_u32_u24 v3, v0, 56, v26
	v_add_co_u32_e32 v24, vcc, s2, v4
	v_addc_co_u32_e32 v25, vcc, 0, v5, vcc
	s_waitcnt vmcnt(0) lgkmcnt(0)
	ds_write2st64_b32 v26, v1, v8 offset1:4
	ds_write2st64_b32 v26, v9, v10 offset0:8 offset1:12
	ds_write2st64_b32 v26, v11, v12 offset0:16 offset1:20
	ds_write2st64_b32 v26, v13, v14 offset0:24 offset1:28
	ds_write2st64_b32 v26, v15, v16 offset0:32 offset1:36
	ds_write2st64_b32 v26, v17, v18 offset0:40 offset1:44
	ds_write2st64_b32 v26, v19, v20 offset0:48 offset1:52
	ds_write_b32 v26, v21 offset:14336
	s_waitcnt lgkmcnt(0)
	s_barrier
	ds_read2_b32 v[20:21], v3 offset1:1
	ds_read2_b32 v[18:19], v3 offset0:2 offset1:3
	ds_read2_b32 v[16:17], v3 offset0:4 offset1:5
	;; [unrolled: 1-line block ×6, first 2 shown]
	ds_read_b32 v1, v3 offset:56
	s_waitcnt lgkmcnt(0)
	s_barrier
	flat_load_dword v27, v[4:5]
	flat_load_dword v28, v[4:5] offset:1024
	flat_load_dword v29, v[4:5] offset:2048
	flat_load_dword v30, v[4:5] offset:3072
	flat_load_dword v31, v[6:7]
	flat_load_dword v32, v[6:7] offset:1024
	flat_load_dword v33, v[6:7] offset:2048
	flat_load_dword v34, v[6:7] offset:3072
	;; [unrolled: 4-line block ×3, first 2 shown]
	flat_load_dword v39, v[24:25]
	flat_load_dword v40, v[24:25] offset:1024
	flat_load_dword v41, v[24:25] offset:2048
	v_mul_u32_u24_e32 v4, 15, v0
	s_waitcnt vmcnt(0) lgkmcnt(0)
	ds_write2st64_b32 v26, v27, v28 offset1:4
	ds_write2st64_b32 v26, v29, v30 offset0:8 offset1:12
	ds_write2st64_b32 v26, v31, v32 offset0:16 offset1:20
	;; [unrolled: 1-line block ×6, first 2 shown]
	ds_write_b32 v26, v41 offset:14336
	s_waitcnt lgkmcnt(0)
	s_barrier
	s_add_i32 s33, s33, s56
	s_cbranch_execz .LBB356_3
	s_branch .LBB356_50
.LBB356_2:
                                        ; implicit-def: $vgpr8_vgpr9
                                        ; implicit-def: $vgpr10_vgpr11
                                        ; implicit-def: $vgpr12_vgpr13
                                        ; implicit-def: $vgpr14_vgpr15
                                        ; implicit-def: $vgpr16_vgpr17
                                        ; implicit-def: $vgpr18_vgpr19
                                        ; implicit-def: $vgpr20_vgpr21
                                        ; implicit-def: $vgpr4
                                        ; implicit-def: $vgpr3
                                        ; implicit-def: $vgpr1
	s_andn2_b64 vcc, exec, s[0:1]
	s_add_i32 s33, s33, s56
	s_cbranch_vccnz .LBB356_50
.LBB356_3:
	v_cmp_gt_u32_e32 vcc, s33, v0
                                        ; implicit-def: $vgpr1
	s_and_saveexec_b64 s[2:3], vcc
	s_cbranch_execz .LBB356_5
; %bb.4:
	v_lshlrev_b32_e32 v1, 2, v0
	v_mov_b32_e32 v3, s48
	v_add_co_u32_e64 v4, s[0:1], s7, v1
	v_addc_co_u32_e64 v5, s[0:1], 0, v3, s[0:1]
	flat_load_dword v1, v[4:5]
.LBB356_5:
	s_or_b64 exec, exec, s[2:3]
	v_or_b32_e32 v3, 0x100, v0
	v_cmp_gt_u32_e64 s[0:1], s33, v3
                                        ; implicit-def: $vgpr3
	s_and_saveexec_b64 s[4:5], s[0:1]
	s_cbranch_execz .LBB356_7
; %bb.6:
	v_lshlrev_b32_e32 v3, 2, v0
	v_mov_b32_e32 v5, s48
	v_add_co_u32_e64 v4, s[2:3], s7, v3
	v_addc_co_u32_e64 v5, s[2:3], 0, v5, s[2:3]
	flat_load_dword v3, v[4:5] offset:1024
.LBB356_7:
	s_or_b64 exec, exec, s[4:5]
	v_or_b32_e32 v4, 0x200, v0
	v_cmp_gt_u32_e64 s[2:3], s33, v4
                                        ; implicit-def: $vgpr8
	s_and_saveexec_b64 s[8:9], s[2:3]
	s_cbranch_execz .LBB356_9
; %bb.8:
	v_lshlrev_b32_e32 v4, 2, v0
	v_mov_b32_e32 v5, s48
	v_add_co_u32_e64 v4, s[4:5], s7, v4
	v_addc_co_u32_e64 v5, s[4:5], 0, v5, s[4:5]
	flat_load_dword v8, v[4:5] offset:2048
.LBB356_9:
	s_or_b64 exec, exec, s[8:9]
	v_or_b32_e32 v4, 0x300, v0
	v_cmp_gt_u32_e64 s[4:5], s33, v4
                                        ; implicit-def: $vgpr9
	s_and_saveexec_b64 s[10:11], s[4:5]
	s_cbranch_execz .LBB356_11
; %bb.10:
	v_lshlrev_b32_e32 v4, 2, v0
	v_mov_b32_e32 v5, s48
	v_add_co_u32_e64 v4, s[8:9], s7, v4
	v_addc_co_u32_e64 v5, s[8:9], 0, v5, s[8:9]
	flat_load_dword v9, v[4:5] offset:3072
.LBB356_11:
	s_or_b64 exec, exec, s[10:11]
	v_or_b32_e32 v4, 0x400, v0
	v_cmp_gt_u32_e64 s[28:29], s33, v4
	v_lshlrev_b32_e32 v4, 2, v4
                                        ; implicit-def: $vgpr10
	s_and_saveexec_b64 s[10:11], s[28:29]
	s_cbranch_execz .LBB356_13
; %bb.12:
	v_mov_b32_e32 v5, s48
	v_add_co_u32_e64 v6, s[8:9], s7, v4
	v_addc_co_u32_e64 v7, s[8:9], 0, v5, s[8:9]
	flat_load_dword v10, v[6:7]
.LBB356_13:
	s_or_b64 exec, exec, s[10:11]
	v_or_b32_e32 v5, 0x500, v0
	v_cmp_gt_u32_e64 s[8:9], s33, v5
	v_lshlrev_b32_e32 v5, 2, v5
                                        ; implicit-def: $vgpr11
	s_and_saveexec_b64 s[12:13], s[8:9]
	s_cbranch_execz .LBB356_15
; %bb.14:
	v_mov_b32_e32 v7, s48
	v_add_co_u32_e64 v6, s[10:11], s7, v5
	v_addc_co_u32_e64 v7, s[10:11], 0, v7, s[10:11]
	flat_load_dword v11, v[6:7]
.LBB356_15:
	s_or_b64 exec, exec, s[12:13]
	v_or_b32_e32 v6, 0x600, v0
	v_cmp_gt_u32_e64 s[10:11], s33, v6
	v_lshlrev_b32_e32 v6, 2, v6
                                        ; implicit-def: $vgpr12
	s_and_saveexec_b64 s[14:15], s[10:11]
	s_cbranch_execz .LBB356_17
; %bb.16:
	v_mov_b32_e32 v7, s48
	v_add_co_u32_e64 v12, s[12:13], s7, v6
	v_addc_co_u32_e64 v13, s[12:13], 0, v7, s[12:13]
	flat_load_dword v12, v[12:13]
.LBB356_17:
	s_or_b64 exec, exec, s[14:15]
	v_or_b32_e32 v7, 0x700, v0
	v_cmp_gt_u32_e64 s[12:13], s33, v7
	v_lshlrev_b32_e32 v7, 2, v7
                                        ; implicit-def: $vgpr13
	s_and_saveexec_b64 s[16:17], s[12:13]
	s_cbranch_execz .LBB356_19
; %bb.18:
	v_mov_b32_e32 v13, s48
	v_add_co_u32_e64 v14, s[14:15], s7, v7
	v_addc_co_u32_e64 v15, s[14:15], 0, v13, s[14:15]
	flat_load_dword v13, v[14:15]
.LBB356_19:
	s_or_b64 exec, exec, s[16:17]
	v_or_b32_e32 v14, 0x800, v0
	v_cmp_gt_u32_e64 s[14:15], s33, v14
	v_lshlrev_b32_e32 v22, 2, v14
                                        ; implicit-def: $vgpr14
	s_and_saveexec_b64 s[18:19], s[14:15]
	s_cbranch_execz .LBB356_21
; %bb.20:
	v_mov_b32_e32 v15, s48
	v_add_co_u32_e64 v14, s[16:17], s7, v22
	v_addc_co_u32_e64 v15, s[16:17], 0, v15, s[16:17]
	flat_load_dword v14, v[14:15]
.LBB356_21:
	s_or_b64 exec, exec, s[18:19]
	v_or_b32_e32 v15, 0x900, v0
	v_cmp_gt_u32_e64 s[16:17], s33, v15
	v_lshlrev_b32_e32 v23, 2, v15
                                        ; implicit-def: $vgpr15
	s_and_saveexec_b64 s[20:21], s[16:17]
	s_cbranch_execz .LBB356_23
; %bb.22:
	v_mov_b32_e32 v15, s48
	v_add_co_u32_e64 v16, s[18:19], s7, v23
	v_addc_co_u32_e64 v17, s[18:19], 0, v15, s[18:19]
	flat_load_dword v15, v[16:17]
.LBB356_23:
	s_or_b64 exec, exec, s[20:21]
	v_or_b32_e32 v16, 0xa00, v0
	v_cmp_gt_u32_e64 s[18:19], s33, v16
	v_lshlrev_b32_e32 v24, 2, v16
                                        ; implicit-def: $vgpr16
	s_and_saveexec_b64 s[22:23], s[18:19]
	s_cbranch_execz .LBB356_25
; %bb.24:
	v_mov_b32_e32 v17, s48
	v_add_co_u32_e64 v16, s[20:21], s7, v24
	v_addc_co_u32_e64 v17, s[20:21], 0, v17, s[20:21]
	flat_load_dword v16, v[16:17]
.LBB356_25:
	s_or_b64 exec, exec, s[22:23]
	v_or_b32_e32 v17, 0xb00, v0
	v_cmp_gt_u32_e64 s[20:21], s33, v17
	v_lshlrev_b32_e32 v25, 2, v17
                                        ; implicit-def: $vgpr17
	s_and_saveexec_b64 s[24:25], s[20:21]
	s_cbranch_execz .LBB356_27
; %bb.26:
	v_mov_b32_e32 v17, s48
	v_add_co_u32_e64 v18, s[22:23], s7, v25
	v_addc_co_u32_e64 v19, s[22:23], 0, v17, s[22:23]
	flat_load_dword v17, v[18:19]
.LBB356_27:
	s_or_b64 exec, exec, s[24:25]
	v_or_b32_e32 v18, 0xc00, v0
	v_cmp_gt_u32_e64 s[22:23], s33, v18
	v_lshlrev_b32_e32 v26, 2, v18
                                        ; implicit-def: $vgpr18
	s_and_saveexec_b64 s[26:27], s[22:23]
	s_cbranch_execz .LBB356_29
; %bb.28:
	v_mov_b32_e32 v19, s48
	v_add_co_u32_e64 v18, s[24:25], s7, v26
	v_addc_co_u32_e64 v19, s[24:25], 0, v19, s[24:25]
	flat_load_dword v18, v[18:19]
.LBB356_29:
	s_or_b64 exec, exec, s[26:27]
	v_or_b32_e32 v19, 0xd00, v0
	v_cmp_gt_u32_e64 s[24:25], s33, v19
	v_lshlrev_b32_e32 v27, 2, v19
                                        ; implicit-def: $vgpr19
	s_and_saveexec_b64 s[30:31], s[24:25]
	s_cbranch_execz .LBB356_31
; %bb.30:
	v_mov_b32_e32 v19, s48
	v_add_co_u32_e64 v20, s[26:27], s7, v27
	v_addc_co_u32_e64 v21, s[26:27], 0, v19, s[26:27]
	flat_load_dword v19, v[20:21]
.LBB356_31:
	s_or_b64 exec, exec, s[30:31]
	v_or_b32_e32 v20, 0xe00, v0
	v_cmp_gt_u32_e64 s[26:27], s33, v20
	v_lshlrev_b32_e32 v28, 2, v20
                                        ; implicit-def: $vgpr20
	s_and_saveexec_b64 s[36:37], s[26:27]
	s_cbranch_execz .LBB356_33
; %bb.32:
	v_mov_b32_e32 v21, s48
	v_add_co_u32_e64 v20, s[30:31], s7, v28
	v_addc_co_u32_e64 v21, s[30:31], 0, v21, s[30:31]
	flat_load_dword v20, v[20:21]
.LBB356_33:
	s_or_b64 exec, exec, s[36:37]
	v_lshlrev_b32_e32 v29, 2, v0
	s_waitcnt vmcnt(0) lgkmcnt(0)
	ds_write2st64_b32 v29, v1, v3 offset1:4
	ds_write2st64_b32 v29, v8, v9 offset0:8 offset1:12
	ds_write2st64_b32 v29, v10, v11 offset0:16 offset1:20
	;; [unrolled: 1-line block ×6, first 2 shown]
	ds_write_b32 v29, v20 offset:14336
	v_mad_u32_u24 v3, v0, 56, v29
	s_waitcnt lgkmcnt(0)
	s_barrier
	ds_read2_b32 v[20:21], v3 offset1:1
	ds_read2_b32 v[18:19], v3 offset0:2 offset1:3
	ds_read2_b32 v[16:17], v3 offset0:4 offset1:5
	;; [unrolled: 1-line block ×6, first 2 shown]
	ds_read_b32 v1, v3 offset:56
	s_waitcnt lgkmcnt(0)
	s_barrier
	s_waitcnt lgkmcnt(0)
                                        ; implicit-def: $vgpr30
	s_and_saveexec_b64 s[30:31], vcc
	s_cbranch_execnz .LBB356_57
; %bb.34:
	s_or_b64 exec, exec, s[30:31]
                                        ; implicit-def: $vgpr31
	s_and_saveexec_b64 s[30:31], s[0:1]
	s_cbranch_execnz .LBB356_58
.LBB356_35:
	s_or_b64 exec, exec, s[30:31]
                                        ; implicit-def: $vgpr32
	s_and_saveexec_b64 s[0:1], s[2:3]
	s_cbranch_execnz .LBB356_59
.LBB356_36:
	s_or_b64 exec, exec, s[0:1]
                                        ; implicit-def: $vgpr33
	s_and_saveexec_b64 s[0:1], s[4:5]
	s_cbranch_execnz .LBB356_60
.LBB356_37:
	s_or_b64 exec, exec, s[0:1]
                                        ; implicit-def: $vgpr34
	s_and_saveexec_b64 s[0:1], s[28:29]
	s_cbranch_execnz .LBB356_61
.LBB356_38:
	s_or_b64 exec, exec, s[0:1]
                                        ; implicit-def: $vgpr4
	s_and_saveexec_b64 s[0:1], s[8:9]
	s_cbranch_execnz .LBB356_62
.LBB356_39:
	s_or_b64 exec, exec, s[0:1]
                                        ; implicit-def: $vgpr5
	s_and_saveexec_b64 s[0:1], s[10:11]
	s_cbranch_execnz .LBB356_63
.LBB356_40:
	s_or_b64 exec, exec, s[0:1]
                                        ; implicit-def: $vgpr6
	s_and_saveexec_b64 s[0:1], s[12:13]
	s_cbranch_execnz .LBB356_64
.LBB356_41:
	s_or_b64 exec, exec, s[0:1]
                                        ; implicit-def: $vgpr7
	s_and_saveexec_b64 s[0:1], s[14:15]
	s_cbranch_execnz .LBB356_65
.LBB356_42:
	s_or_b64 exec, exec, s[0:1]
                                        ; implicit-def: $vgpr22
	s_and_saveexec_b64 s[0:1], s[16:17]
	s_cbranch_execnz .LBB356_66
.LBB356_43:
	s_or_b64 exec, exec, s[0:1]
                                        ; implicit-def: $vgpr23
	s_and_saveexec_b64 s[0:1], s[18:19]
	s_cbranch_execnz .LBB356_67
.LBB356_44:
	s_or_b64 exec, exec, s[0:1]
                                        ; implicit-def: $vgpr24
	s_and_saveexec_b64 s[0:1], s[20:21]
	s_cbranch_execnz .LBB356_68
.LBB356_45:
	s_or_b64 exec, exec, s[0:1]
                                        ; implicit-def: $vgpr25
	s_and_saveexec_b64 s[0:1], s[22:23]
	s_cbranch_execnz .LBB356_69
.LBB356_46:
	s_or_b64 exec, exec, s[0:1]
                                        ; implicit-def: $vgpr26
	s_and_saveexec_b64 s[0:1], s[24:25]
	s_cbranch_execnz .LBB356_70
.LBB356_47:
	s_or_b64 exec, exec, s[0:1]
                                        ; implicit-def: $vgpr27
	s_and_saveexec_b64 s[0:1], s[26:27]
	s_cbranch_execz .LBB356_49
.LBB356_48:
	v_mov_b32_e32 v27, s62
	v_add_co_u32_e32 v36, vcc, s49, v28
	v_addc_co_u32_e32 v37, vcc, 0, v27, vcc
	flat_load_dword v27, v[36:37]
.LBB356_49:
	s_or_b64 exec, exec, s[0:1]
	s_waitcnt vmcnt(0) lgkmcnt(0)
	ds_write2st64_b32 v29, v30, v31 offset1:4
	ds_write2st64_b32 v29, v32, v33 offset0:8 offset1:12
	ds_write2st64_b32 v29, v34, v4 offset0:16 offset1:20
	;; [unrolled: 1-line block ×6, first 2 shown]
	ds_write_b32 v29, v27 offset:14336
	v_mov_b32_e32 v4, v2
	s_waitcnt lgkmcnt(0)
	s_barrier
.LBB356_50:
	v_lshlrev_b32_e32 v4, 2, v4
	ds_read2_b32 v[46:47], v3 offset1:2
	ds_read2_b32 v[42:43], v3 offset0:4 offset1:6
	ds_read2_b32 v[38:39], v3 offset0:8 offset1:10
	;; [unrolled: 1-line block ×6, first 2 shown]
	ds_read_b32 v82, v4 offset:52
	s_cmp_eq_u64 s[38:39], 0
	s_cselect_b64 s[36:37], -1, 0
	s_cmp_lg_u64 s[38:39], 0
	s_mov_b64 s[0:1], 0
	s_cselect_b64 s[8:9], -1, 0
	s_and_b64 vcc, exec, s[40:41]
	s_waitcnt lgkmcnt(0)
	s_barrier
	s_cbranch_vccz .LBB356_56
; %bb.51:
	s_and_b64 vcc, exec, s[8:9]
	s_cbranch_vccz .LBB356_71
; %bb.52:
	v_mov_b32_e32 v3, s48
	v_add_co_u32_e64 v4, vcc, -4, s7
	v_addc_co_u32_e32 v5, vcc, -1, v3, vcc
	flat_load_dword v3, v[4:5]
	v_lshlrev_b32_e32 v4, 2, v0
	v_cmp_ne_u32_e32 vcc, 0, v0
	ds_write_b32 v4, v1
	s_waitcnt lgkmcnt(0)
	s_barrier
	s_and_saveexec_b64 s[0:1], vcc
	s_cbranch_execz .LBB356_54
; %bb.53:
	s_waitcnt vmcnt(0)
	v_add_u32_e32 v3, -4, v4
	ds_read_b32 v3, v3
.LBB356_54:
	s_or_b64 exec, exec, s[0:1]
	s_mov_b32 s0, 0x66666667
	v_mul_hi_i32 v4, v9, s0
	v_lshrrev_b32_e32 v5, 31, v4
	v_ashrrev_i32_e32 v4, 2, v4
	v_add_u32_e32 v4, v4, v5
	v_mul_hi_i32 v5, v8, s0
	v_lshrrev_b32_e32 v6, 31, v5
	v_ashrrev_i32_e32 v5, 2, v5
	v_add_u32_e32 v5, v5, v6
	;; [unrolled: 4-line block ×15, first 2 shown]
	v_cmp_ne_u32_e32 vcc, v30, v34
	v_cndmask_b32_e64 v35, 0, 1, vcc
	v_cmp_ne_u32_e32 vcc, v30, v31
	v_cndmask_b32_e64 v32, 0, 1, vcc
	;; [unrolled: 2-line block ×12, first 2 shown]
	v_cmp_ne_u32_e32 vcc, v4, v5
	s_waitcnt vmcnt(0) lgkmcnt(0)
	v_mul_hi_i32 v3, v3, s0
	v_cndmask_b32_e64 v5, 0, 1, vcc
	v_cmp_ne_u32_e32 vcc, v4, v6
	v_lshrrev_b32_e32 v4, 31, v3
	v_ashrrev_i32_e32 v3, 2, v3
	v_add_u32_e32 v3, v3, v4
	v_cndmask_b32_e64 v80, 0, 1, vcc
	v_cmp_ne_u32_e64 s[4:5], v3, v34
	s_mov_b64 s[0:1], -1
.LBB356_55:
                                        ; implicit-def: $sgpr10
	s_branch .LBB356_75
.LBB356_56:
                                        ; implicit-def: $sgpr4_sgpr5
                                        ; implicit-def: $vgpr80
                                        ; implicit-def: $vgpr5
                                        ; implicit-def: $vgpr81
                                        ; implicit-def: $vgpr23
                                        ; implicit-def: $vgpr22
                                        ; implicit-def: $vgpr25
                                        ; implicit-def: $vgpr24
                                        ; implicit-def: $vgpr27
                                        ; implicit-def: $vgpr26
                                        ; implicit-def: $vgpr31
                                        ; implicit-def: $vgpr30
                                        ; implicit-def: $vgpr33
                                        ; implicit-def: $vgpr32
                                        ; implicit-def: $vgpr35
                                        ; implicit-def: $vgpr29
                                        ; implicit-def: $sgpr10
	s_cbranch_execnz .LBB356_76
	s_branch .LBB356_111
.LBB356_57:
	v_mov_b32_e32 v31, s62
	v_add_co_u32_e32 v30, vcc, s49, v29
	v_addc_co_u32_e32 v31, vcc, 0, v31, vcc
	flat_load_dword v30, v[30:31]
	s_or_b64 exec, exec, s[30:31]
                                        ; implicit-def: $vgpr31
	s_and_saveexec_b64 s[30:31], s[0:1]
	s_cbranch_execz .LBB356_35
.LBB356_58:
	v_mov_b32_e32 v31, s62
	v_add_co_u32_e32 v32, vcc, s49, v29
	v_addc_co_u32_e32 v33, vcc, 0, v31, vcc
	flat_load_dword v31, v[32:33] offset:1024
	s_or_b64 exec, exec, s[30:31]
                                        ; implicit-def: $vgpr32
	s_and_saveexec_b64 s[0:1], s[2:3]
	s_cbranch_execz .LBB356_36
.LBB356_59:
	v_mov_b32_e32 v33, s62
	v_add_co_u32_e32 v32, vcc, s49, v29
	v_addc_co_u32_e32 v33, vcc, 0, v33, vcc
	flat_load_dword v32, v[32:33] offset:2048
	s_or_b64 exec, exec, s[0:1]
                                        ; implicit-def: $vgpr33
	s_and_saveexec_b64 s[0:1], s[4:5]
	s_cbranch_execz .LBB356_37
.LBB356_60:
	v_mov_b32_e32 v33, s62
	v_add_co_u32_e32 v34, vcc, s49, v29
	v_addc_co_u32_e32 v35, vcc, 0, v33, vcc
	flat_load_dword v33, v[34:35] offset:3072
	s_or_b64 exec, exec, s[0:1]
                                        ; implicit-def: $vgpr34
	s_and_saveexec_b64 s[0:1], s[28:29]
	s_cbranch_execz .LBB356_38
.LBB356_61:
	v_mov_b32_e32 v35, s62
	v_add_co_u32_e32 v34, vcc, s49, v4
	v_addc_co_u32_e32 v35, vcc, 0, v35, vcc
	flat_load_dword v34, v[34:35]
	s_or_b64 exec, exec, s[0:1]
                                        ; implicit-def: $vgpr4
	s_and_saveexec_b64 s[0:1], s[8:9]
	s_cbranch_execz .LBB356_39
.LBB356_62:
	v_mov_b32_e32 v35, s62
	v_add_co_u32_e32 v4, vcc, s49, v5
	v_addc_co_u32_e32 v5, vcc, 0, v35, vcc
	flat_load_dword v4, v[4:5]
	s_or_b64 exec, exec, s[0:1]
                                        ; implicit-def: $vgpr5
	s_and_saveexec_b64 s[0:1], s[10:11]
	s_cbranch_execz .LBB356_40
.LBB356_63:
	v_mov_b32_e32 v5, s62
	v_add_co_u32_e32 v36, vcc, s49, v6
	v_addc_co_u32_e32 v37, vcc, 0, v5, vcc
	flat_load_dword v5, v[36:37]
	s_or_b64 exec, exec, s[0:1]
                                        ; implicit-def: $vgpr6
	s_and_saveexec_b64 s[0:1], s[12:13]
	s_cbranch_execz .LBB356_41
.LBB356_64:
	v_mov_b32_e32 v35, s62
	v_add_co_u32_e32 v6, vcc, s49, v7
	v_addc_co_u32_e32 v7, vcc, 0, v35, vcc
	flat_load_dword v6, v[6:7]
	s_or_b64 exec, exec, s[0:1]
                                        ; implicit-def: $vgpr7
	s_and_saveexec_b64 s[0:1], s[14:15]
	s_cbranch_execz .LBB356_42
.LBB356_65:
	v_mov_b32_e32 v7, s62
	v_add_co_u32_e32 v36, vcc, s49, v22
	v_addc_co_u32_e32 v37, vcc, 0, v7, vcc
	flat_load_dword v7, v[36:37]
	s_or_b64 exec, exec, s[0:1]
                                        ; implicit-def: $vgpr22
	s_and_saveexec_b64 s[0:1], s[16:17]
	s_cbranch_execz .LBB356_43
.LBB356_66:
	v_mov_b32_e32 v35, s62
	v_add_co_u32_e32 v22, vcc, s49, v23
	v_addc_co_u32_e32 v23, vcc, 0, v35, vcc
	flat_load_dword v22, v[22:23]
	s_or_b64 exec, exec, s[0:1]
                                        ; implicit-def: $vgpr23
	s_and_saveexec_b64 s[0:1], s[18:19]
	s_cbranch_execz .LBB356_44
.LBB356_67:
	v_mov_b32_e32 v23, s62
	v_add_co_u32_e32 v36, vcc, s49, v24
	v_addc_co_u32_e32 v37, vcc, 0, v23, vcc
	flat_load_dword v23, v[36:37]
	s_or_b64 exec, exec, s[0:1]
                                        ; implicit-def: $vgpr24
	s_and_saveexec_b64 s[0:1], s[20:21]
	s_cbranch_execz .LBB356_45
.LBB356_68:
	v_mov_b32_e32 v35, s62
	v_add_co_u32_e32 v24, vcc, s49, v25
	v_addc_co_u32_e32 v25, vcc, 0, v35, vcc
	flat_load_dword v24, v[24:25]
	s_or_b64 exec, exec, s[0:1]
                                        ; implicit-def: $vgpr25
	s_and_saveexec_b64 s[0:1], s[22:23]
	s_cbranch_execz .LBB356_46
.LBB356_69:
	v_mov_b32_e32 v25, s62
	v_add_co_u32_e32 v36, vcc, s49, v26
	v_addc_co_u32_e32 v37, vcc, 0, v25, vcc
	flat_load_dword v25, v[36:37]
	s_or_b64 exec, exec, s[0:1]
                                        ; implicit-def: $vgpr26
	s_and_saveexec_b64 s[0:1], s[24:25]
	s_cbranch_execz .LBB356_47
.LBB356_70:
	v_mov_b32_e32 v35, s62
	v_add_co_u32_e32 v26, vcc, s49, v27
	v_addc_co_u32_e32 v27, vcc, 0, v35, vcc
	flat_load_dword v26, v[26:27]
	s_or_b64 exec, exec, s[0:1]
                                        ; implicit-def: $vgpr27
	s_and_saveexec_b64 s[0:1], s[26:27]
	s_cbranch_execnz .LBB356_48
	s_branch .LBB356_49
.LBB356_71:
                                        ; implicit-def: $sgpr4_sgpr5
                                        ; implicit-def: $vgpr80
                                        ; implicit-def: $vgpr5
                                        ; implicit-def: $vgpr81
                                        ; implicit-def: $vgpr23
                                        ; implicit-def: $vgpr22
                                        ; implicit-def: $vgpr25
                                        ; implicit-def: $vgpr24
                                        ; implicit-def: $vgpr27
                                        ; implicit-def: $vgpr26
                                        ; implicit-def: $vgpr31
                                        ; implicit-def: $vgpr30
                                        ; implicit-def: $vgpr33
                                        ; implicit-def: $vgpr32
                                        ; implicit-def: $vgpr35
	s_cbranch_execz .LBB356_55
; %bb.72:
	s_mov_b32 s10, 0x66666667
	v_mul_hi_i32 v4, v9, s10
	v_lshrrev_b32_e32 v5, 31, v4
	v_ashrrev_i32_e32 v4, 2, v4
	v_add_u32_e32 v6, v4, v5
	v_mul_hi_i32 v4, v8, s10
	v_lshrrev_b32_e32 v5, 31, v4
	v_ashrrev_i32_e32 v4, 2, v4
	v_add_u32_e32 v5, v4, v5
	;; [unrolled: 4-line block ×15, first 2 shown]
	v_cmp_ne_u32_e32 vcc, v31, v4
	v_cndmask_b32_e64 v35, 0, 1, vcc
	v_cmp_ne_u32_e32 vcc, v31, v33
	v_cndmask_b32_e64 v32, 0, 1, vcc
	;; [unrolled: 2-line block ×13, first 2 shown]
	v_cmp_ne_u32_e32 vcc, v6, v7
	v_lshlrev_b32_e32 v3, 2, v0
	v_cndmask_b32_e64 v80, 0, 1, vcc
	v_cmp_ne_u32_e32 vcc, 0, v0
	ds_write_b32 v3, v1
	s_waitcnt lgkmcnt(0)
	s_barrier
	s_waitcnt lgkmcnt(0)
                                        ; implicit-def: $sgpr4_sgpr5
	s_and_saveexec_b64 s[2:3], vcc
	s_xor_b64 s[2:3], exec, s[2:3]
	s_cbranch_execz .LBB356_74
; %bb.73:
	v_add_u32_e32 v3, -4, v3
	ds_read_b32 v3, v3
	s_or_b64 s[0:1], s[0:1], exec
	s_waitcnt lgkmcnt(0)
	v_mul_hi_i32 v3, v3, s10
	v_lshrrev_b32_e32 v6, 31, v3
	v_ashrrev_i32_e32 v3, 2, v3
	v_add_u32_e32 v3, v3, v6
	v_cmp_ne_u32_e32 vcc, v3, v4
	s_and_b64 s[4:5], vcc, exec
.LBB356_74:
	s_or_b64 exec, exec, s[2:3]
	s_mov_b32 s10, 1
.LBB356_75:
	v_mov_b32_e32 v29, v5
	s_branch .LBB356_111
.LBB356_76:
	s_mul_hi_u32 s3, s38, 0xfffff100
	s_mul_i32 s2, s39, 0xfffff100
	s_sub_i32 s3, s3, s38
	s_add_i32 s3, s3, s2
	s_mul_i32 s2, s38, 0xfffff100
	s_add_u32 s2, s2, s56
	s_addc_u32 s3, s3, s57
	s_and_b64 vcc, exec, s[8:9]
	v_mad_u32_u24 v28, v0, 15, 14
	s_cbranch_vccz .LBB356_216
; %bb.77:
	v_mov_b32_e32 v3, s48
	v_add_co_u32_e64 v4, vcc, -4, s7
	v_addc_co_u32_e32 v5, vcc, -1, v3, vcc
	flat_load_dword v6, v[4:5]
	v_mov_b32_e32 v5, 0
	v_mov_b32_e32 v29, v5
	v_lshlrev_b32_e32 v3, 2, v0
	v_cmp_gt_u64_e32 vcc, s[2:3], v[28:29]
	v_mov_b32_e32 v80, 0
	ds_write_b32 v3, v1
	s_and_saveexec_b64 s[0:1], vcc
; %bb.78:
	s_mov_b32 s4, 0x66666667
	v_mul_hi_i32 v4, v9, s4
	v_lshrrev_b32_e32 v7, 31, v4
	v_ashrrev_i32_e32 v4, 2, v4
	v_add_u32_e32 v4, v4, v7
	v_mul_hi_i32 v7, v1, s4
	v_lshrrev_b32_e32 v22, 31, v7
	v_ashrrev_i32_e32 v7, 2, v7
	v_add_u32_e32 v7, v7, v22
	v_cmp_ne_u32_e32 vcc, v4, v7
	v_cndmask_b32_e64 v80, 0, 1, vcc
; %bb.79:
	s_or_b64 exec, exec, s[0:1]
	v_add_u32_e32 v4, 13, v2
	v_cmp_gt_u64_e32 vcc, s[2:3], v[4:5]
	s_and_saveexec_b64 s[0:1], vcc
; %bb.80:
	s_mov_b32 s4, 0x66666667
	v_mul_hi_i32 v4, v8, s4
	v_lshrrev_b32_e32 v5, 31, v4
	v_ashrrev_i32_e32 v4, 2, v4
	v_add_u32_e32 v4, v4, v5
	v_mul_hi_i32 v5, v9, s4
	v_lshrrev_b32_e32 v7, 31, v5
	v_ashrrev_i32_e32 v5, 2, v5
	v_add_u32_e32 v5, v5, v7
	v_cmp_ne_u32_e32 vcc, v4, v5
	v_cndmask_b32_e64 v5, 0, 1, vcc
; %bb.81:
	s_or_b64 exec, exec, s[0:1]
	v_add_u32_e32 v22, 12, v2
	v_mov_b32_e32 v23, 0
	v_cmp_gt_u64_e32 vcc, s[2:3], v[22:23]
	v_mov_b32_e32 v81, 0
	s_and_saveexec_b64 s[0:1], vcc
; %bb.82:
	s_mov_b32 s4, 0x66666667
	v_mul_hi_i32 v4, v11, s4
	v_lshrrev_b32_e32 v7, 31, v4
	v_ashrrev_i32_e32 v4, 2, v4
	v_add_u32_e32 v4, v4, v7
	v_mul_hi_i32 v7, v8, s4
	v_lshrrev_b32_e32 v22, 31, v7
	v_ashrrev_i32_e32 v7, 2, v7
	v_add_u32_e32 v7, v7, v22
	v_cmp_ne_u32_e32 vcc, v4, v7
	v_cndmask_b32_e64 v81, 0, 1, vcc
; %bb.83:
	s_or_b64 exec, exec, s[0:1]
	v_add_u32_e32 v22, 11, v2
	v_cmp_gt_u64_e32 vcc, s[2:3], v[22:23]
	s_and_saveexec_b64 s[0:1], vcc
; %bb.84:
	s_mov_b32 s4, 0x66666667
	v_mul_hi_i32 v4, v10, s4
	v_lshrrev_b32_e32 v7, 31, v4
	v_ashrrev_i32_e32 v4, 2, v4
	v_add_u32_e32 v4, v4, v7
	v_mul_hi_i32 v7, v11, s4
	v_lshrrev_b32_e32 v22, 31, v7
	v_ashrrev_i32_e32 v7, 2, v7
	v_add_u32_e32 v7, v7, v22
	v_cmp_ne_u32_e32 vcc, v4, v7
	v_cndmask_b32_e64 v23, 0, 1, vcc
; %bb.85:
	s_or_b64 exec, exec, s[0:1]
	v_add_u32_e32 v24, 10, v2
	v_mov_b32_e32 v25, 0
	v_cmp_gt_u64_e32 vcc, s[2:3], v[24:25]
	v_mov_b32_e32 v22, 0
	;; [unrolled: 36-line block ×6, first 2 shown]
	s_and_saveexec_b64 s[0:1], vcc
; %bb.102:
	s_mov_b32 s4, 0x66666667
	v_mul_hi_i32 v4, v21, s4
	v_lshrrev_b32_e32 v7, 31, v4
	v_ashrrev_i32_e32 v4, 2, v4
	v_add_u32_e32 v4, v4, v7
	v_mul_hi_i32 v7, v18, s4
	v_lshrrev_b32_e32 v29, 31, v7
	v_ashrrev_i32_e32 v7, 2, v7
	v_add_u32_e32 v7, v7, v29
	v_cmp_ne_u32_e32 vcc, v4, v7
	v_cndmask_b32_e64 v32, 0, 1, vcc
; %bb.103:
	s_or_b64 exec, exec, s[0:1]
	v_add_u32_e32 v34, 1, v2
	v_cmp_gt_u64_e32 vcc, s[2:3], v[34:35]
	s_and_saveexec_b64 s[0:1], vcc
; %bb.104:
	s_mov_b32 s4, 0x66666667
	v_mul_hi_i32 v4, v20, s4
	v_lshrrev_b32_e32 v7, 31, v4
	v_ashrrev_i32_e32 v4, 2, v4
	v_add_u32_e32 v4, v4, v7
	v_mul_hi_i32 v7, v21, s4
	v_lshrrev_b32_e32 v29, 31, v7
	v_ashrrev_i32_e32 v7, 2, v7
	v_add_u32_e32 v7, v7, v29
	v_cmp_ne_u32_e32 vcc, v4, v7
	v_cndmask_b32_e64 v35, 0, 1, vcc
; %bb.105:
	s_or_b64 exec, exec, s[0:1]
	v_cmp_ne_u32_e32 vcc, 0, v0
	s_waitcnt lgkmcnt(0)
	s_barrier
	s_and_saveexec_b64 s[0:1], vcc
	s_cbranch_execz .LBB356_107
; %bb.106:
	v_add_u32_e32 v3, -4, v3
	s_waitcnt vmcnt(0)
	ds_read_b32 v6, v3
.LBB356_107:
	s_or_b64 exec, exec, s[0:1]
	v_mov_b32_e32 v3, 0
	v_cmp_gt_u64_e32 vcc, s[2:3], v[2:3]
	s_mov_b64 s[8:9], 0
	s_mov_b64 s[4:5], 0
	s_and_saveexec_b64 s[0:1], vcc
	s_cbranch_execz .LBB356_109
; %bb.108:
	s_mov_b32 s4, 0x66666667
	s_waitcnt vmcnt(0) lgkmcnt(0)
	v_mul_hi_i32 v3, v6, s4
	v_lshrrev_b32_e32 v4, 31, v3
	v_ashrrev_i32_e32 v3, 2, v3
	v_add_u32_e32 v3, v3, v4
	v_mul_hi_i32 v4, v20, s4
	v_lshrrev_b32_e32 v6, 31, v4
	v_ashrrev_i32_e32 v4, 2, v4
	v_add_u32_e32 v4, v4, v6
	v_cmp_ne_u32_e32 vcc, v3, v4
	s_and_b64 s[4:5], vcc, exec
.LBB356_109:
	s_or_b64 exec, exec, s[0:1]
	s_mov_b64 s[0:1], -1
	s_and_b64 vcc, exec, s[8:9]
	s_cbranch_vccnz .LBB356_217
.LBB356_110:
                                        ; implicit-def: $vgpr29
                                        ; implicit-def: $sgpr10
.LBB356_111:
	v_mov_b32_e32 v34, s10
	s_and_saveexec_b64 s[2:3], s[0:1]
.LBB356_112:
	v_cndmask_b32_e64 v34, 0, 1, s[4:5]
	v_mov_b32_e32 v29, v5
.LBB356_113:
	s_or_b64 exec, exec, s[2:3]
	s_cmp_eq_u64 s[46:47], 0
	v_add3_u32 v2, v35, v34, v32
	s_cselect_b64 s[38:39], -1, 0
	s_cmp_lg_u32 s6, 0
	v_cmp_eq_u32_e64 s[24:25], 0, v35
	v_cmp_eq_u32_e64 s[22:23], 0, v32
	;; [unrolled: 1-line block ×3, first 2 shown]
	v_add3_u32 v86, v2, v33, v30
	v_cmp_eq_u32_e64 s[18:19], 0, v30
	v_cmp_eq_u32_e64 s[16:17], 0, v31
	;; [unrolled: 1-line block ×10, first 2 shown]
	v_cmp_eq_u32_e32 vcc, 0, v80
	v_mbcnt_lo_u32_b32 v85, -1, 0
	v_lshrrev_b32_e32 v83, 6, v0
	v_or_b32_e32 v84, 63, v0
	s_cbranch_scc0 .LBB356_140
; %bb.114:
	v_cndmask_b32_e64 v2, 0, v46, s[24:25]
	v_add_u32_e32 v2, v2, v48
	v_cndmask_b32_e64 v2, 0, v2, s[22:23]
	v_add_u32_e32 v2, v2, v47
	;; [unrolled: 2-line block ×11, first 2 shown]
	v_cndmask_b32_e64 v2, 0, v2, s[2:3]
	v_add3_u32 v3, v86, v31, v26
	v_add_u32_e32 v2, v2, v36
	v_add3_u32 v3, v3, v27, v24
	v_cndmask_b32_e64 v2, 0, v2, s[0:1]
	v_add3_u32 v3, v3, v25, v22
	v_add_u32_e32 v2, v2, v82
	v_add3_u32 v3, v3, v23, v81
	v_cndmask_b32_e32 v2, 0, v2, vcc
	v_add3_u32 v3, v3, v29, v80
	v_add_u32_e32 v2, v2, v37
	v_mbcnt_hi_u32_b32 v53, -1, v85
	v_and_b32_e32 v4, 15, v53
	s_waitcnt vmcnt(0) lgkmcnt(0)
	v_mov_b32_dpp v6, v2 row_shr:1 row_mask:0xf bank_mask:0xf
	v_cmp_eq_u32_e32 vcc, 0, v3
	v_mov_b32_dpp v5, v3 row_shr:1 row_mask:0xf bank_mask:0xf
	v_cndmask_b32_e32 v6, 0, v6, vcc
	v_cmp_eq_u32_e32 vcc, 0, v4
	v_cndmask_b32_e64 v5, v5, 0, vcc
	v_add_u32_e32 v3, v5, v3
	v_cndmask_b32_e64 v5, v6, 0, vcc
	v_add_u32_e32 v2, v5, v2
	v_cmp_eq_u32_e32 vcc, 0, v3
	v_mov_b32_dpp v5, v3 row_shr:2 row_mask:0xf bank_mask:0xf
	v_cmp_lt_u32_e64 s[26:27], 1, v4
	v_mov_b32_dpp v6, v2 row_shr:2 row_mask:0xf bank_mask:0xf
	v_cndmask_b32_e64 v5, 0, v5, s[26:27]
	s_and_b64 vcc, s[26:27], vcc
	v_cndmask_b32_e32 v6, 0, v6, vcc
	v_add_u32_e32 v3, v3, v5
	v_add_u32_e32 v2, v6, v2
	v_cmp_eq_u32_e32 vcc, 0, v3
	v_mov_b32_dpp v5, v3 row_shr:4 row_mask:0xf bank_mask:0xf
	v_cmp_lt_u32_e64 s[26:27], 3, v4
	v_mov_b32_dpp v6, v2 row_shr:4 row_mask:0xf bank_mask:0xf
	v_cndmask_b32_e64 v5, 0, v5, s[26:27]
	s_and_b64 vcc, s[26:27], vcc
	v_cndmask_b32_e32 v6, 0, v6, vcc
	v_add_u32_e32 v3, v5, v3
	v_add_u32_e32 v2, v2, v6
	v_cmp_eq_u32_e32 vcc, 0, v3
	v_cmp_lt_u32_e64 s[26:27], 7, v4
	v_mov_b32_dpp v5, v3 row_shr:8 row_mask:0xf bank_mask:0xf
	v_mov_b32_dpp v6, v2 row_shr:8 row_mask:0xf bank_mask:0xf
	s_and_b64 vcc, s[26:27], vcc
	v_cndmask_b32_e64 v4, 0, v5, s[26:27]
	v_cndmask_b32_e32 v5, 0, v6, vcc
	v_add_u32_e32 v2, v5, v2
	v_add_u32_e32 v3, v4, v3
	v_bfe_i32 v6, v53, 4, 1
	v_mov_b32_dpp v5, v2 row_bcast:15 row_mask:0xf bank_mask:0xf
	v_mov_b32_dpp v4, v3 row_bcast:15 row_mask:0xf bank_mask:0xf
	v_cmp_eq_u32_e32 vcc, 0, v3
	v_cndmask_b32_e32 v5, 0, v5, vcc
	v_and_b32_e32 v4, v6, v4
	v_add_u32_e32 v3, v4, v3
	v_and_b32_e32 v4, v6, v5
	v_add_u32_e32 v4, v4, v2
	v_mov_b32_dpp v2, v3 row_bcast:31 row_mask:0xf bank_mask:0xf
	v_cmp_eq_u32_e32 vcc, 0, v3
	v_cmp_lt_u32_e64 s[26:27], 31, v53
	v_mov_b32_dpp v5, v4 row_bcast:31 row_mask:0xf bank_mask:0xf
	v_cndmask_b32_e64 v2, 0, v2, s[26:27]
	s_and_b64 vcc, s[26:27], vcc
	v_add_u32_e32 v2, v2, v3
	v_cndmask_b32_e32 v3, 0, v5, vcc
	v_add_u32_e32 v3, v3, v4
	v_cmp_eq_u32_e32 vcc, v84, v0
	v_lshlrev_b32_e32 v4, 3, v83
	s_and_saveexec_b64 s[26:27], vcc
	s_cbranch_execz .LBB356_116
; %bb.115:
	ds_write_b64 v4, v[2:3] offset:2064
.LBB356_116:
	s_or_b64 exec, exec, s[26:27]
	v_cmp_gt_u32_e32 vcc, 4, v0
	s_waitcnt lgkmcnt(0)
	s_barrier
	s_and_saveexec_b64 s[30:31], vcc
	s_cbranch_execz .LBB356_118
; %bb.117:
	v_lshlrev_b32_e32 v5, 3, v0
	ds_read_b64 v[6:7], v5 offset:2064
	v_and_b32_e32 v28, 3, v53
	v_cmp_lt_u32_e64 s[26:27], 1, v28
	s_waitcnt lgkmcnt(0)
	v_mov_b32_dpp v51, v7 row_shr:1 row_mask:0xf bank_mask:0xf
	v_cmp_eq_u32_e32 vcc, 0, v6
	v_mov_b32_dpp v50, v6 row_shr:1 row_mask:0xf bank_mask:0xf
	v_cndmask_b32_e32 v51, 0, v51, vcc
	v_cmp_eq_u32_e32 vcc, 0, v28
	v_cndmask_b32_e64 v50, v50, 0, vcc
	v_add_u32_e32 v6, v50, v6
	v_cndmask_b32_e64 v50, v51, 0, vcc
	v_add_u32_e32 v7, v50, v7
	v_cmp_eq_u32_e32 vcc, 0, v6
	v_mov_b32_dpp v50, v6 row_shr:2 row_mask:0xf bank_mask:0xf
	v_mov_b32_dpp v51, v7 row_shr:2 row_mask:0xf bank_mask:0xf
	v_cndmask_b32_e64 v28, 0, v50, s[26:27]
	s_and_b64 vcc, s[26:27], vcc
	v_add_u32_e32 v6, v28, v6
	v_cndmask_b32_e32 v28, 0, v51, vcc
	v_add_u32_e32 v7, v28, v7
	ds_write_b64 v5, v[6:7] offset:2064
.LBB356_118:
	s_or_b64 exec, exec, s[30:31]
	v_cmp_gt_u32_e32 vcc, 64, v0
	v_cmp_lt_u32_e64 s[26:27], 63, v0
	v_mov_b32_e32 v50, 0
	v_mov_b32_e32 v51, 0
	s_waitcnt lgkmcnt(0)
	s_barrier
	s_and_saveexec_b64 s[30:31], s[26:27]
	s_cbranch_execz .LBB356_120
; %bb.119:
	ds_read_b64 v[50:51], v4 offset:2056
	v_cmp_eq_u32_e64 s[26:27], 0, v2
	s_waitcnt lgkmcnt(0)
	v_add_u32_e32 v4, v50, v2
	v_cndmask_b32_e64 v2, 0, v51, s[26:27]
	v_add_u32_e32 v3, v2, v3
	v_mov_b32_e32 v2, v4
.LBB356_120:
	s_or_b64 exec, exec, s[30:31]
	v_add_u32_e32 v4, -1, v53
	v_and_b32_e32 v5, 64, v53
	v_cmp_lt_i32_e64 s[26:27], v4, v5
	v_cndmask_b32_e64 v4, v4, v53, s[26:27]
	v_lshlrev_b32_e32 v4, 2, v4
	ds_bpermute_b32 v28, v4, v2
	ds_bpermute_b32 v58, v4, v3
	v_cmp_eq_u32_e64 s[26:27], 0, v53
	s_and_saveexec_b64 s[40:41], vcc
	s_cbranch_execz .LBB356_139
; %bb.121:
	v_mov_b32_e32 v7, 0
	ds_read_b64 v[2:3], v7 offset:2088
	s_waitcnt lgkmcnt(0)
	v_readfirstlane_b32 s7, v2
	v_readfirstlane_b32 s48, v3
	s_and_saveexec_b64 s[30:31], s[26:27]
	s_cbranch_execz .LBB356_123
; %bb.122:
	s_add_i32 s46, s6, 64
	s_mov_b32 s47, 0
	s_lshl_b64 s[50:51], s[46:47], 4
	s_add_u32 s50, s44, s50
	s_addc_u32 s51, s45, s51
	s_and_b32 s57, s48, 0xff000000
	s_mov_b32 s56, s47
	s_and_b32 s63, s48, 0xff0000
	s_mov_b32 s62, s47
	s_or_b64 s[56:57], s[62:63], s[56:57]
	s_and_b32 s63, s48, 0xff00
	s_or_b64 s[56:57], s[56:57], s[62:63]
	s_and_b32 s63, s48, 0xff
	s_or_b64 s[46:47], s[56:57], s[62:63]
	v_mov_b32_e32 v4, s7
	v_mov_b32_e32 v5, s47
	;; [unrolled: 1-line block ×3, first 2 shown]
	v_pk_mov_b32 v[2:3], s[50:51], s[50:51] op_sel:[0,1]
	;;#ASMSTART
	global_store_dwordx4 v[2:3], v[4:7] off	
s_waitcnt vmcnt(0)
	;;#ASMEND
.LBB356_123:
	s_or_b64 exec, exec, s[30:31]
	v_xad_u32 v52, v53, -1, s6
	v_add_u32_e32 v6, 64, v52
	v_lshlrev_b64 v[2:3], 4, v[6:7]
	v_mov_b32_e32 v4, s45
	v_add_co_u32_e32 v54, vcc, s44, v2
	v_addc_co_u32_e32 v55, vcc, v4, v3, vcc
	;;#ASMSTART
	global_load_dwordx4 v[2:5], v[54:55] off glc	
s_waitcnt vmcnt(0)
	;;#ASMEND
	v_and_b32_e32 v5, 0xff, v3
	v_and_b32_e32 v6, 0xff00, v3
	;; [unrolled: 1-line block ×3, first 2 shown]
	v_or3_b32 v5, 0, v5, v6
	v_or3_b32 v2, v2, 0, 0
	v_and_b32_e32 v3, 0xff000000, v3
	v_or3_b32 v3, v5, v56, v3
	v_or3_b32 v2, v2, 0, 0
	v_cmp_eq_u16_sdwa s[46:47], v4, v7 src0_sel:BYTE_0 src1_sel:DWORD
	s_and_saveexec_b64 s[30:31], s[46:47]
	s_cbranch_execz .LBB356_127
; %bb.124:
	s_mov_b64 s[46:47], 0
	v_mov_b32_e32 v6, 0
.LBB356_125:                            ; =>This Inner Loop Header: Depth=1
	;;#ASMSTART
	global_load_dwordx4 v[2:5], v[54:55] off glc	
s_waitcnt vmcnt(0)
	;;#ASMEND
	v_cmp_ne_u16_sdwa s[50:51], v4, v6 src0_sel:BYTE_0 src1_sel:DWORD
	s_or_b64 s[46:47], s[50:51], s[46:47]
	s_andn2_b64 exec, exec, s[46:47]
	s_cbranch_execnz .LBB356_125
; %bb.126:
	s_or_b64 exec, exec, s[46:47]
.LBB356_127:
	s_or_b64 exec, exec, s[30:31]
	v_mov_b32_e32 v59, 2
	v_cmp_eq_u16_sdwa s[30:31], v4, v59 src0_sel:BYTE_0 src1_sel:DWORD
	v_lshlrev_b64 v[54:55], v53, -1
	v_and_b32_e32 v5, s31, v55
	v_and_b32_e32 v60, 63, v53
	v_or_b32_e32 v5, 0x80000000, v5
	v_cmp_ne_u32_e32 vcc, 63, v60
	v_and_b32_e32 v6, s30, v54
	v_ffbl_b32_e32 v5, v5
	v_addc_co_u32_e32 v7, vcc, 0, v53, vcc
	v_add_u32_e32 v5, 32, v5
	v_ffbl_b32_e32 v6, v6
	v_lshlrev_b32_e32 v61, 2, v7
	v_min_u32_e32 v5, v6, v5
	ds_bpermute_b32 v6, v61, v3
	v_cmp_eq_u32_e32 vcc, 0, v2
	v_cmp_lt_u32_e64 s[30:31], v60, v5
	ds_bpermute_b32 v7, v61, v2
	s_and_b64 vcc, s[30:31], vcc
	s_waitcnt lgkmcnt(1)
	v_cndmask_b32_e32 v6, 0, v6, vcc
	v_cmp_gt_u32_e32 vcc, 62, v60
	v_add_u32_e32 v3, v6, v3
	v_cndmask_b32_e64 v6, 0, 1, vcc
	v_lshlrev_b32_e32 v6, 1, v6
	v_add_lshl_u32 v62, v6, v53, 2
	s_waitcnt lgkmcnt(0)
	v_cndmask_b32_e64 v7, 0, v7, s[30:31]
	ds_bpermute_b32 v6, v62, v3
	v_add_u32_e32 v2, v7, v2
	ds_bpermute_b32 v7, v62, v2
	v_add_u32_e32 v63, 2, v60
	v_cmp_eq_u32_e32 vcc, 0, v2
	s_waitcnt lgkmcnt(1)
	v_cndmask_b32_e32 v6, 0, v6, vcc
	v_cmp_gt_u32_e32 vcc, v63, v5
	v_cndmask_b32_e64 v6, v6, 0, vcc
	v_add_u32_e32 v3, v6, v3
	s_waitcnt lgkmcnt(0)
	v_cndmask_b32_e64 v6, v7, 0, vcc
	v_cmp_gt_u32_e32 vcc, 60, v60
	v_cndmask_b32_e64 v7, 0, 1, vcc
	v_lshlrev_b32_e32 v7, 2, v7
	v_add_lshl_u32 v64, v7, v53, 2
	ds_bpermute_b32 v7, v64, v3
	v_add_u32_e32 v2, v2, v6
	ds_bpermute_b32 v6, v64, v2
	v_add_u32_e32 v65, 4, v60
	v_cmp_eq_u32_e32 vcc, 0, v2
	s_waitcnt lgkmcnt(1)
	v_cndmask_b32_e32 v7, 0, v7, vcc
	v_cmp_gt_u32_e32 vcc, v65, v5
	v_cndmask_b32_e64 v7, v7, 0, vcc
	s_waitcnt lgkmcnt(0)
	v_cndmask_b32_e64 v6, v6, 0, vcc
	v_cmp_gt_u32_e32 vcc, 56, v60
	v_add_u32_e32 v3, v3, v7
	v_cndmask_b32_e64 v7, 0, 1, vcc
	v_lshlrev_b32_e32 v7, 3, v7
	v_add_lshl_u32 v66, v7, v53, 2
	ds_bpermute_b32 v7, v66, v3
	v_add_u32_e32 v2, v2, v6
	ds_bpermute_b32 v6, v66, v2
	v_add_u32_e32 v67, 8, v60
	v_cmp_eq_u32_e32 vcc, 0, v2
	s_waitcnt lgkmcnt(1)
	v_cndmask_b32_e32 v7, 0, v7, vcc
	v_cmp_gt_u32_e32 vcc, v67, v5
	v_cndmask_b32_e64 v7, v7, 0, vcc
	s_waitcnt lgkmcnt(0)
	v_cndmask_b32_e64 v6, v6, 0, vcc
	v_cmp_gt_u32_e32 vcc, 48, v60
	v_add_u32_e32 v3, v3, v7
	v_cndmask_b32_e64 v7, 0, 1, vcc
	v_lshlrev_b32_e32 v7, 4, v7
	v_add_lshl_u32 v68, v7, v53, 2
	ds_bpermute_b32 v7, v68, v3
	v_add_u32_e32 v2, v2, v6
	ds_bpermute_b32 v6, v68, v2
	v_add_u32_e32 v69, 16, v60
	v_cmp_eq_u32_e32 vcc, 0, v2
	s_waitcnt lgkmcnt(1)
	v_cndmask_b32_e32 v7, 0, v7, vcc
	v_cmp_gt_u32_e32 vcc, v69, v5
	v_cndmask_b32_e64 v7, v7, 0, vcc
	s_waitcnt lgkmcnt(0)
	v_cndmask_b32_e64 v6, v6, 0, vcc
	v_cmp_gt_u32_e32 vcc, 32, v60
	v_add_u32_e32 v3, v3, v7
	v_cndmask_b32_e64 v7, 0, 1, vcc
	v_lshlrev_b32_e32 v7, 5, v7
	v_add_lshl_u32 v70, v7, v53, 2
	ds_bpermute_b32 v7, v70, v3
	v_add_u32_e32 v2, v2, v6
	ds_bpermute_b32 v6, v70, v2
	v_add_u32_e32 v71, 32, v60
	v_cmp_eq_u32_e32 vcc, 0, v2
	s_waitcnt lgkmcnt(1)
	v_cndmask_b32_e32 v7, 0, v7, vcc
	v_cmp_gt_u32_e32 vcc, v71, v5
	v_cndmask_b32_e64 v5, v7, 0, vcc
	v_add_u32_e32 v3, v5, v3
	s_waitcnt lgkmcnt(0)
	v_cndmask_b32_e64 v5, v6, 0, vcc
	v_add_u32_e32 v2, v5, v2
	v_mov_b32_e32 v53, 0
	s_branch .LBB356_129
.LBB356_128:                            ;   in Loop: Header=BB356_129 Depth=1
	s_or_b64 exec, exec, s[30:31]
	v_cmp_eq_u16_sdwa s[30:31], v4, v59 src0_sel:BYTE_0 src1_sel:DWORD
	v_and_b32_e32 v5, s31, v55
	v_or_b32_e32 v5, 0x80000000, v5
	v_and_b32_e32 v56, s30, v54
	v_ffbl_b32_e32 v5, v5
	v_add_u32_e32 v5, 32, v5
	v_ffbl_b32_e32 v56, v56
	v_min_u32_e32 v5, v56, v5
	ds_bpermute_b32 v56, v61, v3
	v_cmp_eq_u32_e32 vcc, 0, v2
	v_cmp_lt_u32_e64 s[30:31], v60, v5
	ds_bpermute_b32 v57, v61, v2
	s_and_b64 vcc, s[30:31], vcc
	s_waitcnt lgkmcnt(1)
	v_cndmask_b32_e32 v56, 0, v56, vcc
	v_add_u32_e32 v3, v56, v3
	ds_bpermute_b32 v56, v62, v3
	s_waitcnt lgkmcnt(1)
	v_cndmask_b32_e64 v57, 0, v57, s[30:31]
	v_add_u32_e32 v2, v57, v2
	v_cmp_eq_u32_e32 vcc, 0, v2
	ds_bpermute_b32 v57, v62, v2
	s_waitcnt lgkmcnt(1)
	v_cndmask_b32_e32 v56, 0, v56, vcc
	v_cmp_gt_u32_e32 vcc, v63, v5
	v_cndmask_b32_e64 v56, v56, 0, vcc
	v_add_u32_e32 v3, v56, v3
	ds_bpermute_b32 v56, v64, v3
	s_waitcnt lgkmcnt(1)
	v_cndmask_b32_e64 v57, v57, 0, vcc
	v_add_u32_e32 v2, v2, v57
	v_cmp_eq_u32_e32 vcc, 0, v2
	ds_bpermute_b32 v57, v64, v2
	s_waitcnt lgkmcnt(1)
	v_cndmask_b32_e32 v56, 0, v56, vcc
	v_cmp_gt_u32_e32 vcc, v65, v5
	v_cndmask_b32_e64 v56, v56, 0, vcc
	v_add_u32_e32 v3, v3, v56
	ds_bpermute_b32 v56, v66, v3
	s_waitcnt lgkmcnt(1)
	v_cndmask_b32_e64 v57, v57, 0, vcc
	v_add_u32_e32 v2, v2, v57
	ds_bpermute_b32 v57, v66, v2
	v_cmp_eq_u32_e32 vcc, 0, v2
	s_waitcnt lgkmcnt(1)
	v_cndmask_b32_e32 v56, 0, v56, vcc
	v_cmp_gt_u32_e32 vcc, v67, v5
	v_cndmask_b32_e64 v56, v56, 0, vcc
	v_add_u32_e32 v3, v3, v56
	ds_bpermute_b32 v56, v68, v3
	s_waitcnt lgkmcnt(1)
	v_cndmask_b32_e64 v57, v57, 0, vcc
	v_add_u32_e32 v2, v2, v57
	ds_bpermute_b32 v57, v68, v2
	v_cmp_eq_u32_e32 vcc, 0, v2
	;; [unrolled: 11-line block ×3, first 2 shown]
	s_waitcnt lgkmcnt(1)
	v_cndmask_b32_e32 v56, 0, v56, vcc
	v_cmp_gt_u32_e32 vcc, v71, v5
	v_cndmask_b32_e64 v5, v56, 0, vcc
	v_add_u32_e32 v3, v5, v3
	s_waitcnt lgkmcnt(0)
	v_cndmask_b32_e64 v5, v57, 0, vcc
	v_cmp_eq_u32_e32 vcc, 0, v6
	v_cndmask_b32_e32 v3, 0, v3, vcc
	v_subrev_u32_e32 v52, 64, v52
	v_add3_u32 v2, v2, v6, v5
	v_add_u32_e32 v3, v3, v7
.LBB356_129:                            ; =>This Loop Header: Depth=1
                                        ;     Child Loop BB356_132 Depth 2
	v_cmp_ne_u16_sdwa s[30:31], v4, v59 src0_sel:BYTE_0 src1_sel:DWORD
	v_mov_b32_e32 v7, v3
	v_cndmask_b32_e64 v3, 0, 1, s[30:31]
	;;#ASMSTART
	;;#ASMEND
	v_cmp_ne_u32_e32 vcc, 0, v3
	s_cmp_lg_u64 vcc, exec
	v_mov_b32_e32 v6, v2
	s_cbranch_scc1 .LBB356_134
; %bb.130:                              ;   in Loop: Header=BB356_129 Depth=1
	v_lshlrev_b64 v[2:3], 4, v[52:53]
	v_mov_b32_e32 v4, s45
	v_add_co_u32_e32 v56, vcc, s44, v2
	v_addc_co_u32_e32 v57, vcc, v4, v3, vcc
	;;#ASMSTART
	global_load_dwordx4 v[2:5], v[56:57] off glc	
s_waitcnt vmcnt(0)
	;;#ASMEND
	v_and_b32_e32 v5, 0xff, v3
	v_and_b32_e32 v72, 0xff00, v3
	;; [unrolled: 1-line block ×3, first 2 shown]
	v_or3_b32 v5, 0, v5, v72
	v_or3_b32 v2, v2, 0, 0
	v_and_b32_e32 v3, 0xff000000, v3
	v_or3_b32 v3, v5, v73, v3
	v_or3_b32 v2, v2, 0, 0
	v_cmp_eq_u16_sdwa s[46:47], v4, v53 src0_sel:BYTE_0 src1_sel:DWORD
	s_and_saveexec_b64 s[30:31], s[46:47]
	s_cbranch_execz .LBB356_128
; %bb.131:                              ;   in Loop: Header=BB356_129 Depth=1
	s_mov_b64 s[46:47], 0
.LBB356_132:                            ;   Parent Loop BB356_129 Depth=1
                                        ; =>  This Inner Loop Header: Depth=2
	;;#ASMSTART
	global_load_dwordx4 v[2:5], v[56:57] off glc	
s_waitcnt vmcnt(0)
	;;#ASMEND
	v_cmp_ne_u16_sdwa s[50:51], v4, v53 src0_sel:BYTE_0 src1_sel:DWORD
	s_or_b64 s[46:47], s[50:51], s[46:47]
	s_andn2_b64 exec, exec, s[46:47]
	s_cbranch_execnz .LBB356_132
; %bb.133:                              ;   in Loop: Header=BB356_129 Depth=1
	s_or_b64 exec, exec, s[46:47]
	s_branch .LBB356_128
.LBB356_134:                            ;   in Loop: Header=BB356_129 Depth=1
                                        ; implicit-def: $vgpr3
                                        ; implicit-def: $vgpr2
                                        ; implicit-def: $vgpr4
	s_cbranch_execz .LBB356_129
; %bb.135:
	s_and_saveexec_b64 s[30:31], s[26:27]
	s_cbranch_execz .LBB356_137
; %bb.136:
	s_cmp_eq_u32 s7, 0
	s_cselect_b64 vcc, -1, 0
	s_mov_b32 s47, 0
	v_cndmask_b32_e32 v2, 0, v7, vcc
	s_add_i32 s46, s6, 64
	v_add_u32_e32 v2, s48, v2
	s_lshl_b64 s[46:47], s[46:47], 4
	s_add_u32 s46, s44, s46
	v_and_b32_e32 v3, 0xff000000, v2
	v_and_b32_e32 v4, 0xff0000, v2
	s_addc_u32 s47, s45, s47
	v_or_b32_e32 v3, v4, v3
	v_and_b32_e32 v4, 0xff00, v2
	v_and_b32_e32 v2, 0xff, v2
	v_add_u32_e32 v52, s7, v6
	v_mov_b32_e32 v55, 0
	v_or3_b32 v53, v3, v4, v2
	v_mov_b32_e32 v54, 2
	v_pk_mov_b32 v[2:3], s[46:47], s[46:47] op_sel:[0,1]
	;;#ASMSTART
	global_store_dwordx4 v[2:3], v[52:55] off	
s_waitcnt vmcnt(0)
	;;#ASMEND
	v_mov_b32_e32 v4, s7
	v_mov_b32_e32 v5, s48
	ds_write_b128 v55, v[4:7] offset:2048
.LBB356_137:
	s_or_b64 exec, exec, s[30:31]
	v_cmp_eq_u32_e32 vcc, 0, v0
	s_and_b64 exec, exec, vcc
	s_cbranch_execz .LBB356_139
; %bb.138:
	v_mov_b32_e32 v2, 0
	ds_write_b64 v2, v[6:7] offset:2088
.LBB356_139:
	s_or_b64 exec, exec, s[40:41]
	v_mov_b32_e32 v4, 0
	s_waitcnt lgkmcnt(0)
	s_barrier
	ds_read_b64 v[2:3], v4 offset:2088
	v_cndmask_b32_e64 v6, v28, v50, s[26:27]
	v_cmp_eq_u32_e32 vcc, 0, v6
	v_cndmask_b32_e64 v5, v58, v51, s[26:27]
	s_waitcnt lgkmcnt(0)
	v_cndmask_b32_e32 v7, 0, v3, vcc
	v_add_u32_e32 v5, v7, v5
	v_cmp_eq_u32_e32 vcc, 0, v0
	v_cndmask_b32_e32 v79, v5, v3, vcc
	v_cndmask_b32_e64 v3, v6, 0, vcc
	v_cmp_eq_u32_e32 vcc, 0, v34
	v_add_u32_e32 v78, v2, v3
	v_cndmask_b32_e32 v2, 0, v79, vcc
	v_add_u32_e32 v77, v2, v46
	v_cndmask_b32_e64 v2, 0, v77, s[24:25]
	v_add_u32_e32 v75, v2, v48
	v_cndmask_b32_e64 v2, 0, v75, s[22:23]
	;; [unrolled: 2-line block ×8, first 2 shown]
	v_add_u32_e32 v76, v78, v34
	v_add_u32_e32 v61, v2, v38
	v_add_u32_e32 v74, v76, v35
	v_cndmask_b32_e64 v2, 0, v61, s[8:9]
	v_add_u32_e32 v72, v74, v32
	v_add_u32_e32 v59, v2, v40
	v_add_u32_e32 v70, v72, v33
	v_cndmask_b32_e64 v2, 0, v59, s[28:29]
	v_add_u32_e32 v68, v70, v30
	v_add_u32_e32 v57, v2, v39
	v_add_u32_e32 v66, v68, v31
	v_cndmask_b32_e64 v2, 0, v57, s[4:5]
	v_add_u32_e32 v64, v66, v26
	v_add_u32_e32 v55, v2, v41
	s_barrier
	ds_read_b128 v[2:5], v4 offset:2048
	v_add_u32_e32 v62, v64, v27
	v_add_u32_e32 v60, v62, v24
	;; [unrolled: 1-line block ×4, first 2 shown]
	v_cndmask_b32_e64 v6, 0, v55, s[2:3]
	v_add_u32_e32 v54, v56, v23
	v_add_u32_e32 v53, v6, v36
	s_waitcnt lgkmcnt(0)
	v_cmp_eq_u32_e32 vcc, 0, v2
	v_add_u32_e32 v52, v54, v81
	v_cndmask_b32_e64 v6, 0, v53, s[0:1]
	v_cndmask_b32_e32 v5, 0, v5, vcc
	v_add_u32_e32 v50, v52, v29
	v_add_u32_e32 v51, v6, v82
	v_add_u32_e32 v28, v5, v3
	s_branch .LBB356_152
.LBB356_140:
                                        ; implicit-def: $vgpr2
                                        ; implicit-def: $vgpr28
                                        ; implicit-def: $vgpr78_vgpr79
                                        ; implicit-def: $vgpr76_vgpr77
                                        ; implicit-def: $vgpr74_vgpr75
                                        ; implicit-def: $vgpr72_vgpr73
                                        ; implicit-def: $vgpr70_vgpr71
                                        ; implicit-def: $vgpr68_vgpr69
                                        ; implicit-def: $vgpr66_vgpr67
                                        ; implicit-def: $vgpr64_vgpr65
                                        ; implicit-def: $vgpr62_vgpr63
                                        ; implicit-def: $vgpr60_vgpr61
                                        ; implicit-def: $vgpr58_vgpr59
                                        ; implicit-def: $vgpr56_vgpr57
                                        ; implicit-def: $vgpr54_vgpr55
                                        ; implicit-def: $vgpr52_vgpr53
                                        ; implicit-def: $vgpr50_vgpr51
	s_cbranch_execz .LBB356_152
; %bb.141:
	s_and_b64 s[0:1], s[38:39], exec
	s_cselect_b32 s1, 0, s61
	s_cselect_b32 s0, 0, s60
	s_cmp_eq_u64 s[0:1], 0
	s_waitcnt vmcnt(0) lgkmcnt(0)
	v_mov_b32_e32 v6, v46
	s_cbranch_scc1 .LBB356_143
; %bb.142:
	v_mov_b32_e32 v2, 0
	global_load_dword v6, v2, s[0:1]
.LBB356_143:
	v_cmp_eq_u32_e64 s[0:1], 0, v35
	v_cndmask_b32_e64 v2, 0, v46, s[0:1]
	v_add_u32_e32 v2, v2, v48
	v_cmp_eq_u32_e64 s[2:3], 0, v32
	v_cndmask_b32_e64 v2, 0, v2, s[2:3]
	v_add_u32_e32 v2, v2, v47
	;; [unrolled: 3-line block ×11, first 2 shown]
	v_cmp_eq_u32_e64 s[22:23], 0, v81
	v_cndmask_b32_e64 v2, 0, v2, s[22:23]
	v_add3_u32 v3, v86, v31, v26
	v_add_u32_e32 v2, v2, v36
	v_cmp_eq_u32_e32 vcc, 0, v29
	v_add3_u32 v3, v3, v27, v24
	v_cndmask_b32_e32 v2, 0, v2, vcc
	v_add3_u32 v3, v3, v25, v22
	v_add_u32_e32 v2, v2, v82
	v_cmp_eq_u32_e64 s[24:25], 0, v80
	v_add3_u32 v3, v3, v23, v81
	v_cndmask_b32_e64 v2, 0, v2, s[24:25]
	v_add3_u32 v3, v3, v29, v80
	v_add_u32_e32 v2, v2, v37
	v_mbcnt_hi_u32_b32 v7, -1, v85
	v_and_b32_e32 v4, 15, v7
	v_mov_b32_dpp v28, v2 row_shr:1 row_mask:0xf bank_mask:0xf
	v_cmp_eq_u32_e64 s[24:25], 0, v3
	v_mov_b32_dpp v5, v3 row_shr:1 row_mask:0xf bank_mask:0xf
	v_cndmask_b32_e64 v28, 0, v28, s[24:25]
	v_cmp_eq_u32_e64 s[24:25], 0, v4
	v_cndmask_b32_e64 v5, v5, 0, s[24:25]
	v_add_u32_e32 v3, v5, v3
	v_cndmask_b32_e64 v5, v28, 0, s[24:25]
	v_add_u32_e32 v2, v5, v2
	v_cmp_eq_u32_e64 s[24:25], 0, v3
	v_mov_b32_dpp v5, v3 row_shr:2 row_mask:0xf bank_mask:0xf
	v_cmp_lt_u32_e64 s[26:27], 1, v4
	v_mov_b32_dpp v28, v2 row_shr:2 row_mask:0xf bank_mask:0xf
	v_cndmask_b32_e64 v5, 0, v5, s[26:27]
	s_and_b64 s[24:25], s[26:27], s[24:25]
	v_cndmask_b32_e64 v28, 0, v28, s[24:25]
	v_add_u32_e32 v3, v3, v5
	v_add_u32_e32 v2, v28, v2
	v_cmp_eq_u32_e64 s[24:25], 0, v3
	v_mov_b32_dpp v5, v3 row_shr:4 row_mask:0xf bank_mask:0xf
	v_cmp_lt_u32_e64 s[26:27], 3, v4
	v_mov_b32_dpp v28, v2 row_shr:4 row_mask:0xf bank_mask:0xf
	v_cndmask_b32_e64 v5, 0, v5, s[26:27]
	s_and_b64 s[24:25], s[26:27], s[24:25]
	v_cndmask_b32_e64 v28, 0, v28, s[24:25]
	v_add_u32_e32 v3, v5, v3
	v_add_u32_e32 v2, v2, v28
	v_cmp_eq_u32_e64 s[24:25], 0, v3
	v_cmp_lt_u32_e64 s[26:27], 7, v4
	v_mov_b32_dpp v5, v3 row_shr:8 row_mask:0xf bank_mask:0xf
	v_mov_b32_dpp v28, v2 row_shr:8 row_mask:0xf bank_mask:0xf
	s_and_b64 s[24:25], s[26:27], s[24:25]
	v_cndmask_b32_e64 v4, 0, v5, s[26:27]
	v_cndmask_b32_e64 v5, 0, v28, s[24:25]
	v_add_u32_e32 v2, v5, v2
	v_add_u32_e32 v3, v4, v3
	v_bfe_i32 v28, v7, 4, 1
	v_mov_b32_dpp v5, v2 row_bcast:15 row_mask:0xf bank_mask:0xf
	v_mov_b32_dpp v4, v3 row_bcast:15 row_mask:0xf bank_mask:0xf
	v_cmp_eq_u32_e64 s[24:25], 0, v3
	v_cndmask_b32_e64 v5, 0, v5, s[24:25]
	v_and_b32_e32 v4, v28, v4
	v_add_u32_e32 v3, v4, v3
	v_and_b32_e32 v4, v28, v5
	v_add_u32_e32 v4, v4, v2
	v_mov_b32_dpp v2, v3 row_bcast:31 row_mask:0xf bank_mask:0xf
	v_cmp_eq_u32_e64 s[24:25], 0, v3
	v_cmp_lt_u32_e64 s[26:27], 31, v7
	v_mov_b32_dpp v5, v4 row_bcast:31 row_mask:0xf bank_mask:0xf
	v_cndmask_b32_e64 v2, 0, v2, s[26:27]
	s_and_b64 s[24:25], s[26:27], s[24:25]
	v_add_u32_e32 v2, v2, v3
	v_cndmask_b32_e64 v3, 0, v5, s[24:25]
	v_add_u32_e32 v3, v3, v4
	v_cmp_eq_u32_e64 s[24:25], v84, v0
	v_lshlrev_b32_e32 v5, 3, v83
	s_and_saveexec_b64 s[26:27], s[24:25]
	s_cbranch_execz .LBB356_145
; %bb.144:
	ds_write_b64 v5, v[2:3] offset:2064
.LBB356_145:
	s_or_b64 exec, exec, s[26:27]
	v_cmp_gt_u32_e64 s[24:25], 4, v0
	s_waitcnt lgkmcnt(0)
	s_barrier
	s_and_saveexec_b64 s[28:29], s[24:25]
	s_cbranch_execz .LBB356_147
; %bb.146:
	v_lshlrev_b32_e32 v4, 3, v0
	ds_read_b64 v[50:51], v4 offset:2064
	v_and_b32_e32 v28, 3, v7
	v_cmp_lt_u32_e64 s[26:27], 1, v28
	s_waitcnt lgkmcnt(0)
	v_mov_b32_dpp v52, v51 row_shr:1 row_mask:0xf bank_mask:0xf
	v_cmp_eq_u32_e64 s[24:25], 0, v50
	v_mov_b32_dpp v37, v50 row_shr:1 row_mask:0xf bank_mask:0xf
	v_cndmask_b32_e64 v52, 0, v52, s[24:25]
	v_cmp_eq_u32_e64 s[24:25], 0, v28
	v_cndmask_b32_e64 v37, v37, 0, s[24:25]
	v_add_u32_e32 v37, v37, v50
	v_cndmask_b32_e64 v50, v52, 0, s[24:25]
	v_add_u32_e32 v51, v50, v51
	v_cmp_eq_u32_e64 s[24:25], 0, v37
	v_mov_b32_dpp v50, v37 row_shr:2 row_mask:0xf bank_mask:0xf
	v_mov_b32_dpp v52, v51 row_shr:2 row_mask:0xf bank_mask:0xf
	v_cndmask_b32_e64 v28, 0, v50, s[26:27]
	s_and_b64 s[24:25], s[26:27], s[24:25]
	v_add_u32_e32 v50, v28, v37
	v_cndmask_b32_e64 v28, 0, v52, s[24:25]
	v_add_u32_e32 v51, v28, v51
	ds_write_b64 v4, v[50:51] offset:2064
.LBB356_147:
	s_or_b64 exec, exec, s[28:29]
	v_cmp_lt_u32_e64 s[24:25], 63, v0
	v_mov_b32_e32 v28, 0
	v_mov_b32_e32 v4, 0
	s_waitcnt vmcnt(0)
	v_mov_b32_e32 v37, v6
	s_waitcnt lgkmcnt(0)
	s_barrier
	s_and_saveexec_b64 s[26:27], s[24:25]
	s_cbranch_execz .LBB356_149
; %bb.148:
	ds_read_b64 v[4:5], v5 offset:2056
	s_waitcnt lgkmcnt(0)
	v_cmp_eq_u32_e64 s[24:25], 0, v4
	v_cndmask_b32_e64 v37, 0, v6, s[24:25]
	v_add_u32_e32 v37, v37, v5
.LBB356_149:
	s_or_b64 exec, exec, s[26:27]
	v_cmp_eq_u32_e64 s[24:25], 0, v2
	v_add_u32_e32 v5, v4, v2
	v_cndmask_b32_e64 v2, 0, v37, s[24:25]
	v_add_u32_e32 v2, v2, v3
	v_add_u32_e32 v3, -1, v7
	v_and_b32_e32 v50, 64, v7
	v_cmp_lt_i32_e64 s[24:25], v3, v50
	v_cndmask_b32_e64 v3, v3, v7, s[24:25]
	v_lshlrev_b32_e32 v3, 2, v3
	ds_bpermute_b32 v5, v3, v5
	ds_bpermute_b32 v2, v3, v2
	v_cmp_eq_u32_e64 s[24:25], 0, v7
	v_cmp_eq_u32_e64 s[26:27], 0, v34
	s_waitcnt lgkmcnt(1)
	v_cndmask_b32_e64 v3, v5, v4, s[24:25]
	s_waitcnt lgkmcnt(0)
	v_cndmask_b32_e64 v2, v2, v37, s[24:25]
	v_cmp_eq_u32_e64 s[24:25], 0, v0
	v_cndmask_b32_e64 v79, v2, v6, s[24:25]
	v_cndmask_b32_e64 v2, 0, v79, s[26:27]
	v_add_u32_e32 v77, v2, v46
	v_cndmask_b32_e64 v2, 0, v77, s[0:1]
	v_add_u32_e32 v75, v2, v48
	;; [unrolled: 2-line block ×8, first 2 shown]
	v_cndmask_b32_e64 v78, v3, 0, s[24:25]
	v_cndmask_b32_e64 v2, 0, v63, s[14:15]
	v_add_u32_e32 v76, v78, v34
	v_add_u32_e32 v61, v2, v38
	v_add_u32_e32 v74, v76, v35
	v_cndmask_b32_e64 v2, 0, v61, s[16:17]
	v_add_u32_e32 v72, v74, v32
	v_add_u32_e32 v59, v2, v40
	v_add_u32_e32 v70, v72, v33
	;; [unrolled: 4-line block ×3, first 2 shown]
	v_cndmask_b32_e64 v2, 0, v57, s[20:21]
	v_add_u32_e32 v64, v66, v26
	v_add_u32_e32 v55, v2, v41
	ds_read_b64 v[2:3], v28 offset:2088
	v_add_u32_e32 v62, v64, v27
	v_add_u32_e32 v60, v62, v24
	;; [unrolled: 1-line block ×3, first 2 shown]
	v_cndmask_b32_e64 v4, 0, v55, s[22:23]
	v_add_u32_e32 v56, v58, v22
	v_add_u32_e32 v53, v4, v36
	;; [unrolled: 1-line block ×3, first 2 shown]
	v_cndmask_b32_e32 v4, 0, v53, vcc
	s_waitcnt lgkmcnt(0)
	v_cmp_eq_u32_e32 vcc, 0, v2
	v_add_u32_e32 v52, v54, v81
	v_add_u32_e32 v51, v4, v82
	v_cndmask_b32_e32 v4, 0, v6, vcc
	v_add_u32_e32 v50, v52, v29
	v_add_u32_e32 v28, v4, v3
	s_and_saveexec_b64 s[0:1], s[24:25]
	s_cbranch_execz .LBB356_151
; %bb.150:
	s_add_u32 s2, s44, 0x400
	v_and_b32_e32 v3, 0xff000000, v28
	v_and_b32_e32 v4, 0xff0000, v28
	s_addc_u32 s3, s45, 0
	v_or_b32_e32 v3, v4, v3
	v_and_b32_e32 v4, 0xff00, v28
	v_and_b32_e32 v6, 0xff, v28
	v_mov_b32_e32 v5, 0
	v_or3_b32 v3, v3, v4, v6
	v_mov_b32_e32 v4, 2
	v_pk_mov_b32 v[6:7], s[2:3], s[2:3] op_sel:[0,1]
	;;#ASMSTART
	global_store_dwordx4 v[6:7], v[2:5] off	
s_waitcnt vmcnt(0)
	;;#ASMEND
.LBB356_151:
	s_or_b64 exec, exec, s[0:1]
	v_mov_b32_e32 v4, 0
.LBB356_152:
	s_and_b64 s[0:1], s[38:39], exec
	s_cselect_b32 s1, 0, s59
	s_cselect_b32 s0, 0, s58
	s_cmp_eq_u64 s[0:1], 0
	s_waitcnt vmcnt(0) lgkmcnt(0)
	v_pk_mov_b32 v[6:7], 0, 0
	s_barrier
	s_cbranch_scc1 .LBB356_154
; %bb.153:
	v_mov_b32_e32 v3, 0
	global_load_dwordx2 v[6:7], v3, s[0:1]
.LBB356_154:
	s_waitcnt vmcnt(0)
	v_lshlrev_b64 v[36:37], 2, v[6:7]
	v_mov_b32_e32 v3, s43
	v_add_co_u32_e32 v40, vcc, s42, v36
	v_mov_b32_e32 v5, 0
	v_addc_co_u32_e32 v41, vcc, v3, v37, vcc
	v_lshlrev_b64 v[38:39], 2, v[4:5]
	v_add_co_u32_e32 v3, vcc, v40, v38
	v_addc_co_u32_e32 v5, vcc, v41, v39, vcc
	v_cmp_eq_u32_e32 vcc, 0, v34
	v_cndmask_b32_e64 v40, 1, 2, vcc
	v_cmp_eq_u32_e32 vcc, 0, v35
	v_cndmask_b32_e64 v41, 1, 2, vcc
	v_cmp_eq_u32_e32 vcc, 0, v32
	v_and_b32_e32 v40, v41, v40
	v_cndmask_b32_e64 v41, 1, 2, vcc
	v_cmp_eq_u32_e32 vcc, 0, v33
	v_and_b32_e32 v40, v40, v41
	;; [unrolled: 3-line block ×13, first 2 shown]
	v_cndmask_b32_e64 v41, 1, 2, vcc
	s_movk_i32 s30, 0x100
	v_and_b32_e32 v40, v40, v41
	v_cmp_gt_u32_e32 vcc, s30, v2
	v_cmp_ne_u32_e64 s[28:29], 0, v34
	v_cmp_ne_u32_e64 s[26:27], 0, v35
	;; [unrolled: 1-line block ×15, first 2 shown]
	s_mov_b64 s[38:39], -1
	v_cmp_gt_i16_e64 s[30:31], 2, v40
	s_cbranch_vccz .LBB356_161
; %bb.155:
	s_and_saveexec_b64 s[38:39], s[30:31]
	s_cbranch_execz .LBB356_160
; %bb.156:
	v_cmp_ne_u16_e32 vcc, 1, v40
	s_mov_b64 s[40:41], 0
	s_and_saveexec_b64 s[30:31], vcc
	s_xor_b64 s[30:31], exec, s[30:31]
	s_cbranch_execnz .LBB356_250
; %bb.157:
	s_andn2_saveexec_b64 s[30:31], s[30:31]
	s_cbranch_execnz .LBB356_266
.LBB356_158:
	s_or_b64 exec, exec, s[30:31]
	s_and_b64 exec, exec, s[40:41]
	s_cbranch_execz .LBB356_160
.LBB356_159:
	v_sub_u32_e32 v42, v50, v4
	v_mov_b32_e32 v43, 0
	v_lshlrev_b64 v[42:43], 2, v[42:43]
	v_add_co_u32_e32 v42, vcc, v3, v42
	v_addc_co_u32_e32 v43, vcc, v5, v43, vcc
	global_store_dword v[42:43], v1, off
.LBB356_160:
	s_or_b64 exec, exec, s[38:39]
	s_mov_b64 s[38:39], 0
.LBB356_161:
	s_and_b64 vcc, exec, s[38:39]
	s_cbranch_vccz .LBB356_183
; %bb.162:
	v_cmp_gt_i16_e32 vcc, 2, v40
	s_and_saveexec_b64 s[30:31], vcc
	s_cbranch_execz .LBB356_167
; %bb.163:
	v_cmp_ne_u16_e32 vcc, 1, v40
	s_mov_b64 s[40:41], 0
	s_and_saveexec_b64 s[38:39], vcc
	s_xor_b64 s[38:39], exec, s[38:39]
	s_cbranch_execnz .LBB356_267
; %bb.164:
	s_andn2_saveexec_b64 s[0:1], s[38:39]
	s_cbranch_execnz .LBB356_283
.LBB356_165:
	s_or_b64 exec, exec, s[0:1]
	s_and_b64 exec, exec, s[40:41]
	s_cbranch_execz .LBB356_167
.LBB356_166:
	v_sub_u32_e32 v8, v50, v4
	v_lshlrev_b32_e32 v8, 2, v8
	ds_write_b32 v8, v1
.LBB356_167:
	s_or_b64 exec, exec, s[30:31]
	v_cmp_lt_u32_e32 vcc, v0, v2
	s_waitcnt lgkmcnt(0)
	s_barrier
	s_and_saveexec_b64 s[2:3], vcc
	s_cbranch_execz .LBB356_182
; %bb.168:
	v_xad_u32 v1, v0, -1, v2
	s_movk_i32 s0, 0x1700
	v_cmp_gt_u32_e64 s[4:5], s0, v1
	s_movk_i32 s0, 0x16ff
	v_cmp_lt_u32_e32 vcc, s0, v1
	v_mov_b32_e32 v8, v0
	s_and_saveexec_b64 s[6:7], vcc
	s_cbranch_execz .LBB356_179
; %bb.169:
	v_sub_u32_e32 v8, v0, v2
	v_or_b32_e32 v8, 0xff, v8
	v_cmp_ge_u32_e32 vcc, v8, v0
	s_mov_b64 s[0:1], -1
	v_mov_b32_e32 v8, v0
	s_and_saveexec_b64 s[8:9], vcc
	s_cbranch_execz .LBB356_178
; %bb.170:
	v_lshrrev_b32_e32 v12, 8, v1
	v_add_u32_e32 v8, -1, v12
	v_or_b32_e32 v1, 0x100, v0
	v_lshrrev_b32_e32 v9, 1, v8
	v_add_u32_e32 v13, 1, v9
	v_cmp_lt_u32_e32 vcc, 13, v8
	v_mov_b32_e32 v16, 0
	v_pk_mov_b32 v[8:9], v[0:1], v[0:1] op_sel:[0,1]
	s_and_saveexec_b64 s[10:11], vcc
	s_cbranch_execz .LBB356_174
; %bb.171:
	v_and_b32_e32 v14, -8, v13
	v_lshlrev_b32_e32 v15, 2, v0
	s_mov_b32 s14, 0
	s_mov_b64 s[12:13], 0
	v_mov_b32_e32 v11, 0
	v_pk_mov_b32 v[8:9], v[0:1], v[0:1] op_sel:[0,1]
.LBB356_172:                            ; =>This Inner Loop Header: Depth=1
	v_mov_b32_e32 v10, v8
	v_add_u32_e32 v14, -8, v14
	v_lshlrev_b64 v[96:97], 2, v[10:11]
	v_mov_b32_e32 v10, v9
	ds_read2st64_b32 v[18:19], v15 offset1:4
	s_add_i32 s14, s14, 16
	v_cmp_eq_u32_e32 vcc, 0, v14
	v_lshlrev_b64 v[100:101], 2, v[10:11]
	v_add_u32_e32 v10, 0x200, v8
	s_or_b64 s[12:13], vcc, s[12:13]
	v_add_co_u32_e32 v100, vcc, v3, v100
	v_add_u32_e32 v16, 0x200, v9
	v_mov_b32_e32 v17, v11
	ds_read2st64_b32 v[20:21], v15 offset0:8 offset1:12
	ds_read2st64_b32 v[42:43], v15 offset0:16 offset1:20
	v_add_co_u32_e64 v96, s[0:1], v3, v96
	v_addc_co_u32_e32 v101, vcc, v5, v101, vcc
	v_lshlrev_b64 v[102:103], 2, v[10:11]
	v_lshlrev_b64 v[98:99], 2, v[16:17]
	v_addc_co_u32_e64 v97, s[0:1], v5, v97, s[0:1]
	v_add_u32_e32 v10, 0x400, v8
	v_add_co_u32_e32 v102, vcc, v3, v102
	v_add_u32_e32 v40, 0x400, v9
	v_mov_b32_e32 v41, v11
	ds_read2st64_b32 v[46:47], v15 offset0:24 offset1:28
	v_add_co_u32_e64 v98, s[0:1], v3, v98
	v_addc_co_u32_e32 v103, vcc, v5, v103, vcc
	v_lshlrev_b64 v[104:105], 2, v[10:11]
	ds_read2st64_b32 v[82:83], v15 offset0:32 offset1:36
	ds_read2st64_b32 v[86:87], v15 offset0:40 offset1:44
	;; [unrolled: 1-line block ×4, first 2 shown]
	v_lshlrev_b64 v[40:41], 2, v[40:41]
	v_addc_co_u32_e64 v99, s[0:1], v5, v99, s[0:1]
	v_add_u32_e32 v10, 0x600, v8
	s_waitcnt lgkmcnt(7)
	global_store_dword v[96:97], v18, off
	global_store_dword v[100:101], v19, off
	s_waitcnt lgkmcnt(6)
	global_store_dword v[102:103], v20, off
	global_store_dword v[98:99], v21, off
	v_add_co_u32_e32 v18, vcc, v3, v104
	v_add_u32_e32 v44, 0x600, v9
	v_mov_b32_e32 v45, v11
	v_add_co_u32_e64 v40, s[0:1], v3, v40
	v_addc_co_u32_e32 v19, vcc, v5, v105, vcc
	v_lshlrev_b64 v[20:21], 2, v[10:11]
	v_lshlrev_b64 v[44:45], 2, v[44:45]
	v_addc_co_u32_e64 v41, s[0:1], v5, v41, s[0:1]
	v_add_u32_e32 v10, 0x800, v8
	s_waitcnt lgkmcnt(5)
	global_store_dword v[18:19], v42, off
	global_store_dword v[40:41], v43, off
	v_add_co_u32_e32 v18, vcc, v3, v20
	v_add_u32_e32 v48, 0x800, v9
	v_mov_b32_e32 v49, v11
	v_add_co_u32_e64 v44, s[0:1], v3, v44
	v_addc_co_u32_e32 v19, vcc, v5, v21, vcc
	v_lshlrev_b64 v[20:21], 2, v[10:11]
	v_lshlrev_b64 v[48:49], 2, v[48:49]
	v_addc_co_u32_e64 v45, s[0:1], v5, v45, s[0:1]
	v_add_u32_e32 v10, 0xa00, v8
	;; [unrolled: 12-line block ×4, first 2 shown]
	s_waitcnt lgkmcnt(2)
	global_store_dword v[18:19], v86, off
	global_store_dword v[84:85], v87, off
	v_add_co_u32_e32 v18, vcc, v3, v20
	v_add_u32_e32 v92, 0xe00, v9
	v_mov_b32_e32 v93, v11
	v_add_co_u32_e64 v88, s[0:1], v3, v88
	v_addc_co_u32_e32 v19, vcc, v5, v21, vcc
	v_lshlrev_b64 v[20:21], 2, v[10:11]
	v_lshlrev_b64 v[92:93], 2, v[92:93]
	v_addc_co_u32_e64 v89, s[0:1], v5, v89, s[0:1]
	s_waitcnt lgkmcnt(1)
	global_store_dword v[18:19], v90, off
	global_store_dword v[88:89], v91, off
	v_add_co_u32_e32 v18, vcc, v3, v20
	v_add_u32_e32 v15, 0x4000, v15
	v_add_u32_e32 v9, 0x1000, v9
	v_mov_b32_e32 v16, s14
	v_add_co_u32_e64 v92, s[0:1], v3, v92
	v_add_u32_e32 v8, 0x1000, v8
	v_addc_co_u32_e32 v19, vcc, v5, v21, vcc
	v_addc_co_u32_e64 v93, s[0:1], v5, v93, s[0:1]
	s_waitcnt lgkmcnt(0)
	global_store_dword v[18:19], v94, off
	global_store_dword v[92:93], v95, off
	s_andn2_b64 exec, exec, s[12:13]
	s_cbranch_execnz .LBB356_172
; %bb.173:
	s_or_b64 exec, exec, s[12:13]
.LBB356_174:
	s_or_b64 exec, exec, s[10:11]
	v_and_b32_e32 v1, 7, v13
	v_cmp_ne_u32_e32 vcc, 0, v1
	s_and_saveexec_b64 s[10:11], vcc
	s_cbranch_execz .LBB356_177
; %bb.175:
	v_lshlrev_b32_e32 v10, 2, v0
	v_lshl_or_b32 v13, v16, 10, v10
	s_mov_b64 s[12:13], 0
	v_mov_b32_e32 v11, 0
.LBB356_176:                            ; =>This Inner Loop Header: Depth=1
	ds_read2st64_b32 v[14:15], v13 offset1:4
	v_mov_b32_e32 v10, v8
	v_add_u32_e32 v1, -1, v1
	v_lshlrev_b64 v[16:17], 2, v[10:11]
	v_mov_b32_e32 v10, v9
	v_cmp_eq_u32_e32 vcc, 0, v1
	v_add_co_u32_e64 v16, s[0:1], v3, v16
	v_lshlrev_b64 v[18:19], 2, v[10:11]
	v_add_u32_e32 v8, 0x200, v8
	v_add_u32_e32 v13, 0x800, v13
	;; [unrolled: 1-line block ×3, first 2 shown]
	v_addc_co_u32_e64 v17, s[0:1], v5, v17, s[0:1]
	s_or_b64 s[12:13], vcc, s[12:13]
	v_add_co_u32_e32 v18, vcc, v3, v18
	v_addc_co_u32_e32 v19, vcc, v5, v19, vcc
	s_waitcnt lgkmcnt(0)
	global_store_dword v[16:17], v14, off
	global_store_dword v[18:19], v15, off
	s_andn2_b64 exec, exec, s[12:13]
	s_cbranch_execnz .LBB356_176
.LBB356_177:
	s_or_b64 exec, exec, s[10:11]
	v_add_u32_e32 v1, 1, v12
	v_and_b32_e32 v9, 0x1fffffe, v1
	v_cmp_ne_u32_e32 vcc, v1, v9
	v_lshl_or_b32 v8, v9, 8, v0
	s_orn2_b64 s[0:1], vcc, exec
.LBB356_178:
	s_or_b64 exec, exec, s[8:9]
	s_andn2_b64 s[4:5], s[4:5], exec
	s_and_b64 s[0:1], s[0:1], exec
	s_or_b64 s[4:5], s[4:5], s[0:1]
.LBB356_179:
	s_or_b64 exec, exec, s[6:7]
	s_and_b64 exec, exec, s[4:5]
	s_cbranch_execz .LBB356_182
; %bb.180:
	v_lshlrev_b32_e32 v1, 2, v8
	s_mov_b64 s[0:1], 0
	v_mov_b32_e32 v9, 0
.LBB356_181:                            ; =>This Inner Loop Header: Depth=1
	v_lshlrev_b64 v[10:11], 2, v[8:9]
	ds_read_b32 v12, v1
	v_add_co_u32_e32 v10, vcc, v3, v10
	v_add_u32_e32 v8, 0x100, v8
	v_addc_co_u32_e32 v11, vcc, v5, v11, vcc
	v_cmp_ge_u32_e32 vcc, v8, v2
	v_add_u32_e32 v1, 0x400, v1
	s_or_b64 s[0:1], vcc, s[0:1]
	s_waitcnt lgkmcnt(0)
	global_store_dword v[10:11], v12, off
	s_andn2_b64 exec, exec, s[0:1]
	s_cbranch_execnz .LBB356_181
.LBB356_182:
	s_or_b64 exec, exec, s[2:3]
.LBB356_183:
	s_cmpk_lg_i32 s33, 0xf00
	s_cselect_b64 s[0:1], -1, 0
	s_and_b64 s[0:1], s[34:35], s[0:1]
	v_cmp_eq_u32_e32 vcc, 0, v0
	v_cndmask_b32_e64 v8, 0, 1, s[0:1]
	s_and_b64 s[0:1], vcc, s[36:37]
	v_cndmask_b32_e64 v5, v34, 0, s[0:1]
	s_mul_hi_u32 s0, s33, 0x88888889
	s_lshr_b32 s0, s0, 3
	v_mad_i32_i24 v9, v0, -15, s33
	v_cmp_eq_u32_e32 vcc, s0, v0
	v_cmp_ne_u32_e64 s[0:1], 0, v9
	v_cndmask_b32_e64 v10, 1, v5, s[0:1]
	v_cmp_ne_u32_e64 s[0:1], 1, v9
	v_cndmask_b32_e64 v11, 1, v35, s[0:1]
	;; [unrolled: 2-line block ×15, first 2 shown]
	s_and_b64 vcc, s[34:35], vcc
	v_cndmask_b32_e32 v41, v80, v9, vcc
	v_cndmask_b32_e32 v29, v29, v40, vcc
	;; [unrolled: 1-line block ×15, first 2 shown]
	v_mov_b32_e32 v5, s53
	v_add_co_u32_e32 v9, vcc, s52, v36
	v_addc_co_u32_e32 v12, vcc, v5, v37, vcc
	v_cndmask_b32_e64 v1, 0, 1, s[36:37]
	v_add_co_u32_e32 v5, vcc, v9, v38
	v_addc_co_u32_e32 v12, vcc, v12, v39, vcc
	v_lshlrev_b32_e32 v9, 2, v1
	v_add_co_u32_e32 v9, vcc, v9, v5
	v_addc_co_u32_e32 v14, vcc, 0, v12, vcc
	v_add_co_u32_e32 v13, vcc, -4, v9
	v_addc_co_u32_e32 v14, vcc, -1, v14, vcc
	v_cmp_eq_u32_e32 vcc, 0, v10
	v_cmp_ne_u32_e64 s[28:29], 0, v10
	v_cndmask_b32_e64 v10, 1, 2, vcc
	v_cmp_eq_u32_e32 vcc, 0, v11
	v_cmp_ne_u32_e64 s[26:27], 0, v11
	v_cndmask_b32_e64 v11, 1, 2, vcc
	v_cmp_eq_u32_e32 vcc, 0, v24
	v_and_b32_e32 v10, v11, v10
	v_cndmask_b32_e64 v11, 1, 2, vcc
	v_cmp_eq_u32_e32 vcc, 0, v23
	v_and_b32_e32 v10, v10, v11
	;; [unrolled: 3-line block ×11, first 2 shown]
	v_cndmask_b32_e64 v11, 1, 2, vcc
	v_cmp_eq_u32_e32 vcc, 0, v29
	v_sub_u32_e32 v3, v2, v1
	v_and_b32_e32 v10, v10, v11
	v_cndmask_b32_e64 v11, 1, 2, vcc
	v_cmp_eq_u32_e32 vcc, 0, v41
	v_add_u32_e32 v3, v3, v8
	v_and_b32_e32 v10, v10, v11
	v_cndmask_b32_e64 v11, 1, 2, vcc
	s_movk_i32 s30, 0x100
	v_and_b32_e32 v10, v10, v11
	v_cmp_gt_u32_e32 vcc, s30, v3
	v_add_u32_e32 v9, v4, v1
	v_cmp_ne_u32_e64 s[24:25], 0, v24
	v_cmp_ne_u32_e64 s[22:23], 0, v23
	;; [unrolled: 1-line block ×13, first 2 shown]
	s_mov_b64 s[36:37], -1
	v_cmp_gt_i16_e64 s[30:31], 2, v10
	s_barrier
	s_cbranch_vccz .LBB356_190
; %bb.184:
	s_and_saveexec_b64 s[36:37], s[30:31]
	s_cbranch_execz .LBB356_189
; %bb.185:
	v_cmp_ne_u16_e32 vcc, 1, v10
	s_mov_b64 s[38:39], 0
	s_and_saveexec_b64 s[30:31], vcc
	s_xor_b64 s[30:31], exec, s[30:31]
	s_cbranch_execnz .LBB356_284
; %bb.186:
	s_andn2_saveexec_b64 s[30:31], s[30:31]
	s_cbranch_execnz .LBB356_300
.LBB356_187:
	s_or_b64 exec, exec, s[30:31]
	s_and_b64 exec, exec, s[38:39]
	s_cbranch_execz .LBB356_189
.LBB356_188:
	v_sub_u32_e32 v16, v50, v9
	v_mov_b32_e32 v17, 0
	v_lshlrev_b64 v[16:17], 2, v[16:17]
	v_add_co_u32_e32 v16, vcc, v13, v16
	v_addc_co_u32_e32 v17, vcc, v14, v17, vcc
	global_store_dword v[16:17], v51, off
.LBB356_189:
	s_or_b64 exec, exec, s[36:37]
	s_mov_b64 s[36:37], 0
.LBB356_190:
	s_and_b64 vcc, exec, s[36:37]
	s_cbranch_vccz .LBB356_212
; %bb.191:
	v_cmp_gt_i16_e32 vcc, 2, v10
	s_and_saveexec_b64 s[30:31], vcc
	s_cbranch_execz .LBB356_196
; %bb.192:
	v_cmp_ne_u16_e32 vcc, 1, v10
	s_mov_b64 s[38:39], 0
	s_and_saveexec_b64 s[36:37], vcc
	s_xor_b64 s[36:37], exec, s[36:37]
	s_cbranch_execnz .LBB356_301
; %bb.193:
	s_andn2_saveexec_b64 s[0:1], s[36:37]
	s_cbranch_execnz .LBB356_317
.LBB356_194:
	s_or_b64 exec, exec, s[0:1]
	s_and_b64 exec, exec, s[38:39]
	s_cbranch_execz .LBB356_196
.LBB356_195:
	v_sub_u32_e32 v9, v50, v9
	v_lshlrev_b32_e32 v9, 2, v9
	ds_write_b32 v9, v51
.LBB356_196:
	s_or_b64 exec, exec, s[30:31]
	v_cmp_lt_u32_e32 vcc, v0, v3
	s_waitcnt lgkmcnt(0)
	s_barrier
	s_and_saveexec_b64 s[2:3], vcc
	s_cbranch_execz .LBB356_211
; %bb.197:
	v_add_u32_e32 v10, v2, v8
	v_xad_u32 v8, v0, -1, v10
	v_sub_u32_e32 v9, v8, v1
	s_movk_i32 s0, 0x1900
	v_cmp_gt_u32_e64 s[4:5], s0, v9
	s_movk_i32 s0, 0x18ff
	v_cmp_lt_u32_e32 vcc, s0, v9
	v_mov_b32_e32 v8, v0
	s_and_saveexec_b64 s[6:7], vcc
	s_cbranch_execz .LBB356_208
; %bb.198:
	v_sub_u32_e32 v8, v0, v10
	v_add_u32_e32 v1, v8, v1
	v_or_b32_e32 v1, 0xff, v1
	v_cmp_ge_u32_e32 vcc, v1, v0
	s_mov_b64 s[0:1], -1
	v_mov_b32_e32 v8, v0
	s_and_saveexec_b64 s[8:9], vcc
	s_cbranch_execz .LBB356_207
; %bb.199:
	v_lshrrev_b32_e32 v15, 8, v9
	v_add_u32_e32 v8, -1, v15
	v_or_b32_e32 v1, 0x100, v0
	v_lshrrev_b32_e32 v9, 1, v8
	v_add_u32_e32 v17, 1, v9
	v_cmp_lt_u32_e32 vcc, 13, v8
	v_mov_b32_e32 v20, 0
	v_lshlrev_b32_e32 v16, 2, v0
	v_pk_mov_b32 v[8:9], v[0:1], v[0:1] op_sel:[0,1]
	s_and_saveexec_b64 s[10:11], vcc
	s_cbranch_execz .LBB356_203
; %bb.200:
	v_and_b32_e32 v18, -8, v17
	s_mov_b32 s14, 0
	s_mov_b64 s[12:13], 0
	v_mov_b32_e32 v11, 0
	v_mov_b32_e32 v19, v16
	v_pk_mov_b32 v[8:9], v[0:1], v[0:1] op_sel:[0,1]
.LBB356_201:                            ; =>This Inner Loop Header: Depth=1
	v_mov_b32_e32 v10, v8
	v_add_u32_e32 v18, -8, v18
	v_lshlrev_b64 v[52:53], 2, v[10:11]
	v_mov_b32_e32 v10, v9
	ds_read2st64_b32 v[22:23], v19 offset1:4
	s_add_i32 s14, s14, 16
	v_cmp_eq_u32_e32 vcc, 0, v18
	v_lshlrev_b64 v[56:57], 2, v[10:11]
	v_add_u32_e32 v10, 0x200, v8
	s_or_b64 s[12:13], vcc, s[12:13]
	v_add_co_u32_e32 v56, vcc, v13, v56
	v_add_u32_e32 v20, 0x200, v9
	v_mov_b32_e32 v21, v11
	ds_read2st64_b32 v[24:25], v19 offset0:8 offset1:12
	ds_read2st64_b32 v[30:31], v19 offset0:16 offset1:20
	v_add_co_u32_e64 v52, s[0:1], v13, v52
	v_addc_co_u32_e32 v57, vcc, v14, v57, vcc
	v_lshlrev_b64 v[58:59], 2, v[10:11]
	v_lshlrev_b64 v[54:55], 2, v[20:21]
	v_addc_co_u32_e64 v53, s[0:1], v14, v53, s[0:1]
	v_add_u32_e32 v10, 0x400, v8
	v_add_co_u32_e32 v58, vcc, v13, v58
	v_add_u32_e32 v26, 0x400, v9
	v_mov_b32_e32 v27, v11
	ds_read2st64_b32 v[34:35], v19 offset0:24 offset1:28
	v_add_co_u32_e64 v54, s[0:1], v13, v54
	v_addc_co_u32_e32 v59, vcc, v14, v59, vcc
	v_lshlrev_b64 v[60:61], 2, v[10:11]
	ds_read2st64_b32 v[38:39], v19 offset0:32 offset1:36
	ds_read2st64_b32 v[42:43], v19 offset0:40 offset1:44
	;; [unrolled: 1-line block ×4, first 2 shown]
	v_lshlrev_b64 v[26:27], 2, v[26:27]
	v_addc_co_u32_e64 v55, s[0:1], v14, v55, s[0:1]
	v_add_u32_e32 v10, 0x600, v8
	s_waitcnt lgkmcnt(7)
	global_store_dword v[52:53], v22, off
	global_store_dword v[56:57], v23, off
	s_waitcnt lgkmcnt(6)
	global_store_dword v[58:59], v24, off
	global_store_dword v[54:55], v25, off
	v_add_co_u32_e32 v22, vcc, v13, v60
	v_add_u32_e32 v32, 0x600, v9
	v_mov_b32_e32 v33, v11
	v_add_co_u32_e64 v26, s[0:1], v13, v26
	v_addc_co_u32_e32 v23, vcc, v14, v61, vcc
	v_lshlrev_b64 v[24:25], 2, v[10:11]
	v_lshlrev_b64 v[32:33], 2, v[32:33]
	v_addc_co_u32_e64 v27, s[0:1], v14, v27, s[0:1]
	v_add_u32_e32 v10, 0x800, v8
	s_waitcnt lgkmcnt(5)
	global_store_dword v[22:23], v30, off
	global_store_dword v[26:27], v31, off
	v_add_co_u32_e32 v22, vcc, v13, v24
	v_add_u32_e32 v36, 0x800, v9
	v_mov_b32_e32 v37, v11
	v_add_co_u32_e64 v32, s[0:1], v13, v32
	v_addc_co_u32_e32 v23, vcc, v14, v25, vcc
	v_lshlrev_b64 v[24:25], 2, v[10:11]
	v_lshlrev_b64 v[36:37], 2, v[36:37]
	v_addc_co_u32_e64 v33, s[0:1], v14, v33, s[0:1]
	v_add_u32_e32 v10, 0xa00, v8
	s_waitcnt lgkmcnt(4)
	global_store_dword v[22:23], v34, off
	global_store_dword v[32:33], v35, off
	v_add_co_u32_e32 v22, vcc, v13, v24
	v_add_u32_e32 v40, 0xa00, v9
	v_mov_b32_e32 v41, v11
	v_add_co_u32_e64 v36, s[0:1], v13, v36
	v_addc_co_u32_e32 v23, vcc, v14, v25, vcc
	v_lshlrev_b64 v[24:25], 2, v[10:11]
	v_lshlrev_b64 v[40:41], 2, v[40:41]
	v_addc_co_u32_e64 v37, s[0:1], v14, v37, s[0:1]
	v_add_u32_e32 v10, 0xc00, v8
	s_waitcnt lgkmcnt(3)
	global_store_dword v[22:23], v38, off
	global_store_dword v[36:37], v39, off
	v_add_co_u32_e32 v22, vcc, v13, v24
	v_add_u32_e32 v44, 0xc00, v9
	v_mov_b32_e32 v45, v11
	v_add_co_u32_e64 v40, s[0:1], v13, v40
	v_addc_co_u32_e32 v23, vcc, v14, v25, vcc
	v_lshlrev_b64 v[24:25], 2, v[10:11]
	v_lshlrev_b64 v[44:45], 2, v[44:45]
	v_addc_co_u32_e64 v41, s[0:1], v14, v41, s[0:1]
	v_add_u32_e32 v10, 0xe00, v8
	s_waitcnt lgkmcnt(2)
	global_store_dword v[22:23], v42, off
	global_store_dword v[40:41], v43, off
	v_add_co_u32_e32 v22, vcc, v13, v24
	v_add_u32_e32 v48, 0xe00, v9
	v_mov_b32_e32 v49, v11
	v_add_co_u32_e64 v44, s[0:1], v13, v44
	v_addc_co_u32_e32 v23, vcc, v14, v25, vcc
	v_lshlrev_b64 v[24:25], 2, v[10:11]
	v_lshlrev_b64 v[48:49], 2, v[48:49]
	v_addc_co_u32_e64 v45, s[0:1], v14, v45, s[0:1]
	s_waitcnt lgkmcnt(1)
	global_store_dword v[22:23], v46, off
	global_store_dword v[44:45], v47, off
	v_add_co_u32_e32 v22, vcc, v13, v24
	v_add_u32_e32 v19, 0x4000, v19
	v_add_u32_e32 v9, 0x1000, v9
	v_mov_b32_e32 v20, s14
	v_add_co_u32_e64 v48, s[0:1], v13, v48
	v_add_u32_e32 v8, 0x1000, v8
	v_addc_co_u32_e32 v23, vcc, v14, v25, vcc
	v_addc_co_u32_e64 v49, s[0:1], v14, v49, s[0:1]
	s_waitcnt lgkmcnt(0)
	global_store_dword v[22:23], v50, off
	global_store_dword v[48:49], v51, off
	s_andn2_b64 exec, exec, s[12:13]
	s_cbranch_execnz .LBB356_201
; %bb.202:
	s_or_b64 exec, exec, s[12:13]
.LBB356_203:
	s_or_b64 exec, exec, s[10:11]
	v_and_b32_e32 v1, 7, v17
	v_cmp_ne_u32_e32 vcc, 0, v1
	s_and_saveexec_b64 s[10:11], vcc
	s_cbranch_execz .LBB356_206
; %bb.204:
	v_lshl_or_b32 v16, v20, 10, v16
	s_mov_b64 s[12:13], 0
	v_mov_b32_e32 v11, 0
.LBB356_205:                            ; =>This Inner Loop Header: Depth=1
	ds_read2st64_b32 v[18:19], v16 offset1:4
	v_mov_b32_e32 v10, v8
	v_add_u32_e32 v1, -1, v1
	v_lshlrev_b64 v[20:21], 2, v[10:11]
	v_mov_b32_e32 v10, v9
	v_cmp_eq_u32_e32 vcc, 0, v1
	v_add_co_u32_e64 v20, s[0:1], v13, v20
	v_lshlrev_b64 v[22:23], 2, v[10:11]
	v_add_u32_e32 v8, 0x200, v8
	v_add_u32_e32 v16, 0x800, v16
	;; [unrolled: 1-line block ×3, first 2 shown]
	v_addc_co_u32_e64 v21, s[0:1], v14, v21, s[0:1]
	s_or_b64 s[12:13], vcc, s[12:13]
	v_add_co_u32_e32 v22, vcc, v13, v22
	v_addc_co_u32_e32 v23, vcc, v14, v23, vcc
	s_waitcnt lgkmcnt(0)
	global_store_dword v[20:21], v18, off
	global_store_dword v[22:23], v19, off
	s_andn2_b64 exec, exec, s[12:13]
	s_cbranch_execnz .LBB356_205
.LBB356_206:
	s_or_b64 exec, exec, s[10:11]
	v_add_u32_e32 v1, 1, v15
	v_and_b32_e32 v9, 0x1fffffe, v1
	v_cmp_ne_u32_e32 vcc, v1, v9
	v_lshl_or_b32 v8, v9, 8, v0
	s_orn2_b64 s[0:1], vcc, exec
.LBB356_207:
	s_or_b64 exec, exec, s[8:9]
	s_andn2_b64 s[4:5], s[4:5], exec
	s_and_b64 s[0:1], s[0:1], exec
	s_or_b64 s[4:5], s[4:5], s[0:1]
.LBB356_208:
	s_or_b64 exec, exec, s[6:7]
	s_and_b64 exec, exec, s[4:5]
	s_cbranch_execz .LBB356_211
; %bb.209:
	v_lshlrev_b32_e32 v1, 2, v8
	s_mov_b64 s[0:1], 0
	v_mov_b32_e32 v9, 0
.LBB356_210:                            ; =>This Inner Loop Header: Depth=1
	v_lshlrev_b64 v[10:11], 2, v[8:9]
	ds_read_b32 v15, v1
	v_add_co_u32_e32 v10, vcc, v13, v10
	v_add_u32_e32 v8, 0x100, v8
	v_addc_co_u32_e32 v11, vcc, v14, v11, vcc
	v_cmp_ge_u32_e32 vcc, v8, v3
	v_add_u32_e32 v1, 0x400, v1
	s_or_b64 s[0:1], vcc, s[0:1]
	s_waitcnt lgkmcnt(0)
	global_store_dword v[10:11], v15, off
	s_andn2_b64 exec, exec, s[0:1]
	s_cbranch_execnz .LBB356_210
.LBB356_211:
	s_or_b64 exec, exec, s[2:3]
.LBB356_212:
	s_movk_i32 s0, 0xff
	v_cmp_eq_u32_e32 vcc, s0, v0
	s_and_b64 s[0:1], vcc, s[34:35]
	s_and_saveexec_b64 s[2:3], s[0:1]
	s_cbranch_execz .LBB356_215
; %bb.213:
	v_add_co_u32_e32 v0, vcc, v2, v4
	v_addc_co_u32_e64 v1, s[0:1], 0, 0, vcc
	v_add_co_u32_e32 v0, vcc, v0, v6
	v_mov_b32_e32 v3, 0
	v_addc_co_u32_e32 v1, vcc, v1, v7, vcc
	s_cmpk_lg_i32 s33, 0xf00
	global_store_dwordx2 v3, v[0:1], s[54:55]
	s_cbranch_scc1 .LBB356_215
; %bb.214:
	v_lshlrev_b64 v[0:1], 2, v[2:3]
	v_add_co_u32_e32 v0, vcc, v5, v0
	v_addc_co_u32_e32 v1, vcc, v12, v1, vcc
	global_store_dword v[0:1], v28, off offset:-4
.LBB356_215:
	s_endpgm
.LBB356_216:
                                        ; implicit-def: $sgpr4_sgpr5
                                        ; implicit-def: $vgpr80
                                        ; implicit-def: $vgpr5
                                        ; implicit-def: $vgpr81
                                        ; implicit-def: $vgpr23
                                        ; implicit-def: $vgpr22
                                        ; implicit-def: $vgpr25
                                        ; implicit-def: $vgpr24
                                        ; implicit-def: $vgpr27
                                        ; implicit-def: $vgpr26
                                        ; implicit-def: $vgpr31
                                        ; implicit-def: $vgpr30
                                        ; implicit-def: $vgpr33
                                        ; implicit-def: $vgpr32
                                        ; implicit-def: $vgpr35
	s_cbranch_execz .LBB356_110
.LBB356_217:
	v_mov_b32_e32 v29, 0
	v_lshlrev_b32_e32 v4, 2, v0
	v_cmp_gt_u64_e32 vcc, s[2:3], v[28:29]
	v_mov_b32_e32 v80, 0
	ds_write_b32 v4, v1
	s_and_saveexec_b64 s[4:5], vcc
	s_cbranch_execz .LBB356_219
; %bb.218:
	s_mov_b32 s7, 0x66666667
	v_mul_hi_i32 v3, v9, s7
	v_lshrrev_b32_e32 v5, 31, v3
	v_ashrrev_i32_e32 v3, 2, v3
	v_add_u32_e32 v3, v3, v5
	v_mul_hi_i32 v5, v1, s7
	s_waitcnt vmcnt(0) lgkmcnt(0)
	v_lshrrev_b32_e32 v6, 31, v5
	v_ashrrev_i32_e32 v5, 2, v5
	v_add_u32_e32 v5, v5, v6
	v_cmp_ne_u32_e32 vcc, v3, v5
	v_cndmask_b32_e64 v80, 0, 1, vcc
.LBB356_219:
	s_or_b64 exec, exec, s[4:5]
	v_add_u32_e32 v28, 13, v2
	v_cmp_gt_u64_e32 vcc, s[2:3], v[28:29]
	s_and_saveexec_b64 s[4:5], vcc
	s_cbranch_execz .LBB356_221
; %bb.220:
	s_mov_b32 s7, 0x66666667
	v_mul_hi_i32 v3, v8, s7
	v_lshrrev_b32_e32 v5, 31, v3
	v_ashrrev_i32_e32 v3, 2, v3
	v_add_u32_e32 v3, v3, v5
	v_mul_hi_i32 v5, v9, s7
	s_waitcnt vmcnt(0) lgkmcnt(0)
	v_lshrrev_b32_e32 v6, 31, v5
	v_ashrrev_i32_e32 v5, 2, v5
	v_add_u32_e32 v5, v5, v6
	v_cmp_ne_u32_e32 vcc, v3, v5
	v_cndmask_b32_e64 v29, 0, 1, vcc
.LBB356_221:
	s_or_b64 exec, exec, s[4:5]
	v_add_u32_e32 v22, 12, v2
	v_mov_b32_e32 v23, 0
	v_cmp_gt_u64_e32 vcc, s[2:3], v[22:23]
	v_mov_b32_e32 v81, 0
	s_and_saveexec_b64 s[4:5], vcc
	s_cbranch_execz .LBB356_223
; %bb.222:
	s_mov_b32 s7, 0x66666667
	v_mul_hi_i32 v3, v11, s7
	v_lshrrev_b32_e32 v5, 31, v3
	v_ashrrev_i32_e32 v3, 2, v3
	v_add_u32_e32 v3, v3, v5
	v_mul_hi_i32 v5, v8, s7
	s_waitcnt vmcnt(0) lgkmcnt(0)
	v_lshrrev_b32_e32 v6, 31, v5
	v_ashrrev_i32_e32 v5, 2, v5
	v_add_u32_e32 v5, v5, v6
	v_cmp_ne_u32_e32 vcc, v3, v5
	v_cndmask_b32_e64 v81, 0, 1, vcc
.LBB356_223:
	s_or_b64 exec, exec, s[4:5]
	v_add_u32_e32 v22, 11, v2
	v_cmp_gt_u64_e32 vcc, s[2:3], v[22:23]
	s_and_saveexec_b64 s[4:5], vcc
	s_cbranch_execz .LBB356_225
; %bb.224:
	s_mov_b32 s7, 0x66666667
	v_mul_hi_i32 v3, v10, s7
	v_lshrrev_b32_e32 v5, 31, v3
	v_ashrrev_i32_e32 v3, 2, v3
	v_add_u32_e32 v3, v3, v5
	v_mul_hi_i32 v5, v11, s7
	s_waitcnt vmcnt(0) lgkmcnt(0)
	v_lshrrev_b32_e32 v6, 31, v5
	v_ashrrev_i32_e32 v5, 2, v5
	v_add_u32_e32 v5, v5, v6
	v_cmp_ne_u32_e32 vcc, v3, v5
	v_cndmask_b32_e64 v23, 0, 1, vcc
.LBB356_225:
	s_or_b64 exec, exec, s[4:5]
	v_add_u32_e32 v24, 10, v2
	v_mov_b32_e32 v25, 0
	v_cmp_gt_u64_e32 vcc, s[2:3], v[24:25]
	v_mov_b32_e32 v22, 0
	;; [unrolled: 40-line block ×6, first 2 shown]
	s_and_saveexec_b64 s[4:5], vcc
	s_cbranch_execz .LBB356_243
; %bb.242:
	s_mov_b32 s7, 0x66666667
	v_mul_hi_i32 v3, v21, s7
	v_lshrrev_b32_e32 v5, 31, v3
	v_ashrrev_i32_e32 v3, 2, v3
	v_add_u32_e32 v3, v3, v5
	v_mul_hi_i32 v5, v18, s7
	s_waitcnt vmcnt(0) lgkmcnt(0)
	v_lshrrev_b32_e32 v6, 31, v5
	v_ashrrev_i32_e32 v5, 2, v5
	v_add_u32_e32 v5, v5, v6
	v_cmp_ne_u32_e32 vcc, v3, v5
	v_cndmask_b32_e64 v32, 0, 1, vcc
.LBB356_243:
	s_or_b64 exec, exec, s[4:5]
	v_add_u32_e32 v34, 1, v2
	v_cmp_gt_u64_e32 vcc, s[2:3], v[34:35]
	s_and_saveexec_b64 s[4:5], vcc
	s_cbranch_execz .LBB356_245
; %bb.244:
	s_mov_b32 s7, 0x66666667
	v_mul_hi_i32 v3, v20, s7
	v_lshrrev_b32_e32 v5, 31, v3
	v_ashrrev_i32_e32 v3, 2, v3
	v_add_u32_e32 v3, v3, v5
	v_mul_hi_i32 v5, v21, s7
	s_waitcnt vmcnt(0) lgkmcnt(0)
	v_lshrrev_b32_e32 v6, 31, v5
	v_ashrrev_i32_e32 v5, 2, v5
	v_add_u32_e32 v5, v5, v6
	v_cmp_ne_u32_e32 vcc, v3, v5
	v_cndmask_b32_e64 v35, 0, 1, vcc
.LBB356_245:
	s_or_b64 exec, exec, s[4:5]
	v_cmp_ne_u32_e32 vcc, 0, v0
	s_waitcnt lgkmcnt(0)
	s_barrier
	s_waitcnt lgkmcnt(0)
                                        ; implicit-def: $sgpr4_sgpr5
	s_and_saveexec_b64 s[8:9], vcc
	s_cbranch_execz .LBB356_249
; %bb.246:
	v_mov_b32_e32 v3, 0
	v_cmp_gt_u64_e32 vcc, s[2:3], v[2:3]
	s_mov_b64 s[4:5], 0
	s_and_saveexec_b64 s[2:3], vcc
	s_cbranch_execz .LBB356_248
; %bb.247:
	v_add_u32_e32 v2, -4, v4
	ds_read_b32 v2, v2
	s_mov_b32 s4, 0x66666667
	v_mul_hi_i32 v3, v20, s4
	v_lshrrev_b32_e32 v4, 31, v3
	v_ashrrev_i32_e32 v3, 2, v3
	s_waitcnt lgkmcnt(0)
	v_mul_hi_i32 v2, v2, s4
	v_lshrrev_b32_e32 v5, 31, v2
	v_ashrrev_i32_e32 v2, 2, v2
	v_add_u32_e32 v2, v2, v5
	v_add_u32_e32 v3, v3, v4
	v_cmp_ne_u32_e32 vcc, v2, v3
	s_and_b64 s[4:5], vcc, exec
.LBB356_248:
	s_or_b64 exec, exec, s[2:3]
	s_and_b64 s[4:5], s[4:5], exec
	s_or_b64 s[0:1], s[0:1], exec
.LBB356_249:
	s_or_b64 exec, exec, s[8:9]
	s_mov_b32 s10, 1
	v_mov_b32_e32 v5, v29
	v_mov_b32_e32 v34, s10
	s_and_saveexec_b64 s[2:3], s[0:1]
	s_cbranch_execnz .LBB356_112
	s_branch .LBB356_113
.LBB356_250:
	s_and_saveexec_b64 s[40:41], s[28:29]
	s_cbranch_execnz .LBB356_318
; %bb.251:
	s_or_b64 exec, exec, s[40:41]
	s_and_saveexec_b64 s[40:41], s[26:27]
	s_cbranch_execnz .LBB356_319
.LBB356_252:
	s_or_b64 exec, exec, s[40:41]
	s_and_saveexec_b64 s[40:41], s[24:25]
	s_cbranch_execnz .LBB356_320
.LBB356_253:
	s_or_b64 exec, exec, s[40:41]
	s_and_saveexec_b64 s[40:41], s[22:23]
	s_cbranch_execnz .LBB356_321
.LBB356_254:
	s_or_b64 exec, exec, s[40:41]
	s_and_saveexec_b64 s[40:41], s[20:21]
	s_cbranch_execnz .LBB356_322
.LBB356_255:
	s_or_b64 exec, exec, s[40:41]
	s_and_saveexec_b64 s[40:41], s[18:19]
	s_cbranch_execnz .LBB356_323
.LBB356_256:
	s_or_b64 exec, exec, s[40:41]
	s_and_saveexec_b64 s[40:41], s[16:17]
	s_cbranch_execnz .LBB356_324
.LBB356_257:
	s_or_b64 exec, exec, s[40:41]
	s_and_saveexec_b64 s[40:41], s[14:15]
	s_cbranch_execnz .LBB356_325
.LBB356_258:
	s_or_b64 exec, exec, s[40:41]
	s_and_saveexec_b64 s[40:41], s[12:13]
	s_cbranch_execnz .LBB356_326
.LBB356_259:
	s_or_b64 exec, exec, s[40:41]
	s_and_saveexec_b64 s[40:41], s[10:11]
	s_cbranch_execnz .LBB356_327
.LBB356_260:
	s_or_b64 exec, exec, s[40:41]
	s_and_saveexec_b64 s[40:41], s[8:9]
	s_cbranch_execnz .LBB356_328
.LBB356_261:
	s_or_b64 exec, exec, s[40:41]
	s_and_saveexec_b64 s[40:41], s[6:7]
	s_cbranch_execnz .LBB356_329
.LBB356_262:
	s_or_b64 exec, exec, s[40:41]
	s_and_saveexec_b64 s[40:41], s[4:5]
	s_cbranch_execnz .LBB356_330
.LBB356_263:
	s_or_b64 exec, exec, s[40:41]
	s_and_saveexec_b64 s[40:41], s[2:3]
	s_cbranch_execz .LBB356_265
.LBB356_264:
	v_sub_u32_e32 v42, v52, v4
	v_mov_b32_e32 v43, 0
	v_lshlrev_b64 v[42:43], 2, v[42:43]
	v_add_co_u32_e32 v42, vcc, v3, v42
	v_addc_co_u32_e32 v43, vcc, v5, v43, vcc
	global_store_dword v[42:43], v9, off
.LBB356_265:
	s_or_b64 exec, exec, s[40:41]
	s_and_b64 s[40:41], s[0:1], exec
	s_andn2_saveexec_b64 s[30:31], s[30:31]
	s_cbranch_execz .LBB356_158
.LBB356_266:
	v_sub_u32_e32 v42, v78, v4
	v_mov_b32_e32 v43, 0
	v_lshlrev_b64 v[44:45], 2, v[42:43]
	v_add_co_u32_e32 v44, vcc, v3, v44
	v_addc_co_u32_e32 v45, vcc, v5, v45, vcc
	v_sub_u32_e32 v42, v76, v4
	global_store_dword v[44:45], v20, off
	v_lshlrev_b64 v[44:45], 2, v[42:43]
	v_add_co_u32_e32 v44, vcc, v3, v44
	v_addc_co_u32_e32 v45, vcc, v5, v45, vcc
	v_sub_u32_e32 v42, v74, v4
	global_store_dword v[44:45], v21, off
	;; [unrolled: 5-line block ×12, first 2 shown]
	v_lshlrev_b64 v[44:45], 2, v[42:43]
	v_add_co_u32_e32 v44, vcc, v3, v44
	v_sub_u32_e32 v42, v52, v4
	v_addc_co_u32_e32 v45, vcc, v5, v45, vcc
	v_lshlrev_b64 v[42:43], 2, v[42:43]
	v_add_co_u32_e32 v42, vcc, v3, v42
	v_addc_co_u32_e32 v43, vcc, v5, v43, vcc
	s_or_b64 s[40:41], s[40:41], exec
	global_store_dword v[44:45], v8, off
	global_store_dword v[42:43], v9, off
	s_or_b64 exec, exec, s[30:31]
	s_and_b64 exec, exec, s[40:41]
	s_cbranch_execnz .LBB356_159
	s_branch .LBB356_160
.LBB356_267:
	s_and_saveexec_b64 s[40:41], s[28:29]
	s_cbranch_execnz .LBB356_331
; %bb.268:
	s_or_b64 exec, exec, s[40:41]
	s_and_saveexec_b64 s[28:29], s[26:27]
	s_cbranch_execnz .LBB356_332
.LBB356_269:
	s_or_b64 exec, exec, s[28:29]
	s_and_saveexec_b64 s[26:27], s[24:25]
	s_cbranch_execnz .LBB356_333
.LBB356_270:
	s_or_b64 exec, exec, s[26:27]
	s_and_saveexec_b64 s[24:25], s[22:23]
	s_cbranch_execnz .LBB356_334
.LBB356_271:
	s_or_b64 exec, exec, s[24:25]
	s_and_saveexec_b64 s[22:23], s[20:21]
	s_cbranch_execnz .LBB356_335
.LBB356_272:
	s_or_b64 exec, exec, s[22:23]
	s_and_saveexec_b64 s[20:21], s[18:19]
	s_cbranch_execnz .LBB356_336
.LBB356_273:
	s_or_b64 exec, exec, s[20:21]
	s_and_saveexec_b64 s[18:19], s[16:17]
	s_cbranch_execnz .LBB356_337
.LBB356_274:
	s_or_b64 exec, exec, s[18:19]
	s_and_saveexec_b64 s[16:17], s[14:15]
	s_cbranch_execnz .LBB356_338
.LBB356_275:
	s_or_b64 exec, exec, s[16:17]
	s_and_saveexec_b64 s[14:15], s[12:13]
	s_cbranch_execnz .LBB356_339
.LBB356_276:
	s_or_b64 exec, exec, s[14:15]
	s_and_saveexec_b64 s[12:13], s[10:11]
	s_cbranch_execnz .LBB356_340
.LBB356_277:
	s_or_b64 exec, exec, s[12:13]
	s_and_saveexec_b64 s[10:11], s[8:9]
	s_cbranch_execnz .LBB356_341
.LBB356_278:
	s_or_b64 exec, exec, s[10:11]
	s_and_saveexec_b64 s[8:9], s[6:7]
	s_cbranch_execnz .LBB356_342
.LBB356_279:
	s_or_b64 exec, exec, s[8:9]
	s_and_saveexec_b64 s[6:7], s[4:5]
	s_cbranch_execnz .LBB356_343
.LBB356_280:
	s_or_b64 exec, exec, s[6:7]
	s_and_saveexec_b64 s[4:5], s[2:3]
	s_cbranch_execz .LBB356_282
.LBB356_281:
	v_sub_u32_e32 v8, v52, v4
	v_lshlrev_b32_e32 v8, 2, v8
	ds_write_b32 v8, v9
.LBB356_282:
	s_or_b64 exec, exec, s[4:5]
	s_and_b64 s[40:41], s[0:1], exec
                                        ; implicit-def: $vgpr20_vgpr21
                                        ; implicit-def: $vgpr18_vgpr19
                                        ; implicit-def: $vgpr16_vgpr17
                                        ; implicit-def: $vgpr14_vgpr15
                                        ; implicit-def: $vgpr12_vgpr13
                                        ; implicit-def: $vgpr10_vgpr11
                                        ; implicit-def: $vgpr8_vgpr9
	s_andn2_saveexec_b64 s[0:1], s[38:39]
	s_cbranch_execz .LBB356_165
.LBB356_283:
	v_sub_u32_e32 v40, v78, v4
	v_lshlrev_b32_e32 v40, 2, v40
	ds_write_b32 v40, v20
	v_sub_u32_e32 v20, v76, v4
	v_lshlrev_b32_e32 v20, 2, v20
	ds_write_b32 v20, v21
	;; [unrolled: 3-line block ×13, first 2 shown]
	v_sub_u32_e32 v8, v52, v4
	v_lshlrev_b32_e32 v8, 2, v8
	s_or_b64 s[40:41], s[40:41], exec
	ds_write_b32 v8, v9
	s_or_b64 exec, exec, s[0:1]
	s_and_b64 exec, exec, s[40:41]
	s_cbranch_execnz .LBB356_166
	s_branch .LBB356_167
.LBB356_284:
	s_and_saveexec_b64 s[38:39], s[28:29]
	s_cbranch_execnz .LBB356_344
; %bb.285:
	s_or_b64 exec, exec, s[38:39]
	s_and_saveexec_b64 s[38:39], s[26:27]
	s_cbranch_execnz .LBB356_345
.LBB356_286:
	s_or_b64 exec, exec, s[38:39]
	s_and_saveexec_b64 s[38:39], s[24:25]
	s_cbranch_execnz .LBB356_346
.LBB356_287:
	s_or_b64 exec, exec, s[38:39]
	s_and_saveexec_b64 s[38:39], s[22:23]
	s_cbranch_execnz .LBB356_347
.LBB356_288:
	s_or_b64 exec, exec, s[38:39]
	s_and_saveexec_b64 s[38:39], s[20:21]
	s_cbranch_execnz .LBB356_348
.LBB356_289:
	s_or_b64 exec, exec, s[38:39]
	s_and_saveexec_b64 s[38:39], s[18:19]
	s_cbranch_execnz .LBB356_349
.LBB356_290:
	s_or_b64 exec, exec, s[38:39]
	s_and_saveexec_b64 s[38:39], s[16:17]
	s_cbranch_execnz .LBB356_350
.LBB356_291:
	s_or_b64 exec, exec, s[38:39]
	s_and_saveexec_b64 s[38:39], s[14:15]
	s_cbranch_execnz .LBB356_351
.LBB356_292:
	s_or_b64 exec, exec, s[38:39]
	s_and_saveexec_b64 s[38:39], s[12:13]
	s_cbranch_execnz .LBB356_352
.LBB356_293:
	s_or_b64 exec, exec, s[38:39]
	s_and_saveexec_b64 s[38:39], s[10:11]
	s_cbranch_execnz .LBB356_353
.LBB356_294:
	s_or_b64 exec, exec, s[38:39]
	s_and_saveexec_b64 s[38:39], s[8:9]
	s_cbranch_execnz .LBB356_354
.LBB356_295:
	s_or_b64 exec, exec, s[38:39]
	s_and_saveexec_b64 s[38:39], s[6:7]
	s_cbranch_execnz .LBB356_355
.LBB356_296:
	s_or_b64 exec, exec, s[38:39]
	s_and_saveexec_b64 s[38:39], s[4:5]
	s_cbranch_execnz .LBB356_356
.LBB356_297:
	s_or_b64 exec, exec, s[38:39]
	s_and_saveexec_b64 s[38:39], s[2:3]
	s_cbranch_execz .LBB356_299
.LBB356_298:
	v_sub_u32_e32 v16, v52, v9
	v_mov_b32_e32 v17, 0
	v_lshlrev_b64 v[16:17], 2, v[16:17]
	v_add_co_u32_e32 v16, vcc, v13, v16
	v_addc_co_u32_e32 v17, vcc, v14, v17, vcc
	global_store_dword v[16:17], v53, off
.LBB356_299:
	s_or_b64 exec, exec, s[38:39]
	s_and_b64 s[38:39], s[0:1], exec
	s_andn2_saveexec_b64 s[30:31], s[30:31]
	s_cbranch_execz .LBB356_187
.LBB356_300:
	v_sub_u32_e32 v16, v78, v9
	v_mov_b32_e32 v17, 0
	v_lshlrev_b64 v[18:19], 2, v[16:17]
	v_add_co_u32_e32 v18, vcc, v13, v18
	v_addc_co_u32_e32 v19, vcc, v14, v19, vcc
	v_sub_u32_e32 v16, v76, v9
	global_store_dword v[18:19], v79, off
	v_lshlrev_b64 v[18:19], 2, v[16:17]
	v_add_co_u32_e32 v18, vcc, v13, v18
	v_addc_co_u32_e32 v19, vcc, v14, v19, vcc
	v_sub_u32_e32 v16, v74, v9
	global_store_dword v[18:19], v77, off
	;; [unrolled: 5-line block ×12, first 2 shown]
	v_lshlrev_b64 v[18:19], 2, v[16:17]
	v_add_co_u32_e32 v18, vcc, v13, v18
	v_sub_u32_e32 v16, v52, v9
	v_addc_co_u32_e32 v19, vcc, v14, v19, vcc
	v_lshlrev_b64 v[16:17], 2, v[16:17]
	v_add_co_u32_e32 v16, vcc, v13, v16
	v_addc_co_u32_e32 v17, vcc, v14, v17, vcc
	s_or_b64 s[38:39], s[38:39], exec
	global_store_dword v[18:19], v55, off
	global_store_dword v[16:17], v53, off
	s_or_b64 exec, exec, s[30:31]
	s_and_b64 exec, exec, s[38:39]
	s_cbranch_execnz .LBB356_188
	s_branch .LBB356_189
.LBB356_301:
	s_and_saveexec_b64 s[38:39], s[28:29]
	s_cbranch_execnz .LBB356_357
; %bb.302:
	s_or_b64 exec, exec, s[38:39]
	s_and_saveexec_b64 s[28:29], s[26:27]
	s_cbranch_execnz .LBB356_358
.LBB356_303:
	s_or_b64 exec, exec, s[28:29]
	s_and_saveexec_b64 s[26:27], s[24:25]
	s_cbranch_execnz .LBB356_359
.LBB356_304:
	s_or_b64 exec, exec, s[26:27]
	s_and_saveexec_b64 s[24:25], s[22:23]
	s_cbranch_execnz .LBB356_360
.LBB356_305:
	s_or_b64 exec, exec, s[24:25]
	s_and_saveexec_b64 s[22:23], s[20:21]
	s_cbranch_execnz .LBB356_361
.LBB356_306:
	s_or_b64 exec, exec, s[22:23]
	s_and_saveexec_b64 s[20:21], s[18:19]
	s_cbranch_execnz .LBB356_362
.LBB356_307:
	s_or_b64 exec, exec, s[20:21]
	s_and_saveexec_b64 s[18:19], s[16:17]
	s_cbranch_execnz .LBB356_363
.LBB356_308:
	s_or_b64 exec, exec, s[18:19]
	s_and_saveexec_b64 s[16:17], s[14:15]
	s_cbranch_execnz .LBB356_364
.LBB356_309:
	s_or_b64 exec, exec, s[16:17]
	s_and_saveexec_b64 s[14:15], s[12:13]
	s_cbranch_execnz .LBB356_365
.LBB356_310:
	s_or_b64 exec, exec, s[14:15]
	s_and_saveexec_b64 s[12:13], s[10:11]
	s_cbranch_execnz .LBB356_366
.LBB356_311:
	s_or_b64 exec, exec, s[12:13]
	s_and_saveexec_b64 s[10:11], s[8:9]
	s_cbranch_execnz .LBB356_367
.LBB356_312:
	s_or_b64 exec, exec, s[10:11]
	s_and_saveexec_b64 s[8:9], s[6:7]
	s_cbranch_execnz .LBB356_368
.LBB356_313:
	s_or_b64 exec, exec, s[8:9]
	s_and_saveexec_b64 s[6:7], s[4:5]
	s_cbranch_execnz .LBB356_369
.LBB356_314:
	s_or_b64 exec, exec, s[6:7]
	s_and_saveexec_b64 s[4:5], s[2:3]
	s_cbranch_execz .LBB356_316
.LBB356_315:
	v_sub_u32_e32 v10, v52, v9
	v_lshlrev_b32_e32 v10, 2, v10
	ds_write_b32 v10, v53
.LBB356_316:
	s_or_b64 exec, exec, s[4:5]
	s_and_b64 s[38:39], s[0:1], exec
                                        ; implicit-def: $vgpr78_vgpr79
                                        ; implicit-def: $vgpr76_vgpr77
                                        ; implicit-def: $vgpr74_vgpr75
                                        ; implicit-def: $vgpr72_vgpr73
                                        ; implicit-def: $vgpr70_vgpr71
                                        ; implicit-def: $vgpr68_vgpr69
                                        ; implicit-def: $vgpr66_vgpr67
                                        ; implicit-def: $vgpr64_vgpr65
                                        ; implicit-def: $vgpr62_vgpr63
                                        ; implicit-def: $vgpr60_vgpr61
                                        ; implicit-def: $vgpr58_vgpr59
                                        ; implicit-def: $vgpr56_vgpr57
                                        ; implicit-def: $vgpr54_vgpr55
                                        ; implicit-def: $vgpr52_vgpr53
	s_andn2_saveexec_b64 s[0:1], s[36:37]
	s_cbranch_execz .LBB356_194
.LBB356_317:
	v_sub_u32_e32 v10, v78, v9
	v_lshlrev_b32_e32 v10, 2, v10
	ds_write_b32 v10, v79
	v_sub_u32_e32 v10, v76, v9
	v_lshlrev_b32_e32 v10, 2, v10
	ds_write_b32 v10, v77
	;; [unrolled: 3-line block ×13, first 2 shown]
	v_sub_u32_e32 v10, v52, v9
	v_lshlrev_b32_e32 v10, 2, v10
	s_or_b64 s[38:39], s[38:39], exec
	ds_write_b32 v10, v53
	s_or_b64 exec, exec, s[0:1]
	s_and_b64 exec, exec, s[38:39]
	s_cbranch_execnz .LBB356_195
	s_branch .LBB356_196
.LBB356_318:
	v_sub_u32_e32 v42, v78, v4
	v_mov_b32_e32 v43, 0
	v_lshlrev_b64 v[42:43], 2, v[42:43]
	v_add_co_u32_e32 v42, vcc, v3, v42
	v_addc_co_u32_e32 v43, vcc, v5, v43, vcc
	global_store_dword v[42:43], v20, off
	s_or_b64 exec, exec, s[40:41]
	s_and_saveexec_b64 s[40:41], s[26:27]
	s_cbranch_execz .LBB356_252
.LBB356_319:
	v_sub_u32_e32 v42, v76, v4
	v_mov_b32_e32 v43, 0
	v_lshlrev_b64 v[42:43], 2, v[42:43]
	v_add_co_u32_e32 v42, vcc, v3, v42
	v_addc_co_u32_e32 v43, vcc, v5, v43, vcc
	global_store_dword v[42:43], v21, off
	s_or_b64 exec, exec, s[40:41]
	s_and_saveexec_b64 s[40:41], s[24:25]
	s_cbranch_execz .LBB356_253
.LBB356_320:
	v_sub_u32_e32 v42, v74, v4
	v_mov_b32_e32 v43, 0
	v_lshlrev_b64 v[42:43], 2, v[42:43]
	v_add_co_u32_e32 v42, vcc, v3, v42
	v_addc_co_u32_e32 v43, vcc, v5, v43, vcc
	global_store_dword v[42:43], v18, off
	s_or_b64 exec, exec, s[40:41]
	s_and_saveexec_b64 s[40:41], s[22:23]
	s_cbranch_execz .LBB356_254
.LBB356_321:
	v_sub_u32_e32 v42, v72, v4
	v_mov_b32_e32 v43, 0
	v_lshlrev_b64 v[42:43], 2, v[42:43]
	v_add_co_u32_e32 v42, vcc, v3, v42
	v_addc_co_u32_e32 v43, vcc, v5, v43, vcc
	global_store_dword v[42:43], v19, off
	s_or_b64 exec, exec, s[40:41]
	s_and_saveexec_b64 s[40:41], s[20:21]
	s_cbranch_execz .LBB356_255
.LBB356_322:
	v_sub_u32_e32 v42, v70, v4
	v_mov_b32_e32 v43, 0
	v_lshlrev_b64 v[42:43], 2, v[42:43]
	v_add_co_u32_e32 v42, vcc, v3, v42
	v_addc_co_u32_e32 v43, vcc, v5, v43, vcc
	global_store_dword v[42:43], v16, off
	s_or_b64 exec, exec, s[40:41]
	s_and_saveexec_b64 s[40:41], s[18:19]
	s_cbranch_execz .LBB356_256
.LBB356_323:
	v_sub_u32_e32 v42, v68, v4
	v_mov_b32_e32 v43, 0
	v_lshlrev_b64 v[42:43], 2, v[42:43]
	v_add_co_u32_e32 v42, vcc, v3, v42
	v_addc_co_u32_e32 v43, vcc, v5, v43, vcc
	global_store_dword v[42:43], v17, off
	s_or_b64 exec, exec, s[40:41]
	s_and_saveexec_b64 s[40:41], s[16:17]
	s_cbranch_execz .LBB356_257
.LBB356_324:
	v_sub_u32_e32 v42, v66, v4
	v_mov_b32_e32 v43, 0
	v_lshlrev_b64 v[42:43], 2, v[42:43]
	v_add_co_u32_e32 v42, vcc, v3, v42
	v_addc_co_u32_e32 v43, vcc, v5, v43, vcc
	global_store_dword v[42:43], v14, off
	s_or_b64 exec, exec, s[40:41]
	s_and_saveexec_b64 s[40:41], s[14:15]
	s_cbranch_execz .LBB356_258
.LBB356_325:
	v_sub_u32_e32 v42, v64, v4
	v_mov_b32_e32 v43, 0
	v_lshlrev_b64 v[42:43], 2, v[42:43]
	v_add_co_u32_e32 v42, vcc, v3, v42
	v_addc_co_u32_e32 v43, vcc, v5, v43, vcc
	global_store_dword v[42:43], v15, off
	s_or_b64 exec, exec, s[40:41]
	s_and_saveexec_b64 s[40:41], s[12:13]
	s_cbranch_execz .LBB356_259
.LBB356_326:
	v_sub_u32_e32 v42, v62, v4
	v_mov_b32_e32 v43, 0
	v_lshlrev_b64 v[42:43], 2, v[42:43]
	v_add_co_u32_e32 v42, vcc, v3, v42
	v_addc_co_u32_e32 v43, vcc, v5, v43, vcc
	global_store_dword v[42:43], v12, off
	s_or_b64 exec, exec, s[40:41]
	s_and_saveexec_b64 s[40:41], s[10:11]
	s_cbranch_execz .LBB356_260
.LBB356_327:
	v_sub_u32_e32 v42, v60, v4
	v_mov_b32_e32 v43, 0
	v_lshlrev_b64 v[42:43], 2, v[42:43]
	v_add_co_u32_e32 v42, vcc, v3, v42
	v_addc_co_u32_e32 v43, vcc, v5, v43, vcc
	global_store_dword v[42:43], v13, off
	s_or_b64 exec, exec, s[40:41]
	s_and_saveexec_b64 s[40:41], s[8:9]
	s_cbranch_execz .LBB356_261
.LBB356_328:
	v_sub_u32_e32 v42, v58, v4
	v_mov_b32_e32 v43, 0
	v_lshlrev_b64 v[42:43], 2, v[42:43]
	v_add_co_u32_e32 v42, vcc, v3, v42
	v_addc_co_u32_e32 v43, vcc, v5, v43, vcc
	global_store_dword v[42:43], v10, off
	s_or_b64 exec, exec, s[40:41]
	s_and_saveexec_b64 s[40:41], s[6:7]
	s_cbranch_execz .LBB356_262
.LBB356_329:
	v_sub_u32_e32 v42, v56, v4
	v_mov_b32_e32 v43, 0
	v_lshlrev_b64 v[42:43], 2, v[42:43]
	v_add_co_u32_e32 v42, vcc, v3, v42
	v_addc_co_u32_e32 v43, vcc, v5, v43, vcc
	global_store_dword v[42:43], v11, off
	s_or_b64 exec, exec, s[40:41]
	s_and_saveexec_b64 s[40:41], s[4:5]
	s_cbranch_execz .LBB356_263
.LBB356_330:
	v_sub_u32_e32 v42, v54, v4
	v_mov_b32_e32 v43, 0
	v_lshlrev_b64 v[42:43], 2, v[42:43]
	v_add_co_u32_e32 v42, vcc, v3, v42
	v_addc_co_u32_e32 v43, vcc, v5, v43, vcc
	global_store_dword v[42:43], v8, off
	s_or_b64 exec, exec, s[40:41]
	s_and_saveexec_b64 s[40:41], s[2:3]
	s_cbranch_execnz .LBB356_264
	s_branch .LBB356_265
.LBB356_331:
	v_sub_u32_e32 v40, v78, v4
	v_lshlrev_b32_e32 v40, 2, v40
	ds_write_b32 v40, v20
	s_or_b64 exec, exec, s[40:41]
	s_and_saveexec_b64 s[28:29], s[26:27]
	s_cbranch_execz .LBB356_269
.LBB356_332:
	v_sub_u32_e32 v20, v76, v4
	v_lshlrev_b32_e32 v20, 2, v20
	ds_write_b32 v20, v21
	s_or_b64 exec, exec, s[28:29]
	s_and_saveexec_b64 s[26:27], s[24:25]
	s_cbranch_execz .LBB356_270
.LBB356_333:
	v_sub_u32_e32 v20, v74, v4
	v_lshlrev_b32_e32 v20, 2, v20
	ds_write_b32 v20, v18
	s_or_b64 exec, exec, s[26:27]
	s_and_saveexec_b64 s[24:25], s[22:23]
	s_cbranch_execz .LBB356_271
.LBB356_334:
	v_sub_u32_e32 v18, v72, v4
	v_lshlrev_b32_e32 v18, 2, v18
	ds_write_b32 v18, v19
	s_or_b64 exec, exec, s[24:25]
	s_and_saveexec_b64 s[22:23], s[20:21]
	s_cbranch_execz .LBB356_272
.LBB356_335:
	v_sub_u32_e32 v18, v70, v4
	v_lshlrev_b32_e32 v18, 2, v18
	ds_write_b32 v18, v16
	s_or_b64 exec, exec, s[22:23]
	s_and_saveexec_b64 s[20:21], s[18:19]
	s_cbranch_execz .LBB356_273
.LBB356_336:
	v_sub_u32_e32 v16, v68, v4
	v_lshlrev_b32_e32 v16, 2, v16
	ds_write_b32 v16, v17
	s_or_b64 exec, exec, s[20:21]
	s_and_saveexec_b64 s[18:19], s[16:17]
	s_cbranch_execz .LBB356_274
.LBB356_337:
	v_sub_u32_e32 v16, v66, v4
	v_lshlrev_b32_e32 v16, 2, v16
	ds_write_b32 v16, v14
	s_or_b64 exec, exec, s[18:19]
	s_and_saveexec_b64 s[16:17], s[14:15]
	s_cbranch_execz .LBB356_275
.LBB356_338:
	v_sub_u32_e32 v14, v64, v4
	v_lshlrev_b32_e32 v14, 2, v14
	ds_write_b32 v14, v15
	s_or_b64 exec, exec, s[16:17]
	s_and_saveexec_b64 s[14:15], s[12:13]
	s_cbranch_execz .LBB356_276
.LBB356_339:
	v_sub_u32_e32 v14, v62, v4
	v_lshlrev_b32_e32 v14, 2, v14
	ds_write_b32 v14, v12
	s_or_b64 exec, exec, s[14:15]
	s_and_saveexec_b64 s[12:13], s[10:11]
	s_cbranch_execz .LBB356_277
.LBB356_340:
	v_sub_u32_e32 v12, v60, v4
	v_lshlrev_b32_e32 v12, 2, v12
	ds_write_b32 v12, v13
	s_or_b64 exec, exec, s[12:13]
	s_and_saveexec_b64 s[10:11], s[8:9]
	s_cbranch_execz .LBB356_278
.LBB356_341:
	v_sub_u32_e32 v12, v58, v4
	v_lshlrev_b32_e32 v12, 2, v12
	ds_write_b32 v12, v10
	s_or_b64 exec, exec, s[10:11]
	s_and_saveexec_b64 s[8:9], s[6:7]
	s_cbranch_execz .LBB356_279
.LBB356_342:
	v_sub_u32_e32 v10, v56, v4
	v_lshlrev_b32_e32 v10, 2, v10
	ds_write_b32 v10, v11
	s_or_b64 exec, exec, s[8:9]
	s_and_saveexec_b64 s[6:7], s[4:5]
	s_cbranch_execz .LBB356_280
.LBB356_343:
	v_sub_u32_e32 v10, v54, v4
	v_lshlrev_b32_e32 v10, 2, v10
	ds_write_b32 v10, v8
	s_or_b64 exec, exec, s[6:7]
	s_and_saveexec_b64 s[4:5], s[2:3]
	s_cbranch_execnz .LBB356_281
	s_branch .LBB356_282
.LBB356_344:
	v_sub_u32_e32 v16, v78, v9
	v_mov_b32_e32 v17, 0
	v_lshlrev_b64 v[16:17], 2, v[16:17]
	v_add_co_u32_e32 v16, vcc, v13, v16
	v_addc_co_u32_e32 v17, vcc, v14, v17, vcc
	global_store_dword v[16:17], v79, off
	s_or_b64 exec, exec, s[38:39]
	s_and_saveexec_b64 s[38:39], s[26:27]
	s_cbranch_execz .LBB356_286
.LBB356_345:
	v_sub_u32_e32 v16, v76, v9
	v_mov_b32_e32 v17, 0
	v_lshlrev_b64 v[16:17], 2, v[16:17]
	v_add_co_u32_e32 v16, vcc, v13, v16
	v_addc_co_u32_e32 v17, vcc, v14, v17, vcc
	global_store_dword v[16:17], v77, off
	s_or_b64 exec, exec, s[38:39]
	s_and_saveexec_b64 s[38:39], s[24:25]
	s_cbranch_execz .LBB356_287
.LBB356_346:
	v_sub_u32_e32 v16, v74, v9
	v_mov_b32_e32 v17, 0
	v_lshlrev_b64 v[16:17], 2, v[16:17]
	v_add_co_u32_e32 v16, vcc, v13, v16
	v_addc_co_u32_e32 v17, vcc, v14, v17, vcc
	global_store_dword v[16:17], v75, off
	s_or_b64 exec, exec, s[38:39]
	s_and_saveexec_b64 s[38:39], s[22:23]
	s_cbranch_execz .LBB356_288
.LBB356_347:
	v_sub_u32_e32 v16, v72, v9
	v_mov_b32_e32 v17, 0
	v_lshlrev_b64 v[16:17], 2, v[16:17]
	v_add_co_u32_e32 v16, vcc, v13, v16
	v_addc_co_u32_e32 v17, vcc, v14, v17, vcc
	global_store_dword v[16:17], v73, off
	s_or_b64 exec, exec, s[38:39]
	s_and_saveexec_b64 s[38:39], s[20:21]
	s_cbranch_execz .LBB356_289
.LBB356_348:
	v_sub_u32_e32 v16, v70, v9
	v_mov_b32_e32 v17, 0
	v_lshlrev_b64 v[16:17], 2, v[16:17]
	v_add_co_u32_e32 v16, vcc, v13, v16
	v_addc_co_u32_e32 v17, vcc, v14, v17, vcc
	global_store_dword v[16:17], v71, off
	s_or_b64 exec, exec, s[38:39]
	s_and_saveexec_b64 s[38:39], s[18:19]
	s_cbranch_execz .LBB356_290
.LBB356_349:
	v_sub_u32_e32 v16, v68, v9
	v_mov_b32_e32 v17, 0
	v_lshlrev_b64 v[16:17], 2, v[16:17]
	v_add_co_u32_e32 v16, vcc, v13, v16
	v_addc_co_u32_e32 v17, vcc, v14, v17, vcc
	global_store_dword v[16:17], v69, off
	s_or_b64 exec, exec, s[38:39]
	s_and_saveexec_b64 s[38:39], s[16:17]
	s_cbranch_execz .LBB356_291
.LBB356_350:
	v_sub_u32_e32 v16, v66, v9
	v_mov_b32_e32 v17, 0
	v_lshlrev_b64 v[16:17], 2, v[16:17]
	v_add_co_u32_e32 v16, vcc, v13, v16
	v_addc_co_u32_e32 v17, vcc, v14, v17, vcc
	global_store_dword v[16:17], v67, off
	s_or_b64 exec, exec, s[38:39]
	s_and_saveexec_b64 s[38:39], s[14:15]
	s_cbranch_execz .LBB356_292
.LBB356_351:
	v_sub_u32_e32 v16, v64, v9
	v_mov_b32_e32 v17, 0
	v_lshlrev_b64 v[16:17], 2, v[16:17]
	v_add_co_u32_e32 v16, vcc, v13, v16
	v_addc_co_u32_e32 v17, vcc, v14, v17, vcc
	global_store_dword v[16:17], v65, off
	s_or_b64 exec, exec, s[38:39]
	s_and_saveexec_b64 s[38:39], s[12:13]
	s_cbranch_execz .LBB356_293
.LBB356_352:
	v_sub_u32_e32 v16, v62, v9
	v_mov_b32_e32 v17, 0
	v_lshlrev_b64 v[16:17], 2, v[16:17]
	v_add_co_u32_e32 v16, vcc, v13, v16
	v_addc_co_u32_e32 v17, vcc, v14, v17, vcc
	global_store_dword v[16:17], v63, off
	s_or_b64 exec, exec, s[38:39]
	s_and_saveexec_b64 s[38:39], s[10:11]
	s_cbranch_execz .LBB356_294
.LBB356_353:
	v_sub_u32_e32 v16, v60, v9
	v_mov_b32_e32 v17, 0
	v_lshlrev_b64 v[16:17], 2, v[16:17]
	v_add_co_u32_e32 v16, vcc, v13, v16
	v_addc_co_u32_e32 v17, vcc, v14, v17, vcc
	global_store_dword v[16:17], v61, off
	s_or_b64 exec, exec, s[38:39]
	s_and_saveexec_b64 s[38:39], s[8:9]
	s_cbranch_execz .LBB356_295
.LBB356_354:
	v_sub_u32_e32 v16, v58, v9
	v_mov_b32_e32 v17, 0
	v_lshlrev_b64 v[16:17], 2, v[16:17]
	v_add_co_u32_e32 v16, vcc, v13, v16
	v_addc_co_u32_e32 v17, vcc, v14, v17, vcc
	global_store_dword v[16:17], v59, off
	s_or_b64 exec, exec, s[38:39]
	s_and_saveexec_b64 s[38:39], s[6:7]
	s_cbranch_execz .LBB356_296
.LBB356_355:
	v_sub_u32_e32 v16, v56, v9
	v_mov_b32_e32 v17, 0
	v_lshlrev_b64 v[16:17], 2, v[16:17]
	v_add_co_u32_e32 v16, vcc, v13, v16
	v_addc_co_u32_e32 v17, vcc, v14, v17, vcc
	global_store_dword v[16:17], v57, off
	s_or_b64 exec, exec, s[38:39]
	s_and_saveexec_b64 s[38:39], s[4:5]
	s_cbranch_execz .LBB356_297
.LBB356_356:
	v_sub_u32_e32 v16, v54, v9
	v_mov_b32_e32 v17, 0
	v_lshlrev_b64 v[16:17], 2, v[16:17]
	v_add_co_u32_e32 v16, vcc, v13, v16
	v_addc_co_u32_e32 v17, vcc, v14, v17, vcc
	global_store_dword v[16:17], v55, off
	s_or_b64 exec, exec, s[38:39]
	s_and_saveexec_b64 s[38:39], s[2:3]
	s_cbranch_execnz .LBB356_298
	s_branch .LBB356_299
.LBB356_357:
	v_sub_u32_e32 v10, v78, v9
	v_lshlrev_b32_e32 v10, 2, v10
	ds_write_b32 v10, v79
	s_or_b64 exec, exec, s[38:39]
	s_and_saveexec_b64 s[28:29], s[26:27]
	s_cbranch_execz .LBB356_303
.LBB356_358:
	v_sub_u32_e32 v10, v76, v9
	v_lshlrev_b32_e32 v10, 2, v10
	ds_write_b32 v10, v77
	s_or_b64 exec, exec, s[28:29]
	s_and_saveexec_b64 s[26:27], s[24:25]
	s_cbranch_execz .LBB356_304
.LBB356_359:
	v_sub_u32_e32 v10, v74, v9
	v_lshlrev_b32_e32 v10, 2, v10
	ds_write_b32 v10, v75
	s_or_b64 exec, exec, s[26:27]
	s_and_saveexec_b64 s[24:25], s[22:23]
	s_cbranch_execz .LBB356_305
.LBB356_360:
	v_sub_u32_e32 v10, v72, v9
	v_lshlrev_b32_e32 v10, 2, v10
	ds_write_b32 v10, v73
	s_or_b64 exec, exec, s[24:25]
	s_and_saveexec_b64 s[22:23], s[20:21]
	s_cbranch_execz .LBB356_306
.LBB356_361:
	v_sub_u32_e32 v10, v70, v9
	v_lshlrev_b32_e32 v10, 2, v10
	ds_write_b32 v10, v71
	s_or_b64 exec, exec, s[22:23]
	s_and_saveexec_b64 s[20:21], s[18:19]
	s_cbranch_execz .LBB356_307
.LBB356_362:
	v_sub_u32_e32 v10, v68, v9
	v_lshlrev_b32_e32 v10, 2, v10
	ds_write_b32 v10, v69
	s_or_b64 exec, exec, s[20:21]
	s_and_saveexec_b64 s[18:19], s[16:17]
	s_cbranch_execz .LBB356_308
.LBB356_363:
	v_sub_u32_e32 v10, v66, v9
	v_lshlrev_b32_e32 v10, 2, v10
	ds_write_b32 v10, v67
	s_or_b64 exec, exec, s[18:19]
	s_and_saveexec_b64 s[16:17], s[14:15]
	s_cbranch_execz .LBB356_309
.LBB356_364:
	v_sub_u32_e32 v10, v64, v9
	v_lshlrev_b32_e32 v10, 2, v10
	ds_write_b32 v10, v65
	s_or_b64 exec, exec, s[16:17]
	s_and_saveexec_b64 s[14:15], s[12:13]
	s_cbranch_execz .LBB356_310
.LBB356_365:
	v_sub_u32_e32 v10, v62, v9
	v_lshlrev_b32_e32 v10, 2, v10
	ds_write_b32 v10, v63
	s_or_b64 exec, exec, s[14:15]
	s_and_saveexec_b64 s[12:13], s[10:11]
	s_cbranch_execz .LBB356_311
.LBB356_366:
	v_sub_u32_e32 v10, v60, v9
	v_lshlrev_b32_e32 v10, 2, v10
	ds_write_b32 v10, v61
	s_or_b64 exec, exec, s[12:13]
	s_and_saveexec_b64 s[10:11], s[8:9]
	s_cbranch_execz .LBB356_312
.LBB356_367:
	v_sub_u32_e32 v10, v58, v9
	v_lshlrev_b32_e32 v10, 2, v10
	ds_write_b32 v10, v59
	s_or_b64 exec, exec, s[10:11]
	s_and_saveexec_b64 s[8:9], s[6:7]
	s_cbranch_execz .LBB356_313
.LBB356_368:
	v_sub_u32_e32 v10, v56, v9
	v_lshlrev_b32_e32 v10, 2, v10
	ds_write_b32 v10, v57
	s_or_b64 exec, exec, s[8:9]
	s_and_saveexec_b64 s[6:7], s[4:5]
	s_cbranch_execz .LBB356_314
.LBB356_369:
	v_sub_u32_e32 v10, v54, v9
	v_lshlrev_b32_e32 v10, 2, v10
	ds_write_b32 v10, v55
	s_or_b64 exec, exec, s[6:7]
	s_and_saveexec_b64 s[4:5], s[2:3]
	s_cbranch_execnz .LBB356_315
	s_branch .LBB356_316
	.section	.rodata,"a",@progbits
	.p2align	6, 0x0
	.amdhsa_kernel _ZN7rocprim17ROCPRIM_400000_NS6detail17trampoline_kernelINS0_14default_configENS1_29reduce_by_key_config_selectorIjjN6thrust23THRUST_200600_302600_NS4plusIjEEEEZZNS1_33reduce_by_key_impl_wrapped_configILNS1_25lookback_scan_determinismE0ES3_S9_NS6_6detail15normal_iteratorINS6_10device_ptrIjEEEESG_SG_SG_PmS8_22is_equal_div_10_reduceIjEEE10hipError_tPvRmT2_T3_mT4_T5_T6_T7_T8_P12ihipStream_tbENKUlT_T0_E_clISt17integral_constantIbLb0EES11_EEDaSW_SX_EUlSW_E_NS1_11comp_targetILNS1_3genE4ELNS1_11target_archE910ELNS1_3gpuE8ELNS1_3repE0EEENS1_30default_config_static_selectorELNS0_4arch9wavefront6targetE1EEEvT1_
		.amdhsa_group_segment_fixed_size 15360
		.amdhsa_private_segment_fixed_size 0
		.amdhsa_kernarg_size 120
		.amdhsa_user_sgpr_count 6
		.amdhsa_user_sgpr_private_segment_buffer 1
		.amdhsa_user_sgpr_dispatch_ptr 0
		.amdhsa_user_sgpr_queue_ptr 0
		.amdhsa_user_sgpr_kernarg_segment_ptr 1
		.amdhsa_user_sgpr_dispatch_id 0
		.amdhsa_user_sgpr_flat_scratch_init 0
		.amdhsa_user_sgpr_kernarg_preload_length 0
		.amdhsa_user_sgpr_kernarg_preload_offset 0
		.amdhsa_user_sgpr_private_segment_size 0
		.amdhsa_uses_dynamic_stack 0
		.amdhsa_system_sgpr_private_segment_wavefront_offset 0
		.amdhsa_system_sgpr_workgroup_id_x 1
		.amdhsa_system_sgpr_workgroup_id_y 0
		.amdhsa_system_sgpr_workgroup_id_z 0
		.amdhsa_system_sgpr_workgroup_info 0
		.amdhsa_system_vgpr_workitem_id 0
		.amdhsa_next_free_vgpr 106
		.amdhsa_next_free_sgpr 64
		.amdhsa_accum_offset 108
		.amdhsa_reserve_vcc 1
		.amdhsa_reserve_flat_scratch 0
		.amdhsa_float_round_mode_32 0
		.amdhsa_float_round_mode_16_64 0
		.amdhsa_float_denorm_mode_32 3
		.amdhsa_float_denorm_mode_16_64 3
		.amdhsa_dx10_clamp 1
		.amdhsa_ieee_mode 1
		.amdhsa_fp16_overflow 0
		.amdhsa_tg_split 0
		.amdhsa_exception_fp_ieee_invalid_op 0
		.amdhsa_exception_fp_denorm_src 0
		.amdhsa_exception_fp_ieee_div_zero 0
		.amdhsa_exception_fp_ieee_overflow 0
		.amdhsa_exception_fp_ieee_underflow 0
		.amdhsa_exception_fp_ieee_inexact 0
		.amdhsa_exception_int_div_zero 0
	.end_amdhsa_kernel
	.section	.text._ZN7rocprim17ROCPRIM_400000_NS6detail17trampoline_kernelINS0_14default_configENS1_29reduce_by_key_config_selectorIjjN6thrust23THRUST_200600_302600_NS4plusIjEEEEZZNS1_33reduce_by_key_impl_wrapped_configILNS1_25lookback_scan_determinismE0ES3_S9_NS6_6detail15normal_iteratorINS6_10device_ptrIjEEEESG_SG_SG_PmS8_22is_equal_div_10_reduceIjEEE10hipError_tPvRmT2_T3_mT4_T5_T6_T7_T8_P12ihipStream_tbENKUlT_T0_E_clISt17integral_constantIbLb0EES11_EEDaSW_SX_EUlSW_E_NS1_11comp_targetILNS1_3genE4ELNS1_11target_archE910ELNS1_3gpuE8ELNS1_3repE0EEENS1_30default_config_static_selectorELNS0_4arch9wavefront6targetE1EEEvT1_,"axG",@progbits,_ZN7rocprim17ROCPRIM_400000_NS6detail17trampoline_kernelINS0_14default_configENS1_29reduce_by_key_config_selectorIjjN6thrust23THRUST_200600_302600_NS4plusIjEEEEZZNS1_33reduce_by_key_impl_wrapped_configILNS1_25lookback_scan_determinismE0ES3_S9_NS6_6detail15normal_iteratorINS6_10device_ptrIjEEEESG_SG_SG_PmS8_22is_equal_div_10_reduceIjEEE10hipError_tPvRmT2_T3_mT4_T5_T6_T7_T8_P12ihipStream_tbENKUlT_T0_E_clISt17integral_constantIbLb0EES11_EEDaSW_SX_EUlSW_E_NS1_11comp_targetILNS1_3genE4ELNS1_11target_archE910ELNS1_3gpuE8ELNS1_3repE0EEENS1_30default_config_static_selectorELNS0_4arch9wavefront6targetE1EEEvT1_,comdat
.Lfunc_end356:
	.size	_ZN7rocprim17ROCPRIM_400000_NS6detail17trampoline_kernelINS0_14default_configENS1_29reduce_by_key_config_selectorIjjN6thrust23THRUST_200600_302600_NS4plusIjEEEEZZNS1_33reduce_by_key_impl_wrapped_configILNS1_25lookback_scan_determinismE0ES3_S9_NS6_6detail15normal_iteratorINS6_10device_ptrIjEEEESG_SG_SG_PmS8_22is_equal_div_10_reduceIjEEE10hipError_tPvRmT2_T3_mT4_T5_T6_T7_T8_P12ihipStream_tbENKUlT_T0_E_clISt17integral_constantIbLb0EES11_EEDaSW_SX_EUlSW_E_NS1_11comp_targetILNS1_3genE4ELNS1_11target_archE910ELNS1_3gpuE8ELNS1_3repE0EEENS1_30default_config_static_selectorELNS0_4arch9wavefront6targetE1EEEvT1_, .Lfunc_end356-_ZN7rocprim17ROCPRIM_400000_NS6detail17trampoline_kernelINS0_14default_configENS1_29reduce_by_key_config_selectorIjjN6thrust23THRUST_200600_302600_NS4plusIjEEEEZZNS1_33reduce_by_key_impl_wrapped_configILNS1_25lookback_scan_determinismE0ES3_S9_NS6_6detail15normal_iteratorINS6_10device_ptrIjEEEESG_SG_SG_PmS8_22is_equal_div_10_reduceIjEEE10hipError_tPvRmT2_T3_mT4_T5_T6_T7_T8_P12ihipStream_tbENKUlT_T0_E_clISt17integral_constantIbLb0EES11_EEDaSW_SX_EUlSW_E_NS1_11comp_targetILNS1_3genE4ELNS1_11target_archE910ELNS1_3gpuE8ELNS1_3repE0EEENS1_30default_config_static_selectorELNS0_4arch9wavefront6targetE1EEEvT1_
                                        ; -- End function
	.section	.AMDGPU.csdata,"",@progbits
; Kernel info:
; codeLenInByte = 19344
; NumSgprs: 68
; NumVgprs: 106
; NumAgprs: 0
; TotalNumVgprs: 106
; ScratchSize: 0
; MemoryBound: 0
; FloatMode: 240
; IeeeMode: 1
; LDSByteSize: 15360 bytes/workgroup (compile time only)
; SGPRBlocks: 8
; VGPRBlocks: 13
; NumSGPRsForWavesPerEU: 68
; NumVGPRsForWavesPerEU: 106
; AccumOffset: 108
; Occupancy: 4
; WaveLimiterHint : 1
; COMPUTE_PGM_RSRC2:SCRATCH_EN: 0
; COMPUTE_PGM_RSRC2:USER_SGPR: 6
; COMPUTE_PGM_RSRC2:TRAP_HANDLER: 0
; COMPUTE_PGM_RSRC2:TGID_X_EN: 1
; COMPUTE_PGM_RSRC2:TGID_Y_EN: 0
; COMPUTE_PGM_RSRC2:TGID_Z_EN: 0
; COMPUTE_PGM_RSRC2:TIDIG_COMP_CNT: 0
; COMPUTE_PGM_RSRC3_GFX90A:ACCUM_OFFSET: 26
; COMPUTE_PGM_RSRC3_GFX90A:TG_SPLIT: 0
	.section	.text._ZN7rocprim17ROCPRIM_400000_NS6detail17trampoline_kernelINS0_14default_configENS1_29reduce_by_key_config_selectorIjjN6thrust23THRUST_200600_302600_NS4plusIjEEEEZZNS1_33reduce_by_key_impl_wrapped_configILNS1_25lookback_scan_determinismE0ES3_S9_NS6_6detail15normal_iteratorINS6_10device_ptrIjEEEESG_SG_SG_PmS8_22is_equal_div_10_reduceIjEEE10hipError_tPvRmT2_T3_mT4_T5_T6_T7_T8_P12ihipStream_tbENKUlT_T0_E_clISt17integral_constantIbLb0EES11_EEDaSW_SX_EUlSW_E_NS1_11comp_targetILNS1_3genE3ELNS1_11target_archE908ELNS1_3gpuE7ELNS1_3repE0EEENS1_30default_config_static_selectorELNS0_4arch9wavefront6targetE1EEEvT1_,"axG",@progbits,_ZN7rocprim17ROCPRIM_400000_NS6detail17trampoline_kernelINS0_14default_configENS1_29reduce_by_key_config_selectorIjjN6thrust23THRUST_200600_302600_NS4plusIjEEEEZZNS1_33reduce_by_key_impl_wrapped_configILNS1_25lookback_scan_determinismE0ES3_S9_NS6_6detail15normal_iteratorINS6_10device_ptrIjEEEESG_SG_SG_PmS8_22is_equal_div_10_reduceIjEEE10hipError_tPvRmT2_T3_mT4_T5_T6_T7_T8_P12ihipStream_tbENKUlT_T0_E_clISt17integral_constantIbLb0EES11_EEDaSW_SX_EUlSW_E_NS1_11comp_targetILNS1_3genE3ELNS1_11target_archE908ELNS1_3gpuE7ELNS1_3repE0EEENS1_30default_config_static_selectorELNS0_4arch9wavefront6targetE1EEEvT1_,comdat
	.protected	_ZN7rocprim17ROCPRIM_400000_NS6detail17trampoline_kernelINS0_14default_configENS1_29reduce_by_key_config_selectorIjjN6thrust23THRUST_200600_302600_NS4plusIjEEEEZZNS1_33reduce_by_key_impl_wrapped_configILNS1_25lookback_scan_determinismE0ES3_S9_NS6_6detail15normal_iteratorINS6_10device_ptrIjEEEESG_SG_SG_PmS8_22is_equal_div_10_reduceIjEEE10hipError_tPvRmT2_T3_mT4_T5_T6_T7_T8_P12ihipStream_tbENKUlT_T0_E_clISt17integral_constantIbLb0EES11_EEDaSW_SX_EUlSW_E_NS1_11comp_targetILNS1_3genE3ELNS1_11target_archE908ELNS1_3gpuE7ELNS1_3repE0EEENS1_30default_config_static_selectorELNS0_4arch9wavefront6targetE1EEEvT1_ ; -- Begin function _ZN7rocprim17ROCPRIM_400000_NS6detail17trampoline_kernelINS0_14default_configENS1_29reduce_by_key_config_selectorIjjN6thrust23THRUST_200600_302600_NS4plusIjEEEEZZNS1_33reduce_by_key_impl_wrapped_configILNS1_25lookback_scan_determinismE0ES3_S9_NS6_6detail15normal_iteratorINS6_10device_ptrIjEEEESG_SG_SG_PmS8_22is_equal_div_10_reduceIjEEE10hipError_tPvRmT2_T3_mT4_T5_T6_T7_T8_P12ihipStream_tbENKUlT_T0_E_clISt17integral_constantIbLb0EES11_EEDaSW_SX_EUlSW_E_NS1_11comp_targetILNS1_3genE3ELNS1_11target_archE908ELNS1_3gpuE7ELNS1_3repE0EEENS1_30default_config_static_selectorELNS0_4arch9wavefront6targetE1EEEvT1_
	.globl	_ZN7rocprim17ROCPRIM_400000_NS6detail17trampoline_kernelINS0_14default_configENS1_29reduce_by_key_config_selectorIjjN6thrust23THRUST_200600_302600_NS4plusIjEEEEZZNS1_33reduce_by_key_impl_wrapped_configILNS1_25lookback_scan_determinismE0ES3_S9_NS6_6detail15normal_iteratorINS6_10device_ptrIjEEEESG_SG_SG_PmS8_22is_equal_div_10_reduceIjEEE10hipError_tPvRmT2_T3_mT4_T5_T6_T7_T8_P12ihipStream_tbENKUlT_T0_E_clISt17integral_constantIbLb0EES11_EEDaSW_SX_EUlSW_E_NS1_11comp_targetILNS1_3genE3ELNS1_11target_archE908ELNS1_3gpuE7ELNS1_3repE0EEENS1_30default_config_static_selectorELNS0_4arch9wavefront6targetE1EEEvT1_
	.p2align	8
	.type	_ZN7rocprim17ROCPRIM_400000_NS6detail17trampoline_kernelINS0_14default_configENS1_29reduce_by_key_config_selectorIjjN6thrust23THRUST_200600_302600_NS4plusIjEEEEZZNS1_33reduce_by_key_impl_wrapped_configILNS1_25lookback_scan_determinismE0ES3_S9_NS6_6detail15normal_iteratorINS6_10device_ptrIjEEEESG_SG_SG_PmS8_22is_equal_div_10_reduceIjEEE10hipError_tPvRmT2_T3_mT4_T5_T6_T7_T8_P12ihipStream_tbENKUlT_T0_E_clISt17integral_constantIbLb0EES11_EEDaSW_SX_EUlSW_E_NS1_11comp_targetILNS1_3genE3ELNS1_11target_archE908ELNS1_3gpuE7ELNS1_3repE0EEENS1_30default_config_static_selectorELNS0_4arch9wavefront6targetE1EEEvT1_,@function
_ZN7rocprim17ROCPRIM_400000_NS6detail17trampoline_kernelINS0_14default_configENS1_29reduce_by_key_config_selectorIjjN6thrust23THRUST_200600_302600_NS4plusIjEEEEZZNS1_33reduce_by_key_impl_wrapped_configILNS1_25lookback_scan_determinismE0ES3_S9_NS6_6detail15normal_iteratorINS6_10device_ptrIjEEEESG_SG_SG_PmS8_22is_equal_div_10_reduceIjEEE10hipError_tPvRmT2_T3_mT4_T5_T6_T7_T8_P12ihipStream_tbENKUlT_T0_E_clISt17integral_constantIbLb0EES11_EEDaSW_SX_EUlSW_E_NS1_11comp_targetILNS1_3genE3ELNS1_11target_archE908ELNS1_3gpuE7ELNS1_3repE0EEENS1_30default_config_static_selectorELNS0_4arch9wavefront6targetE1EEEvT1_: ; @_ZN7rocprim17ROCPRIM_400000_NS6detail17trampoline_kernelINS0_14default_configENS1_29reduce_by_key_config_selectorIjjN6thrust23THRUST_200600_302600_NS4plusIjEEEEZZNS1_33reduce_by_key_impl_wrapped_configILNS1_25lookback_scan_determinismE0ES3_S9_NS6_6detail15normal_iteratorINS6_10device_ptrIjEEEESG_SG_SG_PmS8_22is_equal_div_10_reduceIjEEE10hipError_tPvRmT2_T3_mT4_T5_T6_T7_T8_P12ihipStream_tbENKUlT_T0_E_clISt17integral_constantIbLb0EES11_EEDaSW_SX_EUlSW_E_NS1_11comp_targetILNS1_3genE3ELNS1_11target_archE908ELNS1_3gpuE7ELNS1_3repE0EEENS1_30default_config_static_selectorELNS0_4arch9wavefront6targetE1EEEvT1_
; %bb.0:
	.section	.rodata,"a",@progbits
	.p2align	6, 0x0
	.amdhsa_kernel _ZN7rocprim17ROCPRIM_400000_NS6detail17trampoline_kernelINS0_14default_configENS1_29reduce_by_key_config_selectorIjjN6thrust23THRUST_200600_302600_NS4plusIjEEEEZZNS1_33reduce_by_key_impl_wrapped_configILNS1_25lookback_scan_determinismE0ES3_S9_NS6_6detail15normal_iteratorINS6_10device_ptrIjEEEESG_SG_SG_PmS8_22is_equal_div_10_reduceIjEEE10hipError_tPvRmT2_T3_mT4_T5_T6_T7_T8_P12ihipStream_tbENKUlT_T0_E_clISt17integral_constantIbLb0EES11_EEDaSW_SX_EUlSW_E_NS1_11comp_targetILNS1_3genE3ELNS1_11target_archE908ELNS1_3gpuE7ELNS1_3repE0EEENS1_30default_config_static_selectorELNS0_4arch9wavefront6targetE1EEEvT1_
		.amdhsa_group_segment_fixed_size 0
		.amdhsa_private_segment_fixed_size 0
		.amdhsa_kernarg_size 120
		.amdhsa_user_sgpr_count 6
		.amdhsa_user_sgpr_private_segment_buffer 1
		.amdhsa_user_sgpr_dispatch_ptr 0
		.amdhsa_user_sgpr_queue_ptr 0
		.amdhsa_user_sgpr_kernarg_segment_ptr 1
		.amdhsa_user_sgpr_dispatch_id 0
		.amdhsa_user_sgpr_flat_scratch_init 0
		.amdhsa_user_sgpr_kernarg_preload_length 0
		.amdhsa_user_sgpr_kernarg_preload_offset 0
		.amdhsa_user_sgpr_private_segment_size 0
		.amdhsa_uses_dynamic_stack 0
		.amdhsa_system_sgpr_private_segment_wavefront_offset 0
		.amdhsa_system_sgpr_workgroup_id_x 1
		.amdhsa_system_sgpr_workgroup_id_y 0
		.amdhsa_system_sgpr_workgroup_id_z 0
		.amdhsa_system_sgpr_workgroup_info 0
		.amdhsa_system_vgpr_workitem_id 0
		.amdhsa_next_free_vgpr 1
		.amdhsa_next_free_sgpr 0
		.amdhsa_accum_offset 4
		.amdhsa_reserve_vcc 0
		.amdhsa_reserve_flat_scratch 0
		.amdhsa_float_round_mode_32 0
		.amdhsa_float_round_mode_16_64 0
		.amdhsa_float_denorm_mode_32 3
		.amdhsa_float_denorm_mode_16_64 3
		.amdhsa_dx10_clamp 1
		.amdhsa_ieee_mode 1
		.amdhsa_fp16_overflow 0
		.amdhsa_tg_split 0
		.amdhsa_exception_fp_ieee_invalid_op 0
		.amdhsa_exception_fp_denorm_src 0
		.amdhsa_exception_fp_ieee_div_zero 0
		.amdhsa_exception_fp_ieee_overflow 0
		.amdhsa_exception_fp_ieee_underflow 0
		.amdhsa_exception_fp_ieee_inexact 0
		.amdhsa_exception_int_div_zero 0
	.end_amdhsa_kernel
	.section	.text._ZN7rocprim17ROCPRIM_400000_NS6detail17trampoline_kernelINS0_14default_configENS1_29reduce_by_key_config_selectorIjjN6thrust23THRUST_200600_302600_NS4plusIjEEEEZZNS1_33reduce_by_key_impl_wrapped_configILNS1_25lookback_scan_determinismE0ES3_S9_NS6_6detail15normal_iteratorINS6_10device_ptrIjEEEESG_SG_SG_PmS8_22is_equal_div_10_reduceIjEEE10hipError_tPvRmT2_T3_mT4_T5_T6_T7_T8_P12ihipStream_tbENKUlT_T0_E_clISt17integral_constantIbLb0EES11_EEDaSW_SX_EUlSW_E_NS1_11comp_targetILNS1_3genE3ELNS1_11target_archE908ELNS1_3gpuE7ELNS1_3repE0EEENS1_30default_config_static_selectorELNS0_4arch9wavefront6targetE1EEEvT1_,"axG",@progbits,_ZN7rocprim17ROCPRIM_400000_NS6detail17trampoline_kernelINS0_14default_configENS1_29reduce_by_key_config_selectorIjjN6thrust23THRUST_200600_302600_NS4plusIjEEEEZZNS1_33reduce_by_key_impl_wrapped_configILNS1_25lookback_scan_determinismE0ES3_S9_NS6_6detail15normal_iteratorINS6_10device_ptrIjEEEESG_SG_SG_PmS8_22is_equal_div_10_reduceIjEEE10hipError_tPvRmT2_T3_mT4_T5_T6_T7_T8_P12ihipStream_tbENKUlT_T0_E_clISt17integral_constantIbLb0EES11_EEDaSW_SX_EUlSW_E_NS1_11comp_targetILNS1_3genE3ELNS1_11target_archE908ELNS1_3gpuE7ELNS1_3repE0EEENS1_30default_config_static_selectorELNS0_4arch9wavefront6targetE1EEEvT1_,comdat
.Lfunc_end357:
	.size	_ZN7rocprim17ROCPRIM_400000_NS6detail17trampoline_kernelINS0_14default_configENS1_29reduce_by_key_config_selectorIjjN6thrust23THRUST_200600_302600_NS4plusIjEEEEZZNS1_33reduce_by_key_impl_wrapped_configILNS1_25lookback_scan_determinismE0ES3_S9_NS6_6detail15normal_iteratorINS6_10device_ptrIjEEEESG_SG_SG_PmS8_22is_equal_div_10_reduceIjEEE10hipError_tPvRmT2_T3_mT4_T5_T6_T7_T8_P12ihipStream_tbENKUlT_T0_E_clISt17integral_constantIbLb0EES11_EEDaSW_SX_EUlSW_E_NS1_11comp_targetILNS1_3genE3ELNS1_11target_archE908ELNS1_3gpuE7ELNS1_3repE0EEENS1_30default_config_static_selectorELNS0_4arch9wavefront6targetE1EEEvT1_, .Lfunc_end357-_ZN7rocprim17ROCPRIM_400000_NS6detail17trampoline_kernelINS0_14default_configENS1_29reduce_by_key_config_selectorIjjN6thrust23THRUST_200600_302600_NS4plusIjEEEEZZNS1_33reduce_by_key_impl_wrapped_configILNS1_25lookback_scan_determinismE0ES3_S9_NS6_6detail15normal_iteratorINS6_10device_ptrIjEEEESG_SG_SG_PmS8_22is_equal_div_10_reduceIjEEE10hipError_tPvRmT2_T3_mT4_T5_T6_T7_T8_P12ihipStream_tbENKUlT_T0_E_clISt17integral_constantIbLb0EES11_EEDaSW_SX_EUlSW_E_NS1_11comp_targetILNS1_3genE3ELNS1_11target_archE908ELNS1_3gpuE7ELNS1_3repE0EEENS1_30default_config_static_selectorELNS0_4arch9wavefront6targetE1EEEvT1_
                                        ; -- End function
	.section	.AMDGPU.csdata,"",@progbits
; Kernel info:
; codeLenInByte = 0
; NumSgprs: 4
; NumVgprs: 0
; NumAgprs: 0
; TotalNumVgprs: 0
; ScratchSize: 0
; MemoryBound: 0
; FloatMode: 240
; IeeeMode: 1
; LDSByteSize: 0 bytes/workgroup (compile time only)
; SGPRBlocks: 0
; VGPRBlocks: 0
; NumSGPRsForWavesPerEU: 4
; NumVGPRsForWavesPerEU: 1
; AccumOffset: 4
; Occupancy: 8
; WaveLimiterHint : 0
; COMPUTE_PGM_RSRC2:SCRATCH_EN: 0
; COMPUTE_PGM_RSRC2:USER_SGPR: 6
; COMPUTE_PGM_RSRC2:TRAP_HANDLER: 0
; COMPUTE_PGM_RSRC2:TGID_X_EN: 1
; COMPUTE_PGM_RSRC2:TGID_Y_EN: 0
; COMPUTE_PGM_RSRC2:TGID_Z_EN: 0
; COMPUTE_PGM_RSRC2:TIDIG_COMP_CNT: 0
; COMPUTE_PGM_RSRC3_GFX90A:ACCUM_OFFSET: 0
; COMPUTE_PGM_RSRC3_GFX90A:TG_SPLIT: 0
	.section	.text._ZN7rocprim17ROCPRIM_400000_NS6detail17trampoline_kernelINS0_14default_configENS1_29reduce_by_key_config_selectorIjjN6thrust23THRUST_200600_302600_NS4plusIjEEEEZZNS1_33reduce_by_key_impl_wrapped_configILNS1_25lookback_scan_determinismE0ES3_S9_NS6_6detail15normal_iteratorINS6_10device_ptrIjEEEESG_SG_SG_PmS8_22is_equal_div_10_reduceIjEEE10hipError_tPvRmT2_T3_mT4_T5_T6_T7_T8_P12ihipStream_tbENKUlT_T0_E_clISt17integral_constantIbLb0EES11_EEDaSW_SX_EUlSW_E_NS1_11comp_targetILNS1_3genE2ELNS1_11target_archE906ELNS1_3gpuE6ELNS1_3repE0EEENS1_30default_config_static_selectorELNS0_4arch9wavefront6targetE1EEEvT1_,"axG",@progbits,_ZN7rocprim17ROCPRIM_400000_NS6detail17trampoline_kernelINS0_14default_configENS1_29reduce_by_key_config_selectorIjjN6thrust23THRUST_200600_302600_NS4plusIjEEEEZZNS1_33reduce_by_key_impl_wrapped_configILNS1_25lookback_scan_determinismE0ES3_S9_NS6_6detail15normal_iteratorINS6_10device_ptrIjEEEESG_SG_SG_PmS8_22is_equal_div_10_reduceIjEEE10hipError_tPvRmT2_T3_mT4_T5_T6_T7_T8_P12ihipStream_tbENKUlT_T0_E_clISt17integral_constantIbLb0EES11_EEDaSW_SX_EUlSW_E_NS1_11comp_targetILNS1_3genE2ELNS1_11target_archE906ELNS1_3gpuE6ELNS1_3repE0EEENS1_30default_config_static_selectorELNS0_4arch9wavefront6targetE1EEEvT1_,comdat
	.protected	_ZN7rocprim17ROCPRIM_400000_NS6detail17trampoline_kernelINS0_14default_configENS1_29reduce_by_key_config_selectorIjjN6thrust23THRUST_200600_302600_NS4plusIjEEEEZZNS1_33reduce_by_key_impl_wrapped_configILNS1_25lookback_scan_determinismE0ES3_S9_NS6_6detail15normal_iteratorINS6_10device_ptrIjEEEESG_SG_SG_PmS8_22is_equal_div_10_reduceIjEEE10hipError_tPvRmT2_T3_mT4_T5_T6_T7_T8_P12ihipStream_tbENKUlT_T0_E_clISt17integral_constantIbLb0EES11_EEDaSW_SX_EUlSW_E_NS1_11comp_targetILNS1_3genE2ELNS1_11target_archE906ELNS1_3gpuE6ELNS1_3repE0EEENS1_30default_config_static_selectorELNS0_4arch9wavefront6targetE1EEEvT1_ ; -- Begin function _ZN7rocprim17ROCPRIM_400000_NS6detail17trampoline_kernelINS0_14default_configENS1_29reduce_by_key_config_selectorIjjN6thrust23THRUST_200600_302600_NS4plusIjEEEEZZNS1_33reduce_by_key_impl_wrapped_configILNS1_25lookback_scan_determinismE0ES3_S9_NS6_6detail15normal_iteratorINS6_10device_ptrIjEEEESG_SG_SG_PmS8_22is_equal_div_10_reduceIjEEE10hipError_tPvRmT2_T3_mT4_T5_T6_T7_T8_P12ihipStream_tbENKUlT_T0_E_clISt17integral_constantIbLb0EES11_EEDaSW_SX_EUlSW_E_NS1_11comp_targetILNS1_3genE2ELNS1_11target_archE906ELNS1_3gpuE6ELNS1_3repE0EEENS1_30default_config_static_selectorELNS0_4arch9wavefront6targetE1EEEvT1_
	.globl	_ZN7rocprim17ROCPRIM_400000_NS6detail17trampoline_kernelINS0_14default_configENS1_29reduce_by_key_config_selectorIjjN6thrust23THRUST_200600_302600_NS4plusIjEEEEZZNS1_33reduce_by_key_impl_wrapped_configILNS1_25lookback_scan_determinismE0ES3_S9_NS6_6detail15normal_iteratorINS6_10device_ptrIjEEEESG_SG_SG_PmS8_22is_equal_div_10_reduceIjEEE10hipError_tPvRmT2_T3_mT4_T5_T6_T7_T8_P12ihipStream_tbENKUlT_T0_E_clISt17integral_constantIbLb0EES11_EEDaSW_SX_EUlSW_E_NS1_11comp_targetILNS1_3genE2ELNS1_11target_archE906ELNS1_3gpuE6ELNS1_3repE0EEENS1_30default_config_static_selectorELNS0_4arch9wavefront6targetE1EEEvT1_
	.p2align	8
	.type	_ZN7rocprim17ROCPRIM_400000_NS6detail17trampoline_kernelINS0_14default_configENS1_29reduce_by_key_config_selectorIjjN6thrust23THRUST_200600_302600_NS4plusIjEEEEZZNS1_33reduce_by_key_impl_wrapped_configILNS1_25lookback_scan_determinismE0ES3_S9_NS6_6detail15normal_iteratorINS6_10device_ptrIjEEEESG_SG_SG_PmS8_22is_equal_div_10_reduceIjEEE10hipError_tPvRmT2_T3_mT4_T5_T6_T7_T8_P12ihipStream_tbENKUlT_T0_E_clISt17integral_constantIbLb0EES11_EEDaSW_SX_EUlSW_E_NS1_11comp_targetILNS1_3genE2ELNS1_11target_archE906ELNS1_3gpuE6ELNS1_3repE0EEENS1_30default_config_static_selectorELNS0_4arch9wavefront6targetE1EEEvT1_,@function
_ZN7rocprim17ROCPRIM_400000_NS6detail17trampoline_kernelINS0_14default_configENS1_29reduce_by_key_config_selectorIjjN6thrust23THRUST_200600_302600_NS4plusIjEEEEZZNS1_33reduce_by_key_impl_wrapped_configILNS1_25lookback_scan_determinismE0ES3_S9_NS6_6detail15normal_iteratorINS6_10device_ptrIjEEEESG_SG_SG_PmS8_22is_equal_div_10_reduceIjEEE10hipError_tPvRmT2_T3_mT4_T5_T6_T7_T8_P12ihipStream_tbENKUlT_T0_E_clISt17integral_constantIbLb0EES11_EEDaSW_SX_EUlSW_E_NS1_11comp_targetILNS1_3genE2ELNS1_11target_archE906ELNS1_3gpuE6ELNS1_3repE0EEENS1_30default_config_static_selectorELNS0_4arch9wavefront6targetE1EEEvT1_: ; @_ZN7rocprim17ROCPRIM_400000_NS6detail17trampoline_kernelINS0_14default_configENS1_29reduce_by_key_config_selectorIjjN6thrust23THRUST_200600_302600_NS4plusIjEEEEZZNS1_33reduce_by_key_impl_wrapped_configILNS1_25lookback_scan_determinismE0ES3_S9_NS6_6detail15normal_iteratorINS6_10device_ptrIjEEEESG_SG_SG_PmS8_22is_equal_div_10_reduceIjEEE10hipError_tPvRmT2_T3_mT4_T5_T6_T7_T8_P12ihipStream_tbENKUlT_T0_E_clISt17integral_constantIbLb0EES11_EEDaSW_SX_EUlSW_E_NS1_11comp_targetILNS1_3genE2ELNS1_11target_archE906ELNS1_3gpuE6ELNS1_3repE0EEENS1_30default_config_static_selectorELNS0_4arch9wavefront6targetE1EEEvT1_
; %bb.0:
	.section	.rodata,"a",@progbits
	.p2align	6, 0x0
	.amdhsa_kernel _ZN7rocprim17ROCPRIM_400000_NS6detail17trampoline_kernelINS0_14default_configENS1_29reduce_by_key_config_selectorIjjN6thrust23THRUST_200600_302600_NS4plusIjEEEEZZNS1_33reduce_by_key_impl_wrapped_configILNS1_25lookback_scan_determinismE0ES3_S9_NS6_6detail15normal_iteratorINS6_10device_ptrIjEEEESG_SG_SG_PmS8_22is_equal_div_10_reduceIjEEE10hipError_tPvRmT2_T3_mT4_T5_T6_T7_T8_P12ihipStream_tbENKUlT_T0_E_clISt17integral_constantIbLb0EES11_EEDaSW_SX_EUlSW_E_NS1_11comp_targetILNS1_3genE2ELNS1_11target_archE906ELNS1_3gpuE6ELNS1_3repE0EEENS1_30default_config_static_selectorELNS0_4arch9wavefront6targetE1EEEvT1_
		.amdhsa_group_segment_fixed_size 0
		.amdhsa_private_segment_fixed_size 0
		.amdhsa_kernarg_size 120
		.amdhsa_user_sgpr_count 6
		.amdhsa_user_sgpr_private_segment_buffer 1
		.amdhsa_user_sgpr_dispatch_ptr 0
		.amdhsa_user_sgpr_queue_ptr 0
		.amdhsa_user_sgpr_kernarg_segment_ptr 1
		.amdhsa_user_sgpr_dispatch_id 0
		.amdhsa_user_sgpr_flat_scratch_init 0
		.amdhsa_user_sgpr_kernarg_preload_length 0
		.amdhsa_user_sgpr_kernarg_preload_offset 0
		.amdhsa_user_sgpr_private_segment_size 0
		.amdhsa_uses_dynamic_stack 0
		.amdhsa_system_sgpr_private_segment_wavefront_offset 0
		.amdhsa_system_sgpr_workgroup_id_x 1
		.amdhsa_system_sgpr_workgroup_id_y 0
		.amdhsa_system_sgpr_workgroup_id_z 0
		.amdhsa_system_sgpr_workgroup_info 0
		.amdhsa_system_vgpr_workitem_id 0
		.amdhsa_next_free_vgpr 1
		.amdhsa_next_free_sgpr 0
		.amdhsa_accum_offset 4
		.amdhsa_reserve_vcc 0
		.amdhsa_reserve_flat_scratch 0
		.amdhsa_float_round_mode_32 0
		.amdhsa_float_round_mode_16_64 0
		.amdhsa_float_denorm_mode_32 3
		.amdhsa_float_denorm_mode_16_64 3
		.amdhsa_dx10_clamp 1
		.amdhsa_ieee_mode 1
		.amdhsa_fp16_overflow 0
		.amdhsa_tg_split 0
		.amdhsa_exception_fp_ieee_invalid_op 0
		.amdhsa_exception_fp_denorm_src 0
		.amdhsa_exception_fp_ieee_div_zero 0
		.amdhsa_exception_fp_ieee_overflow 0
		.amdhsa_exception_fp_ieee_underflow 0
		.amdhsa_exception_fp_ieee_inexact 0
		.amdhsa_exception_int_div_zero 0
	.end_amdhsa_kernel
	.section	.text._ZN7rocprim17ROCPRIM_400000_NS6detail17trampoline_kernelINS0_14default_configENS1_29reduce_by_key_config_selectorIjjN6thrust23THRUST_200600_302600_NS4plusIjEEEEZZNS1_33reduce_by_key_impl_wrapped_configILNS1_25lookback_scan_determinismE0ES3_S9_NS6_6detail15normal_iteratorINS6_10device_ptrIjEEEESG_SG_SG_PmS8_22is_equal_div_10_reduceIjEEE10hipError_tPvRmT2_T3_mT4_T5_T6_T7_T8_P12ihipStream_tbENKUlT_T0_E_clISt17integral_constantIbLb0EES11_EEDaSW_SX_EUlSW_E_NS1_11comp_targetILNS1_3genE2ELNS1_11target_archE906ELNS1_3gpuE6ELNS1_3repE0EEENS1_30default_config_static_selectorELNS0_4arch9wavefront6targetE1EEEvT1_,"axG",@progbits,_ZN7rocprim17ROCPRIM_400000_NS6detail17trampoline_kernelINS0_14default_configENS1_29reduce_by_key_config_selectorIjjN6thrust23THRUST_200600_302600_NS4plusIjEEEEZZNS1_33reduce_by_key_impl_wrapped_configILNS1_25lookback_scan_determinismE0ES3_S9_NS6_6detail15normal_iteratorINS6_10device_ptrIjEEEESG_SG_SG_PmS8_22is_equal_div_10_reduceIjEEE10hipError_tPvRmT2_T3_mT4_T5_T6_T7_T8_P12ihipStream_tbENKUlT_T0_E_clISt17integral_constantIbLb0EES11_EEDaSW_SX_EUlSW_E_NS1_11comp_targetILNS1_3genE2ELNS1_11target_archE906ELNS1_3gpuE6ELNS1_3repE0EEENS1_30default_config_static_selectorELNS0_4arch9wavefront6targetE1EEEvT1_,comdat
.Lfunc_end358:
	.size	_ZN7rocprim17ROCPRIM_400000_NS6detail17trampoline_kernelINS0_14default_configENS1_29reduce_by_key_config_selectorIjjN6thrust23THRUST_200600_302600_NS4plusIjEEEEZZNS1_33reduce_by_key_impl_wrapped_configILNS1_25lookback_scan_determinismE0ES3_S9_NS6_6detail15normal_iteratorINS6_10device_ptrIjEEEESG_SG_SG_PmS8_22is_equal_div_10_reduceIjEEE10hipError_tPvRmT2_T3_mT4_T5_T6_T7_T8_P12ihipStream_tbENKUlT_T0_E_clISt17integral_constantIbLb0EES11_EEDaSW_SX_EUlSW_E_NS1_11comp_targetILNS1_3genE2ELNS1_11target_archE906ELNS1_3gpuE6ELNS1_3repE0EEENS1_30default_config_static_selectorELNS0_4arch9wavefront6targetE1EEEvT1_, .Lfunc_end358-_ZN7rocprim17ROCPRIM_400000_NS6detail17trampoline_kernelINS0_14default_configENS1_29reduce_by_key_config_selectorIjjN6thrust23THRUST_200600_302600_NS4plusIjEEEEZZNS1_33reduce_by_key_impl_wrapped_configILNS1_25lookback_scan_determinismE0ES3_S9_NS6_6detail15normal_iteratorINS6_10device_ptrIjEEEESG_SG_SG_PmS8_22is_equal_div_10_reduceIjEEE10hipError_tPvRmT2_T3_mT4_T5_T6_T7_T8_P12ihipStream_tbENKUlT_T0_E_clISt17integral_constantIbLb0EES11_EEDaSW_SX_EUlSW_E_NS1_11comp_targetILNS1_3genE2ELNS1_11target_archE906ELNS1_3gpuE6ELNS1_3repE0EEENS1_30default_config_static_selectorELNS0_4arch9wavefront6targetE1EEEvT1_
                                        ; -- End function
	.section	.AMDGPU.csdata,"",@progbits
; Kernel info:
; codeLenInByte = 0
; NumSgprs: 4
; NumVgprs: 0
; NumAgprs: 0
; TotalNumVgprs: 0
; ScratchSize: 0
; MemoryBound: 0
; FloatMode: 240
; IeeeMode: 1
; LDSByteSize: 0 bytes/workgroup (compile time only)
; SGPRBlocks: 0
; VGPRBlocks: 0
; NumSGPRsForWavesPerEU: 4
; NumVGPRsForWavesPerEU: 1
; AccumOffset: 4
; Occupancy: 8
; WaveLimiterHint : 0
; COMPUTE_PGM_RSRC2:SCRATCH_EN: 0
; COMPUTE_PGM_RSRC2:USER_SGPR: 6
; COMPUTE_PGM_RSRC2:TRAP_HANDLER: 0
; COMPUTE_PGM_RSRC2:TGID_X_EN: 1
; COMPUTE_PGM_RSRC2:TGID_Y_EN: 0
; COMPUTE_PGM_RSRC2:TGID_Z_EN: 0
; COMPUTE_PGM_RSRC2:TIDIG_COMP_CNT: 0
; COMPUTE_PGM_RSRC3_GFX90A:ACCUM_OFFSET: 0
; COMPUTE_PGM_RSRC3_GFX90A:TG_SPLIT: 0
	.section	.text._ZN7rocprim17ROCPRIM_400000_NS6detail17trampoline_kernelINS0_14default_configENS1_29reduce_by_key_config_selectorIjjN6thrust23THRUST_200600_302600_NS4plusIjEEEEZZNS1_33reduce_by_key_impl_wrapped_configILNS1_25lookback_scan_determinismE0ES3_S9_NS6_6detail15normal_iteratorINS6_10device_ptrIjEEEESG_SG_SG_PmS8_22is_equal_div_10_reduceIjEEE10hipError_tPvRmT2_T3_mT4_T5_T6_T7_T8_P12ihipStream_tbENKUlT_T0_E_clISt17integral_constantIbLb0EES11_EEDaSW_SX_EUlSW_E_NS1_11comp_targetILNS1_3genE10ELNS1_11target_archE1201ELNS1_3gpuE5ELNS1_3repE0EEENS1_30default_config_static_selectorELNS0_4arch9wavefront6targetE1EEEvT1_,"axG",@progbits,_ZN7rocprim17ROCPRIM_400000_NS6detail17trampoline_kernelINS0_14default_configENS1_29reduce_by_key_config_selectorIjjN6thrust23THRUST_200600_302600_NS4plusIjEEEEZZNS1_33reduce_by_key_impl_wrapped_configILNS1_25lookback_scan_determinismE0ES3_S9_NS6_6detail15normal_iteratorINS6_10device_ptrIjEEEESG_SG_SG_PmS8_22is_equal_div_10_reduceIjEEE10hipError_tPvRmT2_T3_mT4_T5_T6_T7_T8_P12ihipStream_tbENKUlT_T0_E_clISt17integral_constantIbLb0EES11_EEDaSW_SX_EUlSW_E_NS1_11comp_targetILNS1_3genE10ELNS1_11target_archE1201ELNS1_3gpuE5ELNS1_3repE0EEENS1_30default_config_static_selectorELNS0_4arch9wavefront6targetE1EEEvT1_,comdat
	.protected	_ZN7rocprim17ROCPRIM_400000_NS6detail17trampoline_kernelINS0_14default_configENS1_29reduce_by_key_config_selectorIjjN6thrust23THRUST_200600_302600_NS4plusIjEEEEZZNS1_33reduce_by_key_impl_wrapped_configILNS1_25lookback_scan_determinismE0ES3_S9_NS6_6detail15normal_iteratorINS6_10device_ptrIjEEEESG_SG_SG_PmS8_22is_equal_div_10_reduceIjEEE10hipError_tPvRmT2_T3_mT4_T5_T6_T7_T8_P12ihipStream_tbENKUlT_T0_E_clISt17integral_constantIbLb0EES11_EEDaSW_SX_EUlSW_E_NS1_11comp_targetILNS1_3genE10ELNS1_11target_archE1201ELNS1_3gpuE5ELNS1_3repE0EEENS1_30default_config_static_selectorELNS0_4arch9wavefront6targetE1EEEvT1_ ; -- Begin function _ZN7rocprim17ROCPRIM_400000_NS6detail17trampoline_kernelINS0_14default_configENS1_29reduce_by_key_config_selectorIjjN6thrust23THRUST_200600_302600_NS4plusIjEEEEZZNS1_33reduce_by_key_impl_wrapped_configILNS1_25lookback_scan_determinismE0ES3_S9_NS6_6detail15normal_iteratorINS6_10device_ptrIjEEEESG_SG_SG_PmS8_22is_equal_div_10_reduceIjEEE10hipError_tPvRmT2_T3_mT4_T5_T6_T7_T8_P12ihipStream_tbENKUlT_T0_E_clISt17integral_constantIbLb0EES11_EEDaSW_SX_EUlSW_E_NS1_11comp_targetILNS1_3genE10ELNS1_11target_archE1201ELNS1_3gpuE5ELNS1_3repE0EEENS1_30default_config_static_selectorELNS0_4arch9wavefront6targetE1EEEvT1_
	.globl	_ZN7rocprim17ROCPRIM_400000_NS6detail17trampoline_kernelINS0_14default_configENS1_29reduce_by_key_config_selectorIjjN6thrust23THRUST_200600_302600_NS4plusIjEEEEZZNS1_33reduce_by_key_impl_wrapped_configILNS1_25lookback_scan_determinismE0ES3_S9_NS6_6detail15normal_iteratorINS6_10device_ptrIjEEEESG_SG_SG_PmS8_22is_equal_div_10_reduceIjEEE10hipError_tPvRmT2_T3_mT4_T5_T6_T7_T8_P12ihipStream_tbENKUlT_T0_E_clISt17integral_constantIbLb0EES11_EEDaSW_SX_EUlSW_E_NS1_11comp_targetILNS1_3genE10ELNS1_11target_archE1201ELNS1_3gpuE5ELNS1_3repE0EEENS1_30default_config_static_selectorELNS0_4arch9wavefront6targetE1EEEvT1_
	.p2align	8
	.type	_ZN7rocprim17ROCPRIM_400000_NS6detail17trampoline_kernelINS0_14default_configENS1_29reduce_by_key_config_selectorIjjN6thrust23THRUST_200600_302600_NS4plusIjEEEEZZNS1_33reduce_by_key_impl_wrapped_configILNS1_25lookback_scan_determinismE0ES3_S9_NS6_6detail15normal_iteratorINS6_10device_ptrIjEEEESG_SG_SG_PmS8_22is_equal_div_10_reduceIjEEE10hipError_tPvRmT2_T3_mT4_T5_T6_T7_T8_P12ihipStream_tbENKUlT_T0_E_clISt17integral_constantIbLb0EES11_EEDaSW_SX_EUlSW_E_NS1_11comp_targetILNS1_3genE10ELNS1_11target_archE1201ELNS1_3gpuE5ELNS1_3repE0EEENS1_30default_config_static_selectorELNS0_4arch9wavefront6targetE1EEEvT1_,@function
_ZN7rocprim17ROCPRIM_400000_NS6detail17trampoline_kernelINS0_14default_configENS1_29reduce_by_key_config_selectorIjjN6thrust23THRUST_200600_302600_NS4plusIjEEEEZZNS1_33reduce_by_key_impl_wrapped_configILNS1_25lookback_scan_determinismE0ES3_S9_NS6_6detail15normal_iteratorINS6_10device_ptrIjEEEESG_SG_SG_PmS8_22is_equal_div_10_reduceIjEEE10hipError_tPvRmT2_T3_mT4_T5_T6_T7_T8_P12ihipStream_tbENKUlT_T0_E_clISt17integral_constantIbLb0EES11_EEDaSW_SX_EUlSW_E_NS1_11comp_targetILNS1_3genE10ELNS1_11target_archE1201ELNS1_3gpuE5ELNS1_3repE0EEENS1_30default_config_static_selectorELNS0_4arch9wavefront6targetE1EEEvT1_: ; @_ZN7rocprim17ROCPRIM_400000_NS6detail17trampoline_kernelINS0_14default_configENS1_29reduce_by_key_config_selectorIjjN6thrust23THRUST_200600_302600_NS4plusIjEEEEZZNS1_33reduce_by_key_impl_wrapped_configILNS1_25lookback_scan_determinismE0ES3_S9_NS6_6detail15normal_iteratorINS6_10device_ptrIjEEEESG_SG_SG_PmS8_22is_equal_div_10_reduceIjEEE10hipError_tPvRmT2_T3_mT4_T5_T6_T7_T8_P12ihipStream_tbENKUlT_T0_E_clISt17integral_constantIbLb0EES11_EEDaSW_SX_EUlSW_E_NS1_11comp_targetILNS1_3genE10ELNS1_11target_archE1201ELNS1_3gpuE5ELNS1_3repE0EEENS1_30default_config_static_selectorELNS0_4arch9wavefront6targetE1EEEvT1_
; %bb.0:
	.section	.rodata,"a",@progbits
	.p2align	6, 0x0
	.amdhsa_kernel _ZN7rocprim17ROCPRIM_400000_NS6detail17trampoline_kernelINS0_14default_configENS1_29reduce_by_key_config_selectorIjjN6thrust23THRUST_200600_302600_NS4plusIjEEEEZZNS1_33reduce_by_key_impl_wrapped_configILNS1_25lookback_scan_determinismE0ES3_S9_NS6_6detail15normal_iteratorINS6_10device_ptrIjEEEESG_SG_SG_PmS8_22is_equal_div_10_reduceIjEEE10hipError_tPvRmT2_T3_mT4_T5_T6_T7_T8_P12ihipStream_tbENKUlT_T0_E_clISt17integral_constantIbLb0EES11_EEDaSW_SX_EUlSW_E_NS1_11comp_targetILNS1_3genE10ELNS1_11target_archE1201ELNS1_3gpuE5ELNS1_3repE0EEENS1_30default_config_static_selectorELNS0_4arch9wavefront6targetE1EEEvT1_
		.amdhsa_group_segment_fixed_size 0
		.amdhsa_private_segment_fixed_size 0
		.amdhsa_kernarg_size 120
		.amdhsa_user_sgpr_count 6
		.amdhsa_user_sgpr_private_segment_buffer 1
		.amdhsa_user_sgpr_dispatch_ptr 0
		.amdhsa_user_sgpr_queue_ptr 0
		.amdhsa_user_sgpr_kernarg_segment_ptr 1
		.amdhsa_user_sgpr_dispatch_id 0
		.amdhsa_user_sgpr_flat_scratch_init 0
		.amdhsa_user_sgpr_kernarg_preload_length 0
		.amdhsa_user_sgpr_kernarg_preload_offset 0
		.amdhsa_user_sgpr_private_segment_size 0
		.amdhsa_uses_dynamic_stack 0
		.amdhsa_system_sgpr_private_segment_wavefront_offset 0
		.amdhsa_system_sgpr_workgroup_id_x 1
		.amdhsa_system_sgpr_workgroup_id_y 0
		.amdhsa_system_sgpr_workgroup_id_z 0
		.amdhsa_system_sgpr_workgroup_info 0
		.amdhsa_system_vgpr_workitem_id 0
		.amdhsa_next_free_vgpr 1
		.amdhsa_next_free_sgpr 0
		.amdhsa_accum_offset 4
		.amdhsa_reserve_vcc 0
		.amdhsa_reserve_flat_scratch 0
		.amdhsa_float_round_mode_32 0
		.amdhsa_float_round_mode_16_64 0
		.amdhsa_float_denorm_mode_32 3
		.amdhsa_float_denorm_mode_16_64 3
		.amdhsa_dx10_clamp 1
		.amdhsa_ieee_mode 1
		.amdhsa_fp16_overflow 0
		.amdhsa_tg_split 0
		.amdhsa_exception_fp_ieee_invalid_op 0
		.amdhsa_exception_fp_denorm_src 0
		.amdhsa_exception_fp_ieee_div_zero 0
		.amdhsa_exception_fp_ieee_overflow 0
		.amdhsa_exception_fp_ieee_underflow 0
		.amdhsa_exception_fp_ieee_inexact 0
		.amdhsa_exception_int_div_zero 0
	.end_amdhsa_kernel
	.section	.text._ZN7rocprim17ROCPRIM_400000_NS6detail17trampoline_kernelINS0_14default_configENS1_29reduce_by_key_config_selectorIjjN6thrust23THRUST_200600_302600_NS4plusIjEEEEZZNS1_33reduce_by_key_impl_wrapped_configILNS1_25lookback_scan_determinismE0ES3_S9_NS6_6detail15normal_iteratorINS6_10device_ptrIjEEEESG_SG_SG_PmS8_22is_equal_div_10_reduceIjEEE10hipError_tPvRmT2_T3_mT4_T5_T6_T7_T8_P12ihipStream_tbENKUlT_T0_E_clISt17integral_constantIbLb0EES11_EEDaSW_SX_EUlSW_E_NS1_11comp_targetILNS1_3genE10ELNS1_11target_archE1201ELNS1_3gpuE5ELNS1_3repE0EEENS1_30default_config_static_selectorELNS0_4arch9wavefront6targetE1EEEvT1_,"axG",@progbits,_ZN7rocprim17ROCPRIM_400000_NS6detail17trampoline_kernelINS0_14default_configENS1_29reduce_by_key_config_selectorIjjN6thrust23THRUST_200600_302600_NS4plusIjEEEEZZNS1_33reduce_by_key_impl_wrapped_configILNS1_25lookback_scan_determinismE0ES3_S9_NS6_6detail15normal_iteratorINS6_10device_ptrIjEEEESG_SG_SG_PmS8_22is_equal_div_10_reduceIjEEE10hipError_tPvRmT2_T3_mT4_T5_T6_T7_T8_P12ihipStream_tbENKUlT_T0_E_clISt17integral_constantIbLb0EES11_EEDaSW_SX_EUlSW_E_NS1_11comp_targetILNS1_3genE10ELNS1_11target_archE1201ELNS1_3gpuE5ELNS1_3repE0EEENS1_30default_config_static_selectorELNS0_4arch9wavefront6targetE1EEEvT1_,comdat
.Lfunc_end359:
	.size	_ZN7rocprim17ROCPRIM_400000_NS6detail17trampoline_kernelINS0_14default_configENS1_29reduce_by_key_config_selectorIjjN6thrust23THRUST_200600_302600_NS4plusIjEEEEZZNS1_33reduce_by_key_impl_wrapped_configILNS1_25lookback_scan_determinismE0ES3_S9_NS6_6detail15normal_iteratorINS6_10device_ptrIjEEEESG_SG_SG_PmS8_22is_equal_div_10_reduceIjEEE10hipError_tPvRmT2_T3_mT4_T5_T6_T7_T8_P12ihipStream_tbENKUlT_T0_E_clISt17integral_constantIbLb0EES11_EEDaSW_SX_EUlSW_E_NS1_11comp_targetILNS1_3genE10ELNS1_11target_archE1201ELNS1_3gpuE5ELNS1_3repE0EEENS1_30default_config_static_selectorELNS0_4arch9wavefront6targetE1EEEvT1_, .Lfunc_end359-_ZN7rocprim17ROCPRIM_400000_NS6detail17trampoline_kernelINS0_14default_configENS1_29reduce_by_key_config_selectorIjjN6thrust23THRUST_200600_302600_NS4plusIjEEEEZZNS1_33reduce_by_key_impl_wrapped_configILNS1_25lookback_scan_determinismE0ES3_S9_NS6_6detail15normal_iteratorINS6_10device_ptrIjEEEESG_SG_SG_PmS8_22is_equal_div_10_reduceIjEEE10hipError_tPvRmT2_T3_mT4_T5_T6_T7_T8_P12ihipStream_tbENKUlT_T0_E_clISt17integral_constantIbLb0EES11_EEDaSW_SX_EUlSW_E_NS1_11comp_targetILNS1_3genE10ELNS1_11target_archE1201ELNS1_3gpuE5ELNS1_3repE0EEENS1_30default_config_static_selectorELNS0_4arch9wavefront6targetE1EEEvT1_
                                        ; -- End function
	.section	.AMDGPU.csdata,"",@progbits
; Kernel info:
; codeLenInByte = 0
; NumSgprs: 4
; NumVgprs: 0
; NumAgprs: 0
; TotalNumVgprs: 0
; ScratchSize: 0
; MemoryBound: 0
; FloatMode: 240
; IeeeMode: 1
; LDSByteSize: 0 bytes/workgroup (compile time only)
; SGPRBlocks: 0
; VGPRBlocks: 0
; NumSGPRsForWavesPerEU: 4
; NumVGPRsForWavesPerEU: 1
; AccumOffset: 4
; Occupancy: 8
; WaveLimiterHint : 0
; COMPUTE_PGM_RSRC2:SCRATCH_EN: 0
; COMPUTE_PGM_RSRC2:USER_SGPR: 6
; COMPUTE_PGM_RSRC2:TRAP_HANDLER: 0
; COMPUTE_PGM_RSRC2:TGID_X_EN: 1
; COMPUTE_PGM_RSRC2:TGID_Y_EN: 0
; COMPUTE_PGM_RSRC2:TGID_Z_EN: 0
; COMPUTE_PGM_RSRC2:TIDIG_COMP_CNT: 0
; COMPUTE_PGM_RSRC3_GFX90A:ACCUM_OFFSET: 0
; COMPUTE_PGM_RSRC3_GFX90A:TG_SPLIT: 0
	.section	.text._ZN7rocprim17ROCPRIM_400000_NS6detail17trampoline_kernelINS0_14default_configENS1_29reduce_by_key_config_selectorIjjN6thrust23THRUST_200600_302600_NS4plusIjEEEEZZNS1_33reduce_by_key_impl_wrapped_configILNS1_25lookback_scan_determinismE0ES3_S9_NS6_6detail15normal_iteratorINS6_10device_ptrIjEEEESG_SG_SG_PmS8_22is_equal_div_10_reduceIjEEE10hipError_tPvRmT2_T3_mT4_T5_T6_T7_T8_P12ihipStream_tbENKUlT_T0_E_clISt17integral_constantIbLb0EES11_EEDaSW_SX_EUlSW_E_NS1_11comp_targetILNS1_3genE10ELNS1_11target_archE1200ELNS1_3gpuE4ELNS1_3repE0EEENS1_30default_config_static_selectorELNS0_4arch9wavefront6targetE1EEEvT1_,"axG",@progbits,_ZN7rocprim17ROCPRIM_400000_NS6detail17trampoline_kernelINS0_14default_configENS1_29reduce_by_key_config_selectorIjjN6thrust23THRUST_200600_302600_NS4plusIjEEEEZZNS1_33reduce_by_key_impl_wrapped_configILNS1_25lookback_scan_determinismE0ES3_S9_NS6_6detail15normal_iteratorINS6_10device_ptrIjEEEESG_SG_SG_PmS8_22is_equal_div_10_reduceIjEEE10hipError_tPvRmT2_T3_mT4_T5_T6_T7_T8_P12ihipStream_tbENKUlT_T0_E_clISt17integral_constantIbLb0EES11_EEDaSW_SX_EUlSW_E_NS1_11comp_targetILNS1_3genE10ELNS1_11target_archE1200ELNS1_3gpuE4ELNS1_3repE0EEENS1_30default_config_static_selectorELNS0_4arch9wavefront6targetE1EEEvT1_,comdat
	.protected	_ZN7rocprim17ROCPRIM_400000_NS6detail17trampoline_kernelINS0_14default_configENS1_29reduce_by_key_config_selectorIjjN6thrust23THRUST_200600_302600_NS4plusIjEEEEZZNS1_33reduce_by_key_impl_wrapped_configILNS1_25lookback_scan_determinismE0ES3_S9_NS6_6detail15normal_iteratorINS6_10device_ptrIjEEEESG_SG_SG_PmS8_22is_equal_div_10_reduceIjEEE10hipError_tPvRmT2_T3_mT4_T5_T6_T7_T8_P12ihipStream_tbENKUlT_T0_E_clISt17integral_constantIbLb0EES11_EEDaSW_SX_EUlSW_E_NS1_11comp_targetILNS1_3genE10ELNS1_11target_archE1200ELNS1_3gpuE4ELNS1_3repE0EEENS1_30default_config_static_selectorELNS0_4arch9wavefront6targetE1EEEvT1_ ; -- Begin function _ZN7rocprim17ROCPRIM_400000_NS6detail17trampoline_kernelINS0_14default_configENS1_29reduce_by_key_config_selectorIjjN6thrust23THRUST_200600_302600_NS4plusIjEEEEZZNS1_33reduce_by_key_impl_wrapped_configILNS1_25lookback_scan_determinismE0ES3_S9_NS6_6detail15normal_iteratorINS6_10device_ptrIjEEEESG_SG_SG_PmS8_22is_equal_div_10_reduceIjEEE10hipError_tPvRmT2_T3_mT4_T5_T6_T7_T8_P12ihipStream_tbENKUlT_T0_E_clISt17integral_constantIbLb0EES11_EEDaSW_SX_EUlSW_E_NS1_11comp_targetILNS1_3genE10ELNS1_11target_archE1200ELNS1_3gpuE4ELNS1_3repE0EEENS1_30default_config_static_selectorELNS0_4arch9wavefront6targetE1EEEvT1_
	.globl	_ZN7rocprim17ROCPRIM_400000_NS6detail17trampoline_kernelINS0_14default_configENS1_29reduce_by_key_config_selectorIjjN6thrust23THRUST_200600_302600_NS4plusIjEEEEZZNS1_33reduce_by_key_impl_wrapped_configILNS1_25lookback_scan_determinismE0ES3_S9_NS6_6detail15normal_iteratorINS6_10device_ptrIjEEEESG_SG_SG_PmS8_22is_equal_div_10_reduceIjEEE10hipError_tPvRmT2_T3_mT4_T5_T6_T7_T8_P12ihipStream_tbENKUlT_T0_E_clISt17integral_constantIbLb0EES11_EEDaSW_SX_EUlSW_E_NS1_11comp_targetILNS1_3genE10ELNS1_11target_archE1200ELNS1_3gpuE4ELNS1_3repE0EEENS1_30default_config_static_selectorELNS0_4arch9wavefront6targetE1EEEvT1_
	.p2align	8
	.type	_ZN7rocprim17ROCPRIM_400000_NS6detail17trampoline_kernelINS0_14default_configENS1_29reduce_by_key_config_selectorIjjN6thrust23THRUST_200600_302600_NS4plusIjEEEEZZNS1_33reduce_by_key_impl_wrapped_configILNS1_25lookback_scan_determinismE0ES3_S9_NS6_6detail15normal_iteratorINS6_10device_ptrIjEEEESG_SG_SG_PmS8_22is_equal_div_10_reduceIjEEE10hipError_tPvRmT2_T3_mT4_T5_T6_T7_T8_P12ihipStream_tbENKUlT_T0_E_clISt17integral_constantIbLb0EES11_EEDaSW_SX_EUlSW_E_NS1_11comp_targetILNS1_3genE10ELNS1_11target_archE1200ELNS1_3gpuE4ELNS1_3repE0EEENS1_30default_config_static_selectorELNS0_4arch9wavefront6targetE1EEEvT1_,@function
_ZN7rocprim17ROCPRIM_400000_NS6detail17trampoline_kernelINS0_14default_configENS1_29reduce_by_key_config_selectorIjjN6thrust23THRUST_200600_302600_NS4plusIjEEEEZZNS1_33reduce_by_key_impl_wrapped_configILNS1_25lookback_scan_determinismE0ES3_S9_NS6_6detail15normal_iteratorINS6_10device_ptrIjEEEESG_SG_SG_PmS8_22is_equal_div_10_reduceIjEEE10hipError_tPvRmT2_T3_mT4_T5_T6_T7_T8_P12ihipStream_tbENKUlT_T0_E_clISt17integral_constantIbLb0EES11_EEDaSW_SX_EUlSW_E_NS1_11comp_targetILNS1_3genE10ELNS1_11target_archE1200ELNS1_3gpuE4ELNS1_3repE0EEENS1_30default_config_static_selectorELNS0_4arch9wavefront6targetE1EEEvT1_: ; @_ZN7rocprim17ROCPRIM_400000_NS6detail17trampoline_kernelINS0_14default_configENS1_29reduce_by_key_config_selectorIjjN6thrust23THRUST_200600_302600_NS4plusIjEEEEZZNS1_33reduce_by_key_impl_wrapped_configILNS1_25lookback_scan_determinismE0ES3_S9_NS6_6detail15normal_iteratorINS6_10device_ptrIjEEEESG_SG_SG_PmS8_22is_equal_div_10_reduceIjEEE10hipError_tPvRmT2_T3_mT4_T5_T6_T7_T8_P12ihipStream_tbENKUlT_T0_E_clISt17integral_constantIbLb0EES11_EEDaSW_SX_EUlSW_E_NS1_11comp_targetILNS1_3genE10ELNS1_11target_archE1200ELNS1_3gpuE4ELNS1_3repE0EEENS1_30default_config_static_selectorELNS0_4arch9wavefront6targetE1EEEvT1_
; %bb.0:
	.section	.rodata,"a",@progbits
	.p2align	6, 0x0
	.amdhsa_kernel _ZN7rocprim17ROCPRIM_400000_NS6detail17trampoline_kernelINS0_14default_configENS1_29reduce_by_key_config_selectorIjjN6thrust23THRUST_200600_302600_NS4plusIjEEEEZZNS1_33reduce_by_key_impl_wrapped_configILNS1_25lookback_scan_determinismE0ES3_S9_NS6_6detail15normal_iteratorINS6_10device_ptrIjEEEESG_SG_SG_PmS8_22is_equal_div_10_reduceIjEEE10hipError_tPvRmT2_T3_mT4_T5_T6_T7_T8_P12ihipStream_tbENKUlT_T0_E_clISt17integral_constantIbLb0EES11_EEDaSW_SX_EUlSW_E_NS1_11comp_targetILNS1_3genE10ELNS1_11target_archE1200ELNS1_3gpuE4ELNS1_3repE0EEENS1_30default_config_static_selectorELNS0_4arch9wavefront6targetE1EEEvT1_
		.amdhsa_group_segment_fixed_size 0
		.amdhsa_private_segment_fixed_size 0
		.amdhsa_kernarg_size 120
		.amdhsa_user_sgpr_count 6
		.amdhsa_user_sgpr_private_segment_buffer 1
		.amdhsa_user_sgpr_dispatch_ptr 0
		.amdhsa_user_sgpr_queue_ptr 0
		.amdhsa_user_sgpr_kernarg_segment_ptr 1
		.amdhsa_user_sgpr_dispatch_id 0
		.amdhsa_user_sgpr_flat_scratch_init 0
		.amdhsa_user_sgpr_kernarg_preload_length 0
		.amdhsa_user_sgpr_kernarg_preload_offset 0
		.amdhsa_user_sgpr_private_segment_size 0
		.amdhsa_uses_dynamic_stack 0
		.amdhsa_system_sgpr_private_segment_wavefront_offset 0
		.amdhsa_system_sgpr_workgroup_id_x 1
		.amdhsa_system_sgpr_workgroup_id_y 0
		.amdhsa_system_sgpr_workgroup_id_z 0
		.amdhsa_system_sgpr_workgroup_info 0
		.amdhsa_system_vgpr_workitem_id 0
		.amdhsa_next_free_vgpr 1
		.amdhsa_next_free_sgpr 0
		.amdhsa_accum_offset 4
		.amdhsa_reserve_vcc 0
		.amdhsa_reserve_flat_scratch 0
		.amdhsa_float_round_mode_32 0
		.amdhsa_float_round_mode_16_64 0
		.amdhsa_float_denorm_mode_32 3
		.amdhsa_float_denorm_mode_16_64 3
		.amdhsa_dx10_clamp 1
		.amdhsa_ieee_mode 1
		.amdhsa_fp16_overflow 0
		.amdhsa_tg_split 0
		.amdhsa_exception_fp_ieee_invalid_op 0
		.amdhsa_exception_fp_denorm_src 0
		.amdhsa_exception_fp_ieee_div_zero 0
		.amdhsa_exception_fp_ieee_overflow 0
		.amdhsa_exception_fp_ieee_underflow 0
		.amdhsa_exception_fp_ieee_inexact 0
		.amdhsa_exception_int_div_zero 0
	.end_amdhsa_kernel
	.section	.text._ZN7rocprim17ROCPRIM_400000_NS6detail17trampoline_kernelINS0_14default_configENS1_29reduce_by_key_config_selectorIjjN6thrust23THRUST_200600_302600_NS4plusIjEEEEZZNS1_33reduce_by_key_impl_wrapped_configILNS1_25lookback_scan_determinismE0ES3_S9_NS6_6detail15normal_iteratorINS6_10device_ptrIjEEEESG_SG_SG_PmS8_22is_equal_div_10_reduceIjEEE10hipError_tPvRmT2_T3_mT4_T5_T6_T7_T8_P12ihipStream_tbENKUlT_T0_E_clISt17integral_constantIbLb0EES11_EEDaSW_SX_EUlSW_E_NS1_11comp_targetILNS1_3genE10ELNS1_11target_archE1200ELNS1_3gpuE4ELNS1_3repE0EEENS1_30default_config_static_selectorELNS0_4arch9wavefront6targetE1EEEvT1_,"axG",@progbits,_ZN7rocprim17ROCPRIM_400000_NS6detail17trampoline_kernelINS0_14default_configENS1_29reduce_by_key_config_selectorIjjN6thrust23THRUST_200600_302600_NS4plusIjEEEEZZNS1_33reduce_by_key_impl_wrapped_configILNS1_25lookback_scan_determinismE0ES3_S9_NS6_6detail15normal_iteratorINS6_10device_ptrIjEEEESG_SG_SG_PmS8_22is_equal_div_10_reduceIjEEE10hipError_tPvRmT2_T3_mT4_T5_T6_T7_T8_P12ihipStream_tbENKUlT_T0_E_clISt17integral_constantIbLb0EES11_EEDaSW_SX_EUlSW_E_NS1_11comp_targetILNS1_3genE10ELNS1_11target_archE1200ELNS1_3gpuE4ELNS1_3repE0EEENS1_30default_config_static_selectorELNS0_4arch9wavefront6targetE1EEEvT1_,comdat
.Lfunc_end360:
	.size	_ZN7rocprim17ROCPRIM_400000_NS6detail17trampoline_kernelINS0_14default_configENS1_29reduce_by_key_config_selectorIjjN6thrust23THRUST_200600_302600_NS4plusIjEEEEZZNS1_33reduce_by_key_impl_wrapped_configILNS1_25lookback_scan_determinismE0ES3_S9_NS6_6detail15normal_iteratorINS6_10device_ptrIjEEEESG_SG_SG_PmS8_22is_equal_div_10_reduceIjEEE10hipError_tPvRmT2_T3_mT4_T5_T6_T7_T8_P12ihipStream_tbENKUlT_T0_E_clISt17integral_constantIbLb0EES11_EEDaSW_SX_EUlSW_E_NS1_11comp_targetILNS1_3genE10ELNS1_11target_archE1200ELNS1_3gpuE4ELNS1_3repE0EEENS1_30default_config_static_selectorELNS0_4arch9wavefront6targetE1EEEvT1_, .Lfunc_end360-_ZN7rocprim17ROCPRIM_400000_NS6detail17trampoline_kernelINS0_14default_configENS1_29reduce_by_key_config_selectorIjjN6thrust23THRUST_200600_302600_NS4plusIjEEEEZZNS1_33reduce_by_key_impl_wrapped_configILNS1_25lookback_scan_determinismE0ES3_S9_NS6_6detail15normal_iteratorINS6_10device_ptrIjEEEESG_SG_SG_PmS8_22is_equal_div_10_reduceIjEEE10hipError_tPvRmT2_T3_mT4_T5_T6_T7_T8_P12ihipStream_tbENKUlT_T0_E_clISt17integral_constantIbLb0EES11_EEDaSW_SX_EUlSW_E_NS1_11comp_targetILNS1_3genE10ELNS1_11target_archE1200ELNS1_3gpuE4ELNS1_3repE0EEENS1_30default_config_static_selectorELNS0_4arch9wavefront6targetE1EEEvT1_
                                        ; -- End function
	.section	.AMDGPU.csdata,"",@progbits
; Kernel info:
; codeLenInByte = 0
; NumSgprs: 4
; NumVgprs: 0
; NumAgprs: 0
; TotalNumVgprs: 0
; ScratchSize: 0
; MemoryBound: 0
; FloatMode: 240
; IeeeMode: 1
; LDSByteSize: 0 bytes/workgroup (compile time only)
; SGPRBlocks: 0
; VGPRBlocks: 0
; NumSGPRsForWavesPerEU: 4
; NumVGPRsForWavesPerEU: 1
; AccumOffset: 4
; Occupancy: 8
; WaveLimiterHint : 0
; COMPUTE_PGM_RSRC2:SCRATCH_EN: 0
; COMPUTE_PGM_RSRC2:USER_SGPR: 6
; COMPUTE_PGM_RSRC2:TRAP_HANDLER: 0
; COMPUTE_PGM_RSRC2:TGID_X_EN: 1
; COMPUTE_PGM_RSRC2:TGID_Y_EN: 0
; COMPUTE_PGM_RSRC2:TGID_Z_EN: 0
; COMPUTE_PGM_RSRC2:TIDIG_COMP_CNT: 0
; COMPUTE_PGM_RSRC3_GFX90A:ACCUM_OFFSET: 0
; COMPUTE_PGM_RSRC3_GFX90A:TG_SPLIT: 0
	.section	.text._ZN7rocprim17ROCPRIM_400000_NS6detail17trampoline_kernelINS0_14default_configENS1_29reduce_by_key_config_selectorIjjN6thrust23THRUST_200600_302600_NS4plusIjEEEEZZNS1_33reduce_by_key_impl_wrapped_configILNS1_25lookback_scan_determinismE0ES3_S9_NS6_6detail15normal_iteratorINS6_10device_ptrIjEEEESG_SG_SG_PmS8_22is_equal_div_10_reduceIjEEE10hipError_tPvRmT2_T3_mT4_T5_T6_T7_T8_P12ihipStream_tbENKUlT_T0_E_clISt17integral_constantIbLb0EES11_EEDaSW_SX_EUlSW_E_NS1_11comp_targetILNS1_3genE9ELNS1_11target_archE1100ELNS1_3gpuE3ELNS1_3repE0EEENS1_30default_config_static_selectorELNS0_4arch9wavefront6targetE1EEEvT1_,"axG",@progbits,_ZN7rocprim17ROCPRIM_400000_NS6detail17trampoline_kernelINS0_14default_configENS1_29reduce_by_key_config_selectorIjjN6thrust23THRUST_200600_302600_NS4plusIjEEEEZZNS1_33reduce_by_key_impl_wrapped_configILNS1_25lookback_scan_determinismE0ES3_S9_NS6_6detail15normal_iteratorINS6_10device_ptrIjEEEESG_SG_SG_PmS8_22is_equal_div_10_reduceIjEEE10hipError_tPvRmT2_T3_mT4_T5_T6_T7_T8_P12ihipStream_tbENKUlT_T0_E_clISt17integral_constantIbLb0EES11_EEDaSW_SX_EUlSW_E_NS1_11comp_targetILNS1_3genE9ELNS1_11target_archE1100ELNS1_3gpuE3ELNS1_3repE0EEENS1_30default_config_static_selectorELNS0_4arch9wavefront6targetE1EEEvT1_,comdat
	.protected	_ZN7rocprim17ROCPRIM_400000_NS6detail17trampoline_kernelINS0_14default_configENS1_29reduce_by_key_config_selectorIjjN6thrust23THRUST_200600_302600_NS4plusIjEEEEZZNS1_33reduce_by_key_impl_wrapped_configILNS1_25lookback_scan_determinismE0ES3_S9_NS6_6detail15normal_iteratorINS6_10device_ptrIjEEEESG_SG_SG_PmS8_22is_equal_div_10_reduceIjEEE10hipError_tPvRmT2_T3_mT4_T5_T6_T7_T8_P12ihipStream_tbENKUlT_T0_E_clISt17integral_constantIbLb0EES11_EEDaSW_SX_EUlSW_E_NS1_11comp_targetILNS1_3genE9ELNS1_11target_archE1100ELNS1_3gpuE3ELNS1_3repE0EEENS1_30default_config_static_selectorELNS0_4arch9wavefront6targetE1EEEvT1_ ; -- Begin function _ZN7rocprim17ROCPRIM_400000_NS6detail17trampoline_kernelINS0_14default_configENS1_29reduce_by_key_config_selectorIjjN6thrust23THRUST_200600_302600_NS4plusIjEEEEZZNS1_33reduce_by_key_impl_wrapped_configILNS1_25lookback_scan_determinismE0ES3_S9_NS6_6detail15normal_iteratorINS6_10device_ptrIjEEEESG_SG_SG_PmS8_22is_equal_div_10_reduceIjEEE10hipError_tPvRmT2_T3_mT4_T5_T6_T7_T8_P12ihipStream_tbENKUlT_T0_E_clISt17integral_constantIbLb0EES11_EEDaSW_SX_EUlSW_E_NS1_11comp_targetILNS1_3genE9ELNS1_11target_archE1100ELNS1_3gpuE3ELNS1_3repE0EEENS1_30default_config_static_selectorELNS0_4arch9wavefront6targetE1EEEvT1_
	.globl	_ZN7rocprim17ROCPRIM_400000_NS6detail17trampoline_kernelINS0_14default_configENS1_29reduce_by_key_config_selectorIjjN6thrust23THRUST_200600_302600_NS4plusIjEEEEZZNS1_33reduce_by_key_impl_wrapped_configILNS1_25lookback_scan_determinismE0ES3_S9_NS6_6detail15normal_iteratorINS6_10device_ptrIjEEEESG_SG_SG_PmS8_22is_equal_div_10_reduceIjEEE10hipError_tPvRmT2_T3_mT4_T5_T6_T7_T8_P12ihipStream_tbENKUlT_T0_E_clISt17integral_constantIbLb0EES11_EEDaSW_SX_EUlSW_E_NS1_11comp_targetILNS1_3genE9ELNS1_11target_archE1100ELNS1_3gpuE3ELNS1_3repE0EEENS1_30default_config_static_selectorELNS0_4arch9wavefront6targetE1EEEvT1_
	.p2align	8
	.type	_ZN7rocprim17ROCPRIM_400000_NS6detail17trampoline_kernelINS0_14default_configENS1_29reduce_by_key_config_selectorIjjN6thrust23THRUST_200600_302600_NS4plusIjEEEEZZNS1_33reduce_by_key_impl_wrapped_configILNS1_25lookback_scan_determinismE0ES3_S9_NS6_6detail15normal_iteratorINS6_10device_ptrIjEEEESG_SG_SG_PmS8_22is_equal_div_10_reduceIjEEE10hipError_tPvRmT2_T3_mT4_T5_T6_T7_T8_P12ihipStream_tbENKUlT_T0_E_clISt17integral_constantIbLb0EES11_EEDaSW_SX_EUlSW_E_NS1_11comp_targetILNS1_3genE9ELNS1_11target_archE1100ELNS1_3gpuE3ELNS1_3repE0EEENS1_30default_config_static_selectorELNS0_4arch9wavefront6targetE1EEEvT1_,@function
_ZN7rocprim17ROCPRIM_400000_NS6detail17trampoline_kernelINS0_14default_configENS1_29reduce_by_key_config_selectorIjjN6thrust23THRUST_200600_302600_NS4plusIjEEEEZZNS1_33reduce_by_key_impl_wrapped_configILNS1_25lookback_scan_determinismE0ES3_S9_NS6_6detail15normal_iteratorINS6_10device_ptrIjEEEESG_SG_SG_PmS8_22is_equal_div_10_reduceIjEEE10hipError_tPvRmT2_T3_mT4_T5_T6_T7_T8_P12ihipStream_tbENKUlT_T0_E_clISt17integral_constantIbLb0EES11_EEDaSW_SX_EUlSW_E_NS1_11comp_targetILNS1_3genE9ELNS1_11target_archE1100ELNS1_3gpuE3ELNS1_3repE0EEENS1_30default_config_static_selectorELNS0_4arch9wavefront6targetE1EEEvT1_: ; @_ZN7rocprim17ROCPRIM_400000_NS6detail17trampoline_kernelINS0_14default_configENS1_29reduce_by_key_config_selectorIjjN6thrust23THRUST_200600_302600_NS4plusIjEEEEZZNS1_33reduce_by_key_impl_wrapped_configILNS1_25lookback_scan_determinismE0ES3_S9_NS6_6detail15normal_iteratorINS6_10device_ptrIjEEEESG_SG_SG_PmS8_22is_equal_div_10_reduceIjEEE10hipError_tPvRmT2_T3_mT4_T5_T6_T7_T8_P12ihipStream_tbENKUlT_T0_E_clISt17integral_constantIbLb0EES11_EEDaSW_SX_EUlSW_E_NS1_11comp_targetILNS1_3genE9ELNS1_11target_archE1100ELNS1_3gpuE3ELNS1_3repE0EEENS1_30default_config_static_selectorELNS0_4arch9wavefront6targetE1EEEvT1_
; %bb.0:
	.section	.rodata,"a",@progbits
	.p2align	6, 0x0
	.amdhsa_kernel _ZN7rocprim17ROCPRIM_400000_NS6detail17trampoline_kernelINS0_14default_configENS1_29reduce_by_key_config_selectorIjjN6thrust23THRUST_200600_302600_NS4plusIjEEEEZZNS1_33reduce_by_key_impl_wrapped_configILNS1_25lookback_scan_determinismE0ES3_S9_NS6_6detail15normal_iteratorINS6_10device_ptrIjEEEESG_SG_SG_PmS8_22is_equal_div_10_reduceIjEEE10hipError_tPvRmT2_T3_mT4_T5_T6_T7_T8_P12ihipStream_tbENKUlT_T0_E_clISt17integral_constantIbLb0EES11_EEDaSW_SX_EUlSW_E_NS1_11comp_targetILNS1_3genE9ELNS1_11target_archE1100ELNS1_3gpuE3ELNS1_3repE0EEENS1_30default_config_static_selectorELNS0_4arch9wavefront6targetE1EEEvT1_
		.amdhsa_group_segment_fixed_size 0
		.amdhsa_private_segment_fixed_size 0
		.amdhsa_kernarg_size 120
		.amdhsa_user_sgpr_count 6
		.amdhsa_user_sgpr_private_segment_buffer 1
		.amdhsa_user_sgpr_dispatch_ptr 0
		.amdhsa_user_sgpr_queue_ptr 0
		.amdhsa_user_sgpr_kernarg_segment_ptr 1
		.amdhsa_user_sgpr_dispatch_id 0
		.amdhsa_user_sgpr_flat_scratch_init 0
		.amdhsa_user_sgpr_kernarg_preload_length 0
		.amdhsa_user_sgpr_kernarg_preload_offset 0
		.amdhsa_user_sgpr_private_segment_size 0
		.amdhsa_uses_dynamic_stack 0
		.amdhsa_system_sgpr_private_segment_wavefront_offset 0
		.amdhsa_system_sgpr_workgroup_id_x 1
		.amdhsa_system_sgpr_workgroup_id_y 0
		.amdhsa_system_sgpr_workgroup_id_z 0
		.amdhsa_system_sgpr_workgroup_info 0
		.amdhsa_system_vgpr_workitem_id 0
		.amdhsa_next_free_vgpr 1
		.amdhsa_next_free_sgpr 0
		.amdhsa_accum_offset 4
		.amdhsa_reserve_vcc 0
		.amdhsa_reserve_flat_scratch 0
		.amdhsa_float_round_mode_32 0
		.amdhsa_float_round_mode_16_64 0
		.amdhsa_float_denorm_mode_32 3
		.amdhsa_float_denorm_mode_16_64 3
		.amdhsa_dx10_clamp 1
		.amdhsa_ieee_mode 1
		.amdhsa_fp16_overflow 0
		.amdhsa_tg_split 0
		.amdhsa_exception_fp_ieee_invalid_op 0
		.amdhsa_exception_fp_denorm_src 0
		.amdhsa_exception_fp_ieee_div_zero 0
		.amdhsa_exception_fp_ieee_overflow 0
		.amdhsa_exception_fp_ieee_underflow 0
		.amdhsa_exception_fp_ieee_inexact 0
		.amdhsa_exception_int_div_zero 0
	.end_amdhsa_kernel
	.section	.text._ZN7rocprim17ROCPRIM_400000_NS6detail17trampoline_kernelINS0_14default_configENS1_29reduce_by_key_config_selectorIjjN6thrust23THRUST_200600_302600_NS4plusIjEEEEZZNS1_33reduce_by_key_impl_wrapped_configILNS1_25lookback_scan_determinismE0ES3_S9_NS6_6detail15normal_iteratorINS6_10device_ptrIjEEEESG_SG_SG_PmS8_22is_equal_div_10_reduceIjEEE10hipError_tPvRmT2_T3_mT4_T5_T6_T7_T8_P12ihipStream_tbENKUlT_T0_E_clISt17integral_constantIbLb0EES11_EEDaSW_SX_EUlSW_E_NS1_11comp_targetILNS1_3genE9ELNS1_11target_archE1100ELNS1_3gpuE3ELNS1_3repE0EEENS1_30default_config_static_selectorELNS0_4arch9wavefront6targetE1EEEvT1_,"axG",@progbits,_ZN7rocprim17ROCPRIM_400000_NS6detail17trampoline_kernelINS0_14default_configENS1_29reduce_by_key_config_selectorIjjN6thrust23THRUST_200600_302600_NS4plusIjEEEEZZNS1_33reduce_by_key_impl_wrapped_configILNS1_25lookback_scan_determinismE0ES3_S9_NS6_6detail15normal_iteratorINS6_10device_ptrIjEEEESG_SG_SG_PmS8_22is_equal_div_10_reduceIjEEE10hipError_tPvRmT2_T3_mT4_T5_T6_T7_T8_P12ihipStream_tbENKUlT_T0_E_clISt17integral_constantIbLb0EES11_EEDaSW_SX_EUlSW_E_NS1_11comp_targetILNS1_3genE9ELNS1_11target_archE1100ELNS1_3gpuE3ELNS1_3repE0EEENS1_30default_config_static_selectorELNS0_4arch9wavefront6targetE1EEEvT1_,comdat
.Lfunc_end361:
	.size	_ZN7rocprim17ROCPRIM_400000_NS6detail17trampoline_kernelINS0_14default_configENS1_29reduce_by_key_config_selectorIjjN6thrust23THRUST_200600_302600_NS4plusIjEEEEZZNS1_33reduce_by_key_impl_wrapped_configILNS1_25lookback_scan_determinismE0ES3_S9_NS6_6detail15normal_iteratorINS6_10device_ptrIjEEEESG_SG_SG_PmS8_22is_equal_div_10_reduceIjEEE10hipError_tPvRmT2_T3_mT4_T5_T6_T7_T8_P12ihipStream_tbENKUlT_T0_E_clISt17integral_constantIbLb0EES11_EEDaSW_SX_EUlSW_E_NS1_11comp_targetILNS1_3genE9ELNS1_11target_archE1100ELNS1_3gpuE3ELNS1_3repE0EEENS1_30default_config_static_selectorELNS0_4arch9wavefront6targetE1EEEvT1_, .Lfunc_end361-_ZN7rocprim17ROCPRIM_400000_NS6detail17trampoline_kernelINS0_14default_configENS1_29reduce_by_key_config_selectorIjjN6thrust23THRUST_200600_302600_NS4plusIjEEEEZZNS1_33reduce_by_key_impl_wrapped_configILNS1_25lookback_scan_determinismE0ES3_S9_NS6_6detail15normal_iteratorINS6_10device_ptrIjEEEESG_SG_SG_PmS8_22is_equal_div_10_reduceIjEEE10hipError_tPvRmT2_T3_mT4_T5_T6_T7_T8_P12ihipStream_tbENKUlT_T0_E_clISt17integral_constantIbLb0EES11_EEDaSW_SX_EUlSW_E_NS1_11comp_targetILNS1_3genE9ELNS1_11target_archE1100ELNS1_3gpuE3ELNS1_3repE0EEENS1_30default_config_static_selectorELNS0_4arch9wavefront6targetE1EEEvT1_
                                        ; -- End function
	.section	.AMDGPU.csdata,"",@progbits
; Kernel info:
; codeLenInByte = 0
; NumSgprs: 4
; NumVgprs: 0
; NumAgprs: 0
; TotalNumVgprs: 0
; ScratchSize: 0
; MemoryBound: 0
; FloatMode: 240
; IeeeMode: 1
; LDSByteSize: 0 bytes/workgroup (compile time only)
; SGPRBlocks: 0
; VGPRBlocks: 0
; NumSGPRsForWavesPerEU: 4
; NumVGPRsForWavesPerEU: 1
; AccumOffset: 4
; Occupancy: 8
; WaveLimiterHint : 0
; COMPUTE_PGM_RSRC2:SCRATCH_EN: 0
; COMPUTE_PGM_RSRC2:USER_SGPR: 6
; COMPUTE_PGM_RSRC2:TRAP_HANDLER: 0
; COMPUTE_PGM_RSRC2:TGID_X_EN: 1
; COMPUTE_PGM_RSRC2:TGID_Y_EN: 0
; COMPUTE_PGM_RSRC2:TGID_Z_EN: 0
; COMPUTE_PGM_RSRC2:TIDIG_COMP_CNT: 0
; COMPUTE_PGM_RSRC3_GFX90A:ACCUM_OFFSET: 0
; COMPUTE_PGM_RSRC3_GFX90A:TG_SPLIT: 0
	.section	.text._ZN7rocprim17ROCPRIM_400000_NS6detail17trampoline_kernelINS0_14default_configENS1_29reduce_by_key_config_selectorIjjN6thrust23THRUST_200600_302600_NS4plusIjEEEEZZNS1_33reduce_by_key_impl_wrapped_configILNS1_25lookback_scan_determinismE0ES3_S9_NS6_6detail15normal_iteratorINS6_10device_ptrIjEEEESG_SG_SG_PmS8_22is_equal_div_10_reduceIjEEE10hipError_tPvRmT2_T3_mT4_T5_T6_T7_T8_P12ihipStream_tbENKUlT_T0_E_clISt17integral_constantIbLb0EES11_EEDaSW_SX_EUlSW_E_NS1_11comp_targetILNS1_3genE8ELNS1_11target_archE1030ELNS1_3gpuE2ELNS1_3repE0EEENS1_30default_config_static_selectorELNS0_4arch9wavefront6targetE1EEEvT1_,"axG",@progbits,_ZN7rocprim17ROCPRIM_400000_NS6detail17trampoline_kernelINS0_14default_configENS1_29reduce_by_key_config_selectorIjjN6thrust23THRUST_200600_302600_NS4plusIjEEEEZZNS1_33reduce_by_key_impl_wrapped_configILNS1_25lookback_scan_determinismE0ES3_S9_NS6_6detail15normal_iteratorINS6_10device_ptrIjEEEESG_SG_SG_PmS8_22is_equal_div_10_reduceIjEEE10hipError_tPvRmT2_T3_mT4_T5_T6_T7_T8_P12ihipStream_tbENKUlT_T0_E_clISt17integral_constantIbLb0EES11_EEDaSW_SX_EUlSW_E_NS1_11comp_targetILNS1_3genE8ELNS1_11target_archE1030ELNS1_3gpuE2ELNS1_3repE0EEENS1_30default_config_static_selectorELNS0_4arch9wavefront6targetE1EEEvT1_,comdat
	.protected	_ZN7rocprim17ROCPRIM_400000_NS6detail17trampoline_kernelINS0_14default_configENS1_29reduce_by_key_config_selectorIjjN6thrust23THRUST_200600_302600_NS4plusIjEEEEZZNS1_33reduce_by_key_impl_wrapped_configILNS1_25lookback_scan_determinismE0ES3_S9_NS6_6detail15normal_iteratorINS6_10device_ptrIjEEEESG_SG_SG_PmS8_22is_equal_div_10_reduceIjEEE10hipError_tPvRmT2_T3_mT4_T5_T6_T7_T8_P12ihipStream_tbENKUlT_T0_E_clISt17integral_constantIbLb0EES11_EEDaSW_SX_EUlSW_E_NS1_11comp_targetILNS1_3genE8ELNS1_11target_archE1030ELNS1_3gpuE2ELNS1_3repE0EEENS1_30default_config_static_selectorELNS0_4arch9wavefront6targetE1EEEvT1_ ; -- Begin function _ZN7rocprim17ROCPRIM_400000_NS6detail17trampoline_kernelINS0_14default_configENS1_29reduce_by_key_config_selectorIjjN6thrust23THRUST_200600_302600_NS4plusIjEEEEZZNS1_33reduce_by_key_impl_wrapped_configILNS1_25lookback_scan_determinismE0ES3_S9_NS6_6detail15normal_iteratorINS6_10device_ptrIjEEEESG_SG_SG_PmS8_22is_equal_div_10_reduceIjEEE10hipError_tPvRmT2_T3_mT4_T5_T6_T7_T8_P12ihipStream_tbENKUlT_T0_E_clISt17integral_constantIbLb0EES11_EEDaSW_SX_EUlSW_E_NS1_11comp_targetILNS1_3genE8ELNS1_11target_archE1030ELNS1_3gpuE2ELNS1_3repE0EEENS1_30default_config_static_selectorELNS0_4arch9wavefront6targetE1EEEvT1_
	.globl	_ZN7rocprim17ROCPRIM_400000_NS6detail17trampoline_kernelINS0_14default_configENS1_29reduce_by_key_config_selectorIjjN6thrust23THRUST_200600_302600_NS4plusIjEEEEZZNS1_33reduce_by_key_impl_wrapped_configILNS1_25lookback_scan_determinismE0ES3_S9_NS6_6detail15normal_iteratorINS6_10device_ptrIjEEEESG_SG_SG_PmS8_22is_equal_div_10_reduceIjEEE10hipError_tPvRmT2_T3_mT4_T5_T6_T7_T8_P12ihipStream_tbENKUlT_T0_E_clISt17integral_constantIbLb0EES11_EEDaSW_SX_EUlSW_E_NS1_11comp_targetILNS1_3genE8ELNS1_11target_archE1030ELNS1_3gpuE2ELNS1_3repE0EEENS1_30default_config_static_selectorELNS0_4arch9wavefront6targetE1EEEvT1_
	.p2align	8
	.type	_ZN7rocprim17ROCPRIM_400000_NS6detail17trampoline_kernelINS0_14default_configENS1_29reduce_by_key_config_selectorIjjN6thrust23THRUST_200600_302600_NS4plusIjEEEEZZNS1_33reduce_by_key_impl_wrapped_configILNS1_25lookback_scan_determinismE0ES3_S9_NS6_6detail15normal_iteratorINS6_10device_ptrIjEEEESG_SG_SG_PmS8_22is_equal_div_10_reduceIjEEE10hipError_tPvRmT2_T3_mT4_T5_T6_T7_T8_P12ihipStream_tbENKUlT_T0_E_clISt17integral_constantIbLb0EES11_EEDaSW_SX_EUlSW_E_NS1_11comp_targetILNS1_3genE8ELNS1_11target_archE1030ELNS1_3gpuE2ELNS1_3repE0EEENS1_30default_config_static_selectorELNS0_4arch9wavefront6targetE1EEEvT1_,@function
_ZN7rocprim17ROCPRIM_400000_NS6detail17trampoline_kernelINS0_14default_configENS1_29reduce_by_key_config_selectorIjjN6thrust23THRUST_200600_302600_NS4plusIjEEEEZZNS1_33reduce_by_key_impl_wrapped_configILNS1_25lookback_scan_determinismE0ES3_S9_NS6_6detail15normal_iteratorINS6_10device_ptrIjEEEESG_SG_SG_PmS8_22is_equal_div_10_reduceIjEEE10hipError_tPvRmT2_T3_mT4_T5_T6_T7_T8_P12ihipStream_tbENKUlT_T0_E_clISt17integral_constantIbLb0EES11_EEDaSW_SX_EUlSW_E_NS1_11comp_targetILNS1_3genE8ELNS1_11target_archE1030ELNS1_3gpuE2ELNS1_3repE0EEENS1_30default_config_static_selectorELNS0_4arch9wavefront6targetE1EEEvT1_: ; @_ZN7rocprim17ROCPRIM_400000_NS6detail17trampoline_kernelINS0_14default_configENS1_29reduce_by_key_config_selectorIjjN6thrust23THRUST_200600_302600_NS4plusIjEEEEZZNS1_33reduce_by_key_impl_wrapped_configILNS1_25lookback_scan_determinismE0ES3_S9_NS6_6detail15normal_iteratorINS6_10device_ptrIjEEEESG_SG_SG_PmS8_22is_equal_div_10_reduceIjEEE10hipError_tPvRmT2_T3_mT4_T5_T6_T7_T8_P12ihipStream_tbENKUlT_T0_E_clISt17integral_constantIbLb0EES11_EEDaSW_SX_EUlSW_E_NS1_11comp_targetILNS1_3genE8ELNS1_11target_archE1030ELNS1_3gpuE2ELNS1_3repE0EEENS1_30default_config_static_selectorELNS0_4arch9wavefront6targetE1EEEvT1_
; %bb.0:
	.section	.rodata,"a",@progbits
	.p2align	6, 0x0
	.amdhsa_kernel _ZN7rocprim17ROCPRIM_400000_NS6detail17trampoline_kernelINS0_14default_configENS1_29reduce_by_key_config_selectorIjjN6thrust23THRUST_200600_302600_NS4plusIjEEEEZZNS1_33reduce_by_key_impl_wrapped_configILNS1_25lookback_scan_determinismE0ES3_S9_NS6_6detail15normal_iteratorINS6_10device_ptrIjEEEESG_SG_SG_PmS8_22is_equal_div_10_reduceIjEEE10hipError_tPvRmT2_T3_mT4_T5_T6_T7_T8_P12ihipStream_tbENKUlT_T0_E_clISt17integral_constantIbLb0EES11_EEDaSW_SX_EUlSW_E_NS1_11comp_targetILNS1_3genE8ELNS1_11target_archE1030ELNS1_3gpuE2ELNS1_3repE0EEENS1_30default_config_static_selectorELNS0_4arch9wavefront6targetE1EEEvT1_
		.amdhsa_group_segment_fixed_size 0
		.amdhsa_private_segment_fixed_size 0
		.amdhsa_kernarg_size 120
		.amdhsa_user_sgpr_count 6
		.amdhsa_user_sgpr_private_segment_buffer 1
		.amdhsa_user_sgpr_dispatch_ptr 0
		.amdhsa_user_sgpr_queue_ptr 0
		.amdhsa_user_sgpr_kernarg_segment_ptr 1
		.amdhsa_user_sgpr_dispatch_id 0
		.amdhsa_user_sgpr_flat_scratch_init 0
		.amdhsa_user_sgpr_kernarg_preload_length 0
		.amdhsa_user_sgpr_kernarg_preload_offset 0
		.amdhsa_user_sgpr_private_segment_size 0
		.amdhsa_uses_dynamic_stack 0
		.amdhsa_system_sgpr_private_segment_wavefront_offset 0
		.amdhsa_system_sgpr_workgroup_id_x 1
		.amdhsa_system_sgpr_workgroup_id_y 0
		.amdhsa_system_sgpr_workgroup_id_z 0
		.amdhsa_system_sgpr_workgroup_info 0
		.amdhsa_system_vgpr_workitem_id 0
		.amdhsa_next_free_vgpr 1
		.amdhsa_next_free_sgpr 0
		.amdhsa_accum_offset 4
		.amdhsa_reserve_vcc 0
		.amdhsa_reserve_flat_scratch 0
		.amdhsa_float_round_mode_32 0
		.amdhsa_float_round_mode_16_64 0
		.amdhsa_float_denorm_mode_32 3
		.amdhsa_float_denorm_mode_16_64 3
		.amdhsa_dx10_clamp 1
		.amdhsa_ieee_mode 1
		.amdhsa_fp16_overflow 0
		.amdhsa_tg_split 0
		.amdhsa_exception_fp_ieee_invalid_op 0
		.amdhsa_exception_fp_denorm_src 0
		.amdhsa_exception_fp_ieee_div_zero 0
		.amdhsa_exception_fp_ieee_overflow 0
		.amdhsa_exception_fp_ieee_underflow 0
		.amdhsa_exception_fp_ieee_inexact 0
		.amdhsa_exception_int_div_zero 0
	.end_amdhsa_kernel
	.section	.text._ZN7rocprim17ROCPRIM_400000_NS6detail17trampoline_kernelINS0_14default_configENS1_29reduce_by_key_config_selectorIjjN6thrust23THRUST_200600_302600_NS4plusIjEEEEZZNS1_33reduce_by_key_impl_wrapped_configILNS1_25lookback_scan_determinismE0ES3_S9_NS6_6detail15normal_iteratorINS6_10device_ptrIjEEEESG_SG_SG_PmS8_22is_equal_div_10_reduceIjEEE10hipError_tPvRmT2_T3_mT4_T5_T6_T7_T8_P12ihipStream_tbENKUlT_T0_E_clISt17integral_constantIbLb0EES11_EEDaSW_SX_EUlSW_E_NS1_11comp_targetILNS1_3genE8ELNS1_11target_archE1030ELNS1_3gpuE2ELNS1_3repE0EEENS1_30default_config_static_selectorELNS0_4arch9wavefront6targetE1EEEvT1_,"axG",@progbits,_ZN7rocprim17ROCPRIM_400000_NS6detail17trampoline_kernelINS0_14default_configENS1_29reduce_by_key_config_selectorIjjN6thrust23THRUST_200600_302600_NS4plusIjEEEEZZNS1_33reduce_by_key_impl_wrapped_configILNS1_25lookback_scan_determinismE0ES3_S9_NS6_6detail15normal_iteratorINS6_10device_ptrIjEEEESG_SG_SG_PmS8_22is_equal_div_10_reduceIjEEE10hipError_tPvRmT2_T3_mT4_T5_T6_T7_T8_P12ihipStream_tbENKUlT_T0_E_clISt17integral_constantIbLb0EES11_EEDaSW_SX_EUlSW_E_NS1_11comp_targetILNS1_3genE8ELNS1_11target_archE1030ELNS1_3gpuE2ELNS1_3repE0EEENS1_30default_config_static_selectorELNS0_4arch9wavefront6targetE1EEEvT1_,comdat
.Lfunc_end362:
	.size	_ZN7rocprim17ROCPRIM_400000_NS6detail17trampoline_kernelINS0_14default_configENS1_29reduce_by_key_config_selectorIjjN6thrust23THRUST_200600_302600_NS4plusIjEEEEZZNS1_33reduce_by_key_impl_wrapped_configILNS1_25lookback_scan_determinismE0ES3_S9_NS6_6detail15normal_iteratorINS6_10device_ptrIjEEEESG_SG_SG_PmS8_22is_equal_div_10_reduceIjEEE10hipError_tPvRmT2_T3_mT4_T5_T6_T7_T8_P12ihipStream_tbENKUlT_T0_E_clISt17integral_constantIbLb0EES11_EEDaSW_SX_EUlSW_E_NS1_11comp_targetILNS1_3genE8ELNS1_11target_archE1030ELNS1_3gpuE2ELNS1_3repE0EEENS1_30default_config_static_selectorELNS0_4arch9wavefront6targetE1EEEvT1_, .Lfunc_end362-_ZN7rocprim17ROCPRIM_400000_NS6detail17trampoline_kernelINS0_14default_configENS1_29reduce_by_key_config_selectorIjjN6thrust23THRUST_200600_302600_NS4plusIjEEEEZZNS1_33reduce_by_key_impl_wrapped_configILNS1_25lookback_scan_determinismE0ES3_S9_NS6_6detail15normal_iteratorINS6_10device_ptrIjEEEESG_SG_SG_PmS8_22is_equal_div_10_reduceIjEEE10hipError_tPvRmT2_T3_mT4_T5_T6_T7_T8_P12ihipStream_tbENKUlT_T0_E_clISt17integral_constantIbLb0EES11_EEDaSW_SX_EUlSW_E_NS1_11comp_targetILNS1_3genE8ELNS1_11target_archE1030ELNS1_3gpuE2ELNS1_3repE0EEENS1_30default_config_static_selectorELNS0_4arch9wavefront6targetE1EEEvT1_
                                        ; -- End function
	.section	.AMDGPU.csdata,"",@progbits
; Kernel info:
; codeLenInByte = 0
; NumSgprs: 4
; NumVgprs: 0
; NumAgprs: 0
; TotalNumVgprs: 0
; ScratchSize: 0
; MemoryBound: 0
; FloatMode: 240
; IeeeMode: 1
; LDSByteSize: 0 bytes/workgroup (compile time only)
; SGPRBlocks: 0
; VGPRBlocks: 0
; NumSGPRsForWavesPerEU: 4
; NumVGPRsForWavesPerEU: 1
; AccumOffset: 4
; Occupancy: 8
; WaveLimiterHint : 0
; COMPUTE_PGM_RSRC2:SCRATCH_EN: 0
; COMPUTE_PGM_RSRC2:USER_SGPR: 6
; COMPUTE_PGM_RSRC2:TRAP_HANDLER: 0
; COMPUTE_PGM_RSRC2:TGID_X_EN: 1
; COMPUTE_PGM_RSRC2:TGID_Y_EN: 0
; COMPUTE_PGM_RSRC2:TGID_Z_EN: 0
; COMPUTE_PGM_RSRC2:TIDIG_COMP_CNT: 0
; COMPUTE_PGM_RSRC3_GFX90A:ACCUM_OFFSET: 0
; COMPUTE_PGM_RSRC3_GFX90A:TG_SPLIT: 0
	.section	.text._ZN7rocprim17ROCPRIM_400000_NS6detail17trampoline_kernelINS0_14default_configENS1_29reduce_by_key_config_selectorIjjN6thrust23THRUST_200600_302600_NS4plusIjEEEEZZNS1_33reduce_by_key_impl_wrapped_configILNS1_25lookback_scan_determinismE0ES3_S9_NS6_6detail15normal_iteratorINS6_10device_ptrIjEEEESG_SG_SG_PmS8_22is_equal_div_10_reduceIjEEE10hipError_tPvRmT2_T3_mT4_T5_T6_T7_T8_P12ihipStream_tbENKUlT_T0_E_clISt17integral_constantIbLb1EES11_EEDaSW_SX_EUlSW_E_NS1_11comp_targetILNS1_3genE0ELNS1_11target_archE4294967295ELNS1_3gpuE0ELNS1_3repE0EEENS1_30default_config_static_selectorELNS0_4arch9wavefront6targetE1EEEvT1_,"axG",@progbits,_ZN7rocprim17ROCPRIM_400000_NS6detail17trampoline_kernelINS0_14default_configENS1_29reduce_by_key_config_selectorIjjN6thrust23THRUST_200600_302600_NS4plusIjEEEEZZNS1_33reduce_by_key_impl_wrapped_configILNS1_25lookback_scan_determinismE0ES3_S9_NS6_6detail15normal_iteratorINS6_10device_ptrIjEEEESG_SG_SG_PmS8_22is_equal_div_10_reduceIjEEE10hipError_tPvRmT2_T3_mT4_T5_T6_T7_T8_P12ihipStream_tbENKUlT_T0_E_clISt17integral_constantIbLb1EES11_EEDaSW_SX_EUlSW_E_NS1_11comp_targetILNS1_3genE0ELNS1_11target_archE4294967295ELNS1_3gpuE0ELNS1_3repE0EEENS1_30default_config_static_selectorELNS0_4arch9wavefront6targetE1EEEvT1_,comdat
	.protected	_ZN7rocprim17ROCPRIM_400000_NS6detail17trampoline_kernelINS0_14default_configENS1_29reduce_by_key_config_selectorIjjN6thrust23THRUST_200600_302600_NS4plusIjEEEEZZNS1_33reduce_by_key_impl_wrapped_configILNS1_25lookback_scan_determinismE0ES3_S9_NS6_6detail15normal_iteratorINS6_10device_ptrIjEEEESG_SG_SG_PmS8_22is_equal_div_10_reduceIjEEE10hipError_tPvRmT2_T3_mT4_T5_T6_T7_T8_P12ihipStream_tbENKUlT_T0_E_clISt17integral_constantIbLb1EES11_EEDaSW_SX_EUlSW_E_NS1_11comp_targetILNS1_3genE0ELNS1_11target_archE4294967295ELNS1_3gpuE0ELNS1_3repE0EEENS1_30default_config_static_selectorELNS0_4arch9wavefront6targetE1EEEvT1_ ; -- Begin function _ZN7rocprim17ROCPRIM_400000_NS6detail17trampoline_kernelINS0_14default_configENS1_29reduce_by_key_config_selectorIjjN6thrust23THRUST_200600_302600_NS4plusIjEEEEZZNS1_33reduce_by_key_impl_wrapped_configILNS1_25lookback_scan_determinismE0ES3_S9_NS6_6detail15normal_iteratorINS6_10device_ptrIjEEEESG_SG_SG_PmS8_22is_equal_div_10_reduceIjEEE10hipError_tPvRmT2_T3_mT4_T5_T6_T7_T8_P12ihipStream_tbENKUlT_T0_E_clISt17integral_constantIbLb1EES11_EEDaSW_SX_EUlSW_E_NS1_11comp_targetILNS1_3genE0ELNS1_11target_archE4294967295ELNS1_3gpuE0ELNS1_3repE0EEENS1_30default_config_static_selectorELNS0_4arch9wavefront6targetE1EEEvT1_
	.globl	_ZN7rocprim17ROCPRIM_400000_NS6detail17trampoline_kernelINS0_14default_configENS1_29reduce_by_key_config_selectorIjjN6thrust23THRUST_200600_302600_NS4plusIjEEEEZZNS1_33reduce_by_key_impl_wrapped_configILNS1_25lookback_scan_determinismE0ES3_S9_NS6_6detail15normal_iteratorINS6_10device_ptrIjEEEESG_SG_SG_PmS8_22is_equal_div_10_reduceIjEEE10hipError_tPvRmT2_T3_mT4_T5_T6_T7_T8_P12ihipStream_tbENKUlT_T0_E_clISt17integral_constantIbLb1EES11_EEDaSW_SX_EUlSW_E_NS1_11comp_targetILNS1_3genE0ELNS1_11target_archE4294967295ELNS1_3gpuE0ELNS1_3repE0EEENS1_30default_config_static_selectorELNS0_4arch9wavefront6targetE1EEEvT1_
	.p2align	8
	.type	_ZN7rocprim17ROCPRIM_400000_NS6detail17trampoline_kernelINS0_14default_configENS1_29reduce_by_key_config_selectorIjjN6thrust23THRUST_200600_302600_NS4plusIjEEEEZZNS1_33reduce_by_key_impl_wrapped_configILNS1_25lookback_scan_determinismE0ES3_S9_NS6_6detail15normal_iteratorINS6_10device_ptrIjEEEESG_SG_SG_PmS8_22is_equal_div_10_reduceIjEEE10hipError_tPvRmT2_T3_mT4_T5_T6_T7_T8_P12ihipStream_tbENKUlT_T0_E_clISt17integral_constantIbLb1EES11_EEDaSW_SX_EUlSW_E_NS1_11comp_targetILNS1_3genE0ELNS1_11target_archE4294967295ELNS1_3gpuE0ELNS1_3repE0EEENS1_30default_config_static_selectorELNS0_4arch9wavefront6targetE1EEEvT1_,@function
_ZN7rocprim17ROCPRIM_400000_NS6detail17trampoline_kernelINS0_14default_configENS1_29reduce_by_key_config_selectorIjjN6thrust23THRUST_200600_302600_NS4plusIjEEEEZZNS1_33reduce_by_key_impl_wrapped_configILNS1_25lookback_scan_determinismE0ES3_S9_NS6_6detail15normal_iteratorINS6_10device_ptrIjEEEESG_SG_SG_PmS8_22is_equal_div_10_reduceIjEEE10hipError_tPvRmT2_T3_mT4_T5_T6_T7_T8_P12ihipStream_tbENKUlT_T0_E_clISt17integral_constantIbLb1EES11_EEDaSW_SX_EUlSW_E_NS1_11comp_targetILNS1_3genE0ELNS1_11target_archE4294967295ELNS1_3gpuE0ELNS1_3repE0EEENS1_30default_config_static_selectorELNS0_4arch9wavefront6targetE1EEEvT1_: ; @_ZN7rocprim17ROCPRIM_400000_NS6detail17trampoline_kernelINS0_14default_configENS1_29reduce_by_key_config_selectorIjjN6thrust23THRUST_200600_302600_NS4plusIjEEEEZZNS1_33reduce_by_key_impl_wrapped_configILNS1_25lookback_scan_determinismE0ES3_S9_NS6_6detail15normal_iteratorINS6_10device_ptrIjEEEESG_SG_SG_PmS8_22is_equal_div_10_reduceIjEEE10hipError_tPvRmT2_T3_mT4_T5_T6_T7_T8_P12ihipStream_tbENKUlT_T0_E_clISt17integral_constantIbLb1EES11_EEDaSW_SX_EUlSW_E_NS1_11comp_targetILNS1_3genE0ELNS1_11target_archE4294967295ELNS1_3gpuE0ELNS1_3repE0EEENS1_30default_config_static_selectorELNS0_4arch9wavefront6targetE1EEEvT1_
; %bb.0:
	.section	.rodata,"a",@progbits
	.p2align	6, 0x0
	.amdhsa_kernel _ZN7rocprim17ROCPRIM_400000_NS6detail17trampoline_kernelINS0_14default_configENS1_29reduce_by_key_config_selectorIjjN6thrust23THRUST_200600_302600_NS4plusIjEEEEZZNS1_33reduce_by_key_impl_wrapped_configILNS1_25lookback_scan_determinismE0ES3_S9_NS6_6detail15normal_iteratorINS6_10device_ptrIjEEEESG_SG_SG_PmS8_22is_equal_div_10_reduceIjEEE10hipError_tPvRmT2_T3_mT4_T5_T6_T7_T8_P12ihipStream_tbENKUlT_T0_E_clISt17integral_constantIbLb1EES11_EEDaSW_SX_EUlSW_E_NS1_11comp_targetILNS1_3genE0ELNS1_11target_archE4294967295ELNS1_3gpuE0ELNS1_3repE0EEENS1_30default_config_static_selectorELNS0_4arch9wavefront6targetE1EEEvT1_
		.amdhsa_group_segment_fixed_size 0
		.amdhsa_private_segment_fixed_size 0
		.amdhsa_kernarg_size 120
		.amdhsa_user_sgpr_count 6
		.amdhsa_user_sgpr_private_segment_buffer 1
		.amdhsa_user_sgpr_dispatch_ptr 0
		.amdhsa_user_sgpr_queue_ptr 0
		.amdhsa_user_sgpr_kernarg_segment_ptr 1
		.amdhsa_user_sgpr_dispatch_id 0
		.amdhsa_user_sgpr_flat_scratch_init 0
		.amdhsa_user_sgpr_kernarg_preload_length 0
		.amdhsa_user_sgpr_kernarg_preload_offset 0
		.amdhsa_user_sgpr_private_segment_size 0
		.amdhsa_uses_dynamic_stack 0
		.amdhsa_system_sgpr_private_segment_wavefront_offset 0
		.amdhsa_system_sgpr_workgroup_id_x 1
		.amdhsa_system_sgpr_workgroup_id_y 0
		.amdhsa_system_sgpr_workgroup_id_z 0
		.amdhsa_system_sgpr_workgroup_info 0
		.amdhsa_system_vgpr_workitem_id 0
		.amdhsa_next_free_vgpr 1
		.amdhsa_next_free_sgpr 0
		.amdhsa_accum_offset 4
		.amdhsa_reserve_vcc 0
		.amdhsa_reserve_flat_scratch 0
		.amdhsa_float_round_mode_32 0
		.amdhsa_float_round_mode_16_64 0
		.amdhsa_float_denorm_mode_32 3
		.amdhsa_float_denorm_mode_16_64 3
		.amdhsa_dx10_clamp 1
		.amdhsa_ieee_mode 1
		.amdhsa_fp16_overflow 0
		.amdhsa_tg_split 0
		.amdhsa_exception_fp_ieee_invalid_op 0
		.amdhsa_exception_fp_denorm_src 0
		.amdhsa_exception_fp_ieee_div_zero 0
		.amdhsa_exception_fp_ieee_overflow 0
		.amdhsa_exception_fp_ieee_underflow 0
		.amdhsa_exception_fp_ieee_inexact 0
		.amdhsa_exception_int_div_zero 0
	.end_amdhsa_kernel
	.section	.text._ZN7rocprim17ROCPRIM_400000_NS6detail17trampoline_kernelINS0_14default_configENS1_29reduce_by_key_config_selectorIjjN6thrust23THRUST_200600_302600_NS4plusIjEEEEZZNS1_33reduce_by_key_impl_wrapped_configILNS1_25lookback_scan_determinismE0ES3_S9_NS6_6detail15normal_iteratorINS6_10device_ptrIjEEEESG_SG_SG_PmS8_22is_equal_div_10_reduceIjEEE10hipError_tPvRmT2_T3_mT4_T5_T6_T7_T8_P12ihipStream_tbENKUlT_T0_E_clISt17integral_constantIbLb1EES11_EEDaSW_SX_EUlSW_E_NS1_11comp_targetILNS1_3genE0ELNS1_11target_archE4294967295ELNS1_3gpuE0ELNS1_3repE0EEENS1_30default_config_static_selectorELNS0_4arch9wavefront6targetE1EEEvT1_,"axG",@progbits,_ZN7rocprim17ROCPRIM_400000_NS6detail17trampoline_kernelINS0_14default_configENS1_29reduce_by_key_config_selectorIjjN6thrust23THRUST_200600_302600_NS4plusIjEEEEZZNS1_33reduce_by_key_impl_wrapped_configILNS1_25lookback_scan_determinismE0ES3_S9_NS6_6detail15normal_iteratorINS6_10device_ptrIjEEEESG_SG_SG_PmS8_22is_equal_div_10_reduceIjEEE10hipError_tPvRmT2_T3_mT4_T5_T6_T7_T8_P12ihipStream_tbENKUlT_T0_E_clISt17integral_constantIbLb1EES11_EEDaSW_SX_EUlSW_E_NS1_11comp_targetILNS1_3genE0ELNS1_11target_archE4294967295ELNS1_3gpuE0ELNS1_3repE0EEENS1_30default_config_static_selectorELNS0_4arch9wavefront6targetE1EEEvT1_,comdat
.Lfunc_end363:
	.size	_ZN7rocprim17ROCPRIM_400000_NS6detail17trampoline_kernelINS0_14default_configENS1_29reduce_by_key_config_selectorIjjN6thrust23THRUST_200600_302600_NS4plusIjEEEEZZNS1_33reduce_by_key_impl_wrapped_configILNS1_25lookback_scan_determinismE0ES3_S9_NS6_6detail15normal_iteratorINS6_10device_ptrIjEEEESG_SG_SG_PmS8_22is_equal_div_10_reduceIjEEE10hipError_tPvRmT2_T3_mT4_T5_T6_T7_T8_P12ihipStream_tbENKUlT_T0_E_clISt17integral_constantIbLb1EES11_EEDaSW_SX_EUlSW_E_NS1_11comp_targetILNS1_3genE0ELNS1_11target_archE4294967295ELNS1_3gpuE0ELNS1_3repE0EEENS1_30default_config_static_selectorELNS0_4arch9wavefront6targetE1EEEvT1_, .Lfunc_end363-_ZN7rocprim17ROCPRIM_400000_NS6detail17trampoline_kernelINS0_14default_configENS1_29reduce_by_key_config_selectorIjjN6thrust23THRUST_200600_302600_NS4plusIjEEEEZZNS1_33reduce_by_key_impl_wrapped_configILNS1_25lookback_scan_determinismE0ES3_S9_NS6_6detail15normal_iteratorINS6_10device_ptrIjEEEESG_SG_SG_PmS8_22is_equal_div_10_reduceIjEEE10hipError_tPvRmT2_T3_mT4_T5_T6_T7_T8_P12ihipStream_tbENKUlT_T0_E_clISt17integral_constantIbLb1EES11_EEDaSW_SX_EUlSW_E_NS1_11comp_targetILNS1_3genE0ELNS1_11target_archE4294967295ELNS1_3gpuE0ELNS1_3repE0EEENS1_30default_config_static_selectorELNS0_4arch9wavefront6targetE1EEEvT1_
                                        ; -- End function
	.section	.AMDGPU.csdata,"",@progbits
; Kernel info:
; codeLenInByte = 0
; NumSgprs: 4
; NumVgprs: 0
; NumAgprs: 0
; TotalNumVgprs: 0
; ScratchSize: 0
; MemoryBound: 0
; FloatMode: 240
; IeeeMode: 1
; LDSByteSize: 0 bytes/workgroup (compile time only)
; SGPRBlocks: 0
; VGPRBlocks: 0
; NumSGPRsForWavesPerEU: 4
; NumVGPRsForWavesPerEU: 1
; AccumOffset: 4
; Occupancy: 8
; WaveLimiterHint : 0
; COMPUTE_PGM_RSRC2:SCRATCH_EN: 0
; COMPUTE_PGM_RSRC2:USER_SGPR: 6
; COMPUTE_PGM_RSRC2:TRAP_HANDLER: 0
; COMPUTE_PGM_RSRC2:TGID_X_EN: 1
; COMPUTE_PGM_RSRC2:TGID_Y_EN: 0
; COMPUTE_PGM_RSRC2:TGID_Z_EN: 0
; COMPUTE_PGM_RSRC2:TIDIG_COMP_CNT: 0
; COMPUTE_PGM_RSRC3_GFX90A:ACCUM_OFFSET: 0
; COMPUTE_PGM_RSRC3_GFX90A:TG_SPLIT: 0
	.section	.text._ZN7rocprim17ROCPRIM_400000_NS6detail17trampoline_kernelINS0_14default_configENS1_29reduce_by_key_config_selectorIjjN6thrust23THRUST_200600_302600_NS4plusIjEEEEZZNS1_33reduce_by_key_impl_wrapped_configILNS1_25lookback_scan_determinismE0ES3_S9_NS6_6detail15normal_iteratorINS6_10device_ptrIjEEEESG_SG_SG_PmS8_22is_equal_div_10_reduceIjEEE10hipError_tPvRmT2_T3_mT4_T5_T6_T7_T8_P12ihipStream_tbENKUlT_T0_E_clISt17integral_constantIbLb1EES11_EEDaSW_SX_EUlSW_E_NS1_11comp_targetILNS1_3genE5ELNS1_11target_archE942ELNS1_3gpuE9ELNS1_3repE0EEENS1_30default_config_static_selectorELNS0_4arch9wavefront6targetE1EEEvT1_,"axG",@progbits,_ZN7rocprim17ROCPRIM_400000_NS6detail17trampoline_kernelINS0_14default_configENS1_29reduce_by_key_config_selectorIjjN6thrust23THRUST_200600_302600_NS4plusIjEEEEZZNS1_33reduce_by_key_impl_wrapped_configILNS1_25lookback_scan_determinismE0ES3_S9_NS6_6detail15normal_iteratorINS6_10device_ptrIjEEEESG_SG_SG_PmS8_22is_equal_div_10_reduceIjEEE10hipError_tPvRmT2_T3_mT4_T5_T6_T7_T8_P12ihipStream_tbENKUlT_T0_E_clISt17integral_constantIbLb1EES11_EEDaSW_SX_EUlSW_E_NS1_11comp_targetILNS1_3genE5ELNS1_11target_archE942ELNS1_3gpuE9ELNS1_3repE0EEENS1_30default_config_static_selectorELNS0_4arch9wavefront6targetE1EEEvT1_,comdat
	.protected	_ZN7rocprim17ROCPRIM_400000_NS6detail17trampoline_kernelINS0_14default_configENS1_29reduce_by_key_config_selectorIjjN6thrust23THRUST_200600_302600_NS4plusIjEEEEZZNS1_33reduce_by_key_impl_wrapped_configILNS1_25lookback_scan_determinismE0ES3_S9_NS6_6detail15normal_iteratorINS6_10device_ptrIjEEEESG_SG_SG_PmS8_22is_equal_div_10_reduceIjEEE10hipError_tPvRmT2_T3_mT4_T5_T6_T7_T8_P12ihipStream_tbENKUlT_T0_E_clISt17integral_constantIbLb1EES11_EEDaSW_SX_EUlSW_E_NS1_11comp_targetILNS1_3genE5ELNS1_11target_archE942ELNS1_3gpuE9ELNS1_3repE0EEENS1_30default_config_static_selectorELNS0_4arch9wavefront6targetE1EEEvT1_ ; -- Begin function _ZN7rocprim17ROCPRIM_400000_NS6detail17trampoline_kernelINS0_14default_configENS1_29reduce_by_key_config_selectorIjjN6thrust23THRUST_200600_302600_NS4plusIjEEEEZZNS1_33reduce_by_key_impl_wrapped_configILNS1_25lookback_scan_determinismE0ES3_S9_NS6_6detail15normal_iteratorINS6_10device_ptrIjEEEESG_SG_SG_PmS8_22is_equal_div_10_reduceIjEEE10hipError_tPvRmT2_T3_mT4_T5_T6_T7_T8_P12ihipStream_tbENKUlT_T0_E_clISt17integral_constantIbLb1EES11_EEDaSW_SX_EUlSW_E_NS1_11comp_targetILNS1_3genE5ELNS1_11target_archE942ELNS1_3gpuE9ELNS1_3repE0EEENS1_30default_config_static_selectorELNS0_4arch9wavefront6targetE1EEEvT1_
	.globl	_ZN7rocprim17ROCPRIM_400000_NS6detail17trampoline_kernelINS0_14default_configENS1_29reduce_by_key_config_selectorIjjN6thrust23THRUST_200600_302600_NS4plusIjEEEEZZNS1_33reduce_by_key_impl_wrapped_configILNS1_25lookback_scan_determinismE0ES3_S9_NS6_6detail15normal_iteratorINS6_10device_ptrIjEEEESG_SG_SG_PmS8_22is_equal_div_10_reduceIjEEE10hipError_tPvRmT2_T3_mT4_T5_T6_T7_T8_P12ihipStream_tbENKUlT_T0_E_clISt17integral_constantIbLb1EES11_EEDaSW_SX_EUlSW_E_NS1_11comp_targetILNS1_3genE5ELNS1_11target_archE942ELNS1_3gpuE9ELNS1_3repE0EEENS1_30default_config_static_selectorELNS0_4arch9wavefront6targetE1EEEvT1_
	.p2align	8
	.type	_ZN7rocprim17ROCPRIM_400000_NS6detail17trampoline_kernelINS0_14default_configENS1_29reduce_by_key_config_selectorIjjN6thrust23THRUST_200600_302600_NS4plusIjEEEEZZNS1_33reduce_by_key_impl_wrapped_configILNS1_25lookback_scan_determinismE0ES3_S9_NS6_6detail15normal_iteratorINS6_10device_ptrIjEEEESG_SG_SG_PmS8_22is_equal_div_10_reduceIjEEE10hipError_tPvRmT2_T3_mT4_T5_T6_T7_T8_P12ihipStream_tbENKUlT_T0_E_clISt17integral_constantIbLb1EES11_EEDaSW_SX_EUlSW_E_NS1_11comp_targetILNS1_3genE5ELNS1_11target_archE942ELNS1_3gpuE9ELNS1_3repE0EEENS1_30default_config_static_selectorELNS0_4arch9wavefront6targetE1EEEvT1_,@function
_ZN7rocprim17ROCPRIM_400000_NS6detail17trampoline_kernelINS0_14default_configENS1_29reduce_by_key_config_selectorIjjN6thrust23THRUST_200600_302600_NS4plusIjEEEEZZNS1_33reduce_by_key_impl_wrapped_configILNS1_25lookback_scan_determinismE0ES3_S9_NS6_6detail15normal_iteratorINS6_10device_ptrIjEEEESG_SG_SG_PmS8_22is_equal_div_10_reduceIjEEE10hipError_tPvRmT2_T3_mT4_T5_T6_T7_T8_P12ihipStream_tbENKUlT_T0_E_clISt17integral_constantIbLb1EES11_EEDaSW_SX_EUlSW_E_NS1_11comp_targetILNS1_3genE5ELNS1_11target_archE942ELNS1_3gpuE9ELNS1_3repE0EEENS1_30default_config_static_selectorELNS0_4arch9wavefront6targetE1EEEvT1_: ; @_ZN7rocprim17ROCPRIM_400000_NS6detail17trampoline_kernelINS0_14default_configENS1_29reduce_by_key_config_selectorIjjN6thrust23THRUST_200600_302600_NS4plusIjEEEEZZNS1_33reduce_by_key_impl_wrapped_configILNS1_25lookback_scan_determinismE0ES3_S9_NS6_6detail15normal_iteratorINS6_10device_ptrIjEEEESG_SG_SG_PmS8_22is_equal_div_10_reduceIjEEE10hipError_tPvRmT2_T3_mT4_T5_T6_T7_T8_P12ihipStream_tbENKUlT_T0_E_clISt17integral_constantIbLb1EES11_EEDaSW_SX_EUlSW_E_NS1_11comp_targetILNS1_3genE5ELNS1_11target_archE942ELNS1_3gpuE9ELNS1_3repE0EEENS1_30default_config_static_selectorELNS0_4arch9wavefront6targetE1EEEvT1_
; %bb.0:
	.section	.rodata,"a",@progbits
	.p2align	6, 0x0
	.amdhsa_kernel _ZN7rocprim17ROCPRIM_400000_NS6detail17trampoline_kernelINS0_14default_configENS1_29reduce_by_key_config_selectorIjjN6thrust23THRUST_200600_302600_NS4plusIjEEEEZZNS1_33reduce_by_key_impl_wrapped_configILNS1_25lookback_scan_determinismE0ES3_S9_NS6_6detail15normal_iteratorINS6_10device_ptrIjEEEESG_SG_SG_PmS8_22is_equal_div_10_reduceIjEEE10hipError_tPvRmT2_T3_mT4_T5_T6_T7_T8_P12ihipStream_tbENKUlT_T0_E_clISt17integral_constantIbLb1EES11_EEDaSW_SX_EUlSW_E_NS1_11comp_targetILNS1_3genE5ELNS1_11target_archE942ELNS1_3gpuE9ELNS1_3repE0EEENS1_30default_config_static_selectorELNS0_4arch9wavefront6targetE1EEEvT1_
		.amdhsa_group_segment_fixed_size 0
		.amdhsa_private_segment_fixed_size 0
		.amdhsa_kernarg_size 120
		.amdhsa_user_sgpr_count 6
		.amdhsa_user_sgpr_private_segment_buffer 1
		.amdhsa_user_sgpr_dispatch_ptr 0
		.amdhsa_user_sgpr_queue_ptr 0
		.amdhsa_user_sgpr_kernarg_segment_ptr 1
		.amdhsa_user_sgpr_dispatch_id 0
		.amdhsa_user_sgpr_flat_scratch_init 0
		.amdhsa_user_sgpr_kernarg_preload_length 0
		.amdhsa_user_sgpr_kernarg_preload_offset 0
		.amdhsa_user_sgpr_private_segment_size 0
		.amdhsa_uses_dynamic_stack 0
		.amdhsa_system_sgpr_private_segment_wavefront_offset 0
		.amdhsa_system_sgpr_workgroup_id_x 1
		.amdhsa_system_sgpr_workgroup_id_y 0
		.amdhsa_system_sgpr_workgroup_id_z 0
		.amdhsa_system_sgpr_workgroup_info 0
		.amdhsa_system_vgpr_workitem_id 0
		.amdhsa_next_free_vgpr 1
		.amdhsa_next_free_sgpr 0
		.amdhsa_accum_offset 4
		.amdhsa_reserve_vcc 0
		.amdhsa_reserve_flat_scratch 0
		.amdhsa_float_round_mode_32 0
		.amdhsa_float_round_mode_16_64 0
		.amdhsa_float_denorm_mode_32 3
		.amdhsa_float_denorm_mode_16_64 3
		.amdhsa_dx10_clamp 1
		.amdhsa_ieee_mode 1
		.amdhsa_fp16_overflow 0
		.amdhsa_tg_split 0
		.amdhsa_exception_fp_ieee_invalid_op 0
		.amdhsa_exception_fp_denorm_src 0
		.amdhsa_exception_fp_ieee_div_zero 0
		.amdhsa_exception_fp_ieee_overflow 0
		.amdhsa_exception_fp_ieee_underflow 0
		.amdhsa_exception_fp_ieee_inexact 0
		.amdhsa_exception_int_div_zero 0
	.end_amdhsa_kernel
	.section	.text._ZN7rocprim17ROCPRIM_400000_NS6detail17trampoline_kernelINS0_14default_configENS1_29reduce_by_key_config_selectorIjjN6thrust23THRUST_200600_302600_NS4plusIjEEEEZZNS1_33reduce_by_key_impl_wrapped_configILNS1_25lookback_scan_determinismE0ES3_S9_NS6_6detail15normal_iteratorINS6_10device_ptrIjEEEESG_SG_SG_PmS8_22is_equal_div_10_reduceIjEEE10hipError_tPvRmT2_T3_mT4_T5_T6_T7_T8_P12ihipStream_tbENKUlT_T0_E_clISt17integral_constantIbLb1EES11_EEDaSW_SX_EUlSW_E_NS1_11comp_targetILNS1_3genE5ELNS1_11target_archE942ELNS1_3gpuE9ELNS1_3repE0EEENS1_30default_config_static_selectorELNS0_4arch9wavefront6targetE1EEEvT1_,"axG",@progbits,_ZN7rocprim17ROCPRIM_400000_NS6detail17trampoline_kernelINS0_14default_configENS1_29reduce_by_key_config_selectorIjjN6thrust23THRUST_200600_302600_NS4plusIjEEEEZZNS1_33reduce_by_key_impl_wrapped_configILNS1_25lookback_scan_determinismE0ES3_S9_NS6_6detail15normal_iteratorINS6_10device_ptrIjEEEESG_SG_SG_PmS8_22is_equal_div_10_reduceIjEEE10hipError_tPvRmT2_T3_mT4_T5_T6_T7_T8_P12ihipStream_tbENKUlT_T0_E_clISt17integral_constantIbLb1EES11_EEDaSW_SX_EUlSW_E_NS1_11comp_targetILNS1_3genE5ELNS1_11target_archE942ELNS1_3gpuE9ELNS1_3repE0EEENS1_30default_config_static_selectorELNS0_4arch9wavefront6targetE1EEEvT1_,comdat
.Lfunc_end364:
	.size	_ZN7rocprim17ROCPRIM_400000_NS6detail17trampoline_kernelINS0_14default_configENS1_29reduce_by_key_config_selectorIjjN6thrust23THRUST_200600_302600_NS4plusIjEEEEZZNS1_33reduce_by_key_impl_wrapped_configILNS1_25lookback_scan_determinismE0ES3_S9_NS6_6detail15normal_iteratorINS6_10device_ptrIjEEEESG_SG_SG_PmS8_22is_equal_div_10_reduceIjEEE10hipError_tPvRmT2_T3_mT4_T5_T6_T7_T8_P12ihipStream_tbENKUlT_T0_E_clISt17integral_constantIbLb1EES11_EEDaSW_SX_EUlSW_E_NS1_11comp_targetILNS1_3genE5ELNS1_11target_archE942ELNS1_3gpuE9ELNS1_3repE0EEENS1_30default_config_static_selectorELNS0_4arch9wavefront6targetE1EEEvT1_, .Lfunc_end364-_ZN7rocprim17ROCPRIM_400000_NS6detail17trampoline_kernelINS0_14default_configENS1_29reduce_by_key_config_selectorIjjN6thrust23THRUST_200600_302600_NS4plusIjEEEEZZNS1_33reduce_by_key_impl_wrapped_configILNS1_25lookback_scan_determinismE0ES3_S9_NS6_6detail15normal_iteratorINS6_10device_ptrIjEEEESG_SG_SG_PmS8_22is_equal_div_10_reduceIjEEE10hipError_tPvRmT2_T3_mT4_T5_T6_T7_T8_P12ihipStream_tbENKUlT_T0_E_clISt17integral_constantIbLb1EES11_EEDaSW_SX_EUlSW_E_NS1_11comp_targetILNS1_3genE5ELNS1_11target_archE942ELNS1_3gpuE9ELNS1_3repE0EEENS1_30default_config_static_selectorELNS0_4arch9wavefront6targetE1EEEvT1_
                                        ; -- End function
	.section	.AMDGPU.csdata,"",@progbits
; Kernel info:
; codeLenInByte = 0
; NumSgprs: 4
; NumVgprs: 0
; NumAgprs: 0
; TotalNumVgprs: 0
; ScratchSize: 0
; MemoryBound: 0
; FloatMode: 240
; IeeeMode: 1
; LDSByteSize: 0 bytes/workgroup (compile time only)
; SGPRBlocks: 0
; VGPRBlocks: 0
; NumSGPRsForWavesPerEU: 4
; NumVGPRsForWavesPerEU: 1
; AccumOffset: 4
; Occupancy: 8
; WaveLimiterHint : 0
; COMPUTE_PGM_RSRC2:SCRATCH_EN: 0
; COMPUTE_PGM_RSRC2:USER_SGPR: 6
; COMPUTE_PGM_RSRC2:TRAP_HANDLER: 0
; COMPUTE_PGM_RSRC2:TGID_X_EN: 1
; COMPUTE_PGM_RSRC2:TGID_Y_EN: 0
; COMPUTE_PGM_RSRC2:TGID_Z_EN: 0
; COMPUTE_PGM_RSRC2:TIDIG_COMP_CNT: 0
; COMPUTE_PGM_RSRC3_GFX90A:ACCUM_OFFSET: 0
; COMPUTE_PGM_RSRC3_GFX90A:TG_SPLIT: 0
	.section	.text._ZN7rocprim17ROCPRIM_400000_NS6detail17trampoline_kernelINS0_14default_configENS1_29reduce_by_key_config_selectorIjjN6thrust23THRUST_200600_302600_NS4plusIjEEEEZZNS1_33reduce_by_key_impl_wrapped_configILNS1_25lookback_scan_determinismE0ES3_S9_NS6_6detail15normal_iteratorINS6_10device_ptrIjEEEESG_SG_SG_PmS8_22is_equal_div_10_reduceIjEEE10hipError_tPvRmT2_T3_mT4_T5_T6_T7_T8_P12ihipStream_tbENKUlT_T0_E_clISt17integral_constantIbLb1EES11_EEDaSW_SX_EUlSW_E_NS1_11comp_targetILNS1_3genE4ELNS1_11target_archE910ELNS1_3gpuE8ELNS1_3repE0EEENS1_30default_config_static_selectorELNS0_4arch9wavefront6targetE1EEEvT1_,"axG",@progbits,_ZN7rocprim17ROCPRIM_400000_NS6detail17trampoline_kernelINS0_14default_configENS1_29reduce_by_key_config_selectorIjjN6thrust23THRUST_200600_302600_NS4plusIjEEEEZZNS1_33reduce_by_key_impl_wrapped_configILNS1_25lookback_scan_determinismE0ES3_S9_NS6_6detail15normal_iteratorINS6_10device_ptrIjEEEESG_SG_SG_PmS8_22is_equal_div_10_reduceIjEEE10hipError_tPvRmT2_T3_mT4_T5_T6_T7_T8_P12ihipStream_tbENKUlT_T0_E_clISt17integral_constantIbLb1EES11_EEDaSW_SX_EUlSW_E_NS1_11comp_targetILNS1_3genE4ELNS1_11target_archE910ELNS1_3gpuE8ELNS1_3repE0EEENS1_30default_config_static_selectorELNS0_4arch9wavefront6targetE1EEEvT1_,comdat
	.protected	_ZN7rocprim17ROCPRIM_400000_NS6detail17trampoline_kernelINS0_14default_configENS1_29reduce_by_key_config_selectorIjjN6thrust23THRUST_200600_302600_NS4plusIjEEEEZZNS1_33reduce_by_key_impl_wrapped_configILNS1_25lookback_scan_determinismE0ES3_S9_NS6_6detail15normal_iteratorINS6_10device_ptrIjEEEESG_SG_SG_PmS8_22is_equal_div_10_reduceIjEEE10hipError_tPvRmT2_T3_mT4_T5_T6_T7_T8_P12ihipStream_tbENKUlT_T0_E_clISt17integral_constantIbLb1EES11_EEDaSW_SX_EUlSW_E_NS1_11comp_targetILNS1_3genE4ELNS1_11target_archE910ELNS1_3gpuE8ELNS1_3repE0EEENS1_30default_config_static_selectorELNS0_4arch9wavefront6targetE1EEEvT1_ ; -- Begin function _ZN7rocprim17ROCPRIM_400000_NS6detail17trampoline_kernelINS0_14default_configENS1_29reduce_by_key_config_selectorIjjN6thrust23THRUST_200600_302600_NS4plusIjEEEEZZNS1_33reduce_by_key_impl_wrapped_configILNS1_25lookback_scan_determinismE0ES3_S9_NS6_6detail15normal_iteratorINS6_10device_ptrIjEEEESG_SG_SG_PmS8_22is_equal_div_10_reduceIjEEE10hipError_tPvRmT2_T3_mT4_T5_T6_T7_T8_P12ihipStream_tbENKUlT_T0_E_clISt17integral_constantIbLb1EES11_EEDaSW_SX_EUlSW_E_NS1_11comp_targetILNS1_3genE4ELNS1_11target_archE910ELNS1_3gpuE8ELNS1_3repE0EEENS1_30default_config_static_selectorELNS0_4arch9wavefront6targetE1EEEvT1_
	.globl	_ZN7rocprim17ROCPRIM_400000_NS6detail17trampoline_kernelINS0_14default_configENS1_29reduce_by_key_config_selectorIjjN6thrust23THRUST_200600_302600_NS4plusIjEEEEZZNS1_33reduce_by_key_impl_wrapped_configILNS1_25lookback_scan_determinismE0ES3_S9_NS6_6detail15normal_iteratorINS6_10device_ptrIjEEEESG_SG_SG_PmS8_22is_equal_div_10_reduceIjEEE10hipError_tPvRmT2_T3_mT4_T5_T6_T7_T8_P12ihipStream_tbENKUlT_T0_E_clISt17integral_constantIbLb1EES11_EEDaSW_SX_EUlSW_E_NS1_11comp_targetILNS1_3genE4ELNS1_11target_archE910ELNS1_3gpuE8ELNS1_3repE0EEENS1_30default_config_static_selectorELNS0_4arch9wavefront6targetE1EEEvT1_
	.p2align	8
	.type	_ZN7rocprim17ROCPRIM_400000_NS6detail17trampoline_kernelINS0_14default_configENS1_29reduce_by_key_config_selectorIjjN6thrust23THRUST_200600_302600_NS4plusIjEEEEZZNS1_33reduce_by_key_impl_wrapped_configILNS1_25lookback_scan_determinismE0ES3_S9_NS6_6detail15normal_iteratorINS6_10device_ptrIjEEEESG_SG_SG_PmS8_22is_equal_div_10_reduceIjEEE10hipError_tPvRmT2_T3_mT4_T5_T6_T7_T8_P12ihipStream_tbENKUlT_T0_E_clISt17integral_constantIbLb1EES11_EEDaSW_SX_EUlSW_E_NS1_11comp_targetILNS1_3genE4ELNS1_11target_archE910ELNS1_3gpuE8ELNS1_3repE0EEENS1_30default_config_static_selectorELNS0_4arch9wavefront6targetE1EEEvT1_,@function
_ZN7rocprim17ROCPRIM_400000_NS6detail17trampoline_kernelINS0_14default_configENS1_29reduce_by_key_config_selectorIjjN6thrust23THRUST_200600_302600_NS4plusIjEEEEZZNS1_33reduce_by_key_impl_wrapped_configILNS1_25lookback_scan_determinismE0ES3_S9_NS6_6detail15normal_iteratorINS6_10device_ptrIjEEEESG_SG_SG_PmS8_22is_equal_div_10_reduceIjEEE10hipError_tPvRmT2_T3_mT4_T5_T6_T7_T8_P12ihipStream_tbENKUlT_T0_E_clISt17integral_constantIbLb1EES11_EEDaSW_SX_EUlSW_E_NS1_11comp_targetILNS1_3genE4ELNS1_11target_archE910ELNS1_3gpuE8ELNS1_3repE0EEENS1_30default_config_static_selectorELNS0_4arch9wavefront6targetE1EEEvT1_: ; @_ZN7rocprim17ROCPRIM_400000_NS6detail17trampoline_kernelINS0_14default_configENS1_29reduce_by_key_config_selectorIjjN6thrust23THRUST_200600_302600_NS4plusIjEEEEZZNS1_33reduce_by_key_impl_wrapped_configILNS1_25lookback_scan_determinismE0ES3_S9_NS6_6detail15normal_iteratorINS6_10device_ptrIjEEEESG_SG_SG_PmS8_22is_equal_div_10_reduceIjEEE10hipError_tPvRmT2_T3_mT4_T5_T6_T7_T8_P12ihipStream_tbENKUlT_T0_E_clISt17integral_constantIbLb1EES11_EEDaSW_SX_EUlSW_E_NS1_11comp_targetILNS1_3genE4ELNS1_11target_archE910ELNS1_3gpuE8ELNS1_3repE0EEENS1_30default_config_static_selectorELNS0_4arch9wavefront6targetE1EEEvT1_
; %bb.0:
	s_load_dwordx8 s[36:43], s[4:5], 0x0
	s_load_dwordx4 s[52:55], s[4:5], 0x20
	s_load_dwordx8 s[44:51], s[4:5], 0x38
	s_load_dwordx2 s[60:61], s[4:5], 0x68
	s_load_dwordx4 s[56:59], s[4:5], 0x58
	v_cmp_ne_u32_e64 s[2:3], 0, v0
	v_cmp_eq_u32_e64 s[0:1], 0, v0
	s_and_saveexec_b64 s[6:7], s[0:1]
	s_cbranch_execz .LBB365_4
; %bb.1:
	s_mov_b64 s[10:11], exec
	v_mbcnt_lo_u32_b32 v1, s10, 0
	v_mbcnt_hi_u32_b32 v1, s11, v1
	v_cmp_eq_u32_e32 vcc, 0, v1
                                        ; implicit-def: $vgpr2
	s_and_saveexec_b64 s[8:9], vcc
	s_cbranch_execz .LBB365_3
; %bb.2:
	s_load_dwordx2 s[4:5], s[4:5], 0x70
	s_bcnt1_i32_b64 s10, s[10:11]
	v_mov_b32_e32 v2, 0
	v_mov_b32_e32 v3, s10
	s_waitcnt lgkmcnt(0)
	global_atomic_add v2, v2, v3, s[4:5] glc
.LBB365_3:
	s_or_b64 exec, exec, s[8:9]
	s_waitcnt vmcnt(0)
	v_readfirstlane_b32 s4, v2
	v_add_u32_e32 v1, s4, v1
	v_mov_b32_e32 v2, 0
	ds_write_b32 v2, v1
.LBB365_4:
	s_or_b64 exec, exec, s[6:7]
	v_mov_b32_e32 v3, 0
	s_waitcnt lgkmcnt(0)
	s_lshl_b64 s[4:5], s[38:39], 2
	s_barrier
	ds_read_b32 v1, v3
	s_add_u32 s6, s36, s4
	s_addc_u32 s7, s37, s5
	s_add_u32 s4, s40, s4
	s_mul_i32 s8, s48, s47
	s_mul_hi_u32 s9, s48, s46
	s_addc_u32 s5, s41, s5
	s_add_i32 s8, s9, s8
	s_mul_i32 s9, s49, s46
	s_add_i32 s8, s8, s9
	s_mul_i32 s9, s48, s46
	s_waitcnt lgkmcnt(0)
	v_readfirstlane_b32 s62, v1
	s_movk_i32 s10, 0xf00
	v_mul_lo_u32 v2, v1, s10
	s_add_u32 s40, s9, s62
	v_lshlrev_b64 v[4:5], 2, v[2:3]
	s_addc_u32 s41, s8, 0
	v_mov_b32_e32 v1, s7
	v_add_co_u32_e32 v2, vcc, s6, v4
	s_add_u32 s6, s50, -1
	v_addc_co_u32_e32 v3, vcc, v1, v5, vcc
	s_addc_u32 s7, s51, -1
	v_mov_b32_e32 v1, s5
	v_add_co_u32_e32 v4, vcc, s4, v4
	s_cmp_eq_u64 s[40:41], s[6:7]
	v_addc_co_u32_e32 v5, vcc, v1, v5, vcc
	s_cselect_b64 s[36:37], -1, 0
	s_cmp_lg_u64 s[40:41], s[6:7]
	s_mov_b64 s[4:5], -1
	s_cselect_b64 s[48:49], -1, 0
	s_mul_i32 s33, s6, 0xfffff100
	s_and_b64 vcc, exec, s[36:37]
	s_barrier
	s_cbranch_vccnz .LBB365_6
; %bb.5:
	v_lshlrev_b32_e32 v30, 2, v0
	v_add_co_u32_e32 v6, vcc, v2, v30
	v_addc_co_u32_e32 v7, vcc, 0, v3, vcc
	v_add_co_u32_e32 v8, vcc, 0x1000, v6
	v_addc_co_u32_e32 v9, vcc, 0, v7, vcc
	flat_load_dword v1, v[6:7]
	flat_load_dword v10, v[6:7] offset:1024
	flat_load_dword v11, v[6:7] offset:2048
	;; [unrolled: 1-line block ×3, first 2 shown]
	flat_load_dword v13, v[8:9]
	flat_load_dword v14, v[8:9] offset:1024
	flat_load_dword v15, v[8:9] offset:2048
	;; [unrolled: 1-line block ×3, first 2 shown]
	v_add_co_u32_e32 v8, vcc, 0x2000, v6
	v_addc_co_u32_e32 v9, vcc, 0, v7, vcc
	v_add_co_u32_e32 v6, vcc, 0x3000, v6
	v_addc_co_u32_e32 v7, vcc, 0, v7, vcc
	flat_load_dword v17, v[8:9]
	flat_load_dword v18, v[8:9] offset:1024
	flat_load_dword v19, v[8:9] offset:2048
	flat_load_dword v20, v[8:9] offset:3072
	flat_load_dword v21, v[6:7]
	flat_load_dword v31, v[6:7] offset:1024
	flat_load_dword v32, v[6:7] offset:2048
	v_add_co_u32_e32 v22, vcc, v4, v30
	s_movk_i32 s4, 0x1000
	v_addc_co_u32_e32 v23, vcc, 0, v5, vcc
	v_add_co_u32_e32 v24, vcc, s4, v22
	s_movk_i32 s5, 0x2000
	v_addc_co_u32_e32 v25, vcc, 0, v23, vcc
	;; [unrolled: 3-line block ×3, first 2 shown]
	v_mad_u32_u24 v6, v0, 56, v30
	v_add_co_u32_e32 v28, vcc, s6, v22
	v_addc_co_u32_e32 v29, vcc, 0, v23, vcc
	s_waitcnt vmcnt(0) lgkmcnt(0)
	ds_write2st64_b32 v30, v1, v10 offset1:4
	ds_write2st64_b32 v30, v11, v12 offset0:8 offset1:12
	ds_write2st64_b32 v30, v13, v14 offset0:16 offset1:20
	;; [unrolled: 1-line block ×6, first 2 shown]
	ds_write_b32 v30, v32 offset:14336
	s_waitcnt lgkmcnt(0)
	s_barrier
	ds_read2_b32 v[20:21], v6 offset1:1
	ds_read2_b32 v[18:19], v6 offset0:2 offset1:3
	ds_read2_b32 v[16:17], v6 offset0:4 offset1:5
	;; [unrolled: 1-line block ×6, first 2 shown]
	ds_read_b32 v1, v6 offset:56
	s_waitcnt lgkmcnt(0)
	s_barrier
	flat_load_dword v7, v[22:23]
	flat_load_dword v31, v[22:23] offset:1024
	flat_load_dword v32, v[22:23] offset:2048
	flat_load_dword v33, v[22:23] offset:3072
	flat_load_dword v34, v[24:25]
	flat_load_dword v35, v[24:25] offset:1024
	flat_load_dword v36, v[24:25] offset:2048
	flat_load_dword v37, v[24:25] offset:3072
	flat_load_dword v38, v[26:27]
	flat_load_dword v39, v[26:27] offset:1024
	flat_load_dword v40, v[26:27] offset:2048
	flat_load_dword v41, v[26:27] offset:3072
	flat_load_dword v42, v[28:29]
	flat_load_dword v43, v[28:29] offset:1024
	flat_load_dword v44, v[28:29] offset:2048
	v_mul_u32_u24_e32 v26, 15, v0
	s_waitcnt vmcnt(0) lgkmcnt(0)
	ds_write2st64_b32 v30, v7, v31 offset1:4
	ds_write2st64_b32 v30, v32, v33 offset0:8 offset1:12
	ds_write2st64_b32 v30, v34, v35 offset0:16 offset1:20
	;; [unrolled: 1-line block ×6, first 2 shown]
	ds_write_b32 v30, v44 offset:14336
	s_waitcnt lgkmcnt(0)
	s_barrier
	s_add_i32 s33, s33, s56
	s_cbranch_execz .LBB365_7
	s_branch .LBB365_54
.LBB365_6:
                                        ; implicit-def: $vgpr8_vgpr9
                                        ; implicit-def: $vgpr10_vgpr11
                                        ; implicit-def: $vgpr12_vgpr13
                                        ; implicit-def: $vgpr14_vgpr15
                                        ; implicit-def: $vgpr16_vgpr17
                                        ; implicit-def: $vgpr18_vgpr19
                                        ; implicit-def: $vgpr20_vgpr21
                                        ; implicit-def: $vgpr26
                                        ; implicit-def: $vgpr6
                                        ; implicit-def: $vgpr1
	s_andn2_b64 vcc, exec, s[4:5]
	s_add_i32 s33, s33, s56
	s_cbranch_vccnz .LBB365_54
.LBB365_7:
	v_cmp_gt_u32_e32 vcc, s33, v0
                                        ; implicit-def: $vgpr1
	s_and_saveexec_b64 s[6:7], vcc
	s_cbranch_execz .LBB365_9
; %bb.8:
	v_lshlrev_b32_e32 v1, 2, v0
	v_add_co_u32_e64 v6, s[4:5], v2, v1
	v_addc_co_u32_e64 v7, s[4:5], 0, v3, s[4:5]
	flat_load_dword v1, v[6:7]
.LBB365_9:
	s_or_b64 exec, exec, s[6:7]
	v_or_b32_e32 v6, 0x100, v0
	v_cmp_gt_u32_e64 s[4:5], s33, v6
                                        ; implicit-def: $vgpr6
	s_and_saveexec_b64 s[8:9], s[4:5]
	s_cbranch_execz .LBB365_11
; %bb.10:
	v_lshlrev_b32_e32 v6, 2, v0
	v_add_co_u32_e64 v6, s[6:7], v2, v6
	v_addc_co_u32_e64 v7, s[6:7], 0, v3, s[6:7]
	flat_load_dword v6, v[6:7] offset:1024
.LBB365_11:
	s_or_b64 exec, exec, s[8:9]
	v_or_b32_e32 v7, 0x200, v0
	v_cmp_gt_u32_e64 s[6:7], s33, v7
                                        ; implicit-def: $vgpr8
	s_and_saveexec_b64 s[10:11], s[6:7]
	s_cbranch_execz .LBB365_13
; %bb.12:
	v_lshlrev_b32_e32 v7, 2, v0
	v_add_co_u32_e64 v8, s[8:9], v2, v7
	v_addc_co_u32_e64 v9, s[8:9], 0, v3, s[8:9]
	flat_load_dword v8, v[8:9] offset:2048
.LBB365_13:
	s_or_b64 exec, exec, s[10:11]
	v_or_b32_e32 v7, 0x300, v0
	v_cmp_gt_u32_e64 s[8:9], s33, v7
                                        ; implicit-def: $vgpr9
	s_and_saveexec_b64 s[12:13], s[8:9]
	s_cbranch_execz .LBB365_15
; %bb.14:
	v_lshlrev_b32_e32 v7, 2, v0
	v_add_co_u32_e64 v10, s[10:11], v2, v7
	v_addc_co_u32_e64 v11, s[10:11], 0, v3, s[10:11]
	flat_load_dword v9, v[10:11] offset:3072
.LBB365_15:
	s_or_b64 exec, exec, s[12:13]
	v_or_b32_e32 v7, 0x400, v0
	v_cmp_gt_u32_e64 s[10:11], s33, v7
                                        ; implicit-def: $vgpr10
	s_and_saveexec_b64 s[14:15], s[10:11]
	s_cbranch_execz .LBB365_17
; %bb.16:
	v_lshlrev_b32_e32 v10, 2, v7
	v_add_co_u32_e64 v10, s[12:13], v2, v10
	v_addc_co_u32_e64 v11, s[12:13], 0, v3, s[12:13]
	flat_load_dword v10, v[10:11]
.LBB365_17:
	s_or_b64 exec, exec, s[14:15]
	v_or_b32_e32 v22, 0x500, v0
	v_cmp_gt_u32_e64 s[12:13], s33, v22
                                        ; implicit-def: $vgpr11
	s_and_saveexec_b64 s[16:17], s[12:13]
	s_cbranch_execz .LBB365_19
; %bb.18:
	v_lshlrev_b32_e32 v11, 2, v22
	v_add_co_u32_e64 v12, s[14:15], v2, v11
	v_addc_co_u32_e64 v13, s[14:15], 0, v3, s[14:15]
	flat_load_dword v11, v[12:13]
.LBB365_19:
	s_or_b64 exec, exec, s[16:17]
	v_or_b32_e32 v23, 0x600, v0
	v_cmp_gt_u32_e64 s[14:15], s33, v23
                                        ; implicit-def: $vgpr12
	s_and_saveexec_b64 s[18:19], s[14:15]
	s_cbranch_execz .LBB365_21
; %bb.20:
	v_lshlrev_b32_e32 v12, 2, v23
	v_add_co_u32_e64 v12, s[16:17], v2, v12
	v_addc_co_u32_e64 v13, s[16:17], 0, v3, s[16:17]
	flat_load_dword v12, v[12:13]
.LBB365_21:
	s_or_b64 exec, exec, s[18:19]
	v_or_b32_e32 v24, 0x700, v0
	v_cmp_gt_u32_e64 s[16:17], s33, v24
                                        ; implicit-def: $vgpr13
	s_and_saveexec_b64 s[20:21], s[16:17]
	s_cbranch_execz .LBB365_23
; %bb.22:
	v_lshlrev_b32_e32 v13, 2, v24
	v_add_co_u32_e64 v14, s[18:19], v2, v13
	v_addc_co_u32_e64 v15, s[18:19], 0, v3, s[18:19]
	flat_load_dword v13, v[14:15]
.LBB365_23:
	s_or_b64 exec, exec, s[20:21]
	v_or_b32_e32 v25, 0x800, v0
	v_cmp_gt_u32_e64 s[18:19], s33, v25
                                        ; implicit-def: $vgpr14
	s_and_saveexec_b64 s[22:23], s[18:19]
	s_cbranch_execz .LBB365_25
; %bb.24:
	v_lshlrev_b32_e32 v14, 2, v25
	v_add_co_u32_e64 v14, s[20:21], v2, v14
	v_addc_co_u32_e64 v15, s[20:21], 0, v3, s[20:21]
	flat_load_dword v14, v[14:15]
.LBB365_25:
	s_or_b64 exec, exec, s[22:23]
	v_or_b32_e32 v26, 0x900, v0
	v_cmp_gt_u32_e64 s[20:21], s33, v26
                                        ; implicit-def: $vgpr15
	s_and_saveexec_b64 s[24:25], s[20:21]
	s_cbranch_execz .LBB365_27
; %bb.26:
	v_lshlrev_b32_e32 v15, 2, v26
	v_add_co_u32_e64 v16, s[22:23], v2, v15
	v_addc_co_u32_e64 v17, s[22:23], 0, v3, s[22:23]
	flat_load_dword v15, v[16:17]
.LBB365_27:
	s_or_b64 exec, exec, s[24:25]
	v_or_b32_e32 v27, 0xa00, v0
	v_cmp_gt_u32_e64 s[22:23], s33, v27
                                        ; implicit-def: $vgpr16
	s_and_saveexec_b64 s[26:27], s[22:23]
	s_cbranch_execz .LBB365_29
; %bb.28:
	v_lshlrev_b32_e32 v16, 2, v27
	v_add_co_u32_e64 v16, s[24:25], v2, v16
	v_addc_co_u32_e64 v17, s[24:25], 0, v3, s[24:25]
	flat_load_dword v16, v[16:17]
.LBB365_29:
	s_or_b64 exec, exec, s[26:27]
	v_or_b32_e32 v28, 0xb00, v0
	v_cmp_gt_u32_e64 s[24:25], s33, v28
                                        ; implicit-def: $vgpr17
	s_and_saveexec_b64 s[28:29], s[24:25]
	s_cbranch_execz .LBB365_31
; %bb.30:
	v_lshlrev_b32_e32 v17, 2, v28
	v_add_co_u32_e64 v18, s[26:27], v2, v17
	v_addc_co_u32_e64 v19, s[26:27], 0, v3, s[26:27]
	flat_load_dword v17, v[18:19]
.LBB365_31:
	s_or_b64 exec, exec, s[28:29]
	v_or_b32_e32 v29, 0xc00, v0
	v_cmp_gt_u32_e64 s[26:27], s33, v29
                                        ; implicit-def: $vgpr18
	s_and_saveexec_b64 s[30:31], s[26:27]
	s_cbranch_execz .LBB365_33
; %bb.32:
	v_lshlrev_b32_e32 v18, 2, v29
	v_add_co_u32_e64 v18, s[28:29], v2, v18
	v_addc_co_u32_e64 v19, s[28:29], 0, v3, s[28:29]
	flat_load_dword v18, v[18:19]
.LBB365_33:
	s_or_b64 exec, exec, s[30:31]
	v_or_b32_e32 v30, 0xd00, v0
	v_cmp_gt_u32_e64 s[28:29], s33, v30
                                        ; implicit-def: $vgpr19
	s_and_saveexec_b64 s[34:35], s[28:29]
	s_cbranch_execz .LBB365_35
; %bb.34:
	v_lshlrev_b32_e32 v19, 2, v30
	v_add_co_u32_e64 v20, s[30:31], v2, v19
	v_addc_co_u32_e64 v21, s[30:31], 0, v3, s[30:31]
	flat_load_dword v19, v[20:21]
.LBB365_35:
	s_or_b64 exec, exec, s[34:35]
	v_or_b32_e32 v31, 0xe00, v0
	v_cmp_gt_u32_e64 s[30:31], s33, v31
                                        ; implicit-def: $vgpr20
	s_and_saveexec_b64 s[38:39], s[30:31]
	s_cbranch_execz .LBB365_37
; %bb.36:
	v_lshlrev_b32_e32 v20, 2, v31
	v_add_co_u32_e64 v20, s[34:35], v2, v20
	v_addc_co_u32_e64 v21, s[34:35], 0, v3, s[34:35]
	flat_load_dword v20, v[20:21]
.LBB365_37:
	s_or_b64 exec, exec, s[38:39]
	v_lshlrev_b32_e32 v32, 2, v0
	s_waitcnt vmcnt(0) lgkmcnt(0)
	ds_write2st64_b32 v32, v1, v6 offset1:4
	ds_write2st64_b32 v32, v8, v9 offset0:8 offset1:12
	ds_write2st64_b32 v32, v10, v11 offset0:16 offset1:20
	;; [unrolled: 1-line block ×6, first 2 shown]
	ds_write_b32 v32, v20 offset:14336
	v_mad_u32_u24 v6, v0, 56, v32
	s_waitcnt lgkmcnt(0)
	s_barrier
	ds_read2_b32 v[20:21], v6 offset1:1
	ds_read2_b32 v[18:19], v6 offset0:2 offset1:3
	ds_read2_b32 v[16:17], v6 offset0:4 offset1:5
	;; [unrolled: 1-line block ×6, first 2 shown]
	ds_read_b32 v1, v6 offset:56
	s_waitcnt lgkmcnt(0)
	s_barrier
	s_waitcnt lgkmcnt(0)
                                        ; implicit-def: $vgpr33
	s_and_saveexec_b64 s[34:35], vcc
	s_cbranch_execnz .LBB365_61
; %bb.38:
	s_or_b64 exec, exec, s[34:35]
                                        ; implicit-def: $vgpr34
	s_and_saveexec_b64 s[34:35], s[4:5]
	s_cbranch_execnz .LBB365_62
.LBB365_39:
	s_or_b64 exec, exec, s[34:35]
                                        ; implicit-def: $vgpr35
	s_and_saveexec_b64 s[4:5], s[6:7]
	s_cbranch_execnz .LBB365_63
.LBB365_40:
	s_or_b64 exec, exec, s[4:5]
                                        ; implicit-def: $vgpr36
	s_and_saveexec_b64 s[4:5], s[8:9]
	s_cbranch_execnz .LBB365_64
.LBB365_41:
	s_or_b64 exec, exec, s[4:5]
                                        ; implicit-def: $vgpr37
	s_and_saveexec_b64 s[4:5], s[10:11]
	s_cbranch_execnz .LBB365_65
.LBB365_42:
	s_or_b64 exec, exec, s[4:5]
                                        ; implicit-def: $vgpr7
	s_and_saveexec_b64 s[4:5], s[12:13]
	s_cbranch_execnz .LBB365_66
.LBB365_43:
	s_or_b64 exec, exec, s[4:5]
                                        ; implicit-def: $vgpr22
	s_and_saveexec_b64 s[4:5], s[14:15]
	s_cbranch_execnz .LBB365_67
.LBB365_44:
	s_or_b64 exec, exec, s[4:5]
                                        ; implicit-def: $vgpr23
	s_and_saveexec_b64 s[4:5], s[16:17]
	s_cbranch_execnz .LBB365_68
.LBB365_45:
	s_or_b64 exec, exec, s[4:5]
                                        ; implicit-def: $vgpr24
	s_and_saveexec_b64 s[4:5], s[18:19]
	s_cbranch_execnz .LBB365_69
.LBB365_46:
	s_or_b64 exec, exec, s[4:5]
                                        ; implicit-def: $vgpr25
	s_and_saveexec_b64 s[4:5], s[20:21]
	s_cbranch_execnz .LBB365_70
.LBB365_47:
	s_or_b64 exec, exec, s[4:5]
                                        ; implicit-def: $vgpr38
	s_and_saveexec_b64 s[4:5], s[22:23]
	s_cbranch_execnz .LBB365_71
.LBB365_48:
	s_or_b64 exec, exec, s[4:5]
                                        ; implicit-def: $vgpr27
	s_and_saveexec_b64 s[4:5], s[24:25]
	s_cbranch_execnz .LBB365_72
.LBB365_49:
	s_or_b64 exec, exec, s[4:5]
                                        ; implicit-def: $vgpr28
	s_and_saveexec_b64 s[4:5], s[26:27]
	s_cbranch_execnz .LBB365_73
.LBB365_50:
	s_or_b64 exec, exec, s[4:5]
                                        ; implicit-def: $vgpr29
	s_and_saveexec_b64 s[4:5], s[28:29]
	s_cbranch_execnz .LBB365_74
.LBB365_51:
	s_or_b64 exec, exec, s[4:5]
                                        ; implicit-def: $vgpr30
	s_and_saveexec_b64 s[4:5], s[30:31]
	s_cbranch_execz .LBB365_53
.LBB365_52:
	v_lshlrev_b32_e32 v26, 2, v31
	v_add_co_u32_e32 v4, vcc, v4, v26
	v_addc_co_u32_e32 v5, vcc, 0, v5, vcc
	flat_load_dword v30, v[4:5]
.LBB365_53:
	s_or_b64 exec, exec, s[4:5]
	v_mul_u32_u24_e32 v26, 15, v0
	s_waitcnt vmcnt(0) lgkmcnt(0)
	ds_write2st64_b32 v32, v33, v34 offset1:4
	ds_write2st64_b32 v32, v35, v36 offset0:8 offset1:12
	ds_write2st64_b32 v32, v37, v7 offset0:16 offset1:20
	;; [unrolled: 1-line block ×6, first 2 shown]
	ds_write_b32 v32, v30 offset:14336
	s_waitcnt lgkmcnt(0)
	s_barrier
.LBB365_54:
	v_lshlrev_b32_e32 v4, 2, v26
	ds_read2_b32 v[46:47], v6 offset1:2
	ds_read2_b32 v[42:43], v6 offset0:4 offset1:6
	ds_read2_b32 v[38:39], v6 offset0:8 offset1:10
	;; [unrolled: 1-line block ×6, first 2 shown]
	ds_read_b32 v81, v4 offset:52
	s_cmp_eq_u64 s[40:41], 0
	s_cselect_b64 s[38:39], -1, 0
	s_cmp_lg_u64 s[40:41], 0
	s_mov_b64 s[4:5], 0
	s_cselect_b64 s[10:11], -1, 0
	s_and_b64 vcc, exec, s[48:49]
	s_waitcnt lgkmcnt(0)
	s_barrier
	s_cbranch_vccz .LBB365_60
; %bb.55:
	s_and_b64 vcc, exec, s[10:11]
	s_cbranch_vccz .LBB365_75
; %bb.56:
	v_add_co_u32_e32 v4, vcc, -4, v2
	v_addc_co_u32_e32 v5, vcc, -1, v3, vcc
	flat_load_dword v4, v[4:5]
	v_lshlrev_b32_e32 v5, 2, v0
	ds_write_b32 v5, v1
	s_waitcnt lgkmcnt(0)
	s_barrier
	s_and_saveexec_b64 s[4:5], s[2:3]
	s_cbranch_execz .LBB365_58
; %bb.57:
	s_waitcnt vmcnt(0)
	v_add_u32_e32 v4, -4, v5
	ds_read_b32 v4, v4
.LBB365_58:
	s_or_b64 exec, exec, s[4:5]
	s_mov_b32 s4, 0x66666667
	v_mul_hi_i32 v5, v9, s4
	v_lshrrev_b32_e32 v6, 31, v5
	v_ashrrev_i32_e32 v5, 2, v5
	v_add_u32_e32 v5, v5, v6
	v_mul_hi_i32 v6, v8, s4
	v_lshrrev_b32_e32 v7, 31, v6
	v_ashrrev_i32_e32 v6, 2, v6
	v_add_u32_e32 v6, v6, v7
	;; [unrolled: 4-line block ×15, first 2 shown]
	v_cmp_ne_u32_e32 vcc, v31, v34
	v_cndmask_b32_e64 v35, 0, 1, vcc
	v_cmp_ne_u32_e32 vcc, v31, v33
	v_cndmask_b32_e64 v32, 0, 1, vcc
	;; [unrolled: 2-line block ×12, first 2 shown]
	v_cmp_ne_u32_e32 vcc, v5, v6
	s_waitcnt vmcnt(0) lgkmcnt(0)
	v_mul_hi_i32 v4, v4, s4
	v_cndmask_b32_e64 v23, 0, 1, vcc
	v_cmp_ne_u32_e32 vcc, v5, v7
	v_lshrrev_b32_e32 v5, 31, v4
	v_ashrrev_i32_e32 v4, 2, v4
	v_add_u32_e32 v4, v4, v5
	v_cndmask_b32_e64 v80, 0, 1, vcc
	v_cmp_ne_u32_e64 s[8:9], v4, v34
	s_mov_b64 s[4:5], -1
.LBB365_59:
                                        ; implicit-def: $sgpr12
	s_branch .LBB365_114
.LBB365_60:
                                        ; implicit-def: $sgpr8_sgpr9
                                        ; implicit-def: $vgpr80
                                        ; implicit-def: $vgpr23
                                        ; implicit-def: $vgpr22
                                        ; implicit-def: $vgpr25
                                        ; implicit-def: $vgpr24
                                        ; implicit-def: $vgpr27
                                        ; implicit-def: $vgpr26
                                        ; implicit-def: $vgpr29
                                        ; implicit-def: $vgpr28
                                        ; implicit-def: $vgpr31
                                        ; implicit-def: $vgpr30
                                        ; implicit-def: $vgpr33
                                        ; implicit-def: $vgpr32
                                        ; implicit-def: $vgpr35
                                        ; implicit-def: $sgpr12
	s_cbranch_execnz .LBB365_79
	s_branch .LBB365_114
.LBB365_61:
	v_add_co_u32_e32 v34, vcc, v4, v32
	v_addc_co_u32_e32 v35, vcc, 0, v5, vcc
	flat_load_dword v33, v[34:35]
	s_or_b64 exec, exec, s[34:35]
                                        ; implicit-def: $vgpr34
	s_and_saveexec_b64 s[34:35], s[4:5]
	s_cbranch_execz .LBB365_39
.LBB365_62:
	v_add_co_u32_e32 v34, vcc, v4, v32
	v_addc_co_u32_e32 v35, vcc, 0, v5, vcc
	flat_load_dword v34, v[34:35] offset:1024
	s_or_b64 exec, exec, s[34:35]
                                        ; implicit-def: $vgpr35
	s_and_saveexec_b64 s[4:5], s[6:7]
	s_cbranch_execz .LBB365_40
.LBB365_63:
	v_add_co_u32_e32 v36, vcc, v4, v32
	v_addc_co_u32_e32 v37, vcc, 0, v5, vcc
	flat_load_dword v35, v[36:37] offset:2048
	s_or_b64 exec, exec, s[4:5]
                                        ; implicit-def: $vgpr36
	s_and_saveexec_b64 s[4:5], s[8:9]
	s_cbranch_execz .LBB365_41
.LBB365_64:
	v_add_co_u32_e32 v36, vcc, v4, v32
	v_addc_co_u32_e32 v37, vcc, 0, v5, vcc
	flat_load_dword v36, v[36:37] offset:3072
	s_or_b64 exec, exec, s[4:5]
                                        ; implicit-def: $vgpr37
	s_and_saveexec_b64 s[4:5], s[10:11]
	s_cbranch_execz .LBB365_42
.LBB365_65:
	v_lshlrev_b32_e32 v7, 2, v7
	v_add_co_u32_e32 v38, vcc, v4, v7
	v_addc_co_u32_e32 v39, vcc, 0, v5, vcc
	flat_load_dword v37, v[38:39]
	s_or_b64 exec, exec, s[4:5]
                                        ; implicit-def: $vgpr7
	s_and_saveexec_b64 s[4:5], s[12:13]
	s_cbranch_execz .LBB365_43
.LBB365_66:
	v_lshlrev_b32_e32 v7, 2, v22
	v_add_co_u32_e32 v38, vcc, v4, v7
	v_addc_co_u32_e32 v39, vcc, 0, v5, vcc
	flat_load_dword v7, v[38:39]
	s_or_b64 exec, exec, s[4:5]
                                        ; implicit-def: $vgpr22
	s_and_saveexec_b64 s[4:5], s[14:15]
	s_cbranch_execz .LBB365_44
.LBB365_67:
	v_lshlrev_b32_e32 v22, 2, v23
	v_add_co_u32_e32 v22, vcc, v4, v22
	v_addc_co_u32_e32 v23, vcc, 0, v5, vcc
	flat_load_dword v22, v[22:23]
	s_or_b64 exec, exec, s[4:5]
                                        ; implicit-def: $vgpr23
	s_and_saveexec_b64 s[4:5], s[16:17]
	s_cbranch_execz .LBB365_45
.LBB365_68:
	v_lshlrev_b32_e32 v23, 2, v24
	v_add_co_u32_e32 v38, vcc, v4, v23
	v_addc_co_u32_e32 v39, vcc, 0, v5, vcc
	flat_load_dword v23, v[38:39]
	s_or_b64 exec, exec, s[4:5]
                                        ; implicit-def: $vgpr24
	s_and_saveexec_b64 s[4:5], s[18:19]
	s_cbranch_execz .LBB365_46
.LBB365_69:
	v_lshlrev_b32_e32 v24, 2, v25
	v_add_co_u32_e32 v24, vcc, v4, v24
	v_addc_co_u32_e32 v25, vcc, 0, v5, vcc
	flat_load_dword v24, v[24:25]
	s_or_b64 exec, exec, s[4:5]
                                        ; implicit-def: $vgpr25
	s_and_saveexec_b64 s[4:5], s[20:21]
	s_cbranch_execz .LBB365_47
.LBB365_70:
	v_lshlrev_b32_e32 v25, 2, v26
	v_add_co_u32_e32 v38, vcc, v4, v25
	v_addc_co_u32_e32 v39, vcc, 0, v5, vcc
	flat_load_dword v25, v[38:39]
	s_or_b64 exec, exec, s[4:5]
                                        ; implicit-def: $vgpr38
	s_and_saveexec_b64 s[4:5], s[22:23]
	s_cbranch_execz .LBB365_48
.LBB365_71:
	v_lshlrev_b32_e32 v26, 2, v27
	v_add_co_u32_e32 v26, vcc, v4, v26
	v_addc_co_u32_e32 v27, vcc, 0, v5, vcc
	flat_load_dword v38, v[26:27]
	s_or_b64 exec, exec, s[4:5]
                                        ; implicit-def: $vgpr27
	s_and_saveexec_b64 s[4:5], s[24:25]
	s_cbranch_execz .LBB365_49
.LBB365_72:
	v_lshlrev_b32_e32 v26, 2, v28
	v_add_co_u32_e32 v26, vcc, v4, v26
	v_addc_co_u32_e32 v27, vcc, 0, v5, vcc
	flat_load_dword v27, v[26:27]
	s_or_b64 exec, exec, s[4:5]
                                        ; implicit-def: $vgpr28
	s_and_saveexec_b64 s[4:5], s[26:27]
	s_cbranch_execz .LBB365_50
.LBB365_73:
	v_lshlrev_b32_e32 v26, 2, v29
	v_add_co_u32_e32 v28, vcc, v4, v26
	v_addc_co_u32_e32 v29, vcc, 0, v5, vcc
	flat_load_dword v28, v[28:29]
	s_or_b64 exec, exec, s[4:5]
                                        ; implicit-def: $vgpr29
	s_and_saveexec_b64 s[4:5], s[28:29]
	s_cbranch_execz .LBB365_51
.LBB365_74:
	v_lshlrev_b32_e32 v26, 2, v30
	v_add_co_u32_e32 v40, vcc, v4, v26
	v_addc_co_u32_e32 v41, vcc, 0, v5, vcc
	flat_load_dword v29, v[40:41]
	s_or_b64 exec, exec, s[4:5]
                                        ; implicit-def: $vgpr30
	s_and_saveexec_b64 s[4:5], s[30:31]
	s_cbranch_execnz .LBB365_52
	s_branch .LBB365_53
.LBB365_75:
                                        ; implicit-def: $sgpr8_sgpr9
                                        ; implicit-def: $vgpr80
                                        ; implicit-def: $vgpr23
                                        ; implicit-def: $vgpr22
                                        ; implicit-def: $vgpr25
                                        ; implicit-def: $vgpr24
                                        ; implicit-def: $vgpr27
                                        ; implicit-def: $vgpr26
                                        ; implicit-def: $vgpr29
                                        ; implicit-def: $vgpr28
                                        ; implicit-def: $vgpr31
                                        ; implicit-def: $vgpr30
                                        ; implicit-def: $vgpr33
                                        ; implicit-def: $vgpr32
                                        ; implicit-def: $vgpr35
	s_cbranch_execz .LBB365_59
; %bb.76:
	s_mov_b32 s12, 0x66666667
	v_mul_hi_i32 v5, v9, s12
	v_lshrrev_b32_e32 v6, 31, v5
	v_ashrrev_i32_e32 v5, 2, v5
	v_add_u32_e32 v6, v5, v6
	v_mul_hi_i32 v5, v8, s12
	v_lshrrev_b32_e32 v7, 31, v5
	v_ashrrev_i32_e32 v5, 2, v5
	v_add_u32_e32 v7, v5, v7
	;; [unrolled: 4-line block ×15, first 2 shown]
	v_cmp_ne_u32_e32 vcc, v31, v5
	v_cndmask_b32_e64 v35, 0, 1, vcc
	v_cmp_ne_u32_e32 vcc, v31, v33
	v_cndmask_b32_e64 v32, 0, 1, vcc
	;; [unrolled: 2-line block ×13, first 2 shown]
	v_cmp_ne_u32_e32 vcc, v6, v34
	v_lshlrev_b32_e32 v4, 2, v0
	v_cndmask_b32_e64 v80, 0, 1, vcc
	ds_write_b32 v4, v1
	s_waitcnt lgkmcnt(0)
	s_barrier
	s_waitcnt lgkmcnt(0)
                                        ; implicit-def: $sgpr8_sgpr9
	s_and_saveexec_b64 s[6:7], s[2:3]
	s_xor_b64 s[6:7], exec, s[6:7]
	s_cbranch_execz .LBB365_78
; %bb.77:
	v_add_u32_e32 v4, -4, v4
	ds_read_b32 v4, v4
	s_or_b64 s[4:5], s[4:5], exec
	s_waitcnt lgkmcnt(0)
	v_mul_hi_i32 v4, v4, s12
	v_lshrrev_b32_e32 v6, 31, v4
	v_ashrrev_i32_e32 v4, 2, v4
	v_add_u32_e32 v4, v4, v6
	v_cmp_ne_u32_e32 vcc, v4, v5
	s_and_b64 s[8:9], vcc, exec
.LBB365_78:
	s_or_b64 exec, exec, s[6:7]
	s_mov_b32 s12, 1
	s_branch .LBB365_114
.LBB365_79:
	s_mul_hi_u32 s7, s40, 0xfffff100
	s_mul_i32 s6, s41, 0xfffff100
	s_sub_i32 s7, s7, s40
	s_add_i32 s7, s7, s6
	s_mul_i32 s6, s40, 0xfffff100
	s_add_u32 s6, s6, s56
	s_addc_u32 s7, s7, s57
	s_and_b64 vcc, exec, s[10:11]
	s_cbranch_vccz .LBB365_223
; %bb.80:
	v_add_co_u32_e32 v2, vcc, -4, v2
	v_addc_co_u32_e32 v3, vcc, -1, v3, vcc
	flat_load_dword v4, v[2:3]
	v_mad_u32_u24 v22, v0, 15, 14
	v_mov_b32_e32 v23, 0
	v_lshlrev_b32_e32 v3, 2, v0
	v_mul_u32_u24_e32 v2, 15, v0
	v_cmp_gt_u64_e32 vcc, s[6:7], v[22:23]
	v_mov_b32_e32 v80, 0
	ds_write_b32 v3, v1
	s_and_saveexec_b64 s[4:5], vcc
; %bb.81:
	s_mov_b32 s8, 0x66666667
	v_mul_hi_i32 v5, v9, s8
	v_lshrrev_b32_e32 v6, 31, v5
	v_ashrrev_i32_e32 v5, 2, v5
	v_add_u32_e32 v5, v5, v6
	v_mul_hi_i32 v6, v1, s8
	v_lshrrev_b32_e32 v7, 31, v6
	v_ashrrev_i32_e32 v6, 2, v6
	v_add_u32_e32 v6, v6, v7
	v_cmp_ne_u32_e32 vcc, v5, v6
	v_cndmask_b32_e64 v80, 0, 1, vcc
; %bb.82:
	s_or_b64 exec, exec, s[4:5]
	v_add_u32_e32 v22, 13, v2
	v_cmp_gt_u64_e32 vcc, s[6:7], v[22:23]
	s_and_saveexec_b64 s[4:5], vcc
; %bb.83:
	s_mov_b32 s8, 0x66666667
	v_mul_hi_i32 v5, v8, s8
	v_lshrrev_b32_e32 v6, 31, v5
	v_ashrrev_i32_e32 v5, 2, v5
	v_add_u32_e32 v5, v5, v6
	v_mul_hi_i32 v6, v9, s8
	v_lshrrev_b32_e32 v7, 31, v6
	v_ashrrev_i32_e32 v6, 2, v6
	v_add_u32_e32 v6, v6, v7
	v_cmp_ne_u32_e32 vcc, v5, v6
	v_cndmask_b32_e64 v23, 0, 1, vcc
; %bb.84:
	s_or_b64 exec, exec, s[4:5]
	v_add_u32_e32 v24, 12, v2
	v_mov_b32_e32 v25, 0
	v_cmp_gt_u64_e32 vcc, s[6:7], v[24:25]
	v_mov_b32_e32 v22, 0
	s_and_saveexec_b64 s[4:5], vcc
; %bb.85:
	s_mov_b32 s8, 0x66666667
	v_mul_hi_i32 v5, v11, s8
	v_lshrrev_b32_e32 v6, 31, v5
	v_ashrrev_i32_e32 v5, 2, v5
	v_add_u32_e32 v5, v5, v6
	v_mul_hi_i32 v6, v8, s8
	v_lshrrev_b32_e32 v7, 31, v6
	v_ashrrev_i32_e32 v6, 2, v6
	v_add_u32_e32 v6, v6, v7
	v_cmp_ne_u32_e32 vcc, v5, v6
	v_cndmask_b32_e64 v22, 0, 1, vcc
; %bb.86:
	s_or_b64 exec, exec, s[4:5]
	v_add_u32_e32 v24, 11, v2
	v_cmp_gt_u64_e32 vcc, s[6:7], v[24:25]
	s_and_saveexec_b64 s[4:5], vcc
; %bb.87:
	s_mov_b32 s8, 0x66666667
	v_mul_hi_i32 v5, v10, s8
	v_lshrrev_b32_e32 v6, 31, v5
	v_ashrrev_i32_e32 v5, 2, v5
	v_add_u32_e32 v5, v5, v6
	v_mul_hi_i32 v6, v11, s8
	v_lshrrev_b32_e32 v7, 31, v6
	v_ashrrev_i32_e32 v6, 2, v6
	v_add_u32_e32 v6, v6, v7
	v_cmp_ne_u32_e32 vcc, v5, v6
	v_cndmask_b32_e64 v25, 0, 1, vcc
; %bb.88:
	s_or_b64 exec, exec, s[4:5]
	v_add_u32_e32 v26, 10, v2
	v_mov_b32_e32 v27, 0
	v_cmp_gt_u64_e32 vcc, s[6:7], v[26:27]
	v_mov_b32_e32 v24, 0
	;; [unrolled: 36-line block ×6, first 2 shown]
	s_and_saveexec_b64 s[4:5], vcc
; %bb.105:
	s_mov_b32 s8, 0x66666667
	v_mul_hi_i32 v5, v21, s8
	v_lshrrev_b32_e32 v6, 31, v5
	v_ashrrev_i32_e32 v5, 2, v5
	v_add_u32_e32 v5, v5, v6
	v_mul_hi_i32 v6, v18, s8
	v_lshrrev_b32_e32 v7, 31, v6
	v_ashrrev_i32_e32 v6, 2, v6
	v_add_u32_e32 v6, v6, v7
	v_cmp_ne_u32_e32 vcc, v5, v6
	v_cndmask_b32_e64 v32, 0, 1, vcc
; %bb.106:
	s_or_b64 exec, exec, s[4:5]
	v_add_u32_e32 v34, 1, v2
	v_cmp_gt_u64_e32 vcc, s[6:7], v[34:35]
	s_and_saveexec_b64 s[4:5], vcc
; %bb.107:
	s_mov_b32 s8, 0x66666667
	v_mul_hi_i32 v5, v20, s8
	v_lshrrev_b32_e32 v6, 31, v5
	v_ashrrev_i32_e32 v5, 2, v5
	v_add_u32_e32 v5, v5, v6
	v_mul_hi_i32 v6, v21, s8
	v_lshrrev_b32_e32 v7, 31, v6
	v_ashrrev_i32_e32 v6, 2, v6
	v_add_u32_e32 v6, v6, v7
	v_cmp_ne_u32_e32 vcc, v5, v6
	v_cndmask_b32_e64 v35, 0, 1, vcc
; %bb.108:
	s_or_b64 exec, exec, s[4:5]
	s_waitcnt lgkmcnt(0)
	s_barrier
	s_and_saveexec_b64 s[4:5], s[2:3]
	s_cbranch_execz .LBB365_110
; %bb.109:
	v_add_u32_e32 v3, -4, v3
	s_waitcnt vmcnt(0)
	ds_read_b32 v4, v3
.LBB365_110:
	s_or_b64 exec, exec, s[4:5]
	v_mov_b32_e32 v3, 0
	v_cmp_gt_u64_e32 vcc, s[6:7], v[2:3]
	s_mov_b64 s[10:11], 0
	s_mov_b64 s[8:9], 0
	s_and_saveexec_b64 s[4:5], vcc
	s_cbranch_execz .LBB365_112
; %bb.111:
	s_mov_b32 s8, 0x66666667
	s_waitcnt vmcnt(0) lgkmcnt(0)
	v_mul_hi_i32 v2, v4, s8
	v_lshrrev_b32_e32 v3, 31, v2
	v_ashrrev_i32_e32 v2, 2, v2
	v_add_u32_e32 v2, v2, v3
	v_mul_hi_i32 v3, v20, s8
	v_lshrrev_b32_e32 v4, 31, v3
	v_ashrrev_i32_e32 v3, 2, v3
	v_add_u32_e32 v3, v3, v4
	v_cmp_ne_u32_e32 vcc, v2, v3
	s_and_b64 s[8:9], vcc, exec
.LBB365_112:
	s_or_b64 exec, exec, s[4:5]
	s_mov_b64 s[4:5], -1
	s_and_b64 vcc, exec, s[10:11]
	s_cbranch_vccnz .LBB365_224
.LBB365_113:
                                        ; implicit-def: $sgpr12
.LBB365_114:
	v_mov_b32_e32 v82, s12
	s_and_saveexec_b64 s[2:3], s[4:5]
.LBB365_115:
	v_cndmask_b32_e64 v82, 0, 1, s[8:9]
.LBB365_116:
	s_or_b64 exec, exec, s[2:3]
	s_cmp_eq_u64 s[46:47], 0
	v_add3_u32 v2, v35, v82, v32
	s_cselect_b64 s[34:35], -1, 0
	s_cmp_lg_u32 s62, 0
	v_cmp_eq_u32_e64 s[26:27], 0, v35
	v_cmp_eq_u32_e64 s[24:25], 0, v32
	;; [unrolled: 1-line block ×3, first 2 shown]
	v_add3_u32 v86, v2, v33, v30
	v_cmp_eq_u32_e64 s[20:21], 0, v30
	v_cmp_eq_u32_e64 s[18:19], 0, v31
	;; [unrolled: 1-line block ×10, first 2 shown]
	v_cmp_eq_u32_e32 vcc, 0, v80
	v_mbcnt_lo_u32_b32 v85, -1, 0
	v_lshrrev_b32_e32 v83, 6, v0
	v_or_b32_e32 v84, 63, v0
	s_cbranch_scc0 .LBB365_147
; %bb.117:
	v_cndmask_b32_e64 v2, 0, v46, s[26:27]
	v_add_u32_e32 v2, v2, v48
	v_cndmask_b32_e64 v2, 0, v2, s[24:25]
	v_add_u32_e32 v2, v2, v47
	;; [unrolled: 2-line block ×11, first 2 shown]
	v_cndmask_b32_e64 v2, 0, v2, s[4:5]
	v_add3_u32 v3, v86, v31, v28
	v_add_u32_e32 v2, v2, v36
	v_add3_u32 v3, v3, v29, v26
	v_cndmask_b32_e64 v2, 0, v2, s[2:3]
	v_add3_u32 v3, v3, v27, v24
	v_add_u32_e32 v2, v2, v81
	v_add3_u32 v3, v3, v25, v22
	v_cndmask_b32_e32 v2, 0, v2, vcc
	v_add3_u32 v3, v3, v23, v80
	v_add_u32_e32 v2, v2, v37
	v_mbcnt_hi_u32_b32 v53, -1, v85
	s_waitcnt vmcnt(0) lgkmcnt(0)
	v_and_b32_e32 v4, 15, v53
	v_mov_b32_dpp v6, v2 row_shr:1 row_mask:0xf bank_mask:0xf
	v_cmp_eq_u32_e32 vcc, 0, v3
	v_mov_b32_dpp v5, v3 row_shr:1 row_mask:0xf bank_mask:0xf
	v_cndmask_b32_e32 v6, 0, v6, vcc
	v_cmp_eq_u32_e32 vcc, 0, v4
	v_cndmask_b32_e64 v5, v5, 0, vcc
	v_add_u32_e32 v3, v5, v3
	v_cndmask_b32_e64 v5, v6, 0, vcc
	v_add_u32_e32 v2, v5, v2
	v_cmp_eq_u32_e32 vcc, 0, v3
	v_mov_b32_dpp v5, v3 row_shr:2 row_mask:0xf bank_mask:0xf
	v_cmp_lt_u32_e64 s[28:29], 1, v4
	v_mov_b32_dpp v6, v2 row_shr:2 row_mask:0xf bank_mask:0xf
	v_cndmask_b32_e64 v5, 0, v5, s[28:29]
	s_and_b64 vcc, s[28:29], vcc
	v_cndmask_b32_e32 v6, 0, v6, vcc
	v_add_u32_e32 v3, v3, v5
	v_add_u32_e32 v2, v6, v2
	v_cmp_eq_u32_e32 vcc, 0, v3
	v_mov_b32_dpp v5, v3 row_shr:4 row_mask:0xf bank_mask:0xf
	v_cmp_lt_u32_e64 s[28:29], 3, v4
	v_mov_b32_dpp v6, v2 row_shr:4 row_mask:0xf bank_mask:0xf
	v_cndmask_b32_e64 v5, 0, v5, s[28:29]
	s_and_b64 vcc, s[28:29], vcc
	v_cndmask_b32_e32 v6, 0, v6, vcc
	v_add_u32_e32 v3, v5, v3
	v_add_u32_e32 v2, v2, v6
	v_cmp_eq_u32_e32 vcc, 0, v3
	v_cmp_lt_u32_e64 s[28:29], 7, v4
	v_mov_b32_dpp v5, v3 row_shr:8 row_mask:0xf bank_mask:0xf
	v_mov_b32_dpp v6, v2 row_shr:8 row_mask:0xf bank_mask:0xf
	s_and_b64 vcc, s[28:29], vcc
	v_cndmask_b32_e64 v4, 0, v5, s[28:29]
	v_cndmask_b32_e32 v5, 0, v6, vcc
	v_add_u32_e32 v2, v5, v2
	v_add_u32_e32 v3, v4, v3
	v_bfe_i32 v6, v53, 4, 1
	v_mov_b32_dpp v5, v2 row_bcast:15 row_mask:0xf bank_mask:0xf
	v_mov_b32_dpp v4, v3 row_bcast:15 row_mask:0xf bank_mask:0xf
	v_cmp_eq_u32_e32 vcc, 0, v3
	v_cndmask_b32_e32 v5, 0, v5, vcc
	v_and_b32_e32 v4, v6, v4
	v_add_u32_e32 v3, v4, v3
	v_and_b32_e32 v4, v6, v5
	v_add_u32_e32 v4, v4, v2
	v_mov_b32_dpp v2, v3 row_bcast:31 row_mask:0xf bank_mask:0xf
	v_cmp_eq_u32_e32 vcc, 0, v3
	v_cmp_lt_u32_e64 s[28:29], 31, v53
	v_mov_b32_dpp v5, v4 row_bcast:31 row_mask:0xf bank_mask:0xf
	v_cndmask_b32_e64 v2, 0, v2, s[28:29]
	s_and_b64 vcc, s[28:29], vcc
	v_add_u32_e32 v2, v2, v3
	v_cndmask_b32_e32 v3, 0, v5, vcc
	v_add_u32_e32 v3, v3, v4
	v_cmp_eq_u32_e32 vcc, v84, v0
	v_lshlrev_b32_e32 v4, 3, v83
	s_and_saveexec_b64 s[28:29], vcc
	s_cbranch_execz .LBB365_119
; %bb.118:
	ds_write_b64 v4, v[2:3] offset:2064
.LBB365_119:
	s_or_b64 exec, exec, s[28:29]
	v_cmp_gt_u32_e32 vcc, 4, v0
	s_waitcnt lgkmcnt(0)
	s_barrier
	s_and_saveexec_b64 s[30:31], vcc
	s_cbranch_execz .LBB365_121
; %bb.120:
	v_lshlrev_b32_e32 v5, 3, v0
	ds_read_b64 v[6:7], v5 offset:2064
	v_and_b32_e32 v34, 3, v53
	v_cmp_lt_u32_e64 s[28:29], 1, v34
	s_waitcnt lgkmcnt(0)
	v_mov_b32_dpp v51, v7 row_shr:1 row_mask:0xf bank_mask:0xf
	v_cmp_eq_u32_e32 vcc, 0, v6
	v_mov_b32_dpp v50, v6 row_shr:1 row_mask:0xf bank_mask:0xf
	v_cndmask_b32_e32 v51, 0, v51, vcc
	v_cmp_eq_u32_e32 vcc, 0, v34
	v_cndmask_b32_e64 v50, v50, 0, vcc
	v_add_u32_e32 v6, v50, v6
	v_cndmask_b32_e64 v50, v51, 0, vcc
	v_add_u32_e32 v7, v50, v7
	v_cmp_eq_u32_e32 vcc, 0, v6
	v_mov_b32_dpp v50, v6 row_shr:2 row_mask:0xf bank_mask:0xf
	v_mov_b32_dpp v51, v7 row_shr:2 row_mask:0xf bank_mask:0xf
	v_cndmask_b32_e64 v34, 0, v50, s[28:29]
	s_and_b64 vcc, s[28:29], vcc
	v_add_u32_e32 v6, v34, v6
	v_cndmask_b32_e32 v34, 0, v51, vcc
	v_add_u32_e32 v7, v34, v7
	ds_write_b64 v5, v[6:7] offset:2064
.LBB365_121:
	s_or_b64 exec, exec, s[30:31]
	v_cmp_gt_u32_e32 vcc, 64, v0
	v_cmp_lt_u32_e64 s[28:29], 63, v0
	v_mov_b32_e32 v50, 0
	v_mov_b32_e32 v51, 0
	s_waitcnt lgkmcnt(0)
	s_barrier
	s_and_saveexec_b64 s[30:31], s[28:29]
	s_cbranch_execz .LBB365_123
; %bb.122:
	ds_read_b64 v[50:51], v4 offset:2056
	v_cmp_eq_u32_e64 s[28:29], 0, v2
	s_waitcnt lgkmcnt(0)
	v_add_u32_e32 v4, v50, v2
	v_cndmask_b32_e64 v2, 0, v51, s[28:29]
	v_add_u32_e32 v3, v2, v3
	v_mov_b32_e32 v2, v4
.LBB365_123:
	s_or_b64 exec, exec, s[30:31]
	v_add_u32_e32 v4, -1, v53
	v_and_b32_e32 v5, 64, v53
	v_cmp_lt_i32_e64 s[28:29], v4, v5
	v_cndmask_b32_e64 v4, v4, v53, s[28:29]
	v_lshlrev_b32_e32 v4, 2, v4
	ds_bpermute_b32 v34, v4, v2
	ds_bpermute_b32 v58, v4, v3
	v_cmp_eq_u32_e64 s[28:29], 0, v53
	s_and_saveexec_b64 s[40:41], vcc
	s_cbranch_execz .LBB365_146
; %bb.124:
	v_mov_b32_e32 v7, 0
	ds_read_b64 v[2:3], v7 offset:2088
	s_waitcnt lgkmcnt(0)
	v_readfirstlane_b32 s48, v2
	v_readfirstlane_b32 s49, v3
	s_and_saveexec_b64 s[30:31], s[28:29]
	s_cbranch_execz .LBB365_126
; %bb.125:
	s_add_i32 s46, s62, 64
	s_mov_b32 s47, 0
	s_lshl_b64 s[50:51], s[46:47], 4
	s_add_u32 s50, s44, s50
	s_addc_u32 s51, s45, s51
	s_and_b32 s57, s49, 0xff000000
	s_mov_b32 s56, s47
	s_and_b32 s65, s49, 0xff0000
	s_mov_b32 s64, s47
	s_or_b64 s[56:57], s[64:65], s[56:57]
	s_and_b32 s65, s49, 0xff00
	s_or_b64 s[56:57], s[56:57], s[64:65]
	s_and_b32 s65, s49, 0xff
	s_or_b64 s[46:47], s[56:57], s[64:65]
	v_mov_b32_e32 v4, s48
	v_mov_b32_e32 v5, s47
	;; [unrolled: 1-line block ×3, first 2 shown]
	v_pk_mov_b32 v[2:3], s[50:51], s[50:51] op_sel:[0,1]
	;;#ASMSTART
	global_store_dwordx4 v[2:3], v[4:7] off	
s_waitcnt vmcnt(0)
	;;#ASMEND
.LBB365_126:
	s_or_b64 exec, exec, s[30:31]
	v_xad_u32 v52, v53, -1, s62
	v_add_u32_e32 v6, 64, v52
	v_lshlrev_b64 v[2:3], 4, v[6:7]
	v_mov_b32_e32 v4, s45
	v_add_co_u32_e32 v54, vcc, s44, v2
	v_addc_co_u32_e32 v55, vcc, v4, v3, vcc
	;;#ASMSTART
	global_load_dwordx4 v[2:5], v[54:55] off glc	
s_waitcnt vmcnt(0)
	;;#ASMEND
	v_and_b32_e32 v5, 0xff, v3
	v_and_b32_e32 v6, 0xff00, v3
	;; [unrolled: 1-line block ×3, first 2 shown]
	v_or3_b32 v5, 0, v5, v6
	v_or3_b32 v2, v2, 0, 0
	v_and_b32_e32 v3, 0xff000000, v3
	v_or3_b32 v3, v5, v56, v3
	v_or3_b32 v2, v2, 0, 0
	v_cmp_eq_u16_sdwa s[46:47], v4, v7 src0_sel:BYTE_0 src1_sel:DWORD
	s_and_saveexec_b64 s[30:31], s[46:47]
	s_cbranch_execz .LBB365_132
; %bb.127:
	s_mov_b32 s50, 1
	s_mov_b64 s[46:47], 0
	v_mov_b32_e32 v6, 0
.LBB365_128:                            ; =>This Loop Header: Depth=1
                                        ;     Child Loop BB365_129 Depth 2
	s_max_u32 s51, s50, 1
.LBB365_129:                            ;   Parent Loop BB365_128 Depth=1
                                        ; =>  This Inner Loop Header: Depth=2
	s_add_i32 s51, s51, -1
	s_cmp_eq_u32 s51, 0
	s_sleep 1
	s_cbranch_scc0 .LBB365_129
; %bb.130:                              ;   in Loop: Header=BB365_128 Depth=1
	s_cmp_lt_u32 s50, 32
	s_cselect_b64 s[56:57], -1, 0
	s_cmp_lg_u64 s[56:57], 0
	s_addc_u32 s50, s50, 0
	;;#ASMSTART
	global_load_dwordx4 v[2:5], v[54:55] off glc	
s_waitcnt vmcnt(0)
	;;#ASMEND
	v_cmp_ne_u16_sdwa s[56:57], v4, v6 src0_sel:BYTE_0 src1_sel:DWORD
	s_or_b64 s[46:47], s[56:57], s[46:47]
	s_andn2_b64 exec, exec, s[46:47]
	s_cbranch_execnz .LBB365_128
; %bb.131:
	s_or_b64 exec, exec, s[46:47]
.LBB365_132:
	s_or_b64 exec, exec, s[30:31]
	v_mov_b32_e32 v59, 2
	v_cmp_eq_u16_sdwa s[30:31], v4, v59 src0_sel:BYTE_0 src1_sel:DWORD
	v_lshlrev_b64 v[54:55], v53, -1
	v_and_b32_e32 v5, s31, v55
	v_and_b32_e32 v60, 63, v53
	v_or_b32_e32 v5, 0x80000000, v5
	v_cmp_ne_u32_e32 vcc, 63, v60
	v_and_b32_e32 v6, s30, v54
	v_ffbl_b32_e32 v5, v5
	v_addc_co_u32_e32 v7, vcc, 0, v53, vcc
	v_add_u32_e32 v5, 32, v5
	v_ffbl_b32_e32 v6, v6
	v_lshlrev_b32_e32 v61, 2, v7
	v_min_u32_e32 v5, v6, v5
	ds_bpermute_b32 v6, v61, v3
	v_cmp_eq_u32_e32 vcc, 0, v2
	v_cmp_lt_u32_e64 s[30:31], v60, v5
	ds_bpermute_b32 v7, v61, v2
	s_and_b64 vcc, s[30:31], vcc
	s_waitcnt lgkmcnt(1)
	v_cndmask_b32_e32 v6, 0, v6, vcc
	v_cmp_gt_u32_e32 vcc, 62, v60
	v_add_u32_e32 v3, v6, v3
	v_cndmask_b32_e64 v6, 0, 1, vcc
	v_lshlrev_b32_e32 v6, 1, v6
	v_add_lshl_u32 v62, v6, v53, 2
	s_waitcnt lgkmcnt(0)
	v_cndmask_b32_e64 v7, 0, v7, s[30:31]
	ds_bpermute_b32 v6, v62, v3
	v_add_u32_e32 v2, v7, v2
	ds_bpermute_b32 v7, v62, v2
	v_add_u32_e32 v63, 2, v60
	v_cmp_eq_u32_e32 vcc, 0, v2
	s_waitcnt lgkmcnt(1)
	v_cndmask_b32_e32 v6, 0, v6, vcc
	v_cmp_gt_u32_e32 vcc, v63, v5
	v_cndmask_b32_e64 v6, v6, 0, vcc
	v_add_u32_e32 v3, v6, v3
	s_waitcnt lgkmcnt(0)
	v_cndmask_b32_e64 v6, v7, 0, vcc
	v_cmp_gt_u32_e32 vcc, 60, v60
	v_cndmask_b32_e64 v7, 0, 1, vcc
	v_lshlrev_b32_e32 v7, 2, v7
	v_add_lshl_u32 v64, v7, v53, 2
	ds_bpermute_b32 v7, v64, v3
	v_add_u32_e32 v2, v2, v6
	ds_bpermute_b32 v6, v64, v2
	v_add_u32_e32 v65, 4, v60
	v_cmp_eq_u32_e32 vcc, 0, v2
	s_waitcnt lgkmcnt(1)
	v_cndmask_b32_e32 v7, 0, v7, vcc
	v_cmp_gt_u32_e32 vcc, v65, v5
	v_cndmask_b32_e64 v7, v7, 0, vcc
	s_waitcnt lgkmcnt(0)
	v_cndmask_b32_e64 v6, v6, 0, vcc
	v_cmp_gt_u32_e32 vcc, 56, v60
	v_add_u32_e32 v3, v3, v7
	v_cndmask_b32_e64 v7, 0, 1, vcc
	v_lshlrev_b32_e32 v7, 3, v7
	v_add_lshl_u32 v66, v7, v53, 2
	ds_bpermute_b32 v7, v66, v3
	v_add_u32_e32 v2, v2, v6
	ds_bpermute_b32 v6, v66, v2
	v_add_u32_e32 v67, 8, v60
	v_cmp_eq_u32_e32 vcc, 0, v2
	s_waitcnt lgkmcnt(1)
	v_cndmask_b32_e32 v7, 0, v7, vcc
	v_cmp_gt_u32_e32 vcc, v67, v5
	v_cndmask_b32_e64 v7, v7, 0, vcc
	s_waitcnt lgkmcnt(0)
	v_cndmask_b32_e64 v6, v6, 0, vcc
	v_cmp_gt_u32_e32 vcc, 48, v60
	v_add_u32_e32 v3, v3, v7
	;; [unrolled: 16-line block ×3, first 2 shown]
	v_cndmask_b32_e64 v7, 0, 1, vcc
	v_lshlrev_b32_e32 v7, 5, v7
	v_add_lshl_u32 v70, v7, v53, 2
	ds_bpermute_b32 v7, v70, v3
	v_add_u32_e32 v2, v2, v6
	ds_bpermute_b32 v6, v70, v2
	v_add_u32_e32 v71, 32, v60
	v_cmp_eq_u32_e32 vcc, 0, v2
	s_waitcnt lgkmcnt(1)
	v_cndmask_b32_e32 v7, 0, v7, vcc
	v_cmp_gt_u32_e32 vcc, v71, v5
	v_cndmask_b32_e64 v5, v7, 0, vcc
	v_add_u32_e32 v3, v5, v3
	s_waitcnt lgkmcnt(0)
	v_cndmask_b32_e64 v5, v6, 0, vcc
	v_add_u32_e32 v2, v5, v2
	v_mov_b32_e32 v53, 0
	s_branch .LBB365_134
.LBB365_133:                            ;   in Loop: Header=BB365_134 Depth=1
	s_or_b64 exec, exec, s[30:31]
	v_cmp_eq_u16_sdwa s[30:31], v4, v59 src0_sel:BYTE_0 src1_sel:DWORD
	v_and_b32_e32 v5, s31, v55
	v_or_b32_e32 v5, 0x80000000, v5
	v_and_b32_e32 v56, s30, v54
	v_ffbl_b32_e32 v5, v5
	v_add_u32_e32 v5, 32, v5
	v_ffbl_b32_e32 v56, v56
	v_min_u32_e32 v5, v56, v5
	ds_bpermute_b32 v56, v61, v3
	v_cmp_eq_u32_e32 vcc, 0, v2
	v_cmp_lt_u32_e64 s[30:31], v60, v5
	ds_bpermute_b32 v57, v61, v2
	s_and_b64 vcc, s[30:31], vcc
	s_waitcnt lgkmcnt(1)
	v_cndmask_b32_e32 v56, 0, v56, vcc
	v_add_u32_e32 v3, v56, v3
	ds_bpermute_b32 v56, v62, v3
	s_waitcnt lgkmcnt(1)
	v_cndmask_b32_e64 v57, 0, v57, s[30:31]
	v_add_u32_e32 v2, v57, v2
	v_cmp_eq_u32_e32 vcc, 0, v2
	ds_bpermute_b32 v57, v62, v2
	s_waitcnt lgkmcnt(1)
	v_cndmask_b32_e32 v56, 0, v56, vcc
	v_cmp_gt_u32_e32 vcc, v63, v5
	v_cndmask_b32_e64 v56, v56, 0, vcc
	v_add_u32_e32 v3, v56, v3
	ds_bpermute_b32 v56, v64, v3
	s_waitcnt lgkmcnt(1)
	v_cndmask_b32_e64 v57, v57, 0, vcc
	v_add_u32_e32 v2, v2, v57
	v_cmp_eq_u32_e32 vcc, 0, v2
	ds_bpermute_b32 v57, v64, v2
	s_waitcnt lgkmcnt(1)
	v_cndmask_b32_e32 v56, 0, v56, vcc
	v_cmp_gt_u32_e32 vcc, v65, v5
	v_cndmask_b32_e64 v56, v56, 0, vcc
	v_add_u32_e32 v3, v3, v56
	ds_bpermute_b32 v56, v66, v3
	s_waitcnt lgkmcnt(1)
	v_cndmask_b32_e64 v57, v57, 0, vcc
	v_add_u32_e32 v2, v2, v57
	ds_bpermute_b32 v57, v66, v2
	v_cmp_eq_u32_e32 vcc, 0, v2
	s_waitcnt lgkmcnt(1)
	v_cndmask_b32_e32 v56, 0, v56, vcc
	v_cmp_gt_u32_e32 vcc, v67, v5
	v_cndmask_b32_e64 v56, v56, 0, vcc
	v_add_u32_e32 v3, v3, v56
	ds_bpermute_b32 v56, v68, v3
	s_waitcnt lgkmcnt(1)
	v_cndmask_b32_e64 v57, v57, 0, vcc
	v_add_u32_e32 v2, v2, v57
	ds_bpermute_b32 v57, v68, v2
	v_cmp_eq_u32_e32 vcc, 0, v2
	;; [unrolled: 11-line block ×3, first 2 shown]
	s_waitcnt lgkmcnt(1)
	v_cndmask_b32_e32 v56, 0, v56, vcc
	v_cmp_gt_u32_e32 vcc, v71, v5
	v_cndmask_b32_e64 v5, v56, 0, vcc
	v_add_u32_e32 v3, v5, v3
	s_waitcnt lgkmcnt(0)
	v_cndmask_b32_e64 v5, v57, 0, vcc
	v_cmp_eq_u32_e32 vcc, 0, v6
	v_cndmask_b32_e32 v3, 0, v3, vcc
	v_subrev_u32_e32 v52, 64, v52
	v_add3_u32 v2, v2, v6, v5
	v_add_u32_e32 v3, v3, v7
.LBB365_134:                            ; =>This Loop Header: Depth=1
                                        ;     Child Loop BB365_137 Depth 2
                                        ;       Child Loop BB365_138 Depth 3
	v_cmp_ne_u16_sdwa s[30:31], v4, v59 src0_sel:BYTE_0 src1_sel:DWORD
	v_mov_b32_e32 v7, v3
	v_cndmask_b32_e64 v3, 0, 1, s[30:31]
	;;#ASMSTART
	;;#ASMEND
	v_cmp_ne_u32_e32 vcc, 0, v3
	s_cmp_lg_u64 vcc, exec
	v_mov_b32_e32 v6, v2
	s_cbranch_scc1 .LBB365_141
; %bb.135:                              ;   in Loop: Header=BB365_134 Depth=1
	v_lshlrev_b64 v[2:3], 4, v[52:53]
	v_mov_b32_e32 v4, s45
	v_add_co_u32_e32 v56, vcc, s44, v2
	v_addc_co_u32_e32 v57, vcc, v4, v3, vcc
	;;#ASMSTART
	global_load_dwordx4 v[2:5], v[56:57] off glc	
s_waitcnt vmcnt(0)
	;;#ASMEND
	v_and_b32_e32 v5, 0xff, v3
	v_and_b32_e32 v72, 0xff00, v3
	v_and_b32_e32 v73, 0xff0000, v3
	v_or3_b32 v5, 0, v5, v72
	v_or3_b32 v2, v2, 0, 0
	v_and_b32_e32 v3, 0xff000000, v3
	v_or3_b32 v3, v5, v73, v3
	v_or3_b32 v2, v2, 0, 0
	v_cmp_eq_u16_sdwa s[46:47], v4, v53 src0_sel:BYTE_0 src1_sel:DWORD
	s_and_saveexec_b64 s[30:31], s[46:47]
	s_cbranch_execz .LBB365_133
; %bb.136:                              ;   in Loop: Header=BB365_134 Depth=1
	s_mov_b32 s50, 1
	s_mov_b64 s[46:47], 0
.LBB365_137:                            ;   Parent Loop BB365_134 Depth=1
                                        ; =>  This Loop Header: Depth=2
                                        ;       Child Loop BB365_138 Depth 3
	s_max_u32 s51, s50, 1
.LBB365_138:                            ;   Parent Loop BB365_134 Depth=1
                                        ;     Parent Loop BB365_137 Depth=2
                                        ; =>    This Inner Loop Header: Depth=3
	s_add_i32 s51, s51, -1
	s_cmp_eq_u32 s51, 0
	s_sleep 1
	s_cbranch_scc0 .LBB365_138
; %bb.139:                              ;   in Loop: Header=BB365_137 Depth=2
	s_cmp_lt_u32 s50, 32
	s_cselect_b64 s[56:57], -1, 0
	s_cmp_lg_u64 s[56:57], 0
	s_addc_u32 s50, s50, 0
	;;#ASMSTART
	global_load_dwordx4 v[2:5], v[56:57] off glc	
s_waitcnt vmcnt(0)
	;;#ASMEND
	v_cmp_ne_u16_sdwa s[56:57], v4, v53 src0_sel:BYTE_0 src1_sel:DWORD
	s_or_b64 s[46:47], s[56:57], s[46:47]
	s_andn2_b64 exec, exec, s[46:47]
	s_cbranch_execnz .LBB365_137
; %bb.140:                              ;   in Loop: Header=BB365_134 Depth=1
	s_or_b64 exec, exec, s[46:47]
	s_branch .LBB365_133
.LBB365_141:                            ;   in Loop: Header=BB365_134 Depth=1
                                        ; implicit-def: $vgpr3
                                        ; implicit-def: $vgpr2
                                        ; implicit-def: $vgpr4
	s_cbranch_execz .LBB365_134
; %bb.142:
	s_and_saveexec_b64 s[30:31], s[28:29]
	s_cbranch_execz .LBB365_144
; %bb.143:
	s_cmp_eq_u32 s48, 0
	s_cselect_b64 vcc, -1, 0
	s_mov_b32 s47, 0
	v_cndmask_b32_e32 v2, 0, v7, vcc
	s_add_i32 s46, s62, 64
	v_add_u32_e32 v2, s49, v2
	s_lshl_b64 s[46:47], s[46:47], 4
	s_add_u32 s46, s44, s46
	v_and_b32_e32 v3, 0xff000000, v2
	v_and_b32_e32 v4, 0xff0000, v2
	s_addc_u32 s47, s45, s47
	v_or_b32_e32 v3, v4, v3
	v_and_b32_e32 v4, 0xff00, v2
	v_and_b32_e32 v2, 0xff, v2
	v_add_u32_e32 v52, s48, v6
	v_mov_b32_e32 v55, 0
	v_or3_b32 v53, v3, v4, v2
	v_mov_b32_e32 v54, 2
	v_pk_mov_b32 v[2:3], s[46:47], s[46:47] op_sel:[0,1]
	;;#ASMSTART
	global_store_dwordx4 v[2:3], v[52:55] off	
s_waitcnt vmcnt(0)
	;;#ASMEND
	v_mov_b32_e32 v4, s48
	v_mov_b32_e32 v5, s49
	ds_write_b128 v55, v[4:7] offset:2048
.LBB365_144:
	s_or_b64 exec, exec, s[30:31]
	s_and_b64 exec, exec, s[0:1]
	s_cbranch_execz .LBB365_146
; %bb.145:
	v_mov_b32_e32 v2, 0
	ds_write_b64 v2, v[6:7] offset:2088
.LBB365_146:
	s_or_b64 exec, exec, s[40:41]
	v_mov_b32_e32 v4, 0
	s_waitcnt lgkmcnt(0)
	s_barrier
	ds_read_b64 v[2:3], v4 offset:2088
	v_cndmask_b32_e64 v6, v34, v50, s[28:29]
	v_cmp_eq_u32_e32 vcc, 0, v6
	v_cndmask_b32_e64 v5, v58, v51, s[28:29]
	s_waitcnt lgkmcnt(0)
	v_cndmask_b32_e32 v7, 0, v3, vcc
	v_add_u32_e32 v5, v7, v5
	v_cndmask_b32_e64 v79, v5, v3, s[0:1]
	v_cndmask_b32_e64 v3, v6, 0, s[0:1]
	v_cmp_eq_u32_e32 vcc, 0, v82
	v_add_u32_e32 v78, v2, v3
	v_cndmask_b32_e32 v2, 0, v79, vcc
	v_add_u32_e32 v77, v2, v46
	v_cndmask_b32_e64 v2, 0, v77, s[26:27]
	v_add_u32_e32 v75, v2, v48
	v_cndmask_b32_e64 v2, 0, v75, s[24:25]
	;; [unrolled: 2-line block ×8, first 2 shown]
	v_add_u32_e32 v76, v78, v82
	v_add_u32_e32 v61, v2, v38
	v_add_u32_e32 v74, v76, v35
	v_cndmask_b32_e64 v2, 0, v61, s[10:11]
	v_add_u32_e32 v72, v74, v32
	v_add_u32_e32 v59, v2, v40
	v_add_u32_e32 v70, v72, v33
	v_cndmask_b32_e64 v2, 0, v59, s[8:9]
	;; [unrolled: 4-line block ×3, first 2 shown]
	v_add_u32_e32 v64, v66, v28
	v_add_u32_e32 v55, v2, v41
	s_barrier
	ds_read_b128 v[2:5], v4 offset:2048
	v_add_u32_e32 v62, v64, v29
	v_add_u32_e32 v60, v62, v26
	;; [unrolled: 1-line block ×4, first 2 shown]
	v_cndmask_b32_e64 v6, 0, v55, s[4:5]
	v_add_u32_e32 v54, v56, v25
	v_add_u32_e32 v53, v6, v36
	s_waitcnt lgkmcnt(0)
	v_cmp_eq_u32_e32 vcc, 0, v2
	v_add_u32_e32 v52, v54, v22
	v_cndmask_b32_e64 v6, 0, v53, s[2:3]
	v_cndmask_b32_e32 v5, 0, v5, vcc
	v_add_u32_e32 v50, v52, v23
	v_add_u32_e32 v51, v6, v81
	v_add_u32_e32 v34, v5, v3
	s_branch .LBB365_159
.LBB365_147:
                                        ; implicit-def: $vgpr2
                                        ; implicit-def: $vgpr34
                                        ; implicit-def: $vgpr78_vgpr79
                                        ; implicit-def: $vgpr76_vgpr77
                                        ; implicit-def: $vgpr74_vgpr75
                                        ; implicit-def: $vgpr72_vgpr73
                                        ; implicit-def: $vgpr70_vgpr71
                                        ; implicit-def: $vgpr68_vgpr69
                                        ; implicit-def: $vgpr66_vgpr67
                                        ; implicit-def: $vgpr64_vgpr65
                                        ; implicit-def: $vgpr62_vgpr63
                                        ; implicit-def: $vgpr60_vgpr61
                                        ; implicit-def: $vgpr58_vgpr59
                                        ; implicit-def: $vgpr56_vgpr57
                                        ; implicit-def: $vgpr54_vgpr55
                                        ; implicit-def: $vgpr52_vgpr53
                                        ; implicit-def: $vgpr50_vgpr51
	s_cbranch_execz .LBB365_159
; %bb.148:
	s_and_b64 s[2:3], s[34:35], exec
	s_cselect_b32 s3, 0, s61
	s_cselect_b32 s2, 0, s60
	s_cmp_eq_u64 s[2:3], 0
	v_mov_b32_e32 v6, v46
	s_cbranch_scc1 .LBB365_150
; %bb.149:
	v_mov_b32_e32 v2, 0
	global_load_dword v6, v2, s[2:3]
.LBB365_150:
	v_cmp_eq_u32_e64 s[2:3], 0, v35
	v_cndmask_b32_e64 v2, 0, v46, s[2:3]
	v_add_u32_e32 v2, v2, v48
	v_cmp_eq_u32_e64 s[4:5], 0, v32
	v_cndmask_b32_e64 v2, 0, v2, s[4:5]
	v_add_u32_e32 v2, v2, v47
	;; [unrolled: 3-line block ×11, first 2 shown]
	v_cmp_eq_u32_e64 s[24:25], 0, v22
	v_cndmask_b32_e64 v2, 0, v2, s[24:25]
	v_add3_u32 v3, v86, v31, v28
	v_add_u32_e32 v2, v2, v36
	v_cmp_eq_u32_e32 vcc, 0, v23
	v_add3_u32 v3, v3, v29, v26
	v_cndmask_b32_e32 v2, 0, v2, vcc
	v_add3_u32 v3, v3, v27, v24
	v_add_u32_e32 v2, v2, v81
	v_cmp_eq_u32_e64 s[26:27], 0, v80
	v_add3_u32 v3, v3, v25, v22
	v_cndmask_b32_e64 v2, 0, v2, s[26:27]
	v_add3_u32 v3, v3, v23, v80
	v_add_u32_e32 v2, v2, v37
	v_mbcnt_hi_u32_b32 v7, -1, v85
	s_waitcnt vmcnt(0) lgkmcnt(0)
	v_and_b32_e32 v4, 15, v7
	v_mov_b32_dpp v34, v2 row_shr:1 row_mask:0xf bank_mask:0xf
	v_cmp_eq_u32_e64 s[26:27], 0, v3
	v_mov_b32_dpp v5, v3 row_shr:1 row_mask:0xf bank_mask:0xf
	v_cndmask_b32_e64 v34, 0, v34, s[26:27]
	v_cmp_eq_u32_e64 s[26:27], 0, v4
	v_cndmask_b32_e64 v5, v5, 0, s[26:27]
	v_add_u32_e32 v3, v5, v3
	v_cndmask_b32_e64 v5, v34, 0, s[26:27]
	v_add_u32_e32 v2, v5, v2
	v_cmp_eq_u32_e64 s[26:27], 0, v3
	v_mov_b32_dpp v5, v3 row_shr:2 row_mask:0xf bank_mask:0xf
	v_cmp_lt_u32_e64 s[28:29], 1, v4
	v_mov_b32_dpp v34, v2 row_shr:2 row_mask:0xf bank_mask:0xf
	v_cndmask_b32_e64 v5, 0, v5, s[28:29]
	s_and_b64 s[26:27], s[28:29], s[26:27]
	v_cndmask_b32_e64 v34, 0, v34, s[26:27]
	v_add_u32_e32 v3, v3, v5
	v_add_u32_e32 v2, v34, v2
	v_cmp_eq_u32_e64 s[26:27], 0, v3
	v_mov_b32_dpp v5, v3 row_shr:4 row_mask:0xf bank_mask:0xf
	v_cmp_lt_u32_e64 s[28:29], 3, v4
	v_mov_b32_dpp v34, v2 row_shr:4 row_mask:0xf bank_mask:0xf
	v_cndmask_b32_e64 v5, 0, v5, s[28:29]
	s_and_b64 s[26:27], s[28:29], s[26:27]
	v_cndmask_b32_e64 v34, 0, v34, s[26:27]
	v_add_u32_e32 v3, v5, v3
	v_add_u32_e32 v2, v2, v34
	v_cmp_eq_u32_e64 s[26:27], 0, v3
	v_cmp_lt_u32_e64 s[28:29], 7, v4
	v_mov_b32_dpp v5, v3 row_shr:8 row_mask:0xf bank_mask:0xf
	v_mov_b32_dpp v34, v2 row_shr:8 row_mask:0xf bank_mask:0xf
	s_and_b64 s[26:27], s[28:29], s[26:27]
	v_cndmask_b32_e64 v4, 0, v5, s[28:29]
	v_cndmask_b32_e64 v5, 0, v34, s[26:27]
	v_add_u32_e32 v2, v5, v2
	v_add_u32_e32 v3, v4, v3
	v_bfe_i32 v34, v7, 4, 1
	v_mov_b32_dpp v5, v2 row_bcast:15 row_mask:0xf bank_mask:0xf
	v_mov_b32_dpp v4, v3 row_bcast:15 row_mask:0xf bank_mask:0xf
	v_cmp_eq_u32_e64 s[26:27], 0, v3
	v_cndmask_b32_e64 v5, 0, v5, s[26:27]
	v_and_b32_e32 v4, v34, v4
	v_add_u32_e32 v3, v4, v3
	v_and_b32_e32 v4, v34, v5
	v_add_u32_e32 v4, v4, v2
	v_mov_b32_dpp v2, v3 row_bcast:31 row_mask:0xf bank_mask:0xf
	v_cmp_eq_u32_e64 s[26:27], 0, v3
	v_cmp_lt_u32_e64 s[28:29], 31, v7
	v_mov_b32_dpp v5, v4 row_bcast:31 row_mask:0xf bank_mask:0xf
	v_cndmask_b32_e64 v2, 0, v2, s[28:29]
	s_and_b64 s[26:27], s[28:29], s[26:27]
	v_add_u32_e32 v2, v2, v3
	v_cndmask_b32_e64 v3, 0, v5, s[26:27]
	v_add_u32_e32 v3, v3, v4
	v_cmp_eq_u32_e64 s[26:27], v84, v0
	s_and_saveexec_b64 s[28:29], s[26:27]
	s_cbranch_execz .LBB365_152
; %bb.151:
	v_lshlrev_b32_e32 v4, 3, v83
	ds_write_b64 v4, v[2:3] offset:2064
.LBB365_152:
	s_or_b64 exec, exec, s[28:29]
	v_cmp_gt_u32_e64 s[26:27], 4, v0
	s_waitcnt lgkmcnt(0)
	s_barrier
	s_and_saveexec_b64 s[30:31], s[26:27]
	s_cbranch_execz .LBB365_154
; %bb.153:
	v_lshlrev_b32_e32 v34, 3, v0
	ds_read_b64 v[4:5], v34 offset:2064
	v_and_b32_e32 v37, 3, v7
	v_cmp_lt_u32_e64 s[28:29], 1, v37
	s_waitcnt lgkmcnt(0)
	v_mov_b32_dpp v51, v5 row_shr:1 row_mask:0xf bank_mask:0xf
	v_cmp_eq_u32_e64 s[26:27], 0, v4
	v_mov_b32_dpp v50, v4 row_shr:1 row_mask:0xf bank_mask:0xf
	v_cndmask_b32_e64 v51, 0, v51, s[26:27]
	v_cmp_eq_u32_e64 s[26:27], 0, v37
	v_cndmask_b32_e64 v50, v50, 0, s[26:27]
	v_add_u32_e32 v4, v50, v4
	v_cndmask_b32_e64 v50, v51, 0, s[26:27]
	v_add_u32_e32 v5, v50, v5
	v_cmp_eq_u32_e64 s[26:27], 0, v4
	v_mov_b32_dpp v50, v4 row_shr:2 row_mask:0xf bank_mask:0xf
	v_mov_b32_dpp v51, v5 row_shr:2 row_mask:0xf bank_mask:0xf
	v_cndmask_b32_e64 v37, 0, v50, s[28:29]
	s_and_b64 s[26:27], s[28:29], s[26:27]
	v_add_u32_e32 v4, v37, v4
	v_cndmask_b32_e64 v37, 0, v51, s[26:27]
	v_add_u32_e32 v5, v37, v5
	ds_write_b64 v34, v[4:5] offset:2064
.LBB365_154:
	s_or_b64 exec, exec, s[30:31]
	v_cmp_lt_u32_e64 s[26:27], 63, v0
	v_mov_b32_e32 v34, 0
	v_mov_b32_e32 v4, 0
	;; [unrolled: 1-line block ×3, first 2 shown]
	s_waitcnt lgkmcnt(0)
	s_barrier
	s_and_saveexec_b64 s[28:29], s[26:27]
	s_cbranch_execz .LBB365_156
; %bb.155:
	v_lshlrev_b32_e32 v4, 3, v83
	ds_read_b64 v[4:5], v4 offset:2056
	s_waitcnt lgkmcnt(0)
	v_cmp_eq_u32_e64 s[26:27], 0, v4
	v_cndmask_b32_e64 v37, 0, v6, s[26:27]
	v_add_u32_e32 v5, v37, v5
.LBB365_156:
	s_or_b64 exec, exec, s[28:29]
	v_cmp_eq_u32_e64 s[26:27], 0, v2
	v_add_u32_e32 v37, v4, v2
	v_cndmask_b32_e64 v2, 0, v5, s[26:27]
	v_add_u32_e32 v2, v2, v3
	v_add_u32_e32 v3, -1, v7
	v_and_b32_e32 v50, 64, v7
	v_cmp_lt_i32_e64 s[26:27], v3, v50
	v_cndmask_b32_e64 v3, v3, v7, s[26:27]
	v_lshlrev_b32_e32 v3, 2, v3
	ds_bpermute_b32 v2, v3, v2
	ds_bpermute_b32 v37, v3, v37
	v_cmp_eq_u32_e64 s[26:27], 0, v7
	s_waitcnt lgkmcnt(1)
	v_cndmask_b32_e64 v2, v2, v5, s[26:27]
	s_waitcnt lgkmcnt(0)
	v_cndmask_b32_e64 v3, v37, v4, s[26:27]
	v_cndmask_b32_e64 v79, v2, v6, s[0:1]
	v_cmp_eq_u32_e64 s[26:27], 0, v82
	v_cndmask_b32_e64 v2, 0, v79, s[26:27]
	v_add_u32_e32 v77, v2, v46
	v_cndmask_b32_e64 v2, 0, v77, s[2:3]
	v_add_u32_e32 v75, v2, v48
	;; [unrolled: 2-line block ×8, first 2 shown]
	v_cndmask_b32_e64 v78, v3, 0, s[0:1]
	v_cndmask_b32_e64 v2, 0, v63, s[16:17]
	v_add_u32_e32 v76, v78, v82
	v_add_u32_e32 v61, v2, v38
	v_add_u32_e32 v74, v76, v35
	v_cndmask_b32_e64 v2, 0, v61, s[18:19]
	v_add_u32_e32 v72, v74, v32
	v_add_u32_e32 v59, v2, v40
	v_add_u32_e32 v70, v72, v33
	;; [unrolled: 4-line block ×3, first 2 shown]
	v_cndmask_b32_e64 v2, 0, v57, s[22:23]
	v_add_u32_e32 v64, v66, v28
	v_add_u32_e32 v55, v2, v41
	ds_read_b64 v[2:3], v34 offset:2088
	v_add_u32_e32 v62, v64, v29
	v_add_u32_e32 v60, v62, v26
	;; [unrolled: 1-line block ×3, first 2 shown]
	v_cndmask_b32_e64 v4, 0, v55, s[24:25]
	v_add_u32_e32 v56, v58, v24
	v_add_u32_e32 v53, v4, v36
	;; [unrolled: 1-line block ×3, first 2 shown]
	v_cndmask_b32_e32 v4, 0, v53, vcc
	s_waitcnt lgkmcnt(0)
	v_cmp_eq_u32_e32 vcc, 0, v2
	v_add_u32_e32 v52, v54, v22
	v_add_u32_e32 v51, v4, v81
	v_cndmask_b32_e32 v4, 0, v6, vcc
	v_add_u32_e32 v50, v52, v23
	v_add_u32_e32 v34, v4, v3
	s_and_saveexec_b64 s[2:3], s[0:1]
	s_cbranch_execz .LBB365_158
; %bb.157:
	s_add_u32 s4, s44, 0x400
	v_and_b32_e32 v3, 0xff000000, v34
	v_and_b32_e32 v4, 0xff0000, v34
	s_addc_u32 s5, s45, 0
	v_or_b32_e32 v3, v4, v3
	v_and_b32_e32 v4, 0xff00, v34
	v_and_b32_e32 v6, 0xff, v34
	v_mov_b32_e32 v5, 0
	v_or3_b32 v3, v3, v4, v6
	v_mov_b32_e32 v4, 2
	v_pk_mov_b32 v[6:7], s[4:5], s[4:5] op_sel:[0,1]
	;;#ASMSTART
	global_store_dwordx4 v[6:7], v[2:5] off	
s_waitcnt vmcnt(0)
	;;#ASMEND
.LBB365_158:
	s_or_b64 exec, exec, s[2:3]
	v_mov_b32_e32 v4, 0
.LBB365_159:
	s_and_b64 s[2:3], s[34:35], exec
	s_cselect_b32 s3, 0, s59
	s_cselect_b32 s2, 0, s58
	s_cmp_eq_u64 s[2:3], 0
	v_pk_mov_b32 v[6:7], 0, 0
	s_waitcnt lgkmcnt(0)
	s_barrier
	s_cbranch_scc1 .LBB365_161
; %bb.160:
	v_mov_b32_e32 v3, 0
	global_load_dwordx2 v[6:7], v3, s[2:3]
.LBB365_161:
	s_waitcnt vmcnt(0)
	v_lshlrev_b64 v[36:37], 2, v[6:7]
	v_mov_b32_e32 v3, s43
	v_add_co_u32_e32 v40, vcc, s42, v36
	v_mov_b32_e32 v5, 0
	v_addc_co_u32_e32 v41, vcc, v3, v37, vcc
	v_lshlrev_b64 v[38:39], 2, v[4:5]
	v_add_co_u32_e32 v3, vcc, v40, v38
	v_addc_co_u32_e32 v5, vcc, v41, v39, vcc
	v_cmp_eq_u32_e32 vcc, 0, v82
	v_cndmask_b32_e64 v40, 1, 2, vcc
	v_cmp_eq_u32_e32 vcc, 0, v35
	v_cndmask_b32_e64 v41, 1, 2, vcc
	v_cmp_eq_u32_e32 vcc, 0, v32
	v_and_b32_e32 v40, v41, v40
	v_cndmask_b32_e64 v41, 1, 2, vcc
	v_cmp_eq_u32_e32 vcc, 0, v33
	v_and_b32_e32 v40, v40, v41
	;; [unrolled: 3-line block ×13, first 2 shown]
	v_cndmask_b32_e64 v41, 1, 2, vcc
	s_movk_i32 s34, 0x100
	v_and_b32_e32 v40, v40, v41
	v_cmp_gt_u32_e32 vcc, s34, v2
	v_cmp_ne_u32_e64 s[30:31], 0, v82
	v_cmp_ne_u32_e64 s[28:29], 0, v35
	v_cmp_ne_u32_e64 s[26:27], 0, v32
	v_cmp_ne_u32_e64 s[24:25], 0, v33
	v_cmp_ne_u32_e64 s[22:23], 0, v30
	v_cmp_ne_u32_e64 s[20:21], 0, v31
	v_cmp_ne_u32_e64 s[18:19], 0, v28
	v_cmp_ne_u32_e64 s[16:17], 0, v29
	v_cmp_ne_u32_e64 s[14:15], 0, v26
	v_cmp_ne_u32_e64 s[12:13], 0, v27
	v_cmp_ne_u32_e64 s[10:11], 0, v24
	v_cmp_ne_u32_e64 s[8:9], 0, v25
	v_cmp_ne_u32_e64 s[6:7], 0, v22
	v_cmp_ne_u32_e64 s[4:5], 0, v23
	v_cmp_ne_u32_e64 s[2:3], 0, v80
	s_mov_b64 s[40:41], -1
	v_cmp_gt_i16_e64 s[34:35], 2, v40
	s_cbranch_vccz .LBB365_168
; %bb.162:
	s_and_saveexec_b64 s[40:41], s[34:35]
	s_cbranch_execz .LBB365_167
; %bb.163:
	v_cmp_ne_u16_e32 vcc, 1, v40
	s_mov_b64 s[42:43], 0
	s_and_saveexec_b64 s[34:35], vcc
	s_xor_b64 s[34:35], exec, s[34:35]
	s_cbranch_execnz .LBB365_257
; %bb.164:
	s_andn2_saveexec_b64 s[34:35], s[34:35]
	s_cbranch_execnz .LBB365_273
.LBB365_165:
	s_or_b64 exec, exec, s[34:35]
	s_and_b64 exec, exec, s[42:43]
	s_cbranch_execz .LBB365_167
.LBB365_166:
	v_sub_u32_e32 v42, v50, v4
	v_mov_b32_e32 v43, 0
	v_lshlrev_b64 v[42:43], 2, v[42:43]
	v_add_co_u32_e32 v42, vcc, v3, v42
	v_addc_co_u32_e32 v43, vcc, v5, v43, vcc
	global_store_dword v[42:43], v1, off
.LBB365_167:
	s_or_b64 exec, exec, s[40:41]
	s_mov_b64 s[40:41], 0
.LBB365_168:
	s_and_b64 vcc, exec, s[40:41]
	s_cbranch_vccz .LBB365_190
; %bb.169:
	v_cmp_gt_i16_e32 vcc, 2, v40
	s_and_saveexec_b64 s[34:35], vcc
	s_cbranch_execz .LBB365_174
; %bb.170:
	v_cmp_ne_u16_e32 vcc, 1, v40
	s_mov_b64 s[42:43], 0
	s_and_saveexec_b64 s[40:41], vcc
	s_xor_b64 s[40:41], exec, s[40:41]
	s_cbranch_execnz .LBB365_274
; %bb.171:
	s_andn2_saveexec_b64 s[2:3], s[40:41]
	s_cbranch_execnz .LBB365_290
.LBB365_172:
	s_or_b64 exec, exec, s[2:3]
	s_and_b64 exec, exec, s[42:43]
	s_cbranch_execz .LBB365_174
.LBB365_173:
	v_sub_u32_e32 v8, v50, v4
	v_lshlrev_b32_e32 v8, 2, v8
	ds_write_b32 v8, v1
.LBB365_174:
	s_or_b64 exec, exec, s[34:35]
	v_cmp_lt_u32_e32 vcc, v0, v2
	s_waitcnt lgkmcnt(0)
	s_barrier
	s_and_saveexec_b64 s[4:5], vcc
	s_cbranch_execz .LBB365_189
; %bb.175:
	v_xad_u32 v1, v0, -1, v2
	s_movk_i32 s2, 0x1700
	v_cmp_gt_u32_e64 s[6:7], s2, v1
	s_movk_i32 s2, 0x16ff
	v_cmp_lt_u32_e32 vcc, s2, v1
	v_mov_b32_e32 v8, v0
	s_and_saveexec_b64 s[8:9], vcc
	s_cbranch_execz .LBB365_186
; %bb.176:
	v_sub_u32_e32 v8, v0, v2
	v_or_b32_e32 v8, 0xff, v8
	v_cmp_ge_u32_e32 vcc, v8, v0
	s_mov_b64 s[2:3], -1
	v_mov_b32_e32 v8, v0
	s_and_saveexec_b64 s[10:11], vcc
	s_cbranch_execz .LBB365_185
; %bb.177:
	v_lshrrev_b32_e32 v12, 8, v1
	v_add_u32_e32 v8, -1, v12
	v_or_b32_e32 v1, 0x100, v0
	v_lshrrev_b32_e32 v9, 1, v8
	v_add_u32_e32 v13, 1, v9
	v_cmp_lt_u32_e32 vcc, 13, v8
	v_mov_b32_e32 v16, 0
	v_pk_mov_b32 v[8:9], v[0:1], v[0:1] op_sel:[0,1]
	s_and_saveexec_b64 s[12:13], vcc
	s_cbranch_execz .LBB365_181
; %bb.178:
	v_and_b32_e32 v14, -8, v13
	v_lshlrev_b32_e32 v15, 2, v0
	s_mov_b32 s16, 0
	s_mov_b64 s[14:15], 0
	v_mov_b32_e32 v11, 0
	v_pk_mov_b32 v[8:9], v[0:1], v[0:1] op_sel:[0,1]
.LBB365_179:                            ; =>This Inner Loop Header: Depth=1
	v_mov_b32_e32 v10, v8
	v_add_u32_e32 v14, -8, v14
	v_lshlrev_b64 v[98:99], 2, v[10:11]
	v_mov_b32_e32 v10, v9
	ds_read2st64_b32 v[18:19], v15 offset1:4
	s_add_i32 s16, s16, 16
	v_cmp_eq_u32_e32 vcc, 0, v14
	v_lshlrev_b64 v[102:103], 2, v[10:11]
	v_add_u32_e32 v10, 0x200, v8
	s_or_b64 s[14:15], vcc, s[14:15]
	v_add_co_u32_e32 v102, vcc, v3, v102
	v_add_u32_e32 v16, 0x200, v9
	v_mov_b32_e32 v17, v11
	ds_read2st64_b32 v[20:21], v15 offset0:8 offset1:12
	ds_read2st64_b32 v[42:43], v15 offset0:16 offset1:20
	v_add_co_u32_e64 v98, s[2:3], v3, v98
	v_addc_co_u32_e32 v103, vcc, v5, v103, vcc
	v_lshlrev_b64 v[104:105], 2, v[10:11]
	v_lshlrev_b64 v[100:101], 2, v[16:17]
	v_addc_co_u32_e64 v99, s[2:3], v5, v99, s[2:3]
	v_add_u32_e32 v10, 0x400, v8
	v_add_co_u32_e32 v104, vcc, v3, v104
	v_add_u32_e32 v40, 0x400, v9
	v_mov_b32_e32 v41, v11
	ds_read2st64_b32 v[46:47], v15 offset0:24 offset1:28
	v_add_co_u32_e64 v100, s[2:3], v3, v100
	v_addc_co_u32_e32 v105, vcc, v5, v105, vcc
	v_lshlrev_b64 v[106:107], 2, v[10:11]
	ds_read2st64_b32 v[84:85], v15 offset0:32 offset1:36
	ds_read2st64_b32 v[88:89], v15 offset0:40 offset1:44
	;; [unrolled: 1-line block ×4, first 2 shown]
	v_lshlrev_b64 v[40:41], 2, v[40:41]
	v_addc_co_u32_e64 v101, s[2:3], v5, v101, s[2:3]
	v_add_u32_e32 v10, 0x600, v8
	s_waitcnt lgkmcnt(7)
	global_store_dword v[98:99], v18, off
	global_store_dword v[102:103], v19, off
	s_waitcnt lgkmcnt(6)
	global_store_dword v[104:105], v20, off
	global_store_dword v[100:101], v21, off
	v_add_co_u32_e32 v18, vcc, v3, v106
	v_add_u32_e32 v44, 0x600, v9
	v_mov_b32_e32 v45, v11
	v_add_co_u32_e64 v40, s[2:3], v3, v40
	v_addc_co_u32_e32 v19, vcc, v5, v107, vcc
	v_lshlrev_b64 v[20:21], 2, v[10:11]
	v_lshlrev_b64 v[44:45], 2, v[44:45]
	v_addc_co_u32_e64 v41, s[2:3], v5, v41, s[2:3]
	v_add_u32_e32 v10, 0x800, v8
	s_waitcnt lgkmcnt(5)
	global_store_dword v[18:19], v42, off
	global_store_dword v[40:41], v43, off
	v_add_co_u32_e32 v18, vcc, v3, v20
	v_add_u32_e32 v48, 0x800, v9
	v_mov_b32_e32 v49, v11
	v_add_co_u32_e64 v44, s[2:3], v3, v44
	v_addc_co_u32_e32 v19, vcc, v5, v21, vcc
	v_lshlrev_b64 v[20:21], 2, v[10:11]
	v_lshlrev_b64 v[48:49], 2, v[48:49]
	v_addc_co_u32_e64 v45, s[2:3], v5, v45, s[2:3]
	v_add_u32_e32 v10, 0xa00, v8
	;; [unrolled: 12-line block ×4, first 2 shown]
	s_waitcnt lgkmcnt(2)
	global_store_dword v[18:19], v88, off
	global_store_dword v[86:87], v89, off
	v_add_co_u32_e32 v18, vcc, v3, v20
	v_add_u32_e32 v94, 0xe00, v9
	v_mov_b32_e32 v95, v11
	v_add_co_u32_e64 v90, s[2:3], v3, v90
	v_addc_co_u32_e32 v19, vcc, v5, v21, vcc
	v_lshlrev_b64 v[20:21], 2, v[10:11]
	v_lshlrev_b64 v[94:95], 2, v[94:95]
	v_addc_co_u32_e64 v91, s[2:3], v5, v91, s[2:3]
	s_waitcnt lgkmcnt(1)
	global_store_dword v[18:19], v92, off
	global_store_dword v[90:91], v93, off
	v_add_co_u32_e32 v18, vcc, v3, v20
	v_add_u32_e32 v15, 0x4000, v15
	v_add_u32_e32 v9, 0x1000, v9
	v_mov_b32_e32 v16, s16
	v_add_co_u32_e64 v94, s[2:3], v3, v94
	v_add_u32_e32 v8, 0x1000, v8
	v_addc_co_u32_e32 v19, vcc, v5, v21, vcc
	v_addc_co_u32_e64 v95, s[2:3], v5, v95, s[2:3]
	s_waitcnt lgkmcnt(0)
	global_store_dword v[18:19], v96, off
	global_store_dword v[94:95], v97, off
	s_andn2_b64 exec, exec, s[14:15]
	s_cbranch_execnz .LBB365_179
; %bb.180:
	s_or_b64 exec, exec, s[14:15]
.LBB365_181:
	s_or_b64 exec, exec, s[12:13]
	v_and_b32_e32 v1, 7, v13
	v_cmp_ne_u32_e32 vcc, 0, v1
	s_and_saveexec_b64 s[12:13], vcc
	s_cbranch_execz .LBB365_184
; %bb.182:
	v_lshlrev_b32_e32 v10, 2, v0
	v_lshl_or_b32 v13, v16, 10, v10
	s_mov_b64 s[14:15], 0
	v_mov_b32_e32 v11, 0
.LBB365_183:                            ; =>This Inner Loop Header: Depth=1
	ds_read2st64_b32 v[14:15], v13 offset1:4
	v_mov_b32_e32 v10, v8
	v_add_u32_e32 v1, -1, v1
	v_lshlrev_b64 v[16:17], 2, v[10:11]
	v_mov_b32_e32 v10, v9
	v_cmp_eq_u32_e32 vcc, 0, v1
	v_add_co_u32_e64 v16, s[2:3], v3, v16
	v_lshlrev_b64 v[18:19], 2, v[10:11]
	v_add_u32_e32 v8, 0x200, v8
	v_add_u32_e32 v13, 0x800, v13
	;; [unrolled: 1-line block ×3, first 2 shown]
	v_addc_co_u32_e64 v17, s[2:3], v5, v17, s[2:3]
	s_or_b64 s[14:15], vcc, s[14:15]
	v_add_co_u32_e32 v18, vcc, v3, v18
	v_addc_co_u32_e32 v19, vcc, v5, v19, vcc
	s_waitcnt lgkmcnt(0)
	global_store_dword v[16:17], v14, off
	global_store_dword v[18:19], v15, off
	s_andn2_b64 exec, exec, s[14:15]
	s_cbranch_execnz .LBB365_183
.LBB365_184:
	s_or_b64 exec, exec, s[12:13]
	v_add_u32_e32 v1, 1, v12
	v_and_b32_e32 v9, 0x1fffffe, v1
	v_cmp_ne_u32_e32 vcc, v1, v9
	v_lshl_or_b32 v8, v9, 8, v0
	s_orn2_b64 s[2:3], vcc, exec
.LBB365_185:
	s_or_b64 exec, exec, s[10:11]
	s_andn2_b64 s[6:7], s[6:7], exec
	s_and_b64 s[2:3], s[2:3], exec
	s_or_b64 s[6:7], s[6:7], s[2:3]
.LBB365_186:
	s_or_b64 exec, exec, s[8:9]
	s_and_b64 exec, exec, s[6:7]
	s_cbranch_execz .LBB365_189
; %bb.187:
	v_lshlrev_b32_e32 v1, 2, v8
	s_mov_b64 s[2:3], 0
	v_mov_b32_e32 v9, 0
.LBB365_188:                            ; =>This Inner Loop Header: Depth=1
	v_lshlrev_b64 v[10:11], 2, v[8:9]
	ds_read_b32 v12, v1
	v_add_co_u32_e32 v10, vcc, v3, v10
	v_add_u32_e32 v8, 0x100, v8
	v_addc_co_u32_e32 v11, vcc, v5, v11, vcc
	v_cmp_ge_u32_e32 vcc, v8, v2
	v_add_u32_e32 v1, 0x400, v1
	s_or_b64 s[2:3], vcc, s[2:3]
	s_waitcnt lgkmcnt(0)
	global_store_dword v[10:11], v12, off
	s_andn2_b64 exec, exec, s[2:3]
	s_cbranch_execnz .LBB365_188
.LBB365_189:
	s_or_b64 exec, exec, s[4:5]
.LBB365_190:
	s_cmpk_lg_i32 s33, 0xf00
	s_cselect_b64 s[2:3], -1, 0
	s_and_b64 s[0:1], s[0:1], s[38:39]
	v_cndmask_b32_e64 v5, v82, 0, s[0:1]
	s_mul_hi_u32 s0, s33, 0x88888889
	s_lshr_b32 s0, s0, 3
	v_mad_i32_i24 v9, v0, -15, s33
	v_cmp_eq_u32_e32 vcc, s0, v0
	v_cmp_ne_u32_e64 s[0:1], 0, v9
	v_cndmask_b32_e64 v10, 1, v5, s[0:1]
	v_cmp_ne_u32_e64 s[0:1], 1, v9
	v_cndmask_b32_e64 v11, 1, v35, s[0:1]
	;; [unrolled: 2-line block ×15, first 2 shown]
	s_and_b64 vcc, vcc, s[36:37]
	v_cndmask_b32_e32 v42, v80, v9, vcc
	v_cndmask_b32_e32 v23, v23, v41, vcc
	;; [unrolled: 1-line block ×15, first 2 shown]
	v_mov_b32_e32 v5, s53
	v_add_co_u32_e32 v9, vcc, s52, v36
	v_addc_co_u32_e32 v12, vcc, v5, v37, vcc
	v_cndmask_b32_e64 v1, 0, 1, s[38:39]
	v_add_co_u32_e32 v5, vcc, v9, v38
	v_addc_co_u32_e32 v12, vcc, v12, v39, vcc
	v_lshlrev_b32_e32 v9, 2, v1
	v_add_co_u32_e32 v9, vcc, v9, v5
	v_addc_co_u32_e32 v14, vcc, 0, v12, vcc
	v_add_co_u32_e32 v13, vcc, -4, v9
	v_addc_co_u32_e32 v14, vcc, -1, v14, vcc
	v_cmp_eq_u32_e32 vcc, 0, v10
	v_cmp_ne_u32_e64 s[28:29], 0, v10
	v_cndmask_b32_e64 v10, 1, 2, vcc
	v_cmp_eq_u32_e32 vcc, 0, v11
	v_cmp_ne_u32_e64 s[26:27], 0, v11
	v_cndmask_b32_e64 v11, 1, 2, vcc
	v_cmp_eq_u32_e32 vcc, 0, v26
	v_and_b32_e32 v10, v11, v10
	v_cndmask_b32_e64 v11, 1, 2, vcc
	v_cmp_eq_u32_e32 vcc, 0, v25
	v_and_b32_e32 v10, v10, v11
	;; [unrolled: 3-line block ×10, first 2 shown]
	v_cndmask_b32_e64 v11, 1, 2, vcc
	v_cmp_eq_u32_e32 vcc, 0, v22
	s_and_b64 s[2:3], s[2:3], s[36:37]
	v_and_b32_e32 v10, v10, v11
	v_cndmask_b32_e64 v11, 1, 2, vcc
	v_cmp_eq_u32_e32 vcc, 0, v23
	v_sub_u32_e32 v3, v2, v1
	v_cndmask_b32_e64 v8, 0, 1, s[2:3]
	v_and_b32_e32 v10, v10, v11
	v_cndmask_b32_e64 v11, 1, 2, vcc
	v_cmp_eq_u32_e32 vcc, 0, v42
	v_add_u32_e32 v3, v3, v8
	v_and_b32_e32 v10, v10, v11
	v_cndmask_b32_e64 v11, 1, 2, vcc
	s_movk_i32 s30, 0x100
	v_and_b32_e32 v10, v10, v11
	v_cmp_gt_u32_e32 vcc, s30, v3
	v_add_u32_e32 v9, v4, v1
	v_cmp_ne_u32_e64 s[24:25], 0, v26
	v_cmp_ne_u32_e64 s[22:23], 0, v25
	;; [unrolled: 1-line block ×13, first 2 shown]
	s_mov_b64 s[34:35], -1
	v_cmp_gt_i16_e64 s[30:31], 2, v10
	s_barrier
	s_cbranch_vccz .LBB365_197
; %bb.191:
	s_and_saveexec_b64 s[34:35], s[30:31]
	s_cbranch_execz .LBB365_196
; %bb.192:
	v_cmp_ne_u16_e32 vcc, 1, v10
	s_mov_b64 s[38:39], 0
	s_and_saveexec_b64 s[30:31], vcc
	s_xor_b64 s[30:31], exec, s[30:31]
	s_cbranch_execnz .LBB365_291
; %bb.193:
	s_andn2_saveexec_b64 s[30:31], s[30:31]
	s_cbranch_execnz .LBB365_307
.LBB365_194:
	s_or_b64 exec, exec, s[30:31]
	s_and_b64 exec, exec, s[38:39]
	s_cbranch_execz .LBB365_196
.LBB365_195:
	v_sub_u32_e32 v16, v50, v9
	v_mov_b32_e32 v17, 0
	v_lshlrev_b64 v[16:17], 2, v[16:17]
	v_add_co_u32_e32 v16, vcc, v13, v16
	v_addc_co_u32_e32 v17, vcc, v14, v17, vcc
	global_store_dword v[16:17], v51, off
.LBB365_196:
	s_or_b64 exec, exec, s[34:35]
	s_mov_b64 s[34:35], 0
.LBB365_197:
	s_and_b64 vcc, exec, s[34:35]
	s_cbranch_vccz .LBB365_219
; %bb.198:
	v_cmp_gt_i16_e32 vcc, 2, v10
	s_and_saveexec_b64 s[30:31], vcc
	s_cbranch_execz .LBB365_203
; %bb.199:
	v_cmp_ne_u16_e32 vcc, 1, v10
	s_mov_b64 s[38:39], 0
	s_and_saveexec_b64 s[34:35], vcc
	s_xor_b64 s[34:35], exec, s[34:35]
	s_cbranch_execnz .LBB365_308
; %bb.200:
	s_andn2_saveexec_b64 s[0:1], s[34:35]
	s_cbranch_execnz .LBB365_324
.LBB365_201:
	s_or_b64 exec, exec, s[0:1]
	s_and_b64 exec, exec, s[38:39]
	s_cbranch_execz .LBB365_203
.LBB365_202:
	v_sub_u32_e32 v9, v50, v9
	v_lshlrev_b32_e32 v9, 2, v9
	ds_write_b32 v9, v51
.LBB365_203:
	s_or_b64 exec, exec, s[30:31]
	v_cmp_lt_u32_e32 vcc, v0, v3
	s_waitcnt lgkmcnt(0)
	s_barrier
	s_and_saveexec_b64 s[2:3], vcc
	s_cbranch_execz .LBB365_218
; %bb.204:
	v_add_u32_e32 v10, v2, v8
	v_xad_u32 v8, v0, -1, v10
	v_sub_u32_e32 v9, v8, v1
	s_movk_i32 s0, 0x1900
	v_cmp_gt_u32_e64 s[4:5], s0, v9
	s_movk_i32 s0, 0x18ff
	v_cmp_lt_u32_e32 vcc, s0, v9
	v_mov_b32_e32 v8, v0
	s_and_saveexec_b64 s[6:7], vcc
	s_cbranch_execz .LBB365_215
; %bb.205:
	v_sub_u32_e32 v8, v0, v10
	v_add_u32_e32 v1, v8, v1
	v_or_b32_e32 v1, 0xff, v1
	v_cmp_ge_u32_e32 vcc, v1, v0
	s_mov_b64 s[0:1], -1
	v_mov_b32_e32 v8, v0
	s_and_saveexec_b64 s[8:9], vcc
	s_cbranch_execz .LBB365_214
; %bb.206:
	v_lshrrev_b32_e32 v15, 8, v9
	v_add_u32_e32 v8, -1, v15
	v_or_b32_e32 v1, 0x100, v0
	v_lshrrev_b32_e32 v9, 1, v8
	v_add_u32_e32 v17, 1, v9
	v_cmp_lt_u32_e32 vcc, 13, v8
	v_mov_b32_e32 v20, 0
	v_lshlrev_b32_e32 v16, 2, v0
	v_pk_mov_b32 v[8:9], v[0:1], v[0:1] op_sel:[0,1]
	s_and_saveexec_b64 s[10:11], vcc
	s_cbranch_execz .LBB365_210
; %bb.207:
	v_and_b32_e32 v18, -8, v17
	s_mov_b32 s14, 0
	s_mov_b64 s[12:13], 0
	v_mov_b32_e32 v11, 0
	v_mov_b32_e32 v19, v16
	v_pk_mov_b32 v[8:9], v[0:1], v[0:1] op_sel:[0,1]
.LBB365_208:                            ; =>This Inner Loop Header: Depth=1
	v_mov_b32_e32 v10, v8
	v_add_u32_e32 v18, -8, v18
	v_lshlrev_b64 v[52:53], 2, v[10:11]
	v_mov_b32_e32 v10, v9
	ds_read2st64_b32 v[22:23], v19 offset1:4
	s_add_i32 s14, s14, 16
	v_cmp_eq_u32_e32 vcc, 0, v18
	v_lshlrev_b64 v[56:57], 2, v[10:11]
	v_add_u32_e32 v10, 0x200, v8
	s_or_b64 s[12:13], vcc, s[12:13]
	v_add_co_u32_e32 v56, vcc, v13, v56
	v_add_u32_e32 v20, 0x200, v9
	v_mov_b32_e32 v21, v11
	ds_read2st64_b32 v[24:25], v19 offset0:8 offset1:12
	ds_read2st64_b32 v[28:29], v19 offset0:16 offset1:20
	v_add_co_u32_e64 v52, s[0:1], v13, v52
	v_addc_co_u32_e32 v57, vcc, v14, v57, vcc
	v_lshlrev_b64 v[58:59], 2, v[10:11]
	v_lshlrev_b64 v[54:55], 2, v[20:21]
	v_addc_co_u32_e64 v53, s[0:1], v14, v53, s[0:1]
	v_add_u32_e32 v10, 0x400, v8
	v_add_co_u32_e32 v58, vcc, v13, v58
	v_add_u32_e32 v26, 0x400, v9
	v_mov_b32_e32 v27, v11
	ds_read2st64_b32 v[32:33], v19 offset0:24 offset1:28
	v_add_co_u32_e64 v54, s[0:1], v13, v54
	v_addc_co_u32_e32 v59, vcc, v14, v59, vcc
	v_lshlrev_b64 v[60:61], 2, v[10:11]
	ds_read2st64_b32 v[38:39], v19 offset0:32 offset1:36
	ds_read2st64_b32 v[42:43], v19 offset0:40 offset1:44
	ds_read2st64_b32 v[46:47], v19 offset0:48 offset1:52
	ds_read2st64_b32 v[50:51], v19 offset0:56 offset1:60
	v_lshlrev_b64 v[26:27], 2, v[26:27]
	v_addc_co_u32_e64 v55, s[0:1], v14, v55, s[0:1]
	v_add_u32_e32 v10, 0x600, v8
	s_waitcnt lgkmcnt(7)
	global_store_dword v[52:53], v22, off
	global_store_dword v[56:57], v23, off
	s_waitcnt lgkmcnt(6)
	global_store_dword v[58:59], v24, off
	global_store_dword v[54:55], v25, off
	v_add_co_u32_e32 v22, vcc, v13, v60
	v_add_u32_e32 v30, 0x600, v9
	v_mov_b32_e32 v31, v11
	v_add_co_u32_e64 v26, s[0:1], v13, v26
	v_addc_co_u32_e32 v23, vcc, v14, v61, vcc
	v_lshlrev_b64 v[24:25], 2, v[10:11]
	v_lshlrev_b64 v[30:31], 2, v[30:31]
	v_addc_co_u32_e64 v27, s[0:1], v14, v27, s[0:1]
	v_add_u32_e32 v10, 0x800, v8
	s_waitcnt lgkmcnt(5)
	global_store_dword v[22:23], v28, off
	global_store_dword v[26:27], v29, off
	v_add_co_u32_e32 v22, vcc, v13, v24
	v_add_u32_e32 v36, 0x800, v9
	v_mov_b32_e32 v37, v11
	v_add_co_u32_e64 v30, s[0:1], v13, v30
	v_addc_co_u32_e32 v23, vcc, v14, v25, vcc
	v_lshlrev_b64 v[24:25], 2, v[10:11]
	v_lshlrev_b64 v[36:37], 2, v[36:37]
	v_addc_co_u32_e64 v31, s[0:1], v14, v31, s[0:1]
	v_add_u32_e32 v10, 0xa00, v8
	;; [unrolled: 12-line block ×4, first 2 shown]
	s_waitcnt lgkmcnt(2)
	global_store_dword v[22:23], v42, off
	global_store_dword v[40:41], v43, off
	v_add_co_u32_e32 v22, vcc, v13, v24
	v_add_u32_e32 v48, 0xe00, v9
	v_mov_b32_e32 v49, v11
	v_add_co_u32_e64 v44, s[0:1], v13, v44
	v_addc_co_u32_e32 v23, vcc, v14, v25, vcc
	v_lshlrev_b64 v[24:25], 2, v[10:11]
	v_lshlrev_b64 v[48:49], 2, v[48:49]
	v_addc_co_u32_e64 v45, s[0:1], v14, v45, s[0:1]
	s_waitcnt lgkmcnt(1)
	global_store_dword v[22:23], v46, off
	global_store_dword v[44:45], v47, off
	v_add_co_u32_e32 v22, vcc, v13, v24
	v_add_u32_e32 v19, 0x4000, v19
	v_add_u32_e32 v9, 0x1000, v9
	v_mov_b32_e32 v20, s14
	v_add_co_u32_e64 v48, s[0:1], v13, v48
	v_add_u32_e32 v8, 0x1000, v8
	v_addc_co_u32_e32 v23, vcc, v14, v25, vcc
	v_addc_co_u32_e64 v49, s[0:1], v14, v49, s[0:1]
	s_waitcnt lgkmcnt(0)
	global_store_dword v[22:23], v50, off
	global_store_dword v[48:49], v51, off
	s_andn2_b64 exec, exec, s[12:13]
	s_cbranch_execnz .LBB365_208
; %bb.209:
	s_or_b64 exec, exec, s[12:13]
.LBB365_210:
	s_or_b64 exec, exec, s[10:11]
	v_and_b32_e32 v1, 7, v17
	v_cmp_ne_u32_e32 vcc, 0, v1
	s_and_saveexec_b64 s[10:11], vcc
	s_cbranch_execz .LBB365_213
; %bb.211:
	v_lshl_or_b32 v16, v20, 10, v16
	s_mov_b64 s[12:13], 0
	v_mov_b32_e32 v11, 0
.LBB365_212:                            ; =>This Inner Loop Header: Depth=1
	ds_read2st64_b32 v[18:19], v16 offset1:4
	v_mov_b32_e32 v10, v8
	v_add_u32_e32 v1, -1, v1
	v_lshlrev_b64 v[20:21], 2, v[10:11]
	v_mov_b32_e32 v10, v9
	v_cmp_eq_u32_e32 vcc, 0, v1
	v_add_co_u32_e64 v20, s[0:1], v13, v20
	v_lshlrev_b64 v[22:23], 2, v[10:11]
	v_add_u32_e32 v8, 0x200, v8
	v_add_u32_e32 v16, 0x800, v16
	;; [unrolled: 1-line block ×3, first 2 shown]
	v_addc_co_u32_e64 v21, s[0:1], v14, v21, s[0:1]
	s_or_b64 s[12:13], vcc, s[12:13]
	v_add_co_u32_e32 v22, vcc, v13, v22
	v_addc_co_u32_e32 v23, vcc, v14, v23, vcc
	s_waitcnt lgkmcnt(0)
	global_store_dword v[20:21], v18, off
	global_store_dword v[22:23], v19, off
	s_andn2_b64 exec, exec, s[12:13]
	s_cbranch_execnz .LBB365_212
.LBB365_213:
	s_or_b64 exec, exec, s[10:11]
	v_add_u32_e32 v1, 1, v15
	v_and_b32_e32 v9, 0x1fffffe, v1
	v_cmp_ne_u32_e32 vcc, v1, v9
	v_lshl_or_b32 v8, v9, 8, v0
	s_orn2_b64 s[0:1], vcc, exec
.LBB365_214:
	s_or_b64 exec, exec, s[8:9]
	s_andn2_b64 s[4:5], s[4:5], exec
	s_and_b64 s[0:1], s[0:1], exec
	s_or_b64 s[4:5], s[4:5], s[0:1]
.LBB365_215:
	s_or_b64 exec, exec, s[6:7]
	s_and_b64 exec, exec, s[4:5]
	s_cbranch_execz .LBB365_218
; %bb.216:
	v_lshlrev_b32_e32 v1, 2, v8
	s_mov_b64 s[0:1], 0
	v_mov_b32_e32 v9, 0
.LBB365_217:                            ; =>This Inner Loop Header: Depth=1
	v_lshlrev_b64 v[10:11], 2, v[8:9]
	ds_read_b32 v15, v1
	v_add_co_u32_e32 v10, vcc, v13, v10
	v_add_u32_e32 v8, 0x100, v8
	v_addc_co_u32_e32 v11, vcc, v14, v11, vcc
	v_cmp_ge_u32_e32 vcc, v8, v3
	v_add_u32_e32 v1, 0x400, v1
	s_or_b64 s[0:1], vcc, s[0:1]
	s_waitcnt lgkmcnt(0)
	global_store_dword v[10:11], v15, off
	s_andn2_b64 exec, exec, s[0:1]
	s_cbranch_execnz .LBB365_217
.LBB365_218:
	s_or_b64 exec, exec, s[2:3]
.LBB365_219:
	s_movk_i32 s0, 0xff
	v_cmp_eq_u32_e32 vcc, s0, v0
	s_and_b64 s[0:1], vcc, s[36:37]
	s_and_saveexec_b64 s[2:3], s[0:1]
	s_cbranch_execz .LBB365_222
; %bb.220:
	v_add_co_u32_e32 v0, vcc, v2, v4
	v_addc_co_u32_e64 v1, s[0:1], 0, 0, vcc
	v_add_co_u32_e32 v0, vcc, v0, v6
	v_mov_b32_e32 v3, 0
	v_addc_co_u32_e32 v1, vcc, v1, v7, vcc
	s_cmpk_lg_i32 s33, 0xf00
	global_store_dwordx2 v3, v[0:1], s[54:55]
	s_cbranch_scc1 .LBB365_222
; %bb.221:
	v_lshlrev_b64 v[0:1], 2, v[2:3]
	v_add_co_u32_e32 v0, vcc, v5, v0
	v_addc_co_u32_e32 v1, vcc, v12, v1, vcc
	global_store_dword v[0:1], v34, off offset:-4
.LBB365_222:
	s_endpgm
.LBB365_223:
                                        ; implicit-def: $sgpr8_sgpr9
                                        ; implicit-def: $vgpr80
                                        ; implicit-def: $vgpr23
                                        ; implicit-def: $vgpr22
                                        ; implicit-def: $vgpr25
                                        ; implicit-def: $vgpr24
                                        ; implicit-def: $vgpr27
                                        ; implicit-def: $vgpr26
                                        ; implicit-def: $vgpr29
                                        ; implicit-def: $vgpr28
                                        ; implicit-def: $vgpr31
                                        ; implicit-def: $vgpr30
                                        ; implicit-def: $vgpr33
                                        ; implicit-def: $vgpr32
                                        ; implicit-def: $vgpr35
	s_cbranch_execz .LBB365_113
.LBB365_224:
	v_mad_u32_u24 v22, v0, 15, 14
	v_mov_b32_e32 v23, 0
	s_waitcnt vmcnt(0) lgkmcnt(0)
	v_lshlrev_b32_e32 v4, 2, v0
	v_mul_u32_u24_e32 v2, 15, v0
	v_cmp_gt_u64_e32 vcc, s[6:7], v[22:23]
	v_mov_b32_e32 v80, 0
	ds_write_b32 v4, v1
	s_and_saveexec_b64 s[8:9], vcc
; %bb.225:
	s_mov_b32 s10, 0x66666667
	v_mul_hi_i32 v3, v9, s10
	v_lshrrev_b32_e32 v5, 31, v3
	v_ashrrev_i32_e32 v3, 2, v3
	v_add_u32_e32 v3, v3, v5
	v_mul_hi_i32 v5, v1, s10
	v_lshrrev_b32_e32 v6, 31, v5
	v_ashrrev_i32_e32 v5, 2, v5
	v_add_u32_e32 v5, v5, v6
	v_cmp_ne_u32_e32 vcc, v3, v5
	v_cndmask_b32_e64 v80, 0, 1, vcc
; %bb.226:
	s_or_b64 exec, exec, s[8:9]
	v_add_u32_e32 v22, 13, v2
	v_cmp_gt_u64_e32 vcc, s[6:7], v[22:23]
	s_and_saveexec_b64 s[8:9], vcc
; %bb.227:
	s_mov_b32 s10, 0x66666667
	v_mul_hi_i32 v3, v8, s10
	v_lshrrev_b32_e32 v5, 31, v3
	v_ashrrev_i32_e32 v3, 2, v3
	v_add_u32_e32 v3, v3, v5
	v_mul_hi_i32 v5, v9, s10
	v_lshrrev_b32_e32 v6, 31, v5
	v_ashrrev_i32_e32 v5, 2, v5
	v_add_u32_e32 v5, v5, v6
	v_cmp_ne_u32_e32 vcc, v3, v5
	v_cndmask_b32_e64 v23, 0, 1, vcc
; %bb.228:
	s_or_b64 exec, exec, s[8:9]
	v_add_u32_e32 v24, 12, v2
	v_mov_b32_e32 v25, 0
	v_cmp_gt_u64_e32 vcc, s[6:7], v[24:25]
	v_mov_b32_e32 v22, 0
	s_and_saveexec_b64 s[8:9], vcc
; %bb.229:
	s_mov_b32 s10, 0x66666667
	v_mul_hi_i32 v3, v11, s10
	v_lshrrev_b32_e32 v5, 31, v3
	v_ashrrev_i32_e32 v3, 2, v3
	v_add_u32_e32 v3, v3, v5
	v_mul_hi_i32 v5, v8, s10
	v_lshrrev_b32_e32 v6, 31, v5
	v_ashrrev_i32_e32 v5, 2, v5
	v_add_u32_e32 v5, v5, v6
	v_cmp_ne_u32_e32 vcc, v3, v5
	v_cndmask_b32_e64 v22, 0, 1, vcc
; %bb.230:
	s_or_b64 exec, exec, s[8:9]
	v_add_u32_e32 v24, 11, v2
	v_cmp_gt_u64_e32 vcc, s[6:7], v[24:25]
	s_and_saveexec_b64 s[8:9], vcc
; %bb.231:
	s_mov_b32 s10, 0x66666667
	v_mul_hi_i32 v3, v10, s10
	v_lshrrev_b32_e32 v5, 31, v3
	v_ashrrev_i32_e32 v3, 2, v3
	v_add_u32_e32 v3, v3, v5
	v_mul_hi_i32 v5, v11, s10
	v_lshrrev_b32_e32 v6, 31, v5
	v_ashrrev_i32_e32 v5, 2, v5
	v_add_u32_e32 v5, v5, v6
	v_cmp_ne_u32_e32 vcc, v3, v5
	v_cndmask_b32_e64 v25, 0, 1, vcc
; %bb.232:
	s_or_b64 exec, exec, s[8:9]
	v_add_u32_e32 v26, 10, v2
	v_mov_b32_e32 v27, 0
	v_cmp_gt_u64_e32 vcc, s[6:7], v[26:27]
	v_mov_b32_e32 v24, 0
	;; [unrolled: 36-line block ×6, first 2 shown]
	s_and_saveexec_b64 s[8:9], vcc
; %bb.249:
	s_mov_b32 s10, 0x66666667
	v_mul_hi_i32 v3, v21, s10
	v_lshrrev_b32_e32 v5, 31, v3
	v_ashrrev_i32_e32 v3, 2, v3
	v_add_u32_e32 v3, v3, v5
	v_mul_hi_i32 v5, v18, s10
	v_lshrrev_b32_e32 v6, 31, v5
	v_ashrrev_i32_e32 v5, 2, v5
	v_add_u32_e32 v5, v5, v6
	v_cmp_ne_u32_e32 vcc, v3, v5
	v_cndmask_b32_e64 v32, 0, 1, vcc
; %bb.250:
	s_or_b64 exec, exec, s[8:9]
	v_add_u32_e32 v34, 1, v2
	v_cmp_gt_u64_e32 vcc, s[6:7], v[34:35]
	s_and_saveexec_b64 s[8:9], vcc
; %bb.251:
	s_mov_b32 s10, 0x66666667
	v_mul_hi_i32 v3, v20, s10
	v_lshrrev_b32_e32 v5, 31, v3
	v_ashrrev_i32_e32 v3, 2, v3
	v_add_u32_e32 v3, v3, v5
	v_mul_hi_i32 v5, v21, s10
	v_lshrrev_b32_e32 v6, 31, v5
	v_ashrrev_i32_e32 v5, 2, v5
	v_add_u32_e32 v5, v5, v6
	v_cmp_ne_u32_e32 vcc, v3, v5
	v_cndmask_b32_e64 v35, 0, 1, vcc
; %bb.252:
	s_or_b64 exec, exec, s[8:9]
	s_waitcnt lgkmcnt(0)
	s_barrier
	s_waitcnt lgkmcnt(0)
                                        ; implicit-def: $sgpr8_sgpr9
	s_and_saveexec_b64 s[10:11], s[2:3]
	s_cbranch_execz .LBB365_256
; %bb.253:
	v_mov_b32_e32 v3, 0
	v_cmp_gt_u64_e32 vcc, s[6:7], v[2:3]
	s_mov_b64 s[6:7], 0
	s_and_saveexec_b64 s[2:3], vcc
	s_cbranch_execz .LBB365_255
; %bb.254:
	v_add_u32_e32 v2, -4, v4
	ds_read_b32 v2, v2
	s_mov_b32 s6, 0x66666667
	v_mul_hi_i32 v3, v20, s6
	v_lshrrev_b32_e32 v4, 31, v3
	v_ashrrev_i32_e32 v3, 2, v3
	s_waitcnt lgkmcnt(0)
	v_mul_hi_i32 v2, v2, s6
	v_lshrrev_b32_e32 v5, 31, v2
	v_ashrrev_i32_e32 v2, 2, v2
	v_add_u32_e32 v2, v2, v5
	v_add_u32_e32 v3, v3, v4
	v_cmp_ne_u32_e32 vcc, v2, v3
	s_and_b64 s[6:7], vcc, exec
.LBB365_255:
	s_or_b64 exec, exec, s[2:3]
	s_and_b64 s[8:9], s[6:7], exec
	s_or_b64 s[4:5], s[4:5], exec
.LBB365_256:
	s_or_b64 exec, exec, s[10:11]
	s_mov_b32 s12, 1
	v_mov_b32_e32 v82, s12
	s_and_saveexec_b64 s[2:3], s[4:5]
	s_cbranch_execnz .LBB365_115
	s_branch .LBB365_116
.LBB365_257:
	s_and_saveexec_b64 s[42:43], s[30:31]
	s_cbranch_execnz .LBB365_325
; %bb.258:
	s_or_b64 exec, exec, s[42:43]
	s_and_saveexec_b64 s[42:43], s[28:29]
	s_cbranch_execnz .LBB365_326
.LBB365_259:
	s_or_b64 exec, exec, s[42:43]
	s_and_saveexec_b64 s[42:43], s[26:27]
	s_cbranch_execnz .LBB365_327
.LBB365_260:
	s_or_b64 exec, exec, s[42:43]
	s_and_saveexec_b64 s[42:43], s[24:25]
	s_cbranch_execnz .LBB365_328
.LBB365_261:
	s_or_b64 exec, exec, s[42:43]
	s_and_saveexec_b64 s[42:43], s[22:23]
	s_cbranch_execnz .LBB365_329
.LBB365_262:
	s_or_b64 exec, exec, s[42:43]
	s_and_saveexec_b64 s[42:43], s[20:21]
	s_cbranch_execnz .LBB365_330
.LBB365_263:
	s_or_b64 exec, exec, s[42:43]
	s_and_saveexec_b64 s[42:43], s[18:19]
	s_cbranch_execnz .LBB365_331
.LBB365_264:
	s_or_b64 exec, exec, s[42:43]
	s_and_saveexec_b64 s[42:43], s[16:17]
	s_cbranch_execnz .LBB365_332
.LBB365_265:
	s_or_b64 exec, exec, s[42:43]
	s_and_saveexec_b64 s[42:43], s[14:15]
	s_cbranch_execnz .LBB365_333
.LBB365_266:
	s_or_b64 exec, exec, s[42:43]
	s_and_saveexec_b64 s[42:43], s[12:13]
	s_cbranch_execnz .LBB365_334
.LBB365_267:
	s_or_b64 exec, exec, s[42:43]
	s_and_saveexec_b64 s[42:43], s[10:11]
	s_cbranch_execnz .LBB365_335
.LBB365_268:
	s_or_b64 exec, exec, s[42:43]
	s_and_saveexec_b64 s[42:43], s[8:9]
	s_cbranch_execnz .LBB365_336
.LBB365_269:
	s_or_b64 exec, exec, s[42:43]
	s_and_saveexec_b64 s[42:43], s[6:7]
	s_cbranch_execnz .LBB365_337
.LBB365_270:
	s_or_b64 exec, exec, s[42:43]
	s_and_saveexec_b64 s[42:43], s[4:5]
	s_cbranch_execz .LBB365_272
.LBB365_271:
	v_sub_u32_e32 v42, v52, v4
	v_mov_b32_e32 v43, 0
	v_lshlrev_b64 v[42:43], 2, v[42:43]
	v_add_co_u32_e32 v42, vcc, v3, v42
	v_addc_co_u32_e32 v43, vcc, v5, v43, vcc
	global_store_dword v[42:43], v9, off
.LBB365_272:
	s_or_b64 exec, exec, s[42:43]
	s_and_b64 s[42:43], s[2:3], exec
	s_andn2_saveexec_b64 s[34:35], s[34:35]
	s_cbranch_execz .LBB365_165
.LBB365_273:
	v_sub_u32_e32 v42, v78, v4
	v_mov_b32_e32 v43, 0
	v_lshlrev_b64 v[44:45], 2, v[42:43]
	v_add_co_u32_e32 v44, vcc, v3, v44
	v_addc_co_u32_e32 v45, vcc, v5, v45, vcc
	v_sub_u32_e32 v42, v76, v4
	global_store_dword v[44:45], v20, off
	v_lshlrev_b64 v[44:45], 2, v[42:43]
	v_add_co_u32_e32 v44, vcc, v3, v44
	v_addc_co_u32_e32 v45, vcc, v5, v45, vcc
	v_sub_u32_e32 v42, v74, v4
	global_store_dword v[44:45], v21, off
	;; [unrolled: 5-line block ×12, first 2 shown]
	v_lshlrev_b64 v[44:45], 2, v[42:43]
	v_add_co_u32_e32 v44, vcc, v3, v44
	v_sub_u32_e32 v42, v52, v4
	v_addc_co_u32_e32 v45, vcc, v5, v45, vcc
	v_lshlrev_b64 v[42:43], 2, v[42:43]
	v_add_co_u32_e32 v42, vcc, v3, v42
	v_addc_co_u32_e32 v43, vcc, v5, v43, vcc
	s_or_b64 s[42:43], s[42:43], exec
	global_store_dword v[44:45], v8, off
	global_store_dword v[42:43], v9, off
	s_or_b64 exec, exec, s[34:35]
	s_and_b64 exec, exec, s[42:43]
	s_cbranch_execnz .LBB365_166
	s_branch .LBB365_167
.LBB365_274:
	s_and_saveexec_b64 s[42:43], s[30:31]
	s_cbranch_execnz .LBB365_338
; %bb.275:
	s_or_b64 exec, exec, s[42:43]
	s_and_saveexec_b64 s[30:31], s[28:29]
	s_cbranch_execnz .LBB365_339
.LBB365_276:
	s_or_b64 exec, exec, s[30:31]
	s_and_saveexec_b64 s[28:29], s[26:27]
	s_cbranch_execnz .LBB365_340
.LBB365_277:
	s_or_b64 exec, exec, s[28:29]
	s_and_saveexec_b64 s[26:27], s[24:25]
	s_cbranch_execnz .LBB365_341
.LBB365_278:
	s_or_b64 exec, exec, s[26:27]
	s_and_saveexec_b64 s[24:25], s[22:23]
	s_cbranch_execnz .LBB365_342
.LBB365_279:
	s_or_b64 exec, exec, s[24:25]
	s_and_saveexec_b64 s[22:23], s[20:21]
	s_cbranch_execnz .LBB365_343
.LBB365_280:
	s_or_b64 exec, exec, s[22:23]
	s_and_saveexec_b64 s[20:21], s[18:19]
	s_cbranch_execnz .LBB365_344
.LBB365_281:
	s_or_b64 exec, exec, s[20:21]
	s_and_saveexec_b64 s[18:19], s[16:17]
	s_cbranch_execnz .LBB365_345
.LBB365_282:
	s_or_b64 exec, exec, s[18:19]
	s_and_saveexec_b64 s[16:17], s[14:15]
	s_cbranch_execnz .LBB365_346
.LBB365_283:
	s_or_b64 exec, exec, s[16:17]
	s_and_saveexec_b64 s[14:15], s[12:13]
	s_cbranch_execnz .LBB365_347
.LBB365_284:
	s_or_b64 exec, exec, s[14:15]
	s_and_saveexec_b64 s[12:13], s[10:11]
	s_cbranch_execnz .LBB365_348
.LBB365_285:
	s_or_b64 exec, exec, s[12:13]
	s_and_saveexec_b64 s[10:11], s[8:9]
	s_cbranch_execnz .LBB365_349
.LBB365_286:
	s_or_b64 exec, exec, s[10:11]
	s_and_saveexec_b64 s[8:9], s[6:7]
	s_cbranch_execnz .LBB365_350
.LBB365_287:
	s_or_b64 exec, exec, s[8:9]
	s_and_saveexec_b64 s[6:7], s[4:5]
	s_cbranch_execz .LBB365_289
.LBB365_288:
	v_sub_u32_e32 v8, v52, v4
	v_lshlrev_b32_e32 v8, 2, v8
	ds_write_b32 v8, v9
.LBB365_289:
	s_or_b64 exec, exec, s[6:7]
	s_and_b64 s[42:43], s[2:3], exec
                                        ; implicit-def: $vgpr20_vgpr21
                                        ; implicit-def: $vgpr18_vgpr19
                                        ; implicit-def: $vgpr16_vgpr17
                                        ; implicit-def: $vgpr14_vgpr15
                                        ; implicit-def: $vgpr12_vgpr13
                                        ; implicit-def: $vgpr10_vgpr11
                                        ; implicit-def: $vgpr8_vgpr9
	s_andn2_saveexec_b64 s[2:3], s[40:41]
	s_cbranch_execz .LBB365_172
.LBB365_290:
	v_sub_u32_e32 v40, v78, v4
	v_lshlrev_b32_e32 v40, 2, v40
	ds_write_b32 v40, v20
	v_sub_u32_e32 v20, v76, v4
	v_lshlrev_b32_e32 v20, 2, v20
	ds_write_b32 v20, v21
	;; [unrolled: 3-line block ×13, first 2 shown]
	v_sub_u32_e32 v8, v52, v4
	v_lshlrev_b32_e32 v8, 2, v8
	s_or_b64 s[42:43], s[42:43], exec
	ds_write_b32 v8, v9
	s_or_b64 exec, exec, s[2:3]
	s_and_b64 exec, exec, s[42:43]
	s_cbranch_execnz .LBB365_173
	s_branch .LBB365_174
.LBB365_291:
	s_and_saveexec_b64 s[38:39], s[28:29]
	s_cbranch_execnz .LBB365_351
; %bb.292:
	s_or_b64 exec, exec, s[38:39]
	s_and_saveexec_b64 s[38:39], s[26:27]
	s_cbranch_execnz .LBB365_352
.LBB365_293:
	s_or_b64 exec, exec, s[38:39]
	s_and_saveexec_b64 s[38:39], s[24:25]
	s_cbranch_execnz .LBB365_353
.LBB365_294:
	s_or_b64 exec, exec, s[38:39]
	s_and_saveexec_b64 s[38:39], s[22:23]
	s_cbranch_execnz .LBB365_354
.LBB365_295:
	s_or_b64 exec, exec, s[38:39]
	s_and_saveexec_b64 s[38:39], s[20:21]
	s_cbranch_execnz .LBB365_355
.LBB365_296:
	s_or_b64 exec, exec, s[38:39]
	s_and_saveexec_b64 s[38:39], s[18:19]
	s_cbranch_execnz .LBB365_356
.LBB365_297:
	s_or_b64 exec, exec, s[38:39]
	s_and_saveexec_b64 s[38:39], s[16:17]
	s_cbranch_execnz .LBB365_357
.LBB365_298:
	s_or_b64 exec, exec, s[38:39]
	s_and_saveexec_b64 s[38:39], s[14:15]
	s_cbranch_execnz .LBB365_358
.LBB365_299:
	s_or_b64 exec, exec, s[38:39]
	s_and_saveexec_b64 s[38:39], s[12:13]
	s_cbranch_execnz .LBB365_359
.LBB365_300:
	s_or_b64 exec, exec, s[38:39]
	s_and_saveexec_b64 s[38:39], s[10:11]
	s_cbranch_execnz .LBB365_360
.LBB365_301:
	s_or_b64 exec, exec, s[38:39]
	s_and_saveexec_b64 s[38:39], s[8:9]
	s_cbranch_execnz .LBB365_361
.LBB365_302:
	s_or_b64 exec, exec, s[38:39]
	s_and_saveexec_b64 s[38:39], s[6:7]
	s_cbranch_execnz .LBB365_362
.LBB365_303:
	s_or_b64 exec, exec, s[38:39]
	s_and_saveexec_b64 s[38:39], s[4:5]
	s_cbranch_execnz .LBB365_363
.LBB365_304:
	s_or_b64 exec, exec, s[38:39]
	s_and_saveexec_b64 s[38:39], s[2:3]
	s_cbranch_execz .LBB365_306
.LBB365_305:
	v_sub_u32_e32 v16, v52, v9
	v_mov_b32_e32 v17, 0
	v_lshlrev_b64 v[16:17], 2, v[16:17]
	v_add_co_u32_e32 v16, vcc, v13, v16
	v_addc_co_u32_e32 v17, vcc, v14, v17, vcc
	global_store_dword v[16:17], v53, off
.LBB365_306:
	s_or_b64 exec, exec, s[38:39]
	s_and_b64 s[38:39], s[0:1], exec
	s_andn2_saveexec_b64 s[30:31], s[30:31]
	s_cbranch_execz .LBB365_194
.LBB365_307:
	v_sub_u32_e32 v16, v78, v9
	v_mov_b32_e32 v17, 0
	v_lshlrev_b64 v[18:19], 2, v[16:17]
	v_add_co_u32_e32 v18, vcc, v13, v18
	v_addc_co_u32_e32 v19, vcc, v14, v19, vcc
	v_sub_u32_e32 v16, v76, v9
	global_store_dword v[18:19], v79, off
	v_lshlrev_b64 v[18:19], 2, v[16:17]
	v_add_co_u32_e32 v18, vcc, v13, v18
	v_addc_co_u32_e32 v19, vcc, v14, v19, vcc
	v_sub_u32_e32 v16, v74, v9
	global_store_dword v[18:19], v77, off
	v_lshlrev_b64 v[18:19], 2, v[16:17]
	v_add_co_u32_e32 v18, vcc, v13, v18
	v_addc_co_u32_e32 v19, vcc, v14, v19, vcc
	v_sub_u32_e32 v16, v72, v9
	global_store_dword v[18:19], v75, off
	v_lshlrev_b64 v[18:19], 2, v[16:17]
	v_add_co_u32_e32 v18, vcc, v13, v18
	v_addc_co_u32_e32 v19, vcc, v14, v19, vcc
	v_sub_u32_e32 v16, v70, v9
	global_store_dword v[18:19], v73, off
	v_lshlrev_b64 v[18:19], 2, v[16:17]
	v_add_co_u32_e32 v18, vcc, v13, v18
	v_addc_co_u32_e32 v19, vcc, v14, v19, vcc
	v_sub_u32_e32 v16, v68, v9
	global_store_dword v[18:19], v71, off
	v_lshlrev_b64 v[18:19], 2, v[16:17]
	v_add_co_u32_e32 v18, vcc, v13, v18
	v_addc_co_u32_e32 v19, vcc, v14, v19, vcc
	v_sub_u32_e32 v16, v66, v9
	global_store_dword v[18:19], v69, off
	v_lshlrev_b64 v[18:19], 2, v[16:17]
	v_add_co_u32_e32 v18, vcc, v13, v18
	v_addc_co_u32_e32 v19, vcc, v14, v19, vcc
	v_sub_u32_e32 v16, v64, v9
	global_store_dword v[18:19], v67, off
	v_lshlrev_b64 v[18:19], 2, v[16:17]
	v_add_co_u32_e32 v18, vcc, v13, v18
	v_addc_co_u32_e32 v19, vcc, v14, v19, vcc
	v_sub_u32_e32 v16, v62, v9
	global_store_dword v[18:19], v65, off
	v_lshlrev_b64 v[18:19], 2, v[16:17]
	v_add_co_u32_e32 v18, vcc, v13, v18
	v_addc_co_u32_e32 v19, vcc, v14, v19, vcc
	v_sub_u32_e32 v16, v60, v9
	global_store_dword v[18:19], v63, off
	v_lshlrev_b64 v[18:19], 2, v[16:17]
	v_add_co_u32_e32 v18, vcc, v13, v18
	v_addc_co_u32_e32 v19, vcc, v14, v19, vcc
	v_sub_u32_e32 v16, v58, v9
	global_store_dword v[18:19], v61, off
	v_lshlrev_b64 v[18:19], 2, v[16:17]
	v_add_co_u32_e32 v18, vcc, v13, v18
	v_addc_co_u32_e32 v19, vcc, v14, v19, vcc
	v_sub_u32_e32 v16, v56, v9
	global_store_dword v[18:19], v59, off
	v_lshlrev_b64 v[18:19], 2, v[16:17]
	v_add_co_u32_e32 v18, vcc, v13, v18
	v_addc_co_u32_e32 v19, vcc, v14, v19, vcc
	v_sub_u32_e32 v16, v54, v9
	global_store_dword v[18:19], v57, off
	v_lshlrev_b64 v[18:19], 2, v[16:17]
	v_add_co_u32_e32 v18, vcc, v13, v18
	v_sub_u32_e32 v16, v52, v9
	v_addc_co_u32_e32 v19, vcc, v14, v19, vcc
	v_lshlrev_b64 v[16:17], 2, v[16:17]
	v_add_co_u32_e32 v16, vcc, v13, v16
	v_addc_co_u32_e32 v17, vcc, v14, v17, vcc
	s_or_b64 s[38:39], s[38:39], exec
	global_store_dword v[18:19], v55, off
	global_store_dword v[16:17], v53, off
	s_or_b64 exec, exec, s[30:31]
	s_and_b64 exec, exec, s[38:39]
	s_cbranch_execnz .LBB365_195
	s_branch .LBB365_196
.LBB365_308:
	s_and_saveexec_b64 s[38:39], s[28:29]
	s_cbranch_execnz .LBB365_364
; %bb.309:
	s_or_b64 exec, exec, s[38:39]
	s_and_saveexec_b64 s[28:29], s[26:27]
	s_cbranch_execnz .LBB365_365
.LBB365_310:
	s_or_b64 exec, exec, s[28:29]
	s_and_saveexec_b64 s[26:27], s[24:25]
	s_cbranch_execnz .LBB365_366
.LBB365_311:
	s_or_b64 exec, exec, s[26:27]
	s_and_saveexec_b64 s[24:25], s[22:23]
	s_cbranch_execnz .LBB365_367
.LBB365_312:
	s_or_b64 exec, exec, s[24:25]
	s_and_saveexec_b64 s[22:23], s[20:21]
	s_cbranch_execnz .LBB365_368
.LBB365_313:
	s_or_b64 exec, exec, s[22:23]
	s_and_saveexec_b64 s[20:21], s[18:19]
	s_cbranch_execnz .LBB365_369
.LBB365_314:
	s_or_b64 exec, exec, s[20:21]
	s_and_saveexec_b64 s[18:19], s[16:17]
	s_cbranch_execnz .LBB365_370
.LBB365_315:
	s_or_b64 exec, exec, s[18:19]
	s_and_saveexec_b64 s[16:17], s[14:15]
	s_cbranch_execnz .LBB365_371
.LBB365_316:
	s_or_b64 exec, exec, s[16:17]
	s_and_saveexec_b64 s[14:15], s[12:13]
	s_cbranch_execnz .LBB365_372
.LBB365_317:
	s_or_b64 exec, exec, s[14:15]
	s_and_saveexec_b64 s[12:13], s[10:11]
	s_cbranch_execnz .LBB365_373
.LBB365_318:
	s_or_b64 exec, exec, s[12:13]
	s_and_saveexec_b64 s[10:11], s[8:9]
	s_cbranch_execnz .LBB365_374
.LBB365_319:
	s_or_b64 exec, exec, s[10:11]
	s_and_saveexec_b64 s[8:9], s[6:7]
	s_cbranch_execnz .LBB365_375
.LBB365_320:
	s_or_b64 exec, exec, s[8:9]
	s_and_saveexec_b64 s[6:7], s[4:5]
	s_cbranch_execnz .LBB365_376
.LBB365_321:
	s_or_b64 exec, exec, s[6:7]
	s_and_saveexec_b64 s[4:5], s[2:3]
	s_cbranch_execz .LBB365_323
.LBB365_322:
	v_sub_u32_e32 v10, v52, v9
	v_lshlrev_b32_e32 v10, 2, v10
	ds_write_b32 v10, v53
.LBB365_323:
	s_or_b64 exec, exec, s[4:5]
	s_and_b64 s[38:39], s[0:1], exec
                                        ; implicit-def: $vgpr78_vgpr79
                                        ; implicit-def: $vgpr76_vgpr77
                                        ; implicit-def: $vgpr74_vgpr75
                                        ; implicit-def: $vgpr72_vgpr73
                                        ; implicit-def: $vgpr70_vgpr71
                                        ; implicit-def: $vgpr68_vgpr69
                                        ; implicit-def: $vgpr66_vgpr67
                                        ; implicit-def: $vgpr64_vgpr65
                                        ; implicit-def: $vgpr62_vgpr63
                                        ; implicit-def: $vgpr60_vgpr61
                                        ; implicit-def: $vgpr58_vgpr59
                                        ; implicit-def: $vgpr56_vgpr57
                                        ; implicit-def: $vgpr54_vgpr55
                                        ; implicit-def: $vgpr52_vgpr53
	s_andn2_saveexec_b64 s[0:1], s[34:35]
	s_cbranch_execz .LBB365_201
.LBB365_324:
	v_sub_u32_e32 v10, v78, v9
	v_lshlrev_b32_e32 v10, 2, v10
	ds_write_b32 v10, v79
	v_sub_u32_e32 v10, v76, v9
	v_lshlrev_b32_e32 v10, 2, v10
	ds_write_b32 v10, v77
	;; [unrolled: 3-line block ×13, first 2 shown]
	v_sub_u32_e32 v10, v52, v9
	v_lshlrev_b32_e32 v10, 2, v10
	s_or_b64 s[38:39], s[38:39], exec
	ds_write_b32 v10, v53
	s_or_b64 exec, exec, s[0:1]
	s_and_b64 exec, exec, s[38:39]
	s_cbranch_execnz .LBB365_202
	s_branch .LBB365_203
.LBB365_325:
	v_sub_u32_e32 v42, v78, v4
	v_mov_b32_e32 v43, 0
	v_lshlrev_b64 v[42:43], 2, v[42:43]
	v_add_co_u32_e32 v42, vcc, v3, v42
	v_addc_co_u32_e32 v43, vcc, v5, v43, vcc
	global_store_dword v[42:43], v20, off
	s_or_b64 exec, exec, s[42:43]
	s_and_saveexec_b64 s[42:43], s[28:29]
	s_cbranch_execz .LBB365_259
.LBB365_326:
	v_sub_u32_e32 v42, v76, v4
	v_mov_b32_e32 v43, 0
	v_lshlrev_b64 v[42:43], 2, v[42:43]
	v_add_co_u32_e32 v42, vcc, v3, v42
	v_addc_co_u32_e32 v43, vcc, v5, v43, vcc
	global_store_dword v[42:43], v21, off
	s_or_b64 exec, exec, s[42:43]
	s_and_saveexec_b64 s[42:43], s[26:27]
	s_cbranch_execz .LBB365_260
.LBB365_327:
	v_sub_u32_e32 v42, v74, v4
	v_mov_b32_e32 v43, 0
	v_lshlrev_b64 v[42:43], 2, v[42:43]
	v_add_co_u32_e32 v42, vcc, v3, v42
	v_addc_co_u32_e32 v43, vcc, v5, v43, vcc
	global_store_dword v[42:43], v18, off
	s_or_b64 exec, exec, s[42:43]
	s_and_saveexec_b64 s[42:43], s[24:25]
	s_cbranch_execz .LBB365_261
.LBB365_328:
	v_sub_u32_e32 v42, v72, v4
	v_mov_b32_e32 v43, 0
	v_lshlrev_b64 v[42:43], 2, v[42:43]
	v_add_co_u32_e32 v42, vcc, v3, v42
	v_addc_co_u32_e32 v43, vcc, v5, v43, vcc
	global_store_dword v[42:43], v19, off
	s_or_b64 exec, exec, s[42:43]
	s_and_saveexec_b64 s[42:43], s[22:23]
	s_cbranch_execz .LBB365_262
.LBB365_329:
	v_sub_u32_e32 v42, v70, v4
	v_mov_b32_e32 v43, 0
	v_lshlrev_b64 v[42:43], 2, v[42:43]
	v_add_co_u32_e32 v42, vcc, v3, v42
	v_addc_co_u32_e32 v43, vcc, v5, v43, vcc
	global_store_dword v[42:43], v16, off
	s_or_b64 exec, exec, s[42:43]
	s_and_saveexec_b64 s[42:43], s[20:21]
	s_cbranch_execz .LBB365_263
.LBB365_330:
	v_sub_u32_e32 v42, v68, v4
	v_mov_b32_e32 v43, 0
	v_lshlrev_b64 v[42:43], 2, v[42:43]
	v_add_co_u32_e32 v42, vcc, v3, v42
	v_addc_co_u32_e32 v43, vcc, v5, v43, vcc
	global_store_dword v[42:43], v17, off
	s_or_b64 exec, exec, s[42:43]
	s_and_saveexec_b64 s[42:43], s[18:19]
	s_cbranch_execz .LBB365_264
.LBB365_331:
	v_sub_u32_e32 v42, v66, v4
	v_mov_b32_e32 v43, 0
	v_lshlrev_b64 v[42:43], 2, v[42:43]
	v_add_co_u32_e32 v42, vcc, v3, v42
	v_addc_co_u32_e32 v43, vcc, v5, v43, vcc
	global_store_dword v[42:43], v14, off
	s_or_b64 exec, exec, s[42:43]
	s_and_saveexec_b64 s[42:43], s[16:17]
	s_cbranch_execz .LBB365_265
.LBB365_332:
	v_sub_u32_e32 v42, v64, v4
	v_mov_b32_e32 v43, 0
	v_lshlrev_b64 v[42:43], 2, v[42:43]
	v_add_co_u32_e32 v42, vcc, v3, v42
	v_addc_co_u32_e32 v43, vcc, v5, v43, vcc
	global_store_dword v[42:43], v15, off
	s_or_b64 exec, exec, s[42:43]
	s_and_saveexec_b64 s[42:43], s[14:15]
	s_cbranch_execz .LBB365_266
.LBB365_333:
	v_sub_u32_e32 v42, v62, v4
	v_mov_b32_e32 v43, 0
	v_lshlrev_b64 v[42:43], 2, v[42:43]
	v_add_co_u32_e32 v42, vcc, v3, v42
	v_addc_co_u32_e32 v43, vcc, v5, v43, vcc
	global_store_dword v[42:43], v12, off
	s_or_b64 exec, exec, s[42:43]
	s_and_saveexec_b64 s[42:43], s[12:13]
	s_cbranch_execz .LBB365_267
.LBB365_334:
	v_sub_u32_e32 v42, v60, v4
	v_mov_b32_e32 v43, 0
	v_lshlrev_b64 v[42:43], 2, v[42:43]
	v_add_co_u32_e32 v42, vcc, v3, v42
	v_addc_co_u32_e32 v43, vcc, v5, v43, vcc
	global_store_dword v[42:43], v13, off
	s_or_b64 exec, exec, s[42:43]
	s_and_saveexec_b64 s[42:43], s[10:11]
	s_cbranch_execz .LBB365_268
.LBB365_335:
	v_sub_u32_e32 v42, v58, v4
	v_mov_b32_e32 v43, 0
	v_lshlrev_b64 v[42:43], 2, v[42:43]
	v_add_co_u32_e32 v42, vcc, v3, v42
	v_addc_co_u32_e32 v43, vcc, v5, v43, vcc
	global_store_dword v[42:43], v10, off
	s_or_b64 exec, exec, s[42:43]
	s_and_saveexec_b64 s[42:43], s[8:9]
	s_cbranch_execz .LBB365_269
.LBB365_336:
	v_sub_u32_e32 v42, v56, v4
	v_mov_b32_e32 v43, 0
	v_lshlrev_b64 v[42:43], 2, v[42:43]
	v_add_co_u32_e32 v42, vcc, v3, v42
	v_addc_co_u32_e32 v43, vcc, v5, v43, vcc
	global_store_dword v[42:43], v11, off
	s_or_b64 exec, exec, s[42:43]
	s_and_saveexec_b64 s[42:43], s[6:7]
	s_cbranch_execz .LBB365_270
.LBB365_337:
	v_sub_u32_e32 v42, v54, v4
	v_mov_b32_e32 v43, 0
	v_lshlrev_b64 v[42:43], 2, v[42:43]
	v_add_co_u32_e32 v42, vcc, v3, v42
	v_addc_co_u32_e32 v43, vcc, v5, v43, vcc
	global_store_dword v[42:43], v8, off
	s_or_b64 exec, exec, s[42:43]
	s_and_saveexec_b64 s[42:43], s[4:5]
	s_cbranch_execnz .LBB365_271
	s_branch .LBB365_272
.LBB365_338:
	v_sub_u32_e32 v40, v78, v4
	v_lshlrev_b32_e32 v40, 2, v40
	ds_write_b32 v40, v20
	s_or_b64 exec, exec, s[42:43]
	s_and_saveexec_b64 s[30:31], s[28:29]
	s_cbranch_execz .LBB365_276
.LBB365_339:
	v_sub_u32_e32 v20, v76, v4
	v_lshlrev_b32_e32 v20, 2, v20
	ds_write_b32 v20, v21
	s_or_b64 exec, exec, s[30:31]
	s_and_saveexec_b64 s[28:29], s[26:27]
	s_cbranch_execz .LBB365_277
.LBB365_340:
	v_sub_u32_e32 v20, v74, v4
	v_lshlrev_b32_e32 v20, 2, v20
	ds_write_b32 v20, v18
	s_or_b64 exec, exec, s[28:29]
	s_and_saveexec_b64 s[26:27], s[24:25]
	s_cbranch_execz .LBB365_278
.LBB365_341:
	v_sub_u32_e32 v18, v72, v4
	v_lshlrev_b32_e32 v18, 2, v18
	ds_write_b32 v18, v19
	s_or_b64 exec, exec, s[26:27]
	s_and_saveexec_b64 s[24:25], s[22:23]
	s_cbranch_execz .LBB365_279
.LBB365_342:
	v_sub_u32_e32 v18, v70, v4
	v_lshlrev_b32_e32 v18, 2, v18
	ds_write_b32 v18, v16
	s_or_b64 exec, exec, s[24:25]
	s_and_saveexec_b64 s[22:23], s[20:21]
	s_cbranch_execz .LBB365_280
.LBB365_343:
	v_sub_u32_e32 v16, v68, v4
	v_lshlrev_b32_e32 v16, 2, v16
	ds_write_b32 v16, v17
	s_or_b64 exec, exec, s[22:23]
	s_and_saveexec_b64 s[20:21], s[18:19]
	s_cbranch_execz .LBB365_281
.LBB365_344:
	v_sub_u32_e32 v16, v66, v4
	v_lshlrev_b32_e32 v16, 2, v16
	ds_write_b32 v16, v14
	s_or_b64 exec, exec, s[20:21]
	s_and_saveexec_b64 s[18:19], s[16:17]
	s_cbranch_execz .LBB365_282
.LBB365_345:
	v_sub_u32_e32 v14, v64, v4
	v_lshlrev_b32_e32 v14, 2, v14
	ds_write_b32 v14, v15
	s_or_b64 exec, exec, s[18:19]
	s_and_saveexec_b64 s[16:17], s[14:15]
	s_cbranch_execz .LBB365_283
.LBB365_346:
	v_sub_u32_e32 v14, v62, v4
	v_lshlrev_b32_e32 v14, 2, v14
	ds_write_b32 v14, v12
	s_or_b64 exec, exec, s[16:17]
	s_and_saveexec_b64 s[14:15], s[12:13]
	s_cbranch_execz .LBB365_284
.LBB365_347:
	v_sub_u32_e32 v12, v60, v4
	v_lshlrev_b32_e32 v12, 2, v12
	ds_write_b32 v12, v13
	s_or_b64 exec, exec, s[14:15]
	s_and_saveexec_b64 s[12:13], s[10:11]
	s_cbranch_execz .LBB365_285
.LBB365_348:
	v_sub_u32_e32 v12, v58, v4
	v_lshlrev_b32_e32 v12, 2, v12
	ds_write_b32 v12, v10
	s_or_b64 exec, exec, s[12:13]
	s_and_saveexec_b64 s[10:11], s[8:9]
	s_cbranch_execz .LBB365_286
.LBB365_349:
	v_sub_u32_e32 v10, v56, v4
	v_lshlrev_b32_e32 v10, 2, v10
	ds_write_b32 v10, v11
	s_or_b64 exec, exec, s[10:11]
	s_and_saveexec_b64 s[8:9], s[6:7]
	s_cbranch_execz .LBB365_287
.LBB365_350:
	v_sub_u32_e32 v10, v54, v4
	v_lshlrev_b32_e32 v10, 2, v10
	ds_write_b32 v10, v8
	s_or_b64 exec, exec, s[8:9]
	s_and_saveexec_b64 s[6:7], s[4:5]
	s_cbranch_execnz .LBB365_288
	s_branch .LBB365_289
.LBB365_351:
	v_sub_u32_e32 v16, v78, v9
	v_mov_b32_e32 v17, 0
	v_lshlrev_b64 v[16:17], 2, v[16:17]
	v_add_co_u32_e32 v16, vcc, v13, v16
	v_addc_co_u32_e32 v17, vcc, v14, v17, vcc
	global_store_dword v[16:17], v79, off
	s_or_b64 exec, exec, s[38:39]
	s_and_saveexec_b64 s[38:39], s[26:27]
	s_cbranch_execz .LBB365_293
.LBB365_352:
	v_sub_u32_e32 v16, v76, v9
	v_mov_b32_e32 v17, 0
	v_lshlrev_b64 v[16:17], 2, v[16:17]
	v_add_co_u32_e32 v16, vcc, v13, v16
	v_addc_co_u32_e32 v17, vcc, v14, v17, vcc
	global_store_dword v[16:17], v77, off
	s_or_b64 exec, exec, s[38:39]
	s_and_saveexec_b64 s[38:39], s[24:25]
	s_cbranch_execz .LBB365_294
.LBB365_353:
	v_sub_u32_e32 v16, v74, v9
	v_mov_b32_e32 v17, 0
	v_lshlrev_b64 v[16:17], 2, v[16:17]
	v_add_co_u32_e32 v16, vcc, v13, v16
	v_addc_co_u32_e32 v17, vcc, v14, v17, vcc
	global_store_dword v[16:17], v75, off
	s_or_b64 exec, exec, s[38:39]
	s_and_saveexec_b64 s[38:39], s[22:23]
	s_cbranch_execz .LBB365_295
.LBB365_354:
	v_sub_u32_e32 v16, v72, v9
	v_mov_b32_e32 v17, 0
	v_lshlrev_b64 v[16:17], 2, v[16:17]
	v_add_co_u32_e32 v16, vcc, v13, v16
	v_addc_co_u32_e32 v17, vcc, v14, v17, vcc
	global_store_dword v[16:17], v73, off
	s_or_b64 exec, exec, s[38:39]
	s_and_saveexec_b64 s[38:39], s[20:21]
	s_cbranch_execz .LBB365_296
.LBB365_355:
	v_sub_u32_e32 v16, v70, v9
	v_mov_b32_e32 v17, 0
	v_lshlrev_b64 v[16:17], 2, v[16:17]
	v_add_co_u32_e32 v16, vcc, v13, v16
	v_addc_co_u32_e32 v17, vcc, v14, v17, vcc
	global_store_dword v[16:17], v71, off
	s_or_b64 exec, exec, s[38:39]
	s_and_saveexec_b64 s[38:39], s[18:19]
	s_cbranch_execz .LBB365_297
.LBB365_356:
	v_sub_u32_e32 v16, v68, v9
	v_mov_b32_e32 v17, 0
	v_lshlrev_b64 v[16:17], 2, v[16:17]
	v_add_co_u32_e32 v16, vcc, v13, v16
	v_addc_co_u32_e32 v17, vcc, v14, v17, vcc
	global_store_dword v[16:17], v69, off
	s_or_b64 exec, exec, s[38:39]
	s_and_saveexec_b64 s[38:39], s[16:17]
	s_cbranch_execz .LBB365_298
.LBB365_357:
	v_sub_u32_e32 v16, v66, v9
	v_mov_b32_e32 v17, 0
	v_lshlrev_b64 v[16:17], 2, v[16:17]
	v_add_co_u32_e32 v16, vcc, v13, v16
	v_addc_co_u32_e32 v17, vcc, v14, v17, vcc
	global_store_dword v[16:17], v67, off
	s_or_b64 exec, exec, s[38:39]
	s_and_saveexec_b64 s[38:39], s[14:15]
	s_cbranch_execz .LBB365_299
.LBB365_358:
	v_sub_u32_e32 v16, v64, v9
	v_mov_b32_e32 v17, 0
	v_lshlrev_b64 v[16:17], 2, v[16:17]
	v_add_co_u32_e32 v16, vcc, v13, v16
	v_addc_co_u32_e32 v17, vcc, v14, v17, vcc
	global_store_dword v[16:17], v65, off
	s_or_b64 exec, exec, s[38:39]
	s_and_saveexec_b64 s[38:39], s[12:13]
	s_cbranch_execz .LBB365_300
.LBB365_359:
	v_sub_u32_e32 v16, v62, v9
	v_mov_b32_e32 v17, 0
	v_lshlrev_b64 v[16:17], 2, v[16:17]
	v_add_co_u32_e32 v16, vcc, v13, v16
	v_addc_co_u32_e32 v17, vcc, v14, v17, vcc
	global_store_dword v[16:17], v63, off
	s_or_b64 exec, exec, s[38:39]
	s_and_saveexec_b64 s[38:39], s[10:11]
	s_cbranch_execz .LBB365_301
.LBB365_360:
	v_sub_u32_e32 v16, v60, v9
	v_mov_b32_e32 v17, 0
	v_lshlrev_b64 v[16:17], 2, v[16:17]
	v_add_co_u32_e32 v16, vcc, v13, v16
	v_addc_co_u32_e32 v17, vcc, v14, v17, vcc
	global_store_dword v[16:17], v61, off
	s_or_b64 exec, exec, s[38:39]
	s_and_saveexec_b64 s[38:39], s[8:9]
	s_cbranch_execz .LBB365_302
.LBB365_361:
	v_sub_u32_e32 v16, v58, v9
	v_mov_b32_e32 v17, 0
	v_lshlrev_b64 v[16:17], 2, v[16:17]
	v_add_co_u32_e32 v16, vcc, v13, v16
	v_addc_co_u32_e32 v17, vcc, v14, v17, vcc
	global_store_dword v[16:17], v59, off
	s_or_b64 exec, exec, s[38:39]
	s_and_saveexec_b64 s[38:39], s[6:7]
	s_cbranch_execz .LBB365_303
.LBB365_362:
	v_sub_u32_e32 v16, v56, v9
	v_mov_b32_e32 v17, 0
	v_lshlrev_b64 v[16:17], 2, v[16:17]
	v_add_co_u32_e32 v16, vcc, v13, v16
	v_addc_co_u32_e32 v17, vcc, v14, v17, vcc
	global_store_dword v[16:17], v57, off
	s_or_b64 exec, exec, s[38:39]
	s_and_saveexec_b64 s[38:39], s[4:5]
	s_cbranch_execz .LBB365_304
.LBB365_363:
	v_sub_u32_e32 v16, v54, v9
	v_mov_b32_e32 v17, 0
	v_lshlrev_b64 v[16:17], 2, v[16:17]
	v_add_co_u32_e32 v16, vcc, v13, v16
	v_addc_co_u32_e32 v17, vcc, v14, v17, vcc
	global_store_dword v[16:17], v55, off
	s_or_b64 exec, exec, s[38:39]
	s_and_saveexec_b64 s[38:39], s[2:3]
	s_cbranch_execnz .LBB365_305
	s_branch .LBB365_306
.LBB365_364:
	v_sub_u32_e32 v10, v78, v9
	v_lshlrev_b32_e32 v10, 2, v10
	ds_write_b32 v10, v79
	s_or_b64 exec, exec, s[38:39]
	s_and_saveexec_b64 s[28:29], s[26:27]
	s_cbranch_execz .LBB365_310
.LBB365_365:
	v_sub_u32_e32 v10, v76, v9
	v_lshlrev_b32_e32 v10, 2, v10
	ds_write_b32 v10, v77
	s_or_b64 exec, exec, s[28:29]
	s_and_saveexec_b64 s[26:27], s[24:25]
	s_cbranch_execz .LBB365_311
.LBB365_366:
	v_sub_u32_e32 v10, v74, v9
	v_lshlrev_b32_e32 v10, 2, v10
	ds_write_b32 v10, v75
	s_or_b64 exec, exec, s[26:27]
	s_and_saveexec_b64 s[24:25], s[22:23]
	s_cbranch_execz .LBB365_312
.LBB365_367:
	v_sub_u32_e32 v10, v72, v9
	v_lshlrev_b32_e32 v10, 2, v10
	ds_write_b32 v10, v73
	s_or_b64 exec, exec, s[24:25]
	s_and_saveexec_b64 s[22:23], s[20:21]
	s_cbranch_execz .LBB365_313
.LBB365_368:
	v_sub_u32_e32 v10, v70, v9
	v_lshlrev_b32_e32 v10, 2, v10
	ds_write_b32 v10, v71
	s_or_b64 exec, exec, s[22:23]
	s_and_saveexec_b64 s[20:21], s[18:19]
	s_cbranch_execz .LBB365_314
.LBB365_369:
	v_sub_u32_e32 v10, v68, v9
	v_lshlrev_b32_e32 v10, 2, v10
	ds_write_b32 v10, v69
	s_or_b64 exec, exec, s[20:21]
	s_and_saveexec_b64 s[18:19], s[16:17]
	s_cbranch_execz .LBB365_315
.LBB365_370:
	v_sub_u32_e32 v10, v66, v9
	v_lshlrev_b32_e32 v10, 2, v10
	ds_write_b32 v10, v67
	s_or_b64 exec, exec, s[18:19]
	s_and_saveexec_b64 s[16:17], s[14:15]
	s_cbranch_execz .LBB365_316
.LBB365_371:
	v_sub_u32_e32 v10, v64, v9
	v_lshlrev_b32_e32 v10, 2, v10
	ds_write_b32 v10, v65
	s_or_b64 exec, exec, s[16:17]
	s_and_saveexec_b64 s[14:15], s[12:13]
	s_cbranch_execz .LBB365_317
.LBB365_372:
	v_sub_u32_e32 v10, v62, v9
	v_lshlrev_b32_e32 v10, 2, v10
	ds_write_b32 v10, v63
	s_or_b64 exec, exec, s[14:15]
	s_and_saveexec_b64 s[12:13], s[10:11]
	s_cbranch_execz .LBB365_318
.LBB365_373:
	v_sub_u32_e32 v10, v60, v9
	v_lshlrev_b32_e32 v10, 2, v10
	ds_write_b32 v10, v61
	s_or_b64 exec, exec, s[12:13]
	s_and_saveexec_b64 s[10:11], s[8:9]
	s_cbranch_execz .LBB365_319
.LBB365_374:
	v_sub_u32_e32 v10, v58, v9
	v_lshlrev_b32_e32 v10, 2, v10
	ds_write_b32 v10, v59
	s_or_b64 exec, exec, s[10:11]
	s_and_saveexec_b64 s[8:9], s[6:7]
	s_cbranch_execz .LBB365_320
.LBB365_375:
	v_sub_u32_e32 v10, v56, v9
	v_lshlrev_b32_e32 v10, 2, v10
	ds_write_b32 v10, v57
	s_or_b64 exec, exec, s[8:9]
	s_and_saveexec_b64 s[6:7], s[4:5]
	s_cbranch_execz .LBB365_321
.LBB365_376:
	v_sub_u32_e32 v10, v54, v9
	v_lshlrev_b32_e32 v10, 2, v10
	ds_write_b32 v10, v55
	s_or_b64 exec, exec, s[6:7]
	s_and_saveexec_b64 s[4:5], s[2:3]
	s_cbranch_execnz .LBB365_322
	s_branch .LBB365_323
	.section	.rodata,"a",@progbits
	.p2align	6, 0x0
	.amdhsa_kernel _ZN7rocprim17ROCPRIM_400000_NS6detail17trampoline_kernelINS0_14default_configENS1_29reduce_by_key_config_selectorIjjN6thrust23THRUST_200600_302600_NS4plusIjEEEEZZNS1_33reduce_by_key_impl_wrapped_configILNS1_25lookback_scan_determinismE0ES3_S9_NS6_6detail15normal_iteratorINS6_10device_ptrIjEEEESG_SG_SG_PmS8_22is_equal_div_10_reduceIjEEE10hipError_tPvRmT2_T3_mT4_T5_T6_T7_T8_P12ihipStream_tbENKUlT_T0_E_clISt17integral_constantIbLb1EES11_EEDaSW_SX_EUlSW_E_NS1_11comp_targetILNS1_3genE4ELNS1_11target_archE910ELNS1_3gpuE8ELNS1_3repE0EEENS1_30default_config_static_selectorELNS0_4arch9wavefront6targetE1EEEvT1_
		.amdhsa_group_segment_fixed_size 15360
		.amdhsa_private_segment_fixed_size 0
		.amdhsa_kernarg_size 120
		.amdhsa_user_sgpr_count 6
		.amdhsa_user_sgpr_private_segment_buffer 1
		.amdhsa_user_sgpr_dispatch_ptr 0
		.amdhsa_user_sgpr_queue_ptr 0
		.amdhsa_user_sgpr_kernarg_segment_ptr 1
		.amdhsa_user_sgpr_dispatch_id 0
		.amdhsa_user_sgpr_flat_scratch_init 0
		.amdhsa_user_sgpr_kernarg_preload_length 0
		.amdhsa_user_sgpr_kernarg_preload_offset 0
		.amdhsa_user_sgpr_private_segment_size 0
		.amdhsa_uses_dynamic_stack 0
		.amdhsa_system_sgpr_private_segment_wavefront_offset 0
		.amdhsa_system_sgpr_workgroup_id_x 1
		.amdhsa_system_sgpr_workgroup_id_y 0
		.amdhsa_system_sgpr_workgroup_id_z 0
		.amdhsa_system_sgpr_workgroup_info 0
		.amdhsa_system_vgpr_workitem_id 0
		.amdhsa_next_free_vgpr 108
		.amdhsa_next_free_sgpr 66
		.amdhsa_accum_offset 108
		.amdhsa_reserve_vcc 1
		.amdhsa_reserve_flat_scratch 0
		.amdhsa_float_round_mode_32 0
		.amdhsa_float_round_mode_16_64 0
		.amdhsa_float_denorm_mode_32 3
		.amdhsa_float_denorm_mode_16_64 3
		.amdhsa_dx10_clamp 1
		.amdhsa_ieee_mode 1
		.amdhsa_fp16_overflow 0
		.amdhsa_tg_split 0
		.amdhsa_exception_fp_ieee_invalid_op 0
		.amdhsa_exception_fp_denorm_src 0
		.amdhsa_exception_fp_ieee_div_zero 0
		.amdhsa_exception_fp_ieee_overflow 0
		.amdhsa_exception_fp_ieee_underflow 0
		.amdhsa_exception_fp_ieee_inexact 0
		.amdhsa_exception_int_div_zero 0
	.end_amdhsa_kernel
	.section	.text._ZN7rocprim17ROCPRIM_400000_NS6detail17trampoline_kernelINS0_14default_configENS1_29reduce_by_key_config_selectorIjjN6thrust23THRUST_200600_302600_NS4plusIjEEEEZZNS1_33reduce_by_key_impl_wrapped_configILNS1_25lookback_scan_determinismE0ES3_S9_NS6_6detail15normal_iteratorINS6_10device_ptrIjEEEESG_SG_SG_PmS8_22is_equal_div_10_reduceIjEEE10hipError_tPvRmT2_T3_mT4_T5_T6_T7_T8_P12ihipStream_tbENKUlT_T0_E_clISt17integral_constantIbLb1EES11_EEDaSW_SX_EUlSW_E_NS1_11comp_targetILNS1_3genE4ELNS1_11target_archE910ELNS1_3gpuE8ELNS1_3repE0EEENS1_30default_config_static_selectorELNS0_4arch9wavefront6targetE1EEEvT1_,"axG",@progbits,_ZN7rocprim17ROCPRIM_400000_NS6detail17trampoline_kernelINS0_14default_configENS1_29reduce_by_key_config_selectorIjjN6thrust23THRUST_200600_302600_NS4plusIjEEEEZZNS1_33reduce_by_key_impl_wrapped_configILNS1_25lookback_scan_determinismE0ES3_S9_NS6_6detail15normal_iteratorINS6_10device_ptrIjEEEESG_SG_SG_PmS8_22is_equal_div_10_reduceIjEEE10hipError_tPvRmT2_T3_mT4_T5_T6_T7_T8_P12ihipStream_tbENKUlT_T0_E_clISt17integral_constantIbLb1EES11_EEDaSW_SX_EUlSW_E_NS1_11comp_targetILNS1_3genE4ELNS1_11target_archE910ELNS1_3gpuE8ELNS1_3repE0EEENS1_30default_config_static_selectorELNS0_4arch9wavefront6targetE1EEEvT1_,comdat
.Lfunc_end365:
	.size	_ZN7rocprim17ROCPRIM_400000_NS6detail17trampoline_kernelINS0_14default_configENS1_29reduce_by_key_config_selectorIjjN6thrust23THRUST_200600_302600_NS4plusIjEEEEZZNS1_33reduce_by_key_impl_wrapped_configILNS1_25lookback_scan_determinismE0ES3_S9_NS6_6detail15normal_iteratorINS6_10device_ptrIjEEEESG_SG_SG_PmS8_22is_equal_div_10_reduceIjEEE10hipError_tPvRmT2_T3_mT4_T5_T6_T7_T8_P12ihipStream_tbENKUlT_T0_E_clISt17integral_constantIbLb1EES11_EEDaSW_SX_EUlSW_E_NS1_11comp_targetILNS1_3genE4ELNS1_11target_archE910ELNS1_3gpuE8ELNS1_3repE0EEENS1_30default_config_static_selectorELNS0_4arch9wavefront6targetE1EEEvT1_, .Lfunc_end365-_ZN7rocprim17ROCPRIM_400000_NS6detail17trampoline_kernelINS0_14default_configENS1_29reduce_by_key_config_selectorIjjN6thrust23THRUST_200600_302600_NS4plusIjEEEEZZNS1_33reduce_by_key_impl_wrapped_configILNS1_25lookback_scan_determinismE0ES3_S9_NS6_6detail15normal_iteratorINS6_10device_ptrIjEEEESG_SG_SG_PmS8_22is_equal_div_10_reduceIjEEE10hipError_tPvRmT2_T3_mT4_T5_T6_T7_T8_P12ihipStream_tbENKUlT_T0_E_clISt17integral_constantIbLb1EES11_EEDaSW_SX_EUlSW_E_NS1_11comp_targetILNS1_3genE4ELNS1_11target_archE910ELNS1_3gpuE8ELNS1_3repE0EEENS1_30default_config_static_selectorELNS0_4arch9wavefront6targetE1EEEvT1_
                                        ; -- End function
	.section	.AMDGPU.csdata,"",@progbits
; Kernel info:
; codeLenInByte = 19340
; NumSgprs: 70
; NumVgprs: 108
; NumAgprs: 0
; TotalNumVgprs: 108
; ScratchSize: 0
; MemoryBound: 0
; FloatMode: 240
; IeeeMode: 1
; LDSByteSize: 15360 bytes/workgroup (compile time only)
; SGPRBlocks: 8
; VGPRBlocks: 13
; NumSGPRsForWavesPerEU: 70
; NumVGPRsForWavesPerEU: 108
; AccumOffset: 108
; Occupancy: 4
; WaveLimiterHint : 1
; COMPUTE_PGM_RSRC2:SCRATCH_EN: 0
; COMPUTE_PGM_RSRC2:USER_SGPR: 6
; COMPUTE_PGM_RSRC2:TRAP_HANDLER: 0
; COMPUTE_PGM_RSRC2:TGID_X_EN: 1
; COMPUTE_PGM_RSRC2:TGID_Y_EN: 0
; COMPUTE_PGM_RSRC2:TGID_Z_EN: 0
; COMPUTE_PGM_RSRC2:TIDIG_COMP_CNT: 0
; COMPUTE_PGM_RSRC3_GFX90A:ACCUM_OFFSET: 26
; COMPUTE_PGM_RSRC3_GFX90A:TG_SPLIT: 0
	.section	.text._ZN7rocprim17ROCPRIM_400000_NS6detail17trampoline_kernelINS0_14default_configENS1_29reduce_by_key_config_selectorIjjN6thrust23THRUST_200600_302600_NS4plusIjEEEEZZNS1_33reduce_by_key_impl_wrapped_configILNS1_25lookback_scan_determinismE0ES3_S9_NS6_6detail15normal_iteratorINS6_10device_ptrIjEEEESG_SG_SG_PmS8_22is_equal_div_10_reduceIjEEE10hipError_tPvRmT2_T3_mT4_T5_T6_T7_T8_P12ihipStream_tbENKUlT_T0_E_clISt17integral_constantIbLb1EES11_EEDaSW_SX_EUlSW_E_NS1_11comp_targetILNS1_3genE3ELNS1_11target_archE908ELNS1_3gpuE7ELNS1_3repE0EEENS1_30default_config_static_selectorELNS0_4arch9wavefront6targetE1EEEvT1_,"axG",@progbits,_ZN7rocprim17ROCPRIM_400000_NS6detail17trampoline_kernelINS0_14default_configENS1_29reduce_by_key_config_selectorIjjN6thrust23THRUST_200600_302600_NS4plusIjEEEEZZNS1_33reduce_by_key_impl_wrapped_configILNS1_25lookback_scan_determinismE0ES3_S9_NS6_6detail15normal_iteratorINS6_10device_ptrIjEEEESG_SG_SG_PmS8_22is_equal_div_10_reduceIjEEE10hipError_tPvRmT2_T3_mT4_T5_T6_T7_T8_P12ihipStream_tbENKUlT_T0_E_clISt17integral_constantIbLb1EES11_EEDaSW_SX_EUlSW_E_NS1_11comp_targetILNS1_3genE3ELNS1_11target_archE908ELNS1_3gpuE7ELNS1_3repE0EEENS1_30default_config_static_selectorELNS0_4arch9wavefront6targetE1EEEvT1_,comdat
	.protected	_ZN7rocprim17ROCPRIM_400000_NS6detail17trampoline_kernelINS0_14default_configENS1_29reduce_by_key_config_selectorIjjN6thrust23THRUST_200600_302600_NS4plusIjEEEEZZNS1_33reduce_by_key_impl_wrapped_configILNS1_25lookback_scan_determinismE0ES3_S9_NS6_6detail15normal_iteratorINS6_10device_ptrIjEEEESG_SG_SG_PmS8_22is_equal_div_10_reduceIjEEE10hipError_tPvRmT2_T3_mT4_T5_T6_T7_T8_P12ihipStream_tbENKUlT_T0_E_clISt17integral_constantIbLb1EES11_EEDaSW_SX_EUlSW_E_NS1_11comp_targetILNS1_3genE3ELNS1_11target_archE908ELNS1_3gpuE7ELNS1_3repE0EEENS1_30default_config_static_selectorELNS0_4arch9wavefront6targetE1EEEvT1_ ; -- Begin function _ZN7rocprim17ROCPRIM_400000_NS6detail17trampoline_kernelINS0_14default_configENS1_29reduce_by_key_config_selectorIjjN6thrust23THRUST_200600_302600_NS4plusIjEEEEZZNS1_33reduce_by_key_impl_wrapped_configILNS1_25lookback_scan_determinismE0ES3_S9_NS6_6detail15normal_iteratorINS6_10device_ptrIjEEEESG_SG_SG_PmS8_22is_equal_div_10_reduceIjEEE10hipError_tPvRmT2_T3_mT4_T5_T6_T7_T8_P12ihipStream_tbENKUlT_T0_E_clISt17integral_constantIbLb1EES11_EEDaSW_SX_EUlSW_E_NS1_11comp_targetILNS1_3genE3ELNS1_11target_archE908ELNS1_3gpuE7ELNS1_3repE0EEENS1_30default_config_static_selectorELNS0_4arch9wavefront6targetE1EEEvT1_
	.globl	_ZN7rocprim17ROCPRIM_400000_NS6detail17trampoline_kernelINS0_14default_configENS1_29reduce_by_key_config_selectorIjjN6thrust23THRUST_200600_302600_NS4plusIjEEEEZZNS1_33reduce_by_key_impl_wrapped_configILNS1_25lookback_scan_determinismE0ES3_S9_NS6_6detail15normal_iteratorINS6_10device_ptrIjEEEESG_SG_SG_PmS8_22is_equal_div_10_reduceIjEEE10hipError_tPvRmT2_T3_mT4_T5_T6_T7_T8_P12ihipStream_tbENKUlT_T0_E_clISt17integral_constantIbLb1EES11_EEDaSW_SX_EUlSW_E_NS1_11comp_targetILNS1_3genE3ELNS1_11target_archE908ELNS1_3gpuE7ELNS1_3repE0EEENS1_30default_config_static_selectorELNS0_4arch9wavefront6targetE1EEEvT1_
	.p2align	8
	.type	_ZN7rocprim17ROCPRIM_400000_NS6detail17trampoline_kernelINS0_14default_configENS1_29reduce_by_key_config_selectorIjjN6thrust23THRUST_200600_302600_NS4plusIjEEEEZZNS1_33reduce_by_key_impl_wrapped_configILNS1_25lookback_scan_determinismE0ES3_S9_NS6_6detail15normal_iteratorINS6_10device_ptrIjEEEESG_SG_SG_PmS8_22is_equal_div_10_reduceIjEEE10hipError_tPvRmT2_T3_mT4_T5_T6_T7_T8_P12ihipStream_tbENKUlT_T0_E_clISt17integral_constantIbLb1EES11_EEDaSW_SX_EUlSW_E_NS1_11comp_targetILNS1_3genE3ELNS1_11target_archE908ELNS1_3gpuE7ELNS1_3repE0EEENS1_30default_config_static_selectorELNS0_4arch9wavefront6targetE1EEEvT1_,@function
_ZN7rocprim17ROCPRIM_400000_NS6detail17trampoline_kernelINS0_14default_configENS1_29reduce_by_key_config_selectorIjjN6thrust23THRUST_200600_302600_NS4plusIjEEEEZZNS1_33reduce_by_key_impl_wrapped_configILNS1_25lookback_scan_determinismE0ES3_S9_NS6_6detail15normal_iteratorINS6_10device_ptrIjEEEESG_SG_SG_PmS8_22is_equal_div_10_reduceIjEEE10hipError_tPvRmT2_T3_mT4_T5_T6_T7_T8_P12ihipStream_tbENKUlT_T0_E_clISt17integral_constantIbLb1EES11_EEDaSW_SX_EUlSW_E_NS1_11comp_targetILNS1_3genE3ELNS1_11target_archE908ELNS1_3gpuE7ELNS1_3repE0EEENS1_30default_config_static_selectorELNS0_4arch9wavefront6targetE1EEEvT1_: ; @_ZN7rocprim17ROCPRIM_400000_NS6detail17trampoline_kernelINS0_14default_configENS1_29reduce_by_key_config_selectorIjjN6thrust23THRUST_200600_302600_NS4plusIjEEEEZZNS1_33reduce_by_key_impl_wrapped_configILNS1_25lookback_scan_determinismE0ES3_S9_NS6_6detail15normal_iteratorINS6_10device_ptrIjEEEESG_SG_SG_PmS8_22is_equal_div_10_reduceIjEEE10hipError_tPvRmT2_T3_mT4_T5_T6_T7_T8_P12ihipStream_tbENKUlT_T0_E_clISt17integral_constantIbLb1EES11_EEDaSW_SX_EUlSW_E_NS1_11comp_targetILNS1_3genE3ELNS1_11target_archE908ELNS1_3gpuE7ELNS1_3repE0EEENS1_30default_config_static_selectorELNS0_4arch9wavefront6targetE1EEEvT1_
; %bb.0:
	.section	.rodata,"a",@progbits
	.p2align	6, 0x0
	.amdhsa_kernel _ZN7rocprim17ROCPRIM_400000_NS6detail17trampoline_kernelINS0_14default_configENS1_29reduce_by_key_config_selectorIjjN6thrust23THRUST_200600_302600_NS4plusIjEEEEZZNS1_33reduce_by_key_impl_wrapped_configILNS1_25lookback_scan_determinismE0ES3_S9_NS6_6detail15normal_iteratorINS6_10device_ptrIjEEEESG_SG_SG_PmS8_22is_equal_div_10_reduceIjEEE10hipError_tPvRmT2_T3_mT4_T5_T6_T7_T8_P12ihipStream_tbENKUlT_T0_E_clISt17integral_constantIbLb1EES11_EEDaSW_SX_EUlSW_E_NS1_11comp_targetILNS1_3genE3ELNS1_11target_archE908ELNS1_3gpuE7ELNS1_3repE0EEENS1_30default_config_static_selectorELNS0_4arch9wavefront6targetE1EEEvT1_
		.amdhsa_group_segment_fixed_size 0
		.amdhsa_private_segment_fixed_size 0
		.amdhsa_kernarg_size 120
		.amdhsa_user_sgpr_count 6
		.amdhsa_user_sgpr_private_segment_buffer 1
		.amdhsa_user_sgpr_dispatch_ptr 0
		.amdhsa_user_sgpr_queue_ptr 0
		.amdhsa_user_sgpr_kernarg_segment_ptr 1
		.amdhsa_user_sgpr_dispatch_id 0
		.amdhsa_user_sgpr_flat_scratch_init 0
		.amdhsa_user_sgpr_kernarg_preload_length 0
		.amdhsa_user_sgpr_kernarg_preload_offset 0
		.amdhsa_user_sgpr_private_segment_size 0
		.amdhsa_uses_dynamic_stack 0
		.amdhsa_system_sgpr_private_segment_wavefront_offset 0
		.amdhsa_system_sgpr_workgroup_id_x 1
		.amdhsa_system_sgpr_workgroup_id_y 0
		.amdhsa_system_sgpr_workgroup_id_z 0
		.amdhsa_system_sgpr_workgroup_info 0
		.amdhsa_system_vgpr_workitem_id 0
		.amdhsa_next_free_vgpr 1
		.amdhsa_next_free_sgpr 0
		.amdhsa_accum_offset 4
		.amdhsa_reserve_vcc 0
		.amdhsa_reserve_flat_scratch 0
		.amdhsa_float_round_mode_32 0
		.amdhsa_float_round_mode_16_64 0
		.amdhsa_float_denorm_mode_32 3
		.amdhsa_float_denorm_mode_16_64 3
		.amdhsa_dx10_clamp 1
		.amdhsa_ieee_mode 1
		.amdhsa_fp16_overflow 0
		.amdhsa_tg_split 0
		.amdhsa_exception_fp_ieee_invalid_op 0
		.amdhsa_exception_fp_denorm_src 0
		.amdhsa_exception_fp_ieee_div_zero 0
		.amdhsa_exception_fp_ieee_overflow 0
		.amdhsa_exception_fp_ieee_underflow 0
		.amdhsa_exception_fp_ieee_inexact 0
		.amdhsa_exception_int_div_zero 0
	.end_amdhsa_kernel
	.section	.text._ZN7rocprim17ROCPRIM_400000_NS6detail17trampoline_kernelINS0_14default_configENS1_29reduce_by_key_config_selectorIjjN6thrust23THRUST_200600_302600_NS4plusIjEEEEZZNS1_33reduce_by_key_impl_wrapped_configILNS1_25lookback_scan_determinismE0ES3_S9_NS6_6detail15normal_iteratorINS6_10device_ptrIjEEEESG_SG_SG_PmS8_22is_equal_div_10_reduceIjEEE10hipError_tPvRmT2_T3_mT4_T5_T6_T7_T8_P12ihipStream_tbENKUlT_T0_E_clISt17integral_constantIbLb1EES11_EEDaSW_SX_EUlSW_E_NS1_11comp_targetILNS1_3genE3ELNS1_11target_archE908ELNS1_3gpuE7ELNS1_3repE0EEENS1_30default_config_static_selectorELNS0_4arch9wavefront6targetE1EEEvT1_,"axG",@progbits,_ZN7rocprim17ROCPRIM_400000_NS6detail17trampoline_kernelINS0_14default_configENS1_29reduce_by_key_config_selectorIjjN6thrust23THRUST_200600_302600_NS4plusIjEEEEZZNS1_33reduce_by_key_impl_wrapped_configILNS1_25lookback_scan_determinismE0ES3_S9_NS6_6detail15normal_iteratorINS6_10device_ptrIjEEEESG_SG_SG_PmS8_22is_equal_div_10_reduceIjEEE10hipError_tPvRmT2_T3_mT4_T5_T6_T7_T8_P12ihipStream_tbENKUlT_T0_E_clISt17integral_constantIbLb1EES11_EEDaSW_SX_EUlSW_E_NS1_11comp_targetILNS1_3genE3ELNS1_11target_archE908ELNS1_3gpuE7ELNS1_3repE0EEENS1_30default_config_static_selectorELNS0_4arch9wavefront6targetE1EEEvT1_,comdat
.Lfunc_end366:
	.size	_ZN7rocprim17ROCPRIM_400000_NS6detail17trampoline_kernelINS0_14default_configENS1_29reduce_by_key_config_selectorIjjN6thrust23THRUST_200600_302600_NS4plusIjEEEEZZNS1_33reduce_by_key_impl_wrapped_configILNS1_25lookback_scan_determinismE0ES3_S9_NS6_6detail15normal_iteratorINS6_10device_ptrIjEEEESG_SG_SG_PmS8_22is_equal_div_10_reduceIjEEE10hipError_tPvRmT2_T3_mT4_T5_T6_T7_T8_P12ihipStream_tbENKUlT_T0_E_clISt17integral_constantIbLb1EES11_EEDaSW_SX_EUlSW_E_NS1_11comp_targetILNS1_3genE3ELNS1_11target_archE908ELNS1_3gpuE7ELNS1_3repE0EEENS1_30default_config_static_selectorELNS0_4arch9wavefront6targetE1EEEvT1_, .Lfunc_end366-_ZN7rocprim17ROCPRIM_400000_NS6detail17trampoline_kernelINS0_14default_configENS1_29reduce_by_key_config_selectorIjjN6thrust23THRUST_200600_302600_NS4plusIjEEEEZZNS1_33reduce_by_key_impl_wrapped_configILNS1_25lookback_scan_determinismE0ES3_S9_NS6_6detail15normal_iteratorINS6_10device_ptrIjEEEESG_SG_SG_PmS8_22is_equal_div_10_reduceIjEEE10hipError_tPvRmT2_T3_mT4_T5_T6_T7_T8_P12ihipStream_tbENKUlT_T0_E_clISt17integral_constantIbLb1EES11_EEDaSW_SX_EUlSW_E_NS1_11comp_targetILNS1_3genE3ELNS1_11target_archE908ELNS1_3gpuE7ELNS1_3repE0EEENS1_30default_config_static_selectorELNS0_4arch9wavefront6targetE1EEEvT1_
                                        ; -- End function
	.section	.AMDGPU.csdata,"",@progbits
; Kernel info:
; codeLenInByte = 0
; NumSgprs: 4
; NumVgprs: 0
; NumAgprs: 0
; TotalNumVgprs: 0
; ScratchSize: 0
; MemoryBound: 0
; FloatMode: 240
; IeeeMode: 1
; LDSByteSize: 0 bytes/workgroup (compile time only)
; SGPRBlocks: 0
; VGPRBlocks: 0
; NumSGPRsForWavesPerEU: 4
; NumVGPRsForWavesPerEU: 1
; AccumOffset: 4
; Occupancy: 8
; WaveLimiterHint : 0
; COMPUTE_PGM_RSRC2:SCRATCH_EN: 0
; COMPUTE_PGM_RSRC2:USER_SGPR: 6
; COMPUTE_PGM_RSRC2:TRAP_HANDLER: 0
; COMPUTE_PGM_RSRC2:TGID_X_EN: 1
; COMPUTE_PGM_RSRC2:TGID_Y_EN: 0
; COMPUTE_PGM_RSRC2:TGID_Z_EN: 0
; COMPUTE_PGM_RSRC2:TIDIG_COMP_CNT: 0
; COMPUTE_PGM_RSRC3_GFX90A:ACCUM_OFFSET: 0
; COMPUTE_PGM_RSRC3_GFX90A:TG_SPLIT: 0
	.section	.text._ZN7rocprim17ROCPRIM_400000_NS6detail17trampoline_kernelINS0_14default_configENS1_29reduce_by_key_config_selectorIjjN6thrust23THRUST_200600_302600_NS4plusIjEEEEZZNS1_33reduce_by_key_impl_wrapped_configILNS1_25lookback_scan_determinismE0ES3_S9_NS6_6detail15normal_iteratorINS6_10device_ptrIjEEEESG_SG_SG_PmS8_22is_equal_div_10_reduceIjEEE10hipError_tPvRmT2_T3_mT4_T5_T6_T7_T8_P12ihipStream_tbENKUlT_T0_E_clISt17integral_constantIbLb1EES11_EEDaSW_SX_EUlSW_E_NS1_11comp_targetILNS1_3genE2ELNS1_11target_archE906ELNS1_3gpuE6ELNS1_3repE0EEENS1_30default_config_static_selectorELNS0_4arch9wavefront6targetE1EEEvT1_,"axG",@progbits,_ZN7rocprim17ROCPRIM_400000_NS6detail17trampoline_kernelINS0_14default_configENS1_29reduce_by_key_config_selectorIjjN6thrust23THRUST_200600_302600_NS4plusIjEEEEZZNS1_33reduce_by_key_impl_wrapped_configILNS1_25lookback_scan_determinismE0ES3_S9_NS6_6detail15normal_iteratorINS6_10device_ptrIjEEEESG_SG_SG_PmS8_22is_equal_div_10_reduceIjEEE10hipError_tPvRmT2_T3_mT4_T5_T6_T7_T8_P12ihipStream_tbENKUlT_T0_E_clISt17integral_constantIbLb1EES11_EEDaSW_SX_EUlSW_E_NS1_11comp_targetILNS1_3genE2ELNS1_11target_archE906ELNS1_3gpuE6ELNS1_3repE0EEENS1_30default_config_static_selectorELNS0_4arch9wavefront6targetE1EEEvT1_,comdat
	.protected	_ZN7rocprim17ROCPRIM_400000_NS6detail17trampoline_kernelINS0_14default_configENS1_29reduce_by_key_config_selectorIjjN6thrust23THRUST_200600_302600_NS4plusIjEEEEZZNS1_33reduce_by_key_impl_wrapped_configILNS1_25lookback_scan_determinismE0ES3_S9_NS6_6detail15normal_iteratorINS6_10device_ptrIjEEEESG_SG_SG_PmS8_22is_equal_div_10_reduceIjEEE10hipError_tPvRmT2_T3_mT4_T5_T6_T7_T8_P12ihipStream_tbENKUlT_T0_E_clISt17integral_constantIbLb1EES11_EEDaSW_SX_EUlSW_E_NS1_11comp_targetILNS1_3genE2ELNS1_11target_archE906ELNS1_3gpuE6ELNS1_3repE0EEENS1_30default_config_static_selectorELNS0_4arch9wavefront6targetE1EEEvT1_ ; -- Begin function _ZN7rocprim17ROCPRIM_400000_NS6detail17trampoline_kernelINS0_14default_configENS1_29reduce_by_key_config_selectorIjjN6thrust23THRUST_200600_302600_NS4plusIjEEEEZZNS1_33reduce_by_key_impl_wrapped_configILNS1_25lookback_scan_determinismE0ES3_S9_NS6_6detail15normal_iteratorINS6_10device_ptrIjEEEESG_SG_SG_PmS8_22is_equal_div_10_reduceIjEEE10hipError_tPvRmT2_T3_mT4_T5_T6_T7_T8_P12ihipStream_tbENKUlT_T0_E_clISt17integral_constantIbLb1EES11_EEDaSW_SX_EUlSW_E_NS1_11comp_targetILNS1_3genE2ELNS1_11target_archE906ELNS1_3gpuE6ELNS1_3repE0EEENS1_30default_config_static_selectorELNS0_4arch9wavefront6targetE1EEEvT1_
	.globl	_ZN7rocprim17ROCPRIM_400000_NS6detail17trampoline_kernelINS0_14default_configENS1_29reduce_by_key_config_selectorIjjN6thrust23THRUST_200600_302600_NS4plusIjEEEEZZNS1_33reduce_by_key_impl_wrapped_configILNS1_25lookback_scan_determinismE0ES3_S9_NS6_6detail15normal_iteratorINS6_10device_ptrIjEEEESG_SG_SG_PmS8_22is_equal_div_10_reduceIjEEE10hipError_tPvRmT2_T3_mT4_T5_T6_T7_T8_P12ihipStream_tbENKUlT_T0_E_clISt17integral_constantIbLb1EES11_EEDaSW_SX_EUlSW_E_NS1_11comp_targetILNS1_3genE2ELNS1_11target_archE906ELNS1_3gpuE6ELNS1_3repE0EEENS1_30default_config_static_selectorELNS0_4arch9wavefront6targetE1EEEvT1_
	.p2align	8
	.type	_ZN7rocprim17ROCPRIM_400000_NS6detail17trampoline_kernelINS0_14default_configENS1_29reduce_by_key_config_selectorIjjN6thrust23THRUST_200600_302600_NS4plusIjEEEEZZNS1_33reduce_by_key_impl_wrapped_configILNS1_25lookback_scan_determinismE0ES3_S9_NS6_6detail15normal_iteratorINS6_10device_ptrIjEEEESG_SG_SG_PmS8_22is_equal_div_10_reduceIjEEE10hipError_tPvRmT2_T3_mT4_T5_T6_T7_T8_P12ihipStream_tbENKUlT_T0_E_clISt17integral_constantIbLb1EES11_EEDaSW_SX_EUlSW_E_NS1_11comp_targetILNS1_3genE2ELNS1_11target_archE906ELNS1_3gpuE6ELNS1_3repE0EEENS1_30default_config_static_selectorELNS0_4arch9wavefront6targetE1EEEvT1_,@function
_ZN7rocprim17ROCPRIM_400000_NS6detail17trampoline_kernelINS0_14default_configENS1_29reduce_by_key_config_selectorIjjN6thrust23THRUST_200600_302600_NS4plusIjEEEEZZNS1_33reduce_by_key_impl_wrapped_configILNS1_25lookback_scan_determinismE0ES3_S9_NS6_6detail15normal_iteratorINS6_10device_ptrIjEEEESG_SG_SG_PmS8_22is_equal_div_10_reduceIjEEE10hipError_tPvRmT2_T3_mT4_T5_T6_T7_T8_P12ihipStream_tbENKUlT_T0_E_clISt17integral_constantIbLb1EES11_EEDaSW_SX_EUlSW_E_NS1_11comp_targetILNS1_3genE2ELNS1_11target_archE906ELNS1_3gpuE6ELNS1_3repE0EEENS1_30default_config_static_selectorELNS0_4arch9wavefront6targetE1EEEvT1_: ; @_ZN7rocprim17ROCPRIM_400000_NS6detail17trampoline_kernelINS0_14default_configENS1_29reduce_by_key_config_selectorIjjN6thrust23THRUST_200600_302600_NS4plusIjEEEEZZNS1_33reduce_by_key_impl_wrapped_configILNS1_25lookback_scan_determinismE0ES3_S9_NS6_6detail15normal_iteratorINS6_10device_ptrIjEEEESG_SG_SG_PmS8_22is_equal_div_10_reduceIjEEE10hipError_tPvRmT2_T3_mT4_T5_T6_T7_T8_P12ihipStream_tbENKUlT_T0_E_clISt17integral_constantIbLb1EES11_EEDaSW_SX_EUlSW_E_NS1_11comp_targetILNS1_3genE2ELNS1_11target_archE906ELNS1_3gpuE6ELNS1_3repE0EEENS1_30default_config_static_selectorELNS0_4arch9wavefront6targetE1EEEvT1_
; %bb.0:
	.section	.rodata,"a",@progbits
	.p2align	6, 0x0
	.amdhsa_kernel _ZN7rocprim17ROCPRIM_400000_NS6detail17trampoline_kernelINS0_14default_configENS1_29reduce_by_key_config_selectorIjjN6thrust23THRUST_200600_302600_NS4plusIjEEEEZZNS1_33reduce_by_key_impl_wrapped_configILNS1_25lookback_scan_determinismE0ES3_S9_NS6_6detail15normal_iteratorINS6_10device_ptrIjEEEESG_SG_SG_PmS8_22is_equal_div_10_reduceIjEEE10hipError_tPvRmT2_T3_mT4_T5_T6_T7_T8_P12ihipStream_tbENKUlT_T0_E_clISt17integral_constantIbLb1EES11_EEDaSW_SX_EUlSW_E_NS1_11comp_targetILNS1_3genE2ELNS1_11target_archE906ELNS1_3gpuE6ELNS1_3repE0EEENS1_30default_config_static_selectorELNS0_4arch9wavefront6targetE1EEEvT1_
		.amdhsa_group_segment_fixed_size 0
		.amdhsa_private_segment_fixed_size 0
		.amdhsa_kernarg_size 120
		.amdhsa_user_sgpr_count 6
		.amdhsa_user_sgpr_private_segment_buffer 1
		.amdhsa_user_sgpr_dispatch_ptr 0
		.amdhsa_user_sgpr_queue_ptr 0
		.amdhsa_user_sgpr_kernarg_segment_ptr 1
		.amdhsa_user_sgpr_dispatch_id 0
		.amdhsa_user_sgpr_flat_scratch_init 0
		.amdhsa_user_sgpr_kernarg_preload_length 0
		.amdhsa_user_sgpr_kernarg_preload_offset 0
		.amdhsa_user_sgpr_private_segment_size 0
		.amdhsa_uses_dynamic_stack 0
		.amdhsa_system_sgpr_private_segment_wavefront_offset 0
		.amdhsa_system_sgpr_workgroup_id_x 1
		.amdhsa_system_sgpr_workgroup_id_y 0
		.amdhsa_system_sgpr_workgroup_id_z 0
		.amdhsa_system_sgpr_workgroup_info 0
		.amdhsa_system_vgpr_workitem_id 0
		.amdhsa_next_free_vgpr 1
		.amdhsa_next_free_sgpr 0
		.amdhsa_accum_offset 4
		.amdhsa_reserve_vcc 0
		.amdhsa_reserve_flat_scratch 0
		.amdhsa_float_round_mode_32 0
		.amdhsa_float_round_mode_16_64 0
		.amdhsa_float_denorm_mode_32 3
		.amdhsa_float_denorm_mode_16_64 3
		.amdhsa_dx10_clamp 1
		.amdhsa_ieee_mode 1
		.amdhsa_fp16_overflow 0
		.amdhsa_tg_split 0
		.amdhsa_exception_fp_ieee_invalid_op 0
		.amdhsa_exception_fp_denorm_src 0
		.amdhsa_exception_fp_ieee_div_zero 0
		.amdhsa_exception_fp_ieee_overflow 0
		.amdhsa_exception_fp_ieee_underflow 0
		.amdhsa_exception_fp_ieee_inexact 0
		.amdhsa_exception_int_div_zero 0
	.end_amdhsa_kernel
	.section	.text._ZN7rocprim17ROCPRIM_400000_NS6detail17trampoline_kernelINS0_14default_configENS1_29reduce_by_key_config_selectorIjjN6thrust23THRUST_200600_302600_NS4plusIjEEEEZZNS1_33reduce_by_key_impl_wrapped_configILNS1_25lookback_scan_determinismE0ES3_S9_NS6_6detail15normal_iteratorINS6_10device_ptrIjEEEESG_SG_SG_PmS8_22is_equal_div_10_reduceIjEEE10hipError_tPvRmT2_T3_mT4_T5_T6_T7_T8_P12ihipStream_tbENKUlT_T0_E_clISt17integral_constantIbLb1EES11_EEDaSW_SX_EUlSW_E_NS1_11comp_targetILNS1_3genE2ELNS1_11target_archE906ELNS1_3gpuE6ELNS1_3repE0EEENS1_30default_config_static_selectorELNS0_4arch9wavefront6targetE1EEEvT1_,"axG",@progbits,_ZN7rocprim17ROCPRIM_400000_NS6detail17trampoline_kernelINS0_14default_configENS1_29reduce_by_key_config_selectorIjjN6thrust23THRUST_200600_302600_NS4plusIjEEEEZZNS1_33reduce_by_key_impl_wrapped_configILNS1_25lookback_scan_determinismE0ES3_S9_NS6_6detail15normal_iteratorINS6_10device_ptrIjEEEESG_SG_SG_PmS8_22is_equal_div_10_reduceIjEEE10hipError_tPvRmT2_T3_mT4_T5_T6_T7_T8_P12ihipStream_tbENKUlT_T0_E_clISt17integral_constantIbLb1EES11_EEDaSW_SX_EUlSW_E_NS1_11comp_targetILNS1_3genE2ELNS1_11target_archE906ELNS1_3gpuE6ELNS1_3repE0EEENS1_30default_config_static_selectorELNS0_4arch9wavefront6targetE1EEEvT1_,comdat
.Lfunc_end367:
	.size	_ZN7rocprim17ROCPRIM_400000_NS6detail17trampoline_kernelINS0_14default_configENS1_29reduce_by_key_config_selectorIjjN6thrust23THRUST_200600_302600_NS4plusIjEEEEZZNS1_33reduce_by_key_impl_wrapped_configILNS1_25lookback_scan_determinismE0ES3_S9_NS6_6detail15normal_iteratorINS6_10device_ptrIjEEEESG_SG_SG_PmS8_22is_equal_div_10_reduceIjEEE10hipError_tPvRmT2_T3_mT4_T5_T6_T7_T8_P12ihipStream_tbENKUlT_T0_E_clISt17integral_constantIbLb1EES11_EEDaSW_SX_EUlSW_E_NS1_11comp_targetILNS1_3genE2ELNS1_11target_archE906ELNS1_3gpuE6ELNS1_3repE0EEENS1_30default_config_static_selectorELNS0_4arch9wavefront6targetE1EEEvT1_, .Lfunc_end367-_ZN7rocprim17ROCPRIM_400000_NS6detail17trampoline_kernelINS0_14default_configENS1_29reduce_by_key_config_selectorIjjN6thrust23THRUST_200600_302600_NS4plusIjEEEEZZNS1_33reduce_by_key_impl_wrapped_configILNS1_25lookback_scan_determinismE0ES3_S9_NS6_6detail15normal_iteratorINS6_10device_ptrIjEEEESG_SG_SG_PmS8_22is_equal_div_10_reduceIjEEE10hipError_tPvRmT2_T3_mT4_T5_T6_T7_T8_P12ihipStream_tbENKUlT_T0_E_clISt17integral_constantIbLb1EES11_EEDaSW_SX_EUlSW_E_NS1_11comp_targetILNS1_3genE2ELNS1_11target_archE906ELNS1_3gpuE6ELNS1_3repE0EEENS1_30default_config_static_selectorELNS0_4arch9wavefront6targetE1EEEvT1_
                                        ; -- End function
	.section	.AMDGPU.csdata,"",@progbits
; Kernel info:
; codeLenInByte = 0
; NumSgprs: 4
; NumVgprs: 0
; NumAgprs: 0
; TotalNumVgprs: 0
; ScratchSize: 0
; MemoryBound: 0
; FloatMode: 240
; IeeeMode: 1
; LDSByteSize: 0 bytes/workgroup (compile time only)
; SGPRBlocks: 0
; VGPRBlocks: 0
; NumSGPRsForWavesPerEU: 4
; NumVGPRsForWavesPerEU: 1
; AccumOffset: 4
; Occupancy: 8
; WaveLimiterHint : 0
; COMPUTE_PGM_RSRC2:SCRATCH_EN: 0
; COMPUTE_PGM_RSRC2:USER_SGPR: 6
; COMPUTE_PGM_RSRC2:TRAP_HANDLER: 0
; COMPUTE_PGM_RSRC2:TGID_X_EN: 1
; COMPUTE_PGM_RSRC2:TGID_Y_EN: 0
; COMPUTE_PGM_RSRC2:TGID_Z_EN: 0
; COMPUTE_PGM_RSRC2:TIDIG_COMP_CNT: 0
; COMPUTE_PGM_RSRC3_GFX90A:ACCUM_OFFSET: 0
; COMPUTE_PGM_RSRC3_GFX90A:TG_SPLIT: 0
	.section	.text._ZN7rocprim17ROCPRIM_400000_NS6detail17trampoline_kernelINS0_14default_configENS1_29reduce_by_key_config_selectorIjjN6thrust23THRUST_200600_302600_NS4plusIjEEEEZZNS1_33reduce_by_key_impl_wrapped_configILNS1_25lookback_scan_determinismE0ES3_S9_NS6_6detail15normal_iteratorINS6_10device_ptrIjEEEESG_SG_SG_PmS8_22is_equal_div_10_reduceIjEEE10hipError_tPvRmT2_T3_mT4_T5_T6_T7_T8_P12ihipStream_tbENKUlT_T0_E_clISt17integral_constantIbLb1EES11_EEDaSW_SX_EUlSW_E_NS1_11comp_targetILNS1_3genE10ELNS1_11target_archE1201ELNS1_3gpuE5ELNS1_3repE0EEENS1_30default_config_static_selectorELNS0_4arch9wavefront6targetE1EEEvT1_,"axG",@progbits,_ZN7rocprim17ROCPRIM_400000_NS6detail17trampoline_kernelINS0_14default_configENS1_29reduce_by_key_config_selectorIjjN6thrust23THRUST_200600_302600_NS4plusIjEEEEZZNS1_33reduce_by_key_impl_wrapped_configILNS1_25lookback_scan_determinismE0ES3_S9_NS6_6detail15normal_iteratorINS6_10device_ptrIjEEEESG_SG_SG_PmS8_22is_equal_div_10_reduceIjEEE10hipError_tPvRmT2_T3_mT4_T5_T6_T7_T8_P12ihipStream_tbENKUlT_T0_E_clISt17integral_constantIbLb1EES11_EEDaSW_SX_EUlSW_E_NS1_11comp_targetILNS1_3genE10ELNS1_11target_archE1201ELNS1_3gpuE5ELNS1_3repE0EEENS1_30default_config_static_selectorELNS0_4arch9wavefront6targetE1EEEvT1_,comdat
	.protected	_ZN7rocprim17ROCPRIM_400000_NS6detail17trampoline_kernelINS0_14default_configENS1_29reduce_by_key_config_selectorIjjN6thrust23THRUST_200600_302600_NS4plusIjEEEEZZNS1_33reduce_by_key_impl_wrapped_configILNS1_25lookback_scan_determinismE0ES3_S9_NS6_6detail15normal_iteratorINS6_10device_ptrIjEEEESG_SG_SG_PmS8_22is_equal_div_10_reduceIjEEE10hipError_tPvRmT2_T3_mT4_T5_T6_T7_T8_P12ihipStream_tbENKUlT_T0_E_clISt17integral_constantIbLb1EES11_EEDaSW_SX_EUlSW_E_NS1_11comp_targetILNS1_3genE10ELNS1_11target_archE1201ELNS1_3gpuE5ELNS1_3repE0EEENS1_30default_config_static_selectorELNS0_4arch9wavefront6targetE1EEEvT1_ ; -- Begin function _ZN7rocprim17ROCPRIM_400000_NS6detail17trampoline_kernelINS0_14default_configENS1_29reduce_by_key_config_selectorIjjN6thrust23THRUST_200600_302600_NS4plusIjEEEEZZNS1_33reduce_by_key_impl_wrapped_configILNS1_25lookback_scan_determinismE0ES3_S9_NS6_6detail15normal_iteratorINS6_10device_ptrIjEEEESG_SG_SG_PmS8_22is_equal_div_10_reduceIjEEE10hipError_tPvRmT2_T3_mT4_T5_T6_T7_T8_P12ihipStream_tbENKUlT_T0_E_clISt17integral_constantIbLb1EES11_EEDaSW_SX_EUlSW_E_NS1_11comp_targetILNS1_3genE10ELNS1_11target_archE1201ELNS1_3gpuE5ELNS1_3repE0EEENS1_30default_config_static_selectorELNS0_4arch9wavefront6targetE1EEEvT1_
	.globl	_ZN7rocprim17ROCPRIM_400000_NS6detail17trampoline_kernelINS0_14default_configENS1_29reduce_by_key_config_selectorIjjN6thrust23THRUST_200600_302600_NS4plusIjEEEEZZNS1_33reduce_by_key_impl_wrapped_configILNS1_25lookback_scan_determinismE0ES3_S9_NS6_6detail15normal_iteratorINS6_10device_ptrIjEEEESG_SG_SG_PmS8_22is_equal_div_10_reduceIjEEE10hipError_tPvRmT2_T3_mT4_T5_T6_T7_T8_P12ihipStream_tbENKUlT_T0_E_clISt17integral_constantIbLb1EES11_EEDaSW_SX_EUlSW_E_NS1_11comp_targetILNS1_3genE10ELNS1_11target_archE1201ELNS1_3gpuE5ELNS1_3repE0EEENS1_30default_config_static_selectorELNS0_4arch9wavefront6targetE1EEEvT1_
	.p2align	8
	.type	_ZN7rocprim17ROCPRIM_400000_NS6detail17trampoline_kernelINS0_14default_configENS1_29reduce_by_key_config_selectorIjjN6thrust23THRUST_200600_302600_NS4plusIjEEEEZZNS1_33reduce_by_key_impl_wrapped_configILNS1_25lookback_scan_determinismE0ES3_S9_NS6_6detail15normal_iteratorINS6_10device_ptrIjEEEESG_SG_SG_PmS8_22is_equal_div_10_reduceIjEEE10hipError_tPvRmT2_T3_mT4_T5_T6_T7_T8_P12ihipStream_tbENKUlT_T0_E_clISt17integral_constantIbLb1EES11_EEDaSW_SX_EUlSW_E_NS1_11comp_targetILNS1_3genE10ELNS1_11target_archE1201ELNS1_3gpuE5ELNS1_3repE0EEENS1_30default_config_static_selectorELNS0_4arch9wavefront6targetE1EEEvT1_,@function
_ZN7rocprim17ROCPRIM_400000_NS6detail17trampoline_kernelINS0_14default_configENS1_29reduce_by_key_config_selectorIjjN6thrust23THRUST_200600_302600_NS4plusIjEEEEZZNS1_33reduce_by_key_impl_wrapped_configILNS1_25lookback_scan_determinismE0ES3_S9_NS6_6detail15normal_iteratorINS6_10device_ptrIjEEEESG_SG_SG_PmS8_22is_equal_div_10_reduceIjEEE10hipError_tPvRmT2_T3_mT4_T5_T6_T7_T8_P12ihipStream_tbENKUlT_T0_E_clISt17integral_constantIbLb1EES11_EEDaSW_SX_EUlSW_E_NS1_11comp_targetILNS1_3genE10ELNS1_11target_archE1201ELNS1_3gpuE5ELNS1_3repE0EEENS1_30default_config_static_selectorELNS0_4arch9wavefront6targetE1EEEvT1_: ; @_ZN7rocprim17ROCPRIM_400000_NS6detail17trampoline_kernelINS0_14default_configENS1_29reduce_by_key_config_selectorIjjN6thrust23THRUST_200600_302600_NS4plusIjEEEEZZNS1_33reduce_by_key_impl_wrapped_configILNS1_25lookback_scan_determinismE0ES3_S9_NS6_6detail15normal_iteratorINS6_10device_ptrIjEEEESG_SG_SG_PmS8_22is_equal_div_10_reduceIjEEE10hipError_tPvRmT2_T3_mT4_T5_T6_T7_T8_P12ihipStream_tbENKUlT_T0_E_clISt17integral_constantIbLb1EES11_EEDaSW_SX_EUlSW_E_NS1_11comp_targetILNS1_3genE10ELNS1_11target_archE1201ELNS1_3gpuE5ELNS1_3repE0EEENS1_30default_config_static_selectorELNS0_4arch9wavefront6targetE1EEEvT1_
; %bb.0:
	.section	.rodata,"a",@progbits
	.p2align	6, 0x0
	.amdhsa_kernel _ZN7rocprim17ROCPRIM_400000_NS6detail17trampoline_kernelINS0_14default_configENS1_29reduce_by_key_config_selectorIjjN6thrust23THRUST_200600_302600_NS4plusIjEEEEZZNS1_33reduce_by_key_impl_wrapped_configILNS1_25lookback_scan_determinismE0ES3_S9_NS6_6detail15normal_iteratorINS6_10device_ptrIjEEEESG_SG_SG_PmS8_22is_equal_div_10_reduceIjEEE10hipError_tPvRmT2_T3_mT4_T5_T6_T7_T8_P12ihipStream_tbENKUlT_T0_E_clISt17integral_constantIbLb1EES11_EEDaSW_SX_EUlSW_E_NS1_11comp_targetILNS1_3genE10ELNS1_11target_archE1201ELNS1_3gpuE5ELNS1_3repE0EEENS1_30default_config_static_selectorELNS0_4arch9wavefront6targetE1EEEvT1_
		.amdhsa_group_segment_fixed_size 0
		.amdhsa_private_segment_fixed_size 0
		.amdhsa_kernarg_size 120
		.amdhsa_user_sgpr_count 6
		.amdhsa_user_sgpr_private_segment_buffer 1
		.amdhsa_user_sgpr_dispatch_ptr 0
		.amdhsa_user_sgpr_queue_ptr 0
		.amdhsa_user_sgpr_kernarg_segment_ptr 1
		.amdhsa_user_sgpr_dispatch_id 0
		.amdhsa_user_sgpr_flat_scratch_init 0
		.amdhsa_user_sgpr_kernarg_preload_length 0
		.amdhsa_user_sgpr_kernarg_preload_offset 0
		.amdhsa_user_sgpr_private_segment_size 0
		.amdhsa_uses_dynamic_stack 0
		.amdhsa_system_sgpr_private_segment_wavefront_offset 0
		.amdhsa_system_sgpr_workgroup_id_x 1
		.amdhsa_system_sgpr_workgroup_id_y 0
		.amdhsa_system_sgpr_workgroup_id_z 0
		.amdhsa_system_sgpr_workgroup_info 0
		.amdhsa_system_vgpr_workitem_id 0
		.amdhsa_next_free_vgpr 1
		.amdhsa_next_free_sgpr 0
		.amdhsa_accum_offset 4
		.amdhsa_reserve_vcc 0
		.amdhsa_reserve_flat_scratch 0
		.amdhsa_float_round_mode_32 0
		.amdhsa_float_round_mode_16_64 0
		.amdhsa_float_denorm_mode_32 3
		.amdhsa_float_denorm_mode_16_64 3
		.amdhsa_dx10_clamp 1
		.amdhsa_ieee_mode 1
		.amdhsa_fp16_overflow 0
		.amdhsa_tg_split 0
		.amdhsa_exception_fp_ieee_invalid_op 0
		.amdhsa_exception_fp_denorm_src 0
		.amdhsa_exception_fp_ieee_div_zero 0
		.amdhsa_exception_fp_ieee_overflow 0
		.amdhsa_exception_fp_ieee_underflow 0
		.amdhsa_exception_fp_ieee_inexact 0
		.amdhsa_exception_int_div_zero 0
	.end_amdhsa_kernel
	.section	.text._ZN7rocprim17ROCPRIM_400000_NS6detail17trampoline_kernelINS0_14default_configENS1_29reduce_by_key_config_selectorIjjN6thrust23THRUST_200600_302600_NS4plusIjEEEEZZNS1_33reduce_by_key_impl_wrapped_configILNS1_25lookback_scan_determinismE0ES3_S9_NS6_6detail15normal_iteratorINS6_10device_ptrIjEEEESG_SG_SG_PmS8_22is_equal_div_10_reduceIjEEE10hipError_tPvRmT2_T3_mT4_T5_T6_T7_T8_P12ihipStream_tbENKUlT_T0_E_clISt17integral_constantIbLb1EES11_EEDaSW_SX_EUlSW_E_NS1_11comp_targetILNS1_3genE10ELNS1_11target_archE1201ELNS1_3gpuE5ELNS1_3repE0EEENS1_30default_config_static_selectorELNS0_4arch9wavefront6targetE1EEEvT1_,"axG",@progbits,_ZN7rocprim17ROCPRIM_400000_NS6detail17trampoline_kernelINS0_14default_configENS1_29reduce_by_key_config_selectorIjjN6thrust23THRUST_200600_302600_NS4plusIjEEEEZZNS1_33reduce_by_key_impl_wrapped_configILNS1_25lookback_scan_determinismE0ES3_S9_NS6_6detail15normal_iteratorINS6_10device_ptrIjEEEESG_SG_SG_PmS8_22is_equal_div_10_reduceIjEEE10hipError_tPvRmT2_T3_mT4_T5_T6_T7_T8_P12ihipStream_tbENKUlT_T0_E_clISt17integral_constantIbLb1EES11_EEDaSW_SX_EUlSW_E_NS1_11comp_targetILNS1_3genE10ELNS1_11target_archE1201ELNS1_3gpuE5ELNS1_3repE0EEENS1_30default_config_static_selectorELNS0_4arch9wavefront6targetE1EEEvT1_,comdat
.Lfunc_end368:
	.size	_ZN7rocprim17ROCPRIM_400000_NS6detail17trampoline_kernelINS0_14default_configENS1_29reduce_by_key_config_selectorIjjN6thrust23THRUST_200600_302600_NS4plusIjEEEEZZNS1_33reduce_by_key_impl_wrapped_configILNS1_25lookback_scan_determinismE0ES3_S9_NS6_6detail15normal_iteratorINS6_10device_ptrIjEEEESG_SG_SG_PmS8_22is_equal_div_10_reduceIjEEE10hipError_tPvRmT2_T3_mT4_T5_T6_T7_T8_P12ihipStream_tbENKUlT_T0_E_clISt17integral_constantIbLb1EES11_EEDaSW_SX_EUlSW_E_NS1_11comp_targetILNS1_3genE10ELNS1_11target_archE1201ELNS1_3gpuE5ELNS1_3repE0EEENS1_30default_config_static_selectorELNS0_4arch9wavefront6targetE1EEEvT1_, .Lfunc_end368-_ZN7rocprim17ROCPRIM_400000_NS6detail17trampoline_kernelINS0_14default_configENS1_29reduce_by_key_config_selectorIjjN6thrust23THRUST_200600_302600_NS4plusIjEEEEZZNS1_33reduce_by_key_impl_wrapped_configILNS1_25lookback_scan_determinismE0ES3_S9_NS6_6detail15normal_iteratorINS6_10device_ptrIjEEEESG_SG_SG_PmS8_22is_equal_div_10_reduceIjEEE10hipError_tPvRmT2_T3_mT4_T5_T6_T7_T8_P12ihipStream_tbENKUlT_T0_E_clISt17integral_constantIbLb1EES11_EEDaSW_SX_EUlSW_E_NS1_11comp_targetILNS1_3genE10ELNS1_11target_archE1201ELNS1_3gpuE5ELNS1_3repE0EEENS1_30default_config_static_selectorELNS0_4arch9wavefront6targetE1EEEvT1_
                                        ; -- End function
	.section	.AMDGPU.csdata,"",@progbits
; Kernel info:
; codeLenInByte = 0
; NumSgprs: 4
; NumVgprs: 0
; NumAgprs: 0
; TotalNumVgprs: 0
; ScratchSize: 0
; MemoryBound: 0
; FloatMode: 240
; IeeeMode: 1
; LDSByteSize: 0 bytes/workgroup (compile time only)
; SGPRBlocks: 0
; VGPRBlocks: 0
; NumSGPRsForWavesPerEU: 4
; NumVGPRsForWavesPerEU: 1
; AccumOffset: 4
; Occupancy: 8
; WaveLimiterHint : 0
; COMPUTE_PGM_RSRC2:SCRATCH_EN: 0
; COMPUTE_PGM_RSRC2:USER_SGPR: 6
; COMPUTE_PGM_RSRC2:TRAP_HANDLER: 0
; COMPUTE_PGM_RSRC2:TGID_X_EN: 1
; COMPUTE_PGM_RSRC2:TGID_Y_EN: 0
; COMPUTE_PGM_RSRC2:TGID_Z_EN: 0
; COMPUTE_PGM_RSRC2:TIDIG_COMP_CNT: 0
; COMPUTE_PGM_RSRC3_GFX90A:ACCUM_OFFSET: 0
; COMPUTE_PGM_RSRC3_GFX90A:TG_SPLIT: 0
	.section	.text._ZN7rocprim17ROCPRIM_400000_NS6detail17trampoline_kernelINS0_14default_configENS1_29reduce_by_key_config_selectorIjjN6thrust23THRUST_200600_302600_NS4plusIjEEEEZZNS1_33reduce_by_key_impl_wrapped_configILNS1_25lookback_scan_determinismE0ES3_S9_NS6_6detail15normal_iteratorINS6_10device_ptrIjEEEESG_SG_SG_PmS8_22is_equal_div_10_reduceIjEEE10hipError_tPvRmT2_T3_mT4_T5_T6_T7_T8_P12ihipStream_tbENKUlT_T0_E_clISt17integral_constantIbLb1EES11_EEDaSW_SX_EUlSW_E_NS1_11comp_targetILNS1_3genE10ELNS1_11target_archE1200ELNS1_3gpuE4ELNS1_3repE0EEENS1_30default_config_static_selectorELNS0_4arch9wavefront6targetE1EEEvT1_,"axG",@progbits,_ZN7rocprim17ROCPRIM_400000_NS6detail17trampoline_kernelINS0_14default_configENS1_29reduce_by_key_config_selectorIjjN6thrust23THRUST_200600_302600_NS4plusIjEEEEZZNS1_33reduce_by_key_impl_wrapped_configILNS1_25lookback_scan_determinismE0ES3_S9_NS6_6detail15normal_iteratorINS6_10device_ptrIjEEEESG_SG_SG_PmS8_22is_equal_div_10_reduceIjEEE10hipError_tPvRmT2_T3_mT4_T5_T6_T7_T8_P12ihipStream_tbENKUlT_T0_E_clISt17integral_constantIbLb1EES11_EEDaSW_SX_EUlSW_E_NS1_11comp_targetILNS1_3genE10ELNS1_11target_archE1200ELNS1_3gpuE4ELNS1_3repE0EEENS1_30default_config_static_selectorELNS0_4arch9wavefront6targetE1EEEvT1_,comdat
	.protected	_ZN7rocprim17ROCPRIM_400000_NS6detail17trampoline_kernelINS0_14default_configENS1_29reduce_by_key_config_selectorIjjN6thrust23THRUST_200600_302600_NS4plusIjEEEEZZNS1_33reduce_by_key_impl_wrapped_configILNS1_25lookback_scan_determinismE0ES3_S9_NS6_6detail15normal_iteratorINS6_10device_ptrIjEEEESG_SG_SG_PmS8_22is_equal_div_10_reduceIjEEE10hipError_tPvRmT2_T3_mT4_T5_T6_T7_T8_P12ihipStream_tbENKUlT_T0_E_clISt17integral_constantIbLb1EES11_EEDaSW_SX_EUlSW_E_NS1_11comp_targetILNS1_3genE10ELNS1_11target_archE1200ELNS1_3gpuE4ELNS1_3repE0EEENS1_30default_config_static_selectorELNS0_4arch9wavefront6targetE1EEEvT1_ ; -- Begin function _ZN7rocprim17ROCPRIM_400000_NS6detail17trampoline_kernelINS0_14default_configENS1_29reduce_by_key_config_selectorIjjN6thrust23THRUST_200600_302600_NS4plusIjEEEEZZNS1_33reduce_by_key_impl_wrapped_configILNS1_25lookback_scan_determinismE0ES3_S9_NS6_6detail15normal_iteratorINS6_10device_ptrIjEEEESG_SG_SG_PmS8_22is_equal_div_10_reduceIjEEE10hipError_tPvRmT2_T3_mT4_T5_T6_T7_T8_P12ihipStream_tbENKUlT_T0_E_clISt17integral_constantIbLb1EES11_EEDaSW_SX_EUlSW_E_NS1_11comp_targetILNS1_3genE10ELNS1_11target_archE1200ELNS1_3gpuE4ELNS1_3repE0EEENS1_30default_config_static_selectorELNS0_4arch9wavefront6targetE1EEEvT1_
	.globl	_ZN7rocprim17ROCPRIM_400000_NS6detail17trampoline_kernelINS0_14default_configENS1_29reduce_by_key_config_selectorIjjN6thrust23THRUST_200600_302600_NS4plusIjEEEEZZNS1_33reduce_by_key_impl_wrapped_configILNS1_25lookback_scan_determinismE0ES3_S9_NS6_6detail15normal_iteratorINS6_10device_ptrIjEEEESG_SG_SG_PmS8_22is_equal_div_10_reduceIjEEE10hipError_tPvRmT2_T3_mT4_T5_T6_T7_T8_P12ihipStream_tbENKUlT_T0_E_clISt17integral_constantIbLb1EES11_EEDaSW_SX_EUlSW_E_NS1_11comp_targetILNS1_3genE10ELNS1_11target_archE1200ELNS1_3gpuE4ELNS1_3repE0EEENS1_30default_config_static_selectorELNS0_4arch9wavefront6targetE1EEEvT1_
	.p2align	8
	.type	_ZN7rocprim17ROCPRIM_400000_NS6detail17trampoline_kernelINS0_14default_configENS1_29reduce_by_key_config_selectorIjjN6thrust23THRUST_200600_302600_NS4plusIjEEEEZZNS1_33reduce_by_key_impl_wrapped_configILNS1_25lookback_scan_determinismE0ES3_S9_NS6_6detail15normal_iteratorINS6_10device_ptrIjEEEESG_SG_SG_PmS8_22is_equal_div_10_reduceIjEEE10hipError_tPvRmT2_T3_mT4_T5_T6_T7_T8_P12ihipStream_tbENKUlT_T0_E_clISt17integral_constantIbLb1EES11_EEDaSW_SX_EUlSW_E_NS1_11comp_targetILNS1_3genE10ELNS1_11target_archE1200ELNS1_3gpuE4ELNS1_3repE0EEENS1_30default_config_static_selectorELNS0_4arch9wavefront6targetE1EEEvT1_,@function
_ZN7rocprim17ROCPRIM_400000_NS6detail17trampoline_kernelINS0_14default_configENS1_29reduce_by_key_config_selectorIjjN6thrust23THRUST_200600_302600_NS4plusIjEEEEZZNS1_33reduce_by_key_impl_wrapped_configILNS1_25lookback_scan_determinismE0ES3_S9_NS6_6detail15normal_iteratorINS6_10device_ptrIjEEEESG_SG_SG_PmS8_22is_equal_div_10_reduceIjEEE10hipError_tPvRmT2_T3_mT4_T5_T6_T7_T8_P12ihipStream_tbENKUlT_T0_E_clISt17integral_constantIbLb1EES11_EEDaSW_SX_EUlSW_E_NS1_11comp_targetILNS1_3genE10ELNS1_11target_archE1200ELNS1_3gpuE4ELNS1_3repE0EEENS1_30default_config_static_selectorELNS0_4arch9wavefront6targetE1EEEvT1_: ; @_ZN7rocprim17ROCPRIM_400000_NS6detail17trampoline_kernelINS0_14default_configENS1_29reduce_by_key_config_selectorIjjN6thrust23THRUST_200600_302600_NS4plusIjEEEEZZNS1_33reduce_by_key_impl_wrapped_configILNS1_25lookback_scan_determinismE0ES3_S9_NS6_6detail15normal_iteratorINS6_10device_ptrIjEEEESG_SG_SG_PmS8_22is_equal_div_10_reduceIjEEE10hipError_tPvRmT2_T3_mT4_T5_T6_T7_T8_P12ihipStream_tbENKUlT_T0_E_clISt17integral_constantIbLb1EES11_EEDaSW_SX_EUlSW_E_NS1_11comp_targetILNS1_3genE10ELNS1_11target_archE1200ELNS1_3gpuE4ELNS1_3repE0EEENS1_30default_config_static_selectorELNS0_4arch9wavefront6targetE1EEEvT1_
; %bb.0:
	.section	.rodata,"a",@progbits
	.p2align	6, 0x0
	.amdhsa_kernel _ZN7rocprim17ROCPRIM_400000_NS6detail17trampoline_kernelINS0_14default_configENS1_29reduce_by_key_config_selectorIjjN6thrust23THRUST_200600_302600_NS4plusIjEEEEZZNS1_33reduce_by_key_impl_wrapped_configILNS1_25lookback_scan_determinismE0ES3_S9_NS6_6detail15normal_iteratorINS6_10device_ptrIjEEEESG_SG_SG_PmS8_22is_equal_div_10_reduceIjEEE10hipError_tPvRmT2_T3_mT4_T5_T6_T7_T8_P12ihipStream_tbENKUlT_T0_E_clISt17integral_constantIbLb1EES11_EEDaSW_SX_EUlSW_E_NS1_11comp_targetILNS1_3genE10ELNS1_11target_archE1200ELNS1_3gpuE4ELNS1_3repE0EEENS1_30default_config_static_selectorELNS0_4arch9wavefront6targetE1EEEvT1_
		.amdhsa_group_segment_fixed_size 0
		.amdhsa_private_segment_fixed_size 0
		.amdhsa_kernarg_size 120
		.amdhsa_user_sgpr_count 6
		.amdhsa_user_sgpr_private_segment_buffer 1
		.amdhsa_user_sgpr_dispatch_ptr 0
		.amdhsa_user_sgpr_queue_ptr 0
		.amdhsa_user_sgpr_kernarg_segment_ptr 1
		.amdhsa_user_sgpr_dispatch_id 0
		.amdhsa_user_sgpr_flat_scratch_init 0
		.amdhsa_user_sgpr_kernarg_preload_length 0
		.amdhsa_user_sgpr_kernarg_preload_offset 0
		.amdhsa_user_sgpr_private_segment_size 0
		.amdhsa_uses_dynamic_stack 0
		.amdhsa_system_sgpr_private_segment_wavefront_offset 0
		.amdhsa_system_sgpr_workgroup_id_x 1
		.amdhsa_system_sgpr_workgroup_id_y 0
		.amdhsa_system_sgpr_workgroup_id_z 0
		.amdhsa_system_sgpr_workgroup_info 0
		.amdhsa_system_vgpr_workitem_id 0
		.amdhsa_next_free_vgpr 1
		.amdhsa_next_free_sgpr 0
		.amdhsa_accum_offset 4
		.amdhsa_reserve_vcc 0
		.amdhsa_reserve_flat_scratch 0
		.amdhsa_float_round_mode_32 0
		.amdhsa_float_round_mode_16_64 0
		.amdhsa_float_denorm_mode_32 3
		.amdhsa_float_denorm_mode_16_64 3
		.amdhsa_dx10_clamp 1
		.amdhsa_ieee_mode 1
		.amdhsa_fp16_overflow 0
		.amdhsa_tg_split 0
		.amdhsa_exception_fp_ieee_invalid_op 0
		.amdhsa_exception_fp_denorm_src 0
		.amdhsa_exception_fp_ieee_div_zero 0
		.amdhsa_exception_fp_ieee_overflow 0
		.amdhsa_exception_fp_ieee_underflow 0
		.amdhsa_exception_fp_ieee_inexact 0
		.amdhsa_exception_int_div_zero 0
	.end_amdhsa_kernel
	.section	.text._ZN7rocprim17ROCPRIM_400000_NS6detail17trampoline_kernelINS0_14default_configENS1_29reduce_by_key_config_selectorIjjN6thrust23THRUST_200600_302600_NS4plusIjEEEEZZNS1_33reduce_by_key_impl_wrapped_configILNS1_25lookback_scan_determinismE0ES3_S9_NS6_6detail15normal_iteratorINS6_10device_ptrIjEEEESG_SG_SG_PmS8_22is_equal_div_10_reduceIjEEE10hipError_tPvRmT2_T3_mT4_T5_T6_T7_T8_P12ihipStream_tbENKUlT_T0_E_clISt17integral_constantIbLb1EES11_EEDaSW_SX_EUlSW_E_NS1_11comp_targetILNS1_3genE10ELNS1_11target_archE1200ELNS1_3gpuE4ELNS1_3repE0EEENS1_30default_config_static_selectorELNS0_4arch9wavefront6targetE1EEEvT1_,"axG",@progbits,_ZN7rocprim17ROCPRIM_400000_NS6detail17trampoline_kernelINS0_14default_configENS1_29reduce_by_key_config_selectorIjjN6thrust23THRUST_200600_302600_NS4plusIjEEEEZZNS1_33reduce_by_key_impl_wrapped_configILNS1_25lookback_scan_determinismE0ES3_S9_NS6_6detail15normal_iteratorINS6_10device_ptrIjEEEESG_SG_SG_PmS8_22is_equal_div_10_reduceIjEEE10hipError_tPvRmT2_T3_mT4_T5_T6_T7_T8_P12ihipStream_tbENKUlT_T0_E_clISt17integral_constantIbLb1EES11_EEDaSW_SX_EUlSW_E_NS1_11comp_targetILNS1_3genE10ELNS1_11target_archE1200ELNS1_3gpuE4ELNS1_3repE0EEENS1_30default_config_static_selectorELNS0_4arch9wavefront6targetE1EEEvT1_,comdat
.Lfunc_end369:
	.size	_ZN7rocprim17ROCPRIM_400000_NS6detail17trampoline_kernelINS0_14default_configENS1_29reduce_by_key_config_selectorIjjN6thrust23THRUST_200600_302600_NS4plusIjEEEEZZNS1_33reduce_by_key_impl_wrapped_configILNS1_25lookback_scan_determinismE0ES3_S9_NS6_6detail15normal_iteratorINS6_10device_ptrIjEEEESG_SG_SG_PmS8_22is_equal_div_10_reduceIjEEE10hipError_tPvRmT2_T3_mT4_T5_T6_T7_T8_P12ihipStream_tbENKUlT_T0_E_clISt17integral_constantIbLb1EES11_EEDaSW_SX_EUlSW_E_NS1_11comp_targetILNS1_3genE10ELNS1_11target_archE1200ELNS1_3gpuE4ELNS1_3repE0EEENS1_30default_config_static_selectorELNS0_4arch9wavefront6targetE1EEEvT1_, .Lfunc_end369-_ZN7rocprim17ROCPRIM_400000_NS6detail17trampoline_kernelINS0_14default_configENS1_29reduce_by_key_config_selectorIjjN6thrust23THRUST_200600_302600_NS4plusIjEEEEZZNS1_33reduce_by_key_impl_wrapped_configILNS1_25lookback_scan_determinismE0ES3_S9_NS6_6detail15normal_iteratorINS6_10device_ptrIjEEEESG_SG_SG_PmS8_22is_equal_div_10_reduceIjEEE10hipError_tPvRmT2_T3_mT4_T5_T6_T7_T8_P12ihipStream_tbENKUlT_T0_E_clISt17integral_constantIbLb1EES11_EEDaSW_SX_EUlSW_E_NS1_11comp_targetILNS1_3genE10ELNS1_11target_archE1200ELNS1_3gpuE4ELNS1_3repE0EEENS1_30default_config_static_selectorELNS0_4arch9wavefront6targetE1EEEvT1_
                                        ; -- End function
	.section	.AMDGPU.csdata,"",@progbits
; Kernel info:
; codeLenInByte = 0
; NumSgprs: 4
; NumVgprs: 0
; NumAgprs: 0
; TotalNumVgprs: 0
; ScratchSize: 0
; MemoryBound: 0
; FloatMode: 240
; IeeeMode: 1
; LDSByteSize: 0 bytes/workgroup (compile time only)
; SGPRBlocks: 0
; VGPRBlocks: 0
; NumSGPRsForWavesPerEU: 4
; NumVGPRsForWavesPerEU: 1
; AccumOffset: 4
; Occupancy: 8
; WaveLimiterHint : 0
; COMPUTE_PGM_RSRC2:SCRATCH_EN: 0
; COMPUTE_PGM_RSRC2:USER_SGPR: 6
; COMPUTE_PGM_RSRC2:TRAP_HANDLER: 0
; COMPUTE_PGM_RSRC2:TGID_X_EN: 1
; COMPUTE_PGM_RSRC2:TGID_Y_EN: 0
; COMPUTE_PGM_RSRC2:TGID_Z_EN: 0
; COMPUTE_PGM_RSRC2:TIDIG_COMP_CNT: 0
; COMPUTE_PGM_RSRC3_GFX90A:ACCUM_OFFSET: 0
; COMPUTE_PGM_RSRC3_GFX90A:TG_SPLIT: 0
	.section	.text._ZN7rocprim17ROCPRIM_400000_NS6detail17trampoline_kernelINS0_14default_configENS1_29reduce_by_key_config_selectorIjjN6thrust23THRUST_200600_302600_NS4plusIjEEEEZZNS1_33reduce_by_key_impl_wrapped_configILNS1_25lookback_scan_determinismE0ES3_S9_NS6_6detail15normal_iteratorINS6_10device_ptrIjEEEESG_SG_SG_PmS8_22is_equal_div_10_reduceIjEEE10hipError_tPvRmT2_T3_mT4_T5_T6_T7_T8_P12ihipStream_tbENKUlT_T0_E_clISt17integral_constantIbLb1EES11_EEDaSW_SX_EUlSW_E_NS1_11comp_targetILNS1_3genE9ELNS1_11target_archE1100ELNS1_3gpuE3ELNS1_3repE0EEENS1_30default_config_static_selectorELNS0_4arch9wavefront6targetE1EEEvT1_,"axG",@progbits,_ZN7rocprim17ROCPRIM_400000_NS6detail17trampoline_kernelINS0_14default_configENS1_29reduce_by_key_config_selectorIjjN6thrust23THRUST_200600_302600_NS4plusIjEEEEZZNS1_33reduce_by_key_impl_wrapped_configILNS1_25lookback_scan_determinismE0ES3_S9_NS6_6detail15normal_iteratorINS6_10device_ptrIjEEEESG_SG_SG_PmS8_22is_equal_div_10_reduceIjEEE10hipError_tPvRmT2_T3_mT4_T5_T6_T7_T8_P12ihipStream_tbENKUlT_T0_E_clISt17integral_constantIbLb1EES11_EEDaSW_SX_EUlSW_E_NS1_11comp_targetILNS1_3genE9ELNS1_11target_archE1100ELNS1_3gpuE3ELNS1_3repE0EEENS1_30default_config_static_selectorELNS0_4arch9wavefront6targetE1EEEvT1_,comdat
	.protected	_ZN7rocprim17ROCPRIM_400000_NS6detail17trampoline_kernelINS0_14default_configENS1_29reduce_by_key_config_selectorIjjN6thrust23THRUST_200600_302600_NS4plusIjEEEEZZNS1_33reduce_by_key_impl_wrapped_configILNS1_25lookback_scan_determinismE0ES3_S9_NS6_6detail15normal_iteratorINS6_10device_ptrIjEEEESG_SG_SG_PmS8_22is_equal_div_10_reduceIjEEE10hipError_tPvRmT2_T3_mT4_T5_T6_T7_T8_P12ihipStream_tbENKUlT_T0_E_clISt17integral_constantIbLb1EES11_EEDaSW_SX_EUlSW_E_NS1_11comp_targetILNS1_3genE9ELNS1_11target_archE1100ELNS1_3gpuE3ELNS1_3repE0EEENS1_30default_config_static_selectorELNS0_4arch9wavefront6targetE1EEEvT1_ ; -- Begin function _ZN7rocprim17ROCPRIM_400000_NS6detail17trampoline_kernelINS0_14default_configENS1_29reduce_by_key_config_selectorIjjN6thrust23THRUST_200600_302600_NS4plusIjEEEEZZNS1_33reduce_by_key_impl_wrapped_configILNS1_25lookback_scan_determinismE0ES3_S9_NS6_6detail15normal_iteratorINS6_10device_ptrIjEEEESG_SG_SG_PmS8_22is_equal_div_10_reduceIjEEE10hipError_tPvRmT2_T3_mT4_T5_T6_T7_T8_P12ihipStream_tbENKUlT_T0_E_clISt17integral_constantIbLb1EES11_EEDaSW_SX_EUlSW_E_NS1_11comp_targetILNS1_3genE9ELNS1_11target_archE1100ELNS1_3gpuE3ELNS1_3repE0EEENS1_30default_config_static_selectorELNS0_4arch9wavefront6targetE1EEEvT1_
	.globl	_ZN7rocprim17ROCPRIM_400000_NS6detail17trampoline_kernelINS0_14default_configENS1_29reduce_by_key_config_selectorIjjN6thrust23THRUST_200600_302600_NS4plusIjEEEEZZNS1_33reduce_by_key_impl_wrapped_configILNS1_25lookback_scan_determinismE0ES3_S9_NS6_6detail15normal_iteratorINS6_10device_ptrIjEEEESG_SG_SG_PmS8_22is_equal_div_10_reduceIjEEE10hipError_tPvRmT2_T3_mT4_T5_T6_T7_T8_P12ihipStream_tbENKUlT_T0_E_clISt17integral_constantIbLb1EES11_EEDaSW_SX_EUlSW_E_NS1_11comp_targetILNS1_3genE9ELNS1_11target_archE1100ELNS1_3gpuE3ELNS1_3repE0EEENS1_30default_config_static_selectorELNS0_4arch9wavefront6targetE1EEEvT1_
	.p2align	8
	.type	_ZN7rocprim17ROCPRIM_400000_NS6detail17trampoline_kernelINS0_14default_configENS1_29reduce_by_key_config_selectorIjjN6thrust23THRUST_200600_302600_NS4plusIjEEEEZZNS1_33reduce_by_key_impl_wrapped_configILNS1_25lookback_scan_determinismE0ES3_S9_NS6_6detail15normal_iteratorINS6_10device_ptrIjEEEESG_SG_SG_PmS8_22is_equal_div_10_reduceIjEEE10hipError_tPvRmT2_T3_mT4_T5_T6_T7_T8_P12ihipStream_tbENKUlT_T0_E_clISt17integral_constantIbLb1EES11_EEDaSW_SX_EUlSW_E_NS1_11comp_targetILNS1_3genE9ELNS1_11target_archE1100ELNS1_3gpuE3ELNS1_3repE0EEENS1_30default_config_static_selectorELNS0_4arch9wavefront6targetE1EEEvT1_,@function
_ZN7rocprim17ROCPRIM_400000_NS6detail17trampoline_kernelINS0_14default_configENS1_29reduce_by_key_config_selectorIjjN6thrust23THRUST_200600_302600_NS4plusIjEEEEZZNS1_33reduce_by_key_impl_wrapped_configILNS1_25lookback_scan_determinismE0ES3_S9_NS6_6detail15normal_iteratorINS6_10device_ptrIjEEEESG_SG_SG_PmS8_22is_equal_div_10_reduceIjEEE10hipError_tPvRmT2_T3_mT4_T5_T6_T7_T8_P12ihipStream_tbENKUlT_T0_E_clISt17integral_constantIbLb1EES11_EEDaSW_SX_EUlSW_E_NS1_11comp_targetILNS1_3genE9ELNS1_11target_archE1100ELNS1_3gpuE3ELNS1_3repE0EEENS1_30default_config_static_selectorELNS0_4arch9wavefront6targetE1EEEvT1_: ; @_ZN7rocprim17ROCPRIM_400000_NS6detail17trampoline_kernelINS0_14default_configENS1_29reduce_by_key_config_selectorIjjN6thrust23THRUST_200600_302600_NS4plusIjEEEEZZNS1_33reduce_by_key_impl_wrapped_configILNS1_25lookback_scan_determinismE0ES3_S9_NS6_6detail15normal_iteratorINS6_10device_ptrIjEEEESG_SG_SG_PmS8_22is_equal_div_10_reduceIjEEE10hipError_tPvRmT2_T3_mT4_T5_T6_T7_T8_P12ihipStream_tbENKUlT_T0_E_clISt17integral_constantIbLb1EES11_EEDaSW_SX_EUlSW_E_NS1_11comp_targetILNS1_3genE9ELNS1_11target_archE1100ELNS1_3gpuE3ELNS1_3repE0EEENS1_30default_config_static_selectorELNS0_4arch9wavefront6targetE1EEEvT1_
; %bb.0:
	.section	.rodata,"a",@progbits
	.p2align	6, 0x0
	.amdhsa_kernel _ZN7rocprim17ROCPRIM_400000_NS6detail17trampoline_kernelINS0_14default_configENS1_29reduce_by_key_config_selectorIjjN6thrust23THRUST_200600_302600_NS4plusIjEEEEZZNS1_33reduce_by_key_impl_wrapped_configILNS1_25lookback_scan_determinismE0ES3_S9_NS6_6detail15normal_iteratorINS6_10device_ptrIjEEEESG_SG_SG_PmS8_22is_equal_div_10_reduceIjEEE10hipError_tPvRmT2_T3_mT4_T5_T6_T7_T8_P12ihipStream_tbENKUlT_T0_E_clISt17integral_constantIbLb1EES11_EEDaSW_SX_EUlSW_E_NS1_11comp_targetILNS1_3genE9ELNS1_11target_archE1100ELNS1_3gpuE3ELNS1_3repE0EEENS1_30default_config_static_selectorELNS0_4arch9wavefront6targetE1EEEvT1_
		.amdhsa_group_segment_fixed_size 0
		.amdhsa_private_segment_fixed_size 0
		.amdhsa_kernarg_size 120
		.amdhsa_user_sgpr_count 6
		.amdhsa_user_sgpr_private_segment_buffer 1
		.amdhsa_user_sgpr_dispatch_ptr 0
		.amdhsa_user_sgpr_queue_ptr 0
		.amdhsa_user_sgpr_kernarg_segment_ptr 1
		.amdhsa_user_sgpr_dispatch_id 0
		.amdhsa_user_sgpr_flat_scratch_init 0
		.amdhsa_user_sgpr_kernarg_preload_length 0
		.amdhsa_user_sgpr_kernarg_preload_offset 0
		.amdhsa_user_sgpr_private_segment_size 0
		.amdhsa_uses_dynamic_stack 0
		.amdhsa_system_sgpr_private_segment_wavefront_offset 0
		.amdhsa_system_sgpr_workgroup_id_x 1
		.amdhsa_system_sgpr_workgroup_id_y 0
		.amdhsa_system_sgpr_workgroup_id_z 0
		.amdhsa_system_sgpr_workgroup_info 0
		.amdhsa_system_vgpr_workitem_id 0
		.amdhsa_next_free_vgpr 1
		.amdhsa_next_free_sgpr 0
		.amdhsa_accum_offset 4
		.amdhsa_reserve_vcc 0
		.amdhsa_reserve_flat_scratch 0
		.amdhsa_float_round_mode_32 0
		.amdhsa_float_round_mode_16_64 0
		.amdhsa_float_denorm_mode_32 3
		.amdhsa_float_denorm_mode_16_64 3
		.amdhsa_dx10_clamp 1
		.amdhsa_ieee_mode 1
		.amdhsa_fp16_overflow 0
		.amdhsa_tg_split 0
		.amdhsa_exception_fp_ieee_invalid_op 0
		.amdhsa_exception_fp_denorm_src 0
		.amdhsa_exception_fp_ieee_div_zero 0
		.amdhsa_exception_fp_ieee_overflow 0
		.amdhsa_exception_fp_ieee_underflow 0
		.amdhsa_exception_fp_ieee_inexact 0
		.amdhsa_exception_int_div_zero 0
	.end_amdhsa_kernel
	.section	.text._ZN7rocprim17ROCPRIM_400000_NS6detail17trampoline_kernelINS0_14default_configENS1_29reduce_by_key_config_selectorIjjN6thrust23THRUST_200600_302600_NS4plusIjEEEEZZNS1_33reduce_by_key_impl_wrapped_configILNS1_25lookback_scan_determinismE0ES3_S9_NS6_6detail15normal_iteratorINS6_10device_ptrIjEEEESG_SG_SG_PmS8_22is_equal_div_10_reduceIjEEE10hipError_tPvRmT2_T3_mT4_T5_T6_T7_T8_P12ihipStream_tbENKUlT_T0_E_clISt17integral_constantIbLb1EES11_EEDaSW_SX_EUlSW_E_NS1_11comp_targetILNS1_3genE9ELNS1_11target_archE1100ELNS1_3gpuE3ELNS1_3repE0EEENS1_30default_config_static_selectorELNS0_4arch9wavefront6targetE1EEEvT1_,"axG",@progbits,_ZN7rocprim17ROCPRIM_400000_NS6detail17trampoline_kernelINS0_14default_configENS1_29reduce_by_key_config_selectorIjjN6thrust23THRUST_200600_302600_NS4plusIjEEEEZZNS1_33reduce_by_key_impl_wrapped_configILNS1_25lookback_scan_determinismE0ES3_S9_NS6_6detail15normal_iteratorINS6_10device_ptrIjEEEESG_SG_SG_PmS8_22is_equal_div_10_reduceIjEEE10hipError_tPvRmT2_T3_mT4_T5_T6_T7_T8_P12ihipStream_tbENKUlT_T0_E_clISt17integral_constantIbLb1EES11_EEDaSW_SX_EUlSW_E_NS1_11comp_targetILNS1_3genE9ELNS1_11target_archE1100ELNS1_3gpuE3ELNS1_3repE0EEENS1_30default_config_static_selectorELNS0_4arch9wavefront6targetE1EEEvT1_,comdat
.Lfunc_end370:
	.size	_ZN7rocprim17ROCPRIM_400000_NS6detail17trampoline_kernelINS0_14default_configENS1_29reduce_by_key_config_selectorIjjN6thrust23THRUST_200600_302600_NS4plusIjEEEEZZNS1_33reduce_by_key_impl_wrapped_configILNS1_25lookback_scan_determinismE0ES3_S9_NS6_6detail15normal_iteratorINS6_10device_ptrIjEEEESG_SG_SG_PmS8_22is_equal_div_10_reduceIjEEE10hipError_tPvRmT2_T3_mT4_T5_T6_T7_T8_P12ihipStream_tbENKUlT_T0_E_clISt17integral_constantIbLb1EES11_EEDaSW_SX_EUlSW_E_NS1_11comp_targetILNS1_3genE9ELNS1_11target_archE1100ELNS1_3gpuE3ELNS1_3repE0EEENS1_30default_config_static_selectorELNS0_4arch9wavefront6targetE1EEEvT1_, .Lfunc_end370-_ZN7rocprim17ROCPRIM_400000_NS6detail17trampoline_kernelINS0_14default_configENS1_29reduce_by_key_config_selectorIjjN6thrust23THRUST_200600_302600_NS4plusIjEEEEZZNS1_33reduce_by_key_impl_wrapped_configILNS1_25lookback_scan_determinismE0ES3_S9_NS6_6detail15normal_iteratorINS6_10device_ptrIjEEEESG_SG_SG_PmS8_22is_equal_div_10_reduceIjEEE10hipError_tPvRmT2_T3_mT4_T5_T6_T7_T8_P12ihipStream_tbENKUlT_T0_E_clISt17integral_constantIbLb1EES11_EEDaSW_SX_EUlSW_E_NS1_11comp_targetILNS1_3genE9ELNS1_11target_archE1100ELNS1_3gpuE3ELNS1_3repE0EEENS1_30default_config_static_selectorELNS0_4arch9wavefront6targetE1EEEvT1_
                                        ; -- End function
	.section	.AMDGPU.csdata,"",@progbits
; Kernel info:
; codeLenInByte = 0
; NumSgprs: 4
; NumVgprs: 0
; NumAgprs: 0
; TotalNumVgprs: 0
; ScratchSize: 0
; MemoryBound: 0
; FloatMode: 240
; IeeeMode: 1
; LDSByteSize: 0 bytes/workgroup (compile time only)
; SGPRBlocks: 0
; VGPRBlocks: 0
; NumSGPRsForWavesPerEU: 4
; NumVGPRsForWavesPerEU: 1
; AccumOffset: 4
; Occupancy: 8
; WaveLimiterHint : 0
; COMPUTE_PGM_RSRC2:SCRATCH_EN: 0
; COMPUTE_PGM_RSRC2:USER_SGPR: 6
; COMPUTE_PGM_RSRC2:TRAP_HANDLER: 0
; COMPUTE_PGM_RSRC2:TGID_X_EN: 1
; COMPUTE_PGM_RSRC2:TGID_Y_EN: 0
; COMPUTE_PGM_RSRC2:TGID_Z_EN: 0
; COMPUTE_PGM_RSRC2:TIDIG_COMP_CNT: 0
; COMPUTE_PGM_RSRC3_GFX90A:ACCUM_OFFSET: 0
; COMPUTE_PGM_RSRC3_GFX90A:TG_SPLIT: 0
	.section	.text._ZN7rocprim17ROCPRIM_400000_NS6detail17trampoline_kernelINS0_14default_configENS1_29reduce_by_key_config_selectorIjjN6thrust23THRUST_200600_302600_NS4plusIjEEEEZZNS1_33reduce_by_key_impl_wrapped_configILNS1_25lookback_scan_determinismE0ES3_S9_NS6_6detail15normal_iteratorINS6_10device_ptrIjEEEESG_SG_SG_PmS8_22is_equal_div_10_reduceIjEEE10hipError_tPvRmT2_T3_mT4_T5_T6_T7_T8_P12ihipStream_tbENKUlT_T0_E_clISt17integral_constantIbLb1EES11_EEDaSW_SX_EUlSW_E_NS1_11comp_targetILNS1_3genE8ELNS1_11target_archE1030ELNS1_3gpuE2ELNS1_3repE0EEENS1_30default_config_static_selectorELNS0_4arch9wavefront6targetE1EEEvT1_,"axG",@progbits,_ZN7rocprim17ROCPRIM_400000_NS6detail17trampoline_kernelINS0_14default_configENS1_29reduce_by_key_config_selectorIjjN6thrust23THRUST_200600_302600_NS4plusIjEEEEZZNS1_33reduce_by_key_impl_wrapped_configILNS1_25lookback_scan_determinismE0ES3_S9_NS6_6detail15normal_iteratorINS6_10device_ptrIjEEEESG_SG_SG_PmS8_22is_equal_div_10_reduceIjEEE10hipError_tPvRmT2_T3_mT4_T5_T6_T7_T8_P12ihipStream_tbENKUlT_T0_E_clISt17integral_constantIbLb1EES11_EEDaSW_SX_EUlSW_E_NS1_11comp_targetILNS1_3genE8ELNS1_11target_archE1030ELNS1_3gpuE2ELNS1_3repE0EEENS1_30default_config_static_selectorELNS0_4arch9wavefront6targetE1EEEvT1_,comdat
	.protected	_ZN7rocprim17ROCPRIM_400000_NS6detail17trampoline_kernelINS0_14default_configENS1_29reduce_by_key_config_selectorIjjN6thrust23THRUST_200600_302600_NS4plusIjEEEEZZNS1_33reduce_by_key_impl_wrapped_configILNS1_25lookback_scan_determinismE0ES3_S9_NS6_6detail15normal_iteratorINS6_10device_ptrIjEEEESG_SG_SG_PmS8_22is_equal_div_10_reduceIjEEE10hipError_tPvRmT2_T3_mT4_T5_T6_T7_T8_P12ihipStream_tbENKUlT_T0_E_clISt17integral_constantIbLb1EES11_EEDaSW_SX_EUlSW_E_NS1_11comp_targetILNS1_3genE8ELNS1_11target_archE1030ELNS1_3gpuE2ELNS1_3repE0EEENS1_30default_config_static_selectorELNS0_4arch9wavefront6targetE1EEEvT1_ ; -- Begin function _ZN7rocprim17ROCPRIM_400000_NS6detail17trampoline_kernelINS0_14default_configENS1_29reduce_by_key_config_selectorIjjN6thrust23THRUST_200600_302600_NS4plusIjEEEEZZNS1_33reduce_by_key_impl_wrapped_configILNS1_25lookback_scan_determinismE0ES3_S9_NS6_6detail15normal_iteratorINS6_10device_ptrIjEEEESG_SG_SG_PmS8_22is_equal_div_10_reduceIjEEE10hipError_tPvRmT2_T3_mT4_T5_T6_T7_T8_P12ihipStream_tbENKUlT_T0_E_clISt17integral_constantIbLb1EES11_EEDaSW_SX_EUlSW_E_NS1_11comp_targetILNS1_3genE8ELNS1_11target_archE1030ELNS1_3gpuE2ELNS1_3repE0EEENS1_30default_config_static_selectorELNS0_4arch9wavefront6targetE1EEEvT1_
	.globl	_ZN7rocprim17ROCPRIM_400000_NS6detail17trampoline_kernelINS0_14default_configENS1_29reduce_by_key_config_selectorIjjN6thrust23THRUST_200600_302600_NS4plusIjEEEEZZNS1_33reduce_by_key_impl_wrapped_configILNS1_25lookback_scan_determinismE0ES3_S9_NS6_6detail15normal_iteratorINS6_10device_ptrIjEEEESG_SG_SG_PmS8_22is_equal_div_10_reduceIjEEE10hipError_tPvRmT2_T3_mT4_T5_T6_T7_T8_P12ihipStream_tbENKUlT_T0_E_clISt17integral_constantIbLb1EES11_EEDaSW_SX_EUlSW_E_NS1_11comp_targetILNS1_3genE8ELNS1_11target_archE1030ELNS1_3gpuE2ELNS1_3repE0EEENS1_30default_config_static_selectorELNS0_4arch9wavefront6targetE1EEEvT1_
	.p2align	8
	.type	_ZN7rocprim17ROCPRIM_400000_NS6detail17trampoline_kernelINS0_14default_configENS1_29reduce_by_key_config_selectorIjjN6thrust23THRUST_200600_302600_NS4plusIjEEEEZZNS1_33reduce_by_key_impl_wrapped_configILNS1_25lookback_scan_determinismE0ES3_S9_NS6_6detail15normal_iteratorINS6_10device_ptrIjEEEESG_SG_SG_PmS8_22is_equal_div_10_reduceIjEEE10hipError_tPvRmT2_T3_mT4_T5_T6_T7_T8_P12ihipStream_tbENKUlT_T0_E_clISt17integral_constantIbLb1EES11_EEDaSW_SX_EUlSW_E_NS1_11comp_targetILNS1_3genE8ELNS1_11target_archE1030ELNS1_3gpuE2ELNS1_3repE0EEENS1_30default_config_static_selectorELNS0_4arch9wavefront6targetE1EEEvT1_,@function
_ZN7rocprim17ROCPRIM_400000_NS6detail17trampoline_kernelINS0_14default_configENS1_29reduce_by_key_config_selectorIjjN6thrust23THRUST_200600_302600_NS4plusIjEEEEZZNS1_33reduce_by_key_impl_wrapped_configILNS1_25lookback_scan_determinismE0ES3_S9_NS6_6detail15normal_iteratorINS6_10device_ptrIjEEEESG_SG_SG_PmS8_22is_equal_div_10_reduceIjEEE10hipError_tPvRmT2_T3_mT4_T5_T6_T7_T8_P12ihipStream_tbENKUlT_T0_E_clISt17integral_constantIbLb1EES11_EEDaSW_SX_EUlSW_E_NS1_11comp_targetILNS1_3genE8ELNS1_11target_archE1030ELNS1_3gpuE2ELNS1_3repE0EEENS1_30default_config_static_selectorELNS0_4arch9wavefront6targetE1EEEvT1_: ; @_ZN7rocprim17ROCPRIM_400000_NS6detail17trampoline_kernelINS0_14default_configENS1_29reduce_by_key_config_selectorIjjN6thrust23THRUST_200600_302600_NS4plusIjEEEEZZNS1_33reduce_by_key_impl_wrapped_configILNS1_25lookback_scan_determinismE0ES3_S9_NS6_6detail15normal_iteratorINS6_10device_ptrIjEEEESG_SG_SG_PmS8_22is_equal_div_10_reduceIjEEE10hipError_tPvRmT2_T3_mT4_T5_T6_T7_T8_P12ihipStream_tbENKUlT_T0_E_clISt17integral_constantIbLb1EES11_EEDaSW_SX_EUlSW_E_NS1_11comp_targetILNS1_3genE8ELNS1_11target_archE1030ELNS1_3gpuE2ELNS1_3repE0EEENS1_30default_config_static_selectorELNS0_4arch9wavefront6targetE1EEEvT1_
; %bb.0:
	.section	.rodata,"a",@progbits
	.p2align	6, 0x0
	.amdhsa_kernel _ZN7rocprim17ROCPRIM_400000_NS6detail17trampoline_kernelINS0_14default_configENS1_29reduce_by_key_config_selectorIjjN6thrust23THRUST_200600_302600_NS4plusIjEEEEZZNS1_33reduce_by_key_impl_wrapped_configILNS1_25lookback_scan_determinismE0ES3_S9_NS6_6detail15normal_iteratorINS6_10device_ptrIjEEEESG_SG_SG_PmS8_22is_equal_div_10_reduceIjEEE10hipError_tPvRmT2_T3_mT4_T5_T6_T7_T8_P12ihipStream_tbENKUlT_T0_E_clISt17integral_constantIbLb1EES11_EEDaSW_SX_EUlSW_E_NS1_11comp_targetILNS1_3genE8ELNS1_11target_archE1030ELNS1_3gpuE2ELNS1_3repE0EEENS1_30default_config_static_selectorELNS0_4arch9wavefront6targetE1EEEvT1_
		.amdhsa_group_segment_fixed_size 0
		.amdhsa_private_segment_fixed_size 0
		.amdhsa_kernarg_size 120
		.amdhsa_user_sgpr_count 6
		.amdhsa_user_sgpr_private_segment_buffer 1
		.amdhsa_user_sgpr_dispatch_ptr 0
		.amdhsa_user_sgpr_queue_ptr 0
		.amdhsa_user_sgpr_kernarg_segment_ptr 1
		.amdhsa_user_sgpr_dispatch_id 0
		.amdhsa_user_sgpr_flat_scratch_init 0
		.amdhsa_user_sgpr_kernarg_preload_length 0
		.amdhsa_user_sgpr_kernarg_preload_offset 0
		.amdhsa_user_sgpr_private_segment_size 0
		.amdhsa_uses_dynamic_stack 0
		.amdhsa_system_sgpr_private_segment_wavefront_offset 0
		.amdhsa_system_sgpr_workgroup_id_x 1
		.amdhsa_system_sgpr_workgroup_id_y 0
		.amdhsa_system_sgpr_workgroup_id_z 0
		.amdhsa_system_sgpr_workgroup_info 0
		.amdhsa_system_vgpr_workitem_id 0
		.amdhsa_next_free_vgpr 1
		.amdhsa_next_free_sgpr 0
		.amdhsa_accum_offset 4
		.amdhsa_reserve_vcc 0
		.amdhsa_reserve_flat_scratch 0
		.amdhsa_float_round_mode_32 0
		.amdhsa_float_round_mode_16_64 0
		.amdhsa_float_denorm_mode_32 3
		.amdhsa_float_denorm_mode_16_64 3
		.amdhsa_dx10_clamp 1
		.amdhsa_ieee_mode 1
		.amdhsa_fp16_overflow 0
		.amdhsa_tg_split 0
		.amdhsa_exception_fp_ieee_invalid_op 0
		.amdhsa_exception_fp_denorm_src 0
		.amdhsa_exception_fp_ieee_div_zero 0
		.amdhsa_exception_fp_ieee_overflow 0
		.amdhsa_exception_fp_ieee_underflow 0
		.amdhsa_exception_fp_ieee_inexact 0
		.amdhsa_exception_int_div_zero 0
	.end_amdhsa_kernel
	.section	.text._ZN7rocprim17ROCPRIM_400000_NS6detail17trampoline_kernelINS0_14default_configENS1_29reduce_by_key_config_selectorIjjN6thrust23THRUST_200600_302600_NS4plusIjEEEEZZNS1_33reduce_by_key_impl_wrapped_configILNS1_25lookback_scan_determinismE0ES3_S9_NS6_6detail15normal_iteratorINS6_10device_ptrIjEEEESG_SG_SG_PmS8_22is_equal_div_10_reduceIjEEE10hipError_tPvRmT2_T3_mT4_T5_T6_T7_T8_P12ihipStream_tbENKUlT_T0_E_clISt17integral_constantIbLb1EES11_EEDaSW_SX_EUlSW_E_NS1_11comp_targetILNS1_3genE8ELNS1_11target_archE1030ELNS1_3gpuE2ELNS1_3repE0EEENS1_30default_config_static_selectorELNS0_4arch9wavefront6targetE1EEEvT1_,"axG",@progbits,_ZN7rocprim17ROCPRIM_400000_NS6detail17trampoline_kernelINS0_14default_configENS1_29reduce_by_key_config_selectorIjjN6thrust23THRUST_200600_302600_NS4plusIjEEEEZZNS1_33reduce_by_key_impl_wrapped_configILNS1_25lookback_scan_determinismE0ES3_S9_NS6_6detail15normal_iteratorINS6_10device_ptrIjEEEESG_SG_SG_PmS8_22is_equal_div_10_reduceIjEEE10hipError_tPvRmT2_T3_mT4_T5_T6_T7_T8_P12ihipStream_tbENKUlT_T0_E_clISt17integral_constantIbLb1EES11_EEDaSW_SX_EUlSW_E_NS1_11comp_targetILNS1_3genE8ELNS1_11target_archE1030ELNS1_3gpuE2ELNS1_3repE0EEENS1_30default_config_static_selectorELNS0_4arch9wavefront6targetE1EEEvT1_,comdat
.Lfunc_end371:
	.size	_ZN7rocprim17ROCPRIM_400000_NS6detail17trampoline_kernelINS0_14default_configENS1_29reduce_by_key_config_selectorIjjN6thrust23THRUST_200600_302600_NS4plusIjEEEEZZNS1_33reduce_by_key_impl_wrapped_configILNS1_25lookback_scan_determinismE0ES3_S9_NS6_6detail15normal_iteratorINS6_10device_ptrIjEEEESG_SG_SG_PmS8_22is_equal_div_10_reduceIjEEE10hipError_tPvRmT2_T3_mT4_T5_T6_T7_T8_P12ihipStream_tbENKUlT_T0_E_clISt17integral_constantIbLb1EES11_EEDaSW_SX_EUlSW_E_NS1_11comp_targetILNS1_3genE8ELNS1_11target_archE1030ELNS1_3gpuE2ELNS1_3repE0EEENS1_30default_config_static_selectorELNS0_4arch9wavefront6targetE1EEEvT1_, .Lfunc_end371-_ZN7rocprim17ROCPRIM_400000_NS6detail17trampoline_kernelINS0_14default_configENS1_29reduce_by_key_config_selectorIjjN6thrust23THRUST_200600_302600_NS4plusIjEEEEZZNS1_33reduce_by_key_impl_wrapped_configILNS1_25lookback_scan_determinismE0ES3_S9_NS6_6detail15normal_iteratorINS6_10device_ptrIjEEEESG_SG_SG_PmS8_22is_equal_div_10_reduceIjEEE10hipError_tPvRmT2_T3_mT4_T5_T6_T7_T8_P12ihipStream_tbENKUlT_T0_E_clISt17integral_constantIbLb1EES11_EEDaSW_SX_EUlSW_E_NS1_11comp_targetILNS1_3genE8ELNS1_11target_archE1030ELNS1_3gpuE2ELNS1_3repE0EEENS1_30default_config_static_selectorELNS0_4arch9wavefront6targetE1EEEvT1_
                                        ; -- End function
	.section	.AMDGPU.csdata,"",@progbits
; Kernel info:
; codeLenInByte = 0
; NumSgprs: 4
; NumVgprs: 0
; NumAgprs: 0
; TotalNumVgprs: 0
; ScratchSize: 0
; MemoryBound: 0
; FloatMode: 240
; IeeeMode: 1
; LDSByteSize: 0 bytes/workgroup (compile time only)
; SGPRBlocks: 0
; VGPRBlocks: 0
; NumSGPRsForWavesPerEU: 4
; NumVGPRsForWavesPerEU: 1
; AccumOffset: 4
; Occupancy: 8
; WaveLimiterHint : 0
; COMPUTE_PGM_RSRC2:SCRATCH_EN: 0
; COMPUTE_PGM_RSRC2:USER_SGPR: 6
; COMPUTE_PGM_RSRC2:TRAP_HANDLER: 0
; COMPUTE_PGM_RSRC2:TGID_X_EN: 1
; COMPUTE_PGM_RSRC2:TGID_Y_EN: 0
; COMPUTE_PGM_RSRC2:TGID_Z_EN: 0
; COMPUTE_PGM_RSRC2:TIDIG_COMP_CNT: 0
; COMPUTE_PGM_RSRC3_GFX90A:ACCUM_OFFSET: 0
; COMPUTE_PGM_RSRC3_GFX90A:TG_SPLIT: 0
	.section	.text._ZN7rocprim17ROCPRIM_400000_NS6detail17trampoline_kernelINS0_14default_configENS1_29reduce_by_key_config_selectorIjjN6thrust23THRUST_200600_302600_NS4plusIjEEEEZZNS1_33reduce_by_key_impl_wrapped_configILNS1_25lookback_scan_determinismE0ES3_S9_NS6_6detail15normal_iteratorINS6_10device_ptrIjEEEESG_SG_SG_PmS8_22is_equal_div_10_reduceIjEEE10hipError_tPvRmT2_T3_mT4_T5_T6_T7_T8_P12ihipStream_tbENKUlT_T0_E_clISt17integral_constantIbLb1EES10_IbLb0EEEEDaSW_SX_EUlSW_E_NS1_11comp_targetILNS1_3genE0ELNS1_11target_archE4294967295ELNS1_3gpuE0ELNS1_3repE0EEENS1_30default_config_static_selectorELNS0_4arch9wavefront6targetE1EEEvT1_,"axG",@progbits,_ZN7rocprim17ROCPRIM_400000_NS6detail17trampoline_kernelINS0_14default_configENS1_29reduce_by_key_config_selectorIjjN6thrust23THRUST_200600_302600_NS4plusIjEEEEZZNS1_33reduce_by_key_impl_wrapped_configILNS1_25lookback_scan_determinismE0ES3_S9_NS6_6detail15normal_iteratorINS6_10device_ptrIjEEEESG_SG_SG_PmS8_22is_equal_div_10_reduceIjEEE10hipError_tPvRmT2_T3_mT4_T5_T6_T7_T8_P12ihipStream_tbENKUlT_T0_E_clISt17integral_constantIbLb1EES10_IbLb0EEEEDaSW_SX_EUlSW_E_NS1_11comp_targetILNS1_3genE0ELNS1_11target_archE4294967295ELNS1_3gpuE0ELNS1_3repE0EEENS1_30default_config_static_selectorELNS0_4arch9wavefront6targetE1EEEvT1_,comdat
	.protected	_ZN7rocprim17ROCPRIM_400000_NS6detail17trampoline_kernelINS0_14default_configENS1_29reduce_by_key_config_selectorIjjN6thrust23THRUST_200600_302600_NS4plusIjEEEEZZNS1_33reduce_by_key_impl_wrapped_configILNS1_25lookback_scan_determinismE0ES3_S9_NS6_6detail15normal_iteratorINS6_10device_ptrIjEEEESG_SG_SG_PmS8_22is_equal_div_10_reduceIjEEE10hipError_tPvRmT2_T3_mT4_T5_T6_T7_T8_P12ihipStream_tbENKUlT_T0_E_clISt17integral_constantIbLb1EES10_IbLb0EEEEDaSW_SX_EUlSW_E_NS1_11comp_targetILNS1_3genE0ELNS1_11target_archE4294967295ELNS1_3gpuE0ELNS1_3repE0EEENS1_30default_config_static_selectorELNS0_4arch9wavefront6targetE1EEEvT1_ ; -- Begin function _ZN7rocprim17ROCPRIM_400000_NS6detail17trampoline_kernelINS0_14default_configENS1_29reduce_by_key_config_selectorIjjN6thrust23THRUST_200600_302600_NS4plusIjEEEEZZNS1_33reduce_by_key_impl_wrapped_configILNS1_25lookback_scan_determinismE0ES3_S9_NS6_6detail15normal_iteratorINS6_10device_ptrIjEEEESG_SG_SG_PmS8_22is_equal_div_10_reduceIjEEE10hipError_tPvRmT2_T3_mT4_T5_T6_T7_T8_P12ihipStream_tbENKUlT_T0_E_clISt17integral_constantIbLb1EES10_IbLb0EEEEDaSW_SX_EUlSW_E_NS1_11comp_targetILNS1_3genE0ELNS1_11target_archE4294967295ELNS1_3gpuE0ELNS1_3repE0EEENS1_30default_config_static_selectorELNS0_4arch9wavefront6targetE1EEEvT1_
	.globl	_ZN7rocprim17ROCPRIM_400000_NS6detail17trampoline_kernelINS0_14default_configENS1_29reduce_by_key_config_selectorIjjN6thrust23THRUST_200600_302600_NS4plusIjEEEEZZNS1_33reduce_by_key_impl_wrapped_configILNS1_25lookback_scan_determinismE0ES3_S9_NS6_6detail15normal_iteratorINS6_10device_ptrIjEEEESG_SG_SG_PmS8_22is_equal_div_10_reduceIjEEE10hipError_tPvRmT2_T3_mT4_T5_T6_T7_T8_P12ihipStream_tbENKUlT_T0_E_clISt17integral_constantIbLb1EES10_IbLb0EEEEDaSW_SX_EUlSW_E_NS1_11comp_targetILNS1_3genE0ELNS1_11target_archE4294967295ELNS1_3gpuE0ELNS1_3repE0EEENS1_30default_config_static_selectorELNS0_4arch9wavefront6targetE1EEEvT1_
	.p2align	8
	.type	_ZN7rocprim17ROCPRIM_400000_NS6detail17trampoline_kernelINS0_14default_configENS1_29reduce_by_key_config_selectorIjjN6thrust23THRUST_200600_302600_NS4plusIjEEEEZZNS1_33reduce_by_key_impl_wrapped_configILNS1_25lookback_scan_determinismE0ES3_S9_NS6_6detail15normal_iteratorINS6_10device_ptrIjEEEESG_SG_SG_PmS8_22is_equal_div_10_reduceIjEEE10hipError_tPvRmT2_T3_mT4_T5_T6_T7_T8_P12ihipStream_tbENKUlT_T0_E_clISt17integral_constantIbLb1EES10_IbLb0EEEEDaSW_SX_EUlSW_E_NS1_11comp_targetILNS1_3genE0ELNS1_11target_archE4294967295ELNS1_3gpuE0ELNS1_3repE0EEENS1_30default_config_static_selectorELNS0_4arch9wavefront6targetE1EEEvT1_,@function
_ZN7rocprim17ROCPRIM_400000_NS6detail17trampoline_kernelINS0_14default_configENS1_29reduce_by_key_config_selectorIjjN6thrust23THRUST_200600_302600_NS4plusIjEEEEZZNS1_33reduce_by_key_impl_wrapped_configILNS1_25lookback_scan_determinismE0ES3_S9_NS6_6detail15normal_iteratorINS6_10device_ptrIjEEEESG_SG_SG_PmS8_22is_equal_div_10_reduceIjEEE10hipError_tPvRmT2_T3_mT4_T5_T6_T7_T8_P12ihipStream_tbENKUlT_T0_E_clISt17integral_constantIbLb1EES10_IbLb0EEEEDaSW_SX_EUlSW_E_NS1_11comp_targetILNS1_3genE0ELNS1_11target_archE4294967295ELNS1_3gpuE0ELNS1_3repE0EEENS1_30default_config_static_selectorELNS0_4arch9wavefront6targetE1EEEvT1_: ; @_ZN7rocprim17ROCPRIM_400000_NS6detail17trampoline_kernelINS0_14default_configENS1_29reduce_by_key_config_selectorIjjN6thrust23THRUST_200600_302600_NS4plusIjEEEEZZNS1_33reduce_by_key_impl_wrapped_configILNS1_25lookback_scan_determinismE0ES3_S9_NS6_6detail15normal_iteratorINS6_10device_ptrIjEEEESG_SG_SG_PmS8_22is_equal_div_10_reduceIjEEE10hipError_tPvRmT2_T3_mT4_T5_T6_T7_T8_P12ihipStream_tbENKUlT_T0_E_clISt17integral_constantIbLb1EES10_IbLb0EEEEDaSW_SX_EUlSW_E_NS1_11comp_targetILNS1_3genE0ELNS1_11target_archE4294967295ELNS1_3gpuE0ELNS1_3repE0EEENS1_30default_config_static_selectorELNS0_4arch9wavefront6targetE1EEEvT1_
; %bb.0:
	.section	.rodata,"a",@progbits
	.p2align	6, 0x0
	.amdhsa_kernel _ZN7rocprim17ROCPRIM_400000_NS6detail17trampoline_kernelINS0_14default_configENS1_29reduce_by_key_config_selectorIjjN6thrust23THRUST_200600_302600_NS4plusIjEEEEZZNS1_33reduce_by_key_impl_wrapped_configILNS1_25lookback_scan_determinismE0ES3_S9_NS6_6detail15normal_iteratorINS6_10device_ptrIjEEEESG_SG_SG_PmS8_22is_equal_div_10_reduceIjEEE10hipError_tPvRmT2_T3_mT4_T5_T6_T7_T8_P12ihipStream_tbENKUlT_T0_E_clISt17integral_constantIbLb1EES10_IbLb0EEEEDaSW_SX_EUlSW_E_NS1_11comp_targetILNS1_3genE0ELNS1_11target_archE4294967295ELNS1_3gpuE0ELNS1_3repE0EEENS1_30default_config_static_selectorELNS0_4arch9wavefront6targetE1EEEvT1_
		.amdhsa_group_segment_fixed_size 0
		.amdhsa_private_segment_fixed_size 0
		.amdhsa_kernarg_size 120
		.amdhsa_user_sgpr_count 6
		.amdhsa_user_sgpr_private_segment_buffer 1
		.amdhsa_user_sgpr_dispatch_ptr 0
		.amdhsa_user_sgpr_queue_ptr 0
		.amdhsa_user_sgpr_kernarg_segment_ptr 1
		.amdhsa_user_sgpr_dispatch_id 0
		.amdhsa_user_sgpr_flat_scratch_init 0
		.amdhsa_user_sgpr_kernarg_preload_length 0
		.amdhsa_user_sgpr_kernarg_preload_offset 0
		.amdhsa_user_sgpr_private_segment_size 0
		.amdhsa_uses_dynamic_stack 0
		.amdhsa_system_sgpr_private_segment_wavefront_offset 0
		.amdhsa_system_sgpr_workgroup_id_x 1
		.amdhsa_system_sgpr_workgroup_id_y 0
		.amdhsa_system_sgpr_workgroup_id_z 0
		.amdhsa_system_sgpr_workgroup_info 0
		.amdhsa_system_vgpr_workitem_id 0
		.amdhsa_next_free_vgpr 1
		.amdhsa_next_free_sgpr 0
		.amdhsa_accum_offset 4
		.amdhsa_reserve_vcc 0
		.amdhsa_reserve_flat_scratch 0
		.amdhsa_float_round_mode_32 0
		.amdhsa_float_round_mode_16_64 0
		.amdhsa_float_denorm_mode_32 3
		.amdhsa_float_denorm_mode_16_64 3
		.amdhsa_dx10_clamp 1
		.amdhsa_ieee_mode 1
		.amdhsa_fp16_overflow 0
		.amdhsa_tg_split 0
		.amdhsa_exception_fp_ieee_invalid_op 0
		.amdhsa_exception_fp_denorm_src 0
		.amdhsa_exception_fp_ieee_div_zero 0
		.amdhsa_exception_fp_ieee_overflow 0
		.amdhsa_exception_fp_ieee_underflow 0
		.amdhsa_exception_fp_ieee_inexact 0
		.amdhsa_exception_int_div_zero 0
	.end_amdhsa_kernel
	.section	.text._ZN7rocprim17ROCPRIM_400000_NS6detail17trampoline_kernelINS0_14default_configENS1_29reduce_by_key_config_selectorIjjN6thrust23THRUST_200600_302600_NS4plusIjEEEEZZNS1_33reduce_by_key_impl_wrapped_configILNS1_25lookback_scan_determinismE0ES3_S9_NS6_6detail15normal_iteratorINS6_10device_ptrIjEEEESG_SG_SG_PmS8_22is_equal_div_10_reduceIjEEE10hipError_tPvRmT2_T3_mT4_T5_T6_T7_T8_P12ihipStream_tbENKUlT_T0_E_clISt17integral_constantIbLb1EES10_IbLb0EEEEDaSW_SX_EUlSW_E_NS1_11comp_targetILNS1_3genE0ELNS1_11target_archE4294967295ELNS1_3gpuE0ELNS1_3repE0EEENS1_30default_config_static_selectorELNS0_4arch9wavefront6targetE1EEEvT1_,"axG",@progbits,_ZN7rocprim17ROCPRIM_400000_NS6detail17trampoline_kernelINS0_14default_configENS1_29reduce_by_key_config_selectorIjjN6thrust23THRUST_200600_302600_NS4plusIjEEEEZZNS1_33reduce_by_key_impl_wrapped_configILNS1_25lookback_scan_determinismE0ES3_S9_NS6_6detail15normal_iteratorINS6_10device_ptrIjEEEESG_SG_SG_PmS8_22is_equal_div_10_reduceIjEEE10hipError_tPvRmT2_T3_mT4_T5_T6_T7_T8_P12ihipStream_tbENKUlT_T0_E_clISt17integral_constantIbLb1EES10_IbLb0EEEEDaSW_SX_EUlSW_E_NS1_11comp_targetILNS1_3genE0ELNS1_11target_archE4294967295ELNS1_3gpuE0ELNS1_3repE0EEENS1_30default_config_static_selectorELNS0_4arch9wavefront6targetE1EEEvT1_,comdat
.Lfunc_end372:
	.size	_ZN7rocprim17ROCPRIM_400000_NS6detail17trampoline_kernelINS0_14default_configENS1_29reduce_by_key_config_selectorIjjN6thrust23THRUST_200600_302600_NS4plusIjEEEEZZNS1_33reduce_by_key_impl_wrapped_configILNS1_25lookback_scan_determinismE0ES3_S9_NS6_6detail15normal_iteratorINS6_10device_ptrIjEEEESG_SG_SG_PmS8_22is_equal_div_10_reduceIjEEE10hipError_tPvRmT2_T3_mT4_T5_T6_T7_T8_P12ihipStream_tbENKUlT_T0_E_clISt17integral_constantIbLb1EES10_IbLb0EEEEDaSW_SX_EUlSW_E_NS1_11comp_targetILNS1_3genE0ELNS1_11target_archE4294967295ELNS1_3gpuE0ELNS1_3repE0EEENS1_30default_config_static_selectorELNS0_4arch9wavefront6targetE1EEEvT1_, .Lfunc_end372-_ZN7rocprim17ROCPRIM_400000_NS6detail17trampoline_kernelINS0_14default_configENS1_29reduce_by_key_config_selectorIjjN6thrust23THRUST_200600_302600_NS4plusIjEEEEZZNS1_33reduce_by_key_impl_wrapped_configILNS1_25lookback_scan_determinismE0ES3_S9_NS6_6detail15normal_iteratorINS6_10device_ptrIjEEEESG_SG_SG_PmS8_22is_equal_div_10_reduceIjEEE10hipError_tPvRmT2_T3_mT4_T5_T6_T7_T8_P12ihipStream_tbENKUlT_T0_E_clISt17integral_constantIbLb1EES10_IbLb0EEEEDaSW_SX_EUlSW_E_NS1_11comp_targetILNS1_3genE0ELNS1_11target_archE4294967295ELNS1_3gpuE0ELNS1_3repE0EEENS1_30default_config_static_selectorELNS0_4arch9wavefront6targetE1EEEvT1_
                                        ; -- End function
	.section	.AMDGPU.csdata,"",@progbits
; Kernel info:
; codeLenInByte = 0
; NumSgprs: 4
; NumVgprs: 0
; NumAgprs: 0
; TotalNumVgprs: 0
; ScratchSize: 0
; MemoryBound: 0
; FloatMode: 240
; IeeeMode: 1
; LDSByteSize: 0 bytes/workgroup (compile time only)
; SGPRBlocks: 0
; VGPRBlocks: 0
; NumSGPRsForWavesPerEU: 4
; NumVGPRsForWavesPerEU: 1
; AccumOffset: 4
; Occupancy: 8
; WaveLimiterHint : 0
; COMPUTE_PGM_RSRC2:SCRATCH_EN: 0
; COMPUTE_PGM_RSRC2:USER_SGPR: 6
; COMPUTE_PGM_RSRC2:TRAP_HANDLER: 0
; COMPUTE_PGM_RSRC2:TGID_X_EN: 1
; COMPUTE_PGM_RSRC2:TGID_Y_EN: 0
; COMPUTE_PGM_RSRC2:TGID_Z_EN: 0
; COMPUTE_PGM_RSRC2:TIDIG_COMP_CNT: 0
; COMPUTE_PGM_RSRC3_GFX90A:ACCUM_OFFSET: 0
; COMPUTE_PGM_RSRC3_GFX90A:TG_SPLIT: 0
	.section	.text._ZN7rocprim17ROCPRIM_400000_NS6detail17trampoline_kernelINS0_14default_configENS1_29reduce_by_key_config_selectorIjjN6thrust23THRUST_200600_302600_NS4plusIjEEEEZZNS1_33reduce_by_key_impl_wrapped_configILNS1_25lookback_scan_determinismE0ES3_S9_NS6_6detail15normal_iteratorINS6_10device_ptrIjEEEESG_SG_SG_PmS8_22is_equal_div_10_reduceIjEEE10hipError_tPvRmT2_T3_mT4_T5_T6_T7_T8_P12ihipStream_tbENKUlT_T0_E_clISt17integral_constantIbLb1EES10_IbLb0EEEEDaSW_SX_EUlSW_E_NS1_11comp_targetILNS1_3genE5ELNS1_11target_archE942ELNS1_3gpuE9ELNS1_3repE0EEENS1_30default_config_static_selectorELNS0_4arch9wavefront6targetE1EEEvT1_,"axG",@progbits,_ZN7rocprim17ROCPRIM_400000_NS6detail17trampoline_kernelINS0_14default_configENS1_29reduce_by_key_config_selectorIjjN6thrust23THRUST_200600_302600_NS4plusIjEEEEZZNS1_33reduce_by_key_impl_wrapped_configILNS1_25lookback_scan_determinismE0ES3_S9_NS6_6detail15normal_iteratorINS6_10device_ptrIjEEEESG_SG_SG_PmS8_22is_equal_div_10_reduceIjEEE10hipError_tPvRmT2_T3_mT4_T5_T6_T7_T8_P12ihipStream_tbENKUlT_T0_E_clISt17integral_constantIbLb1EES10_IbLb0EEEEDaSW_SX_EUlSW_E_NS1_11comp_targetILNS1_3genE5ELNS1_11target_archE942ELNS1_3gpuE9ELNS1_3repE0EEENS1_30default_config_static_selectorELNS0_4arch9wavefront6targetE1EEEvT1_,comdat
	.protected	_ZN7rocprim17ROCPRIM_400000_NS6detail17trampoline_kernelINS0_14default_configENS1_29reduce_by_key_config_selectorIjjN6thrust23THRUST_200600_302600_NS4plusIjEEEEZZNS1_33reduce_by_key_impl_wrapped_configILNS1_25lookback_scan_determinismE0ES3_S9_NS6_6detail15normal_iteratorINS6_10device_ptrIjEEEESG_SG_SG_PmS8_22is_equal_div_10_reduceIjEEE10hipError_tPvRmT2_T3_mT4_T5_T6_T7_T8_P12ihipStream_tbENKUlT_T0_E_clISt17integral_constantIbLb1EES10_IbLb0EEEEDaSW_SX_EUlSW_E_NS1_11comp_targetILNS1_3genE5ELNS1_11target_archE942ELNS1_3gpuE9ELNS1_3repE0EEENS1_30default_config_static_selectorELNS0_4arch9wavefront6targetE1EEEvT1_ ; -- Begin function _ZN7rocprim17ROCPRIM_400000_NS6detail17trampoline_kernelINS0_14default_configENS1_29reduce_by_key_config_selectorIjjN6thrust23THRUST_200600_302600_NS4plusIjEEEEZZNS1_33reduce_by_key_impl_wrapped_configILNS1_25lookback_scan_determinismE0ES3_S9_NS6_6detail15normal_iteratorINS6_10device_ptrIjEEEESG_SG_SG_PmS8_22is_equal_div_10_reduceIjEEE10hipError_tPvRmT2_T3_mT4_T5_T6_T7_T8_P12ihipStream_tbENKUlT_T0_E_clISt17integral_constantIbLb1EES10_IbLb0EEEEDaSW_SX_EUlSW_E_NS1_11comp_targetILNS1_3genE5ELNS1_11target_archE942ELNS1_3gpuE9ELNS1_3repE0EEENS1_30default_config_static_selectorELNS0_4arch9wavefront6targetE1EEEvT1_
	.globl	_ZN7rocprim17ROCPRIM_400000_NS6detail17trampoline_kernelINS0_14default_configENS1_29reduce_by_key_config_selectorIjjN6thrust23THRUST_200600_302600_NS4plusIjEEEEZZNS1_33reduce_by_key_impl_wrapped_configILNS1_25lookback_scan_determinismE0ES3_S9_NS6_6detail15normal_iteratorINS6_10device_ptrIjEEEESG_SG_SG_PmS8_22is_equal_div_10_reduceIjEEE10hipError_tPvRmT2_T3_mT4_T5_T6_T7_T8_P12ihipStream_tbENKUlT_T0_E_clISt17integral_constantIbLb1EES10_IbLb0EEEEDaSW_SX_EUlSW_E_NS1_11comp_targetILNS1_3genE5ELNS1_11target_archE942ELNS1_3gpuE9ELNS1_3repE0EEENS1_30default_config_static_selectorELNS0_4arch9wavefront6targetE1EEEvT1_
	.p2align	8
	.type	_ZN7rocprim17ROCPRIM_400000_NS6detail17trampoline_kernelINS0_14default_configENS1_29reduce_by_key_config_selectorIjjN6thrust23THRUST_200600_302600_NS4plusIjEEEEZZNS1_33reduce_by_key_impl_wrapped_configILNS1_25lookback_scan_determinismE0ES3_S9_NS6_6detail15normal_iteratorINS6_10device_ptrIjEEEESG_SG_SG_PmS8_22is_equal_div_10_reduceIjEEE10hipError_tPvRmT2_T3_mT4_T5_T6_T7_T8_P12ihipStream_tbENKUlT_T0_E_clISt17integral_constantIbLb1EES10_IbLb0EEEEDaSW_SX_EUlSW_E_NS1_11comp_targetILNS1_3genE5ELNS1_11target_archE942ELNS1_3gpuE9ELNS1_3repE0EEENS1_30default_config_static_selectorELNS0_4arch9wavefront6targetE1EEEvT1_,@function
_ZN7rocprim17ROCPRIM_400000_NS6detail17trampoline_kernelINS0_14default_configENS1_29reduce_by_key_config_selectorIjjN6thrust23THRUST_200600_302600_NS4plusIjEEEEZZNS1_33reduce_by_key_impl_wrapped_configILNS1_25lookback_scan_determinismE0ES3_S9_NS6_6detail15normal_iteratorINS6_10device_ptrIjEEEESG_SG_SG_PmS8_22is_equal_div_10_reduceIjEEE10hipError_tPvRmT2_T3_mT4_T5_T6_T7_T8_P12ihipStream_tbENKUlT_T0_E_clISt17integral_constantIbLb1EES10_IbLb0EEEEDaSW_SX_EUlSW_E_NS1_11comp_targetILNS1_3genE5ELNS1_11target_archE942ELNS1_3gpuE9ELNS1_3repE0EEENS1_30default_config_static_selectorELNS0_4arch9wavefront6targetE1EEEvT1_: ; @_ZN7rocprim17ROCPRIM_400000_NS6detail17trampoline_kernelINS0_14default_configENS1_29reduce_by_key_config_selectorIjjN6thrust23THRUST_200600_302600_NS4plusIjEEEEZZNS1_33reduce_by_key_impl_wrapped_configILNS1_25lookback_scan_determinismE0ES3_S9_NS6_6detail15normal_iteratorINS6_10device_ptrIjEEEESG_SG_SG_PmS8_22is_equal_div_10_reduceIjEEE10hipError_tPvRmT2_T3_mT4_T5_T6_T7_T8_P12ihipStream_tbENKUlT_T0_E_clISt17integral_constantIbLb1EES10_IbLb0EEEEDaSW_SX_EUlSW_E_NS1_11comp_targetILNS1_3genE5ELNS1_11target_archE942ELNS1_3gpuE9ELNS1_3repE0EEENS1_30default_config_static_selectorELNS0_4arch9wavefront6targetE1EEEvT1_
; %bb.0:
	.section	.rodata,"a",@progbits
	.p2align	6, 0x0
	.amdhsa_kernel _ZN7rocprim17ROCPRIM_400000_NS6detail17trampoline_kernelINS0_14default_configENS1_29reduce_by_key_config_selectorIjjN6thrust23THRUST_200600_302600_NS4plusIjEEEEZZNS1_33reduce_by_key_impl_wrapped_configILNS1_25lookback_scan_determinismE0ES3_S9_NS6_6detail15normal_iteratorINS6_10device_ptrIjEEEESG_SG_SG_PmS8_22is_equal_div_10_reduceIjEEE10hipError_tPvRmT2_T3_mT4_T5_T6_T7_T8_P12ihipStream_tbENKUlT_T0_E_clISt17integral_constantIbLb1EES10_IbLb0EEEEDaSW_SX_EUlSW_E_NS1_11comp_targetILNS1_3genE5ELNS1_11target_archE942ELNS1_3gpuE9ELNS1_3repE0EEENS1_30default_config_static_selectorELNS0_4arch9wavefront6targetE1EEEvT1_
		.amdhsa_group_segment_fixed_size 0
		.amdhsa_private_segment_fixed_size 0
		.amdhsa_kernarg_size 120
		.amdhsa_user_sgpr_count 6
		.amdhsa_user_sgpr_private_segment_buffer 1
		.amdhsa_user_sgpr_dispatch_ptr 0
		.amdhsa_user_sgpr_queue_ptr 0
		.amdhsa_user_sgpr_kernarg_segment_ptr 1
		.amdhsa_user_sgpr_dispatch_id 0
		.amdhsa_user_sgpr_flat_scratch_init 0
		.amdhsa_user_sgpr_kernarg_preload_length 0
		.amdhsa_user_sgpr_kernarg_preload_offset 0
		.amdhsa_user_sgpr_private_segment_size 0
		.amdhsa_uses_dynamic_stack 0
		.amdhsa_system_sgpr_private_segment_wavefront_offset 0
		.amdhsa_system_sgpr_workgroup_id_x 1
		.amdhsa_system_sgpr_workgroup_id_y 0
		.amdhsa_system_sgpr_workgroup_id_z 0
		.amdhsa_system_sgpr_workgroup_info 0
		.amdhsa_system_vgpr_workitem_id 0
		.amdhsa_next_free_vgpr 1
		.amdhsa_next_free_sgpr 0
		.amdhsa_accum_offset 4
		.amdhsa_reserve_vcc 0
		.amdhsa_reserve_flat_scratch 0
		.amdhsa_float_round_mode_32 0
		.amdhsa_float_round_mode_16_64 0
		.amdhsa_float_denorm_mode_32 3
		.amdhsa_float_denorm_mode_16_64 3
		.amdhsa_dx10_clamp 1
		.amdhsa_ieee_mode 1
		.amdhsa_fp16_overflow 0
		.amdhsa_tg_split 0
		.amdhsa_exception_fp_ieee_invalid_op 0
		.amdhsa_exception_fp_denorm_src 0
		.amdhsa_exception_fp_ieee_div_zero 0
		.amdhsa_exception_fp_ieee_overflow 0
		.amdhsa_exception_fp_ieee_underflow 0
		.amdhsa_exception_fp_ieee_inexact 0
		.amdhsa_exception_int_div_zero 0
	.end_amdhsa_kernel
	.section	.text._ZN7rocprim17ROCPRIM_400000_NS6detail17trampoline_kernelINS0_14default_configENS1_29reduce_by_key_config_selectorIjjN6thrust23THRUST_200600_302600_NS4plusIjEEEEZZNS1_33reduce_by_key_impl_wrapped_configILNS1_25lookback_scan_determinismE0ES3_S9_NS6_6detail15normal_iteratorINS6_10device_ptrIjEEEESG_SG_SG_PmS8_22is_equal_div_10_reduceIjEEE10hipError_tPvRmT2_T3_mT4_T5_T6_T7_T8_P12ihipStream_tbENKUlT_T0_E_clISt17integral_constantIbLb1EES10_IbLb0EEEEDaSW_SX_EUlSW_E_NS1_11comp_targetILNS1_3genE5ELNS1_11target_archE942ELNS1_3gpuE9ELNS1_3repE0EEENS1_30default_config_static_selectorELNS0_4arch9wavefront6targetE1EEEvT1_,"axG",@progbits,_ZN7rocprim17ROCPRIM_400000_NS6detail17trampoline_kernelINS0_14default_configENS1_29reduce_by_key_config_selectorIjjN6thrust23THRUST_200600_302600_NS4plusIjEEEEZZNS1_33reduce_by_key_impl_wrapped_configILNS1_25lookback_scan_determinismE0ES3_S9_NS6_6detail15normal_iteratorINS6_10device_ptrIjEEEESG_SG_SG_PmS8_22is_equal_div_10_reduceIjEEE10hipError_tPvRmT2_T3_mT4_T5_T6_T7_T8_P12ihipStream_tbENKUlT_T0_E_clISt17integral_constantIbLb1EES10_IbLb0EEEEDaSW_SX_EUlSW_E_NS1_11comp_targetILNS1_3genE5ELNS1_11target_archE942ELNS1_3gpuE9ELNS1_3repE0EEENS1_30default_config_static_selectorELNS0_4arch9wavefront6targetE1EEEvT1_,comdat
.Lfunc_end373:
	.size	_ZN7rocprim17ROCPRIM_400000_NS6detail17trampoline_kernelINS0_14default_configENS1_29reduce_by_key_config_selectorIjjN6thrust23THRUST_200600_302600_NS4plusIjEEEEZZNS1_33reduce_by_key_impl_wrapped_configILNS1_25lookback_scan_determinismE0ES3_S9_NS6_6detail15normal_iteratorINS6_10device_ptrIjEEEESG_SG_SG_PmS8_22is_equal_div_10_reduceIjEEE10hipError_tPvRmT2_T3_mT4_T5_T6_T7_T8_P12ihipStream_tbENKUlT_T0_E_clISt17integral_constantIbLb1EES10_IbLb0EEEEDaSW_SX_EUlSW_E_NS1_11comp_targetILNS1_3genE5ELNS1_11target_archE942ELNS1_3gpuE9ELNS1_3repE0EEENS1_30default_config_static_selectorELNS0_4arch9wavefront6targetE1EEEvT1_, .Lfunc_end373-_ZN7rocprim17ROCPRIM_400000_NS6detail17trampoline_kernelINS0_14default_configENS1_29reduce_by_key_config_selectorIjjN6thrust23THRUST_200600_302600_NS4plusIjEEEEZZNS1_33reduce_by_key_impl_wrapped_configILNS1_25lookback_scan_determinismE0ES3_S9_NS6_6detail15normal_iteratorINS6_10device_ptrIjEEEESG_SG_SG_PmS8_22is_equal_div_10_reduceIjEEE10hipError_tPvRmT2_T3_mT4_T5_T6_T7_T8_P12ihipStream_tbENKUlT_T0_E_clISt17integral_constantIbLb1EES10_IbLb0EEEEDaSW_SX_EUlSW_E_NS1_11comp_targetILNS1_3genE5ELNS1_11target_archE942ELNS1_3gpuE9ELNS1_3repE0EEENS1_30default_config_static_selectorELNS0_4arch9wavefront6targetE1EEEvT1_
                                        ; -- End function
	.section	.AMDGPU.csdata,"",@progbits
; Kernel info:
; codeLenInByte = 0
; NumSgprs: 4
; NumVgprs: 0
; NumAgprs: 0
; TotalNumVgprs: 0
; ScratchSize: 0
; MemoryBound: 0
; FloatMode: 240
; IeeeMode: 1
; LDSByteSize: 0 bytes/workgroup (compile time only)
; SGPRBlocks: 0
; VGPRBlocks: 0
; NumSGPRsForWavesPerEU: 4
; NumVGPRsForWavesPerEU: 1
; AccumOffset: 4
; Occupancy: 8
; WaveLimiterHint : 0
; COMPUTE_PGM_RSRC2:SCRATCH_EN: 0
; COMPUTE_PGM_RSRC2:USER_SGPR: 6
; COMPUTE_PGM_RSRC2:TRAP_HANDLER: 0
; COMPUTE_PGM_RSRC2:TGID_X_EN: 1
; COMPUTE_PGM_RSRC2:TGID_Y_EN: 0
; COMPUTE_PGM_RSRC2:TGID_Z_EN: 0
; COMPUTE_PGM_RSRC2:TIDIG_COMP_CNT: 0
; COMPUTE_PGM_RSRC3_GFX90A:ACCUM_OFFSET: 0
; COMPUTE_PGM_RSRC3_GFX90A:TG_SPLIT: 0
	.section	.text._ZN7rocprim17ROCPRIM_400000_NS6detail17trampoline_kernelINS0_14default_configENS1_29reduce_by_key_config_selectorIjjN6thrust23THRUST_200600_302600_NS4plusIjEEEEZZNS1_33reduce_by_key_impl_wrapped_configILNS1_25lookback_scan_determinismE0ES3_S9_NS6_6detail15normal_iteratorINS6_10device_ptrIjEEEESG_SG_SG_PmS8_22is_equal_div_10_reduceIjEEE10hipError_tPvRmT2_T3_mT4_T5_T6_T7_T8_P12ihipStream_tbENKUlT_T0_E_clISt17integral_constantIbLb1EES10_IbLb0EEEEDaSW_SX_EUlSW_E_NS1_11comp_targetILNS1_3genE4ELNS1_11target_archE910ELNS1_3gpuE8ELNS1_3repE0EEENS1_30default_config_static_selectorELNS0_4arch9wavefront6targetE1EEEvT1_,"axG",@progbits,_ZN7rocprim17ROCPRIM_400000_NS6detail17trampoline_kernelINS0_14default_configENS1_29reduce_by_key_config_selectorIjjN6thrust23THRUST_200600_302600_NS4plusIjEEEEZZNS1_33reduce_by_key_impl_wrapped_configILNS1_25lookback_scan_determinismE0ES3_S9_NS6_6detail15normal_iteratorINS6_10device_ptrIjEEEESG_SG_SG_PmS8_22is_equal_div_10_reduceIjEEE10hipError_tPvRmT2_T3_mT4_T5_T6_T7_T8_P12ihipStream_tbENKUlT_T0_E_clISt17integral_constantIbLb1EES10_IbLb0EEEEDaSW_SX_EUlSW_E_NS1_11comp_targetILNS1_3genE4ELNS1_11target_archE910ELNS1_3gpuE8ELNS1_3repE0EEENS1_30default_config_static_selectorELNS0_4arch9wavefront6targetE1EEEvT1_,comdat
	.protected	_ZN7rocprim17ROCPRIM_400000_NS6detail17trampoline_kernelINS0_14default_configENS1_29reduce_by_key_config_selectorIjjN6thrust23THRUST_200600_302600_NS4plusIjEEEEZZNS1_33reduce_by_key_impl_wrapped_configILNS1_25lookback_scan_determinismE0ES3_S9_NS6_6detail15normal_iteratorINS6_10device_ptrIjEEEESG_SG_SG_PmS8_22is_equal_div_10_reduceIjEEE10hipError_tPvRmT2_T3_mT4_T5_T6_T7_T8_P12ihipStream_tbENKUlT_T0_E_clISt17integral_constantIbLb1EES10_IbLb0EEEEDaSW_SX_EUlSW_E_NS1_11comp_targetILNS1_3genE4ELNS1_11target_archE910ELNS1_3gpuE8ELNS1_3repE0EEENS1_30default_config_static_selectorELNS0_4arch9wavefront6targetE1EEEvT1_ ; -- Begin function _ZN7rocprim17ROCPRIM_400000_NS6detail17trampoline_kernelINS0_14default_configENS1_29reduce_by_key_config_selectorIjjN6thrust23THRUST_200600_302600_NS4plusIjEEEEZZNS1_33reduce_by_key_impl_wrapped_configILNS1_25lookback_scan_determinismE0ES3_S9_NS6_6detail15normal_iteratorINS6_10device_ptrIjEEEESG_SG_SG_PmS8_22is_equal_div_10_reduceIjEEE10hipError_tPvRmT2_T3_mT4_T5_T6_T7_T8_P12ihipStream_tbENKUlT_T0_E_clISt17integral_constantIbLb1EES10_IbLb0EEEEDaSW_SX_EUlSW_E_NS1_11comp_targetILNS1_3genE4ELNS1_11target_archE910ELNS1_3gpuE8ELNS1_3repE0EEENS1_30default_config_static_selectorELNS0_4arch9wavefront6targetE1EEEvT1_
	.globl	_ZN7rocprim17ROCPRIM_400000_NS6detail17trampoline_kernelINS0_14default_configENS1_29reduce_by_key_config_selectorIjjN6thrust23THRUST_200600_302600_NS4plusIjEEEEZZNS1_33reduce_by_key_impl_wrapped_configILNS1_25lookback_scan_determinismE0ES3_S9_NS6_6detail15normal_iteratorINS6_10device_ptrIjEEEESG_SG_SG_PmS8_22is_equal_div_10_reduceIjEEE10hipError_tPvRmT2_T3_mT4_T5_T6_T7_T8_P12ihipStream_tbENKUlT_T0_E_clISt17integral_constantIbLb1EES10_IbLb0EEEEDaSW_SX_EUlSW_E_NS1_11comp_targetILNS1_3genE4ELNS1_11target_archE910ELNS1_3gpuE8ELNS1_3repE0EEENS1_30default_config_static_selectorELNS0_4arch9wavefront6targetE1EEEvT1_
	.p2align	8
	.type	_ZN7rocprim17ROCPRIM_400000_NS6detail17trampoline_kernelINS0_14default_configENS1_29reduce_by_key_config_selectorIjjN6thrust23THRUST_200600_302600_NS4plusIjEEEEZZNS1_33reduce_by_key_impl_wrapped_configILNS1_25lookback_scan_determinismE0ES3_S9_NS6_6detail15normal_iteratorINS6_10device_ptrIjEEEESG_SG_SG_PmS8_22is_equal_div_10_reduceIjEEE10hipError_tPvRmT2_T3_mT4_T5_T6_T7_T8_P12ihipStream_tbENKUlT_T0_E_clISt17integral_constantIbLb1EES10_IbLb0EEEEDaSW_SX_EUlSW_E_NS1_11comp_targetILNS1_3genE4ELNS1_11target_archE910ELNS1_3gpuE8ELNS1_3repE0EEENS1_30default_config_static_selectorELNS0_4arch9wavefront6targetE1EEEvT1_,@function
_ZN7rocprim17ROCPRIM_400000_NS6detail17trampoline_kernelINS0_14default_configENS1_29reduce_by_key_config_selectorIjjN6thrust23THRUST_200600_302600_NS4plusIjEEEEZZNS1_33reduce_by_key_impl_wrapped_configILNS1_25lookback_scan_determinismE0ES3_S9_NS6_6detail15normal_iteratorINS6_10device_ptrIjEEEESG_SG_SG_PmS8_22is_equal_div_10_reduceIjEEE10hipError_tPvRmT2_T3_mT4_T5_T6_T7_T8_P12ihipStream_tbENKUlT_T0_E_clISt17integral_constantIbLb1EES10_IbLb0EEEEDaSW_SX_EUlSW_E_NS1_11comp_targetILNS1_3genE4ELNS1_11target_archE910ELNS1_3gpuE8ELNS1_3repE0EEENS1_30default_config_static_selectorELNS0_4arch9wavefront6targetE1EEEvT1_: ; @_ZN7rocprim17ROCPRIM_400000_NS6detail17trampoline_kernelINS0_14default_configENS1_29reduce_by_key_config_selectorIjjN6thrust23THRUST_200600_302600_NS4plusIjEEEEZZNS1_33reduce_by_key_impl_wrapped_configILNS1_25lookback_scan_determinismE0ES3_S9_NS6_6detail15normal_iteratorINS6_10device_ptrIjEEEESG_SG_SG_PmS8_22is_equal_div_10_reduceIjEEE10hipError_tPvRmT2_T3_mT4_T5_T6_T7_T8_P12ihipStream_tbENKUlT_T0_E_clISt17integral_constantIbLb1EES10_IbLb0EEEEDaSW_SX_EUlSW_E_NS1_11comp_targetILNS1_3genE4ELNS1_11target_archE910ELNS1_3gpuE8ELNS1_3repE0EEENS1_30default_config_static_selectorELNS0_4arch9wavefront6targetE1EEEvT1_
; %bb.0:
	s_load_dwordx8 s[36:43], s[4:5], 0x0
	s_load_dwordx4 s[52:55], s[4:5], 0x20
	s_load_dwordx8 s[44:51], s[4:5], 0x38
	s_load_dwordx2 s[60:61], s[4:5], 0x68
	s_load_dwordx4 s[56:59], s[4:5], 0x58
	s_waitcnt lgkmcnt(0)
	s_lshl_b64 s[0:1], s[38:39], 2
	s_add_u32 s2, s36, s0
	s_addc_u32 s3, s37, s1
	s_add_u32 s4, s40, s0
	s_addc_u32 s5, s41, s1
	s_mul_i32 s0, s48, s47
	s_mul_hi_u32 s1, s48, s46
	s_add_i32 s0, s1, s0
	s_mul_i32 s1, s49, s46
	s_add_i32 s8, s0, s1
	s_mul_i32 s0, s6, 0xf00
	s_mov_b32 s1, 0
	s_lshl_b64 s[0:1], s[0:1], 2
	s_add_u32 s7, s2, s0
	s_mul_i32 s9, s48, s46
	s_addc_u32 s48, s3, s1
	s_add_u32 s49, s4, s0
	s_addc_u32 s62, s5, s1
	s_add_u32 s38, s9, s6
	s_addc_u32 s39, s8, 0
	s_add_u32 s2, s50, -1
	s_addc_u32 s3, s51, -1
	s_cmp_eq_u64 s[38:39], s[2:3]
	s_cselect_b64 s[34:35], -1, 0
	s_cmp_lg_u64 s[38:39], s[2:3]
	s_mov_b64 s[0:1], -1
	s_cselect_b64 s[40:41], -1, 0
	s_mul_i32 s33, s2, 0xfffff100
	s_and_b64 vcc, exec, s[34:35]
	s_cbranch_vccnz .LBB374_2
; %bb.1:
	v_lshlrev_b32_e32 v26, 2, v0
	v_mov_b32_e32 v1, s48
	v_add_co_u32_e32 v2, vcc, s7, v26
	v_addc_co_u32_e32 v3, vcc, 0, v1, vcc
	v_add_co_u32_e32 v4, vcc, 0x1000, v2
	v_addc_co_u32_e32 v5, vcc, 0, v3, vcc
	flat_load_dword v1, v[2:3]
	flat_load_dword v8, v[2:3] offset:1024
	flat_load_dword v9, v[2:3] offset:2048
	flat_load_dword v10, v[2:3] offset:3072
	flat_load_dword v11, v[4:5]
	flat_load_dword v12, v[4:5] offset:1024
	flat_load_dword v13, v[4:5] offset:2048
	;; [unrolled: 1-line block ×3, first 2 shown]
	v_add_co_u32_e32 v4, vcc, 0x2000, v2
	v_addc_co_u32_e32 v5, vcc, 0, v3, vcc
	v_add_co_u32_e32 v2, vcc, 0x3000, v2
	v_addc_co_u32_e32 v3, vcc, 0, v3, vcc
	flat_load_dword v15, v[4:5]
	flat_load_dword v16, v[4:5] offset:1024
	flat_load_dword v17, v[4:5] offset:2048
	;; [unrolled: 1-line block ×3, first 2 shown]
	flat_load_dword v19, v[2:3]
	flat_load_dword v20, v[2:3] offset:1024
	flat_load_dword v21, v[2:3] offset:2048
	v_mov_b32_e32 v3, s62
	v_add_co_u32_e32 v4, vcc, s49, v26
	s_movk_i32 s0, 0x1000
	v_addc_co_u32_e32 v5, vcc, 0, v3, vcc
	v_add_co_u32_e32 v6, vcc, s0, v4
	s_movk_i32 s1, 0x2000
	v_addc_co_u32_e32 v7, vcc, 0, v5, vcc
	;; [unrolled: 3-line block ×3, first 2 shown]
	v_mad_u32_u24 v2, v0, 56, v26
	v_add_co_u32_e32 v24, vcc, s2, v4
	v_addc_co_u32_e32 v25, vcc, 0, v5, vcc
	s_waitcnt vmcnt(0) lgkmcnt(0)
	ds_write2st64_b32 v26, v1, v8 offset1:4
	ds_write2st64_b32 v26, v9, v10 offset0:8 offset1:12
	ds_write2st64_b32 v26, v11, v12 offset0:16 offset1:20
	ds_write2st64_b32 v26, v13, v14 offset0:24 offset1:28
	ds_write2st64_b32 v26, v15, v16 offset0:32 offset1:36
	ds_write2st64_b32 v26, v17, v18 offset0:40 offset1:44
	ds_write2st64_b32 v26, v19, v20 offset0:48 offset1:52
	ds_write_b32 v26, v21 offset:14336
	s_waitcnt lgkmcnt(0)
	s_barrier
	ds_read2_b32 v[20:21], v2 offset1:1
	ds_read2_b32 v[18:19], v2 offset0:2 offset1:3
	ds_read2_b32 v[16:17], v2 offset0:4 offset1:5
	;; [unrolled: 1-line block ×6, first 2 shown]
	ds_read_b32 v1, v2 offset:56
	s_waitcnt lgkmcnt(0)
	s_barrier
	flat_load_dword v3, v[4:5]
	flat_load_dword v27, v[4:5] offset:1024
	flat_load_dword v28, v[4:5] offset:2048
	flat_load_dword v29, v[4:5] offset:3072
	flat_load_dword v30, v[6:7]
	flat_load_dword v31, v[6:7] offset:1024
	flat_load_dword v32, v[6:7] offset:2048
	flat_load_dword v33, v[6:7] offset:3072
	;; [unrolled: 4-line block ×3, first 2 shown]
	flat_load_dword v38, v[24:25]
	flat_load_dword v39, v[24:25] offset:1024
	flat_load_dword v40, v[24:25] offset:2048
	v_mul_u32_u24_e32 v22, 15, v0
	s_waitcnt vmcnt(0) lgkmcnt(0)
	ds_write2st64_b32 v26, v3, v27 offset1:4
	ds_write2st64_b32 v26, v28, v29 offset0:8 offset1:12
	ds_write2st64_b32 v26, v30, v31 offset0:16 offset1:20
	ds_write2st64_b32 v26, v32, v33 offset0:24 offset1:28
	ds_write2st64_b32 v26, v34, v35 offset0:32 offset1:36
	ds_write2st64_b32 v26, v36, v37 offset0:40 offset1:44
	ds_write2st64_b32 v26, v38, v39 offset0:48 offset1:52
	ds_write_b32 v26, v40 offset:14336
	s_waitcnt lgkmcnt(0)
	s_barrier
	s_add_i32 s33, s33, s56
	s_cbranch_execz .LBB374_3
	s_branch .LBB374_50
.LBB374_2:
                                        ; implicit-def: $vgpr8_vgpr9
                                        ; implicit-def: $vgpr10_vgpr11
                                        ; implicit-def: $vgpr12_vgpr13
                                        ; implicit-def: $vgpr14_vgpr15
                                        ; implicit-def: $vgpr16_vgpr17
                                        ; implicit-def: $vgpr18_vgpr19
                                        ; implicit-def: $vgpr20_vgpr21
                                        ; implicit-def: $vgpr22
                                        ; implicit-def: $vgpr2
                                        ; implicit-def: $vgpr1
	s_andn2_b64 vcc, exec, s[0:1]
	s_add_i32 s33, s33, s56
	s_cbranch_vccnz .LBB374_50
.LBB374_3:
	v_cmp_gt_u32_e32 vcc, s33, v0
                                        ; implicit-def: $vgpr1
	s_and_saveexec_b64 s[2:3], vcc
	s_cbranch_execz .LBB374_5
; %bb.4:
	v_lshlrev_b32_e32 v1, 2, v0
	v_mov_b32_e32 v3, s48
	v_add_co_u32_e64 v2, s[0:1], s7, v1
	v_addc_co_u32_e64 v3, s[0:1], 0, v3, s[0:1]
	flat_load_dword v1, v[2:3]
.LBB374_5:
	s_or_b64 exec, exec, s[2:3]
	v_or_b32_e32 v2, 0x100, v0
	v_cmp_gt_u32_e64 s[0:1], s33, v2
                                        ; implicit-def: $vgpr2
	s_and_saveexec_b64 s[4:5], s[0:1]
	s_cbranch_execz .LBB374_7
; %bb.6:
	v_lshlrev_b32_e32 v2, 2, v0
	v_mov_b32_e32 v3, s48
	v_add_co_u32_e64 v2, s[2:3], s7, v2
	v_addc_co_u32_e64 v3, s[2:3], 0, v3, s[2:3]
	flat_load_dword v2, v[2:3] offset:1024
.LBB374_7:
	s_or_b64 exec, exec, s[4:5]
	v_or_b32_e32 v3, 0x200, v0
	v_cmp_gt_u32_e64 s[2:3], s33, v3
                                        ; implicit-def: $vgpr8
	s_and_saveexec_b64 s[8:9], s[2:3]
	s_cbranch_execz .LBB374_9
; %bb.8:
	v_lshlrev_b32_e32 v3, 2, v0
	v_mov_b32_e32 v5, s48
	v_add_co_u32_e64 v4, s[4:5], s7, v3
	v_addc_co_u32_e64 v5, s[4:5], 0, v5, s[4:5]
	flat_load_dword v8, v[4:5] offset:2048
.LBB374_9:
	s_or_b64 exec, exec, s[8:9]
	v_or_b32_e32 v3, 0x300, v0
	v_cmp_gt_u32_e64 s[4:5], s33, v3
                                        ; implicit-def: $vgpr9
	s_and_saveexec_b64 s[10:11], s[4:5]
	s_cbranch_execz .LBB374_11
; %bb.10:
	v_lshlrev_b32_e32 v3, 2, v0
	v_mov_b32_e32 v5, s48
	v_add_co_u32_e64 v4, s[8:9], s7, v3
	v_addc_co_u32_e64 v5, s[8:9], 0, v5, s[8:9]
	flat_load_dword v9, v[4:5] offset:3072
.LBB374_11:
	s_or_b64 exec, exec, s[10:11]
	v_or_b32_e32 v3, 0x400, v0
	v_cmp_gt_u32_e64 s[28:29], s33, v3
                                        ; implicit-def: $vgpr10
	s_and_saveexec_b64 s[10:11], s[28:29]
	s_cbranch_execz .LBB374_13
; %bb.12:
	v_lshlrev_b32_e32 v4, 2, v3
	v_mov_b32_e32 v5, s48
	v_add_co_u32_e64 v4, s[8:9], s7, v4
	v_addc_co_u32_e64 v5, s[8:9], 0, v5, s[8:9]
	flat_load_dword v10, v[4:5]
.LBB374_13:
	s_or_b64 exec, exec, s[10:11]
	v_or_b32_e32 v4, 0x500, v0
	v_cmp_gt_u32_e64 s[8:9], s33, v4
                                        ; implicit-def: $vgpr11
	s_and_saveexec_b64 s[12:13], s[8:9]
	s_cbranch_execz .LBB374_15
; %bb.14:
	v_lshlrev_b32_e32 v5, 2, v4
	v_mov_b32_e32 v7, s48
	v_add_co_u32_e64 v6, s[10:11], s7, v5
	v_addc_co_u32_e64 v7, s[10:11], 0, v7, s[10:11]
	flat_load_dword v11, v[6:7]
.LBB374_15:
	s_or_b64 exec, exec, s[12:13]
	v_or_b32_e32 v5, 0x600, v0
	v_cmp_gt_u32_e64 s[10:11], s33, v5
                                        ; implicit-def: $vgpr12
	s_and_saveexec_b64 s[14:15], s[10:11]
	s_cbranch_execz .LBB374_17
; %bb.16:
	v_lshlrev_b32_e32 v6, 2, v5
	v_mov_b32_e32 v7, s48
	v_add_co_u32_e64 v6, s[12:13], s7, v6
	v_addc_co_u32_e64 v7, s[12:13], 0, v7, s[12:13]
	flat_load_dword v12, v[6:7]
.LBB374_17:
	s_or_b64 exec, exec, s[14:15]
	v_or_b32_e32 v6, 0x700, v0
	v_cmp_gt_u32_e64 s[12:13], s33, v6
                                        ; implicit-def: $vgpr13
	s_and_saveexec_b64 s[16:17], s[12:13]
	s_cbranch_execz .LBB374_19
; %bb.18:
	v_lshlrev_b32_e32 v7, 2, v6
	v_mov_b32_e32 v13, s48
	v_add_co_u32_e64 v14, s[14:15], s7, v7
	v_addc_co_u32_e64 v15, s[14:15], 0, v13, s[14:15]
	flat_load_dword v13, v[14:15]
.LBB374_19:
	s_or_b64 exec, exec, s[16:17]
	v_or_b32_e32 v7, 0x800, v0
	v_cmp_gt_u32_e64 s[14:15], s33, v7
                                        ; implicit-def: $vgpr14
	s_and_saveexec_b64 s[18:19], s[14:15]
	s_cbranch_execz .LBB374_21
; %bb.20:
	v_lshlrev_b32_e32 v14, 2, v7
	v_mov_b32_e32 v15, s48
	v_add_co_u32_e64 v14, s[16:17], s7, v14
	v_addc_co_u32_e64 v15, s[16:17], 0, v15, s[16:17]
	flat_load_dword v14, v[14:15]
.LBB374_21:
	s_or_b64 exec, exec, s[18:19]
	v_or_b32_e32 v22, 0x900, v0
	v_cmp_gt_u32_e64 s[16:17], s33, v22
                                        ; implicit-def: $vgpr15
	s_and_saveexec_b64 s[20:21], s[16:17]
	s_cbranch_execz .LBB374_23
; %bb.22:
	v_lshlrev_b32_e32 v15, 2, v22
	v_mov_b32_e32 v17, s48
	v_add_co_u32_e64 v16, s[18:19], s7, v15
	v_addc_co_u32_e64 v17, s[18:19], 0, v17, s[18:19]
	flat_load_dword v15, v[16:17]
.LBB374_23:
	s_or_b64 exec, exec, s[20:21]
	v_or_b32_e32 v23, 0xa00, v0
	v_cmp_gt_u32_e64 s[18:19], s33, v23
                                        ; implicit-def: $vgpr16
	s_and_saveexec_b64 s[22:23], s[18:19]
	s_cbranch_execz .LBB374_25
; %bb.24:
	v_lshlrev_b32_e32 v16, 2, v23
	v_mov_b32_e32 v17, s48
	v_add_co_u32_e64 v16, s[20:21], s7, v16
	v_addc_co_u32_e64 v17, s[20:21], 0, v17, s[20:21]
	flat_load_dword v16, v[16:17]
.LBB374_25:
	s_or_b64 exec, exec, s[22:23]
	v_or_b32_e32 v24, 0xb00, v0
	v_cmp_gt_u32_e64 s[20:21], s33, v24
                                        ; implicit-def: $vgpr17
	s_and_saveexec_b64 s[24:25], s[20:21]
	s_cbranch_execz .LBB374_27
; %bb.26:
	v_lshlrev_b32_e32 v17, 2, v24
	v_mov_b32_e32 v19, s48
	v_add_co_u32_e64 v18, s[22:23], s7, v17
	v_addc_co_u32_e64 v19, s[22:23], 0, v19, s[22:23]
	flat_load_dword v17, v[18:19]
.LBB374_27:
	s_or_b64 exec, exec, s[24:25]
	v_or_b32_e32 v25, 0xc00, v0
	v_cmp_gt_u32_e64 s[22:23], s33, v25
                                        ; implicit-def: $vgpr18
	s_and_saveexec_b64 s[26:27], s[22:23]
	s_cbranch_execz .LBB374_29
; %bb.28:
	v_lshlrev_b32_e32 v18, 2, v25
	v_mov_b32_e32 v19, s48
	v_add_co_u32_e64 v18, s[24:25], s7, v18
	v_addc_co_u32_e64 v19, s[24:25], 0, v19, s[24:25]
	flat_load_dword v18, v[18:19]
.LBB374_29:
	s_or_b64 exec, exec, s[26:27]
	v_or_b32_e32 v26, 0xd00, v0
	v_cmp_gt_u32_e64 s[24:25], s33, v26
                                        ; implicit-def: $vgpr19
	s_and_saveexec_b64 s[30:31], s[24:25]
	s_cbranch_execz .LBB374_31
; %bb.30:
	v_lshlrev_b32_e32 v19, 2, v26
	v_mov_b32_e32 v21, s48
	v_add_co_u32_e64 v20, s[26:27], s7, v19
	v_addc_co_u32_e64 v21, s[26:27], 0, v21, s[26:27]
	flat_load_dword v19, v[20:21]
.LBB374_31:
	s_or_b64 exec, exec, s[30:31]
	v_or_b32_e32 v27, 0xe00, v0
	v_cmp_gt_u32_e64 s[26:27], s33, v27
                                        ; implicit-def: $vgpr20
	s_and_saveexec_b64 s[36:37], s[26:27]
	s_cbranch_execz .LBB374_33
; %bb.32:
	v_lshlrev_b32_e32 v20, 2, v27
	v_mov_b32_e32 v21, s48
	v_add_co_u32_e64 v20, s[30:31], s7, v20
	v_addc_co_u32_e64 v21, s[30:31], 0, v21, s[30:31]
	flat_load_dword v20, v[20:21]
.LBB374_33:
	s_or_b64 exec, exec, s[36:37]
	v_lshlrev_b32_e32 v28, 2, v0
	s_waitcnt vmcnt(0) lgkmcnt(0)
	ds_write2st64_b32 v28, v1, v2 offset1:4
	ds_write2st64_b32 v28, v8, v9 offset0:8 offset1:12
	ds_write2st64_b32 v28, v10, v11 offset0:16 offset1:20
	ds_write2st64_b32 v28, v12, v13 offset0:24 offset1:28
	ds_write2st64_b32 v28, v14, v15 offset0:32 offset1:36
	ds_write2st64_b32 v28, v16, v17 offset0:40 offset1:44
	ds_write2st64_b32 v28, v18, v19 offset0:48 offset1:52
	ds_write_b32 v28, v20 offset:14336
	v_mad_u32_u24 v2, v0, 56, v28
	s_waitcnt lgkmcnt(0)
	s_barrier
	ds_read2_b32 v[20:21], v2 offset1:1
	ds_read2_b32 v[18:19], v2 offset0:2 offset1:3
	ds_read2_b32 v[16:17], v2 offset0:4 offset1:5
	;; [unrolled: 1-line block ×6, first 2 shown]
	ds_read_b32 v1, v2 offset:56
	s_waitcnt lgkmcnt(0)
	s_barrier
	s_waitcnt lgkmcnt(0)
                                        ; implicit-def: $vgpr29
	s_and_saveexec_b64 s[30:31], vcc
	s_cbranch_execnz .LBB374_57
; %bb.34:
	s_or_b64 exec, exec, s[30:31]
                                        ; implicit-def: $vgpr30
	s_and_saveexec_b64 s[30:31], s[0:1]
	s_cbranch_execnz .LBB374_58
.LBB374_35:
	s_or_b64 exec, exec, s[30:31]
                                        ; implicit-def: $vgpr31
	s_and_saveexec_b64 s[0:1], s[2:3]
	s_cbranch_execnz .LBB374_59
.LBB374_36:
	s_or_b64 exec, exec, s[0:1]
                                        ; implicit-def: $vgpr32
	s_and_saveexec_b64 s[0:1], s[4:5]
	s_cbranch_execnz .LBB374_60
.LBB374_37:
	s_or_b64 exec, exec, s[0:1]
                                        ; implicit-def: $vgpr33
	s_and_saveexec_b64 s[0:1], s[28:29]
	s_cbranch_execnz .LBB374_61
.LBB374_38:
	s_or_b64 exec, exec, s[0:1]
                                        ; implicit-def: $vgpr3
	s_and_saveexec_b64 s[0:1], s[8:9]
	s_cbranch_execnz .LBB374_62
.LBB374_39:
	s_or_b64 exec, exec, s[0:1]
                                        ; implicit-def: $vgpr4
	s_and_saveexec_b64 s[0:1], s[10:11]
	s_cbranch_execnz .LBB374_63
.LBB374_40:
	s_or_b64 exec, exec, s[0:1]
                                        ; implicit-def: $vgpr5
	s_and_saveexec_b64 s[0:1], s[12:13]
	s_cbranch_execnz .LBB374_64
.LBB374_41:
	s_or_b64 exec, exec, s[0:1]
                                        ; implicit-def: $vgpr6
	s_and_saveexec_b64 s[0:1], s[14:15]
	s_cbranch_execnz .LBB374_65
.LBB374_42:
	s_or_b64 exec, exec, s[0:1]
                                        ; implicit-def: $vgpr7
	s_and_saveexec_b64 s[0:1], s[16:17]
	s_cbranch_execnz .LBB374_66
.LBB374_43:
	s_or_b64 exec, exec, s[0:1]
                                        ; implicit-def: $vgpr34
	s_and_saveexec_b64 s[0:1], s[18:19]
	s_cbranch_execnz .LBB374_67
.LBB374_44:
	s_or_b64 exec, exec, s[0:1]
                                        ; implicit-def: $vgpr23
	s_and_saveexec_b64 s[0:1], s[20:21]
	s_cbranch_execnz .LBB374_68
.LBB374_45:
	s_or_b64 exec, exec, s[0:1]
                                        ; implicit-def: $vgpr24
	s_and_saveexec_b64 s[0:1], s[22:23]
	s_cbranch_execnz .LBB374_69
.LBB374_46:
	s_or_b64 exec, exec, s[0:1]
                                        ; implicit-def: $vgpr25
	s_and_saveexec_b64 s[0:1], s[24:25]
	s_cbranch_execnz .LBB374_70
.LBB374_47:
	s_or_b64 exec, exec, s[0:1]
                                        ; implicit-def: $vgpr26
	s_and_saveexec_b64 s[0:1], s[26:27]
	s_cbranch_execz .LBB374_49
.LBB374_48:
	v_lshlrev_b32_e32 v22, 2, v27
	v_mov_b32_e32 v27, s62
	v_add_co_u32_e32 v26, vcc, s49, v22
	v_addc_co_u32_e32 v27, vcc, 0, v27, vcc
	flat_load_dword v26, v[26:27]
.LBB374_49:
	s_or_b64 exec, exec, s[0:1]
	v_mul_u32_u24_e32 v22, 15, v0
	s_waitcnt vmcnt(0) lgkmcnt(0)
	ds_write2st64_b32 v28, v29, v30 offset1:4
	ds_write2st64_b32 v28, v31, v32 offset0:8 offset1:12
	ds_write2st64_b32 v28, v33, v3 offset0:16 offset1:20
	;; [unrolled: 1-line block ×6, first 2 shown]
	ds_write_b32 v28, v26 offset:14336
	s_waitcnt lgkmcnt(0)
	s_barrier
.LBB374_50:
	v_lshlrev_b32_e32 v3, 2, v22
	ds_read2_b32 v[46:47], v2 offset1:2
	ds_read2_b32 v[42:43], v2 offset0:4 offset1:6
	ds_read2_b32 v[38:39], v2 offset0:8 offset1:10
	;; [unrolled: 1-line block ×6, first 2 shown]
	ds_read_b32 v81, v3 offset:52
	s_cmp_eq_u64 s[38:39], 0
	s_cselect_b64 s[36:37], -1, 0
	s_cmp_lg_u64 s[38:39], 0
	s_mov_b64 s[0:1], 0
	s_cselect_b64 s[8:9], -1, 0
	s_and_b64 vcc, exec, s[40:41]
	s_waitcnt lgkmcnt(0)
	s_barrier
	s_cbranch_vccz .LBB374_56
; %bb.51:
	s_and_b64 vcc, exec, s[8:9]
	s_cbranch_vccz .LBB374_71
; %bb.52:
	v_mov_b32_e32 v3, s48
	v_add_co_u32_e64 v2, vcc, -4, s7
	v_addc_co_u32_e32 v3, vcc, -1, v3, vcc
	flat_load_dword v2, v[2:3]
	v_lshlrev_b32_e32 v3, 2, v0
	v_cmp_ne_u32_e32 vcc, 0, v0
	ds_write_b32 v3, v1
	s_waitcnt lgkmcnt(0)
	s_barrier
	s_and_saveexec_b64 s[0:1], vcc
	s_cbranch_execz .LBB374_54
; %bb.53:
	s_waitcnt vmcnt(0)
	v_add_u32_e32 v2, -4, v3
	ds_read_b32 v2, v2
.LBB374_54:
	s_or_b64 exec, exec, s[0:1]
	s_mov_b32 s0, 0x66666667
	v_mul_hi_i32 v3, v9, s0
	v_lshrrev_b32_e32 v4, 31, v3
	v_ashrrev_i32_e32 v3, 2, v3
	v_add_u32_e32 v3, v3, v4
	v_mul_hi_i32 v4, v8, s0
	v_lshrrev_b32_e32 v5, 31, v4
	v_ashrrev_i32_e32 v4, 2, v4
	v_add_u32_e32 v4, v4, v5
	;; [unrolled: 4-line block ×15, first 2 shown]
	v_cmp_ne_u32_e32 vcc, v29, v34
	v_cndmask_b32_e64 v35, 0, 1, vcc
	v_cmp_ne_u32_e32 vcc, v29, v30
	v_cndmask_b32_e64 v32, 0, 1, vcc
	;; [unrolled: 2-line block ×12, first 2 shown]
	v_cmp_ne_u32_e32 vcc, v3, v4
	s_waitcnt vmcnt(0) lgkmcnt(0)
	v_mul_hi_i32 v2, v2, s0
	v_cndmask_b32_e64 v23, 0, 1, vcc
	v_cmp_ne_u32_e32 vcc, v3, v5
	v_lshrrev_b32_e32 v3, 31, v2
	v_ashrrev_i32_e32 v2, 2, v2
	v_add_u32_e32 v2, v2, v3
	v_cndmask_b32_e64 v80, 0, 1, vcc
	v_cmp_ne_u32_e64 s[4:5], v2, v34
	s_mov_b64 s[0:1], -1
.LBB374_55:
                                        ; implicit-def: $sgpr10
	s_branch .LBB374_110
.LBB374_56:
                                        ; implicit-def: $sgpr4_sgpr5
                                        ; implicit-def: $vgpr80
                                        ; implicit-def: $vgpr23
                                        ; implicit-def: $vgpr22
                                        ; implicit-def: $vgpr25
                                        ; implicit-def: $vgpr24
                                        ; implicit-def: $vgpr27
                                        ; implicit-def: $vgpr26
                                        ; implicit-def: $vgpr29
                                        ; implicit-def: $vgpr28
                                        ; implicit-def: $vgpr31
                                        ; implicit-def: $vgpr30
                                        ; implicit-def: $vgpr33
                                        ; implicit-def: $vgpr32
                                        ; implicit-def: $vgpr35
                                        ; implicit-def: $sgpr10
	s_cbranch_execnz .LBB374_75
	s_branch .LBB374_110
.LBB374_57:
	v_mov_b32_e32 v29, s62
	v_add_co_u32_e32 v30, vcc, s49, v28
	v_addc_co_u32_e32 v31, vcc, 0, v29, vcc
	flat_load_dword v29, v[30:31]
	s_or_b64 exec, exec, s[30:31]
                                        ; implicit-def: $vgpr30
	s_and_saveexec_b64 s[30:31], s[0:1]
	s_cbranch_execz .LBB374_35
.LBB374_58:
	v_mov_b32_e32 v31, s62
	v_add_co_u32_e32 v30, vcc, s49, v28
	v_addc_co_u32_e32 v31, vcc, 0, v31, vcc
	flat_load_dword v30, v[30:31] offset:1024
	s_or_b64 exec, exec, s[30:31]
                                        ; implicit-def: $vgpr31
	s_and_saveexec_b64 s[0:1], s[2:3]
	s_cbranch_execz .LBB374_36
.LBB374_59:
	v_mov_b32_e32 v31, s62
	v_add_co_u32_e32 v32, vcc, s49, v28
	v_addc_co_u32_e32 v33, vcc, 0, v31, vcc
	flat_load_dword v31, v[32:33] offset:2048
	s_or_b64 exec, exec, s[0:1]
                                        ; implicit-def: $vgpr32
	s_and_saveexec_b64 s[0:1], s[4:5]
	s_cbranch_execz .LBB374_37
.LBB374_60:
	v_mov_b32_e32 v33, s62
	v_add_co_u32_e32 v32, vcc, s49, v28
	v_addc_co_u32_e32 v33, vcc, 0, v33, vcc
	flat_load_dword v32, v[32:33] offset:3072
	s_or_b64 exec, exec, s[0:1]
                                        ; implicit-def: $vgpr33
	s_and_saveexec_b64 s[0:1], s[28:29]
	s_cbranch_execz .LBB374_38
.LBB374_61:
	v_lshlrev_b32_e32 v3, 2, v3
	v_mov_b32_e32 v33, s62
	v_add_co_u32_e32 v34, vcc, s49, v3
	v_addc_co_u32_e32 v35, vcc, 0, v33, vcc
	flat_load_dword v33, v[34:35]
	s_or_b64 exec, exec, s[0:1]
                                        ; implicit-def: $vgpr3
	s_and_saveexec_b64 s[0:1], s[8:9]
	s_cbranch_execz .LBB374_39
.LBB374_62:
	v_lshlrev_b32_e32 v3, 2, v4
	v_mov_b32_e32 v4, s62
	v_add_co_u32_e32 v34, vcc, s49, v3
	v_addc_co_u32_e32 v35, vcc, 0, v4, vcc
	flat_load_dword v3, v[34:35]
	s_or_b64 exec, exec, s[0:1]
                                        ; implicit-def: $vgpr4
	s_and_saveexec_b64 s[0:1], s[10:11]
	s_cbranch_execz .LBB374_40
.LBB374_63:
	v_lshlrev_b32_e32 v4, 2, v5
	v_mov_b32_e32 v5, s62
	v_add_co_u32_e32 v4, vcc, s49, v4
	v_addc_co_u32_e32 v5, vcc, 0, v5, vcc
	flat_load_dword v4, v[4:5]
	s_or_b64 exec, exec, s[0:1]
                                        ; implicit-def: $vgpr5
	s_and_saveexec_b64 s[0:1], s[12:13]
	s_cbranch_execz .LBB374_41
.LBB374_64:
	v_lshlrev_b32_e32 v5, 2, v6
	v_mov_b32_e32 v6, s62
	v_add_co_u32_e32 v34, vcc, s49, v5
	v_addc_co_u32_e32 v35, vcc, 0, v6, vcc
	flat_load_dword v5, v[34:35]
	s_or_b64 exec, exec, s[0:1]
                                        ; implicit-def: $vgpr6
	s_and_saveexec_b64 s[0:1], s[14:15]
	s_cbranch_execz .LBB374_42
.LBB374_65:
	v_lshlrev_b32_e32 v6, 2, v7
	v_mov_b32_e32 v7, s62
	v_add_co_u32_e32 v6, vcc, s49, v6
	v_addc_co_u32_e32 v7, vcc, 0, v7, vcc
	flat_load_dword v6, v[6:7]
	s_or_b64 exec, exec, s[0:1]
                                        ; implicit-def: $vgpr7
	s_and_saveexec_b64 s[0:1], s[16:17]
	s_cbranch_execz .LBB374_43
.LBB374_66:
	v_lshlrev_b32_e32 v7, 2, v22
	v_mov_b32_e32 v22, s62
	v_add_co_u32_e32 v34, vcc, s49, v7
	v_addc_co_u32_e32 v35, vcc, 0, v22, vcc
	flat_load_dword v7, v[34:35]
	s_or_b64 exec, exec, s[0:1]
                                        ; implicit-def: $vgpr34
	s_and_saveexec_b64 s[0:1], s[18:19]
	s_cbranch_execz .LBB374_44
.LBB374_67:
	v_lshlrev_b32_e32 v22, 2, v23
	v_mov_b32_e32 v23, s62
	v_add_co_u32_e32 v22, vcc, s49, v22
	v_addc_co_u32_e32 v23, vcc, 0, v23, vcc
	flat_load_dword v34, v[22:23]
	s_or_b64 exec, exec, s[0:1]
                                        ; implicit-def: $vgpr23
	s_and_saveexec_b64 s[0:1], s[20:21]
	s_cbranch_execz .LBB374_45
.LBB374_68:
	v_lshlrev_b32_e32 v22, 2, v24
	v_mov_b32_e32 v23, s62
	v_add_co_u32_e32 v22, vcc, s49, v22
	v_addc_co_u32_e32 v23, vcc, 0, v23, vcc
	flat_load_dword v23, v[22:23]
	s_or_b64 exec, exec, s[0:1]
                                        ; implicit-def: $vgpr24
	s_and_saveexec_b64 s[0:1], s[22:23]
	s_cbranch_execz .LBB374_46
.LBB374_69:
	v_lshlrev_b32_e32 v22, 2, v25
	v_mov_b32_e32 v25, s62
	v_add_co_u32_e32 v24, vcc, s49, v22
	v_addc_co_u32_e32 v25, vcc, 0, v25, vcc
	flat_load_dword v24, v[24:25]
	s_or_b64 exec, exec, s[0:1]
                                        ; implicit-def: $vgpr25
	s_and_saveexec_b64 s[0:1], s[24:25]
	s_cbranch_execz .LBB374_47
.LBB374_70:
	v_lshlrev_b32_e32 v22, 2, v26
	v_mov_b32_e32 v25, s62
	v_add_co_u32_e32 v36, vcc, s49, v22
	v_addc_co_u32_e32 v37, vcc, 0, v25, vcc
	flat_load_dword v25, v[36:37]
	s_or_b64 exec, exec, s[0:1]
                                        ; implicit-def: $vgpr26
	s_and_saveexec_b64 s[0:1], s[26:27]
	s_cbranch_execnz .LBB374_48
	s_branch .LBB374_49
.LBB374_71:
                                        ; implicit-def: $sgpr4_sgpr5
                                        ; implicit-def: $vgpr80
                                        ; implicit-def: $vgpr23
                                        ; implicit-def: $vgpr22
                                        ; implicit-def: $vgpr25
                                        ; implicit-def: $vgpr24
                                        ; implicit-def: $vgpr27
                                        ; implicit-def: $vgpr26
                                        ; implicit-def: $vgpr29
                                        ; implicit-def: $vgpr28
                                        ; implicit-def: $vgpr31
                                        ; implicit-def: $vgpr30
                                        ; implicit-def: $vgpr33
                                        ; implicit-def: $vgpr32
                                        ; implicit-def: $vgpr35
	s_cbranch_execz .LBB374_55
; %bb.72:
	s_mov_b32 s10, 0x66666667
	v_mul_hi_i32 v3, v9, s10
	v_lshrrev_b32_e32 v4, 31, v3
	v_ashrrev_i32_e32 v3, 2, v3
	v_add_u32_e32 v4, v3, v4
	v_mul_hi_i32 v3, v8, s10
	v_lshrrev_b32_e32 v5, 31, v3
	v_ashrrev_i32_e32 v3, 2, v3
	v_add_u32_e32 v5, v3, v5
	;; [unrolled: 4-line block ×15, first 2 shown]
	v_cmp_ne_u32_e32 vcc, v30, v3
	v_cndmask_b32_e64 v35, 0, 1, vcc
	v_cmp_ne_u32_e32 vcc, v30, v31
	v_cndmask_b32_e64 v32, 0, 1, vcc
	;; [unrolled: 2-line block ×13, first 2 shown]
	v_cmp_ne_u32_e32 vcc, v4, v6
	v_lshlrev_b32_e32 v2, 2, v0
	v_cndmask_b32_e64 v80, 0, 1, vcc
	v_cmp_ne_u32_e32 vcc, 0, v0
	ds_write_b32 v2, v1
	s_waitcnt lgkmcnt(0)
	s_barrier
	s_waitcnt lgkmcnt(0)
                                        ; implicit-def: $sgpr4_sgpr5
	s_and_saveexec_b64 s[2:3], vcc
	s_xor_b64 s[2:3], exec, s[2:3]
	s_cbranch_execz .LBB374_74
; %bb.73:
	v_add_u32_e32 v2, -4, v2
	ds_read_b32 v2, v2
	s_or_b64 s[0:1], s[0:1], exec
	s_waitcnt lgkmcnt(0)
	v_mul_hi_i32 v2, v2, s10
	v_lshrrev_b32_e32 v4, 31, v2
	v_ashrrev_i32_e32 v2, 2, v2
	v_add_u32_e32 v2, v2, v4
	v_cmp_ne_u32_e32 vcc, v2, v3
	s_and_b64 s[4:5], vcc, exec
.LBB374_74:
	s_or_b64 exec, exec, s[2:3]
	s_mov_b32 s10, 1
	s_branch .LBB374_110
.LBB374_75:
	s_mul_hi_u32 s3, s38, 0xfffff100
	s_mul_i32 s2, s39, 0xfffff100
	s_sub_i32 s3, s3, s38
	s_add_i32 s3, s3, s2
	s_mul_i32 s2, s38, 0xfffff100
	s_add_u32 s2, s2, s56
	s_addc_u32 s3, s3, s57
	s_and_b64 vcc, exec, s[8:9]
	s_cbranch_vccz .LBB374_219
; %bb.76:
	v_mov_b32_e32 v3, s48
	v_add_co_u32_e64 v2, vcc, -4, s7
	v_addc_co_u32_e32 v3, vcc, -1, v3, vcc
	flat_load_dword v4, v[2:3]
	v_mad_u32_u24 v22, v0, 15, 14
	v_mov_b32_e32 v23, 0
	v_lshlrev_b32_e32 v3, 2, v0
	v_mul_u32_u24_e32 v2, 15, v0
	v_cmp_gt_u64_e32 vcc, s[2:3], v[22:23]
	v_mov_b32_e32 v80, 0
	ds_write_b32 v3, v1
	s_and_saveexec_b64 s[0:1], vcc
; %bb.77:
	s_mov_b32 s4, 0x66666667
	v_mul_hi_i32 v5, v9, s4
	v_lshrrev_b32_e32 v6, 31, v5
	v_ashrrev_i32_e32 v5, 2, v5
	v_add_u32_e32 v5, v5, v6
	v_mul_hi_i32 v6, v1, s4
	v_lshrrev_b32_e32 v7, 31, v6
	v_ashrrev_i32_e32 v6, 2, v6
	v_add_u32_e32 v6, v6, v7
	v_cmp_ne_u32_e32 vcc, v5, v6
	v_cndmask_b32_e64 v80, 0, 1, vcc
; %bb.78:
	s_or_b64 exec, exec, s[0:1]
	v_add_u32_e32 v22, 13, v2
	v_cmp_gt_u64_e32 vcc, s[2:3], v[22:23]
	s_and_saveexec_b64 s[0:1], vcc
; %bb.79:
	s_mov_b32 s4, 0x66666667
	v_mul_hi_i32 v5, v8, s4
	v_lshrrev_b32_e32 v6, 31, v5
	v_ashrrev_i32_e32 v5, 2, v5
	v_add_u32_e32 v5, v5, v6
	v_mul_hi_i32 v6, v9, s4
	v_lshrrev_b32_e32 v7, 31, v6
	v_ashrrev_i32_e32 v6, 2, v6
	v_add_u32_e32 v6, v6, v7
	v_cmp_ne_u32_e32 vcc, v5, v6
	v_cndmask_b32_e64 v23, 0, 1, vcc
; %bb.80:
	s_or_b64 exec, exec, s[0:1]
	v_add_u32_e32 v24, 12, v2
	v_mov_b32_e32 v25, 0
	v_cmp_gt_u64_e32 vcc, s[2:3], v[24:25]
	v_mov_b32_e32 v22, 0
	s_and_saveexec_b64 s[0:1], vcc
; %bb.81:
	s_mov_b32 s4, 0x66666667
	v_mul_hi_i32 v5, v11, s4
	v_lshrrev_b32_e32 v6, 31, v5
	v_ashrrev_i32_e32 v5, 2, v5
	v_add_u32_e32 v5, v5, v6
	v_mul_hi_i32 v6, v8, s4
	v_lshrrev_b32_e32 v7, 31, v6
	v_ashrrev_i32_e32 v6, 2, v6
	v_add_u32_e32 v6, v6, v7
	v_cmp_ne_u32_e32 vcc, v5, v6
	v_cndmask_b32_e64 v22, 0, 1, vcc
; %bb.82:
	s_or_b64 exec, exec, s[0:1]
	v_add_u32_e32 v24, 11, v2
	v_cmp_gt_u64_e32 vcc, s[2:3], v[24:25]
	s_and_saveexec_b64 s[0:1], vcc
; %bb.83:
	s_mov_b32 s4, 0x66666667
	v_mul_hi_i32 v5, v10, s4
	v_lshrrev_b32_e32 v6, 31, v5
	v_ashrrev_i32_e32 v5, 2, v5
	v_add_u32_e32 v5, v5, v6
	v_mul_hi_i32 v6, v11, s4
	v_lshrrev_b32_e32 v7, 31, v6
	v_ashrrev_i32_e32 v6, 2, v6
	v_add_u32_e32 v6, v6, v7
	v_cmp_ne_u32_e32 vcc, v5, v6
	v_cndmask_b32_e64 v25, 0, 1, vcc
; %bb.84:
	s_or_b64 exec, exec, s[0:1]
	v_add_u32_e32 v26, 10, v2
	v_mov_b32_e32 v27, 0
	v_cmp_gt_u64_e32 vcc, s[2:3], v[26:27]
	v_mov_b32_e32 v24, 0
	;; [unrolled: 36-line block ×6, first 2 shown]
	s_and_saveexec_b64 s[0:1], vcc
; %bb.101:
	s_mov_b32 s4, 0x66666667
	v_mul_hi_i32 v5, v21, s4
	v_lshrrev_b32_e32 v6, 31, v5
	v_ashrrev_i32_e32 v5, 2, v5
	v_add_u32_e32 v5, v5, v6
	v_mul_hi_i32 v6, v18, s4
	v_lshrrev_b32_e32 v7, 31, v6
	v_ashrrev_i32_e32 v6, 2, v6
	v_add_u32_e32 v6, v6, v7
	v_cmp_ne_u32_e32 vcc, v5, v6
	v_cndmask_b32_e64 v32, 0, 1, vcc
; %bb.102:
	s_or_b64 exec, exec, s[0:1]
	v_add_u32_e32 v34, 1, v2
	v_cmp_gt_u64_e32 vcc, s[2:3], v[34:35]
	s_and_saveexec_b64 s[0:1], vcc
; %bb.103:
	s_mov_b32 s4, 0x66666667
	v_mul_hi_i32 v5, v20, s4
	v_lshrrev_b32_e32 v6, 31, v5
	v_ashrrev_i32_e32 v5, 2, v5
	v_add_u32_e32 v5, v5, v6
	v_mul_hi_i32 v6, v21, s4
	v_lshrrev_b32_e32 v7, 31, v6
	v_ashrrev_i32_e32 v6, 2, v6
	v_add_u32_e32 v6, v6, v7
	v_cmp_ne_u32_e32 vcc, v5, v6
	v_cndmask_b32_e64 v35, 0, 1, vcc
; %bb.104:
	s_or_b64 exec, exec, s[0:1]
	v_cmp_ne_u32_e32 vcc, 0, v0
	s_waitcnt lgkmcnt(0)
	s_barrier
	s_and_saveexec_b64 s[0:1], vcc
	s_cbranch_execz .LBB374_106
; %bb.105:
	v_add_u32_e32 v3, -4, v3
	s_waitcnt vmcnt(0)
	ds_read_b32 v4, v3
.LBB374_106:
	s_or_b64 exec, exec, s[0:1]
	v_mov_b32_e32 v3, 0
	v_cmp_gt_u64_e32 vcc, s[2:3], v[2:3]
	s_mov_b64 s[8:9], 0
	s_mov_b64 s[4:5], 0
	s_and_saveexec_b64 s[0:1], vcc
	s_cbranch_execz .LBB374_108
; %bb.107:
	s_mov_b32 s4, 0x66666667
	s_waitcnt vmcnt(0) lgkmcnt(0)
	v_mul_hi_i32 v2, v4, s4
	v_lshrrev_b32_e32 v3, 31, v2
	v_ashrrev_i32_e32 v2, 2, v2
	v_add_u32_e32 v2, v2, v3
	v_mul_hi_i32 v3, v20, s4
	v_lshrrev_b32_e32 v4, 31, v3
	v_ashrrev_i32_e32 v3, 2, v3
	v_add_u32_e32 v3, v3, v4
	v_cmp_ne_u32_e32 vcc, v2, v3
	s_and_b64 s[4:5], vcc, exec
.LBB374_108:
	s_or_b64 exec, exec, s[0:1]
	s_mov_b64 s[0:1], -1
	s_and_b64 vcc, exec, s[8:9]
	s_cbranch_vccnz .LBB374_220
.LBB374_109:
                                        ; implicit-def: $sgpr10
.LBB374_110:
	v_mov_b32_e32 v82, s10
	s_and_saveexec_b64 s[2:3], s[0:1]
.LBB374_111:
	v_cndmask_b32_e64 v82, 0, 1, s[4:5]
.LBB374_112:
	s_or_b64 exec, exec, s[2:3]
	s_cmp_eq_u64 s[46:47], 0
	v_add3_u32 v2, v35, v82, v32
	s_cselect_b64 s[38:39], -1, 0
	s_cmp_lg_u32 s6, 0
	v_cmp_eq_u32_e64 s[24:25], 0, v35
	v_cmp_eq_u32_e64 s[22:23], 0, v32
	;; [unrolled: 1-line block ×3, first 2 shown]
	v_add3_u32 v86, v2, v33, v30
	v_cmp_eq_u32_e64 s[18:19], 0, v30
	v_cmp_eq_u32_e64 s[16:17], 0, v31
	v_cmp_eq_u32_e64 s[14:15], 0, v28
	v_cmp_eq_u32_e64 s[12:13], 0, v29
	v_cmp_eq_u32_e64 s[10:11], 0, v26
	v_cmp_eq_u32_e64 s[8:9], 0, v27
	v_cmp_eq_u32_e64 s[28:29], 0, v24
	v_cmp_eq_u32_e64 s[4:5], 0, v25
	v_cmp_eq_u32_e64 s[2:3], 0, v22
	v_cmp_eq_u32_e64 s[0:1], 0, v23
	v_cmp_eq_u32_e32 vcc, 0, v80
	v_mbcnt_lo_u32_b32 v85, -1, 0
	v_lshrrev_b32_e32 v83, 6, v0
	v_or_b32_e32 v84, 63, v0
	s_cbranch_scc0 .LBB374_143
; %bb.113:
	v_cndmask_b32_e64 v2, 0, v46, s[24:25]
	v_add_u32_e32 v2, v2, v48
	v_cndmask_b32_e64 v2, 0, v2, s[22:23]
	v_add_u32_e32 v2, v2, v47
	v_cndmask_b32_e64 v2, 0, v2, s[20:21]
	v_add_u32_e32 v2, v2, v49
	v_cndmask_b32_e64 v2, 0, v2, s[18:19]
	v_add_u32_e32 v2, v2, v42
	v_cndmask_b32_e64 v2, 0, v2, s[16:17]
	v_add_u32_e32 v2, v2, v44
	v_cndmask_b32_e64 v2, 0, v2, s[14:15]
	v_add_u32_e32 v2, v2, v43
	v_cndmask_b32_e64 v2, 0, v2, s[12:13]
	v_add_u32_e32 v2, v2, v45
	v_cndmask_b32_e64 v2, 0, v2, s[10:11]
	v_add_u32_e32 v2, v2, v38
	v_cndmask_b32_e64 v2, 0, v2, s[8:9]
	v_add_u32_e32 v2, v2, v40
	v_cndmask_b32_e64 v2, 0, v2, s[28:29]
	v_add_u32_e32 v2, v2, v39
	v_cndmask_b32_e64 v2, 0, v2, s[4:5]
	v_add_u32_e32 v2, v2, v41
	v_cndmask_b32_e64 v2, 0, v2, s[2:3]
	v_add3_u32 v3, v86, v31, v28
	v_add_u32_e32 v2, v2, v36
	v_add3_u32 v3, v3, v29, v26
	v_cndmask_b32_e64 v2, 0, v2, s[0:1]
	v_add3_u32 v3, v3, v27, v24
	v_add_u32_e32 v2, v2, v81
	v_add3_u32 v3, v3, v25, v22
	v_cndmask_b32_e32 v2, 0, v2, vcc
	v_add3_u32 v3, v3, v23, v80
	v_add_u32_e32 v2, v2, v37
	v_mbcnt_hi_u32_b32 v53, -1, v85
	s_waitcnt vmcnt(0) lgkmcnt(0)
	v_and_b32_e32 v4, 15, v53
	v_mov_b32_dpp v6, v2 row_shr:1 row_mask:0xf bank_mask:0xf
	v_cmp_eq_u32_e32 vcc, 0, v3
	v_mov_b32_dpp v5, v3 row_shr:1 row_mask:0xf bank_mask:0xf
	v_cndmask_b32_e32 v6, 0, v6, vcc
	v_cmp_eq_u32_e32 vcc, 0, v4
	v_cndmask_b32_e64 v5, v5, 0, vcc
	v_add_u32_e32 v3, v5, v3
	v_cndmask_b32_e64 v5, v6, 0, vcc
	v_add_u32_e32 v2, v5, v2
	v_cmp_eq_u32_e32 vcc, 0, v3
	v_mov_b32_dpp v5, v3 row_shr:2 row_mask:0xf bank_mask:0xf
	v_cmp_lt_u32_e64 s[26:27], 1, v4
	v_mov_b32_dpp v6, v2 row_shr:2 row_mask:0xf bank_mask:0xf
	v_cndmask_b32_e64 v5, 0, v5, s[26:27]
	s_and_b64 vcc, s[26:27], vcc
	v_cndmask_b32_e32 v6, 0, v6, vcc
	v_add_u32_e32 v3, v3, v5
	v_add_u32_e32 v2, v6, v2
	v_cmp_eq_u32_e32 vcc, 0, v3
	v_mov_b32_dpp v5, v3 row_shr:4 row_mask:0xf bank_mask:0xf
	v_cmp_lt_u32_e64 s[26:27], 3, v4
	v_mov_b32_dpp v6, v2 row_shr:4 row_mask:0xf bank_mask:0xf
	v_cndmask_b32_e64 v5, 0, v5, s[26:27]
	s_and_b64 vcc, s[26:27], vcc
	v_cndmask_b32_e32 v6, 0, v6, vcc
	v_add_u32_e32 v3, v5, v3
	v_add_u32_e32 v2, v2, v6
	v_cmp_eq_u32_e32 vcc, 0, v3
	v_cmp_lt_u32_e64 s[26:27], 7, v4
	v_mov_b32_dpp v5, v3 row_shr:8 row_mask:0xf bank_mask:0xf
	v_mov_b32_dpp v6, v2 row_shr:8 row_mask:0xf bank_mask:0xf
	s_and_b64 vcc, s[26:27], vcc
	v_cndmask_b32_e64 v4, 0, v5, s[26:27]
	v_cndmask_b32_e32 v5, 0, v6, vcc
	v_add_u32_e32 v2, v5, v2
	v_add_u32_e32 v3, v4, v3
	v_bfe_i32 v6, v53, 4, 1
	v_mov_b32_dpp v5, v2 row_bcast:15 row_mask:0xf bank_mask:0xf
	v_mov_b32_dpp v4, v3 row_bcast:15 row_mask:0xf bank_mask:0xf
	v_cmp_eq_u32_e32 vcc, 0, v3
	v_cndmask_b32_e32 v5, 0, v5, vcc
	v_and_b32_e32 v4, v6, v4
	v_add_u32_e32 v3, v4, v3
	v_and_b32_e32 v4, v6, v5
	v_add_u32_e32 v4, v4, v2
	v_mov_b32_dpp v2, v3 row_bcast:31 row_mask:0xf bank_mask:0xf
	v_cmp_eq_u32_e32 vcc, 0, v3
	v_cmp_lt_u32_e64 s[26:27], 31, v53
	v_mov_b32_dpp v5, v4 row_bcast:31 row_mask:0xf bank_mask:0xf
	v_cndmask_b32_e64 v2, 0, v2, s[26:27]
	s_and_b64 vcc, s[26:27], vcc
	v_add_u32_e32 v2, v2, v3
	v_cndmask_b32_e32 v3, 0, v5, vcc
	v_add_u32_e32 v3, v3, v4
	v_cmp_eq_u32_e32 vcc, v84, v0
	v_lshlrev_b32_e32 v4, 3, v83
	s_and_saveexec_b64 s[26:27], vcc
	s_cbranch_execz .LBB374_115
; %bb.114:
	ds_write_b64 v4, v[2:3] offset:2064
.LBB374_115:
	s_or_b64 exec, exec, s[26:27]
	v_cmp_gt_u32_e32 vcc, 4, v0
	s_waitcnt lgkmcnt(0)
	s_barrier
	s_and_saveexec_b64 s[30:31], vcc
	s_cbranch_execz .LBB374_117
; %bb.116:
	v_lshlrev_b32_e32 v5, 3, v0
	ds_read_b64 v[6:7], v5 offset:2064
	v_and_b32_e32 v34, 3, v53
	v_cmp_lt_u32_e64 s[26:27], 1, v34
	s_waitcnt lgkmcnt(0)
	v_mov_b32_dpp v51, v7 row_shr:1 row_mask:0xf bank_mask:0xf
	v_cmp_eq_u32_e32 vcc, 0, v6
	v_mov_b32_dpp v50, v6 row_shr:1 row_mask:0xf bank_mask:0xf
	v_cndmask_b32_e32 v51, 0, v51, vcc
	v_cmp_eq_u32_e32 vcc, 0, v34
	v_cndmask_b32_e64 v50, v50, 0, vcc
	v_add_u32_e32 v6, v50, v6
	v_cndmask_b32_e64 v50, v51, 0, vcc
	v_add_u32_e32 v7, v50, v7
	v_cmp_eq_u32_e32 vcc, 0, v6
	v_mov_b32_dpp v50, v6 row_shr:2 row_mask:0xf bank_mask:0xf
	v_mov_b32_dpp v51, v7 row_shr:2 row_mask:0xf bank_mask:0xf
	v_cndmask_b32_e64 v34, 0, v50, s[26:27]
	s_and_b64 vcc, s[26:27], vcc
	v_add_u32_e32 v6, v34, v6
	v_cndmask_b32_e32 v34, 0, v51, vcc
	v_add_u32_e32 v7, v34, v7
	ds_write_b64 v5, v[6:7] offset:2064
.LBB374_117:
	s_or_b64 exec, exec, s[30:31]
	v_cmp_gt_u32_e32 vcc, 64, v0
	v_cmp_lt_u32_e64 s[26:27], 63, v0
	v_mov_b32_e32 v50, 0
	v_mov_b32_e32 v51, 0
	s_waitcnt lgkmcnt(0)
	s_barrier
	s_and_saveexec_b64 s[30:31], s[26:27]
	s_cbranch_execz .LBB374_119
; %bb.118:
	ds_read_b64 v[50:51], v4 offset:2056
	v_cmp_eq_u32_e64 s[26:27], 0, v2
	s_waitcnt lgkmcnt(0)
	v_add_u32_e32 v4, v50, v2
	v_cndmask_b32_e64 v2, 0, v51, s[26:27]
	v_add_u32_e32 v3, v2, v3
	v_mov_b32_e32 v2, v4
.LBB374_119:
	s_or_b64 exec, exec, s[30:31]
	v_add_u32_e32 v4, -1, v53
	v_and_b32_e32 v5, 64, v53
	v_cmp_lt_i32_e64 s[26:27], v4, v5
	v_cndmask_b32_e64 v4, v4, v53, s[26:27]
	v_lshlrev_b32_e32 v4, 2, v4
	ds_bpermute_b32 v34, v4, v2
	ds_bpermute_b32 v58, v4, v3
	v_cmp_eq_u32_e64 s[26:27], 0, v53
	s_and_saveexec_b64 s[40:41], vcc
	s_cbranch_execz .LBB374_142
; %bb.120:
	v_mov_b32_e32 v7, 0
	ds_read_b64 v[2:3], v7 offset:2088
	s_waitcnt lgkmcnt(0)
	v_readfirstlane_b32 s7, v2
	v_readfirstlane_b32 s48, v3
	s_and_saveexec_b64 s[30:31], s[26:27]
	s_cbranch_execz .LBB374_122
; %bb.121:
	s_add_i32 s46, s6, 64
	s_mov_b32 s47, 0
	s_lshl_b64 s[50:51], s[46:47], 4
	s_add_u32 s50, s44, s50
	s_addc_u32 s51, s45, s51
	s_and_b32 s57, s48, 0xff000000
	s_mov_b32 s56, s47
	s_and_b32 s63, s48, 0xff0000
	s_mov_b32 s62, s47
	s_or_b64 s[56:57], s[62:63], s[56:57]
	s_and_b32 s63, s48, 0xff00
	s_or_b64 s[56:57], s[56:57], s[62:63]
	s_and_b32 s63, s48, 0xff
	s_or_b64 s[46:47], s[56:57], s[62:63]
	v_mov_b32_e32 v4, s7
	v_mov_b32_e32 v5, s47
	;; [unrolled: 1-line block ×3, first 2 shown]
	v_pk_mov_b32 v[2:3], s[50:51], s[50:51] op_sel:[0,1]
	;;#ASMSTART
	global_store_dwordx4 v[2:3], v[4:7] off	
s_waitcnt vmcnt(0)
	;;#ASMEND
.LBB374_122:
	s_or_b64 exec, exec, s[30:31]
	v_xad_u32 v52, v53, -1, s6
	v_add_u32_e32 v6, 64, v52
	v_lshlrev_b64 v[2:3], 4, v[6:7]
	v_mov_b32_e32 v4, s45
	v_add_co_u32_e32 v54, vcc, s44, v2
	v_addc_co_u32_e32 v55, vcc, v4, v3, vcc
	;;#ASMSTART
	global_load_dwordx4 v[2:5], v[54:55] off glc	
s_waitcnt vmcnt(0)
	;;#ASMEND
	v_and_b32_e32 v5, 0xff, v3
	v_and_b32_e32 v6, 0xff00, v3
	;; [unrolled: 1-line block ×3, first 2 shown]
	v_or3_b32 v5, 0, v5, v6
	v_or3_b32 v2, v2, 0, 0
	v_and_b32_e32 v3, 0xff000000, v3
	v_or3_b32 v3, v5, v56, v3
	v_or3_b32 v2, v2, 0, 0
	v_cmp_eq_u16_sdwa s[46:47], v4, v7 src0_sel:BYTE_0 src1_sel:DWORD
	s_and_saveexec_b64 s[30:31], s[46:47]
	s_cbranch_execz .LBB374_128
; %bb.123:
	s_mov_b32 s49, 1
	s_mov_b64 s[46:47], 0
	v_mov_b32_e32 v6, 0
.LBB374_124:                            ; =>This Loop Header: Depth=1
                                        ;     Child Loop BB374_125 Depth 2
	s_max_u32 s50, s49, 1
.LBB374_125:                            ;   Parent Loop BB374_124 Depth=1
                                        ; =>  This Inner Loop Header: Depth=2
	s_add_i32 s50, s50, -1
	s_cmp_eq_u32 s50, 0
	s_sleep 1
	s_cbranch_scc0 .LBB374_125
; %bb.126:                              ;   in Loop: Header=BB374_124 Depth=1
	s_cmp_lt_u32 s49, 32
	s_cselect_b64 s[50:51], -1, 0
	s_cmp_lg_u64 s[50:51], 0
	s_addc_u32 s49, s49, 0
	;;#ASMSTART
	global_load_dwordx4 v[2:5], v[54:55] off glc	
s_waitcnt vmcnt(0)
	;;#ASMEND
	v_cmp_ne_u16_sdwa s[50:51], v4, v6 src0_sel:BYTE_0 src1_sel:DWORD
	s_or_b64 s[46:47], s[50:51], s[46:47]
	s_andn2_b64 exec, exec, s[46:47]
	s_cbranch_execnz .LBB374_124
; %bb.127:
	s_or_b64 exec, exec, s[46:47]
.LBB374_128:
	s_or_b64 exec, exec, s[30:31]
	v_mov_b32_e32 v59, 2
	v_cmp_eq_u16_sdwa s[30:31], v4, v59 src0_sel:BYTE_0 src1_sel:DWORD
	v_lshlrev_b64 v[54:55], v53, -1
	v_and_b32_e32 v5, s31, v55
	v_and_b32_e32 v60, 63, v53
	v_or_b32_e32 v5, 0x80000000, v5
	v_cmp_ne_u32_e32 vcc, 63, v60
	v_and_b32_e32 v6, s30, v54
	v_ffbl_b32_e32 v5, v5
	v_addc_co_u32_e32 v7, vcc, 0, v53, vcc
	v_add_u32_e32 v5, 32, v5
	v_ffbl_b32_e32 v6, v6
	v_lshlrev_b32_e32 v61, 2, v7
	v_min_u32_e32 v5, v6, v5
	ds_bpermute_b32 v6, v61, v3
	v_cmp_eq_u32_e32 vcc, 0, v2
	v_cmp_lt_u32_e64 s[30:31], v60, v5
	ds_bpermute_b32 v7, v61, v2
	s_and_b64 vcc, s[30:31], vcc
	s_waitcnt lgkmcnt(1)
	v_cndmask_b32_e32 v6, 0, v6, vcc
	v_cmp_gt_u32_e32 vcc, 62, v60
	v_add_u32_e32 v3, v6, v3
	v_cndmask_b32_e64 v6, 0, 1, vcc
	v_lshlrev_b32_e32 v6, 1, v6
	v_add_lshl_u32 v62, v6, v53, 2
	s_waitcnt lgkmcnt(0)
	v_cndmask_b32_e64 v7, 0, v7, s[30:31]
	ds_bpermute_b32 v6, v62, v3
	v_add_u32_e32 v2, v7, v2
	ds_bpermute_b32 v7, v62, v2
	v_add_u32_e32 v63, 2, v60
	v_cmp_eq_u32_e32 vcc, 0, v2
	s_waitcnt lgkmcnt(1)
	v_cndmask_b32_e32 v6, 0, v6, vcc
	v_cmp_gt_u32_e32 vcc, v63, v5
	v_cndmask_b32_e64 v6, v6, 0, vcc
	v_add_u32_e32 v3, v6, v3
	s_waitcnt lgkmcnt(0)
	v_cndmask_b32_e64 v6, v7, 0, vcc
	v_cmp_gt_u32_e32 vcc, 60, v60
	v_cndmask_b32_e64 v7, 0, 1, vcc
	v_lshlrev_b32_e32 v7, 2, v7
	v_add_lshl_u32 v64, v7, v53, 2
	ds_bpermute_b32 v7, v64, v3
	v_add_u32_e32 v2, v2, v6
	ds_bpermute_b32 v6, v64, v2
	v_add_u32_e32 v65, 4, v60
	v_cmp_eq_u32_e32 vcc, 0, v2
	s_waitcnt lgkmcnt(1)
	v_cndmask_b32_e32 v7, 0, v7, vcc
	v_cmp_gt_u32_e32 vcc, v65, v5
	v_cndmask_b32_e64 v7, v7, 0, vcc
	s_waitcnt lgkmcnt(0)
	v_cndmask_b32_e64 v6, v6, 0, vcc
	v_cmp_gt_u32_e32 vcc, 56, v60
	v_add_u32_e32 v3, v3, v7
	v_cndmask_b32_e64 v7, 0, 1, vcc
	v_lshlrev_b32_e32 v7, 3, v7
	v_add_lshl_u32 v66, v7, v53, 2
	ds_bpermute_b32 v7, v66, v3
	v_add_u32_e32 v2, v2, v6
	ds_bpermute_b32 v6, v66, v2
	v_add_u32_e32 v67, 8, v60
	v_cmp_eq_u32_e32 vcc, 0, v2
	s_waitcnt lgkmcnt(1)
	v_cndmask_b32_e32 v7, 0, v7, vcc
	v_cmp_gt_u32_e32 vcc, v67, v5
	v_cndmask_b32_e64 v7, v7, 0, vcc
	s_waitcnt lgkmcnt(0)
	v_cndmask_b32_e64 v6, v6, 0, vcc
	v_cmp_gt_u32_e32 vcc, 48, v60
	v_add_u32_e32 v3, v3, v7
	;; [unrolled: 16-line block ×3, first 2 shown]
	v_cndmask_b32_e64 v7, 0, 1, vcc
	v_lshlrev_b32_e32 v7, 5, v7
	v_add_lshl_u32 v70, v7, v53, 2
	ds_bpermute_b32 v7, v70, v3
	v_add_u32_e32 v2, v2, v6
	ds_bpermute_b32 v6, v70, v2
	v_add_u32_e32 v71, 32, v60
	v_cmp_eq_u32_e32 vcc, 0, v2
	s_waitcnt lgkmcnt(1)
	v_cndmask_b32_e32 v7, 0, v7, vcc
	v_cmp_gt_u32_e32 vcc, v71, v5
	v_cndmask_b32_e64 v5, v7, 0, vcc
	v_add_u32_e32 v3, v5, v3
	s_waitcnt lgkmcnt(0)
	v_cndmask_b32_e64 v5, v6, 0, vcc
	v_add_u32_e32 v2, v5, v2
	v_mov_b32_e32 v53, 0
	s_branch .LBB374_130
.LBB374_129:                            ;   in Loop: Header=BB374_130 Depth=1
	s_or_b64 exec, exec, s[30:31]
	v_cmp_eq_u16_sdwa s[30:31], v4, v59 src0_sel:BYTE_0 src1_sel:DWORD
	v_and_b32_e32 v5, s31, v55
	v_or_b32_e32 v5, 0x80000000, v5
	v_and_b32_e32 v56, s30, v54
	v_ffbl_b32_e32 v5, v5
	v_add_u32_e32 v5, 32, v5
	v_ffbl_b32_e32 v56, v56
	v_min_u32_e32 v5, v56, v5
	ds_bpermute_b32 v56, v61, v3
	v_cmp_eq_u32_e32 vcc, 0, v2
	v_cmp_lt_u32_e64 s[30:31], v60, v5
	ds_bpermute_b32 v57, v61, v2
	s_and_b64 vcc, s[30:31], vcc
	s_waitcnt lgkmcnt(1)
	v_cndmask_b32_e32 v56, 0, v56, vcc
	v_add_u32_e32 v3, v56, v3
	ds_bpermute_b32 v56, v62, v3
	s_waitcnt lgkmcnt(1)
	v_cndmask_b32_e64 v57, 0, v57, s[30:31]
	v_add_u32_e32 v2, v57, v2
	v_cmp_eq_u32_e32 vcc, 0, v2
	ds_bpermute_b32 v57, v62, v2
	s_waitcnt lgkmcnt(1)
	v_cndmask_b32_e32 v56, 0, v56, vcc
	v_cmp_gt_u32_e32 vcc, v63, v5
	v_cndmask_b32_e64 v56, v56, 0, vcc
	v_add_u32_e32 v3, v56, v3
	ds_bpermute_b32 v56, v64, v3
	s_waitcnt lgkmcnt(1)
	v_cndmask_b32_e64 v57, v57, 0, vcc
	v_add_u32_e32 v2, v2, v57
	v_cmp_eq_u32_e32 vcc, 0, v2
	ds_bpermute_b32 v57, v64, v2
	s_waitcnt lgkmcnt(1)
	v_cndmask_b32_e32 v56, 0, v56, vcc
	v_cmp_gt_u32_e32 vcc, v65, v5
	v_cndmask_b32_e64 v56, v56, 0, vcc
	v_add_u32_e32 v3, v3, v56
	ds_bpermute_b32 v56, v66, v3
	s_waitcnt lgkmcnt(1)
	v_cndmask_b32_e64 v57, v57, 0, vcc
	v_add_u32_e32 v2, v2, v57
	ds_bpermute_b32 v57, v66, v2
	v_cmp_eq_u32_e32 vcc, 0, v2
	s_waitcnt lgkmcnt(1)
	v_cndmask_b32_e32 v56, 0, v56, vcc
	v_cmp_gt_u32_e32 vcc, v67, v5
	v_cndmask_b32_e64 v56, v56, 0, vcc
	v_add_u32_e32 v3, v3, v56
	ds_bpermute_b32 v56, v68, v3
	s_waitcnt lgkmcnt(1)
	v_cndmask_b32_e64 v57, v57, 0, vcc
	v_add_u32_e32 v2, v2, v57
	ds_bpermute_b32 v57, v68, v2
	v_cmp_eq_u32_e32 vcc, 0, v2
	;; [unrolled: 11-line block ×3, first 2 shown]
	s_waitcnt lgkmcnt(1)
	v_cndmask_b32_e32 v56, 0, v56, vcc
	v_cmp_gt_u32_e32 vcc, v71, v5
	v_cndmask_b32_e64 v5, v56, 0, vcc
	v_add_u32_e32 v3, v5, v3
	s_waitcnt lgkmcnt(0)
	v_cndmask_b32_e64 v5, v57, 0, vcc
	v_cmp_eq_u32_e32 vcc, 0, v6
	v_cndmask_b32_e32 v3, 0, v3, vcc
	v_subrev_u32_e32 v52, 64, v52
	v_add3_u32 v2, v2, v6, v5
	v_add_u32_e32 v3, v3, v7
.LBB374_130:                            ; =>This Loop Header: Depth=1
                                        ;     Child Loop BB374_133 Depth 2
                                        ;       Child Loop BB374_134 Depth 3
	v_cmp_ne_u16_sdwa s[30:31], v4, v59 src0_sel:BYTE_0 src1_sel:DWORD
	v_mov_b32_e32 v7, v3
	v_cndmask_b32_e64 v3, 0, 1, s[30:31]
	;;#ASMSTART
	;;#ASMEND
	v_cmp_ne_u32_e32 vcc, 0, v3
	s_cmp_lg_u64 vcc, exec
	v_mov_b32_e32 v6, v2
	s_cbranch_scc1 .LBB374_137
; %bb.131:                              ;   in Loop: Header=BB374_130 Depth=1
	v_lshlrev_b64 v[2:3], 4, v[52:53]
	v_mov_b32_e32 v4, s45
	v_add_co_u32_e32 v56, vcc, s44, v2
	v_addc_co_u32_e32 v57, vcc, v4, v3, vcc
	;;#ASMSTART
	global_load_dwordx4 v[2:5], v[56:57] off glc	
s_waitcnt vmcnt(0)
	;;#ASMEND
	v_and_b32_e32 v5, 0xff, v3
	v_and_b32_e32 v72, 0xff00, v3
	;; [unrolled: 1-line block ×3, first 2 shown]
	v_or3_b32 v5, 0, v5, v72
	v_or3_b32 v2, v2, 0, 0
	v_and_b32_e32 v3, 0xff000000, v3
	v_or3_b32 v3, v5, v73, v3
	v_or3_b32 v2, v2, 0, 0
	v_cmp_eq_u16_sdwa s[46:47], v4, v53 src0_sel:BYTE_0 src1_sel:DWORD
	s_and_saveexec_b64 s[30:31], s[46:47]
	s_cbranch_execz .LBB374_129
; %bb.132:                              ;   in Loop: Header=BB374_130 Depth=1
	s_mov_b32 s49, 1
	s_mov_b64 s[46:47], 0
.LBB374_133:                            ;   Parent Loop BB374_130 Depth=1
                                        ; =>  This Loop Header: Depth=2
                                        ;       Child Loop BB374_134 Depth 3
	s_max_u32 s50, s49, 1
.LBB374_134:                            ;   Parent Loop BB374_130 Depth=1
                                        ;     Parent Loop BB374_133 Depth=2
                                        ; =>    This Inner Loop Header: Depth=3
	s_add_i32 s50, s50, -1
	s_cmp_eq_u32 s50, 0
	s_sleep 1
	s_cbranch_scc0 .LBB374_134
; %bb.135:                              ;   in Loop: Header=BB374_133 Depth=2
	s_cmp_lt_u32 s49, 32
	s_cselect_b64 s[50:51], -1, 0
	s_cmp_lg_u64 s[50:51], 0
	s_addc_u32 s49, s49, 0
	;;#ASMSTART
	global_load_dwordx4 v[2:5], v[56:57] off glc	
s_waitcnt vmcnt(0)
	;;#ASMEND
	v_cmp_ne_u16_sdwa s[50:51], v4, v53 src0_sel:BYTE_0 src1_sel:DWORD
	s_or_b64 s[46:47], s[50:51], s[46:47]
	s_andn2_b64 exec, exec, s[46:47]
	s_cbranch_execnz .LBB374_133
; %bb.136:                              ;   in Loop: Header=BB374_130 Depth=1
	s_or_b64 exec, exec, s[46:47]
	s_branch .LBB374_129
.LBB374_137:                            ;   in Loop: Header=BB374_130 Depth=1
                                        ; implicit-def: $vgpr3
                                        ; implicit-def: $vgpr2
                                        ; implicit-def: $vgpr4
	s_cbranch_execz .LBB374_130
; %bb.138:
	s_and_saveexec_b64 s[30:31], s[26:27]
	s_cbranch_execz .LBB374_140
; %bb.139:
	s_cmp_eq_u32 s7, 0
	s_cselect_b64 vcc, -1, 0
	s_mov_b32 s47, 0
	v_cndmask_b32_e32 v2, 0, v7, vcc
	s_add_i32 s46, s6, 64
	v_add_u32_e32 v2, s48, v2
	s_lshl_b64 s[46:47], s[46:47], 4
	s_add_u32 s46, s44, s46
	v_and_b32_e32 v3, 0xff000000, v2
	v_and_b32_e32 v4, 0xff0000, v2
	s_addc_u32 s47, s45, s47
	v_or_b32_e32 v3, v4, v3
	v_and_b32_e32 v4, 0xff00, v2
	v_and_b32_e32 v2, 0xff, v2
	v_add_u32_e32 v52, s7, v6
	v_mov_b32_e32 v55, 0
	v_or3_b32 v53, v3, v4, v2
	v_mov_b32_e32 v54, 2
	v_pk_mov_b32 v[2:3], s[46:47], s[46:47] op_sel:[0,1]
	;;#ASMSTART
	global_store_dwordx4 v[2:3], v[52:55] off	
s_waitcnt vmcnt(0)
	;;#ASMEND
	v_mov_b32_e32 v4, s7
	v_mov_b32_e32 v5, s48
	ds_write_b128 v55, v[4:7] offset:2048
.LBB374_140:
	s_or_b64 exec, exec, s[30:31]
	v_cmp_eq_u32_e32 vcc, 0, v0
	s_and_b64 exec, exec, vcc
	s_cbranch_execz .LBB374_142
; %bb.141:
	v_mov_b32_e32 v2, 0
	ds_write_b64 v2, v[6:7] offset:2088
.LBB374_142:
	s_or_b64 exec, exec, s[40:41]
	v_mov_b32_e32 v4, 0
	s_waitcnt lgkmcnt(0)
	s_barrier
	ds_read_b64 v[2:3], v4 offset:2088
	v_cndmask_b32_e64 v6, v34, v50, s[26:27]
	v_cmp_eq_u32_e32 vcc, 0, v6
	v_cndmask_b32_e64 v5, v58, v51, s[26:27]
	s_waitcnt lgkmcnt(0)
	v_cndmask_b32_e32 v7, 0, v3, vcc
	v_add_u32_e32 v5, v7, v5
	v_cmp_eq_u32_e32 vcc, 0, v0
	v_cndmask_b32_e32 v79, v5, v3, vcc
	v_cndmask_b32_e64 v3, v6, 0, vcc
	v_cmp_eq_u32_e32 vcc, 0, v82
	v_add_u32_e32 v78, v2, v3
	v_cndmask_b32_e32 v2, 0, v79, vcc
	v_add_u32_e32 v77, v2, v46
	v_cndmask_b32_e64 v2, 0, v77, s[24:25]
	v_add_u32_e32 v75, v2, v48
	v_cndmask_b32_e64 v2, 0, v75, s[22:23]
	v_add_u32_e32 v73, v2, v47
	v_cndmask_b32_e64 v2, 0, v73, s[20:21]
	v_add_u32_e32 v71, v2, v49
	v_cndmask_b32_e64 v2, 0, v71, s[18:19]
	v_add_u32_e32 v69, v2, v42
	v_cndmask_b32_e64 v2, 0, v69, s[16:17]
	v_add_u32_e32 v67, v2, v44
	v_cndmask_b32_e64 v2, 0, v67, s[14:15]
	v_add_u32_e32 v65, v2, v43
	v_cndmask_b32_e64 v2, 0, v65, s[12:13]
	v_add_u32_e32 v63, v2, v45
	v_cndmask_b32_e64 v2, 0, v63, s[10:11]
	v_add_u32_e32 v76, v78, v82
	v_add_u32_e32 v61, v2, v38
	v_add_u32_e32 v74, v76, v35
	v_cndmask_b32_e64 v2, 0, v61, s[8:9]
	v_add_u32_e32 v72, v74, v32
	v_add_u32_e32 v59, v2, v40
	v_add_u32_e32 v70, v72, v33
	v_cndmask_b32_e64 v2, 0, v59, s[28:29]
	;; [unrolled: 4-line block ×3, first 2 shown]
	v_add_u32_e32 v64, v66, v28
	v_add_u32_e32 v55, v2, v41
	s_barrier
	ds_read_b128 v[2:5], v4 offset:2048
	v_add_u32_e32 v62, v64, v29
	v_add_u32_e32 v60, v62, v26
	;; [unrolled: 1-line block ×4, first 2 shown]
	v_cndmask_b32_e64 v6, 0, v55, s[2:3]
	v_add_u32_e32 v54, v56, v25
	v_add_u32_e32 v53, v6, v36
	s_waitcnt lgkmcnt(0)
	v_cmp_eq_u32_e32 vcc, 0, v2
	v_add_u32_e32 v52, v54, v22
	v_cndmask_b32_e64 v6, 0, v53, s[0:1]
	v_cndmask_b32_e32 v5, 0, v5, vcc
	v_add_u32_e32 v50, v52, v23
	v_add_u32_e32 v51, v6, v81
	;; [unrolled: 1-line block ×3, first 2 shown]
	s_branch .LBB374_155
.LBB374_143:
                                        ; implicit-def: $vgpr2
                                        ; implicit-def: $vgpr34
                                        ; implicit-def: $vgpr78_vgpr79
                                        ; implicit-def: $vgpr76_vgpr77
                                        ; implicit-def: $vgpr74_vgpr75
                                        ; implicit-def: $vgpr72_vgpr73
                                        ; implicit-def: $vgpr70_vgpr71
                                        ; implicit-def: $vgpr68_vgpr69
                                        ; implicit-def: $vgpr66_vgpr67
                                        ; implicit-def: $vgpr64_vgpr65
                                        ; implicit-def: $vgpr62_vgpr63
                                        ; implicit-def: $vgpr60_vgpr61
                                        ; implicit-def: $vgpr58_vgpr59
                                        ; implicit-def: $vgpr56_vgpr57
                                        ; implicit-def: $vgpr54_vgpr55
                                        ; implicit-def: $vgpr52_vgpr53
                                        ; implicit-def: $vgpr50_vgpr51
	s_cbranch_execz .LBB374_155
; %bb.144:
	s_and_b64 s[0:1], s[38:39], exec
	s_cselect_b32 s1, 0, s61
	s_cselect_b32 s0, 0, s60
	s_cmp_eq_u64 s[0:1], 0
	v_mov_b32_e32 v6, v46
	s_cbranch_scc1 .LBB374_146
; %bb.145:
	v_mov_b32_e32 v2, 0
	global_load_dword v6, v2, s[0:1]
.LBB374_146:
	v_cmp_eq_u32_e64 s[0:1], 0, v35
	v_cndmask_b32_e64 v2, 0, v46, s[0:1]
	v_add_u32_e32 v2, v2, v48
	v_cmp_eq_u32_e64 s[2:3], 0, v32
	v_cndmask_b32_e64 v2, 0, v2, s[2:3]
	v_add_u32_e32 v2, v2, v47
	;; [unrolled: 3-line block ×11, first 2 shown]
	v_cmp_eq_u32_e64 s[22:23], 0, v22
	v_cndmask_b32_e64 v2, 0, v2, s[22:23]
	v_add3_u32 v3, v86, v31, v28
	v_add_u32_e32 v2, v2, v36
	v_cmp_eq_u32_e32 vcc, 0, v23
	v_add3_u32 v3, v3, v29, v26
	v_cndmask_b32_e32 v2, 0, v2, vcc
	v_add3_u32 v3, v3, v27, v24
	v_add_u32_e32 v2, v2, v81
	v_cmp_eq_u32_e64 s[24:25], 0, v80
	v_add3_u32 v3, v3, v25, v22
	v_cndmask_b32_e64 v2, 0, v2, s[24:25]
	v_add3_u32 v3, v3, v23, v80
	v_add_u32_e32 v2, v2, v37
	v_mbcnt_hi_u32_b32 v7, -1, v85
	s_waitcnt vmcnt(0) lgkmcnt(0)
	v_and_b32_e32 v4, 15, v7
	v_mov_b32_dpp v34, v2 row_shr:1 row_mask:0xf bank_mask:0xf
	v_cmp_eq_u32_e64 s[24:25], 0, v3
	v_mov_b32_dpp v5, v3 row_shr:1 row_mask:0xf bank_mask:0xf
	v_cndmask_b32_e64 v34, 0, v34, s[24:25]
	v_cmp_eq_u32_e64 s[24:25], 0, v4
	v_cndmask_b32_e64 v5, v5, 0, s[24:25]
	v_add_u32_e32 v3, v5, v3
	v_cndmask_b32_e64 v5, v34, 0, s[24:25]
	v_add_u32_e32 v2, v5, v2
	v_cmp_eq_u32_e64 s[24:25], 0, v3
	v_mov_b32_dpp v5, v3 row_shr:2 row_mask:0xf bank_mask:0xf
	v_cmp_lt_u32_e64 s[26:27], 1, v4
	v_mov_b32_dpp v34, v2 row_shr:2 row_mask:0xf bank_mask:0xf
	v_cndmask_b32_e64 v5, 0, v5, s[26:27]
	s_and_b64 s[24:25], s[26:27], s[24:25]
	v_cndmask_b32_e64 v34, 0, v34, s[24:25]
	v_add_u32_e32 v3, v3, v5
	v_add_u32_e32 v2, v34, v2
	v_cmp_eq_u32_e64 s[24:25], 0, v3
	v_mov_b32_dpp v5, v3 row_shr:4 row_mask:0xf bank_mask:0xf
	v_cmp_lt_u32_e64 s[26:27], 3, v4
	v_mov_b32_dpp v34, v2 row_shr:4 row_mask:0xf bank_mask:0xf
	v_cndmask_b32_e64 v5, 0, v5, s[26:27]
	s_and_b64 s[24:25], s[26:27], s[24:25]
	v_cndmask_b32_e64 v34, 0, v34, s[24:25]
	v_add_u32_e32 v3, v5, v3
	v_add_u32_e32 v2, v2, v34
	v_cmp_eq_u32_e64 s[24:25], 0, v3
	v_cmp_lt_u32_e64 s[26:27], 7, v4
	v_mov_b32_dpp v5, v3 row_shr:8 row_mask:0xf bank_mask:0xf
	v_mov_b32_dpp v34, v2 row_shr:8 row_mask:0xf bank_mask:0xf
	s_and_b64 s[24:25], s[26:27], s[24:25]
	v_cndmask_b32_e64 v4, 0, v5, s[26:27]
	v_cndmask_b32_e64 v5, 0, v34, s[24:25]
	v_add_u32_e32 v2, v5, v2
	v_add_u32_e32 v3, v4, v3
	v_bfe_i32 v34, v7, 4, 1
	v_mov_b32_dpp v5, v2 row_bcast:15 row_mask:0xf bank_mask:0xf
	v_mov_b32_dpp v4, v3 row_bcast:15 row_mask:0xf bank_mask:0xf
	v_cmp_eq_u32_e64 s[24:25], 0, v3
	v_cndmask_b32_e64 v5, 0, v5, s[24:25]
	v_and_b32_e32 v4, v34, v4
	v_add_u32_e32 v3, v4, v3
	v_and_b32_e32 v4, v34, v5
	v_add_u32_e32 v4, v4, v2
	v_mov_b32_dpp v2, v3 row_bcast:31 row_mask:0xf bank_mask:0xf
	v_cmp_eq_u32_e64 s[24:25], 0, v3
	v_cmp_lt_u32_e64 s[26:27], 31, v7
	v_mov_b32_dpp v5, v4 row_bcast:31 row_mask:0xf bank_mask:0xf
	v_cndmask_b32_e64 v2, 0, v2, s[26:27]
	s_and_b64 s[24:25], s[26:27], s[24:25]
	v_add_u32_e32 v2, v2, v3
	v_cndmask_b32_e64 v3, 0, v5, s[24:25]
	v_add_u32_e32 v3, v3, v4
	v_cmp_eq_u32_e64 s[24:25], v84, v0
	s_and_saveexec_b64 s[26:27], s[24:25]
	s_cbranch_execz .LBB374_148
; %bb.147:
	v_lshlrev_b32_e32 v4, 3, v83
	ds_write_b64 v4, v[2:3] offset:2064
.LBB374_148:
	s_or_b64 exec, exec, s[26:27]
	v_cmp_gt_u32_e64 s[24:25], 4, v0
	s_waitcnt lgkmcnt(0)
	s_barrier
	s_and_saveexec_b64 s[28:29], s[24:25]
	s_cbranch_execz .LBB374_150
; %bb.149:
	v_lshlrev_b32_e32 v34, 3, v0
	ds_read_b64 v[4:5], v34 offset:2064
	v_and_b32_e32 v37, 3, v7
	v_cmp_lt_u32_e64 s[26:27], 1, v37
	s_waitcnt lgkmcnt(0)
	v_mov_b32_dpp v51, v5 row_shr:1 row_mask:0xf bank_mask:0xf
	v_cmp_eq_u32_e64 s[24:25], 0, v4
	v_mov_b32_dpp v50, v4 row_shr:1 row_mask:0xf bank_mask:0xf
	v_cndmask_b32_e64 v51, 0, v51, s[24:25]
	v_cmp_eq_u32_e64 s[24:25], 0, v37
	v_cndmask_b32_e64 v50, v50, 0, s[24:25]
	v_add_u32_e32 v4, v50, v4
	v_cndmask_b32_e64 v50, v51, 0, s[24:25]
	v_add_u32_e32 v5, v50, v5
	v_cmp_eq_u32_e64 s[24:25], 0, v4
	v_mov_b32_dpp v50, v4 row_shr:2 row_mask:0xf bank_mask:0xf
	v_mov_b32_dpp v51, v5 row_shr:2 row_mask:0xf bank_mask:0xf
	v_cndmask_b32_e64 v37, 0, v50, s[26:27]
	s_and_b64 s[24:25], s[26:27], s[24:25]
	v_add_u32_e32 v4, v37, v4
	v_cndmask_b32_e64 v37, 0, v51, s[24:25]
	v_add_u32_e32 v5, v37, v5
	ds_write_b64 v34, v[4:5] offset:2064
.LBB374_150:
	s_or_b64 exec, exec, s[28:29]
	v_cmp_lt_u32_e64 s[24:25], 63, v0
	v_mov_b32_e32 v34, 0
	v_mov_b32_e32 v4, 0
	;; [unrolled: 1-line block ×3, first 2 shown]
	s_waitcnt lgkmcnt(0)
	s_barrier
	s_and_saveexec_b64 s[26:27], s[24:25]
	s_cbranch_execz .LBB374_152
; %bb.151:
	v_lshlrev_b32_e32 v4, 3, v83
	ds_read_b64 v[4:5], v4 offset:2056
	s_waitcnt lgkmcnt(0)
	v_cmp_eq_u32_e64 s[24:25], 0, v4
	v_cndmask_b32_e64 v37, 0, v6, s[24:25]
	v_add_u32_e32 v5, v37, v5
.LBB374_152:
	s_or_b64 exec, exec, s[26:27]
	v_cmp_eq_u32_e64 s[24:25], 0, v2
	v_add_u32_e32 v37, v4, v2
	v_cndmask_b32_e64 v2, 0, v5, s[24:25]
	v_add_u32_e32 v2, v2, v3
	v_add_u32_e32 v3, -1, v7
	v_and_b32_e32 v50, 64, v7
	v_cmp_lt_i32_e64 s[24:25], v3, v50
	v_cndmask_b32_e64 v3, v3, v7, s[24:25]
	v_lshlrev_b32_e32 v3, 2, v3
	ds_bpermute_b32 v37, v3, v37
	ds_bpermute_b32 v2, v3, v2
	v_cmp_eq_u32_e64 s[24:25], 0, v7
	v_cmp_eq_u32_e64 s[26:27], 0, v82
	s_waitcnt lgkmcnt(1)
	v_cndmask_b32_e64 v3, v37, v4, s[24:25]
	s_waitcnt lgkmcnt(0)
	v_cndmask_b32_e64 v2, v2, v5, s[24:25]
	v_cmp_eq_u32_e64 s[24:25], 0, v0
	v_cndmask_b32_e64 v79, v2, v6, s[24:25]
	v_cndmask_b32_e64 v2, 0, v79, s[26:27]
	v_add_u32_e32 v77, v2, v46
	v_cndmask_b32_e64 v2, 0, v77, s[0:1]
	v_add_u32_e32 v75, v2, v48
	;; [unrolled: 2-line block ×8, first 2 shown]
	v_cndmask_b32_e64 v78, v3, 0, s[24:25]
	v_cndmask_b32_e64 v2, 0, v63, s[14:15]
	v_add_u32_e32 v76, v78, v82
	v_add_u32_e32 v61, v2, v38
	v_add_u32_e32 v74, v76, v35
	v_cndmask_b32_e64 v2, 0, v61, s[16:17]
	v_add_u32_e32 v72, v74, v32
	v_add_u32_e32 v59, v2, v40
	v_add_u32_e32 v70, v72, v33
	;; [unrolled: 4-line block ×3, first 2 shown]
	v_cndmask_b32_e64 v2, 0, v57, s[20:21]
	v_add_u32_e32 v64, v66, v28
	v_add_u32_e32 v55, v2, v41
	ds_read_b64 v[2:3], v34 offset:2088
	v_add_u32_e32 v62, v64, v29
	v_add_u32_e32 v60, v62, v26
	;; [unrolled: 1-line block ×3, first 2 shown]
	v_cndmask_b32_e64 v4, 0, v55, s[22:23]
	v_add_u32_e32 v56, v58, v24
	v_add_u32_e32 v53, v4, v36
	;; [unrolled: 1-line block ×3, first 2 shown]
	v_cndmask_b32_e32 v4, 0, v53, vcc
	s_waitcnt lgkmcnt(0)
	v_cmp_eq_u32_e32 vcc, 0, v2
	v_add_u32_e32 v52, v54, v22
	v_add_u32_e32 v51, v4, v81
	v_cndmask_b32_e32 v4, 0, v6, vcc
	v_add_u32_e32 v50, v52, v23
	v_add_u32_e32 v34, v4, v3
	s_and_saveexec_b64 s[0:1], s[24:25]
	s_cbranch_execz .LBB374_154
; %bb.153:
	s_add_u32 s2, s44, 0x400
	v_and_b32_e32 v3, 0xff000000, v34
	v_and_b32_e32 v4, 0xff0000, v34
	s_addc_u32 s3, s45, 0
	v_or_b32_e32 v3, v4, v3
	v_and_b32_e32 v4, 0xff00, v34
	v_and_b32_e32 v6, 0xff, v34
	v_mov_b32_e32 v5, 0
	v_or3_b32 v3, v3, v4, v6
	v_mov_b32_e32 v4, 2
	v_pk_mov_b32 v[6:7], s[2:3], s[2:3] op_sel:[0,1]
	;;#ASMSTART
	global_store_dwordx4 v[6:7], v[2:5] off	
s_waitcnt vmcnt(0)
	;;#ASMEND
.LBB374_154:
	s_or_b64 exec, exec, s[0:1]
	v_mov_b32_e32 v4, 0
.LBB374_155:
	s_and_b64 s[0:1], s[38:39], exec
	s_cselect_b32 s1, 0, s59
	s_cselect_b32 s0, 0, s58
	s_cmp_eq_u64 s[0:1], 0
	v_pk_mov_b32 v[6:7], 0, 0
	s_waitcnt lgkmcnt(0)
	s_barrier
	s_cbranch_scc1 .LBB374_157
; %bb.156:
	v_mov_b32_e32 v3, 0
	global_load_dwordx2 v[6:7], v3, s[0:1]
.LBB374_157:
	s_waitcnt vmcnt(0)
	v_lshlrev_b64 v[36:37], 2, v[6:7]
	v_mov_b32_e32 v3, s43
	v_add_co_u32_e32 v40, vcc, s42, v36
	v_mov_b32_e32 v5, 0
	v_addc_co_u32_e32 v41, vcc, v3, v37, vcc
	v_lshlrev_b64 v[38:39], 2, v[4:5]
	v_add_co_u32_e32 v3, vcc, v40, v38
	v_addc_co_u32_e32 v5, vcc, v41, v39, vcc
	v_cmp_eq_u32_e32 vcc, 0, v82
	v_cndmask_b32_e64 v40, 1, 2, vcc
	v_cmp_eq_u32_e32 vcc, 0, v35
	v_cndmask_b32_e64 v41, 1, 2, vcc
	v_cmp_eq_u32_e32 vcc, 0, v32
	v_and_b32_e32 v40, v41, v40
	v_cndmask_b32_e64 v41, 1, 2, vcc
	v_cmp_eq_u32_e32 vcc, 0, v33
	v_and_b32_e32 v40, v40, v41
	;; [unrolled: 3-line block ×13, first 2 shown]
	v_cndmask_b32_e64 v41, 1, 2, vcc
	s_movk_i32 s30, 0x100
	v_and_b32_e32 v40, v40, v41
	v_cmp_gt_u32_e32 vcc, s30, v2
	v_cmp_ne_u32_e64 s[28:29], 0, v82
	v_cmp_ne_u32_e64 s[26:27], 0, v35
	v_cmp_ne_u32_e64 s[24:25], 0, v32
	v_cmp_ne_u32_e64 s[22:23], 0, v33
	v_cmp_ne_u32_e64 s[20:21], 0, v30
	v_cmp_ne_u32_e64 s[18:19], 0, v31
	v_cmp_ne_u32_e64 s[16:17], 0, v28
	v_cmp_ne_u32_e64 s[14:15], 0, v29
	v_cmp_ne_u32_e64 s[12:13], 0, v26
	v_cmp_ne_u32_e64 s[10:11], 0, v27
	v_cmp_ne_u32_e64 s[8:9], 0, v24
	v_cmp_ne_u32_e64 s[6:7], 0, v25
	v_cmp_ne_u32_e64 s[4:5], 0, v22
	v_cmp_ne_u32_e64 s[2:3], 0, v23
	v_cmp_ne_u32_e64 s[0:1], 0, v80
	s_mov_b64 s[38:39], -1
	v_cmp_gt_i16_e64 s[30:31], 2, v40
	s_cbranch_vccz .LBB374_164
; %bb.158:
	s_and_saveexec_b64 s[38:39], s[30:31]
	s_cbranch_execz .LBB374_163
; %bb.159:
	v_cmp_ne_u16_e32 vcc, 1, v40
	s_mov_b64 s[40:41], 0
	s_and_saveexec_b64 s[30:31], vcc
	s_xor_b64 s[30:31], exec, s[30:31]
	s_cbranch_execnz .LBB374_253
; %bb.160:
	s_andn2_saveexec_b64 s[30:31], s[30:31]
	s_cbranch_execnz .LBB374_269
.LBB374_161:
	s_or_b64 exec, exec, s[30:31]
	s_and_b64 exec, exec, s[40:41]
	s_cbranch_execz .LBB374_163
.LBB374_162:
	v_sub_u32_e32 v42, v50, v4
	v_mov_b32_e32 v43, 0
	v_lshlrev_b64 v[42:43], 2, v[42:43]
	v_add_co_u32_e32 v42, vcc, v3, v42
	v_addc_co_u32_e32 v43, vcc, v5, v43, vcc
	global_store_dword v[42:43], v1, off
.LBB374_163:
	s_or_b64 exec, exec, s[38:39]
	s_mov_b64 s[38:39], 0
.LBB374_164:
	s_and_b64 vcc, exec, s[38:39]
	s_cbranch_vccz .LBB374_186
; %bb.165:
	v_cmp_gt_i16_e32 vcc, 2, v40
	s_and_saveexec_b64 s[30:31], vcc
	s_cbranch_execz .LBB374_170
; %bb.166:
	v_cmp_ne_u16_e32 vcc, 1, v40
	s_mov_b64 s[40:41], 0
	s_and_saveexec_b64 s[38:39], vcc
	s_xor_b64 s[38:39], exec, s[38:39]
	s_cbranch_execnz .LBB374_270
; %bb.167:
	s_andn2_saveexec_b64 s[0:1], s[38:39]
	s_cbranch_execnz .LBB374_286
.LBB374_168:
	s_or_b64 exec, exec, s[0:1]
	s_and_b64 exec, exec, s[40:41]
	s_cbranch_execz .LBB374_170
.LBB374_169:
	v_sub_u32_e32 v8, v50, v4
	v_lshlrev_b32_e32 v8, 2, v8
	ds_write_b32 v8, v1
.LBB374_170:
	s_or_b64 exec, exec, s[30:31]
	v_cmp_lt_u32_e32 vcc, v0, v2
	s_waitcnt lgkmcnt(0)
	s_barrier
	s_and_saveexec_b64 s[2:3], vcc
	s_cbranch_execz .LBB374_185
; %bb.171:
	v_xad_u32 v1, v0, -1, v2
	s_movk_i32 s0, 0x1700
	v_cmp_gt_u32_e64 s[4:5], s0, v1
	s_movk_i32 s0, 0x16ff
	v_cmp_lt_u32_e32 vcc, s0, v1
	v_mov_b32_e32 v8, v0
	s_and_saveexec_b64 s[6:7], vcc
	s_cbranch_execz .LBB374_182
; %bb.172:
	v_sub_u32_e32 v8, v0, v2
	v_or_b32_e32 v8, 0xff, v8
	v_cmp_ge_u32_e32 vcc, v8, v0
	s_mov_b64 s[0:1], -1
	v_mov_b32_e32 v8, v0
	s_and_saveexec_b64 s[8:9], vcc
	s_cbranch_execz .LBB374_181
; %bb.173:
	v_lshrrev_b32_e32 v12, 8, v1
	v_add_u32_e32 v8, -1, v12
	v_or_b32_e32 v1, 0x100, v0
	v_lshrrev_b32_e32 v9, 1, v8
	v_add_u32_e32 v13, 1, v9
	v_cmp_lt_u32_e32 vcc, 13, v8
	v_mov_b32_e32 v16, 0
	v_pk_mov_b32 v[8:9], v[0:1], v[0:1] op_sel:[0,1]
	s_and_saveexec_b64 s[10:11], vcc
	s_cbranch_execz .LBB374_177
; %bb.174:
	v_and_b32_e32 v14, -8, v13
	v_lshlrev_b32_e32 v15, 2, v0
	s_mov_b32 s14, 0
	s_mov_b64 s[12:13], 0
	v_mov_b32_e32 v11, 0
	v_pk_mov_b32 v[8:9], v[0:1], v[0:1] op_sel:[0,1]
.LBB374_175:                            ; =>This Inner Loop Header: Depth=1
	v_mov_b32_e32 v10, v8
	v_add_u32_e32 v14, -8, v14
	v_lshlrev_b64 v[98:99], 2, v[10:11]
	v_mov_b32_e32 v10, v9
	ds_read2st64_b32 v[18:19], v15 offset1:4
	s_add_i32 s14, s14, 16
	v_cmp_eq_u32_e32 vcc, 0, v14
	v_lshlrev_b64 v[102:103], 2, v[10:11]
	v_add_u32_e32 v10, 0x200, v8
	s_or_b64 s[12:13], vcc, s[12:13]
	v_add_co_u32_e32 v102, vcc, v3, v102
	v_add_u32_e32 v16, 0x200, v9
	v_mov_b32_e32 v17, v11
	ds_read2st64_b32 v[20:21], v15 offset0:8 offset1:12
	ds_read2st64_b32 v[42:43], v15 offset0:16 offset1:20
	v_add_co_u32_e64 v98, s[0:1], v3, v98
	v_addc_co_u32_e32 v103, vcc, v5, v103, vcc
	v_lshlrev_b64 v[104:105], 2, v[10:11]
	v_lshlrev_b64 v[100:101], 2, v[16:17]
	v_addc_co_u32_e64 v99, s[0:1], v5, v99, s[0:1]
	v_add_u32_e32 v10, 0x400, v8
	v_add_co_u32_e32 v104, vcc, v3, v104
	v_add_u32_e32 v40, 0x400, v9
	v_mov_b32_e32 v41, v11
	ds_read2st64_b32 v[46:47], v15 offset0:24 offset1:28
	v_add_co_u32_e64 v100, s[0:1], v3, v100
	v_addc_co_u32_e32 v105, vcc, v5, v105, vcc
	v_lshlrev_b64 v[106:107], 2, v[10:11]
	ds_read2st64_b32 v[84:85], v15 offset0:32 offset1:36
	ds_read2st64_b32 v[88:89], v15 offset0:40 offset1:44
	;; [unrolled: 1-line block ×4, first 2 shown]
	v_lshlrev_b64 v[40:41], 2, v[40:41]
	v_addc_co_u32_e64 v101, s[0:1], v5, v101, s[0:1]
	v_add_u32_e32 v10, 0x600, v8
	s_waitcnt lgkmcnt(7)
	global_store_dword v[98:99], v18, off
	global_store_dword v[102:103], v19, off
	s_waitcnt lgkmcnt(6)
	global_store_dword v[104:105], v20, off
	global_store_dword v[100:101], v21, off
	v_add_co_u32_e32 v18, vcc, v3, v106
	v_add_u32_e32 v44, 0x600, v9
	v_mov_b32_e32 v45, v11
	v_add_co_u32_e64 v40, s[0:1], v3, v40
	v_addc_co_u32_e32 v19, vcc, v5, v107, vcc
	v_lshlrev_b64 v[20:21], 2, v[10:11]
	v_lshlrev_b64 v[44:45], 2, v[44:45]
	v_addc_co_u32_e64 v41, s[0:1], v5, v41, s[0:1]
	v_add_u32_e32 v10, 0x800, v8
	s_waitcnt lgkmcnt(5)
	global_store_dword v[18:19], v42, off
	global_store_dword v[40:41], v43, off
	v_add_co_u32_e32 v18, vcc, v3, v20
	v_add_u32_e32 v48, 0x800, v9
	v_mov_b32_e32 v49, v11
	v_add_co_u32_e64 v44, s[0:1], v3, v44
	v_addc_co_u32_e32 v19, vcc, v5, v21, vcc
	v_lshlrev_b64 v[20:21], 2, v[10:11]
	v_lshlrev_b64 v[48:49], 2, v[48:49]
	v_addc_co_u32_e64 v45, s[0:1], v5, v45, s[0:1]
	v_add_u32_e32 v10, 0xa00, v8
	;; [unrolled: 12-line block ×4, first 2 shown]
	s_waitcnt lgkmcnt(2)
	global_store_dword v[18:19], v88, off
	global_store_dword v[86:87], v89, off
	v_add_co_u32_e32 v18, vcc, v3, v20
	v_add_u32_e32 v94, 0xe00, v9
	v_mov_b32_e32 v95, v11
	v_add_co_u32_e64 v90, s[0:1], v3, v90
	v_addc_co_u32_e32 v19, vcc, v5, v21, vcc
	v_lshlrev_b64 v[20:21], 2, v[10:11]
	v_lshlrev_b64 v[94:95], 2, v[94:95]
	v_addc_co_u32_e64 v91, s[0:1], v5, v91, s[0:1]
	s_waitcnt lgkmcnt(1)
	global_store_dword v[18:19], v92, off
	global_store_dword v[90:91], v93, off
	v_add_co_u32_e32 v18, vcc, v3, v20
	v_add_u32_e32 v15, 0x4000, v15
	v_add_u32_e32 v9, 0x1000, v9
	v_mov_b32_e32 v16, s14
	v_add_co_u32_e64 v94, s[0:1], v3, v94
	v_add_u32_e32 v8, 0x1000, v8
	v_addc_co_u32_e32 v19, vcc, v5, v21, vcc
	v_addc_co_u32_e64 v95, s[0:1], v5, v95, s[0:1]
	s_waitcnt lgkmcnt(0)
	global_store_dword v[18:19], v96, off
	global_store_dword v[94:95], v97, off
	s_andn2_b64 exec, exec, s[12:13]
	s_cbranch_execnz .LBB374_175
; %bb.176:
	s_or_b64 exec, exec, s[12:13]
.LBB374_177:
	s_or_b64 exec, exec, s[10:11]
	v_and_b32_e32 v1, 7, v13
	v_cmp_ne_u32_e32 vcc, 0, v1
	s_and_saveexec_b64 s[10:11], vcc
	s_cbranch_execz .LBB374_180
; %bb.178:
	v_lshlrev_b32_e32 v10, 2, v0
	v_lshl_or_b32 v13, v16, 10, v10
	s_mov_b64 s[12:13], 0
	v_mov_b32_e32 v11, 0
.LBB374_179:                            ; =>This Inner Loop Header: Depth=1
	ds_read2st64_b32 v[14:15], v13 offset1:4
	v_mov_b32_e32 v10, v8
	v_add_u32_e32 v1, -1, v1
	v_lshlrev_b64 v[16:17], 2, v[10:11]
	v_mov_b32_e32 v10, v9
	v_cmp_eq_u32_e32 vcc, 0, v1
	v_add_co_u32_e64 v16, s[0:1], v3, v16
	v_lshlrev_b64 v[18:19], 2, v[10:11]
	v_add_u32_e32 v8, 0x200, v8
	v_add_u32_e32 v13, 0x800, v13
	;; [unrolled: 1-line block ×3, first 2 shown]
	v_addc_co_u32_e64 v17, s[0:1], v5, v17, s[0:1]
	s_or_b64 s[12:13], vcc, s[12:13]
	v_add_co_u32_e32 v18, vcc, v3, v18
	v_addc_co_u32_e32 v19, vcc, v5, v19, vcc
	s_waitcnt lgkmcnt(0)
	global_store_dword v[16:17], v14, off
	global_store_dword v[18:19], v15, off
	s_andn2_b64 exec, exec, s[12:13]
	s_cbranch_execnz .LBB374_179
.LBB374_180:
	s_or_b64 exec, exec, s[10:11]
	v_add_u32_e32 v1, 1, v12
	v_and_b32_e32 v9, 0x1fffffe, v1
	v_cmp_ne_u32_e32 vcc, v1, v9
	v_lshl_or_b32 v8, v9, 8, v0
	s_orn2_b64 s[0:1], vcc, exec
.LBB374_181:
	s_or_b64 exec, exec, s[8:9]
	s_andn2_b64 s[4:5], s[4:5], exec
	s_and_b64 s[0:1], s[0:1], exec
	s_or_b64 s[4:5], s[4:5], s[0:1]
.LBB374_182:
	s_or_b64 exec, exec, s[6:7]
	s_and_b64 exec, exec, s[4:5]
	s_cbranch_execz .LBB374_185
; %bb.183:
	v_lshlrev_b32_e32 v1, 2, v8
	s_mov_b64 s[0:1], 0
	v_mov_b32_e32 v9, 0
.LBB374_184:                            ; =>This Inner Loop Header: Depth=1
	v_lshlrev_b64 v[10:11], 2, v[8:9]
	ds_read_b32 v12, v1
	v_add_co_u32_e32 v10, vcc, v3, v10
	v_add_u32_e32 v8, 0x100, v8
	v_addc_co_u32_e32 v11, vcc, v5, v11, vcc
	v_cmp_ge_u32_e32 vcc, v8, v2
	v_add_u32_e32 v1, 0x400, v1
	s_or_b64 s[0:1], vcc, s[0:1]
	s_waitcnt lgkmcnt(0)
	global_store_dword v[10:11], v12, off
	s_andn2_b64 exec, exec, s[0:1]
	s_cbranch_execnz .LBB374_184
.LBB374_185:
	s_or_b64 exec, exec, s[2:3]
.LBB374_186:
	s_cmpk_lg_i32 s33, 0xf00
	s_cselect_b64 s[0:1], -1, 0
	s_and_b64 s[0:1], s[34:35], s[0:1]
	v_cmp_eq_u32_e32 vcc, 0, v0
	v_cndmask_b32_e64 v8, 0, 1, s[0:1]
	s_and_b64 s[0:1], vcc, s[36:37]
	v_cndmask_b32_e64 v5, v82, 0, s[0:1]
	s_mul_hi_u32 s0, s33, 0x88888889
	s_lshr_b32 s0, s0, 3
	v_mad_i32_i24 v9, v0, -15, s33
	v_cmp_eq_u32_e32 vcc, s0, v0
	v_cmp_ne_u32_e64 s[0:1], 0, v9
	v_cndmask_b32_e64 v10, 1, v5, s[0:1]
	v_cmp_ne_u32_e64 s[0:1], 1, v9
	v_cndmask_b32_e64 v11, 1, v35, s[0:1]
	;; [unrolled: 2-line block ×15, first 2 shown]
	s_and_b64 vcc, s[34:35], vcc
	v_cndmask_b32_e32 v42, v80, v9, vcc
	v_cndmask_b32_e32 v23, v23, v41, vcc
	;; [unrolled: 1-line block ×15, first 2 shown]
	v_mov_b32_e32 v5, s53
	v_add_co_u32_e32 v9, vcc, s52, v36
	v_addc_co_u32_e32 v12, vcc, v5, v37, vcc
	v_cndmask_b32_e64 v1, 0, 1, s[36:37]
	v_add_co_u32_e32 v5, vcc, v9, v38
	v_addc_co_u32_e32 v12, vcc, v12, v39, vcc
	v_lshlrev_b32_e32 v9, 2, v1
	v_add_co_u32_e32 v9, vcc, v9, v5
	v_addc_co_u32_e32 v14, vcc, 0, v12, vcc
	v_add_co_u32_e32 v13, vcc, -4, v9
	v_addc_co_u32_e32 v14, vcc, -1, v14, vcc
	v_cmp_eq_u32_e32 vcc, 0, v10
	v_cmp_ne_u32_e64 s[28:29], 0, v10
	v_cndmask_b32_e64 v10, 1, 2, vcc
	v_cmp_eq_u32_e32 vcc, 0, v11
	v_cmp_ne_u32_e64 s[26:27], 0, v11
	v_cndmask_b32_e64 v11, 1, 2, vcc
	v_cmp_eq_u32_e32 vcc, 0, v26
	v_and_b32_e32 v10, v11, v10
	v_cndmask_b32_e64 v11, 1, 2, vcc
	v_cmp_eq_u32_e32 vcc, 0, v25
	v_and_b32_e32 v10, v10, v11
	;; [unrolled: 3-line block ×11, first 2 shown]
	v_cndmask_b32_e64 v11, 1, 2, vcc
	v_cmp_eq_u32_e32 vcc, 0, v23
	v_sub_u32_e32 v3, v2, v1
	v_and_b32_e32 v10, v10, v11
	v_cndmask_b32_e64 v11, 1, 2, vcc
	v_cmp_eq_u32_e32 vcc, 0, v42
	v_add_u32_e32 v3, v3, v8
	v_and_b32_e32 v10, v10, v11
	v_cndmask_b32_e64 v11, 1, 2, vcc
	s_movk_i32 s30, 0x100
	v_and_b32_e32 v10, v10, v11
	v_cmp_gt_u32_e32 vcc, s30, v3
	v_add_u32_e32 v9, v4, v1
	v_cmp_ne_u32_e64 s[24:25], 0, v26
	v_cmp_ne_u32_e64 s[22:23], 0, v25
	v_cmp_ne_u32_e64 s[20:21], 0, v24
	v_cmp_ne_u32_e64 s[18:19], 0, v15
	v_cmp_ne_u32_e64 s[16:17], 0, v16
	v_cmp_ne_u32_e64 s[14:15], 0, v17
	v_cmp_ne_u32_e64 s[12:13], 0, v18
	v_cmp_ne_u32_e64 s[10:11], 0, v19
	v_cmp_ne_u32_e64 s[8:9], 0, v20
	v_cmp_ne_u32_e64 s[6:7], 0, v21
	v_cmp_ne_u32_e64 s[4:5], 0, v22
	v_cmp_ne_u32_e64 s[2:3], 0, v23
	v_cmp_ne_u32_e64 s[0:1], 0, v42
	s_mov_b64 s[36:37], -1
	v_cmp_gt_i16_e64 s[30:31], 2, v10
	s_barrier
	s_cbranch_vccz .LBB374_193
; %bb.187:
	s_and_saveexec_b64 s[36:37], s[30:31]
	s_cbranch_execz .LBB374_192
; %bb.188:
	v_cmp_ne_u16_e32 vcc, 1, v10
	s_mov_b64 s[38:39], 0
	s_and_saveexec_b64 s[30:31], vcc
	s_xor_b64 s[30:31], exec, s[30:31]
	s_cbranch_execnz .LBB374_287
; %bb.189:
	s_andn2_saveexec_b64 s[30:31], s[30:31]
	s_cbranch_execnz .LBB374_303
.LBB374_190:
	s_or_b64 exec, exec, s[30:31]
	s_and_b64 exec, exec, s[38:39]
	s_cbranch_execz .LBB374_192
.LBB374_191:
	v_sub_u32_e32 v16, v50, v9
	v_mov_b32_e32 v17, 0
	v_lshlrev_b64 v[16:17], 2, v[16:17]
	v_add_co_u32_e32 v16, vcc, v13, v16
	v_addc_co_u32_e32 v17, vcc, v14, v17, vcc
	global_store_dword v[16:17], v51, off
.LBB374_192:
	s_or_b64 exec, exec, s[36:37]
	s_mov_b64 s[36:37], 0
.LBB374_193:
	s_and_b64 vcc, exec, s[36:37]
	s_cbranch_vccz .LBB374_215
; %bb.194:
	v_cmp_gt_i16_e32 vcc, 2, v10
	s_and_saveexec_b64 s[30:31], vcc
	s_cbranch_execz .LBB374_199
; %bb.195:
	v_cmp_ne_u16_e32 vcc, 1, v10
	s_mov_b64 s[38:39], 0
	s_and_saveexec_b64 s[36:37], vcc
	s_xor_b64 s[36:37], exec, s[36:37]
	s_cbranch_execnz .LBB374_304
; %bb.196:
	s_andn2_saveexec_b64 s[0:1], s[36:37]
	s_cbranch_execnz .LBB374_320
.LBB374_197:
	s_or_b64 exec, exec, s[0:1]
	s_and_b64 exec, exec, s[38:39]
	s_cbranch_execz .LBB374_199
.LBB374_198:
	v_sub_u32_e32 v9, v50, v9
	v_lshlrev_b32_e32 v9, 2, v9
	ds_write_b32 v9, v51
.LBB374_199:
	s_or_b64 exec, exec, s[30:31]
	v_cmp_lt_u32_e32 vcc, v0, v3
	s_waitcnt lgkmcnt(0)
	s_barrier
	s_and_saveexec_b64 s[2:3], vcc
	s_cbranch_execz .LBB374_214
; %bb.200:
	v_add_u32_e32 v10, v2, v8
	v_xad_u32 v8, v0, -1, v10
	v_sub_u32_e32 v9, v8, v1
	s_movk_i32 s0, 0x1900
	v_cmp_gt_u32_e64 s[4:5], s0, v9
	s_movk_i32 s0, 0x18ff
	v_cmp_lt_u32_e32 vcc, s0, v9
	v_mov_b32_e32 v8, v0
	s_and_saveexec_b64 s[6:7], vcc
	s_cbranch_execz .LBB374_211
; %bb.201:
	v_sub_u32_e32 v8, v0, v10
	v_add_u32_e32 v1, v8, v1
	v_or_b32_e32 v1, 0xff, v1
	v_cmp_ge_u32_e32 vcc, v1, v0
	s_mov_b64 s[0:1], -1
	v_mov_b32_e32 v8, v0
	s_and_saveexec_b64 s[8:9], vcc
	s_cbranch_execz .LBB374_210
; %bb.202:
	v_lshrrev_b32_e32 v15, 8, v9
	v_add_u32_e32 v8, -1, v15
	v_or_b32_e32 v1, 0x100, v0
	v_lshrrev_b32_e32 v9, 1, v8
	v_add_u32_e32 v17, 1, v9
	v_cmp_lt_u32_e32 vcc, 13, v8
	v_mov_b32_e32 v20, 0
	v_lshlrev_b32_e32 v16, 2, v0
	v_pk_mov_b32 v[8:9], v[0:1], v[0:1] op_sel:[0,1]
	s_and_saveexec_b64 s[10:11], vcc
	s_cbranch_execz .LBB374_206
; %bb.203:
	v_and_b32_e32 v18, -8, v17
	s_mov_b32 s14, 0
	s_mov_b64 s[12:13], 0
	v_mov_b32_e32 v11, 0
	v_mov_b32_e32 v19, v16
	v_pk_mov_b32 v[8:9], v[0:1], v[0:1] op_sel:[0,1]
.LBB374_204:                            ; =>This Inner Loop Header: Depth=1
	v_mov_b32_e32 v10, v8
	v_add_u32_e32 v18, -8, v18
	v_lshlrev_b64 v[52:53], 2, v[10:11]
	v_mov_b32_e32 v10, v9
	ds_read2st64_b32 v[22:23], v19 offset1:4
	s_add_i32 s14, s14, 16
	v_cmp_eq_u32_e32 vcc, 0, v18
	v_lshlrev_b64 v[56:57], 2, v[10:11]
	v_add_u32_e32 v10, 0x200, v8
	s_or_b64 s[12:13], vcc, s[12:13]
	v_add_co_u32_e32 v56, vcc, v13, v56
	v_add_u32_e32 v20, 0x200, v9
	v_mov_b32_e32 v21, v11
	ds_read2st64_b32 v[24:25], v19 offset0:8 offset1:12
	ds_read2st64_b32 v[28:29], v19 offset0:16 offset1:20
	v_add_co_u32_e64 v52, s[0:1], v13, v52
	v_addc_co_u32_e32 v57, vcc, v14, v57, vcc
	v_lshlrev_b64 v[58:59], 2, v[10:11]
	v_lshlrev_b64 v[54:55], 2, v[20:21]
	v_addc_co_u32_e64 v53, s[0:1], v14, v53, s[0:1]
	v_add_u32_e32 v10, 0x400, v8
	v_add_co_u32_e32 v58, vcc, v13, v58
	v_add_u32_e32 v26, 0x400, v9
	v_mov_b32_e32 v27, v11
	ds_read2st64_b32 v[32:33], v19 offset0:24 offset1:28
	v_add_co_u32_e64 v54, s[0:1], v13, v54
	v_addc_co_u32_e32 v59, vcc, v14, v59, vcc
	v_lshlrev_b64 v[60:61], 2, v[10:11]
	ds_read2st64_b32 v[38:39], v19 offset0:32 offset1:36
	ds_read2st64_b32 v[42:43], v19 offset0:40 offset1:44
	;; [unrolled: 1-line block ×4, first 2 shown]
	v_lshlrev_b64 v[26:27], 2, v[26:27]
	v_addc_co_u32_e64 v55, s[0:1], v14, v55, s[0:1]
	v_add_u32_e32 v10, 0x600, v8
	s_waitcnt lgkmcnt(7)
	global_store_dword v[52:53], v22, off
	global_store_dword v[56:57], v23, off
	s_waitcnt lgkmcnt(6)
	global_store_dword v[58:59], v24, off
	global_store_dword v[54:55], v25, off
	v_add_co_u32_e32 v22, vcc, v13, v60
	v_add_u32_e32 v30, 0x600, v9
	v_mov_b32_e32 v31, v11
	v_add_co_u32_e64 v26, s[0:1], v13, v26
	v_addc_co_u32_e32 v23, vcc, v14, v61, vcc
	v_lshlrev_b64 v[24:25], 2, v[10:11]
	v_lshlrev_b64 v[30:31], 2, v[30:31]
	v_addc_co_u32_e64 v27, s[0:1], v14, v27, s[0:1]
	v_add_u32_e32 v10, 0x800, v8
	s_waitcnt lgkmcnt(5)
	global_store_dword v[22:23], v28, off
	global_store_dword v[26:27], v29, off
	v_add_co_u32_e32 v22, vcc, v13, v24
	v_add_u32_e32 v36, 0x800, v9
	v_mov_b32_e32 v37, v11
	v_add_co_u32_e64 v30, s[0:1], v13, v30
	v_addc_co_u32_e32 v23, vcc, v14, v25, vcc
	v_lshlrev_b64 v[24:25], 2, v[10:11]
	v_lshlrev_b64 v[36:37], 2, v[36:37]
	v_addc_co_u32_e64 v31, s[0:1], v14, v31, s[0:1]
	v_add_u32_e32 v10, 0xa00, v8
	;; [unrolled: 12-line block ×4, first 2 shown]
	s_waitcnt lgkmcnt(2)
	global_store_dword v[22:23], v42, off
	global_store_dword v[40:41], v43, off
	v_add_co_u32_e32 v22, vcc, v13, v24
	v_add_u32_e32 v48, 0xe00, v9
	v_mov_b32_e32 v49, v11
	v_add_co_u32_e64 v44, s[0:1], v13, v44
	v_addc_co_u32_e32 v23, vcc, v14, v25, vcc
	v_lshlrev_b64 v[24:25], 2, v[10:11]
	v_lshlrev_b64 v[48:49], 2, v[48:49]
	v_addc_co_u32_e64 v45, s[0:1], v14, v45, s[0:1]
	s_waitcnt lgkmcnt(1)
	global_store_dword v[22:23], v46, off
	global_store_dword v[44:45], v47, off
	v_add_co_u32_e32 v22, vcc, v13, v24
	v_add_u32_e32 v19, 0x4000, v19
	v_add_u32_e32 v9, 0x1000, v9
	v_mov_b32_e32 v20, s14
	v_add_co_u32_e64 v48, s[0:1], v13, v48
	v_add_u32_e32 v8, 0x1000, v8
	v_addc_co_u32_e32 v23, vcc, v14, v25, vcc
	v_addc_co_u32_e64 v49, s[0:1], v14, v49, s[0:1]
	s_waitcnt lgkmcnt(0)
	global_store_dword v[22:23], v50, off
	global_store_dword v[48:49], v51, off
	s_andn2_b64 exec, exec, s[12:13]
	s_cbranch_execnz .LBB374_204
; %bb.205:
	s_or_b64 exec, exec, s[12:13]
.LBB374_206:
	s_or_b64 exec, exec, s[10:11]
	v_and_b32_e32 v1, 7, v17
	v_cmp_ne_u32_e32 vcc, 0, v1
	s_and_saveexec_b64 s[10:11], vcc
	s_cbranch_execz .LBB374_209
; %bb.207:
	v_lshl_or_b32 v16, v20, 10, v16
	s_mov_b64 s[12:13], 0
	v_mov_b32_e32 v11, 0
.LBB374_208:                            ; =>This Inner Loop Header: Depth=1
	ds_read2st64_b32 v[18:19], v16 offset1:4
	v_mov_b32_e32 v10, v8
	v_add_u32_e32 v1, -1, v1
	v_lshlrev_b64 v[20:21], 2, v[10:11]
	v_mov_b32_e32 v10, v9
	v_cmp_eq_u32_e32 vcc, 0, v1
	v_add_co_u32_e64 v20, s[0:1], v13, v20
	v_lshlrev_b64 v[22:23], 2, v[10:11]
	v_add_u32_e32 v8, 0x200, v8
	v_add_u32_e32 v16, 0x800, v16
	;; [unrolled: 1-line block ×3, first 2 shown]
	v_addc_co_u32_e64 v21, s[0:1], v14, v21, s[0:1]
	s_or_b64 s[12:13], vcc, s[12:13]
	v_add_co_u32_e32 v22, vcc, v13, v22
	v_addc_co_u32_e32 v23, vcc, v14, v23, vcc
	s_waitcnt lgkmcnt(0)
	global_store_dword v[20:21], v18, off
	global_store_dword v[22:23], v19, off
	s_andn2_b64 exec, exec, s[12:13]
	s_cbranch_execnz .LBB374_208
.LBB374_209:
	s_or_b64 exec, exec, s[10:11]
	v_add_u32_e32 v1, 1, v15
	v_and_b32_e32 v9, 0x1fffffe, v1
	v_cmp_ne_u32_e32 vcc, v1, v9
	v_lshl_or_b32 v8, v9, 8, v0
	s_orn2_b64 s[0:1], vcc, exec
.LBB374_210:
	s_or_b64 exec, exec, s[8:9]
	s_andn2_b64 s[4:5], s[4:5], exec
	s_and_b64 s[0:1], s[0:1], exec
	s_or_b64 s[4:5], s[4:5], s[0:1]
.LBB374_211:
	s_or_b64 exec, exec, s[6:7]
	s_and_b64 exec, exec, s[4:5]
	s_cbranch_execz .LBB374_214
; %bb.212:
	v_lshlrev_b32_e32 v1, 2, v8
	s_mov_b64 s[0:1], 0
	v_mov_b32_e32 v9, 0
.LBB374_213:                            ; =>This Inner Loop Header: Depth=1
	v_lshlrev_b64 v[10:11], 2, v[8:9]
	ds_read_b32 v15, v1
	v_add_co_u32_e32 v10, vcc, v13, v10
	v_add_u32_e32 v8, 0x100, v8
	v_addc_co_u32_e32 v11, vcc, v14, v11, vcc
	v_cmp_ge_u32_e32 vcc, v8, v3
	v_add_u32_e32 v1, 0x400, v1
	s_or_b64 s[0:1], vcc, s[0:1]
	s_waitcnt lgkmcnt(0)
	global_store_dword v[10:11], v15, off
	s_andn2_b64 exec, exec, s[0:1]
	s_cbranch_execnz .LBB374_213
.LBB374_214:
	s_or_b64 exec, exec, s[2:3]
.LBB374_215:
	s_movk_i32 s0, 0xff
	v_cmp_eq_u32_e32 vcc, s0, v0
	s_and_b64 s[0:1], vcc, s[34:35]
	s_and_saveexec_b64 s[2:3], s[0:1]
	s_cbranch_execz .LBB374_218
; %bb.216:
	v_add_co_u32_e32 v0, vcc, v2, v4
	v_addc_co_u32_e64 v1, s[0:1], 0, 0, vcc
	v_add_co_u32_e32 v0, vcc, v0, v6
	v_mov_b32_e32 v3, 0
	v_addc_co_u32_e32 v1, vcc, v1, v7, vcc
	s_cmpk_lg_i32 s33, 0xf00
	global_store_dwordx2 v3, v[0:1], s[54:55]
	s_cbranch_scc1 .LBB374_218
; %bb.217:
	v_lshlrev_b64 v[0:1], 2, v[2:3]
	v_add_co_u32_e32 v0, vcc, v5, v0
	v_addc_co_u32_e32 v1, vcc, v12, v1, vcc
	global_store_dword v[0:1], v34, off offset:-4
.LBB374_218:
	s_endpgm
.LBB374_219:
                                        ; implicit-def: $sgpr4_sgpr5
                                        ; implicit-def: $vgpr80
                                        ; implicit-def: $vgpr23
                                        ; implicit-def: $vgpr22
                                        ; implicit-def: $vgpr25
                                        ; implicit-def: $vgpr24
                                        ; implicit-def: $vgpr27
                                        ; implicit-def: $vgpr26
                                        ; implicit-def: $vgpr29
                                        ; implicit-def: $vgpr28
                                        ; implicit-def: $vgpr31
                                        ; implicit-def: $vgpr30
                                        ; implicit-def: $vgpr33
                                        ; implicit-def: $vgpr32
                                        ; implicit-def: $vgpr35
	s_cbranch_execz .LBB374_109
.LBB374_220:
	v_mad_u32_u24 v22, v0, 15, 14
	v_mov_b32_e32 v23, 0
	s_waitcnt vmcnt(0) lgkmcnt(0)
	v_lshlrev_b32_e32 v4, 2, v0
	v_mul_u32_u24_e32 v2, 15, v0
	v_cmp_gt_u64_e32 vcc, s[2:3], v[22:23]
	v_mov_b32_e32 v80, 0
	ds_write_b32 v4, v1
	s_and_saveexec_b64 s[4:5], vcc
; %bb.221:
	s_mov_b32 s7, 0x66666667
	v_mul_hi_i32 v3, v9, s7
	v_lshrrev_b32_e32 v5, 31, v3
	v_ashrrev_i32_e32 v3, 2, v3
	v_add_u32_e32 v3, v3, v5
	v_mul_hi_i32 v5, v1, s7
	v_lshrrev_b32_e32 v6, 31, v5
	v_ashrrev_i32_e32 v5, 2, v5
	v_add_u32_e32 v5, v5, v6
	v_cmp_ne_u32_e32 vcc, v3, v5
	v_cndmask_b32_e64 v80, 0, 1, vcc
; %bb.222:
	s_or_b64 exec, exec, s[4:5]
	v_add_u32_e32 v22, 13, v2
	v_cmp_gt_u64_e32 vcc, s[2:3], v[22:23]
	s_and_saveexec_b64 s[4:5], vcc
; %bb.223:
	s_mov_b32 s7, 0x66666667
	v_mul_hi_i32 v3, v8, s7
	v_lshrrev_b32_e32 v5, 31, v3
	v_ashrrev_i32_e32 v3, 2, v3
	v_add_u32_e32 v3, v3, v5
	v_mul_hi_i32 v5, v9, s7
	v_lshrrev_b32_e32 v6, 31, v5
	v_ashrrev_i32_e32 v5, 2, v5
	v_add_u32_e32 v5, v5, v6
	v_cmp_ne_u32_e32 vcc, v3, v5
	v_cndmask_b32_e64 v23, 0, 1, vcc
; %bb.224:
	s_or_b64 exec, exec, s[4:5]
	v_add_u32_e32 v24, 12, v2
	v_mov_b32_e32 v25, 0
	v_cmp_gt_u64_e32 vcc, s[2:3], v[24:25]
	v_mov_b32_e32 v22, 0
	s_and_saveexec_b64 s[4:5], vcc
; %bb.225:
	s_mov_b32 s7, 0x66666667
	v_mul_hi_i32 v3, v11, s7
	v_lshrrev_b32_e32 v5, 31, v3
	v_ashrrev_i32_e32 v3, 2, v3
	v_add_u32_e32 v3, v3, v5
	v_mul_hi_i32 v5, v8, s7
	v_lshrrev_b32_e32 v6, 31, v5
	v_ashrrev_i32_e32 v5, 2, v5
	v_add_u32_e32 v5, v5, v6
	v_cmp_ne_u32_e32 vcc, v3, v5
	v_cndmask_b32_e64 v22, 0, 1, vcc
; %bb.226:
	s_or_b64 exec, exec, s[4:5]
	v_add_u32_e32 v24, 11, v2
	v_cmp_gt_u64_e32 vcc, s[2:3], v[24:25]
	s_and_saveexec_b64 s[4:5], vcc
; %bb.227:
	s_mov_b32 s7, 0x66666667
	v_mul_hi_i32 v3, v10, s7
	v_lshrrev_b32_e32 v5, 31, v3
	v_ashrrev_i32_e32 v3, 2, v3
	v_add_u32_e32 v3, v3, v5
	v_mul_hi_i32 v5, v11, s7
	v_lshrrev_b32_e32 v6, 31, v5
	v_ashrrev_i32_e32 v5, 2, v5
	v_add_u32_e32 v5, v5, v6
	v_cmp_ne_u32_e32 vcc, v3, v5
	v_cndmask_b32_e64 v25, 0, 1, vcc
; %bb.228:
	s_or_b64 exec, exec, s[4:5]
	v_add_u32_e32 v26, 10, v2
	v_mov_b32_e32 v27, 0
	v_cmp_gt_u64_e32 vcc, s[2:3], v[26:27]
	v_mov_b32_e32 v24, 0
	;; [unrolled: 36-line block ×6, first 2 shown]
	s_and_saveexec_b64 s[4:5], vcc
; %bb.245:
	s_mov_b32 s7, 0x66666667
	v_mul_hi_i32 v3, v21, s7
	v_lshrrev_b32_e32 v5, 31, v3
	v_ashrrev_i32_e32 v3, 2, v3
	v_add_u32_e32 v3, v3, v5
	v_mul_hi_i32 v5, v18, s7
	v_lshrrev_b32_e32 v6, 31, v5
	v_ashrrev_i32_e32 v5, 2, v5
	v_add_u32_e32 v5, v5, v6
	v_cmp_ne_u32_e32 vcc, v3, v5
	v_cndmask_b32_e64 v32, 0, 1, vcc
; %bb.246:
	s_or_b64 exec, exec, s[4:5]
	v_add_u32_e32 v34, 1, v2
	v_cmp_gt_u64_e32 vcc, s[2:3], v[34:35]
	s_and_saveexec_b64 s[4:5], vcc
; %bb.247:
	s_mov_b32 s7, 0x66666667
	v_mul_hi_i32 v3, v20, s7
	v_lshrrev_b32_e32 v5, 31, v3
	v_ashrrev_i32_e32 v3, 2, v3
	v_add_u32_e32 v3, v3, v5
	v_mul_hi_i32 v5, v21, s7
	v_lshrrev_b32_e32 v6, 31, v5
	v_ashrrev_i32_e32 v5, 2, v5
	v_add_u32_e32 v5, v5, v6
	v_cmp_ne_u32_e32 vcc, v3, v5
	v_cndmask_b32_e64 v35, 0, 1, vcc
; %bb.248:
	s_or_b64 exec, exec, s[4:5]
	v_cmp_ne_u32_e32 vcc, 0, v0
	s_waitcnt lgkmcnt(0)
	s_barrier
	s_waitcnt lgkmcnt(0)
                                        ; implicit-def: $sgpr4_sgpr5
	s_and_saveexec_b64 s[8:9], vcc
	s_cbranch_execz .LBB374_252
; %bb.249:
	v_mov_b32_e32 v3, 0
	v_cmp_gt_u64_e32 vcc, s[2:3], v[2:3]
	s_mov_b64 s[4:5], 0
	s_and_saveexec_b64 s[2:3], vcc
	s_cbranch_execz .LBB374_251
; %bb.250:
	v_add_u32_e32 v2, -4, v4
	ds_read_b32 v2, v2
	s_mov_b32 s4, 0x66666667
	v_mul_hi_i32 v3, v20, s4
	v_lshrrev_b32_e32 v4, 31, v3
	v_ashrrev_i32_e32 v3, 2, v3
	s_waitcnt lgkmcnt(0)
	v_mul_hi_i32 v2, v2, s4
	v_lshrrev_b32_e32 v5, 31, v2
	v_ashrrev_i32_e32 v2, 2, v2
	v_add_u32_e32 v2, v2, v5
	v_add_u32_e32 v3, v3, v4
	v_cmp_ne_u32_e32 vcc, v2, v3
	s_and_b64 s[4:5], vcc, exec
.LBB374_251:
	s_or_b64 exec, exec, s[2:3]
	s_and_b64 s[4:5], s[4:5], exec
	s_or_b64 s[0:1], s[0:1], exec
.LBB374_252:
	s_or_b64 exec, exec, s[8:9]
	s_mov_b32 s10, 1
	v_mov_b32_e32 v82, s10
	s_and_saveexec_b64 s[2:3], s[0:1]
	s_cbranch_execnz .LBB374_111
	s_branch .LBB374_112
.LBB374_253:
	s_and_saveexec_b64 s[40:41], s[28:29]
	s_cbranch_execnz .LBB374_321
; %bb.254:
	s_or_b64 exec, exec, s[40:41]
	s_and_saveexec_b64 s[40:41], s[26:27]
	s_cbranch_execnz .LBB374_322
.LBB374_255:
	s_or_b64 exec, exec, s[40:41]
	s_and_saveexec_b64 s[40:41], s[24:25]
	s_cbranch_execnz .LBB374_323
.LBB374_256:
	s_or_b64 exec, exec, s[40:41]
	s_and_saveexec_b64 s[40:41], s[22:23]
	s_cbranch_execnz .LBB374_324
.LBB374_257:
	s_or_b64 exec, exec, s[40:41]
	s_and_saveexec_b64 s[40:41], s[20:21]
	s_cbranch_execnz .LBB374_325
.LBB374_258:
	s_or_b64 exec, exec, s[40:41]
	s_and_saveexec_b64 s[40:41], s[18:19]
	s_cbranch_execnz .LBB374_326
.LBB374_259:
	s_or_b64 exec, exec, s[40:41]
	s_and_saveexec_b64 s[40:41], s[16:17]
	s_cbranch_execnz .LBB374_327
.LBB374_260:
	s_or_b64 exec, exec, s[40:41]
	s_and_saveexec_b64 s[40:41], s[14:15]
	s_cbranch_execnz .LBB374_328
.LBB374_261:
	s_or_b64 exec, exec, s[40:41]
	s_and_saveexec_b64 s[40:41], s[12:13]
	s_cbranch_execnz .LBB374_329
.LBB374_262:
	s_or_b64 exec, exec, s[40:41]
	s_and_saveexec_b64 s[40:41], s[10:11]
	s_cbranch_execnz .LBB374_330
.LBB374_263:
	s_or_b64 exec, exec, s[40:41]
	s_and_saveexec_b64 s[40:41], s[8:9]
	s_cbranch_execnz .LBB374_331
.LBB374_264:
	s_or_b64 exec, exec, s[40:41]
	s_and_saveexec_b64 s[40:41], s[6:7]
	s_cbranch_execnz .LBB374_332
.LBB374_265:
	s_or_b64 exec, exec, s[40:41]
	s_and_saveexec_b64 s[40:41], s[4:5]
	s_cbranch_execnz .LBB374_333
.LBB374_266:
	s_or_b64 exec, exec, s[40:41]
	s_and_saveexec_b64 s[40:41], s[2:3]
	s_cbranch_execz .LBB374_268
.LBB374_267:
	v_sub_u32_e32 v42, v52, v4
	v_mov_b32_e32 v43, 0
	v_lshlrev_b64 v[42:43], 2, v[42:43]
	v_add_co_u32_e32 v42, vcc, v3, v42
	v_addc_co_u32_e32 v43, vcc, v5, v43, vcc
	global_store_dword v[42:43], v9, off
.LBB374_268:
	s_or_b64 exec, exec, s[40:41]
	s_and_b64 s[40:41], s[0:1], exec
	s_andn2_saveexec_b64 s[30:31], s[30:31]
	s_cbranch_execz .LBB374_161
.LBB374_269:
	v_sub_u32_e32 v42, v78, v4
	v_mov_b32_e32 v43, 0
	v_lshlrev_b64 v[44:45], 2, v[42:43]
	v_add_co_u32_e32 v44, vcc, v3, v44
	v_addc_co_u32_e32 v45, vcc, v5, v45, vcc
	v_sub_u32_e32 v42, v76, v4
	global_store_dword v[44:45], v20, off
	v_lshlrev_b64 v[44:45], 2, v[42:43]
	v_add_co_u32_e32 v44, vcc, v3, v44
	v_addc_co_u32_e32 v45, vcc, v5, v45, vcc
	v_sub_u32_e32 v42, v74, v4
	global_store_dword v[44:45], v21, off
	;; [unrolled: 5-line block ×12, first 2 shown]
	v_lshlrev_b64 v[44:45], 2, v[42:43]
	v_add_co_u32_e32 v44, vcc, v3, v44
	v_sub_u32_e32 v42, v52, v4
	v_addc_co_u32_e32 v45, vcc, v5, v45, vcc
	v_lshlrev_b64 v[42:43], 2, v[42:43]
	v_add_co_u32_e32 v42, vcc, v3, v42
	v_addc_co_u32_e32 v43, vcc, v5, v43, vcc
	s_or_b64 s[40:41], s[40:41], exec
	global_store_dword v[44:45], v8, off
	global_store_dword v[42:43], v9, off
	s_or_b64 exec, exec, s[30:31]
	s_and_b64 exec, exec, s[40:41]
	s_cbranch_execnz .LBB374_162
	s_branch .LBB374_163
.LBB374_270:
	s_and_saveexec_b64 s[40:41], s[28:29]
	s_cbranch_execnz .LBB374_334
; %bb.271:
	s_or_b64 exec, exec, s[40:41]
	s_and_saveexec_b64 s[28:29], s[26:27]
	s_cbranch_execnz .LBB374_335
.LBB374_272:
	s_or_b64 exec, exec, s[28:29]
	s_and_saveexec_b64 s[26:27], s[24:25]
	s_cbranch_execnz .LBB374_336
.LBB374_273:
	s_or_b64 exec, exec, s[26:27]
	s_and_saveexec_b64 s[24:25], s[22:23]
	s_cbranch_execnz .LBB374_337
.LBB374_274:
	s_or_b64 exec, exec, s[24:25]
	s_and_saveexec_b64 s[22:23], s[20:21]
	s_cbranch_execnz .LBB374_338
.LBB374_275:
	s_or_b64 exec, exec, s[22:23]
	s_and_saveexec_b64 s[20:21], s[18:19]
	s_cbranch_execnz .LBB374_339
.LBB374_276:
	s_or_b64 exec, exec, s[20:21]
	s_and_saveexec_b64 s[18:19], s[16:17]
	s_cbranch_execnz .LBB374_340
.LBB374_277:
	s_or_b64 exec, exec, s[18:19]
	s_and_saveexec_b64 s[16:17], s[14:15]
	s_cbranch_execnz .LBB374_341
.LBB374_278:
	s_or_b64 exec, exec, s[16:17]
	s_and_saveexec_b64 s[14:15], s[12:13]
	s_cbranch_execnz .LBB374_342
.LBB374_279:
	s_or_b64 exec, exec, s[14:15]
	s_and_saveexec_b64 s[12:13], s[10:11]
	s_cbranch_execnz .LBB374_343
.LBB374_280:
	s_or_b64 exec, exec, s[12:13]
	s_and_saveexec_b64 s[10:11], s[8:9]
	s_cbranch_execnz .LBB374_344
.LBB374_281:
	s_or_b64 exec, exec, s[10:11]
	s_and_saveexec_b64 s[8:9], s[6:7]
	s_cbranch_execnz .LBB374_345
.LBB374_282:
	s_or_b64 exec, exec, s[8:9]
	s_and_saveexec_b64 s[6:7], s[4:5]
	s_cbranch_execnz .LBB374_346
.LBB374_283:
	s_or_b64 exec, exec, s[6:7]
	s_and_saveexec_b64 s[4:5], s[2:3]
	s_cbranch_execz .LBB374_285
.LBB374_284:
	v_sub_u32_e32 v8, v52, v4
	v_lshlrev_b32_e32 v8, 2, v8
	ds_write_b32 v8, v9
.LBB374_285:
	s_or_b64 exec, exec, s[4:5]
	s_and_b64 s[40:41], s[0:1], exec
                                        ; implicit-def: $vgpr20_vgpr21
                                        ; implicit-def: $vgpr18_vgpr19
                                        ; implicit-def: $vgpr16_vgpr17
                                        ; implicit-def: $vgpr14_vgpr15
                                        ; implicit-def: $vgpr12_vgpr13
                                        ; implicit-def: $vgpr10_vgpr11
                                        ; implicit-def: $vgpr8_vgpr9
	s_andn2_saveexec_b64 s[0:1], s[38:39]
	s_cbranch_execz .LBB374_168
.LBB374_286:
	v_sub_u32_e32 v40, v78, v4
	v_lshlrev_b32_e32 v40, 2, v40
	ds_write_b32 v40, v20
	v_sub_u32_e32 v20, v76, v4
	v_lshlrev_b32_e32 v20, 2, v20
	ds_write_b32 v20, v21
	;; [unrolled: 3-line block ×13, first 2 shown]
	v_sub_u32_e32 v8, v52, v4
	v_lshlrev_b32_e32 v8, 2, v8
	s_or_b64 s[40:41], s[40:41], exec
	ds_write_b32 v8, v9
	s_or_b64 exec, exec, s[0:1]
	s_and_b64 exec, exec, s[40:41]
	s_cbranch_execnz .LBB374_169
	s_branch .LBB374_170
.LBB374_287:
	s_and_saveexec_b64 s[38:39], s[28:29]
	s_cbranch_execnz .LBB374_347
; %bb.288:
	s_or_b64 exec, exec, s[38:39]
	s_and_saveexec_b64 s[38:39], s[26:27]
	s_cbranch_execnz .LBB374_348
.LBB374_289:
	s_or_b64 exec, exec, s[38:39]
	s_and_saveexec_b64 s[38:39], s[24:25]
	s_cbranch_execnz .LBB374_349
.LBB374_290:
	s_or_b64 exec, exec, s[38:39]
	s_and_saveexec_b64 s[38:39], s[22:23]
	s_cbranch_execnz .LBB374_350
.LBB374_291:
	s_or_b64 exec, exec, s[38:39]
	s_and_saveexec_b64 s[38:39], s[20:21]
	s_cbranch_execnz .LBB374_351
.LBB374_292:
	s_or_b64 exec, exec, s[38:39]
	s_and_saveexec_b64 s[38:39], s[18:19]
	s_cbranch_execnz .LBB374_352
.LBB374_293:
	s_or_b64 exec, exec, s[38:39]
	s_and_saveexec_b64 s[38:39], s[16:17]
	s_cbranch_execnz .LBB374_353
.LBB374_294:
	s_or_b64 exec, exec, s[38:39]
	s_and_saveexec_b64 s[38:39], s[14:15]
	s_cbranch_execnz .LBB374_354
.LBB374_295:
	s_or_b64 exec, exec, s[38:39]
	s_and_saveexec_b64 s[38:39], s[12:13]
	s_cbranch_execnz .LBB374_355
.LBB374_296:
	s_or_b64 exec, exec, s[38:39]
	s_and_saveexec_b64 s[38:39], s[10:11]
	s_cbranch_execnz .LBB374_356
.LBB374_297:
	s_or_b64 exec, exec, s[38:39]
	s_and_saveexec_b64 s[38:39], s[8:9]
	s_cbranch_execnz .LBB374_357
.LBB374_298:
	s_or_b64 exec, exec, s[38:39]
	s_and_saveexec_b64 s[38:39], s[6:7]
	s_cbranch_execnz .LBB374_358
.LBB374_299:
	s_or_b64 exec, exec, s[38:39]
	s_and_saveexec_b64 s[38:39], s[4:5]
	s_cbranch_execnz .LBB374_359
.LBB374_300:
	s_or_b64 exec, exec, s[38:39]
	s_and_saveexec_b64 s[38:39], s[2:3]
	s_cbranch_execz .LBB374_302
.LBB374_301:
	v_sub_u32_e32 v16, v52, v9
	v_mov_b32_e32 v17, 0
	v_lshlrev_b64 v[16:17], 2, v[16:17]
	v_add_co_u32_e32 v16, vcc, v13, v16
	v_addc_co_u32_e32 v17, vcc, v14, v17, vcc
	global_store_dword v[16:17], v53, off
.LBB374_302:
	s_or_b64 exec, exec, s[38:39]
	s_and_b64 s[38:39], s[0:1], exec
	s_andn2_saveexec_b64 s[30:31], s[30:31]
	s_cbranch_execz .LBB374_190
.LBB374_303:
	v_sub_u32_e32 v16, v78, v9
	v_mov_b32_e32 v17, 0
	v_lshlrev_b64 v[18:19], 2, v[16:17]
	v_add_co_u32_e32 v18, vcc, v13, v18
	v_addc_co_u32_e32 v19, vcc, v14, v19, vcc
	v_sub_u32_e32 v16, v76, v9
	global_store_dword v[18:19], v79, off
	v_lshlrev_b64 v[18:19], 2, v[16:17]
	v_add_co_u32_e32 v18, vcc, v13, v18
	v_addc_co_u32_e32 v19, vcc, v14, v19, vcc
	v_sub_u32_e32 v16, v74, v9
	global_store_dword v[18:19], v77, off
	;; [unrolled: 5-line block ×12, first 2 shown]
	v_lshlrev_b64 v[18:19], 2, v[16:17]
	v_add_co_u32_e32 v18, vcc, v13, v18
	v_sub_u32_e32 v16, v52, v9
	v_addc_co_u32_e32 v19, vcc, v14, v19, vcc
	v_lshlrev_b64 v[16:17], 2, v[16:17]
	v_add_co_u32_e32 v16, vcc, v13, v16
	v_addc_co_u32_e32 v17, vcc, v14, v17, vcc
	s_or_b64 s[38:39], s[38:39], exec
	global_store_dword v[18:19], v55, off
	global_store_dword v[16:17], v53, off
	s_or_b64 exec, exec, s[30:31]
	s_and_b64 exec, exec, s[38:39]
	s_cbranch_execnz .LBB374_191
	s_branch .LBB374_192
.LBB374_304:
	s_and_saveexec_b64 s[38:39], s[28:29]
	s_cbranch_execnz .LBB374_360
; %bb.305:
	s_or_b64 exec, exec, s[38:39]
	s_and_saveexec_b64 s[28:29], s[26:27]
	s_cbranch_execnz .LBB374_361
.LBB374_306:
	s_or_b64 exec, exec, s[28:29]
	s_and_saveexec_b64 s[26:27], s[24:25]
	s_cbranch_execnz .LBB374_362
.LBB374_307:
	s_or_b64 exec, exec, s[26:27]
	s_and_saveexec_b64 s[24:25], s[22:23]
	s_cbranch_execnz .LBB374_363
.LBB374_308:
	s_or_b64 exec, exec, s[24:25]
	s_and_saveexec_b64 s[22:23], s[20:21]
	s_cbranch_execnz .LBB374_364
.LBB374_309:
	s_or_b64 exec, exec, s[22:23]
	s_and_saveexec_b64 s[20:21], s[18:19]
	s_cbranch_execnz .LBB374_365
.LBB374_310:
	s_or_b64 exec, exec, s[20:21]
	s_and_saveexec_b64 s[18:19], s[16:17]
	s_cbranch_execnz .LBB374_366
.LBB374_311:
	s_or_b64 exec, exec, s[18:19]
	s_and_saveexec_b64 s[16:17], s[14:15]
	s_cbranch_execnz .LBB374_367
.LBB374_312:
	s_or_b64 exec, exec, s[16:17]
	s_and_saveexec_b64 s[14:15], s[12:13]
	s_cbranch_execnz .LBB374_368
.LBB374_313:
	s_or_b64 exec, exec, s[14:15]
	s_and_saveexec_b64 s[12:13], s[10:11]
	s_cbranch_execnz .LBB374_369
.LBB374_314:
	s_or_b64 exec, exec, s[12:13]
	s_and_saveexec_b64 s[10:11], s[8:9]
	s_cbranch_execnz .LBB374_370
.LBB374_315:
	s_or_b64 exec, exec, s[10:11]
	s_and_saveexec_b64 s[8:9], s[6:7]
	s_cbranch_execnz .LBB374_371
.LBB374_316:
	s_or_b64 exec, exec, s[8:9]
	s_and_saveexec_b64 s[6:7], s[4:5]
	s_cbranch_execnz .LBB374_372
.LBB374_317:
	s_or_b64 exec, exec, s[6:7]
	s_and_saveexec_b64 s[4:5], s[2:3]
	s_cbranch_execz .LBB374_319
.LBB374_318:
	v_sub_u32_e32 v10, v52, v9
	v_lshlrev_b32_e32 v10, 2, v10
	ds_write_b32 v10, v53
.LBB374_319:
	s_or_b64 exec, exec, s[4:5]
	s_and_b64 s[38:39], s[0:1], exec
                                        ; implicit-def: $vgpr78_vgpr79
                                        ; implicit-def: $vgpr76_vgpr77
                                        ; implicit-def: $vgpr74_vgpr75
                                        ; implicit-def: $vgpr72_vgpr73
                                        ; implicit-def: $vgpr70_vgpr71
                                        ; implicit-def: $vgpr68_vgpr69
                                        ; implicit-def: $vgpr66_vgpr67
                                        ; implicit-def: $vgpr64_vgpr65
                                        ; implicit-def: $vgpr62_vgpr63
                                        ; implicit-def: $vgpr60_vgpr61
                                        ; implicit-def: $vgpr58_vgpr59
                                        ; implicit-def: $vgpr56_vgpr57
                                        ; implicit-def: $vgpr54_vgpr55
                                        ; implicit-def: $vgpr52_vgpr53
	s_andn2_saveexec_b64 s[0:1], s[36:37]
	s_cbranch_execz .LBB374_197
.LBB374_320:
	v_sub_u32_e32 v10, v78, v9
	v_lshlrev_b32_e32 v10, 2, v10
	ds_write_b32 v10, v79
	v_sub_u32_e32 v10, v76, v9
	v_lshlrev_b32_e32 v10, 2, v10
	ds_write_b32 v10, v77
	;; [unrolled: 3-line block ×13, first 2 shown]
	v_sub_u32_e32 v10, v52, v9
	v_lshlrev_b32_e32 v10, 2, v10
	s_or_b64 s[38:39], s[38:39], exec
	ds_write_b32 v10, v53
	s_or_b64 exec, exec, s[0:1]
	s_and_b64 exec, exec, s[38:39]
	s_cbranch_execnz .LBB374_198
	s_branch .LBB374_199
.LBB374_321:
	v_sub_u32_e32 v42, v78, v4
	v_mov_b32_e32 v43, 0
	v_lshlrev_b64 v[42:43], 2, v[42:43]
	v_add_co_u32_e32 v42, vcc, v3, v42
	v_addc_co_u32_e32 v43, vcc, v5, v43, vcc
	global_store_dword v[42:43], v20, off
	s_or_b64 exec, exec, s[40:41]
	s_and_saveexec_b64 s[40:41], s[26:27]
	s_cbranch_execz .LBB374_255
.LBB374_322:
	v_sub_u32_e32 v42, v76, v4
	v_mov_b32_e32 v43, 0
	v_lshlrev_b64 v[42:43], 2, v[42:43]
	v_add_co_u32_e32 v42, vcc, v3, v42
	v_addc_co_u32_e32 v43, vcc, v5, v43, vcc
	global_store_dword v[42:43], v21, off
	s_or_b64 exec, exec, s[40:41]
	s_and_saveexec_b64 s[40:41], s[24:25]
	s_cbranch_execz .LBB374_256
.LBB374_323:
	v_sub_u32_e32 v42, v74, v4
	v_mov_b32_e32 v43, 0
	v_lshlrev_b64 v[42:43], 2, v[42:43]
	v_add_co_u32_e32 v42, vcc, v3, v42
	v_addc_co_u32_e32 v43, vcc, v5, v43, vcc
	global_store_dword v[42:43], v18, off
	s_or_b64 exec, exec, s[40:41]
	s_and_saveexec_b64 s[40:41], s[22:23]
	s_cbranch_execz .LBB374_257
.LBB374_324:
	v_sub_u32_e32 v42, v72, v4
	v_mov_b32_e32 v43, 0
	v_lshlrev_b64 v[42:43], 2, v[42:43]
	v_add_co_u32_e32 v42, vcc, v3, v42
	v_addc_co_u32_e32 v43, vcc, v5, v43, vcc
	global_store_dword v[42:43], v19, off
	s_or_b64 exec, exec, s[40:41]
	s_and_saveexec_b64 s[40:41], s[20:21]
	s_cbranch_execz .LBB374_258
.LBB374_325:
	v_sub_u32_e32 v42, v70, v4
	v_mov_b32_e32 v43, 0
	v_lshlrev_b64 v[42:43], 2, v[42:43]
	v_add_co_u32_e32 v42, vcc, v3, v42
	v_addc_co_u32_e32 v43, vcc, v5, v43, vcc
	global_store_dword v[42:43], v16, off
	s_or_b64 exec, exec, s[40:41]
	s_and_saveexec_b64 s[40:41], s[18:19]
	s_cbranch_execz .LBB374_259
.LBB374_326:
	v_sub_u32_e32 v42, v68, v4
	v_mov_b32_e32 v43, 0
	v_lshlrev_b64 v[42:43], 2, v[42:43]
	v_add_co_u32_e32 v42, vcc, v3, v42
	v_addc_co_u32_e32 v43, vcc, v5, v43, vcc
	global_store_dword v[42:43], v17, off
	s_or_b64 exec, exec, s[40:41]
	s_and_saveexec_b64 s[40:41], s[16:17]
	s_cbranch_execz .LBB374_260
.LBB374_327:
	v_sub_u32_e32 v42, v66, v4
	v_mov_b32_e32 v43, 0
	v_lshlrev_b64 v[42:43], 2, v[42:43]
	v_add_co_u32_e32 v42, vcc, v3, v42
	v_addc_co_u32_e32 v43, vcc, v5, v43, vcc
	global_store_dword v[42:43], v14, off
	s_or_b64 exec, exec, s[40:41]
	s_and_saveexec_b64 s[40:41], s[14:15]
	s_cbranch_execz .LBB374_261
.LBB374_328:
	v_sub_u32_e32 v42, v64, v4
	v_mov_b32_e32 v43, 0
	v_lshlrev_b64 v[42:43], 2, v[42:43]
	v_add_co_u32_e32 v42, vcc, v3, v42
	v_addc_co_u32_e32 v43, vcc, v5, v43, vcc
	global_store_dword v[42:43], v15, off
	s_or_b64 exec, exec, s[40:41]
	s_and_saveexec_b64 s[40:41], s[12:13]
	s_cbranch_execz .LBB374_262
.LBB374_329:
	v_sub_u32_e32 v42, v62, v4
	v_mov_b32_e32 v43, 0
	v_lshlrev_b64 v[42:43], 2, v[42:43]
	v_add_co_u32_e32 v42, vcc, v3, v42
	v_addc_co_u32_e32 v43, vcc, v5, v43, vcc
	global_store_dword v[42:43], v12, off
	s_or_b64 exec, exec, s[40:41]
	s_and_saveexec_b64 s[40:41], s[10:11]
	s_cbranch_execz .LBB374_263
.LBB374_330:
	v_sub_u32_e32 v42, v60, v4
	v_mov_b32_e32 v43, 0
	v_lshlrev_b64 v[42:43], 2, v[42:43]
	v_add_co_u32_e32 v42, vcc, v3, v42
	v_addc_co_u32_e32 v43, vcc, v5, v43, vcc
	global_store_dword v[42:43], v13, off
	s_or_b64 exec, exec, s[40:41]
	s_and_saveexec_b64 s[40:41], s[8:9]
	s_cbranch_execz .LBB374_264
.LBB374_331:
	v_sub_u32_e32 v42, v58, v4
	v_mov_b32_e32 v43, 0
	v_lshlrev_b64 v[42:43], 2, v[42:43]
	v_add_co_u32_e32 v42, vcc, v3, v42
	v_addc_co_u32_e32 v43, vcc, v5, v43, vcc
	global_store_dword v[42:43], v10, off
	s_or_b64 exec, exec, s[40:41]
	s_and_saveexec_b64 s[40:41], s[6:7]
	s_cbranch_execz .LBB374_265
.LBB374_332:
	v_sub_u32_e32 v42, v56, v4
	v_mov_b32_e32 v43, 0
	v_lshlrev_b64 v[42:43], 2, v[42:43]
	v_add_co_u32_e32 v42, vcc, v3, v42
	v_addc_co_u32_e32 v43, vcc, v5, v43, vcc
	global_store_dword v[42:43], v11, off
	s_or_b64 exec, exec, s[40:41]
	s_and_saveexec_b64 s[40:41], s[4:5]
	s_cbranch_execz .LBB374_266
.LBB374_333:
	v_sub_u32_e32 v42, v54, v4
	v_mov_b32_e32 v43, 0
	v_lshlrev_b64 v[42:43], 2, v[42:43]
	v_add_co_u32_e32 v42, vcc, v3, v42
	v_addc_co_u32_e32 v43, vcc, v5, v43, vcc
	global_store_dword v[42:43], v8, off
	s_or_b64 exec, exec, s[40:41]
	s_and_saveexec_b64 s[40:41], s[2:3]
	s_cbranch_execnz .LBB374_267
	s_branch .LBB374_268
.LBB374_334:
	v_sub_u32_e32 v40, v78, v4
	v_lshlrev_b32_e32 v40, 2, v40
	ds_write_b32 v40, v20
	s_or_b64 exec, exec, s[40:41]
	s_and_saveexec_b64 s[28:29], s[26:27]
	s_cbranch_execz .LBB374_272
.LBB374_335:
	v_sub_u32_e32 v20, v76, v4
	v_lshlrev_b32_e32 v20, 2, v20
	ds_write_b32 v20, v21
	s_or_b64 exec, exec, s[28:29]
	s_and_saveexec_b64 s[26:27], s[24:25]
	s_cbranch_execz .LBB374_273
.LBB374_336:
	v_sub_u32_e32 v20, v74, v4
	v_lshlrev_b32_e32 v20, 2, v20
	ds_write_b32 v20, v18
	s_or_b64 exec, exec, s[26:27]
	s_and_saveexec_b64 s[24:25], s[22:23]
	s_cbranch_execz .LBB374_274
.LBB374_337:
	v_sub_u32_e32 v18, v72, v4
	v_lshlrev_b32_e32 v18, 2, v18
	ds_write_b32 v18, v19
	s_or_b64 exec, exec, s[24:25]
	s_and_saveexec_b64 s[22:23], s[20:21]
	s_cbranch_execz .LBB374_275
.LBB374_338:
	v_sub_u32_e32 v18, v70, v4
	v_lshlrev_b32_e32 v18, 2, v18
	ds_write_b32 v18, v16
	s_or_b64 exec, exec, s[22:23]
	s_and_saveexec_b64 s[20:21], s[18:19]
	s_cbranch_execz .LBB374_276
.LBB374_339:
	v_sub_u32_e32 v16, v68, v4
	v_lshlrev_b32_e32 v16, 2, v16
	ds_write_b32 v16, v17
	s_or_b64 exec, exec, s[20:21]
	s_and_saveexec_b64 s[18:19], s[16:17]
	s_cbranch_execz .LBB374_277
.LBB374_340:
	v_sub_u32_e32 v16, v66, v4
	v_lshlrev_b32_e32 v16, 2, v16
	ds_write_b32 v16, v14
	s_or_b64 exec, exec, s[18:19]
	s_and_saveexec_b64 s[16:17], s[14:15]
	s_cbranch_execz .LBB374_278
.LBB374_341:
	v_sub_u32_e32 v14, v64, v4
	v_lshlrev_b32_e32 v14, 2, v14
	ds_write_b32 v14, v15
	s_or_b64 exec, exec, s[16:17]
	s_and_saveexec_b64 s[14:15], s[12:13]
	s_cbranch_execz .LBB374_279
.LBB374_342:
	v_sub_u32_e32 v14, v62, v4
	v_lshlrev_b32_e32 v14, 2, v14
	ds_write_b32 v14, v12
	s_or_b64 exec, exec, s[14:15]
	s_and_saveexec_b64 s[12:13], s[10:11]
	s_cbranch_execz .LBB374_280
.LBB374_343:
	v_sub_u32_e32 v12, v60, v4
	v_lshlrev_b32_e32 v12, 2, v12
	ds_write_b32 v12, v13
	s_or_b64 exec, exec, s[12:13]
	s_and_saveexec_b64 s[10:11], s[8:9]
	s_cbranch_execz .LBB374_281
.LBB374_344:
	v_sub_u32_e32 v12, v58, v4
	v_lshlrev_b32_e32 v12, 2, v12
	ds_write_b32 v12, v10
	s_or_b64 exec, exec, s[10:11]
	s_and_saveexec_b64 s[8:9], s[6:7]
	s_cbranch_execz .LBB374_282
.LBB374_345:
	v_sub_u32_e32 v10, v56, v4
	v_lshlrev_b32_e32 v10, 2, v10
	ds_write_b32 v10, v11
	s_or_b64 exec, exec, s[8:9]
	s_and_saveexec_b64 s[6:7], s[4:5]
	s_cbranch_execz .LBB374_283
.LBB374_346:
	v_sub_u32_e32 v10, v54, v4
	v_lshlrev_b32_e32 v10, 2, v10
	ds_write_b32 v10, v8
	s_or_b64 exec, exec, s[6:7]
	s_and_saveexec_b64 s[4:5], s[2:3]
	s_cbranch_execnz .LBB374_284
	s_branch .LBB374_285
.LBB374_347:
	v_sub_u32_e32 v16, v78, v9
	v_mov_b32_e32 v17, 0
	v_lshlrev_b64 v[16:17], 2, v[16:17]
	v_add_co_u32_e32 v16, vcc, v13, v16
	v_addc_co_u32_e32 v17, vcc, v14, v17, vcc
	global_store_dword v[16:17], v79, off
	s_or_b64 exec, exec, s[38:39]
	s_and_saveexec_b64 s[38:39], s[26:27]
	s_cbranch_execz .LBB374_289
.LBB374_348:
	v_sub_u32_e32 v16, v76, v9
	v_mov_b32_e32 v17, 0
	v_lshlrev_b64 v[16:17], 2, v[16:17]
	v_add_co_u32_e32 v16, vcc, v13, v16
	v_addc_co_u32_e32 v17, vcc, v14, v17, vcc
	global_store_dword v[16:17], v77, off
	s_or_b64 exec, exec, s[38:39]
	s_and_saveexec_b64 s[38:39], s[24:25]
	s_cbranch_execz .LBB374_290
.LBB374_349:
	v_sub_u32_e32 v16, v74, v9
	v_mov_b32_e32 v17, 0
	v_lshlrev_b64 v[16:17], 2, v[16:17]
	v_add_co_u32_e32 v16, vcc, v13, v16
	v_addc_co_u32_e32 v17, vcc, v14, v17, vcc
	global_store_dword v[16:17], v75, off
	s_or_b64 exec, exec, s[38:39]
	s_and_saveexec_b64 s[38:39], s[22:23]
	s_cbranch_execz .LBB374_291
.LBB374_350:
	v_sub_u32_e32 v16, v72, v9
	v_mov_b32_e32 v17, 0
	v_lshlrev_b64 v[16:17], 2, v[16:17]
	v_add_co_u32_e32 v16, vcc, v13, v16
	v_addc_co_u32_e32 v17, vcc, v14, v17, vcc
	global_store_dword v[16:17], v73, off
	s_or_b64 exec, exec, s[38:39]
	s_and_saveexec_b64 s[38:39], s[20:21]
	s_cbranch_execz .LBB374_292
.LBB374_351:
	v_sub_u32_e32 v16, v70, v9
	v_mov_b32_e32 v17, 0
	v_lshlrev_b64 v[16:17], 2, v[16:17]
	v_add_co_u32_e32 v16, vcc, v13, v16
	v_addc_co_u32_e32 v17, vcc, v14, v17, vcc
	global_store_dword v[16:17], v71, off
	s_or_b64 exec, exec, s[38:39]
	s_and_saveexec_b64 s[38:39], s[18:19]
	s_cbranch_execz .LBB374_293
.LBB374_352:
	v_sub_u32_e32 v16, v68, v9
	v_mov_b32_e32 v17, 0
	v_lshlrev_b64 v[16:17], 2, v[16:17]
	v_add_co_u32_e32 v16, vcc, v13, v16
	v_addc_co_u32_e32 v17, vcc, v14, v17, vcc
	global_store_dword v[16:17], v69, off
	s_or_b64 exec, exec, s[38:39]
	s_and_saveexec_b64 s[38:39], s[16:17]
	s_cbranch_execz .LBB374_294
.LBB374_353:
	v_sub_u32_e32 v16, v66, v9
	v_mov_b32_e32 v17, 0
	v_lshlrev_b64 v[16:17], 2, v[16:17]
	v_add_co_u32_e32 v16, vcc, v13, v16
	v_addc_co_u32_e32 v17, vcc, v14, v17, vcc
	global_store_dword v[16:17], v67, off
	s_or_b64 exec, exec, s[38:39]
	s_and_saveexec_b64 s[38:39], s[14:15]
	s_cbranch_execz .LBB374_295
.LBB374_354:
	v_sub_u32_e32 v16, v64, v9
	v_mov_b32_e32 v17, 0
	v_lshlrev_b64 v[16:17], 2, v[16:17]
	v_add_co_u32_e32 v16, vcc, v13, v16
	v_addc_co_u32_e32 v17, vcc, v14, v17, vcc
	global_store_dword v[16:17], v65, off
	s_or_b64 exec, exec, s[38:39]
	s_and_saveexec_b64 s[38:39], s[12:13]
	s_cbranch_execz .LBB374_296
.LBB374_355:
	v_sub_u32_e32 v16, v62, v9
	v_mov_b32_e32 v17, 0
	v_lshlrev_b64 v[16:17], 2, v[16:17]
	v_add_co_u32_e32 v16, vcc, v13, v16
	v_addc_co_u32_e32 v17, vcc, v14, v17, vcc
	global_store_dword v[16:17], v63, off
	s_or_b64 exec, exec, s[38:39]
	s_and_saveexec_b64 s[38:39], s[10:11]
	s_cbranch_execz .LBB374_297
.LBB374_356:
	v_sub_u32_e32 v16, v60, v9
	v_mov_b32_e32 v17, 0
	v_lshlrev_b64 v[16:17], 2, v[16:17]
	v_add_co_u32_e32 v16, vcc, v13, v16
	v_addc_co_u32_e32 v17, vcc, v14, v17, vcc
	global_store_dword v[16:17], v61, off
	s_or_b64 exec, exec, s[38:39]
	s_and_saveexec_b64 s[38:39], s[8:9]
	s_cbranch_execz .LBB374_298
.LBB374_357:
	v_sub_u32_e32 v16, v58, v9
	v_mov_b32_e32 v17, 0
	v_lshlrev_b64 v[16:17], 2, v[16:17]
	v_add_co_u32_e32 v16, vcc, v13, v16
	v_addc_co_u32_e32 v17, vcc, v14, v17, vcc
	global_store_dword v[16:17], v59, off
	s_or_b64 exec, exec, s[38:39]
	s_and_saveexec_b64 s[38:39], s[6:7]
	s_cbranch_execz .LBB374_299
.LBB374_358:
	v_sub_u32_e32 v16, v56, v9
	v_mov_b32_e32 v17, 0
	v_lshlrev_b64 v[16:17], 2, v[16:17]
	v_add_co_u32_e32 v16, vcc, v13, v16
	v_addc_co_u32_e32 v17, vcc, v14, v17, vcc
	global_store_dword v[16:17], v57, off
	s_or_b64 exec, exec, s[38:39]
	s_and_saveexec_b64 s[38:39], s[4:5]
	s_cbranch_execz .LBB374_300
.LBB374_359:
	v_sub_u32_e32 v16, v54, v9
	v_mov_b32_e32 v17, 0
	v_lshlrev_b64 v[16:17], 2, v[16:17]
	v_add_co_u32_e32 v16, vcc, v13, v16
	v_addc_co_u32_e32 v17, vcc, v14, v17, vcc
	global_store_dword v[16:17], v55, off
	s_or_b64 exec, exec, s[38:39]
	s_and_saveexec_b64 s[38:39], s[2:3]
	s_cbranch_execnz .LBB374_301
	s_branch .LBB374_302
.LBB374_360:
	v_sub_u32_e32 v10, v78, v9
	v_lshlrev_b32_e32 v10, 2, v10
	ds_write_b32 v10, v79
	s_or_b64 exec, exec, s[38:39]
	s_and_saveexec_b64 s[28:29], s[26:27]
	s_cbranch_execz .LBB374_306
.LBB374_361:
	v_sub_u32_e32 v10, v76, v9
	v_lshlrev_b32_e32 v10, 2, v10
	ds_write_b32 v10, v77
	s_or_b64 exec, exec, s[28:29]
	s_and_saveexec_b64 s[26:27], s[24:25]
	s_cbranch_execz .LBB374_307
.LBB374_362:
	v_sub_u32_e32 v10, v74, v9
	v_lshlrev_b32_e32 v10, 2, v10
	ds_write_b32 v10, v75
	s_or_b64 exec, exec, s[26:27]
	s_and_saveexec_b64 s[24:25], s[22:23]
	s_cbranch_execz .LBB374_308
.LBB374_363:
	v_sub_u32_e32 v10, v72, v9
	v_lshlrev_b32_e32 v10, 2, v10
	ds_write_b32 v10, v73
	s_or_b64 exec, exec, s[24:25]
	s_and_saveexec_b64 s[22:23], s[20:21]
	s_cbranch_execz .LBB374_309
.LBB374_364:
	v_sub_u32_e32 v10, v70, v9
	v_lshlrev_b32_e32 v10, 2, v10
	ds_write_b32 v10, v71
	s_or_b64 exec, exec, s[22:23]
	s_and_saveexec_b64 s[20:21], s[18:19]
	s_cbranch_execz .LBB374_310
.LBB374_365:
	v_sub_u32_e32 v10, v68, v9
	v_lshlrev_b32_e32 v10, 2, v10
	ds_write_b32 v10, v69
	s_or_b64 exec, exec, s[20:21]
	s_and_saveexec_b64 s[18:19], s[16:17]
	s_cbranch_execz .LBB374_311
.LBB374_366:
	v_sub_u32_e32 v10, v66, v9
	v_lshlrev_b32_e32 v10, 2, v10
	ds_write_b32 v10, v67
	s_or_b64 exec, exec, s[18:19]
	s_and_saveexec_b64 s[16:17], s[14:15]
	s_cbranch_execz .LBB374_312
.LBB374_367:
	v_sub_u32_e32 v10, v64, v9
	v_lshlrev_b32_e32 v10, 2, v10
	ds_write_b32 v10, v65
	s_or_b64 exec, exec, s[16:17]
	s_and_saveexec_b64 s[14:15], s[12:13]
	s_cbranch_execz .LBB374_313
.LBB374_368:
	v_sub_u32_e32 v10, v62, v9
	v_lshlrev_b32_e32 v10, 2, v10
	ds_write_b32 v10, v63
	s_or_b64 exec, exec, s[14:15]
	s_and_saveexec_b64 s[12:13], s[10:11]
	s_cbranch_execz .LBB374_314
.LBB374_369:
	v_sub_u32_e32 v10, v60, v9
	v_lshlrev_b32_e32 v10, 2, v10
	ds_write_b32 v10, v61
	s_or_b64 exec, exec, s[12:13]
	s_and_saveexec_b64 s[10:11], s[8:9]
	s_cbranch_execz .LBB374_315
.LBB374_370:
	v_sub_u32_e32 v10, v58, v9
	v_lshlrev_b32_e32 v10, 2, v10
	ds_write_b32 v10, v59
	s_or_b64 exec, exec, s[10:11]
	s_and_saveexec_b64 s[8:9], s[6:7]
	s_cbranch_execz .LBB374_316
.LBB374_371:
	v_sub_u32_e32 v10, v56, v9
	v_lshlrev_b32_e32 v10, 2, v10
	ds_write_b32 v10, v57
	s_or_b64 exec, exec, s[8:9]
	s_and_saveexec_b64 s[6:7], s[4:5]
	s_cbranch_execz .LBB374_317
.LBB374_372:
	v_sub_u32_e32 v10, v54, v9
	v_lshlrev_b32_e32 v10, 2, v10
	ds_write_b32 v10, v55
	s_or_b64 exec, exec, s[6:7]
	s_and_saveexec_b64 s[4:5], s[2:3]
	s_cbranch_execnz .LBB374_318
	s_branch .LBB374_319
	.section	.rodata,"a",@progbits
	.p2align	6, 0x0
	.amdhsa_kernel _ZN7rocprim17ROCPRIM_400000_NS6detail17trampoline_kernelINS0_14default_configENS1_29reduce_by_key_config_selectorIjjN6thrust23THRUST_200600_302600_NS4plusIjEEEEZZNS1_33reduce_by_key_impl_wrapped_configILNS1_25lookback_scan_determinismE0ES3_S9_NS6_6detail15normal_iteratorINS6_10device_ptrIjEEEESG_SG_SG_PmS8_22is_equal_div_10_reduceIjEEE10hipError_tPvRmT2_T3_mT4_T5_T6_T7_T8_P12ihipStream_tbENKUlT_T0_E_clISt17integral_constantIbLb1EES10_IbLb0EEEEDaSW_SX_EUlSW_E_NS1_11comp_targetILNS1_3genE4ELNS1_11target_archE910ELNS1_3gpuE8ELNS1_3repE0EEENS1_30default_config_static_selectorELNS0_4arch9wavefront6targetE1EEEvT1_
		.amdhsa_group_segment_fixed_size 15360
		.amdhsa_private_segment_fixed_size 0
		.amdhsa_kernarg_size 120
		.amdhsa_user_sgpr_count 6
		.amdhsa_user_sgpr_private_segment_buffer 1
		.amdhsa_user_sgpr_dispatch_ptr 0
		.amdhsa_user_sgpr_queue_ptr 0
		.amdhsa_user_sgpr_kernarg_segment_ptr 1
		.amdhsa_user_sgpr_dispatch_id 0
		.amdhsa_user_sgpr_flat_scratch_init 0
		.amdhsa_user_sgpr_kernarg_preload_length 0
		.amdhsa_user_sgpr_kernarg_preload_offset 0
		.amdhsa_user_sgpr_private_segment_size 0
		.amdhsa_uses_dynamic_stack 0
		.amdhsa_system_sgpr_private_segment_wavefront_offset 0
		.amdhsa_system_sgpr_workgroup_id_x 1
		.amdhsa_system_sgpr_workgroup_id_y 0
		.amdhsa_system_sgpr_workgroup_id_z 0
		.amdhsa_system_sgpr_workgroup_info 0
		.amdhsa_system_vgpr_workitem_id 0
		.amdhsa_next_free_vgpr 108
		.amdhsa_next_free_sgpr 64
		.amdhsa_accum_offset 108
		.amdhsa_reserve_vcc 1
		.amdhsa_reserve_flat_scratch 0
		.amdhsa_float_round_mode_32 0
		.amdhsa_float_round_mode_16_64 0
		.amdhsa_float_denorm_mode_32 3
		.amdhsa_float_denorm_mode_16_64 3
		.amdhsa_dx10_clamp 1
		.amdhsa_ieee_mode 1
		.amdhsa_fp16_overflow 0
		.amdhsa_tg_split 0
		.amdhsa_exception_fp_ieee_invalid_op 0
		.amdhsa_exception_fp_denorm_src 0
		.amdhsa_exception_fp_ieee_div_zero 0
		.amdhsa_exception_fp_ieee_overflow 0
		.amdhsa_exception_fp_ieee_underflow 0
		.amdhsa_exception_fp_ieee_inexact 0
		.amdhsa_exception_int_div_zero 0
	.end_amdhsa_kernel
	.section	.text._ZN7rocprim17ROCPRIM_400000_NS6detail17trampoline_kernelINS0_14default_configENS1_29reduce_by_key_config_selectorIjjN6thrust23THRUST_200600_302600_NS4plusIjEEEEZZNS1_33reduce_by_key_impl_wrapped_configILNS1_25lookback_scan_determinismE0ES3_S9_NS6_6detail15normal_iteratorINS6_10device_ptrIjEEEESG_SG_SG_PmS8_22is_equal_div_10_reduceIjEEE10hipError_tPvRmT2_T3_mT4_T5_T6_T7_T8_P12ihipStream_tbENKUlT_T0_E_clISt17integral_constantIbLb1EES10_IbLb0EEEEDaSW_SX_EUlSW_E_NS1_11comp_targetILNS1_3genE4ELNS1_11target_archE910ELNS1_3gpuE8ELNS1_3repE0EEENS1_30default_config_static_selectorELNS0_4arch9wavefront6targetE1EEEvT1_,"axG",@progbits,_ZN7rocprim17ROCPRIM_400000_NS6detail17trampoline_kernelINS0_14default_configENS1_29reduce_by_key_config_selectorIjjN6thrust23THRUST_200600_302600_NS4plusIjEEEEZZNS1_33reduce_by_key_impl_wrapped_configILNS1_25lookback_scan_determinismE0ES3_S9_NS6_6detail15normal_iteratorINS6_10device_ptrIjEEEESG_SG_SG_PmS8_22is_equal_div_10_reduceIjEEE10hipError_tPvRmT2_T3_mT4_T5_T6_T7_T8_P12ihipStream_tbENKUlT_T0_E_clISt17integral_constantIbLb1EES10_IbLb0EEEEDaSW_SX_EUlSW_E_NS1_11comp_targetILNS1_3genE4ELNS1_11target_archE910ELNS1_3gpuE8ELNS1_3repE0EEENS1_30default_config_static_selectorELNS0_4arch9wavefront6targetE1EEEvT1_,comdat
.Lfunc_end374:
	.size	_ZN7rocprim17ROCPRIM_400000_NS6detail17trampoline_kernelINS0_14default_configENS1_29reduce_by_key_config_selectorIjjN6thrust23THRUST_200600_302600_NS4plusIjEEEEZZNS1_33reduce_by_key_impl_wrapped_configILNS1_25lookback_scan_determinismE0ES3_S9_NS6_6detail15normal_iteratorINS6_10device_ptrIjEEEESG_SG_SG_PmS8_22is_equal_div_10_reduceIjEEE10hipError_tPvRmT2_T3_mT4_T5_T6_T7_T8_P12ihipStream_tbENKUlT_T0_E_clISt17integral_constantIbLb1EES10_IbLb0EEEEDaSW_SX_EUlSW_E_NS1_11comp_targetILNS1_3genE4ELNS1_11target_archE910ELNS1_3gpuE8ELNS1_3repE0EEENS1_30default_config_static_selectorELNS0_4arch9wavefront6targetE1EEEvT1_, .Lfunc_end374-_ZN7rocprim17ROCPRIM_400000_NS6detail17trampoline_kernelINS0_14default_configENS1_29reduce_by_key_config_selectorIjjN6thrust23THRUST_200600_302600_NS4plusIjEEEEZZNS1_33reduce_by_key_impl_wrapped_configILNS1_25lookback_scan_determinismE0ES3_S9_NS6_6detail15normal_iteratorINS6_10device_ptrIjEEEESG_SG_SG_PmS8_22is_equal_div_10_reduceIjEEE10hipError_tPvRmT2_T3_mT4_T5_T6_T7_T8_P12ihipStream_tbENKUlT_T0_E_clISt17integral_constantIbLb1EES10_IbLb0EEEEDaSW_SX_EUlSW_E_NS1_11comp_targetILNS1_3genE4ELNS1_11target_archE910ELNS1_3gpuE8ELNS1_3repE0EEENS1_30default_config_static_selectorELNS0_4arch9wavefront6targetE1EEEvT1_
                                        ; -- End function
	.section	.AMDGPU.csdata,"",@progbits
; Kernel info:
; codeLenInByte = 19356
; NumSgprs: 68
; NumVgprs: 108
; NumAgprs: 0
; TotalNumVgprs: 108
; ScratchSize: 0
; MemoryBound: 0
; FloatMode: 240
; IeeeMode: 1
; LDSByteSize: 15360 bytes/workgroup (compile time only)
; SGPRBlocks: 8
; VGPRBlocks: 13
; NumSGPRsForWavesPerEU: 68
; NumVGPRsForWavesPerEU: 108
; AccumOffset: 108
; Occupancy: 4
; WaveLimiterHint : 1
; COMPUTE_PGM_RSRC2:SCRATCH_EN: 0
; COMPUTE_PGM_RSRC2:USER_SGPR: 6
; COMPUTE_PGM_RSRC2:TRAP_HANDLER: 0
; COMPUTE_PGM_RSRC2:TGID_X_EN: 1
; COMPUTE_PGM_RSRC2:TGID_Y_EN: 0
; COMPUTE_PGM_RSRC2:TGID_Z_EN: 0
; COMPUTE_PGM_RSRC2:TIDIG_COMP_CNT: 0
; COMPUTE_PGM_RSRC3_GFX90A:ACCUM_OFFSET: 26
; COMPUTE_PGM_RSRC3_GFX90A:TG_SPLIT: 0
	.section	.text._ZN7rocprim17ROCPRIM_400000_NS6detail17trampoline_kernelINS0_14default_configENS1_29reduce_by_key_config_selectorIjjN6thrust23THRUST_200600_302600_NS4plusIjEEEEZZNS1_33reduce_by_key_impl_wrapped_configILNS1_25lookback_scan_determinismE0ES3_S9_NS6_6detail15normal_iteratorINS6_10device_ptrIjEEEESG_SG_SG_PmS8_22is_equal_div_10_reduceIjEEE10hipError_tPvRmT2_T3_mT4_T5_T6_T7_T8_P12ihipStream_tbENKUlT_T0_E_clISt17integral_constantIbLb1EES10_IbLb0EEEEDaSW_SX_EUlSW_E_NS1_11comp_targetILNS1_3genE3ELNS1_11target_archE908ELNS1_3gpuE7ELNS1_3repE0EEENS1_30default_config_static_selectorELNS0_4arch9wavefront6targetE1EEEvT1_,"axG",@progbits,_ZN7rocprim17ROCPRIM_400000_NS6detail17trampoline_kernelINS0_14default_configENS1_29reduce_by_key_config_selectorIjjN6thrust23THRUST_200600_302600_NS4plusIjEEEEZZNS1_33reduce_by_key_impl_wrapped_configILNS1_25lookback_scan_determinismE0ES3_S9_NS6_6detail15normal_iteratorINS6_10device_ptrIjEEEESG_SG_SG_PmS8_22is_equal_div_10_reduceIjEEE10hipError_tPvRmT2_T3_mT4_T5_T6_T7_T8_P12ihipStream_tbENKUlT_T0_E_clISt17integral_constantIbLb1EES10_IbLb0EEEEDaSW_SX_EUlSW_E_NS1_11comp_targetILNS1_3genE3ELNS1_11target_archE908ELNS1_3gpuE7ELNS1_3repE0EEENS1_30default_config_static_selectorELNS0_4arch9wavefront6targetE1EEEvT1_,comdat
	.protected	_ZN7rocprim17ROCPRIM_400000_NS6detail17trampoline_kernelINS0_14default_configENS1_29reduce_by_key_config_selectorIjjN6thrust23THRUST_200600_302600_NS4plusIjEEEEZZNS1_33reduce_by_key_impl_wrapped_configILNS1_25lookback_scan_determinismE0ES3_S9_NS6_6detail15normal_iteratorINS6_10device_ptrIjEEEESG_SG_SG_PmS8_22is_equal_div_10_reduceIjEEE10hipError_tPvRmT2_T3_mT4_T5_T6_T7_T8_P12ihipStream_tbENKUlT_T0_E_clISt17integral_constantIbLb1EES10_IbLb0EEEEDaSW_SX_EUlSW_E_NS1_11comp_targetILNS1_3genE3ELNS1_11target_archE908ELNS1_3gpuE7ELNS1_3repE0EEENS1_30default_config_static_selectorELNS0_4arch9wavefront6targetE1EEEvT1_ ; -- Begin function _ZN7rocprim17ROCPRIM_400000_NS6detail17trampoline_kernelINS0_14default_configENS1_29reduce_by_key_config_selectorIjjN6thrust23THRUST_200600_302600_NS4plusIjEEEEZZNS1_33reduce_by_key_impl_wrapped_configILNS1_25lookback_scan_determinismE0ES3_S9_NS6_6detail15normal_iteratorINS6_10device_ptrIjEEEESG_SG_SG_PmS8_22is_equal_div_10_reduceIjEEE10hipError_tPvRmT2_T3_mT4_T5_T6_T7_T8_P12ihipStream_tbENKUlT_T0_E_clISt17integral_constantIbLb1EES10_IbLb0EEEEDaSW_SX_EUlSW_E_NS1_11comp_targetILNS1_3genE3ELNS1_11target_archE908ELNS1_3gpuE7ELNS1_3repE0EEENS1_30default_config_static_selectorELNS0_4arch9wavefront6targetE1EEEvT1_
	.globl	_ZN7rocprim17ROCPRIM_400000_NS6detail17trampoline_kernelINS0_14default_configENS1_29reduce_by_key_config_selectorIjjN6thrust23THRUST_200600_302600_NS4plusIjEEEEZZNS1_33reduce_by_key_impl_wrapped_configILNS1_25lookback_scan_determinismE0ES3_S9_NS6_6detail15normal_iteratorINS6_10device_ptrIjEEEESG_SG_SG_PmS8_22is_equal_div_10_reduceIjEEE10hipError_tPvRmT2_T3_mT4_T5_T6_T7_T8_P12ihipStream_tbENKUlT_T0_E_clISt17integral_constantIbLb1EES10_IbLb0EEEEDaSW_SX_EUlSW_E_NS1_11comp_targetILNS1_3genE3ELNS1_11target_archE908ELNS1_3gpuE7ELNS1_3repE0EEENS1_30default_config_static_selectorELNS0_4arch9wavefront6targetE1EEEvT1_
	.p2align	8
	.type	_ZN7rocprim17ROCPRIM_400000_NS6detail17trampoline_kernelINS0_14default_configENS1_29reduce_by_key_config_selectorIjjN6thrust23THRUST_200600_302600_NS4plusIjEEEEZZNS1_33reduce_by_key_impl_wrapped_configILNS1_25lookback_scan_determinismE0ES3_S9_NS6_6detail15normal_iteratorINS6_10device_ptrIjEEEESG_SG_SG_PmS8_22is_equal_div_10_reduceIjEEE10hipError_tPvRmT2_T3_mT4_T5_T6_T7_T8_P12ihipStream_tbENKUlT_T0_E_clISt17integral_constantIbLb1EES10_IbLb0EEEEDaSW_SX_EUlSW_E_NS1_11comp_targetILNS1_3genE3ELNS1_11target_archE908ELNS1_3gpuE7ELNS1_3repE0EEENS1_30default_config_static_selectorELNS0_4arch9wavefront6targetE1EEEvT1_,@function
_ZN7rocprim17ROCPRIM_400000_NS6detail17trampoline_kernelINS0_14default_configENS1_29reduce_by_key_config_selectorIjjN6thrust23THRUST_200600_302600_NS4plusIjEEEEZZNS1_33reduce_by_key_impl_wrapped_configILNS1_25lookback_scan_determinismE0ES3_S9_NS6_6detail15normal_iteratorINS6_10device_ptrIjEEEESG_SG_SG_PmS8_22is_equal_div_10_reduceIjEEE10hipError_tPvRmT2_T3_mT4_T5_T6_T7_T8_P12ihipStream_tbENKUlT_T0_E_clISt17integral_constantIbLb1EES10_IbLb0EEEEDaSW_SX_EUlSW_E_NS1_11comp_targetILNS1_3genE3ELNS1_11target_archE908ELNS1_3gpuE7ELNS1_3repE0EEENS1_30default_config_static_selectorELNS0_4arch9wavefront6targetE1EEEvT1_: ; @_ZN7rocprim17ROCPRIM_400000_NS6detail17trampoline_kernelINS0_14default_configENS1_29reduce_by_key_config_selectorIjjN6thrust23THRUST_200600_302600_NS4plusIjEEEEZZNS1_33reduce_by_key_impl_wrapped_configILNS1_25lookback_scan_determinismE0ES3_S9_NS6_6detail15normal_iteratorINS6_10device_ptrIjEEEESG_SG_SG_PmS8_22is_equal_div_10_reduceIjEEE10hipError_tPvRmT2_T3_mT4_T5_T6_T7_T8_P12ihipStream_tbENKUlT_T0_E_clISt17integral_constantIbLb1EES10_IbLb0EEEEDaSW_SX_EUlSW_E_NS1_11comp_targetILNS1_3genE3ELNS1_11target_archE908ELNS1_3gpuE7ELNS1_3repE0EEENS1_30default_config_static_selectorELNS0_4arch9wavefront6targetE1EEEvT1_
; %bb.0:
	.section	.rodata,"a",@progbits
	.p2align	6, 0x0
	.amdhsa_kernel _ZN7rocprim17ROCPRIM_400000_NS6detail17trampoline_kernelINS0_14default_configENS1_29reduce_by_key_config_selectorIjjN6thrust23THRUST_200600_302600_NS4plusIjEEEEZZNS1_33reduce_by_key_impl_wrapped_configILNS1_25lookback_scan_determinismE0ES3_S9_NS6_6detail15normal_iteratorINS6_10device_ptrIjEEEESG_SG_SG_PmS8_22is_equal_div_10_reduceIjEEE10hipError_tPvRmT2_T3_mT4_T5_T6_T7_T8_P12ihipStream_tbENKUlT_T0_E_clISt17integral_constantIbLb1EES10_IbLb0EEEEDaSW_SX_EUlSW_E_NS1_11comp_targetILNS1_3genE3ELNS1_11target_archE908ELNS1_3gpuE7ELNS1_3repE0EEENS1_30default_config_static_selectorELNS0_4arch9wavefront6targetE1EEEvT1_
		.amdhsa_group_segment_fixed_size 0
		.amdhsa_private_segment_fixed_size 0
		.amdhsa_kernarg_size 120
		.amdhsa_user_sgpr_count 6
		.amdhsa_user_sgpr_private_segment_buffer 1
		.amdhsa_user_sgpr_dispatch_ptr 0
		.amdhsa_user_sgpr_queue_ptr 0
		.amdhsa_user_sgpr_kernarg_segment_ptr 1
		.amdhsa_user_sgpr_dispatch_id 0
		.amdhsa_user_sgpr_flat_scratch_init 0
		.amdhsa_user_sgpr_kernarg_preload_length 0
		.amdhsa_user_sgpr_kernarg_preload_offset 0
		.amdhsa_user_sgpr_private_segment_size 0
		.amdhsa_uses_dynamic_stack 0
		.amdhsa_system_sgpr_private_segment_wavefront_offset 0
		.amdhsa_system_sgpr_workgroup_id_x 1
		.amdhsa_system_sgpr_workgroup_id_y 0
		.amdhsa_system_sgpr_workgroup_id_z 0
		.amdhsa_system_sgpr_workgroup_info 0
		.amdhsa_system_vgpr_workitem_id 0
		.amdhsa_next_free_vgpr 1
		.amdhsa_next_free_sgpr 0
		.amdhsa_accum_offset 4
		.amdhsa_reserve_vcc 0
		.amdhsa_reserve_flat_scratch 0
		.amdhsa_float_round_mode_32 0
		.amdhsa_float_round_mode_16_64 0
		.amdhsa_float_denorm_mode_32 3
		.amdhsa_float_denorm_mode_16_64 3
		.amdhsa_dx10_clamp 1
		.amdhsa_ieee_mode 1
		.amdhsa_fp16_overflow 0
		.amdhsa_tg_split 0
		.amdhsa_exception_fp_ieee_invalid_op 0
		.amdhsa_exception_fp_denorm_src 0
		.amdhsa_exception_fp_ieee_div_zero 0
		.amdhsa_exception_fp_ieee_overflow 0
		.amdhsa_exception_fp_ieee_underflow 0
		.amdhsa_exception_fp_ieee_inexact 0
		.amdhsa_exception_int_div_zero 0
	.end_amdhsa_kernel
	.section	.text._ZN7rocprim17ROCPRIM_400000_NS6detail17trampoline_kernelINS0_14default_configENS1_29reduce_by_key_config_selectorIjjN6thrust23THRUST_200600_302600_NS4plusIjEEEEZZNS1_33reduce_by_key_impl_wrapped_configILNS1_25lookback_scan_determinismE0ES3_S9_NS6_6detail15normal_iteratorINS6_10device_ptrIjEEEESG_SG_SG_PmS8_22is_equal_div_10_reduceIjEEE10hipError_tPvRmT2_T3_mT4_T5_T6_T7_T8_P12ihipStream_tbENKUlT_T0_E_clISt17integral_constantIbLb1EES10_IbLb0EEEEDaSW_SX_EUlSW_E_NS1_11comp_targetILNS1_3genE3ELNS1_11target_archE908ELNS1_3gpuE7ELNS1_3repE0EEENS1_30default_config_static_selectorELNS0_4arch9wavefront6targetE1EEEvT1_,"axG",@progbits,_ZN7rocprim17ROCPRIM_400000_NS6detail17trampoline_kernelINS0_14default_configENS1_29reduce_by_key_config_selectorIjjN6thrust23THRUST_200600_302600_NS4plusIjEEEEZZNS1_33reduce_by_key_impl_wrapped_configILNS1_25lookback_scan_determinismE0ES3_S9_NS6_6detail15normal_iteratorINS6_10device_ptrIjEEEESG_SG_SG_PmS8_22is_equal_div_10_reduceIjEEE10hipError_tPvRmT2_T3_mT4_T5_T6_T7_T8_P12ihipStream_tbENKUlT_T0_E_clISt17integral_constantIbLb1EES10_IbLb0EEEEDaSW_SX_EUlSW_E_NS1_11comp_targetILNS1_3genE3ELNS1_11target_archE908ELNS1_3gpuE7ELNS1_3repE0EEENS1_30default_config_static_selectorELNS0_4arch9wavefront6targetE1EEEvT1_,comdat
.Lfunc_end375:
	.size	_ZN7rocprim17ROCPRIM_400000_NS6detail17trampoline_kernelINS0_14default_configENS1_29reduce_by_key_config_selectorIjjN6thrust23THRUST_200600_302600_NS4plusIjEEEEZZNS1_33reduce_by_key_impl_wrapped_configILNS1_25lookback_scan_determinismE0ES3_S9_NS6_6detail15normal_iteratorINS6_10device_ptrIjEEEESG_SG_SG_PmS8_22is_equal_div_10_reduceIjEEE10hipError_tPvRmT2_T3_mT4_T5_T6_T7_T8_P12ihipStream_tbENKUlT_T0_E_clISt17integral_constantIbLb1EES10_IbLb0EEEEDaSW_SX_EUlSW_E_NS1_11comp_targetILNS1_3genE3ELNS1_11target_archE908ELNS1_3gpuE7ELNS1_3repE0EEENS1_30default_config_static_selectorELNS0_4arch9wavefront6targetE1EEEvT1_, .Lfunc_end375-_ZN7rocprim17ROCPRIM_400000_NS6detail17trampoline_kernelINS0_14default_configENS1_29reduce_by_key_config_selectorIjjN6thrust23THRUST_200600_302600_NS4plusIjEEEEZZNS1_33reduce_by_key_impl_wrapped_configILNS1_25lookback_scan_determinismE0ES3_S9_NS6_6detail15normal_iteratorINS6_10device_ptrIjEEEESG_SG_SG_PmS8_22is_equal_div_10_reduceIjEEE10hipError_tPvRmT2_T3_mT4_T5_T6_T7_T8_P12ihipStream_tbENKUlT_T0_E_clISt17integral_constantIbLb1EES10_IbLb0EEEEDaSW_SX_EUlSW_E_NS1_11comp_targetILNS1_3genE3ELNS1_11target_archE908ELNS1_3gpuE7ELNS1_3repE0EEENS1_30default_config_static_selectorELNS0_4arch9wavefront6targetE1EEEvT1_
                                        ; -- End function
	.section	.AMDGPU.csdata,"",@progbits
; Kernel info:
; codeLenInByte = 0
; NumSgprs: 4
; NumVgprs: 0
; NumAgprs: 0
; TotalNumVgprs: 0
; ScratchSize: 0
; MemoryBound: 0
; FloatMode: 240
; IeeeMode: 1
; LDSByteSize: 0 bytes/workgroup (compile time only)
; SGPRBlocks: 0
; VGPRBlocks: 0
; NumSGPRsForWavesPerEU: 4
; NumVGPRsForWavesPerEU: 1
; AccumOffset: 4
; Occupancy: 8
; WaveLimiterHint : 0
; COMPUTE_PGM_RSRC2:SCRATCH_EN: 0
; COMPUTE_PGM_RSRC2:USER_SGPR: 6
; COMPUTE_PGM_RSRC2:TRAP_HANDLER: 0
; COMPUTE_PGM_RSRC2:TGID_X_EN: 1
; COMPUTE_PGM_RSRC2:TGID_Y_EN: 0
; COMPUTE_PGM_RSRC2:TGID_Z_EN: 0
; COMPUTE_PGM_RSRC2:TIDIG_COMP_CNT: 0
; COMPUTE_PGM_RSRC3_GFX90A:ACCUM_OFFSET: 0
; COMPUTE_PGM_RSRC3_GFX90A:TG_SPLIT: 0
	.section	.text._ZN7rocprim17ROCPRIM_400000_NS6detail17trampoline_kernelINS0_14default_configENS1_29reduce_by_key_config_selectorIjjN6thrust23THRUST_200600_302600_NS4plusIjEEEEZZNS1_33reduce_by_key_impl_wrapped_configILNS1_25lookback_scan_determinismE0ES3_S9_NS6_6detail15normal_iteratorINS6_10device_ptrIjEEEESG_SG_SG_PmS8_22is_equal_div_10_reduceIjEEE10hipError_tPvRmT2_T3_mT4_T5_T6_T7_T8_P12ihipStream_tbENKUlT_T0_E_clISt17integral_constantIbLb1EES10_IbLb0EEEEDaSW_SX_EUlSW_E_NS1_11comp_targetILNS1_3genE2ELNS1_11target_archE906ELNS1_3gpuE6ELNS1_3repE0EEENS1_30default_config_static_selectorELNS0_4arch9wavefront6targetE1EEEvT1_,"axG",@progbits,_ZN7rocprim17ROCPRIM_400000_NS6detail17trampoline_kernelINS0_14default_configENS1_29reduce_by_key_config_selectorIjjN6thrust23THRUST_200600_302600_NS4plusIjEEEEZZNS1_33reduce_by_key_impl_wrapped_configILNS1_25lookback_scan_determinismE0ES3_S9_NS6_6detail15normal_iteratorINS6_10device_ptrIjEEEESG_SG_SG_PmS8_22is_equal_div_10_reduceIjEEE10hipError_tPvRmT2_T3_mT4_T5_T6_T7_T8_P12ihipStream_tbENKUlT_T0_E_clISt17integral_constantIbLb1EES10_IbLb0EEEEDaSW_SX_EUlSW_E_NS1_11comp_targetILNS1_3genE2ELNS1_11target_archE906ELNS1_3gpuE6ELNS1_3repE0EEENS1_30default_config_static_selectorELNS0_4arch9wavefront6targetE1EEEvT1_,comdat
	.protected	_ZN7rocprim17ROCPRIM_400000_NS6detail17trampoline_kernelINS0_14default_configENS1_29reduce_by_key_config_selectorIjjN6thrust23THRUST_200600_302600_NS4plusIjEEEEZZNS1_33reduce_by_key_impl_wrapped_configILNS1_25lookback_scan_determinismE0ES3_S9_NS6_6detail15normal_iteratorINS6_10device_ptrIjEEEESG_SG_SG_PmS8_22is_equal_div_10_reduceIjEEE10hipError_tPvRmT2_T3_mT4_T5_T6_T7_T8_P12ihipStream_tbENKUlT_T0_E_clISt17integral_constantIbLb1EES10_IbLb0EEEEDaSW_SX_EUlSW_E_NS1_11comp_targetILNS1_3genE2ELNS1_11target_archE906ELNS1_3gpuE6ELNS1_3repE0EEENS1_30default_config_static_selectorELNS0_4arch9wavefront6targetE1EEEvT1_ ; -- Begin function _ZN7rocprim17ROCPRIM_400000_NS6detail17trampoline_kernelINS0_14default_configENS1_29reduce_by_key_config_selectorIjjN6thrust23THRUST_200600_302600_NS4plusIjEEEEZZNS1_33reduce_by_key_impl_wrapped_configILNS1_25lookback_scan_determinismE0ES3_S9_NS6_6detail15normal_iteratorINS6_10device_ptrIjEEEESG_SG_SG_PmS8_22is_equal_div_10_reduceIjEEE10hipError_tPvRmT2_T3_mT4_T5_T6_T7_T8_P12ihipStream_tbENKUlT_T0_E_clISt17integral_constantIbLb1EES10_IbLb0EEEEDaSW_SX_EUlSW_E_NS1_11comp_targetILNS1_3genE2ELNS1_11target_archE906ELNS1_3gpuE6ELNS1_3repE0EEENS1_30default_config_static_selectorELNS0_4arch9wavefront6targetE1EEEvT1_
	.globl	_ZN7rocprim17ROCPRIM_400000_NS6detail17trampoline_kernelINS0_14default_configENS1_29reduce_by_key_config_selectorIjjN6thrust23THRUST_200600_302600_NS4plusIjEEEEZZNS1_33reduce_by_key_impl_wrapped_configILNS1_25lookback_scan_determinismE0ES3_S9_NS6_6detail15normal_iteratorINS6_10device_ptrIjEEEESG_SG_SG_PmS8_22is_equal_div_10_reduceIjEEE10hipError_tPvRmT2_T3_mT4_T5_T6_T7_T8_P12ihipStream_tbENKUlT_T0_E_clISt17integral_constantIbLb1EES10_IbLb0EEEEDaSW_SX_EUlSW_E_NS1_11comp_targetILNS1_3genE2ELNS1_11target_archE906ELNS1_3gpuE6ELNS1_3repE0EEENS1_30default_config_static_selectorELNS0_4arch9wavefront6targetE1EEEvT1_
	.p2align	8
	.type	_ZN7rocprim17ROCPRIM_400000_NS6detail17trampoline_kernelINS0_14default_configENS1_29reduce_by_key_config_selectorIjjN6thrust23THRUST_200600_302600_NS4plusIjEEEEZZNS1_33reduce_by_key_impl_wrapped_configILNS1_25lookback_scan_determinismE0ES3_S9_NS6_6detail15normal_iteratorINS6_10device_ptrIjEEEESG_SG_SG_PmS8_22is_equal_div_10_reduceIjEEE10hipError_tPvRmT2_T3_mT4_T5_T6_T7_T8_P12ihipStream_tbENKUlT_T0_E_clISt17integral_constantIbLb1EES10_IbLb0EEEEDaSW_SX_EUlSW_E_NS1_11comp_targetILNS1_3genE2ELNS1_11target_archE906ELNS1_3gpuE6ELNS1_3repE0EEENS1_30default_config_static_selectorELNS0_4arch9wavefront6targetE1EEEvT1_,@function
_ZN7rocprim17ROCPRIM_400000_NS6detail17trampoline_kernelINS0_14default_configENS1_29reduce_by_key_config_selectorIjjN6thrust23THRUST_200600_302600_NS4plusIjEEEEZZNS1_33reduce_by_key_impl_wrapped_configILNS1_25lookback_scan_determinismE0ES3_S9_NS6_6detail15normal_iteratorINS6_10device_ptrIjEEEESG_SG_SG_PmS8_22is_equal_div_10_reduceIjEEE10hipError_tPvRmT2_T3_mT4_T5_T6_T7_T8_P12ihipStream_tbENKUlT_T0_E_clISt17integral_constantIbLb1EES10_IbLb0EEEEDaSW_SX_EUlSW_E_NS1_11comp_targetILNS1_3genE2ELNS1_11target_archE906ELNS1_3gpuE6ELNS1_3repE0EEENS1_30default_config_static_selectorELNS0_4arch9wavefront6targetE1EEEvT1_: ; @_ZN7rocprim17ROCPRIM_400000_NS6detail17trampoline_kernelINS0_14default_configENS1_29reduce_by_key_config_selectorIjjN6thrust23THRUST_200600_302600_NS4plusIjEEEEZZNS1_33reduce_by_key_impl_wrapped_configILNS1_25lookback_scan_determinismE0ES3_S9_NS6_6detail15normal_iteratorINS6_10device_ptrIjEEEESG_SG_SG_PmS8_22is_equal_div_10_reduceIjEEE10hipError_tPvRmT2_T3_mT4_T5_T6_T7_T8_P12ihipStream_tbENKUlT_T0_E_clISt17integral_constantIbLb1EES10_IbLb0EEEEDaSW_SX_EUlSW_E_NS1_11comp_targetILNS1_3genE2ELNS1_11target_archE906ELNS1_3gpuE6ELNS1_3repE0EEENS1_30default_config_static_selectorELNS0_4arch9wavefront6targetE1EEEvT1_
; %bb.0:
	.section	.rodata,"a",@progbits
	.p2align	6, 0x0
	.amdhsa_kernel _ZN7rocprim17ROCPRIM_400000_NS6detail17trampoline_kernelINS0_14default_configENS1_29reduce_by_key_config_selectorIjjN6thrust23THRUST_200600_302600_NS4plusIjEEEEZZNS1_33reduce_by_key_impl_wrapped_configILNS1_25lookback_scan_determinismE0ES3_S9_NS6_6detail15normal_iteratorINS6_10device_ptrIjEEEESG_SG_SG_PmS8_22is_equal_div_10_reduceIjEEE10hipError_tPvRmT2_T3_mT4_T5_T6_T7_T8_P12ihipStream_tbENKUlT_T0_E_clISt17integral_constantIbLb1EES10_IbLb0EEEEDaSW_SX_EUlSW_E_NS1_11comp_targetILNS1_3genE2ELNS1_11target_archE906ELNS1_3gpuE6ELNS1_3repE0EEENS1_30default_config_static_selectorELNS0_4arch9wavefront6targetE1EEEvT1_
		.amdhsa_group_segment_fixed_size 0
		.amdhsa_private_segment_fixed_size 0
		.amdhsa_kernarg_size 120
		.amdhsa_user_sgpr_count 6
		.amdhsa_user_sgpr_private_segment_buffer 1
		.amdhsa_user_sgpr_dispatch_ptr 0
		.amdhsa_user_sgpr_queue_ptr 0
		.amdhsa_user_sgpr_kernarg_segment_ptr 1
		.amdhsa_user_sgpr_dispatch_id 0
		.amdhsa_user_sgpr_flat_scratch_init 0
		.amdhsa_user_sgpr_kernarg_preload_length 0
		.amdhsa_user_sgpr_kernarg_preload_offset 0
		.amdhsa_user_sgpr_private_segment_size 0
		.amdhsa_uses_dynamic_stack 0
		.amdhsa_system_sgpr_private_segment_wavefront_offset 0
		.amdhsa_system_sgpr_workgroup_id_x 1
		.amdhsa_system_sgpr_workgroup_id_y 0
		.amdhsa_system_sgpr_workgroup_id_z 0
		.amdhsa_system_sgpr_workgroup_info 0
		.amdhsa_system_vgpr_workitem_id 0
		.amdhsa_next_free_vgpr 1
		.amdhsa_next_free_sgpr 0
		.amdhsa_accum_offset 4
		.amdhsa_reserve_vcc 0
		.amdhsa_reserve_flat_scratch 0
		.amdhsa_float_round_mode_32 0
		.amdhsa_float_round_mode_16_64 0
		.amdhsa_float_denorm_mode_32 3
		.amdhsa_float_denorm_mode_16_64 3
		.amdhsa_dx10_clamp 1
		.amdhsa_ieee_mode 1
		.amdhsa_fp16_overflow 0
		.amdhsa_tg_split 0
		.amdhsa_exception_fp_ieee_invalid_op 0
		.amdhsa_exception_fp_denorm_src 0
		.amdhsa_exception_fp_ieee_div_zero 0
		.amdhsa_exception_fp_ieee_overflow 0
		.amdhsa_exception_fp_ieee_underflow 0
		.amdhsa_exception_fp_ieee_inexact 0
		.amdhsa_exception_int_div_zero 0
	.end_amdhsa_kernel
	.section	.text._ZN7rocprim17ROCPRIM_400000_NS6detail17trampoline_kernelINS0_14default_configENS1_29reduce_by_key_config_selectorIjjN6thrust23THRUST_200600_302600_NS4plusIjEEEEZZNS1_33reduce_by_key_impl_wrapped_configILNS1_25lookback_scan_determinismE0ES3_S9_NS6_6detail15normal_iteratorINS6_10device_ptrIjEEEESG_SG_SG_PmS8_22is_equal_div_10_reduceIjEEE10hipError_tPvRmT2_T3_mT4_T5_T6_T7_T8_P12ihipStream_tbENKUlT_T0_E_clISt17integral_constantIbLb1EES10_IbLb0EEEEDaSW_SX_EUlSW_E_NS1_11comp_targetILNS1_3genE2ELNS1_11target_archE906ELNS1_3gpuE6ELNS1_3repE0EEENS1_30default_config_static_selectorELNS0_4arch9wavefront6targetE1EEEvT1_,"axG",@progbits,_ZN7rocprim17ROCPRIM_400000_NS6detail17trampoline_kernelINS0_14default_configENS1_29reduce_by_key_config_selectorIjjN6thrust23THRUST_200600_302600_NS4plusIjEEEEZZNS1_33reduce_by_key_impl_wrapped_configILNS1_25lookback_scan_determinismE0ES3_S9_NS6_6detail15normal_iteratorINS6_10device_ptrIjEEEESG_SG_SG_PmS8_22is_equal_div_10_reduceIjEEE10hipError_tPvRmT2_T3_mT4_T5_T6_T7_T8_P12ihipStream_tbENKUlT_T0_E_clISt17integral_constantIbLb1EES10_IbLb0EEEEDaSW_SX_EUlSW_E_NS1_11comp_targetILNS1_3genE2ELNS1_11target_archE906ELNS1_3gpuE6ELNS1_3repE0EEENS1_30default_config_static_selectorELNS0_4arch9wavefront6targetE1EEEvT1_,comdat
.Lfunc_end376:
	.size	_ZN7rocprim17ROCPRIM_400000_NS6detail17trampoline_kernelINS0_14default_configENS1_29reduce_by_key_config_selectorIjjN6thrust23THRUST_200600_302600_NS4plusIjEEEEZZNS1_33reduce_by_key_impl_wrapped_configILNS1_25lookback_scan_determinismE0ES3_S9_NS6_6detail15normal_iteratorINS6_10device_ptrIjEEEESG_SG_SG_PmS8_22is_equal_div_10_reduceIjEEE10hipError_tPvRmT2_T3_mT4_T5_T6_T7_T8_P12ihipStream_tbENKUlT_T0_E_clISt17integral_constantIbLb1EES10_IbLb0EEEEDaSW_SX_EUlSW_E_NS1_11comp_targetILNS1_3genE2ELNS1_11target_archE906ELNS1_3gpuE6ELNS1_3repE0EEENS1_30default_config_static_selectorELNS0_4arch9wavefront6targetE1EEEvT1_, .Lfunc_end376-_ZN7rocprim17ROCPRIM_400000_NS6detail17trampoline_kernelINS0_14default_configENS1_29reduce_by_key_config_selectorIjjN6thrust23THRUST_200600_302600_NS4plusIjEEEEZZNS1_33reduce_by_key_impl_wrapped_configILNS1_25lookback_scan_determinismE0ES3_S9_NS6_6detail15normal_iteratorINS6_10device_ptrIjEEEESG_SG_SG_PmS8_22is_equal_div_10_reduceIjEEE10hipError_tPvRmT2_T3_mT4_T5_T6_T7_T8_P12ihipStream_tbENKUlT_T0_E_clISt17integral_constantIbLb1EES10_IbLb0EEEEDaSW_SX_EUlSW_E_NS1_11comp_targetILNS1_3genE2ELNS1_11target_archE906ELNS1_3gpuE6ELNS1_3repE0EEENS1_30default_config_static_selectorELNS0_4arch9wavefront6targetE1EEEvT1_
                                        ; -- End function
	.section	.AMDGPU.csdata,"",@progbits
; Kernel info:
; codeLenInByte = 0
; NumSgprs: 4
; NumVgprs: 0
; NumAgprs: 0
; TotalNumVgprs: 0
; ScratchSize: 0
; MemoryBound: 0
; FloatMode: 240
; IeeeMode: 1
; LDSByteSize: 0 bytes/workgroup (compile time only)
; SGPRBlocks: 0
; VGPRBlocks: 0
; NumSGPRsForWavesPerEU: 4
; NumVGPRsForWavesPerEU: 1
; AccumOffset: 4
; Occupancy: 8
; WaveLimiterHint : 0
; COMPUTE_PGM_RSRC2:SCRATCH_EN: 0
; COMPUTE_PGM_RSRC2:USER_SGPR: 6
; COMPUTE_PGM_RSRC2:TRAP_HANDLER: 0
; COMPUTE_PGM_RSRC2:TGID_X_EN: 1
; COMPUTE_PGM_RSRC2:TGID_Y_EN: 0
; COMPUTE_PGM_RSRC2:TGID_Z_EN: 0
; COMPUTE_PGM_RSRC2:TIDIG_COMP_CNT: 0
; COMPUTE_PGM_RSRC3_GFX90A:ACCUM_OFFSET: 0
; COMPUTE_PGM_RSRC3_GFX90A:TG_SPLIT: 0
	.section	.text._ZN7rocprim17ROCPRIM_400000_NS6detail17trampoline_kernelINS0_14default_configENS1_29reduce_by_key_config_selectorIjjN6thrust23THRUST_200600_302600_NS4plusIjEEEEZZNS1_33reduce_by_key_impl_wrapped_configILNS1_25lookback_scan_determinismE0ES3_S9_NS6_6detail15normal_iteratorINS6_10device_ptrIjEEEESG_SG_SG_PmS8_22is_equal_div_10_reduceIjEEE10hipError_tPvRmT2_T3_mT4_T5_T6_T7_T8_P12ihipStream_tbENKUlT_T0_E_clISt17integral_constantIbLb1EES10_IbLb0EEEEDaSW_SX_EUlSW_E_NS1_11comp_targetILNS1_3genE10ELNS1_11target_archE1201ELNS1_3gpuE5ELNS1_3repE0EEENS1_30default_config_static_selectorELNS0_4arch9wavefront6targetE1EEEvT1_,"axG",@progbits,_ZN7rocprim17ROCPRIM_400000_NS6detail17trampoline_kernelINS0_14default_configENS1_29reduce_by_key_config_selectorIjjN6thrust23THRUST_200600_302600_NS4plusIjEEEEZZNS1_33reduce_by_key_impl_wrapped_configILNS1_25lookback_scan_determinismE0ES3_S9_NS6_6detail15normal_iteratorINS6_10device_ptrIjEEEESG_SG_SG_PmS8_22is_equal_div_10_reduceIjEEE10hipError_tPvRmT2_T3_mT4_T5_T6_T7_T8_P12ihipStream_tbENKUlT_T0_E_clISt17integral_constantIbLb1EES10_IbLb0EEEEDaSW_SX_EUlSW_E_NS1_11comp_targetILNS1_3genE10ELNS1_11target_archE1201ELNS1_3gpuE5ELNS1_3repE0EEENS1_30default_config_static_selectorELNS0_4arch9wavefront6targetE1EEEvT1_,comdat
	.protected	_ZN7rocprim17ROCPRIM_400000_NS6detail17trampoline_kernelINS0_14default_configENS1_29reduce_by_key_config_selectorIjjN6thrust23THRUST_200600_302600_NS4plusIjEEEEZZNS1_33reduce_by_key_impl_wrapped_configILNS1_25lookback_scan_determinismE0ES3_S9_NS6_6detail15normal_iteratorINS6_10device_ptrIjEEEESG_SG_SG_PmS8_22is_equal_div_10_reduceIjEEE10hipError_tPvRmT2_T3_mT4_T5_T6_T7_T8_P12ihipStream_tbENKUlT_T0_E_clISt17integral_constantIbLb1EES10_IbLb0EEEEDaSW_SX_EUlSW_E_NS1_11comp_targetILNS1_3genE10ELNS1_11target_archE1201ELNS1_3gpuE5ELNS1_3repE0EEENS1_30default_config_static_selectorELNS0_4arch9wavefront6targetE1EEEvT1_ ; -- Begin function _ZN7rocprim17ROCPRIM_400000_NS6detail17trampoline_kernelINS0_14default_configENS1_29reduce_by_key_config_selectorIjjN6thrust23THRUST_200600_302600_NS4plusIjEEEEZZNS1_33reduce_by_key_impl_wrapped_configILNS1_25lookback_scan_determinismE0ES3_S9_NS6_6detail15normal_iteratorINS6_10device_ptrIjEEEESG_SG_SG_PmS8_22is_equal_div_10_reduceIjEEE10hipError_tPvRmT2_T3_mT4_T5_T6_T7_T8_P12ihipStream_tbENKUlT_T0_E_clISt17integral_constantIbLb1EES10_IbLb0EEEEDaSW_SX_EUlSW_E_NS1_11comp_targetILNS1_3genE10ELNS1_11target_archE1201ELNS1_3gpuE5ELNS1_3repE0EEENS1_30default_config_static_selectorELNS0_4arch9wavefront6targetE1EEEvT1_
	.globl	_ZN7rocprim17ROCPRIM_400000_NS6detail17trampoline_kernelINS0_14default_configENS1_29reduce_by_key_config_selectorIjjN6thrust23THRUST_200600_302600_NS4plusIjEEEEZZNS1_33reduce_by_key_impl_wrapped_configILNS1_25lookback_scan_determinismE0ES3_S9_NS6_6detail15normal_iteratorINS6_10device_ptrIjEEEESG_SG_SG_PmS8_22is_equal_div_10_reduceIjEEE10hipError_tPvRmT2_T3_mT4_T5_T6_T7_T8_P12ihipStream_tbENKUlT_T0_E_clISt17integral_constantIbLb1EES10_IbLb0EEEEDaSW_SX_EUlSW_E_NS1_11comp_targetILNS1_3genE10ELNS1_11target_archE1201ELNS1_3gpuE5ELNS1_3repE0EEENS1_30default_config_static_selectorELNS0_4arch9wavefront6targetE1EEEvT1_
	.p2align	8
	.type	_ZN7rocprim17ROCPRIM_400000_NS6detail17trampoline_kernelINS0_14default_configENS1_29reduce_by_key_config_selectorIjjN6thrust23THRUST_200600_302600_NS4plusIjEEEEZZNS1_33reduce_by_key_impl_wrapped_configILNS1_25lookback_scan_determinismE0ES3_S9_NS6_6detail15normal_iteratorINS6_10device_ptrIjEEEESG_SG_SG_PmS8_22is_equal_div_10_reduceIjEEE10hipError_tPvRmT2_T3_mT4_T5_T6_T7_T8_P12ihipStream_tbENKUlT_T0_E_clISt17integral_constantIbLb1EES10_IbLb0EEEEDaSW_SX_EUlSW_E_NS1_11comp_targetILNS1_3genE10ELNS1_11target_archE1201ELNS1_3gpuE5ELNS1_3repE0EEENS1_30default_config_static_selectorELNS0_4arch9wavefront6targetE1EEEvT1_,@function
_ZN7rocprim17ROCPRIM_400000_NS6detail17trampoline_kernelINS0_14default_configENS1_29reduce_by_key_config_selectorIjjN6thrust23THRUST_200600_302600_NS4plusIjEEEEZZNS1_33reduce_by_key_impl_wrapped_configILNS1_25lookback_scan_determinismE0ES3_S9_NS6_6detail15normal_iteratorINS6_10device_ptrIjEEEESG_SG_SG_PmS8_22is_equal_div_10_reduceIjEEE10hipError_tPvRmT2_T3_mT4_T5_T6_T7_T8_P12ihipStream_tbENKUlT_T0_E_clISt17integral_constantIbLb1EES10_IbLb0EEEEDaSW_SX_EUlSW_E_NS1_11comp_targetILNS1_3genE10ELNS1_11target_archE1201ELNS1_3gpuE5ELNS1_3repE0EEENS1_30default_config_static_selectorELNS0_4arch9wavefront6targetE1EEEvT1_: ; @_ZN7rocprim17ROCPRIM_400000_NS6detail17trampoline_kernelINS0_14default_configENS1_29reduce_by_key_config_selectorIjjN6thrust23THRUST_200600_302600_NS4plusIjEEEEZZNS1_33reduce_by_key_impl_wrapped_configILNS1_25lookback_scan_determinismE0ES3_S9_NS6_6detail15normal_iteratorINS6_10device_ptrIjEEEESG_SG_SG_PmS8_22is_equal_div_10_reduceIjEEE10hipError_tPvRmT2_T3_mT4_T5_T6_T7_T8_P12ihipStream_tbENKUlT_T0_E_clISt17integral_constantIbLb1EES10_IbLb0EEEEDaSW_SX_EUlSW_E_NS1_11comp_targetILNS1_3genE10ELNS1_11target_archE1201ELNS1_3gpuE5ELNS1_3repE0EEENS1_30default_config_static_selectorELNS0_4arch9wavefront6targetE1EEEvT1_
; %bb.0:
	.section	.rodata,"a",@progbits
	.p2align	6, 0x0
	.amdhsa_kernel _ZN7rocprim17ROCPRIM_400000_NS6detail17trampoline_kernelINS0_14default_configENS1_29reduce_by_key_config_selectorIjjN6thrust23THRUST_200600_302600_NS4plusIjEEEEZZNS1_33reduce_by_key_impl_wrapped_configILNS1_25lookback_scan_determinismE0ES3_S9_NS6_6detail15normal_iteratorINS6_10device_ptrIjEEEESG_SG_SG_PmS8_22is_equal_div_10_reduceIjEEE10hipError_tPvRmT2_T3_mT4_T5_T6_T7_T8_P12ihipStream_tbENKUlT_T0_E_clISt17integral_constantIbLb1EES10_IbLb0EEEEDaSW_SX_EUlSW_E_NS1_11comp_targetILNS1_3genE10ELNS1_11target_archE1201ELNS1_3gpuE5ELNS1_3repE0EEENS1_30default_config_static_selectorELNS0_4arch9wavefront6targetE1EEEvT1_
		.amdhsa_group_segment_fixed_size 0
		.amdhsa_private_segment_fixed_size 0
		.amdhsa_kernarg_size 120
		.amdhsa_user_sgpr_count 6
		.amdhsa_user_sgpr_private_segment_buffer 1
		.amdhsa_user_sgpr_dispatch_ptr 0
		.amdhsa_user_sgpr_queue_ptr 0
		.amdhsa_user_sgpr_kernarg_segment_ptr 1
		.amdhsa_user_sgpr_dispatch_id 0
		.amdhsa_user_sgpr_flat_scratch_init 0
		.amdhsa_user_sgpr_kernarg_preload_length 0
		.amdhsa_user_sgpr_kernarg_preload_offset 0
		.amdhsa_user_sgpr_private_segment_size 0
		.amdhsa_uses_dynamic_stack 0
		.amdhsa_system_sgpr_private_segment_wavefront_offset 0
		.amdhsa_system_sgpr_workgroup_id_x 1
		.amdhsa_system_sgpr_workgroup_id_y 0
		.amdhsa_system_sgpr_workgroup_id_z 0
		.amdhsa_system_sgpr_workgroup_info 0
		.amdhsa_system_vgpr_workitem_id 0
		.amdhsa_next_free_vgpr 1
		.amdhsa_next_free_sgpr 0
		.amdhsa_accum_offset 4
		.amdhsa_reserve_vcc 0
		.amdhsa_reserve_flat_scratch 0
		.amdhsa_float_round_mode_32 0
		.amdhsa_float_round_mode_16_64 0
		.amdhsa_float_denorm_mode_32 3
		.amdhsa_float_denorm_mode_16_64 3
		.amdhsa_dx10_clamp 1
		.amdhsa_ieee_mode 1
		.amdhsa_fp16_overflow 0
		.amdhsa_tg_split 0
		.amdhsa_exception_fp_ieee_invalid_op 0
		.amdhsa_exception_fp_denorm_src 0
		.amdhsa_exception_fp_ieee_div_zero 0
		.amdhsa_exception_fp_ieee_overflow 0
		.amdhsa_exception_fp_ieee_underflow 0
		.amdhsa_exception_fp_ieee_inexact 0
		.amdhsa_exception_int_div_zero 0
	.end_amdhsa_kernel
	.section	.text._ZN7rocprim17ROCPRIM_400000_NS6detail17trampoline_kernelINS0_14default_configENS1_29reduce_by_key_config_selectorIjjN6thrust23THRUST_200600_302600_NS4plusIjEEEEZZNS1_33reduce_by_key_impl_wrapped_configILNS1_25lookback_scan_determinismE0ES3_S9_NS6_6detail15normal_iteratorINS6_10device_ptrIjEEEESG_SG_SG_PmS8_22is_equal_div_10_reduceIjEEE10hipError_tPvRmT2_T3_mT4_T5_T6_T7_T8_P12ihipStream_tbENKUlT_T0_E_clISt17integral_constantIbLb1EES10_IbLb0EEEEDaSW_SX_EUlSW_E_NS1_11comp_targetILNS1_3genE10ELNS1_11target_archE1201ELNS1_3gpuE5ELNS1_3repE0EEENS1_30default_config_static_selectorELNS0_4arch9wavefront6targetE1EEEvT1_,"axG",@progbits,_ZN7rocprim17ROCPRIM_400000_NS6detail17trampoline_kernelINS0_14default_configENS1_29reduce_by_key_config_selectorIjjN6thrust23THRUST_200600_302600_NS4plusIjEEEEZZNS1_33reduce_by_key_impl_wrapped_configILNS1_25lookback_scan_determinismE0ES3_S9_NS6_6detail15normal_iteratorINS6_10device_ptrIjEEEESG_SG_SG_PmS8_22is_equal_div_10_reduceIjEEE10hipError_tPvRmT2_T3_mT4_T5_T6_T7_T8_P12ihipStream_tbENKUlT_T0_E_clISt17integral_constantIbLb1EES10_IbLb0EEEEDaSW_SX_EUlSW_E_NS1_11comp_targetILNS1_3genE10ELNS1_11target_archE1201ELNS1_3gpuE5ELNS1_3repE0EEENS1_30default_config_static_selectorELNS0_4arch9wavefront6targetE1EEEvT1_,comdat
.Lfunc_end377:
	.size	_ZN7rocprim17ROCPRIM_400000_NS6detail17trampoline_kernelINS0_14default_configENS1_29reduce_by_key_config_selectorIjjN6thrust23THRUST_200600_302600_NS4plusIjEEEEZZNS1_33reduce_by_key_impl_wrapped_configILNS1_25lookback_scan_determinismE0ES3_S9_NS6_6detail15normal_iteratorINS6_10device_ptrIjEEEESG_SG_SG_PmS8_22is_equal_div_10_reduceIjEEE10hipError_tPvRmT2_T3_mT4_T5_T6_T7_T8_P12ihipStream_tbENKUlT_T0_E_clISt17integral_constantIbLb1EES10_IbLb0EEEEDaSW_SX_EUlSW_E_NS1_11comp_targetILNS1_3genE10ELNS1_11target_archE1201ELNS1_3gpuE5ELNS1_3repE0EEENS1_30default_config_static_selectorELNS0_4arch9wavefront6targetE1EEEvT1_, .Lfunc_end377-_ZN7rocprim17ROCPRIM_400000_NS6detail17trampoline_kernelINS0_14default_configENS1_29reduce_by_key_config_selectorIjjN6thrust23THRUST_200600_302600_NS4plusIjEEEEZZNS1_33reduce_by_key_impl_wrapped_configILNS1_25lookback_scan_determinismE0ES3_S9_NS6_6detail15normal_iteratorINS6_10device_ptrIjEEEESG_SG_SG_PmS8_22is_equal_div_10_reduceIjEEE10hipError_tPvRmT2_T3_mT4_T5_T6_T7_T8_P12ihipStream_tbENKUlT_T0_E_clISt17integral_constantIbLb1EES10_IbLb0EEEEDaSW_SX_EUlSW_E_NS1_11comp_targetILNS1_3genE10ELNS1_11target_archE1201ELNS1_3gpuE5ELNS1_3repE0EEENS1_30default_config_static_selectorELNS0_4arch9wavefront6targetE1EEEvT1_
                                        ; -- End function
	.section	.AMDGPU.csdata,"",@progbits
; Kernel info:
; codeLenInByte = 0
; NumSgprs: 4
; NumVgprs: 0
; NumAgprs: 0
; TotalNumVgprs: 0
; ScratchSize: 0
; MemoryBound: 0
; FloatMode: 240
; IeeeMode: 1
; LDSByteSize: 0 bytes/workgroup (compile time only)
; SGPRBlocks: 0
; VGPRBlocks: 0
; NumSGPRsForWavesPerEU: 4
; NumVGPRsForWavesPerEU: 1
; AccumOffset: 4
; Occupancy: 8
; WaveLimiterHint : 0
; COMPUTE_PGM_RSRC2:SCRATCH_EN: 0
; COMPUTE_PGM_RSRC2:USER_SGPR: 6
; COMPUTE_PGM_RSRC2:TRAP_HANDLER: 0
; COMPUTE_PGM_RSRC2:TGID_X_EN: 1
; COMPUTE_PGM_RSRC2:TGID_Y_EN: 0
; COMPUTE_PGM_RSRC2:TGID_Z_EN: 0
; COMPUTE_PGM_RSRC2:TIDIG_COMP_CNT: 0
; COMPUTE_PGM_RSRC3_GFX90A:ACCUM_OFFSET: 0
; COMPUTE_PGM_RSRC3_GFX90A:TG_SPLIT: 0
	.section	.text._ZN7rocprim17ROCPRIM_400000_NS6detail17trampoline_kernelINS0_14default_configENS1_29reduce_by_key_config_selectorIjjN6thrust23THRUST_200600_302600_NS4plusIjEEEEZZNS1_33reduce_by_key_impl_wrapped_configILNS1_25lookback_scan_determinismE0ES3_S9_NS6_6detail15normal_iteratorINS6_10device_ptrIjEEEESG_SG_SG_PmS8_22is_equal_div_10_reduceIjEEE10hipError_tPvRmT2_T3_mT4_T5_T6_T7_T8_P12ihipStream_tbENKUlT_T0_E_clISt17integral_constantIbLb1EES10_IbLb0EEEEDaSW_SX_EUlSW_E_NS1_11comp_targetILNS1_3genE10ELNS1_11target_archE1200ELNS1_3gpuE4ELNS1_3repE0EEENS1_30default_config_static_selectorELNS0_4arch9wavefront6targetE1EEEvT1_,"axG",@progbits,_ZN7rocprim17ROCPRIM_400000_NS6detail17trampoline_kernelINS0_14default_configENS1_29reduce_by_key_config_selectorIjjN6thrust23THRUST_200600_302600_NS4plusIjEEEEZZNS1_33reduce_by_key_impl_wrapped_configILNS1_25lookback_scan_determinismE0ES3_S9_NS6_6detail15normal_iteratorINS6_10device_ptrIjEEEESG_SG_SG_PmS8_22is_equal_div_10_reduceIjEEE10hipError_tPvRmT2_T3_mT4_T5_T6_T7_T8_P12ihipStream_tbENKUlT_T0_E_clISt17integral_constantIbLb1EES10_IbLb0EEEEDaSW_SX_EUlSW_E_NS1_11comp_targetILNS1_3genE10ELNS1_11target_archE1200ELNS1_3gpuE4ELNS1_3repE0EEENS1_30default_config_static_selectorELNS0_4arch9wavefront6targetE1EEEvT1_,comdat
	.protected	_ZN7rocprim17ROCPRIM_400000_NS6detail17trampoline_kernelINS0_14default_configENS1_29reduce_by_key_config_selectorIjjN6thrust23THRUST_200600_302600_NS4plusIjEEEEZZNS1_33reduce_by_key_impl_wrapped_configILNS1_25lookback_scan_determinismE0ES3_S9_NS6_6detail15normal_iteratorINS6_10device_ptrIjEEEESG_SG_SG_PmS8_22is_equal_div_10_reduceIjEEE10hipError_tPvRmT2_T3_mT4_T5_T6_T7_T8_P12ihipStream_tbENKUlT_T0_E_clISt17integral_constantIbLb1EES10_IbLb0EEEEDaSW_SX_EUlSW_E_NS1_11comp_targetILNS1_3genE10ELNS1_11target_archE1200ELNS1_3gpuE4ELNS1_3repE0EEENS1_30default_config_static_selectorELNS0_4arch9wavefront6targetE1EEEvT1_ ; -- Begin function _ZN7rocprim17ROCPRIM_400000_NS6detail17trampoline_kernelINS0_14default_configENS1_29reduce_by_key_config_selectorIjjN6thrust23THRUST_200600_302600_NS4plusIjEEEEZZNS1_33reduce_by_key_impl_wrapped_configILNS1_25lookback_scan_determinismE0ES3_S9_NS6_6detail15normal_iteratorINS6_10device_ptrIjEEEESG_SG_SG_PmS8_22is_equal_div_10_reduceIjEEE10hipError_tPvRmT2_T3_mT4_T5_T6_T7_T8_P12ihipStream_tbENKUlT_T0_E_clISt17integral_constantIbLb1EES10_IbLb0EEEEDaSW_SX_EUlSW_E_NS1_11comp_targetILNS1_3genE10ELNS1_11target_archE1200ELNS1_3gpuE4ELNS1_3repE0EEENS1_30default_config_static_selectorELNS0_4arch9wavefront6targetE1EEEvT1_
	.globl	_ZN7rocprim17ROCPRIM_400000_NS6detail17trampoline_kernelINS0_14default_configENS1_29reduce_by_key_config_selectorIjjN6thrust23THRUST_200600_302600_NS4plusIjEEEEZZNS1_33reduce_by_key_impl_wrapped_configILNS1_25lookback_scan_determinismE0ES3_S9_NS6_6detail15normal_iteratorINS6_10device_ptrIjEEEESG_SG_SG_PmS8_22is_equal_div_10_reduceIjEEE10hipError_tPvRmT2_T3_mT4_T5_T6_T7_T8_P12ihipStream_tbENKUlT_T0_E_clISt17integral_constantIbLb1EES10_IbLb0EEEEDaSW_SX_EUlSW_E_NS1_11comp_targetILNS1_3genE10ELNS1_11target_archE1200ELNS1_3gpuE4ELNS1_3repE0EEENS1_30default_config_static_selectorELNS0_4arch9wavefront6targetE1EEEvT1_
	.p2align	8
	.type	_ZN7rocprim17ROCPRIM_400000_NS6detail17trampoline_kernelINS0_14default_configENS1_29reduce_by_key_config_selectorIjjN6thrust23THRUST_200600_302600_NS4plusIjEEEEZZNS1_33reduce_by_key_impl_wrapped_configILNS1_25lookback_scan_determinismE0ES3_S9_NS6_6detail15normal_iteratorINS6_10device_ptrIjEEEESG_SG_SG_PmS8_22is_equal_div_10_reduceIjEEE10hipError_tPvRmT2_T3_mT4_T5_T6_T7_T8_P12ihipStream_tbENKUlT_T0_E_clISt17integral_constantIbLb1EES10_IbLb0EEEEDaSW_SX_EUlSW_E_NS1_11comp_targetILNS1_3genE10ELNS1_11target_archE1200ELNS1_3gpuE4ELNS1_3repE0EEENS1_30default_config_static_selectorELNS0_4arch9wavefront6targetE1EEEvT1_,@function
_ZN7rocprim17ROCPRIM_400000_NS6detail17trampoline_kernelINS0_14default_configENS1_29reduce_by_key_config_selectorIjjN6thrust23THRUST_200600_302600_NS4plusIjEEEEZZNS1_33reduce_by_key_impl_wrapped_configILNS1_25lookback_scan_determinismE0ES3_S9_NS6_6detail15normal_iteratorINS6_10device_ptrIjEEEESG_SG_SG_PmS8_22is_equal_div_10_reduceIjEEE10hipError_tPvRmT2_T3_mT4_T5_T6_T7_T8_P12ihipStream_tbENKUlT_T0_E_clISt17integral_constantIbLb1EES10_IbLb0EEEEDaSW_SX_EUlSW_E_NS1_11comp_targetILNS1_3genE10ELNS1_11target_archE1200ELNS1_3gpuE4ELNS1_3repE0EEENS1_30default_config_static_selectorELNS0_4arch9wavefront6targetE1EEEvT1_: ; @_ZN7rocprim17ROCPRIM_400000_NS6detail17trampoline_kernelINS0_14default_configENS1_29reduce_by_key_config_selectorIjjN6thrust23THRUST_200600_302600_NS4plusIjEEEEZZNS1_33reduce_by_key_impl_wrapped_configILNS1_25lookback_scan_determinismE0ES3_S9_NS6_6detail15normal_iteratorINS6_10device_ptrIjEEEESG_SG_SG_PmS8_22is_equal_div_10_reduceIjEEE10hipError_tPvRmT2_T3_mT4_T5_T6_T7_T8_P12ihipStream_tbENKUlT_T0_E_clISt17integral_constantIbLb1EES10_IbLb0EEEEDaSW_SX_EUlSW_E_NS1_11comp_targetILNS1_3genE10ELNS1_11target_archE1200ELNS1_3gpuE4ELNS1_3repE0EEENS1_30default_config_static_selectorELNS0_4arch9wavefront6targetE1EEEvT1_
; %bb.0:
	.section	.rodata,"a",@progbits
	.p2align	6, 0x0
	.amdhsa_kernel _ZN7rocprim17ROCPRIM_400000_NS6detail17trampoline_kernelINS0_14default_configENS1_29reduce_by_key_config_selectorIjjN6thrust23THRUST_200600_302600_NS4plusIjEEEEZZNS1_33reduce_by_key_impl_wrapped_configILNS1_25lookback_scan_determinismE0ES3_S9_NS6_6detail15normal_iteratorINS6_10device_ptrIjEEEESG_SG_SG_PmS8_22is_equal_div_10_reduceIjEEE10hipError_tPvRmT2_T3_mT4_T5_T6_T7_T8_P12ihipStream_tbENKUlT_T0_E_clISt17integral_constantIbLb1EES10_IbLb0EEEEDaSW_SX_EUlSW_E_NS1_11comp_targetILNS1_3genE10ELNS1_11target_archE1200ELNS1_3gpuE4ELNS1_3repE0EEENS1_30default_config_static_selectorELNS0_4arch9wavefront6targetE1EEEvT1_
		.amdhsa_group_segment_fixed_size 0
		.amdhsa_private_segment_fixed_size 0
		.amdhsa_kernarg_size 120
		.amdhsa_user_sgpr_count 6
		.amdhsa_user_sgpr_private_segment_buffer 1
		.amdhsa_user_sgpr_dispatch_ptr 0
		.amdhsa_user_sgpr_queue_ptr 0
		.amdhsa_user_sgpr_kernarg_segment_ptr 1
		.amdhsa_user_sgpr_dispatch_id 0
		.amdhsa_user_sgpr_flat_scratch_init 0
		.amdhsa_user_sgpr_kernarg_preload_length 0
		.amdhsa_user_sgpr_kernarg_preload_offset 0
		.amdhsa_user_sgpr_private_segment_size 0
		.amdhsa_uses_dynamic_stack 0
		.amdhsa_system_sgpr_private_segment_wavefront_offset 0
		.amdhsa_system_sgpr_workgroup_id_x 1
		.amdhsa_system_sgpr_workgroup_id_y 0
		.amdhsa_system_sgpr_workgroup_id_z 0
		.amdhsa_system_sgpr_workgroup_info 0
		.amdhsa_system_vgpr_workitem_id 0
		.amdhsa_next_free_vgpr 1
		.amdhsa_next_free_sgpr 0
		.amdhsa_accum_offset 4
		.amdhsa_reserve_vcc 0
		.amdhsa_reserve_flat_scratch 0
		.amdhsa_float_round_mode_32 0
		.amdhsa_float_round_mode_16_64 0
		.amdhsa_float_denorm_mode_32 3
		.amdhsa_float_denorm_mode_16_64 3
		.amdhsa_dx10_clamp 1
		.amdhsa_ieee_mode 1
		.amdhsa_fp16_overflow 0
		.amdhsa_tg_split 0
		.amdhsa_exception_fp_ieee_invalid_op 0
		.amdhsa_exception_fp_denorm_src 0
		.amdhsa_exception_fp_ieee_div_zero 0
		.amdhsa_exception_fp_ieee_overflow 0
		.amdhsa_exception_fp_ieee_underflow 0
		.amdhsa_exception_fp_ieee_inexact 0
		.amdhsa_exception_int_div_zero 0
	.end_amdhsa_kernel
	.section	.text._ZN7rocprim17ROCPRIM_400000_NS6detail17trampoline_kernelINS0_14default_configENS1_29reduce_by_key_config_selectorIjjN6thrust23THRUST_200600_302600_NS4plusIjEEEEZZNS1_33reduce_by_key_impl_wrapped_configILNS1_25lookback_scan_determinismE0ES3_S9_NS6_6detail15normal_iteratorINS6_10device_ptrIjEEEESG_SG_SG_PmS8_22is_equal_div_10_reduceIjEEE10hipError_tPvRmT2_T3_mT4_T5_T6_T7_T8_P12ihipStream_tbENKUlT_T0_E_clISt17integral_constantIbLb1EES10_IbLb0EEEEDaSW_SX_EUlSW_E_NS1_11comp_targetILNS1_3genE10ELNS1_11target_archE1200ELNS1_3gpuE4ELNS1_3repE0EEENS1_30default_config_static_selectorELNS0_4arch9wavefront6targetE1EEEvT1_,"axG",@progbits,_ZN7rocprim17ROCPRIM_400000_NS6detail17trampoline_kernelINS0_14default_configENS1_29reduce_by_key_config_selectorIjjN6thrust23THRUST_200600_302600_NS4plusIjEEEEZZNS1_33reduce_by_key_impl_wrapped_configILNS1_25lookback_scan_determinismE0ES3_S9_NS6_6detail15normal_iteratorINS6_10device_ptrIjEEEESG_SG_SG_PmS8_22is_equal_div_10_reduceIjEEE10hipError_tPvRmT2_T3_mT4_T5_T6_T7_T8_P12ihipStream_tbENKUlT_T0_E_clISt17integral_constantIbLb1EES10_IbLb0EEEEDaSW_SX_EUlSW_E_NS1_11comp_targetILNS1_3genE10ELNS1_11target_archE1200ELNS1_3gpuE4ELNS1_3repE0EEENS1_30default_config_static_selectorELNS0_4arch9wavefront6targetE1EEEvT1_,comdat
.Lfunc_end378:
	.size	_ZN7rocprim17ROCPRIM_400000_NS6detail17trampoline_kernelINS0_14default_configENS1_29reduce_by_key_config_selectorIjjN6thrust23THRUST_200600_302600_NS4plusIjEEEEZZNS1_33reduce_by_key_impl_wrapped_configILNS1_25lookback_scan_determinismE0ES3_S9_NS6_6detail15normal_iteratorINS6_10device_ptrIjEEEESG_SG_SG_PmS8_22is_equal_div_10_reduceIjEEE10hipError_tPvRmT2_T3_mT4_T5_T6_T7_T8_P12ihipStream_tbENKUlT_T0_E_clISt17integral_constantIbLb1EES10_IbLb0EEEEDaSW_SX_EUlSW_E_NS1_11comp_targetILNS1_3genE10ELNS1_11target_archE1200ELNS1_3gpuE4ELNS1_3repE0EEENS1_30default_config_static_selectorELNS0_4arch9wavefront6targetE1EEEvT1_, .Lfunc_end378-_ZN7rocprim17ROCPRIM_400000_NS6detail17trampoline_kernelINS0_14default_configENS1_29reduce_by_key_config_selectorIjjN6thrust23THRUST_200600_302600_NS4plusIjEEEEZZNS1_33reduce_by_key_impl_wrapped_configILNS1_25lookback_scan_determinismE0ES3_S9_NS6_6detail15normal_iteratorINS6_10device_ptrIjEEEESG_SG_SG_PmS8_22is_equal_div_10_reduceIjEEE10hipError_tPvRmT2_T3_mT4_T5_T6_T7_T8_P12ihipStream_tbENKUlT_T0_E_clISt17integral_constantIbLb1EES10_IbLb0EEEEDaSW_SX_EUlSW_E_NS1_11comp_targetILNS1_3genE10ELNS1_11target_archE1200ELNS1_3gpuE4ELNS1_3repE0EEENS1_30default_config_static_selectorELNS0_4arch9wavefront6targetE1EEEvT1_
                                        ; -- End function
	.section	.AMDGPU.csdata,"",@progbits
; Kernel info:
; codeLenInByte = 0
; NumSgprs: 4
; NumVgprs: 0
; NumAgprs: 0
; TotalNumVgprs: 0
; ScratchSize: 0
; MemoryBound: 0
; FloatMode: 240
; IeeeMode: 1
; LDSByteSize: 0 bytes/workgroup (compile time only)
; SGPRBlocks: 0
; VGPRBlocks: 0
; NumSGPRsForWavesPerEU: 4
; NumVGPRsForWavesPerEU: 1
; AccumOffset: 4
; Occupancy: 8
; WaveLimiterHint : 0
; COMPUTE_PGM_RSRC2:SCRATCH_EN: 0
; COMPUTE_PGM_RSRC2:USER_SGPR: 6
; COMPUTE_PGM_RSRC2:TRAP_HANDLER: 0
; COMPUTE_PGM_RSRC2:TGID_X_EN: 1
; COMPUTE_PGM_RSRC2:TGID_Y_EN: 0
; COMPUTE_PGM_RSRC2:TGID_Z_EN: 0
; COMPUTE_PGM_RSRC2:TIDIG_COMP_CNT: 0
; COMPUTE_PGM_RSRC3_GFX90A:ACCUM_OFFSET: 0
; COMPUTE_PGM_RSRC3_GFX90A:TG_SPLIT: 0
	.section	.text._ZN7rocprim17ROCPRIM_400000_NS6detail17trampoline_kernelINS0_14default_configENS1_29reduce_by_key_config_selectorIjjN6thrust23THRUST_200600_302600_NS4plusIjEEEEZZNS1_33reduce_by_key_impl_wrapped_configILNS1_25lookback_scan_determinismE0ES3_S9_NS6_6detail15normal_iteratorINS6_10device_ptrIjEEEESG_SG_SG_PmS8_22is_equal_div_10_reduceIjEEE10hipError_tPvRmT2_T3_mT4_T5_T6_T7_T8_P12ihipStream_tbENKUlT_T0_E_clISt17integral_constantIbLb1EES10_IbLb0EEEEDaSW_SX_EUlSW_E_NS1_11comp_targetILNS1_3genE9ELNS1_11target_archE1100ELNS1_3gpuE3ELNS1_3repE0EEENS1_30default_config_static_selectorELNS0_4arch9wavefront6targetE1EEEvT1_,"axG",@progbits,_ZN7rocprim17ROCPRIM_400000_NS6detail17trampoline_kernelINS0_14default_configENS1_29reduce_by_key_config_selectorIjjN6thrust23THRUST_200600_302600_NS4plusIjEEEEZZNS1_33reduce_by_key_impl_wrapped_configILNS1_25lookback_scan_determinismE0ES3_S9_NS6_6detail15normal_iteratorINS6_10device_ptrIjEEEESG_SG_SG_PmS8_22is_equal_div_10_reduceIjEEE10hipError_tPvRmT2_T3_mT4_T5_T6_T7_T8_P12ihipStream_tbENKUlT_T0_E_clISt17integral_constantIbLb1EES10_IbLb0EEEEDaSW_SX_EUlSW_E_NS1_11comp_targetILNS1_3genE9ELNS1_11target_archE1100ELNS1_3gpuE3ELNS1_3repE0EEENS1_30default_config_static_selectorELNS0_4arch9wavefront6targetE1EEEvT1_,comdat
	.protected	_ZN7rocprim17ROCPRIM_400000_NS6detail17trampoline_kernelINS0_14default_configENS1_29reduce_by_key_config_selectorIjjN6thrust23THRUST_200600_302600_NS4plusIjEEEEZZNS1_33reduce_by_key_impl_wrapped_configILNS1_25lookback_scan_determinismE0ES3_S9_NS6_6detail15normal_iteratorINS6_10device_ptrIjEEEESG_SG_SG_PmS8_22is_equal_div_10_reduceIjEEE10hipError_tPvRmT2_T3_mT4_T5_T6_T7_T8_P12ihipStream_tbENKUlT_T0_E_clISt17integral_constantIbLb1EES10_IbLb0EEEEDaSW_SX_EUlSW_E_NS1_11comp_targetILNS1_3genE9ELNS1_11target_archE1100ELNS1_3gpuE3ELNS1_3repE0EEENS1_30default_config_static_selectorELNS0_4arch9wavefront6targetE1EEEvT1_ ; -- Begin function _ZN7rocprim17ROCPRIM_400000_NS6detail17trampoline_kernelINS0_14default_configENS1_29reduce_by_key_config_selectorIjjN6thrust23THRUST_200600_302600_NS4plusIjEEEEZZNS1_33reduce_by_key_impl_wrapped_configILNS1_25lookback_scan_determinismE0ES3_S9_NS6_6detail15normal_iteratorINS6_10device_ptrIjEEEESG_SG_SG_PmS8_22is_equal_div_10_reduceIjEEE10hipError_tPvRmT2_T3_mT4_T5_T6_T7_T8_P12ihipStream_tbENKUlT_T0_E_clISt17integral_constantIbLb1EES10_IbLb0EEEEDaSW_SX_EUlSW_E_NS1_11comp_targetILNS1_3genE9ELNS1_11target_archE1100ELNS1_3gpuE3ELNS1_3repE0EEENS1_30default_config_static_selectorELNS0_4arch9wavefront6targetE1EEEvT1_
	.globl	_ZN7rocprim17ROCPRIM_400000_NS6detail17trampoline_kernelINS0_14default_configENS1_29reduce_by_key_config_selectorIjjN6thrust23THRUST_200600_302600_NS4plusIjEEEEZZNS1_33reduce_by_key_impl_wrapped_configILNS1_25lookback_scan_determinismE0ES3_S9_NS6_6detail15normal_iteratorINS6_10device_ptrIjEEEESG_SG_SG_PmS8_22is_equal_div_10_reduceIjEEE10hipError_tPvRmT2_T3_mT4_T5_T6_T7_T8_P12ihipStream_tbENKUlT_T0_E_clISt17integral_constantIbLb1EES10_IbLb0EEEEDaSW_SX_EUlSW_E_NS1_11comp_targetILNS1_3genE9ELNS1_11target_archE1100ELNS1_3gpuE3ELNS1_3repE0EEENS1_30default_config_static_selectorELNS0_4arch9wavefront6targetE1EEEvT1_
	.p2align	8
	.type	_ZN7rocprim17ROCPRIM_400000_NS6detail17trampoline_kernelINS0_14default_configENS1_29reduce_by_key_config_selectorIjjN6thrust23THRUST_200600_302600_NS4plusIjEEEEZZNS1_33reduce_by_key_impl_wrapped_configILNS1_25lookback_scan_determinismE0ES3_S9_NS6_6detail15normal_iteratorINS6_10device_ptrIjEEEESG_SG_SG_PmS8_22is_equal_div_10_reduceIjEEE10hipError_tPvRmT2_T3_mT4_T5_T6_T7_T8_P12ihipStream_tbENKUlT_T0_E_clISt17integral_constantIbLb1EES10_IbLb0EEEEDaSW_SX_EUlSW_E_NS1_11comp_targetILNS1_3genE9ELNS1_11target_archE1100ELNS1_3gpuE3ELNS1_3repE0EEENS1_30default_config_static_selectorELNS0_4arch9wavefront6targetE1EEEvT1_,@function
_ZN7rocprim17ROCPRIM_400000_NS6detail17trampoline_kernelINS0_14default_configENS1_29reduce_by_key_config_selectorIjjN6thrust23THRUST_200600_302600_NS4plusIjEEEEZZNS1_33reduce_by_key_impl_wrapped_configILNS1_25lookback_scan_determinismE0ES3_S9_NS6_6detail15normal_iteratorINS6_10device_ptrIjEEEESG_SG_SG_PmS8_22is_equal_div_10_reduceIjEEE10hipError_tPvRmT2_T3_mT4_T5_T6_T7_T8_P12ihipStream_tbENKUlT_T0_E_clISt17integral_constantIbLb1EES10_IbLb0EEEEDaSW_SX_EUlSW_E_NS1_11comp_targetILNS1_3genE9ELNS1_11target_archE1100ELNS1_3gpuE3ELNS1_3repE0EEENS1_30default_config_static_selectorELNS0_4arch9wavefront6targetE1EEEvT1_: ; @_ZN7rocprim17ROCPRIM_400000_NS6detail17trampoline_kernelINS0_14default_configENS1_29reduce_by_key_config_selectorIjjN6thrust23THRUST_200600_302600_NS4plusIjEEEEZZNS1_33reduce_by_key_impl_wrapped_configILNS1_25lookback_scan_determinismE0ES3_S9_NS6_6detail15normal_iteratorINS6_10device_ptrIjEEEESG_SG_SG_PmS8_22is_equal_div_10_reduceIjEEE10hipError_tPvRmT2_T3_mT4_T5_T6_T7_T8_P12ihipStream_tbENKUlT_T0_E_clISt17integral_constantIbLb1EES10_IbLb0EEEEDaSW_SX_EUlSW_E_NS1_11comp_targetILNS1_3genE9ELNS1_11target_archE1100ELNS1_3gpuE3ELNS1_3repE0EEENS1_30default_config_static_selectorELNS0_4arch9wavefront6targetE1EEEvT1_
; %bb.0:
	.section	.rodata,"a",@progbits
	.p2align	6, 0x0
	.amdhsa_kernel _ZN7rocprim17ROCPRIM_400000_NS6detail17trampoline_kernelINS0_14default_configENS1_29reduce_by_key_config_selectorIjjN6thrust23THRUST_200600_302600_NS4plusIjEEEEZZNS1_33reduce_by_key_impl_wrapped_configILNS1_25lookback_scan_determinismE0ES3_S9_NS6_6detail15normal_iteratorINS6_10device_ptrIjEEEESG_SG_SG_PmS8_22is_equal_div_10_reduceIjEEE10hipError_tPvRmT2_T3_mT4_T5_T6_T7_T8_P12ihipStream_tbENKUlT_T0_E_clISt17integral_constantIbLb1EES10_IbLb0EEEEDaSW_SX_EUlSW_E_NS1_11comp_targetILNS1_3genE9ELNS1_11target_archE1100ELNS1_3gpuE3ELNS1_3repE0EEENS1_30default_config_static_selectorELNS0_4arch9wavefront6targetE1EEEvT1_
		.amdhsa_group_segment_fixed_size 0
		.amdhsa_private_segment_fixed_size 0
		.amdhsa_kernarg_size 120
		.amdhsa_user_sgpr_count 6
		.amdhsa_user_sgpr_private_segment_buffer 1
		.amdhsa_user_sgpr_dispatch_ptr 0
		.amdhsa_user_sgpr_queue_ptr 0
		.amdhsa_user_sgpr_kernarg_segment_ptr 1
		.amdhsa_user_sgpr_dispatch_id 0
		.amdhsa_user_sgpr_flat_scratch_init 0
		.amdhsa_user_sgpr_kernarg_preload_length 0
		.amdhsa_user_sgpr_kernarg_preload_offset 0
		.amdhsa_user_sgpr_private_segment_size 0
		.amdhsa_uses_dynamic_stack 0
		.amdhsa_system_sgpr_private_segment_wavefront_offset 0
		.amdhsa_system_sgpr_workgroup_id_x 1
		.amdhsa_system_sgpr_workgroup_id_y 0
		.amdhsa_system_sgpr_workgroup_id_z 0
		.amdhsa_system_sgpr_workgroup_info 0
		.amdhsa_system_vgpr_workitem_id 0
		.amdhsa_next_free_vgpr 1
		.amdhsa_next_free_sgpr 0
		.amdhsa_accum_offset 4
		.amdhsa_reserve_vcc 0
		.amdhsa_reserve_flat_scratch 0
		.amdhsa_float_round_mode_32 0
		.amdhsa_float_round_mode_16_64 0
		.amdhsa_float_denorm_mode_32 3
		.amdhsa_float_denorm_mode_16_64 3
		.amdhsa_dx10_clamp 1
		.amdhsa_ieee_mode 1
		.amdhsa_fp16_overflow 0
		.amdhsa_tg_split 0
		.amdhsa_exception_fp_ieee_invalid_op 0
		.amdhsa_exception_fp_denorm_src 0
		.amdhsa_exception_fp_ieee_div_zero 0
		.amdhsa_exception_fp_ieee_overflow 0
		.amdhsa_exception_fp_ieee_underflow 0
		.amdhsa_exception_fp_ieee_inexact 0
		.amdhsa_exception_int_div_zero 0
	.end_amdhsa_kernel
	.section	.text._ZN7rocprim17ROCPRIM_400000_NS6detail17trampoline_kernelINS0_14default_configENS1_29reduce_by_key_config_selectorIjjN6thrust23THRUST_200600_302600_NS4plusIjEEEEZZNS1_33reduce_by_key_impl_wrapped_configILNS1_25lookback_scan_determinismE0ES3_S9_NS6_6detail15normal_iteratorINS6_10device_ptrIjEEEESG_SG_SG_PmS8_22is_equal_div_10_reduceIjEEE10hipError_tPvRmT2_T3_mT4_T5_T6_T7_T8_P12ihipStream_tbENKUlT_T0_E_clISt17integral_constantIbLb1EES10_IbLb0EEEEDaSW_SX_EUlSW_E_NS1_11comp_targetILNS1_3genE9ELNS1_11target_archE1100ELNS1_3gpuE3ELNS1_3repE0EEENS1_30default_config_static_selectorELNS0_4arch9wavefront6targetE1EEEvT1_,"axG",@progbits,_ZN7rocprim17ROCPRIM_400000_NS6detail17trampoline_kernelINS0_14default_configENS1_29reduce_by_key_config_selectorIjjN6thrust23THRUST_200600_302600_NS4plusIjEEEEZZNS1_33reduce_by_key_impl_wrapped_configILNS1_25lookback_scan_determinismE0ES3_S9_NS6_6detail15normal_iteratorINS6_10device_ptrIjEEEESG_SG_SG_PmS8_22is_equal_div_10_reduceIjEEE10hipError_tPvRmT2_T3_mT4_T5_T6_T7_T8_P12ihipStream_tbENKUlT_T0_E_clISt17integral_constantIbLb1EES10_IbLb0EEEEDaSW_SX_EUlSW_E_NS1_11comp_targetILNS1_3genE9ELNS1_11target_archE1100ELNS1_3gpuE3ELNS1_3repE0EEENS1_30default_config_static_selectorELNS0_4arch9wavefront6targetE1EEEvT1_,comdat
.Lfunc_end379:
	.size	_ZN7rocprim17ROCPRIM_400000_NS6detail17trampoline_kernelINS0_14default_configENS1_29reduce_by_key_config_selectorIjjN6thrust23THRUST_200600_302600_NS4plusIjEEEEZZNS1_33reduce_by_key_impl_wrapped_configILNS1_25lookback_scan_determinismE0ES3_S9_NS6_6detail15normal_iteratorINS6_10device_ptrIjEEEESG_SG_SG_PmS8_22is_equal_div_10_reduceIjEEE10hipError_tPvRmT2_T3_mT4_T5_T6_T7_T8_P12ihipStream_tbENKUlT_T0_E_clISt17integral_constantIbLb1EES10_IbLb0EEEEDaSW_SX_EUlSW_E_NS1_11comp_targetILNS1_3genE9ELNS1_11target_archE1100ELNS1_3gpuE3ELNS1_3repE0EEENS1_30default_config_static_selectorELNS0_4arch9wavefront6targetE1EEEvT1_, .Lfunc_end379-_ZN7rocprim17ROCPRIM_400000_NS6detail17trampoline_kernelINS0_14default_configENS1_29reduce_by_key_config_selectorIjjN6thrust23THRUST_200600_302600_NS4plusIjEEEEZZNS1_33reduce_by_key_impl_wrapped_configILNS1_25lookback_scan_determinismE0ES3_S9_NS6_6detail15normal_iteratorINS6_10device_ptrIjEEEESG_SG_SG_PmS8_22is_equal_div_10_reduceIjEEE10hipError_tPvRmT2_T3_mT4_T5_T6_T7_T8_P12ihipStream_tbENKUlT_T0_E_clISt17integral_constantIbLb1EES10_IbLb0EEEEDaSW_SX_EUlSW_E_NS1_11comp_targetILNS1_3genE9ELNS1_11target_archE1100ELNS1_3gpuE3ELNS1_3repE0EEENS1_30default_config_static_selectorELNS0_4arch9wavefront6targetE1EEEvT1_
                                        ; -- End function
	.section	.AMDGPU.csdata,"",@progbits
; Kernel info:
; codeLenInByte = 0
; NumSgprs: 4
; NumVgprs: 0
; NumAgprs: 0
; TotalNumVgprs: 0
; ScratchSize: 0
; MemoryBound: 0
; FloatMode: 240
; IeeeMode: 1
; LDSByteSize: 0 bytes/workgroup (compile time only)
; SGPRBlocks: 0
; VGPRBlocks: 0
; NumSGPRsForWavesPerEU: 4
; NumVGPRsForWavesPerEU: 1
; AccumOffset: 4
; Occupancy: 8
; WaveLimiterHint : 0
; COMPUTE_PGM_RSRC2:SCRATCH_EN: 0
; COMPUTE_PGM_RSRC2:USER_SGPR: 6
; COMPUTE_PGM_RSRC2:TRAP_HANDLER: 0
; COMPUTE_PGM_RSRC2:TGID_X_EN: 1
; COMPUTE_PGM_RSRC2:TGID_Y_EN: 0
; COMPUTE_PGM_RSRC2:TGID_Z_EN: 0
; COMPUTE_PGM_RSRC2:TIDIG_COMP_CNT: 0
; COMPUTE_PGM_RSRC3_GFX90A:ACCUM_OFFSET: 0
; COMPUTE_PGM_RSRC3_GFX90A:TG_SPLIT: 0
	.section	.text._ZN7rocprim17ROCPRIM_400000_NS6detail17trampoline_kernelINS0_14default_configENS1_29reduce_by_key_config_selectorIjjN6thrust23THRUST_200600_302600_NS4plusIjEEEEZZNS1_33reduce_by_key_impl_wrapped_configILNS1_25lookback_scan_determinismE0ES3_S9_NS6_6detail15normal_iteratorINS6_10device_ptrIjEEEESG_SG_SG_PmS8_22is_equal_div_10_reduceIjEEE10hipError_tPvRmT2_T3_mT4_T5_T6_T7_T8_P12ihipStream_tbENKUlT_T0_E_clISt17integral_constantIbLb1EES10_IbLb0EEEEDaSW_SX_EUlSW_E_NS1_11comp_targetILNS1_3genE8ELNS1_11target_archE1030ELNS1_3gpuE2ELNS1_3repE0EEENS1_30default_config_static_selectorELNS0_4arch9wavefront6targetE1EEEvT1_,"axG",@progbits,_ZN7rocprim17ROCPRIM_400000_NS6detail17trampoline_kernelINS0_14default_configENS1_29reduce_by_key_config_selectorIjjN6thrust23THRUST_200600_302600_NS4plusIjEEEEZZNS1_33reduce_by_key_impl_wrapped_configILNS1_25lookback_scan_determinismE0ES3_S9_NS6_6detail15normal_iteratorINS6_10device_ptrIjEEEESG_SG_SG_PmS8_22is_equal_div_10_reduceIjEEE10hipError_tPvRmT2_T3_mT4_T5_T6_T7_T8_P12ihipStream_tbENKUlT_T0_E_clISt17integral_constantIbLb1EES10_IbLb0EEEEDaSW_SX_EUlSW_E_NS1_11comp_targetILNS1_3genE8ELNS1_11target_archE1030ELNS1_3gpuE2ELNS1_3repE0EEENS1_30default_config_static_selectorELNS0_4arch9wavefront6targetE1EEEvT1_,comdat
	.protected	_ZN7rocprim17ROCPRIM_400000_NS6detail17trampoline_kernelINS0_14default_configENS1_29reduce_by_key_config_selectorIjjN6thrust23THRUST_200600_302600_NS4plusIjEEEEZZNS1_33reduce_by_key_impl_wrapped_configILNS1_25lookback_scan_determinismE0ES3_S9_NS6_6detail15normal_iteratorINS6_10device_ptrIjEEEESG_SG_SG_PmS8_22is_equal_div_10_reduceIjEEE10hipError_tPvRmT2_T3_mT4_T5_T6_T7_T8_P12ihipStream_tbENKUlT_T0_E_clISt17integral_constantIbLb1EES10_IbLb0EEEEDaSW_SX_EUlSW_E_NS1_11comp_targetILNS1_3genE8ELNS1_11target_archE1030ELNS1_3gpuE2ELNS1_3repE0EEENS1_30default_config_static_selectorELNS0_4arch9wavefront6targetE1EEEvT1_ ; -- Begin function _ZN7rocprim17ROCPRIM_400000_NS6detail17trampoline_kernelINS0_14default_configENS1_29reduce_by_key_config_selectorIjjN6thrust23THRUST_200600_302600_NS4plusIjEEEEZZNS1_33reduce_by_key_impl_wrapped_configILNS1_25lookback_scan_determinismE0ES3_S9_NS6_6detail15normal_iteratorINS6_10device_ptrIjEEEESG_SG_SG_PmS8_22is_equal_div_10_reduceIjEEE10hipError_tPvRmT2_T3_mT4_T5_T6_T7_T8_P12ihipStream_tbENKUlT_T0_E_clISt17integral_constantIbLb1EES10_IbLb0EEEEDaSW_SX_EUlSW_E_NS1_11comp_targetILNS1_3genE8ELNS1_11target_archE1030ELNS1_3gpuE2ELNS1_3repE0EEENS1_30default_config_static_selectorELNS0_4arch9wavefront6targetE1EEEvT1_
	.globl	_ZN7rocprim17ROCPRIM_400000_NS6detail17trampoline_kernelINS0_14default_configENS1_29reduce_by_key_config_selectorIjjN6thrust23THRUST_200600_302600_NS4plusIjEEEEZZNS1_33reduce_by_key_impl_wrapped_configILNS1_25lookback_scan_determinismE0ES3_S9_NS6_6detail15normal_iteratorINS6_10device_ptrIjEEEESG_SG_SG_PmS8_22is_equal_div_10_reduceIjEEE10hipError_tPvRmT2_T3_mT4_T5_T6_T7_T8_P12ihipStream_tbENKUlT_T0_E_clISt17integral_constantIbLb1EES10_IbLb0EEEEDaSW_SX_EUlSW_E_NS1_11comp_targetILNS1_3genE8ELNS1_11target_archE1030ELNS1_3gpuE2ELNS1_3repE0EEENS1_30default_config_static_selectorELNS0_4arch9wavefront6targetE1EEEvT1_
	.p2align	8
	.type	_ZN7rocprim17ROCPRIM_400000_NS6detail17trampoline_kernelINS0_14default_configENS1_29reduce_by_key_config_selectorIjjN6thrust23THRUST_200600_302600_NS4plusIjEEEEZZNS1_33reduce_by_key_impl_wrapped_configILNS1_25lookback_scan_determinismE0ES3_S9_NS6_6detail15normal_iteratorINS6_10device_ptrIjEEEESG_SG_SG_PmS8_22is_equal_div_10_reduceIjEEE10hipError_tPvRmT2_T3_mT4_T5_T6_T7_T8_P12ihipStream_tbENKUlT_T0_E_clISt17integral_constantIbLb1EES10_IbLb0EEEEDaSW_SX_EUlSW_E_NS1_11comp_targetILNS1_3genE8ELNS1_11target_archE1030ELNS1_3gpuE2ELNS1_3repE0EEENS1_30default_config_static_selectorELNS0_4arch9wavefront6targetE1EEEvT1_,@function
_ZN7rocprim17ROCPRIM_400000_NS6detail17trampoline_kernelINS0_14default_configENS1_29reduce_by_key_config_selectorIjjN6thrust23THRUST_200600_302600_NS4plusIjEEEEZZNS1_33reduce_by_key_impl_wrapped_configILNS1_25lookback_scan_determinismE0ES3_S9_NS6_6detail15normal_iteratorINS6_10device_ptrIjEEEESG_SG_SG_PmS8_22is_equal_div_10_reduceIjEEE10hipError_tPvRmT2_T3_mT4_T5_T6_T7_T8_P12ihipStream_tbENKUlT_T0_E_clISt17integral_constantIbLb1EES10_IbLb0EEEEDaSW_SX_EUlSW_E_NS1_11comp_targetILNS1_3genE8ELNS1_11target_archE1030ELNS1_3gpuE2ELNS1_3repE0EEENS1_30default_config_static_selectorELNS0_4arch9wavefront6targetE1EEEvT1_: ; @_ZN7rocprim17ROCPRIM_400000_NS6detail17trampoline_kernelINS0_14default_configENS1_29reduce_by_key_config_selectorIjjN6thrust23THRUST_200600_302600_NS4plusIjEEEEZZNS1_33reduce_by_key_impl_wrapped_configILNS1_25lookback_scan_determinismE0ES3_S9_NS6_6detail15normal_iteratorINS6_10device_ptrIjEEEESG_SG_SG_PmS8_22is_equal_div_10_reduceIjEEE10hipError_tPvRmT2_T3_mT4_T5_T6_T7_T8_P12ihipStream_tbENKUlT_T0_E_clISt17integral_constantIbLb1EES10_IbLb0EEEEDaSW_SX_EUlSW_E_NS1_11comp_targetILNS1_3genE8ELNS1_11target_archE1030ELNS1_3gpuE2ELNS1_3repE0EEENS1_30default_config_static_selectorELNS0_4arch9wavefront6targetE1EEEvT1_
; %bb.0:
	.section	.rodata,"a",@progbits
	.p2align	6, 0x0
	.amdhsa_kernel _ZN7rocprim17ROCPRIM_400000_NS6detail17trampoline_kernelINS0_14default_configENS1_29reduce_by_key_config_selectorIjjN6thrust23THRUST_200600_302600_NS4plusIjEEEEZZNS1_33reduce_by_key_impl_wrapped_configILNS1_25lookback_scan_determinismE0ES3_S9_NS6_6detail15normal_iteratorINS6_10device_ptrIjEEEESG_SG_SG_PmS8_22is_equal_div_10_reduceIjEEE10hipError_tPvRmT2_T3_mT4_T5_T6_T7_T8_P12ihipStream_tbENKUlT_T0_E_clISt17integral_constantIbLb1EES10_IbLb0EEEEDaSW_SX_EUlSW_E_NS1_11comp_targetILNS1_3genE8ELNS1_11target_archE1030ELNS1_3gpuE2ELNS1_3repE0EEENS1_30default_config_static_selectorELNS0_4arch9wavefront6targetE1EEEvT1_
		.amdhsa_group_segment_fixed_size 0
		.amdhsa_private_segment_fixed_size 0
		.amdhsa_kernarg_size 120
		.amdhsa_user_sgpr_count 6
		.amdhsa_user_sgpr_private_segment_buffer 1
		.amdhsa_user_sgpr_dispatch_ptr 0
		.amdhsa_user_sgpr_queue_ptr 0
		.amdhsa_user_sgpr_kernarg_segment_ptr 1
		.amdhsa_user_sgpr_dispatch_id 0
		.amdhsa_user_sgpr_flat_scratch_init 0
		.amdhsa_user_sgpr_kernarg_preload_length 0
		.amdhsa_user_sgpr_kernarg_preload_offset 0
		.amdhsa_user_sgpr_private_segment_size 0
		.amdhsa_uses_dynamic_stack 0
		.amdhsa_system_sgpr_private_segment_wavefront_offset 0
		.amdhsa_system_sgpr_workgroup_id_x 1
		.amdhsa_system_sgpr_workgroup_id_y 0
		.amdhsa_system_sgpr_workgroup_id_z 0
		.amdhsa_system_sgpr_workgroup_info 0
		.amdhsa_system_vgpr_workitem_id 0
		.amdhsa_next_free_vgpr 1
		.amdhsa_next_free_sgpr 0
		.amdhsa_accum_offset 4
		.amdhsa_reserve_vcc 0
		.amdhsa_reserve_flat_scratch 0
		.amdhsa_float_round_mode_32 0
		.amdhsa_float_round_mode_16_64 0
		.amdhsa_float_denorm_mode_32 3
		.amdhsa_float_denorm_mode_16_64 3
		.amdhsa_dx10_clamp 1
		.amdhsa_ieee_mode 1
		.amdhsa_fp16_overflow 0
		.amdhsa_tg_split 0
		.amdhsa_exception_fp_ieee_invalid_op 0
		.amdhsa_exception_fp_denorm_src 0
		.amdhsa_exception_fp_ieee_div_zero 0
		.amdhsa_exception_fp_ieee_overflow 0
		.amdhsa_exception_fp_ieee_underflow 0
		.amdhsa_exception_fp_ieee_inexact 0
		.amdhsa_exception_int_div_zero 0
	.end_amdhsa_kernel
	.section	.text._ZN7rocprim17ROCPRIM_400000_NS6detail17trampoline_kernelINS0_14default_configENS1_29reduce_by_key_config_selectorIjjN6thrust23THRUST_200600_302600_NS4plusIjEEEEZZNS1_33reduce_by_key_impl_wrapped_configILNS1_25lookback_scan_determinismE0ES3_S9_NS6_6detail15normal_iteratorINS6_10device_ptrIjEEEESG_SG_SG_PmS8_22is_equal_div_10_reduceIjEEE10hipError_tPvRmT2_T3_mT4_T5_T6_T7_T8_P12ihipStream_tbENKUlT_T0_E_clISt17integral_constantIbLb1EES10_IbLb0EEEEDaSW_SX_EUlSW_E_NS1_11comp_targetILNS1_3genE8ELNS1_11target_archE1030ELNS1_3gpuE2ELNS1_3repE0EEENS1_30default_config_static_selectorELNS0_4arch9wavefront6targetE1EEEvT1_,"axG",@progbits,_ZN7rocprim17ROCPRIM_400000_NS6detail17trampoline_kernelINS0_14default_configENS1_29reduce_by_key_config_selectorIjjN6thrust23THRUST_200600_302600_NS4plusIjEEEEZZNS1_33reduce_by_key_impl_wrapped_configILNS1_25lookback_scan_determinismE0ES3_S9_NS6_6detail15normal_iteratorINS6_10device_ptrIjEEEESG_SG_SG_PmS8_22is_equal_div_10_reduceIjEEE10hipError_tPvRmT2_T3_mT4_T5_T6_T7_T8_P12ihipStream_tbENKUlT_T0_E_clISt17integral_constantIbLb1EES10_IbLb0EEEEDaSW_SX_EUlSW_E_NS1_11comp_targetILNS1_3genE8ELNS1_11target_archE1030ELNS1_3gpuE2ELNS1_3repE0EEENS1_30default_config_static_selectorELNS0_4arch9wavefront6targetE1EEEvT1_,comdat
.Lfunc_end380:
	.size	_ZN7rocprim17ROCPRIM_400000_NS6detail17trampoline_kernelINS0_14default_configENS1_29reduce_by_key_config_selectorIjjN6thrust23THRUST_200600_302600_NS4plusIjEEEEZZNS1_33reduce_by_key_impl_wrapped_configILNS1_25lookback_scan_determinismE0ES3_S9_NS6_6detail15normal_iteratorINS6_10device_ptrIjEEEESG_SG_SG_PmS8_22is_equal_div_10_reduceIjEEE10hipError_tPvRmT2_T3_mT4_T5_T6_T7_T8_P12ihipStream_tbENKUlT_T0_E_clISt17integral_constantIbLb1EES10_IbLb0EEEEDaSW_SX_EUlSW_E_NS1_11comp_targetILNS1_3genE8ELNS1_11target_archE1030ELNS1_3gpuE2ELNS1_3repE0EEENS1_30default_config_static_selectorELNS0_4arch9wavefront6targetE1EEEvT1_, .Lfunc_end380-_ZN7rocprim17ROCPRIM_400000_NS6detail17trampoline_kernelINS0_14default_configENS1_29reduce_by_key_config_selectorIjjN6thrust23THRUST_200600_302600_NS4plusIjEEEEZZNS1_33reduce_by_key_impl_wrapped_configILNS1_25lookback_scan_determinismE0ES3_S9_NS6_6detail15normal_iteratorINS6_10device_ptrIjEEEESG_SG_SG_PmS8_22is_equal_div_10_reduceIjEEE10hipError_tPvRmT2_T3_mT4_T5_T6_T7_T8_P12ihipStream_tbENKUlT_T0_E_clISt17integral_constantIbLb1EES10_IbLb0EEEEDaSW_SX_EUlSW_E_NS1_11comp_targetILNS1_3genE8ELNS1_11target_archE1030ELNS1_3gpuE2ELNS1_3repE0EEENS1_30default_config_static_selectorELNS0_4arch9wavefront6targetE1EEEvT1_
                                        ; -- End function
	.section	.AMDGPU.csdata,"",@progbits
; Kernel info:
; codeLenInByte = 0
; NumSgprs: 4
; NumVgprs: 0
; NumAgprs: 0
; TotalNumVgprs: 0
; ScratchSize: 0
; MemoryBound: 0
; FloatMode: 240
; IeeeMode: 1
; LDSByteSize: 0 bytes/workgroup (compile time only)
; SGPRBlocks: 0
; VGPRBlocks: 0
; NumSGPRsForWavesPerEU: 4
; NumVGPRsForWavesPerEU: 1
; AccumOffset: 4
; Occupancy: 8
; WaveLimiterHint : 0
; COMPUTE_PGM_RSRC2:SCRATCH_EN: 0
; COMPUTE_PGM_RSRC2:USER_SGPR: 6
; COMPUTE_PGM_RSRC2:TRAP_HANDLER: 0
; COMPUTE_PGM_RSRC2:TGID_X_EN: 1
; COMPUTE_PGM_RSRC2:TGID_Y_EN: 0
; COMPUTE_PGM_RSRC2:TGID_Z_EN: 0
; COMPUTE_PGM_RSRC2:TIDIG_COMP_CNT: 0
; COMPUTE_PGM_RSRC3_GFX90A:ACCUM_OFFSET: 0
; COMPUTE_PGM_RSRC3_GFX90A:TG_SPLIT: 0
	.section	.text._ZN7rocprim17ROCPRIM_400000_NS6detail17trampoline_kernelINS0_14default_configENS1_29reduce_by_key_config_selectorIjjN6thrust23THRUST_200600_302600_NS4plusIjEEEEZZNS1_33reduce_by_key_impl_wrapped_configILNS1_25lookback_scan_determinismE0ES3_S9_NS6_6detail15normal_iteratorINS6_10device_ptrIjEEEESG_SG_SG_PmS8_22is_equal_div_10_reduceIjEEE10hipError_tPvRmT2_T3_mT4_T5_T6_T7_T8_P12ihipStream_tbENKUlT_T0_E_clISt17integral_constantIbLb0EES10_IbLb1EEEEDaSW_SX_EUlSW_E_NS1_11comp_targetILNS1_3genE0ELNS1_11target_archE4294967295ELNS1_3gpuE0ELNS1_3repE0EEENS1_30default_config_static_selectorELNS0_4arch9wavefront6targetE1EEEvT1_,"axG",@progbits,_ZN7rocprim17ROCPRIM_400000_NS6detail17trampoline_kernelINS0_14default_configENS1_29reduce_by_key_config_selectorIjjN6thrust23THRUST_200600_302600_NS4plusIjEEEEZZNS1_33reduce_by_key_impl_wrapped_configILNS1_25lookback_scan_determinismE0ES3_S9_NS6_6detail15normal_iteratorINS6_10device_ptrIjEEEESG_SG_SG_PmS8_22is_equal_div_10_reduceIjEEE10hipError_tPvRmT2_T3_mT4_T5_T6_T7_T8_P12ihipStream_tbENKUlT_T0_E_clISt17integral_constantIbLb0EES10_IbLb1EEEEDaSW_SX_EUlSW_E_NS1_11comp_targetILNS1_3genE0ELNS1_11target_archE4294967295ELNS1_3gpuE0ELNS1_3repE0EEENS1_30default_config_static_selectorELNS0_4arch9wavefront6targetE1EEEvT1_,comdat
	.protected	_ZN7rocprim17ROCPRIM_400000_NS6detail17trampoline_kernelINS0_14default_configENS1_29reduce_by_key_config_selectorIjjN6thrust23THRUST_200600_302600_NS4plusIjEEEEZZNS1_33reduce_by_key_impl_wrapped_configILNS1_25lookback_scan_determinismE0ES3_S9_NS6_6detail15normal_iteratorINS6_10device_ptrIjEEEESG_SG_SG_PmS8_22is_equal_div_10_reduceIjEEE10hipError_tPvRmT2_T3_mT4_T5_T6_T7_T8_P12ihipStream_tbENKUlT_T0_E_clISt17integral_constantIbLb0EES10_IbLb1EEEEDaSW_SX_EUlSW_E_NS1_11comp_targetILNS1_3genE0ELNS1_11target_archE4294967295ELNS1_3gpuE0ELNS1_3repE0EEENS1_30default_config_static_selectorELNS0_4arch9wavefront6targetE1EEEvT1_ ; -- Begin function _ZN7rocprim17ROCPRIM_400000_NS6detail17trampoline_kernelINS0_14default_configENS1_29reduce_by_key_config_selectorIjjN6thrust23THRUST_200600_302600_NS4plusIjEEEEZZNS1_33reduce_by_key_impl_wrapped_configILNS1_25lookback_scan_determinismE0ES3_S9_NS6_6detail15normal_iteratorINS6_10device_ptrIjEEEESG_SG_SG_PmS8_22is_equal_div_10_reduceIjEEE10hipError_tPvRmT2_T3_mT4_T5_T6_T7_T8_P12ihipStream_tbENKUlT_T0_E_clISt17integral_constantIbLb0EES10_IbLb1EEEEDaSW_SX_EUlSW_E_NS1_11comp_targetILNS1_3genE0ELNS1_11target_archE4294967295ELNS1_3gpuE0ELNS1_3repE0EEENS1_30default_config_static_selectorELNS0_4arch9wavefront6targetE1EEEvT1_
	.globl	_ZN7rocprim17ROCPRIM_400000_NS6detail17trampoline_kernelINS0_14default_configENS1_29reduce_by_key_config_selectorIjjN6thrust23THRUST_200600_302600_NS4plusIjEEEEZZNS1_33reduce_by_key_impl_wrapped_configILNS1_25lookback_scan_determinismE0ES3_S9_NS6_6detail15normal_iteratorINS6_10device_ptrIjEEEESG_SG_SG_PmS8_22is_equal_div_10_reduceIjEEE10hipError_tPvRmT2_T3_mT4_T5_T6_T7_T8_P12ihipStream_tbENKUlT_T0_E_clISt17integral_constantIbLb0EES10_IbLb1EEEEDaSW_SX_EUlSW_E_NS1_11comp_targetILNS1_3genE0ELNS1_11target_archE4294967295ELNS1_3gpuE0ELNS1_3repE0EEENS1_30default_config_static_selectorELNS0_4arch9wavefront6targetE1EEEvT1_
	.p2align	8
	.type	_ZN7rocprim17ROCPRIM_400000_NS6detail17trampoline_kernelINS0_14default_configENS1_29reduce_by_key_config_selectorIjjN6thrust23THRUST_200600_302600_NS4plusIjEEEEZZNS1_33reduce_by_key_impl_wrapped_configILNS1_25lookback_scan_determinismE0ES3_S9_NS6_6detail15normal_iteratorINS6_10device_ptrIjEEEESG_SG_SG_PmS8_22is_equal_div_10_reduceIjEEE10hipError_tPvRmT2_T3_mT4_T5_T6_T7_T8_P12ihipStream_tbENKUlT_T0_E_clISt17integral_constantIbLb0EES10_IbLb1EEEEDaSW_SX_EUlSW_E_NS1_11comp_targetILNS1_3genE0ELNS1_11target_archE4294967295ELNS1_3gpuE0ELNS1_3repE0EEENS1_30default_config_static_selectorELNS0_4arch9wavefront6targetE1EEEvT1_,@function
_ZN7rocprim17ROCPRIM_400000_NS6detail17trampoline_kernelINS0_14default_configENS1_29reduce_by_key_config_selectorIjjN6thrust23THRUST_200600_302600_NS4plusIjEEEEZZNS1_33reduce_by_key_impl_wrapped_configILNS1_25lookback_scan_determinismE0ES3_S9_NS6_6detail15normal_iteratorINS6_10device_ptrIjEEEESG_SG_SG_PmS8_22is_equal_div_10_reduceIjEEE10hipError_tPvRmT2_T3_mT4_T5_T6_T7_T8_P12ihipStream_tbENKUlT_T0_E_clISt17integral_constantIbLb0EES10_IbLb1EEEEDaSW_SX_EUlSW_E_NS1_11comp_targetILNS1_3genE0ELNS1_11target_archE4294967295ELNS1_3gpuE0ELNS1_3repE0EEENS1_30default_config_static_selectorELNS0_4arch9wavefront6targetE1EEEvT1_: ; @_ZN7rocprim17ROCPRIM_400000_NS6detail17trampoline_kernelINS0_14default_configENS1_29reduce_by_key_config_selectorIjjN6thrust23THRUST_200600_302600_NS4plusIjEEEEZZNS1_33reduce_by_key_impl_wrapped_configILNS1_25lookback_scan_determinismE0ES3_S9_NS6_6detail15normal_iteratorINS6_10device_ptrIjEEEESG_SG_SG_PmS8_22is_equal_div_10_reduceIjEEE10hipError_tPvRmT2_T3_mT4_T5_T6_T7_T8_P12ihipStream_tbENKUlT_T0_E_clISt17integral_constantIbLb0EES10_IbLb1EEEEDaSW_SX_EUlSW_E_NS1_11comp_targetILNS1_3genE0ELNS1_11target_archE4294967295ELNS1_3gpuE0ELNS1_3repE0EEENS1_30default_config_static_selectorELNS0_4arch9wavefront6targetE1EEEvT1_
; %bb.0:
	.section	.rodata,"a",@progbits
	.p2align	6, 0x0
	.amdhsa_kernel _ZN7rocprim17ROCPRIM_400000_NS6detail17trampoline_kernelINS0_14default_configENS1_29reduce_by_key_config_selectorIjjN6thrust23THRUST_200600_302600_NS4plusIjEEEEZZNS1_33reduce_by_key_impl_wrapped_configILNS1_25lookback_scan_determinismE0ES3_S9_NS6_6detail15normal_iteratorINS6_10device_ptrIjEEEESG_SG_SG_PmS8_22is_equal_div_10_reduceIjEEE10hipError_tPvRmT2_T3_mT4_T5_T6_T7_T8_P12ihipStream_tbENKUlT_T0_E_clISt17integral_constantIbLb0EES10_IbLb1EEEEDaSW_SX_EUlSW_E_NS1_11comp_targetILNS1_3genE0ELNS1_11target_archE4294967295ELNS1_3gpuE0ELNS1_3repE0EEENS1_30default_config_static_selectorELNS0_4arch9wavefront6targetE1EEEvT1_
		.amdhsa_group_segment_fixed_size 0
		.amdhsa_private_segment_fixed_size 0
		.amdhsa_kernarg_size 120
		.amdhsa_user_sgpr_count 6
		.amdhsa_user_sgpr_private_segment_buffer 1
		.amdhsa_user_sgpr_dispatch_ptr 0
		.amdhsa_user_sgpr_queue_ptr 0
		.amdhsa_user_sgpr_kernarg_segment_ptr 1
		.amdhsa_user_sgpr_dispatch_id 0
		.amdhsa_user_sgpr_flat_scratch_init 0
		.amdhsa_user_sgpr_kernarg_preload_length 0
		.amdhsa_user_sgpr_kernarg_preload_offset 0
		.amdhsa_user_sgpr_private_segment_size 0
		.amdhsa_uses_dynamic_stack 0
		.amdhsa_system_sgpr_private_segment_wavefront_offset 0
		.amdhsa_system_sgpr_workgroup_id_x 1
		.amdhsa_system_sgpr_workgroup_id_y 0
		.amdhsa_system_sgpr_workgroup_id_z 0
		.amdhsa_system_sgpr_workgroup_info 0
		.amdhsa_system_vgpr_workitem_id 0
		.amdhsa_next_free_vgpr 1
		.amdhsa_next_free_sgpr 0
		.amdhsa_accum_offset 4
		.amdhsa_reserve_vcc 0
		.amdhsa_reserve_flat_scratch 0
		.amdhsa_float_round_mode_32 0
		.amdhsa_float_round_mode_16_64 0
		.amdhsa_float_denorm_mode_32 3
		.amdhsa_float_denorm_mode_16_64 3
		.amdhsa_dx10_clamp 1
		.amdhsa_ieee_mode 1
		.amdhsa_fp16_overflow 0
		.amdhsa_tg_split 0
		.amdhsa_exception_fp_ieee_invalid_op 0
		.amdhsa_exception_fp_denorm_src 0
		.amdhsa_exception_fp_ieee_div_zero 0
		.amdhsa_exception_fp_ieee_overflow 0
		.amdhsa_exception_fp_ieee_underflow 0
		.amdhsa_exception_fp_ieee_inexact 0
		.amdhsa_exception_int_div_zero 0
	.end_amdhsa_kernel
	.section	.text._ZN7rocprim17ROCPRIM_400000_NS6detail17trampoline_kernelINS0_14default_configENS1_29reduce_by_key_config_selectorIjjN6thrust23THRUST_200600_302600_NS4plusIjEEEEZZNS1_33reduce_by_key_impl_wrapped_configILNS1_25lookback_scan_determinismE0ES3_S9_NS6_6detail15normal_iteratorINS6_10device_ptrIjEEEESG_SG_SG_PmS8_22is_equal_div_10_reduceIjEEE10hipError_tPvRmT2_T3_mT4_T5_T6_T7_T8_P12ihipStream_tbENKUlT_T0_E_clISt17integral_constantIbLb0EES10_IbLb1EEEEDaSW_SX_EUlSW_E_NS1_11comp_targetILNS1_3genE0ELNS1_11target_archE4294967295ELNS1_3gpuE0ELNS1_3repE0EEENS1_30default_config_static_selectorELNS0_4arch9wavefront6targetE1EEEvT1_,"axG",@progbits,_ZN7rocprim17ROCPRIM_400000_NS6detail17trampoline_kernelINS0_14default_configENS1_29reduce_by_key_config_selectorIjjN6thrust23THRUST_200600_302600_NS4plusIjEEEEZZNS1_33reduce_by_key_impl_wrapped_configILNS1_25lookback_scan_determinismE0ES3_S9_NS6_6detail15normal_iteratorINS6_10device_ptrIjEEEESG_SG_SG_PmS8_22is_equal_div_10_reduceIjEEE10hipError_tPvRmT2_T3_mT4_T5_T6_T7_T8_P12ihipStream_tbENKUlT_T0_E_clISt17integral_constantIbLb0EES10_IbLb1EEEEDaSW_SX_EUlSW_E_NS1_11comp_targetILNS1_3genE0ELNS1_11target_archE4294967295ELNS1_3gpuE0ELNS1_3repE0EEENS1_30default_config_static_selectorELNS0_4arch9wavefront6targetE1EEEvT1_,comdat
.Lfunc_end381:
	.size	_ZN7rocprim17ROCPRIM_400000_NS6detail17trampoline_kernelINS0_14default_configENS1_29reduce_by_key_config_selectorIjjN6thrust23THRUST_200600_302600_NS4plusIjEEEEZZNS1_33reduce_by_key_impl_wrapped_configILNS1_25lookback_scan_determinismE0ES3_S9_NS6_6detail15normal_iteratorINS6_10device_ptrIjEEEESG_SG_SG_PmS8_22is_equal_div_10_reduceIjEEE10hipError_tPvRmT2_T3_mT4_T5_T6_T7_T8_P12ihipStream_tbENKUlT_T0_E_clISt17integral_constantIbLb0EES10_IbLb1EEEEDaSW_SX_EUlSW_E_NS1_11comp_targetILNS1_3genE0ELNS1_11target_archE4294967295ELNS1_3gpuE0ELNS1_3repE0EEENS1_30default_config_static_selectorELNS0_4arch9wavefront6targetE1EEEvT1_, .Lfunc_end381-_ZN7rocprim17ROCPRIM_400000_NS6detail17trampoline_kernelINS0_14default_configENS1_29reduce_by_key_config_selectorIjjN6thrust23THRUST_200600_302600_NS4plusIjEEEEZZNS1_33reduce_by_key_impl_wrapped_configILNS1_25lookback_scan_determinismE0ES3_S9_NS6_6detail15normal_iteratorINS6_10device_ptrIjEEEESG_SG_SG_PmS8_22is_equal_div_10_reduceIjEEE10hipError_tPvRmT2_T3_mT4_T5_T6_T7_T8_P12ihipStream_tbENKUlT_T0_E_clISt17integral_constantIbLb0EES10_IbLb1EEEEDaSW_SX_EUlSW_E_NS1_11comp_targetILNS1_3genE0ELNS1_11target_archE4294967295ELNS1_3gpuE0ELNS1_3repE0EEENS1_30default_config_static_selectorELNS0_4arch9wavefront6targetE1EEEvT1_
                                        ; -- End function
	.section	.AMDGPU.csdata,"",@progbits
; Kernel info:
; codeLenInByte = 0
; NumSgprs: 4
; NumVgprs: 0
; NumAgprs: 0
; TotalNumVgprs: 0
; ScratchSize: 0
; MemoryBound: 0
; FloatMode: 240
; IeeeMode: 1
; LDSByteSize: 0 bytes/workgroup (compile time only)
; SGPRBlocks: 0
; VGPRBlocks: 0
; NumSGPRsForWavesPerEU: 4
; NumVGPRsForWavesPerEU: 1
; AccumOffset: 4
; Occupancy: 8
; WaveLimiterHint : 0
; COMPUTE_PGM_RSRC2:SCRATCH_EN: 0
; COMPUTE_PGM_RSRC2:USER_SGPR: 6
; COMPUTE_PGM_RSRC2:TRAP_HANDLER: 0
; COMPUTE_PGM_RSRC2:TGID_X_EN: 1
; COMPUTE_PGM_RSRC2:TGID_Y_EN: 0
; COMPUTE_PGM_RSRC2:TGID_Z_EN: 0
; COMPUTE_PGM_RSRC2:TIDIG_COMP_CNT: 0
; COMPUTE_PGM_RSRC3_GFX90A:ACCUM_OFFSET: 0
; COMPUTE_PGM_RSRC3_GFX90A:TG_SPLIT: 0
	.section	.text._ZN7rocprim17ROCPRIM_400000_NS6detail17trampoline_kernelINS0_14default_configENS1_29reduce_by_key_config_selectorIjjN6thrust23THRUST_200600_302600_NS4plusIjEEEEZZNS1_33reduce_by_key_impl_wrapped_configILNS1_25lookback_scan_determinismE0ES3_S9_NS6_6detail15normal_iteratorINS6_10device_ptrIjEEEESG_SG_SG_PmS8_22is_equal_div_10_reduceIjEEE10hipError_tPvRmT2_T3_mT4_T5_T6_T7_T8_P12ihipStream_tbENKUlT_T0_E_clISt17integral_constantIbLb0EES10_IbLb1EEEEDaSW_SX_EUlSW_E_NS1_11comp_targetILNS1_3genE5ELNS1_11target_archE942ELNS1_3gpuE9ELNS1_3repE0EEENS1_30default_config_static_selectorELNS0_4arch9wavefront6targetE1EEEvT1_,"axG",@progbits,_ZN7rocprim17ROCPRIM_400000_NS6detail17trampoline_kernelINS0_14default_configENS1_29reduce_by_key_config_selectorIjjN6thrust23THRUST_200600_302600_NS4plusIjEEEEZZNS1_33reduce_by_key_impl_wrapped_configILNS1_25lookback_scan_determinismE0ES3_S9_NS6_6detail15normal_iteratorINS6_10device_ptrIjEEEESG_SG_SG_PmS8_22is_equal_div_10_reduceIjEEE10hipError_tPvRmT2_T3_mT4_T5_T6_T7_T8_P12ihipStream_tbENKUlT_T0_E_clISt17integral_constantIbLb0EES10_IbLb1EEEEDaSW_SX_EUlSW_E_NS1_11comp_targetILNS1_3genE5ELNS1_11target_archE942ELNS1_3gpuE9ELNS1_3repE0EEENS1_30default_config_static_selectorELNS0_4arch9wavefront6targetE1EEEvT1_,comdat
	.protected	_ZN7rocprim17ROCPRIM_400000_NS6detail17trampoline_kernelINS0_14default_configENS1_29reduce_by_key_config_selectorIjjN6thrust23THRUST_200600_302600_NS4plusIjEEEEZZNS1_33reduce_by_key_impl_wrapped_configILNS1_25lookback_scan_determinismE0ES3_S9_NS6_6detail15normal_iteratorINS6_10device_ptrIjEEEESG_SG_SG_PmS8_22is_equal_div_10_reduceIjEEE10hipError_tPvRmT2_T3_mT4_T5_T6_T7_T8_P12ihipStream_tbENKUlT_T0_E_clISt17integral_constantIbLb0EES10_IbLb1EEEEDaSW_SX_EUlSW_E_NS1_11comp_targetILNS1_3genE5ELNS1_11target_archE942ELNS1_3gpuE9ELNS1_3repE0EEENS1_30default_config_static_selectorELNS0_4arch9wavefront6targetE1EEEvT1_ ; -- Begin function _ZN7rocprim17ROCPRIM_400000_NS6detail17trampoline_kernelINS0_14default_configENS1_29reduce_by_key_config_selectorIjjN6thrust23THRUST_200600_302600_NS4plusIjEEEEZZNS1_33reduce_by_key_impl_wrapped_configILNS1_25lookback_scan_determinismE0ES3_S9_NS6_6detail15normal_iteratorINS6_10device_ptrIjEEEESG_SG_SG_PmS8_22is_equal_div_10_reduceIjEEE10hipError_tPvRmT2_T3_mT4_T5_T6_T7_T8_P12ihipStream_tbENKUlT_T0_E_clISt17integral_constantIbLb0EES10_IbLb1EEEEDaSW_SX_EUlSW_E_NS1_11comp_targetILNS1_3genE5ELNS1_11target_archE942ELNS1_3gpuE9ELNS1_3repE0EEENS1_30default_config_static_selectorELNS0_4arch9wavefront6targetE1EEEvT1_
	.globl	_ZN7rocprim17ROCPRIM_400000_NS6detail17trampoline_kernelINS0_14default_configENS1_29reduce_by_key_config_selectorIjjN6thrust23THRUST_200600_302600_NS4plusIjEEEEZZNS1_33reduce_by_key_impl_wrapped_configILNS1_25lookback_scan_determinismE0ES3_S9_NS6_6detail15normal_iteratorINS6_10device_ptrIjEEEESG_SG_SG_PmS8_22is_equal_div_10_reduceIjEEE10hipError_tPvRmT2_T3_mT4_T5_T6_T7_T8_P12ihipStream_tbENKUlT_T0_E_clISt17integral_constantIbLb0EES10_IbLb1EEEEDaSW_SX_EUlSW_E_NS1_11comp_targetILNS1_3genE5ELNS1_11target_archE942ELNS1_3gpuE9ELNS1_3repE0EEENS1_30default_config_static_selectorELNS0_4arch9wavefront6targetE1EEEvT1_
	.p2align	8
	.type	_ZN7rocprim17ROCPRIM_400000_NS6detail17trampoline_kernelINS0_14default_configENS1_29reduce_by_key_config_selectorIjjN6thrust23THRUST_200600_302600_NS4plusIjEEEEZZNS1_33reduce_by_key_impl_wrapped_configILNS1_25lookback_scan_determinismE0ES3_S9_NS6_6detail15normal_iteratorINS6_10device_ptrIjEEEESG_SG_SG_PmS8_22is_equal_div_10_reduceIjEEE10hipError_tPvRmT2_T3_mT4_T5_T6_T7_T8_P12ihipStream_tbENKUlT_T0_E_clISt17integral_constantIbLb0EES10_IbLb1EEEEDaSW_SX_EUlSW_E_NS1_11comp_targetILNS1_3genE5ELNS1_11target_archE942ELNS1_3gpuE9ELNS1_3repE0EEENS1_30default_config_static_selectorELNS0_4arch9wavefront6targetE1EEEvT1_,@function
_ZN7rocprim17ROCPRIM_400000_NS6detail17trampoline_kernelINS0_14default_configENS1_29reduce_by_key_config_selectorIjjN6thrust23THRUST_200600_302600_NS4plusIjEEEEZZNS1_33reduce_by_key_impl_wrapped_configILNS1_25lookback_scan_determinismE0ES3_S9_NS6_6detail15normal_iteratorINS6_10device_ptrIjEEEESG_SG_SG_PmS8_22is_equal_div_10_reduceIjEEE10hipError_tPvRmT2_T3_mT4_T5_T6_T7_T8_P12ihipStream_tbENKUlT_T0_E_clISt17integral_constantIbLb0EES10_IbLb1EEEEDaSW_SX_EUlSW_E_NS1_11comp_targetILNS1_3genE5ELNS1_11target_archE942ELNS1_3gpuE9ELNS1_3repE0EEENS1_30default_config_static_selectorELNS0_4arch9wavefront6targetE1EEEvT1_: ; @_ZN7rocprim17ROCPRIM_400000_NS6detail17trampoline_kernelINS0_14default_configENS1_29reduce_by_key_config_selectorIjjN6thrust23THRUST_200600_302600_NS4plusIjEEEEZZNS1_33reduce_by_key_impl_wrapped_configILNS1_25lookback_scan_determinismE0ES3_S9_NS6_6detail15normal_iteratorINS6_10device_ptrIjEEEESG_SG_SG_PmS8_22is_equal_div_10_reduceIjEEE10hipError_tPvRmT2_T3_mT4_T5_T6_T7_T8_P12ihipStream_tbENKUlT_T0_E_clISt17integral_constantIbLb0EES10_IbLb1EEEEDaSW_SX_EUlSW_E_NS1_11comp_targetILNS1_3genE5ELNS1_11target_archE942ELNS1_3gpuE9ELNS1_3repE0EEENS1_30default_config_static_selectorELNS0_4arch9wavefront6targetE1EEEvT1_
; %bb.0:
	.section	.rodata,"a",@progbits
	.p2align	6, 0x0
	.amdhsa_kernel _ZN7rocprim17ROCPRIM_400000_NS6detail17trampoline_kernelINS0_14default_configENS1_29reduce_by_key_config_selectorIjjN6thrust23THRUST_200600_302600_NS4plusIjEEEEZZNS1_33reduce_by_key_impl_wrapped_configILNS1_25lookback_scan_determinismE0ES3_S9_NS6_6detail15normal_iteratorINS6_10device_ptrIjEEEESG_SG_SG_PmS8_22is_equal_div_10_reduceIjEEE10hipError_tPvRmT2_T3_mT4_T5_T6_T7_T8_P12ihipStream_tbENKUlT_T0_E_clISt17integral_constantIbLb0EES10_IbLb1EEEEDaSW_SX_EUlSW_E_NS1_11comp_targetILNS1_3genE5ELNS1_11target_archE942ELNS1_3gpuE9ELNS1_3repE0EEENS1_30default_config_static_selectorELNS0_4arch9wavefront6targetE1EEEvT1_
		.amdhsa_group_segment_fixed_size 0
		.amdhsa_private_segment_fixed_size 0
		.amdhsa_kernarg_size 120
		.amdhsa_user_sgpr_count 6
		.amdhsa_user_sgpr_private_segment_buffer 1
		.amdhsa_user_sgpr_dispatch_ptr 0
		.amdhsa_user_sgpr_queue_ptr 0
		.amdhsa_user_sgpr_kernarg_segment_ptr 1
		.amdhsa_user_sgpr_dispatch_id 0
		.amdhsa_user_sgpr_flat_scratch_init 0
		.amdhsa_user_sgpr_kernarg_preload_length 0
		.amdhsa_user_sgpr_kernarg_preload_offset 0
		.amdhsa_user_sgpr_private_segment_size 0
		.amdhsa_uses_dynamic_stack 0
		.amdhsa_system_sgpr_private_segment_wavefront_offset 0
		.amdhsa_system_sgpr_workgroup_id_x 1
		.amdhsa_system_sgpr_workgroup_id_y 0
		.amdhsa_system_sgpr_workgroup_id_z 0
		.amdhsa_system_sgpr_workgroup_info 0
		.amdhsa_system_vgpr_workitem_id 0
		.amdhsa_next_free_vgpr 1
		.amdhsa_next_free_sgpr 0
		.amdhsa_accum_offset 4
		.amdhsa_reserve_vcc 0
		.amdhsa_reserve_flat_scratch 0
		.amdhsa_float_round_mode_32 0
		.amdhsa_float_round_mode_16_64 0
		.amdhsa_float_denorm_mode_32 3
		.amdhsa_float_denorm_mode_16_64 3
		.amdhsa_dx10_clamp 1
		.amdhsa_ieee_mode 1
		.amdhsa_fp16_overflow 0
		.amdhsa_tg_split 0
		.amdhsa_exception_fp_ieee_invalid_op 0
		.amdhsa_exception_fp_denorm_src 0
		.amdhsa_exception_fp_ieee_div_zero 0
		.amdhsa_exception_fp_ieee_overflow 0
		.amdhsa_exception_fp_ieee_underflow 0
		.amdhsa_exception_fp_ieee_inexact 0
		.amdhsa_exception_int_div_zero 0
	.end_amdhsa_kernel
	.section	.text._ZN7rocprim17ROCPRIM_400000_NS6detail17trampoline_kernelINS0_14default_configENS1_29reduce_by_key_config_selectorIjjN6thrust23THRUST_200600_302600_NS4plusIjEEEEZZNS1_33reduce_by_key_impl_wrapped_configILNS1_25lookback_scan_determinismE0ES3_S9_NS6_6detail15normal_iteratorINS6_10device_ptrIjEEEESG_SG_SG_PmS8_22is_equal_div_10_reduceIjEEE10hipError_tPvRmT2_T3_mT4_T5_T6_T7_T8_P12ihipStream_tbENKUlT_T0_E_clISt17integral_constantIbLb0EES10_IbLb1EEEEDaSW_SX_EUlSW_E_NS1_11comp_targetILNS1_3genE5ELNS1_11target_archE942ELNS1_3gpuE9ELNS1_3repE0EEENS1_30default_config_static_selectorELNS0_4arch9wavefront6targetE1EEEvT1_,"axG",@progbits,_ZN7rocprim17ROCPRIM_400000_NS6detail17trampoline_kernelINS0_14default_configENS1_29reduce_by_key_config_selectorIjjN6thrust23THRUST_200600_302600_NS4plusIjEEEEZZNS1_33reduce_by_key_impl_wrapped_configILNS1_25lookback_scan_determinismE0ES3_S9_NS6_6detail15normal_iteratorINS6_10device_ptrIjEEEESG_SG_SG_PmS8_22is_equal_div_10_reduceIjEEE10hipError_tPvRmT2_T3_mT4_T5_T6_T7_T8_P12ihipStream_tbENKUlT_T0_E_clISt17integral_constantIbLb0EES10_IbLb1EEEEDaSW_SX_EUlSW_E_NS1_11comp_targetILNS1_3genE5ELNS1_11target_archE942ELNS1_3gpuE9ELNS1_3repE0EEENS1_30default_config_static_selectorELNS0_4arch9wavefront6targetE1EEEvT1_,comdat
.Lfunc_end382:
	.size	_ZN7rocprim17ROCPRIM_400000_NS6detail17trampoline_kernelINS0_14default_configENS1_29reduce_by_key_config_selectorIjjN6thrust23THRUST_200600_302600_NS4plusIjEEEEZZNS1_33reduce_by_key_impl_wrapped_configILNS1_25lookback_scan_determinismE0ES3_S9_NS6_6detail15normal_iteratorINS6_10device_ptrIjEEEESG_SG_SG_PmS8_22is_equal_div_10_reduceIjEEE10hipError_tPvRmT2_T3_mT4_T5_T6_T7_T8_P12ihipStream_tbENKUlT_T0_E_clISt17integral_constantIbLb0EES10_IbLb1EEEEDaSW_SX_EUlSW_E_NS1_11comp_targetILNS1_3genE5ELNS1_11target_archE942ELNS1_3gpuE9ELNS1_3repE0EEENS1_30default_config_static_selectorELNS0_4arch9wavefront6targetE1EEEvT1_, .Lfunc_end382-_ZN7rocprim17ROCPRIM_400000_NS6detail17trampoline_kernelINS0_14default_configENS1_29reduce_by_key_config_selectorIjjN6thrust23THRUST_200600_302600_NS4plusIjEEEEZZNS1_33reduce_by_key_impl_wrapped_configILNS1_25lookback_scan_determinismE0ES3_S9_NS6_6detail15normal_iteratorINS6_10device_ptrIjEEEESG_SG_SG_PmS8_22is_equal_div_10_reduceIjEEE10hipError_tPvRmT2_T3_mT4_T5_T6_T7_T8_P12ihipStream_tbENKUlT_T0_E_clISt17integral_constantIbLb0EES10_IbLb1EEEEDaSW_SX_EUlSW_E_NS1_11comp_targetILNS1_3genE5ELNS1_11target_archE942ELNS1_3gpuE9ELNS1_3repE0EEENS1_30default_config_static_selectorELNS0_4arch9wavefront6targetE1EEEvT1_
                                        ; -- End function
	.section	.AMDGPU.csdata,"",@progbits
; Kernel info:
; codeLenInByte = 0
; NumSgprs: 4
; NumVgprs: 0
; NumAgprs: 0
; TotalNumVgprs: 0
; ScratchSize: 0
; MemoryBound: 0
; FloatMode: 240
; IeeeMode: 1
; LDSByteSize: 0 bytes/workgroup (compile time only)
; SGPRBlocks: 0
; VGPRBlocks: 0
; NumSGPRsForWavesPerEU: 4
; NumVGPRsForWavesPerEU: 1
; AccumOffset: 4
; Occupancy: 8
; WaveLimiterHint : 0
; COMPUTE_PGM_RSRC2:SCRATCH_EN: 0
; COMPUTE_PGM_RSRC2:USER_SGPR: 6
; COMPUTE_PGM_RSRC2:TRAP_HANDLER: 0
; COMPUTE_PGM_RSRC2:TGID_X_EN: 1
; COMPUTE_PGM_RSRC2:TGID_Y_EN: 0
; COMPUTE_PGM_RSRC2:TGID_Z_EN: 0
; COMPUTE_PGM_RSRC2:TIDIG_COMP_CNT: 0
; COMPUTE_PGM_RSRC3_GFX90A:ACCUM_OFFSET: 0
; COMPUTE_PGM_RSRC3_GFX90A:TG_SPLIT: 0
	.section	.text._ZN7rocprim17ROCPRIM_400000_NS6detail17trampoline_kernelINS0_14default_configENS1_29reduce_by_key_config_selectorIjjN6thrust23THRUST_200600_302600_NS4plusIjEEEEZZNS1_33reduce_by_key_impl_wrapped_configILNS1_25lookback_scan_determinismE0ES3_S9_NS6_6detail15normal_iteratorINS6_10device_ptrIjEEEESG_SG_SG_PmS8_22is_equal_div_10_reduceIjEEE10hipError_tPvRmT2_T3_mT4_T5_T6_T7_T8_P12ihipStream_tbENKUlT_T0_E_clISt17integral_constantIbLb0EES10_IbLb1EEEEDaSW_SX_EUlSW_E_NS1_11comp_targetILNS1_3genE4ELNS1_11target_archE910ELNS1_3gpuE8ELNS1_3repE0EEENS1_30default_config_static_selectorELNS0_4arch9wavefront6targetE1EEEvT1_,"axG",@progbits,_ZN7rocprim17ROCPRIM_400000_NS6detail17trampoline_kernelINS0_14default_configENS1_29reduce_by_key_config_selectorIjjN6thrust23THRUST_200600_302600_NS4plusIjEEEEZZNS1_33reduce_by_key_impl_wrapped_configILNS1_25lookback_scan_determinismE0ES3_S9_NS6_6detail15normal_iteratorINS6_10device_ptrIjEEEESG_SG_SG_PmS8_22is_equal_div_10_reduceIjEEE10hipError_tPvRmT2_T3_mT4_T5_T6_T7_T8_P12ihipStream_tbENKUlT_T0_E_clISt17integral_constantIbLb0EES10_IbLb1EEEEDaSW_SX_EUlSW_E_NS1_11comp_targetILNS1_3genE4ELNS1_11target_archE910ELNS1_3gpuE8ELNS1_3repE0EEENS1_30default_config_static_selectorELNS0_4arch9wavefront6targetE1EEEvT1_,comdat
	.protected	_ZN7rocprim17ROCPRIM_400000_NS6detail17trampoline_kernelINS0_14default_configENS1_29reduce_by_key_config_selectorIjjN6thrust23THRUST_200600_302600_NS4plusIjEEEEZZNS1_33reduce_by_key_impl_wrapped_configILNS1_25lookback_scan_determinismE0ES3_S9_NS6_6detail15normal_iteratorINS6_10device_ptrIjEEEESG_SG_SG_PmS8_22is_equal_div_10_reduceIjEEE10hipError_tPvRmT2_T3_mT4_T5_T6_T7_T8_P12ihipStream_tbENKUlT_T0_E_clISt17integral_constantIbLb0EES10_IbLb1EEEEDaSW_SX_EUlSW_E_NS1_11comp_targetILNS1_3genE4ELNS1_11target_archE910ELNS1_3gpuE8ELNS1_3repE0EEENS1_30default_config_static_selectorELNS0_4arch9wavefront6targetE1EEEvT1_ ; -- Begin function _ZN7rocprim17ROCPRIM_400000_NS6detail17trampoline_kernelINS0_14default_configENS1_29reduce_by_key_config_selectorIjjN6thrust23THRUST_200600_302600_NS4plusIjEEEEZZNS1_33reduce_by_key_impl_wrapped_configILNS1_25lookback_scan_determinismE0ES3_S9_NS6_6detail15normal_iteratorINS6_10device_ptrIjEEEESG_SG_SG_PmS8_22is_equal_div_10_reduceIjEEE10hipError_tPvRmT2_T3_mT4_T5_T6_T7_T8_P12ihipStream_tbENKUlT_T0_E_clISt17integral_constantIbLb0EES10_IbLb1EEEEDaSW_SX_EUlSW_E_NS1_11comp_targetILNS1_3genE4ELNS1_11target_archE910ELNS1_3gpuE8ELNS1_3repE0EEENS1_30default_config_static_selectorELNS0_4arch9wavefront6targetE1EEEvT1_
	.globl	_ZN7rocprim17ROCPRIM_400000_NS6detail17trampoline_kernelINS0_14default_configENS1_29reduce_by_key_config_selectorIjjN6thrust23THRUST_200600_302600_NS4plusIjEEEEZZNS1_33reduce_by_key_impl_wrapped_configILNS1_25lookback_scan_determinismE0ES3_S9_NS6_6detail15normal_iteratorINS6_10device_ptrIjEEEESG_SG_SG_PmS8_22is_equal_div_10_reduceIjEEE10hipError_tPvRmT2_T3_mT4_T5_T6_T7_T8_P12ihipStream_tbENKUlT_T0_E_clISt17integral_constantIbLb0EES10_IbLb1EEEEDaSW_SX_EUlSW_E_NS1_11comp_targetILNS1_3genE4ELNS1_11target_archE910ELNS1_3gpuE8ELNS1_3repE0EEENS1_30default_config_static_selectorELNS0_4arch9wavefront6targetE1EEEvT1_
	.p2align	8
	.type	_ZN7rocprim17ROCPRIM_400000_NS6detail17trampoline_kernelINS0_14default_configENS1_29reduce_by_key_config_selectorIjjN6thrust23THRUST_200600_302600_NS4plusIjEEEEZZNS1_33reduce_by_key_impl_wrapped_configILNS1_25lookback_scan_determinismE0ES3_S9_NS6_6detail15normal_iteratorINS6_10device_ptrIjEEEESG_SG_SG_PmS8_22is_equal_div_10_reduceIjEEE10hipError_tPvRmT2_T3_mT4_T5_T6_T7_T8_P12ihipStream_tbENKUlT_T0_E_clISt17integral_constantIbLb0EES10_IbLb1EEEEDaSW_SX_EUlSW_E_NS1_11comp_targetILNS1_3genE4ELNS1_11target_archE910ELNS1_3gpuE8ELNS1_3repE0EEENS1_30default_config_static_selectorELNS0_4arch9wavefront6targetE1EEEvT1_,@function
_ZN7rocprim17ROCPRIM_400000_NS6detail17trampoline_kernelINS0_14default_configENS1_29reduce_by_key_config_selectorIjjN6thrust23THRUST_200600_302600_NS4plusIjEEEEZZNS1_33reduce_by_key_impl_wrapped_configILNS1_25lookback_scan_determinismE0ES3_S9_NS6_6detail15normal_iteratorINS6_10device_ptrIjEEEESG_SG_SG_PmS8_22is_equal_div_10_reduceIjEEE10hipError_tPvRmT2_T3_mT4_T5_T6_T7_T8_P12ihipStream_tbENKUlT_T0_E_clISt17integral_constantIbLb0EES10_IbLb1EEEEDaSW_SX_EUlSW_E_NS1_11comp_targetILNS1_3genE4ELNS1_11target_archE910ELNS1_3gpuE8ELNS1_3repE0EEENS1_30default_config_static_selectorELNS0_4arch9wavefront6targetE1EEEvT1_: ; @_ZN7rocprim17ROCPRIM_400000_NS6detail17trampoline_kernelINS0_14default_configENS1_29reduce_by_key_config_selectorIjjN6thrust23THRUST_200600_302600_NS4plusIjEEEEZZNS1_33reduce_by_key_impl_wrapped_configILNS1_25lookback_scan_determinismE0ES3_S9_NS6_6detail15normal_iteratorINS6_10device_ptrIjEEEESG_SG_SG_PmS8_22is_equal_div_10_reduceIjEEE10hipError_tPvRmT2_T3_mT4_T5_T6_T7_T8_P12ihipStream_tbENKUlT_T0_E_clISt17integral_constantIbLb0EES10_IbLb1EEEEDaSW_SX_EUlSW_E_NS1_11comp_targetILNS1_3genE4ELNS1_11target_archE910ELNS1_3gpuE8ELNS1_3repE0EEENS1_30default_config_static_selectorELNS0_4arch9wavefront6targetE1EEEvT1_
; %bb.0:
	s_load_dwordx8 s[36:43], s[4:5], 0x0
	s_load_dwordx4 s[52:55], s[4:5], 0x20
	s_load_dwordx8 s[44:51], s[4:5], 0x38
	s_load_dwordx2 s[60:61], s[4:5], 0x68
	s_load_dwordx4 s[56:59], s[4:5], 0x58
	v_cmp_ne_u32_e64 s[2:3], 0, v0
	v_cmp_eq_u32_e64 s[0:1], 0, v0
	s_and_saveexec_b64 s[6:7], s[0:1]
	s_cbranch_execz .LBB383_4
; %bb.1:
	s_mov_b64 s[10:11], exec
	v_mbcnt_lo_u32_b32 v1, s10, 0
	v_mbcnt_hi_u32_b32 v1, s11, v1
	v_cmp_eq_u32_e32 vcc, 0, v1
                                        ; implicit-def: $vgpr2
	s_and_saveexec_b64 s[8:9], vcc
	s_cbranch_execz .LBB383_3
; %bb.2:
	s_load_dwordx2 s[4:5], s[4:5], 0x70
	s_bcnt1_i32_b64 s10, s[10:11]
	v_mov_b32_e32 v2, 0
	v_mov_b32_e32 v3, s10
	s_waitcnt lgkmcnt(0)
	global_atomic_add v2, v2, v3, s[4:5] glc
.LBB383_3:
	s_or_b64 exec, exec, s[8:9]
	s_waitcnt vmcnt(0)
	v_readfirstlane_b32 s4, v2
	v_add_u32_e32 v1, s4, v1
	v_mov_b32_e32 v2, 0
	ds_write_b32 v2, v1
.LBB383_4:
	s_or_b64 exec, exec, s[6:7]
	v_mov_b32_e32 v3, 0
	s_waitcnt lgkmcnt(0)
	s_lshl_b64 s[4:5], s[38:39], 2
	s_barrier
	ds_read_b32 v1, v3
	s_add_u32 s6, s36, s4
	s_addc_u32 s7, s37, s5
	s_add_u32 s4, s40, s4
	s_mul_i32 s8, s48, s47
	s_mul_hi_u32 s9, s48, s46
	s_addc_u32 s5, s41, s5
	s_add_i32 s8, s9, s8
	s_mul_i32 s9, s49, s46
	s_add_i32 s8, s8, s9
	s_mul_i32 s9, s48, s46
	s_waitcnt lgkmcnt(0)
	v_readfirstlane_b32 s62, v1
	s_movk_i32 s10, 0xf00
	v_mul_lo_u32 v2, v1, s10
	s_add_u32 s40, s9, s62
	v_lshlrev_b64 v[6:7], 2, v[2:3]
	s_addc_u32 s41, s8, 0
	v_mov_b32_e32 v1, s7
	v_add_co_u32_e32 v3, vcc, s6, v6
	s_add_u32 s6, s50, -1
	v_addc_co_u32_e32 v4, vcc, v1, v7, vcc
	s_addc_u32 s7, s51, -1
	v_mov_b32_e32 v1, s5
	v_add_co_u32_e32 v5, vcc, s4, v6
	s_cmp_eq_u64 s[40:41], s[6:7]
	v_addc_co_u32_e32 v6, vcc, v1, v7, vcc
	s_cselect_b64 s[36:37], -1, 0
	s_cmp_lg_u64 s[40:41], s[6:7]
	s_mov_b64 s[4:5], -1
	s_cselect_b64 s[48:49], -1, 0
	s_mul_i32 s33, s6, 0xfffff100
	s_and_b64 vcc, exec, s[36:37]
	v_mul_u32_u24_e32 v2, 15, v0
	s_barrier
	s_cbranch_vccnz .LBB383_6
; %bb.5:
	v_lshlrev_b32_e32 v30, 2, v0
	v_add_co_u32_e32 v8, vcc, v3, v30
	v_addc_co_u32_e32 v9, vcc, 0, v4, vcc
	v_add_co_u32_e32 v10, vcc, 0x1000, v8
	v_addc_co_u32_e32 v11, vcc, 0, v9, vcc
	flat_load_dword v1, v[8:9]
	flat_load_dword v12, v[8:9] offset:1024
	flat_load_dword v13, v[8:9] offset:2048
	;; [unrolled: 1-line block ×3, first 2 shown]
	flat_load_dword v15, v[10:11]
	flat_load_dword v16, v[10:11] offset:1024
	flat_load_dword v17, v[10:11] offset:2048
	;; [unrolled: 1-line block ×3, first 2 shown]
	v_add_co_u32_e32 v10, vcc, 0x2000, v8
	v_addc_co_u32_e32 v11, vcc, 0, v9, vcc
	v_add_co_u32_e32 v8, vcc, 0x3000, v8
	v_addc_co_u32_e32 v9, vcc, 0, v9, vcc
	flat_load_dword v19, v[10:11]
	flat_load_dword v20, v[10:11] offset:1024
	flat_load_dword v21, v[10:11] offset:2048
	;; [unrolled: 1-line block ×3, first 2 shown]
	flat_load_dword v32, v[8:9]
	flat_load_dword v33, v[8:9] offset:1024
	flat_load_dword v34, v[8:9] offset:2048
	v_add_co_u32_e32 v22, vcc, v5, v30
	s_movk_i32 s4, 0x1000
	v_addc_co_u32_e32 v23, vcc, 0, v6, vcc
	v_add_co_u32_e32 v24, vcc, s4, v22
	s_movk_i32 s5, 0x2000
	v_addc_co_u32_e32 v25, vcc, 0, v23, vcc
	v_add_co_u32_e32 v26, vcc, s5, v22
	s_movk_i32 s6, 0x3000
	v_addc_co_u32_e32 v27, vcc, 0, v23, vcc
	v_mad_u32_u24 v7, v0, 56, v30
	v_add_co_u32_e32 v28, vcc, s6, v22
	v_addc_co_u32_e32 v29, vcc, 0, v23, vcc
	s_waitcnt vmcnt(0) lgkmcnt(0)
	ds_write2st64_b32 v30, v1, v12 offset1:4
	ds_write2st64_b32 v30, v13, v14 offset0:8 offset1:12
	ds_write2st64_b32 v30, v15, v16 offset0:16 offset1:20
	;; [unrolled: 1-line block ×6, first 2 shown]
	ds_write_b32 v30, v34 offset:14336
	s_waitcnt lgkmcnt(0)
	s_barrier
	ds_read2_b32 v[20:21], v7 offset1:1
	ds_read2_b32 v[18:19], v7 offset0:2 offset1:3
	ds_read2_b32 v[16:17], v7 offset0:4 offset1:5
	;; [unrolled: 1-line block ×6, first 2 shown]
	ds_read_b32 v1, v7 offset:56
	s_waitcnt lgkmcnt(0)
	s_barrier
	flat_load_dword v31, v[22:23]
	flat_load_dword v32, v[22:23] offset:1024
	flat_load_dword v33, v[22:23] offset:2048
	flat_load_dword v34, v[22:23] offset:3072
	flat_load_dword v35, v[24:25]
	flat_load_dword v36, v[24:25] offset:1024
	flat_load_dword v37, v[24:25] offset:2048
	flat_load_dword v38, v[24:25] offset:3072
	;; [unrolled: 4-line block ×3, first 2 shown]
	flat_load_dword v43, v[28:29]
	flat_load_dword v44, v[28:29] offset:1024
	flat_load_dword v45, v[28:29] offset:2048
	v_mul_u32_u24_e32 v22, 15, v0
	s_waitcnt vmcnt(0) lgkmcnt(0)
	ds_write2st64_b32 v30, v31, v32 offset1:4
	ds_write2st64_b32 v30, v33, v34 offset0:8 offset1:12
	ds_write2st64_b32 v30, v35, v36 offset0:16 offset1:20
	;; [unrolled: 1-line block ×6, first 2 shown]
	ds_write_b32 v30, v45 offset:14336
	s_waitcnt lgkmcnt(0)
	s_barrier
	s_add_i32 s33, s33, s56
	s_cbranch_execz .LBB383_7
	s_branch .LBB383_54
.LBB383_6:
                                        ; implicit-def: $vgpr8_vgpr9
                                        ; implicit-def: $vgpr10_vgpr11
                                        ; implicit-def: $vgpr12_vgpr13
                                        ; implicit-def: $vgpr14_vgpr15
                                        ; implicit-def: $vgpr16_vgpr17
                                        ; implicit-def: $vgpr18_vgpr19
                                        ; implicit-def: $vgpr20_vgpr21
                                        ; implicit-def: $vgpr22
                                        ; implicit-def: $vgpr7
                                        ; implicit-def: $vgpr1
	s_andn2_b64 vcc, exec, s[4:5]
	s_add_i32 s33, s33, s56
	s_cbranch_vccnz .LBB383_54
.LBB383_7:
	v_cmp_gt_u32_e32 vcc, s33, v0
                                        ; implicit-def: $vgpr1
	s_and_saveexec_b64 s[6:7], vcc
	s_cbranch_execz .LBB383_9
; %bb.8:
	v_lshlrev_b32_e32 v1, 2, v0
	v_add_co_u32_e64 v8, s[4:5], v3, v1
	v_addc_co_u32_e64 v9, s[4:5], 0, v4, s[4:5]
	flat_load_dword v1, v[8:9]
.LBB383_9:
	s_or_b64 exec, exec, s[6:7]
	v_or_b32_e32 v7, 0x100, v0
	v_cmp_gt_u32_e64 s[4:5], s33, v7
                                        ; implicit-def: $vgpr7
	s_and_saveexec_b64 s[8:9], s[4:5]
	s_cbranch_execz .LBB383_11
; %bb.10:
	v_lshlrev_b32_e32 v7, 2, v0
	v_add_co_u32_e64 v8, s[6:7], v3, v7
	v_addc_co_u32_e64 v9, s[6:7], 0, v4, s[6:7]
	flat_load_dword v7, v[8:9] offset:1024
.LBB383_11:
	s_or_b64 exec, exec, s[8:9]
	v_or_b32_e32 v8, 0x200, v0
	v_cmp_gt_u32_e64 s[6:7], s33, v8
                                        ; implicit-def: $vgpr8
	s_and_saveexec_b64 s[10:11], s[6:7]
	s_cbranch_execz .LBB383_13
; %bb.12:
	v_lshlrev_b32_e32 v8, 2, v0
	v_add_co_u32_e64 v8, s[8:9], v3, v8
	v_addc_co_u32_e64 v9, s[8:9], 0, v4, s[8:9]
	flat_load_dword v8, v[8:9] offset:2048
.LBB383_13:
	s_or_b64 exec, exec, s[10:11]
	v_or_b32_e32 v9, 0x300, v0
	v_cmp_gt_u32_e64 s[8:9], s33, v9
                                        ; implicit-def: $vgpr9
	s_and_saveexec_b64 s[12:13], s[8:9]
	s_cbranch_execz .LBB383_15
; %bb.14:
	v_lshlrev_b32_e32 v9, 2, v0
	v_add_co_u32_e64 v10, s[10:11], v3, v9
	v_addc_co_u32_e64 v11, s[10:11], 0, v4, s[10:11]
	flat_load_dword v9, v[10:11] offset:3072
.LBB383_15:
	s_or_b64 exec, exec, s[12:13]
	v_or_b32_e32 v10, 0x400, v0
	v_cmp_gt_u32_e64 s[10:11], s33, v10
	v_lshlrev_b32_e32 v22, 2, v10
                                        ; implicit-def: $vgpr10
	s_and_saveexec_b64 s[14:15], s[10:11]
	s_cbranch_execz .LBB383_17
; %bb.16:
	v_add_co_u32_e64 v10, s[12:13], v3, v22
	v_addc_co_u32_e64 v11, s[12:13], 0, v4, s[12:13]
	flat_load_dword v10, v[10:11]
.LBB383_17:
	s_or_b64 exec, exec, s[14:15]
	v_or_b32_e32 v11, 0x500, v0
	v_cmp_gt_u32_e64 s[12:13], s33, v11
	v_lshlrev_b32_e32 v23, 2, v11
                                        ; implicit-def: $vgpr11
	s_and_saveexec_b64 s[16:17], s[12:13]
	s_cbranch_execz .LBB383_19
; %bb.18:
	v_add_co_u32_e64 v12, s[14:15], v3, v23
	v_addc_co_u32_e64 v13, s[14:15], 0, v4, s[14:15]
	flat_load_dword v11, v[12:13]
.LBB383_19:
	s_or_b64 exec, exec, s[16:17]
	v_or_b32_e32 v12, 0x600, v0
	v_cmp_gt_u32_e64 s[14:15], s33, v12
	v_lshlrev_b32_e32 v24, 2, v12
                                        ; implicit-def: $vgpr12
	s_and_saveexec_b64 s[18:19], s[14:15]
	s_cbranch_execz .LBB383_21
; %bb.20:
	v_add_co_u32_e64 v12, s[16:17], v3, v24
	v_addc_co_u32_e64 v13, s[16:17], 0, v4, s[16:17]
	flat_load_dword v12, v[12:13]
.LBB383_21:
	s_or_b64 exec, exec, s[18:19]
	v_or_b32_e32 v13, 0x700, v0
	v_cmp_gt_u32_e64 s[16:17], s33, v13
	v_lshlrev_b32_e32 v25, 2, v13
                                        ; implicit-def: $vgpr13
	s_and_saveexec_b64 s[20:21], s[16:17]
	s_cbranch_execz .LBB383_23
; %bb.22:
	v_add_co_u32_e64 v14, s[18:19], v3, v25
	v_addc_co_u32_e64 v15, s[18:19], 0, v4, s[18:19]
	flat_load_dword v13, v[14:15]
.LBB383_23:
	s_or_b64 exec, exec, s[20:21]
	v_or_b32_e32 v14, 0x800, v0
	v_cmp_gt_u32_e64 s[18:19], s33, v14
	v_lshlrev_b32_e32 v26, 2, v14
                                        ; implicit-def: $vgpr14
	s_and_saveexec_b64 s[22:23], s[18:19]
	s_cbranch_execz .LBB383_25
; %bb.24:
	v_add_co_u32_e64 v14, s[20:21], v3, v26
	v_addc_co_u32_e64 v15, s[20:21], 0, v4, s[20:21]
	flat_load_dword v14, v[14:15]
.LBB383_25:
	s_or_b64 exec, exec, s[22:23]
	v_or_b32_e32 v15, 0x900, v0
	v_cmp_gt_u32_e64 s[20:21], s33, v15
	v_lshlrev_b32_e32 v27, 2, v15
                                        ; implicit-def: $vgpr15
	s_and_saveexec_b64 s[24:25], s[20:21]
	s_cbranch_execz .LBB383_27
; %bb.26:
	v_add_co_u32_e64 v16, s[22:23], v3, v27
	v_addc_co_u32_e64 v17, s[22:23], 0, v4, s[22:23]
	flat_load_dword v15, v[16:17]
.LBB383_27:
	s_or_b64 exec, exec, s[24:25]
	v_or_b32_e32 v16, 0xa00, v0
	v_cmp_gt_u32_e64 s[22:23], s33, v16
	v_lshlrev_b32_e32 v28, 2, v16
                                        ; implicit-def: $vgpr16
	s_and_saveexec_b64 s[26:27], s[22:23]
	s_cbranch_execz .LBB383_29
; %bb.28:
	v_add_co_u32_e64 v16, s[24:25], v3, v28
	v_addc_co_u32_e64 v17, s[24:25], 0, v4, s[24:25]
	flat_load_dword v16, v[16:17]
.LBB383_29:
	s_or_b64 exec, exec, s[26:27]
	v_or_b32_e32 v17, 0xb00, v0
	v_cmp_gt_u32_e64 s[24:25], s33, v17
	v_lshlrev_b32_e32 v29, 2, v17
                                        ; implicit-def: $vgpr17
	s_and_saveexec_b64 s[28:29], s[24:25]
	s_cbranch_execz .LBB383_31
; %bb.30:
	v_add_co_u32_e64 v18, s[26:27], v3, v29
	v_addc_co_u32_e64 v19, s[26:27], 0, v4, s[26:27]
	flat_load_dword v17, v[18:19]
.LBB383_31:
	s_or_b64 exec, exec, s[28:29]
	v_or_b32_e32 v18, 0xc00, v0
	v_cmp_gt_u32_e64 s[26:27], s33, v18
	v_lshlrev_b32_e32 v30, 2, v18
                                        ; implicit-def: $vgpr18
	s_and_saveexec_b64 s[30:31], s[26:27]
	s_cbranch_execz .LBB383_33
; %bb.32:
	v_add_co_u32_e64 v18, s[28:29], v3, v30
	v_addc_co_u32_e64 v19, s[28:29], 0, v4, s[28:29]
	flat_load_dword v18, v[18:19]
.LBB383_33:
	s_or_b64 exec, exec, s[30:31]
	v_or_b32_e32 v19, 0xd00, v0
	v_cmp_gt_u32_e64 s[28:29], s33, v19
	v_lshlrev_b32_e32 v31, 2, v19
                                        ; implicit-def: $vgpr19
	s_and_saveexec_b64 s[34:35], s[28:29]
	s_cbranch_execz .LBB383_35
; %bb.34:
	v_add_co_u32_e64 v20, s[30:31], v3, v31
	v_addc_co_u32_e64 v21, s[30:31], 0, v4, s[30:31]
	flat_load_dword v19, v[20:21]
.LBB383_35:
	s_or_b64 exec, exec, s[34:35]
	v_or_b32_e32 v20, 0xe00, v0
	v_cmp_gt_u32_e64 s[30:31], s33, v20
	v_lshlrev_b32_e32 v32, 2, v20
                                        ; implicit-def: $vgpr20
	s_and_saveexec_b64 s[38:39], s[30:31]
	s_cbranch_execz .LBB383_37
; %bb.36:
	v_add_co_u32_e64 v20, s[34:35], v3, v32
	v_addc_co_u32_e64 v21, s[34:35], 0, v4, s[34:35]
	flat_load_dword v20, v[20:21]
.LBB383_37:
	s_or_b64 exec, exec, s[38:39]
	v_lshlrev_b32_e32 v33, 2, v0
	s_waitcnt vmcnt(0) lgkmcnt(0)
	ds_write2st64_b32 v33, v1, v7 offset1:4
	ds_write2st64_b32 v33, v8, v9 offset0:8 offset1:12
	ds_write2st64_b32 v33, v10, v11 offset0:16 offset1:20
	;; [unrolled: 1-line block ×6, first 2 shown]
	ds_write_b32 v33, v20 offset:14336
	v_mad_u32_u24 v7, v0, 56, v33
	s_waitcnt lgkmcnt(0)
	s_barrier
	ds_read2_b32 v[20:21], v7 offset1:1
	ds_read2_b32 v[18:19], v7 offset0:2 offset1:3
	ds_read2_b32 v[16:17], v7 offset0:4 offset1:5
	ds_read2_b32 v[14:15], v7 offset0:6 offset1:7
	ds_read2_b32 v[12:13], v7 offset0:8 offset1:9
	ds_read2_b32 v[10:11], v7 offset0:10 offset1:11
	ds_read2_b32 v[8:9], v7 offset0:12 offset1:13
	ds_read_b32 v1, v7 offset:56
	s_waitcnt lgkmcnt(0)
	s_barrier
	s_waitcnt lgkmcnt(0)
                                        ; implicit-def: $vgpr34
	s_and_saveexec_b64 s[34:35], vcc
	s_cbranch_execnz .LBB383_61
; %bb.38:
	s_or_b64 exec, exec, s[34:35]
                                        ; implicit-def: $vgpr35
	s_and_saveexec_b64 s[34:35], s[4:5]
	s_cbranch_execnz .LBB383_62
.LBB383_39:
	s_or_b64 exec, exec, s[34:35]
                                        ; implicit-def: $vgpr36
	s_and_saveexec_b64 s[4:5], s[6:7]
	s_cbranch_execnz .LBB383_63
.LBB383_40:
	s_or_b64 exec, exec, s[4:5]
                                        ; implicit-def: $vgpr37
	s_and_saveexec_b64 s[4:5], s[8:9]
	s_cbranch_execnz .LBB383_64
.LBB383_41:
	s_or_b64 exec, exec, s[4:5]
                                        ; implicit-def: $vgpr38
	s_and_saveexec_b64 s[4:5], s[10:11]
	s_cbranch_execnz .LBB383_65
.LBB383_42:
	s_or_b64 exec, exec, s[4:5]
                                        ; implicit-def: $vgpr22
	s_and_saveexec_b64 s[4:5], s[12:13]
	s_cbranch_execnz .LBB383_66
.LBB383_43:
	s_or_b64 exec, exec, s[4:5]
                                        ; implicit-def: $vgpr23
	s_and_saveexec_b64 s[4:5], s[14:15]
	s_cbranch_execnz .LBB383_67
.LBB383_44:
	s_or_b64 exec, exec, s[4:5]
                                        ; implicit-def: $vgpr24
	s_and_saveexec_b64 s[4:5], s[16:17]
	s_cbranch_execnz .LBB383_68
.LBB383_45:
	s_or_b64 exec, exec, s[4:5]
                                        ; implicit-def: $vgpr25
	s_and_saveexec_b64 s[4:5], s[18:19]
	s_cbranch_execnz .LBB383_69
.LBB383_46:
	s_or_b64 exec, exec, s[4:5]
                                        ; implicit-def: $vgpr26
	s_and_saveexec_b64 s[4:5], s[20:21]
	s_cbranch_execnz .LBB383_70
.LBB383_47:
	s_or_b64 exec, exec, s[4:5]
                                        ; implicit-def: $vgpr27
	s_and_saveexec_b64 s[4:5], s[22:23]
	s_cbranch_execnz .LBB383_71
.LBB383_48:
	s_or_b64 exec, exec, s[4:5]
                                        ; implicit-def: $vgpr28
	s_and_saveexec_b64 s[4:5], s[24:25]
	s_cbranch_execnz .LBB383_72
.LBB383_49:
	s_or_b64 exec, exec, s[4:5]
                                        ; implicit-def: $vgpr29
	s_and_saveexec_b64 s[4:5], s[26:27]
	s_cbranch_execnz .LBB383_73
.LBB383_50:
	s_or_b64 exec, exec, s[4:5]
                                        ; implicit-def: $vgpr30
	s_and_saveexec_b64 s[4:5], s[28:29]
	s_cbranch_execnz .LBB383_74
.LBB383_51:
	s_or_b64 exec, exec, s[4:5]
                                        ; implicit-def: $vgpr31
	s_and_saveexec_b64 s[4:5], s[30:31]
	s_cbranch_execz .LBB383_53
.LBB383_52:
	v_add_co_u32_e32 v40, vcc, v5, v32
	v_addc_co_u32_e32 v41, vcc, 0, v6, vcc
	flat_load_dword v31, v[40:41]
.LBB383_53:
	s_or_b64 exec, exec, s[4:5]
	s_waitcnt vmcnt(0) lgkmcnt(0)
	ds_write2st64_b32 v33, v34, v35 offset1:4
	ds_write2st64_b32 v33, v36, v37 offset0:8 offset1:12
	ds_write2st64_b32 v33, v38, v22 offset0:16 offset1:20
	ds_write2st64_b32 v33, v23, v24 offset0:24 offset1:28
	ds_write2st64_b32 v33, v25, v26 offset0:32 offset1:36
	ds_write2st64_b32 v33, v27, v28 offset0:40 offset1:44
	ds_write2st64_b32 v33, v29, v30 offset0:48 offset1:52
	ds_write_b32 v33, v31 offset:14336
	v_mov_b32_e32 v22, v2
	s_waitcnt lgkmcnt(0)
	s_barrier
.LBB383_54:
	v_lshlrev_b32_e32 v5, 2, v22
	ds_read2_b32 v[46:47], v7 offset1:2
	ds_read2_b32 v[42:43], v7 offset0:4 offset1:6
	ds_read2_b32 v[38:39], v7 offset0:8 offset1:10
	;; [unrolled: 1-line block ×6, first 2 shown]
	ds_read_b32 v82, v5 offset:52
	s_cmp_eq_u64 s[40:41], 0
	s_cselect_b64 s[38:39], -1, 0
	s_cmp_lg_u64 s[40:41], 0
	s_mov_b64 s[4:5], 0
	s_cselect_b64 s[10:11], -1, 0
	s_and_b64 vcc, exec, s[48:49]
	s_waitcnt lgkmcnt(0)
	s_barrier
	s_cbranch_vccz .LBB383_60
; %bb.55:
	s_and_b64 vcc, exec, s[10:11]
	s_cbranch_vccz .LBB383_75
; %bb.56:
	v_add_co_u32_e32 v6, vcc, -4, v3
	v_addc_co_u32_e32 v7, vcc, -1, v4, vcc
	flat_load_dword v6, v[6:7]
	v_lshlrev_b32_e32 v5, 2, v0
	ds_write_b32 v5, v1
	s_waitcnt lgkmcnt(0)
	s_barrier
	s_and_saveexec_b64 s[4:5], s[2:3]
	s_cbranch_execz .LBB383_58
; %bb.57:
	v_add_u32_e32 v5, -4, v5
	s_waitcnt vmcnt(0)
	ds_read_b32 v6, v5
.LBB383_58:
	s_or_b64 exec, exec, s[4:5]
	s_mov_b32 s4, 0x66666667
	v_mul_hi_i32 v5, v9, s4
	v_lshrrev_b32_e32 v7, 31, v5
	v_ashrrev_i32_e32 v5, 2, v5
	v_add_u32_e32 v7, v5, v7
	v_mul_hi_i32 v5, v8, s4
	v_lshrrev_b32_e32 v22, 31, v5
	v_ashrrev_i32_e32 v5, 2, v5
	v_add_u32_e32 v5, v5, v22
	;; [unrolled: 4-line block ×15, first 2 shown]
	v_cmp_ne_u32_e32 vcc, v31, v50
	v_cndmask_b32_e64 v35, 0, 1, vcc
	v_cmp_ne_u32_e32 vcc, v31, v33
	v_cndmask_b32_e64 v32, 0, 1, vcc
	v_cmp_ne_u32_e32 vcc, v33, v30
	v_cndmask_b32_e64 v33, 0, 1, vcc
	v_cmp_ne_u32_e32 vcc, v26, v30
	v_cndmask_b32_e64 v30, 0, 1, vcc
	v_cmp_ne_u32_e32 vcc, v25, v26
	v_cndmask_b32_e64 v31, 0, 1, vcc
	v_cmp_ne_u32_e32 vcc, v25, v27
	v_cndmask_b32_e64 v26, 0, 1, vcc
	v_cmp_ne_u32_e32 vcc, v27, v24
	v_cndmask_b32_e64 v27, 0, 1, vcc
	v_cmp_ne_u32_e32 vcc, v23, v24
	v_cndmask_b32_e64 v24, 0, 1, vcc
	v_cmp_ne_u32_e32 vcc, v22, v23
	v_cndmask_b32_e64 v25, 0, 1, vcc
	v_cmp_ne_u32_e32 vcc, v22, v34
	v_cndmask_b32_e64 v22, 0, 1, vcc
	v_cmp_ne_u32_e32 vcc, v34, v29
	v_cndmask_b32_e64 v23, 0, 1, vcc
	v_cmp_ne_u32_e32 vcc, v5, v29
	v_cndmask_b32_e64 v81, 0, 1, vcc
	v_cmp_ne_u32_e32 vcc, v7, v5
	s_waitcnt vmcnt(0) lgkmcnt(0)
	v_mul_hi_i32 v6, v6, s4
	v_cndmask_b32_e64 v5, 0, 1, vcc
	v_cmp_ne_u32_e32 vcc, v7, v28
	v_lshrrev_b32_e32 v7, 31, v6
	v_ashrrev_i32_e32 v6, 2, v6
	v_add_u32_e32 v6, v6, v7
	v_cndmask_b32_e64 v80, 0, 1, vcc
	v_cmp_ne_u32_e64 s[8:9], v6, v50
	s_mov_b64 s[4:5], -1
.LBB383_59:
                                        ; implicit-def: $sgpr12
	s_branch .LBB383_79
.LBB383_60:
                                        ; implicit-def: $sgpr8_sgpr9
                                        ; implicit-def: $vgpr80
                                        ; implicit-def: $vgpr5
                                        ; implicit-def: $vgpr81
                                        ; implicit-def: $vgpr23
                                        ; implicit-def: $vgpr22
                                        ; implicit-def: $vgpr25
                                        ; implicit-def: $vgpr24
                                        ; implicit-def: $vgpr27
                                        ; implicit-def: $vgpr26
                                        ; implicit-def: $vgpr31
                                        ; implicit-def: $vgpr30
                                        ; implicit-def: $vgpr33
                                        ; implicit-def: $vgpr32
                                        ; implicit-def: $vgpr35
                                        ; implicit-def: $vgpr29
                                        ; implicit-def: $sgpr12
	s_cbranch_execnz .LBB383_80
	s_branch .LBB383_115
.LBB383_61:
	v_add_co_u32_e32 v34, vcc, v5, v33
	v_addc_co_u32_e32 v35, vcc, 0, v6, vcc
	flat_load_dword v34, v[34:35]
	s_or_b64 exec, exec, s[34:35]
                                        ; implicit-def: $vgpr35
	s_and_saveexec_b64 s[34:35], s[4:5]
	s_cbranch_execz .LBB383_39
.LBB383_62:
	v_add_co_u32_e32 v36, vcc, v5, v33
	v_addc_co_u32_e32 v37, vcc, 0, v6, vcc
	flat_load_dword v35, v[36:37] offset:1024
	s_or_b64 exec, exec, s[34:35]
                                        ; implicit-def: $vgpr36
	s_and_saveexec_b64 s[4:5], s[6:7]
	s_cbranch_execz .LBB383_40
.LBB383_63:
	v_add_co_u32_e32 v36, vcc, v5, v33
	v_addc_co_u32_e32 v37, vcc, 0, v6, vcc
	flat_load_dword v36, v[36:37] offset:2048
	s_or_b64 exec, exec, s[4:5]
                                        ; implicit-def: $vgpr37
	s_and_saveexec_b64 s[4:5], s[8:9]
	s_cbranch_execz .LBB383_41
.LBB383_64:
	v_add_co_u32_e32 v38, vcc, v5, v33
	v_addc_co_u32_e32 v39, vcc, 0, v6, vcc
	flat_load_dword v37, v[38:39] offset:3072
	s_or_b64 exec, exec, s[4:5]
                                        ; implicit-def: $vgpr38
	s_and_saveexec_b64 s[4:5], s[10:11]
	s_cbranch_execz .LBB383_42
.LBB383_65:
	v_add_co_u32_e32 v38, vcc, v5, v22
	v_addc_co_u32_e32 v39, vcc, 0, v6, vcc
	flat_load_dword v38, v[38:39]
	s_or_b64 exec, exec, s[4:5]
                                        ; implicit-def: $vgpr22
	s_and_saveexec_b64 s[4:5], s[12:13]
	s_cbranch_execz .LBB383_43
.LBB383_66:
	v_add_co_u32_e32 v22, vcc, v5, v23
	v_addc_co_u32_e32 v23, vcc, 0, v6, vcc
	flat_load_dword v22, v[22:23]
	s_or_b64 exec, exec, s[4:5]
                                        ; implicit-def: $vgpr23
	s_and_saveexec_b64 s[4:5], s[14:15]
	s_cbranch_execz .LBB383_44
.LBB383_67:
	v_add_co_u32_e32 v40, vcc, v5, v24
	v_addc_co_u32_e32 v41, vcc, 0, v6, vcc
	flat_load_dword v23, v[40:41]
	s_or_b64 exec, exec, s[4:5]
                                        ; implicit-def: $vgpr24
	s_and_saveexec_b64 s[4:5], s[16:17]
	s_cbranch_execz .LBB383_45
.LBB383_68:
	v_add_co_u32_e32 v24, vcc, v5, v25
	v_addc_co_u32_e32 v25, vcc, 0, v6, vcc
	flat_load_dword v24, v[24:25]
	s_or_b64 exec, exec, s[4:5]
                                        ; implicit-def: $vgpr25
	s_and_saveexec_b64 s[4:5], s[18:19]
	s_cbranch_execz .LBB383_46
.LBB383_69:
	v_add_co_u32_e32 v40, vcc, v5, v26
	v_addc_co_u32_e32 v41, vcc, 0, v6, vcc
	flat_load_dword v25, v[40:41]
	s_or_b64 exec, exec, s[4:5]
                                        ; implicit-def: $vgpr26
	s_and_saveexec_b64 s[4:5], s[20:21]
	s_cbranch_execz .LBB383_47
.LBB383_70:
	v_add_co_u32_e32 v26, vcc, v5, v27
	v_addc_co_u32_e32 v27, vcc, 0, v6, vcc
	flat_load_dword v26, v[26:27]
	s_or_b64 exec, exec, s[4:5]
                                        ; implicit-def: $vgpr27
	s_and_saveexec_b64 s[4:5], s[22:23]
	s_cbranch_execz .LBB383_48
.LBB383_71:
	v_add_co_u32_e32 v40, vcc, v5, v28
	v_addc_co_u32_e32 v41, vcc, 0, v6, vcc
	flat_load_dword v27, v[40:41]
	s_or_b64 exec, exec, s[4:5]
                                        ; implicit-def: $vgpr28
	s_and_saveexec_b64 s[4:5], s[24:25]
	s_cbranch_execz .LBB383_49
.LBB383_72:
	v_add_co_u32_e32 v28, vcc, v5, v29
	v_addc_co_u32_e32 v29, vcc, 0, v6, vcc
	flat_load_dword v28, v[28:29]
	s_or_b64 exec, exec, s[4:5]
                                        ; implicit-def: $vgpr29
	s_and_saveexec_b64 s[4:5], s[26:27]
	s_cbranch_execz .LBB383_50
.LBB383_73:
	v_add_co_u32_e32 v40, vcc, v5, v30
	v_addc_co_u32_e32 v41, vcc, 0, v6, vcc
	flat_load_dword v29, v[40:41]
	s_or_b64 exec, exec, s[4:5]
                                        ; implicit-def: $vgpr30
	s_and_saveexec_b64 s[4:5], s[28:29]
	s_cbranch_execz .LBB383_51
.LBB383_74:
	v_add_co_u32_e32 v30, vcc, v5, v31
	v_addc_co_u32_e32 v31, vcc, 0, v6, vcc
	flat_load_dword v30, v[30:31]
	s_or_b64 exec, exec, s[4:5]
                                        ; implicit-def: $vgpr31
	s_and_saveexec_b64 s[4:5], s[30:31]
	s_cbranch_execnz .LBB383_52
	s_branch .LBB383_53
.LBB383_75:
                                        ; implicit-def: $sgpr8_sgpr9
                                        ; implicit-def: $vgpr80
                                        ; implicit-def: $vgpr5
                                        ; implicit-def: $vgpr81
                                        ; implicit-def: $vgpr23
                                        ; implicit-def: $vgpr22
                                        ; implicit-def: $vgpr25
                                        ; implicit-def: $vgpr24
                                        ; implicit-def: $vgpr27
                                        ; implicit-def: $vgpr26
                                        ; implicit-def: $vgpr31
                                        ; implicit-def: $vgpr30
                                        ; implicit-def: $vgpr33
                                        ; implicit-def: $vgpr32
                                        ; implicit-def: $vgpr35
	s_cbranch_execz .LBB383_59
; %bb.76:
	s_mov_b32 s12, 0x66666667
	v_mul_hi_i32 v5, v9, s12
	v_lshrrev_b32_e32 v7, 31, v5
	v_ashrrev_i32_e32 v5, 2, v5
	v_add_u32_e32 v28, v5, v7
	v_mul_hi_i32 v5, v8, s12
	v_lshrrev_b32_e32 v7, 31, v5
	v_ashrrev_i32_e32 v5, 2, v5
	v_add_u32_e32 v5, v5, v7
	;; [unrolled: 4-line block ×15, first 2 shown]
	v_cmp_ne_u32_e32 vcc, v31, v7
	v_cndmask_b32_e64 v35, 0, 1, vcc
	v_cmp_ne_u32_e32 vcc, v31, v33
	v_cndmask_b32_e64 v32, 0, 1, vcc
	;; [unrolled: 2-line block ×13, first 2 shown]
	v_cmp_ne_u32_e32 vcc, v28, v29
	v_lshlrev_b32_e32 v6, 2, v0
	v_cndmask_b32_e64 v80, 0, 1, vcc
	ds_write_b32 v6, v1
	s_waitcnt lgkmcnt(0)
	s_barrier
	s_waitcnt lgkmcnt(0)
                                        ; implicit-def: $sgpr8_sgpr9
	s_and_saveexec_b64 s[6:7], s[2:3]
	s_xor_b64 s[6:7], exec, s[6:7]
	s_cbranch_execz .LBB383_78
; %bb.77:
	v_add_u32_e32 v6, -4, v6
	ds_read_b32 v6, v6
	s_or_b64 s[4:5], s[4:5], exec
	s_waitcnt lgkmcnt(0)
	v_mul_hi_i32 v6, v6, s12
	v_lshrrev_b32_e32 v28, 31, v6
	v_ashrrev_i32_e32 v6, 2, v6
	v_add_u32_e32 v6, v6, v28
	v_cmp_ne_u32_e32 vcc, v6, v7
	s_and_b64 s[8:9], vcc, exec
.LBB383_78:
	s_or_b64 exec, exec, s[6:7]
	s_mov_b32 s12, 1
.LBB383_79:
	v_mov_b32_e32 v29, v5
	s_branch .LBB383_115
.LBB383_80:
	s_mul_hi_u32 s7, s40, 0xfffff100
	s_mul_i32 s6, s41, 0xfffff100
	s_sub_i32 s7, s7, s40
	s_add_i32 s7, s7, s6
	s_mul_i32 s6, s40, 0xfffff100
	s_add_u32 s6, s6, s56
	s_addc_u32 s7, s7, s57
	s_and_b64 vcc, exec, s[10:11]
	v_mad_u32_u24 v28, v0, 15, 14
	s_cbranch_vccz .LBB383_220
; %bb.81:
	v_add_co_u32_e32 v6, vcc, -4, v3
	v_addc_co_u32_e32 v7, vcc, -1, v4, vcc
	flat_load_dword v6, v[6:7]
	v_mov_b32_e32 v5, 0
	v_mov_b32_e32 v29, v5
	v_lshlrev_b32_e32 v3, 2, v0
	v_cmp_gt_u64_e32 vcc, s[6:7], v[28:29]
	v_mov_b32_e32 v80, 0
	ds_write_b32 v3, v1
	s_and_saveexec_b64 s[4:5], vcc
; %bb.82:
	s_mov_b32 s8, 0x66666667
	v_mul_hi_i32 v4, v9, s8
	v_lshrrev_b32_e32 v7, 31, v4
	v_ashrrev_i32_e32 v4, 2, v4
	v_add_u32_e32 v4, v4, v7
	v_mul_hi_i32 v7, v1, s8
	v_lshrrev_b32_e32 v22, 31, v7
	v_ashrrev_i32_e32 v7, 2, v7
	v_add_u32_e32 v7, v7, v22
	v_cmp_ne_u32_e32 vcc, v4, v7
	v_cndmask_b32_e64 v80, 0, 1, vcc
; %bb.83:
	s_or_b64 exec, exec, s[4:5]
	v_add_u32_e32 v4, 13, v2
	v_cmp_gt_u64_e32 vcc, s[6:7], v[4:5]
	s_and_saveexec_b64 s[4:5], vcc
; %bb.84:
	s_mov_b32 s8, 0x66666667
	v_mul_hi_i32 v4, v8, s8
	v_lshrrev_b32_e32 v5, 31, v4
	v_ashrrev_i32_e32 v4, 2, v4
	v_add_u32_e32 v4, v4, v5
	v_mul_hi_i32 v5, v9, s8
	v_lshrrev_b32_e32 v7, 31, v5
	v_ashrrev_i32_e32 v5, 2, v5
	v_add_u32_e32 v5, v5, v7
	v_cmp_ne_u32_e32 vcc, v4, v5
	v_cndmask_b32_e64 v5, 0, 1, vcc
; %bb.85:
	s_or_b64 exec, exec, s[4:5]
	v_add_u32_e32 v22, 12, v2
	v_mov_b32_e32 v23, 0
	v_cmp_gt_u64_e32 vcc, s[6:7], v[22:23]
	v_mov_b32_e32 v81, 0
	s_and_saveexec_b64 s[4:5], vcc
; %bb.86:
	s_mov_b32 s8, 0x66666667
	v_mul_hi_i32 v4, v11, s8
	v_lshrrev_b32_e32 v7, 31, v4
	v_ashrrev_i32_e32 v4, 2, v4
	v_add_u32_e32 v4, v4, v7
	v_mul_hi_i32 v7, v8, s8
	v_lshrrev_b32_e32 v22, 31, v7
	v_ashrrev_i32_e32 v7, 2, v7
	v_add_u32_e32 v7, v7, v22
	v_cmp_ne_u32_e32 vcc, v4, v7
	v_cndmask_b32_e64 v81, 0, 1, vcc
; %bb.87:
	s_or_b64 exec, exec, s[4:5]
	v_add_u32_e32 v22, 11, v2
	v_cmp_gt_u64_e32 vcc, s[6:7], v[22:23]
	s_and_saveexec_b64 s[4:5], vcc
; %bb.88:
	s_mov_b32 s8, 0x66666667
	v_mul_hi_i32 v4, v10, s8
	v_lshrrev_b32_e32 v7, 31, v4
	v_ashrrev_i32_e32 v4, 2, v4
	v_add_u32_e32 v4, v4, v7
	v_mul_hi_i32 v7, v11, s8
	v_lshrrev_b32_e32 v22, 31, v7
	v_ashrrev_i32_e32 v7, 2, v7
	v_add_u32_e32 v7, v7, v22
	v_cmp_ne_u32_e32 vcc, v4, v7
	v_cndmask_b32_e64 v23, 0, 1, vcc
; %bb.89:
	s_or_b64 exec, exec, s[4:5]
	v_add_u32_e32 v24, 10, v2
	v_mov_b32_e32 v25, 0
	v_cmp_gt_u64_e32 vcc, s[6:7], v[24:25]
	v_mov_b32_e32 v22, 0
	;; [unrolled: 36-line block ×6, first 2 shown]
	s_and_saveexec_b64 s[4:5], vcc
; %bb.106:
	s_mov_b32 s8, 0x66666667
	v_mul_hi_i32 v4, v21, s8
	v_lshrrev_b32_e32 v7, 31, v4
	v_ashrrev_i32_e32 v4, 2, v4
	v_add_u32_e32 v4, v4, v7
	v_mul_hi_i32 v7, v18, s8
	v_lshrrev_b32_e32 v29, 31, v7
	v_ashrrev_i32_e32 v7, 2, v7
	v_add_u32_e32 v7, v7, v29
	v_cmp_ne_u32_e32 vcc, v4, v7
	v_cndmask_b32_e64 v32, 0, 1, vcc
; %bb.107:
	s_or_b64 exec, exec, s[4:5]
	v_add_u32_e32 v34, 1, v2
	v_cmp_gt_u64_e32 vcc, s[6:7], v[34:35]
	s_and_saveexec_b64 s[4:5], vcc
; %bb.108:
	s_mov_b32 s8, 0x66666667
	v_mul_hi_i32 v4, v20, s8
	v_lshrrev_b32_e32 v7, 31, v4
	v_ashrrev_i32_e32 v4, 2, v4
	v_add_u32_e32 v4, v4, v7
	v_mul_hi_i32 v7, v21, s8
	v_lshrrev_b32_e32 v29, 31, v7
	v_ashrrev_i32_e32 v7, 2, v7
	v_add_u32_e32 v7, v7, v29
	v_cmp_ne_u32_e32 vcc, v4, v7
	v_cndmask_b32_e64 v35, 0, 1, vcc
; %bb.109:
	s_or_b64 exec, exec, s[4:5]
	s_waitcnt lgkmcnt(0)
	s_barrier
	s_and_saveexec_b64 s[4:5], s[2:3]
	s_cbranch_execz .LBB383_111
; %bb.110:
	v_add_u32_e32 v3, -4, v3
	s_waitcnt vmcnt(0)
	ds_read_b32 v6, v3
.LBB383_111:
	s_or_b64 exec, exec, s[4:5]
	v_mov_b32_e32 v3, 0
	v_cmp_gt_u64_e32 vcc, s[6:7], v[2:3]
	s_mov_b64 s[10:11], 0
	s_mov_b64 s[8:9], 0
	s_and_saveexec_b64 s[4:5], vcc
	s_cbranch_execz .LBB383_113
; %bb.112:
	s_mov_b32 s8, 0x66666667
	s_waitcnt vmcnt(0) lgkmcnt(0)
	v_mul_hi_i32 v3, v6, s8
	v_lshrrev_b32_e32 v4, 31, v3
	v_ashrrev_i32_e32 v3, 2, v3
	v_add_u32_e32 v3, v3, v4
	v_mul_hi_i32 v4, v20, s8
	v_lshrrev_b32_e32 v6, 31, v4
	v_ashrrev_i32_e32 v4, 2, v4
	v_add_u32_e32 v4, v4, v6
	v_cmp_ne_u32_e32 vcc, v3, v4
	s_and_b64 s[8:9], vcc, exec
.LBB383_113:
	s_or_b64 exec, exec, s[4:5]
	s_mov_b64 s[4:5], -1
	s_and_b64 vcc, exec, s[10:11]
	s_cbranch_vccnz .LBB383_221
.LBB383_114:
                                        ; implicit-def: $vgpr29
                                        ; implicit-def: $sgpr12
.LBB383_115:
	v_mov_b32_e32 v34, s12
	s_and_saveexec_b64 s[2:3], s[4:5]
.LBB383_116:
	v_cndmask_b32_e64 v34, 0, 1, s[8:9]
	v_mov_b32_e32 v29, v5
.LBB383_117:
	s_or_b64 exec, exec, s[2:3]
	s_cmp_eq_u64 s[46:47], 0
	v_add3_u32 v2, v35, v34, v32
	s_cselect_b64 s[34:35], -1, 0
	s_cmp_lg_u32 s62, 0
	v_cmp_eq_u32_e64 s[26:27], 0, v35
	v_cmp_eq_u32_e64 s[24:25], 0, v32
	;; [unrolled: 1-line block ×3, first 2 shown]
	v_add3_u32 v86, v2, v33, v30
	v_cmp_eq_u32_e64 s[20:21], 0, v30
	v_cmp_eq_u32_e64 s[18:19], 0, v31
	;; [unrolled: 1-line block ×10, first 2 shown]
	v_cmp_eq_u32_e32 vcc, 0, v80
	v_mbcnt_lo_u32_b32 v85, -1, 0
	v_lshrrev_b32_e32 v83, 6, v0
	v_or_b32_e32 v84, 63, v0
	s_cbranch_scc0 .LBB383_144
; %bb.118:
	v_cndmask_b32_e64 v2, 0, v46, s[26:27]
	v_add_u32_e32 v2, v2, v48
	v_cndmask_b32_e64 v2, 0, v2, s[24:25]
	v_add_u32_e32 v2, v2, v47
	;; [unrolled: 2-line block ×11, first 2 shown]
	v_cndmask_b32_e64 v2, 0, v2, s[4:5]
	v_add3_u32 v3, v86, v31, v26
	v_add_u32_e32 v2, v2, v36
	v_add3_u32 v3, v3, v27, v24
	v_cndmask_b32_e64 v2, 0, v2, s[2:3]
	v_add3_u32 v3, v3, v25, v22
	v_add_u32_e32 v2, v2, v82
	v_add3_u32 v3, v3, v23, v81
	v_cndmask_b32_e32 v2, 0, v2, vcc
	v_add3_u32 v3, v3, v29, v80
	v_add_u32_e32 v2, v2, v37
	v_mbcnt_hi_u32_b32 v53, -1, v85
	v_and_b32_e32 v4, 15, v53
	s_waitcnt vmcnt(0) lgkmcnt(0)
	v_mov_b32_dpp v6, v2 row_shr:1 row_mask:0xf bank_mask:0xf
	v_cmp_eq_u32_e32 vcc, 0, v3
	v_mov_b32_dpp v5, v3 row_shr:1 row_mask:0xf bank_mask:0xf
	v_cndmask_b32_e32 v6, 0, v6, vcc
	v_cmp_eq_u32_e32 vcc, 0, v4
	v_cndmask_b32_e64 v5, v5, 0, vcc
	v_add_u32_e32 v3, v5, v3
	v_cndmask_b32_e64 v5, v6, 0, vcc
	v_add_u32_e32 v2, v5, v2
	v_cmp_eq_u32_e32 vcc, 0, v3
	v_mov_b32_dpp v5, v3 row_shr:2 row_mask:0xf bank_mask:0xf
	v_cmp_lt_u32_e64 s[28:29], 1, v4
	v_mov_b32_dpp v6, v2 row_shr:2 row_mask:0xf bank_mask:0xf
	v_cndmask_b32_e64 v5, 0, v5, s[28:29]
	s_and_b64 vcc, s[28:29], vcc
	v_cndmask_b32_e32 v6, 0, v6, vcc
	v_add_u32_e32 v3, v3, v5
	v_add_u32_e32 v2, v6, v2
	v_cmp_eq_u32_e32 vcc, 0, v3
	v_mov_b32_dpp v5, v3 row_shr:4 row_mask:0xf bank_mask:0xf
	v_cmp_lt_u32_e64 s[28:29], 3, v4
	v_mov_b32_dpp v6, v2 row_shr:4 row_mask:0xf bank_mask:0xf
	v_cndmask_b32_e64 v5, 0, v5, s[28:29]
	s_and_b64 vcc, s[28:29], vcc
	v_cndmask_b32_e32 v6, 0, v6, vcc
	v_add_u32_e32 v3, v5, v3
	v_add_u32_e32 v2, v2, v6
	v_cmp_eq_u32_e32 vcc, 0, v3
	v_cmp_lt_u32_e64 s[28:29], 7, v4
	v_mov_b32_dpp v5, v3 row_shr:8 row_mask:0xf bank_mask:0xf
	v_mov_b32_dpp v6, v2 row_shr:8 row_mask:0xf bank_mask:0xf
	s_and_b64 vcc, s[28:29], vcc
	v_cndmask_b32_e64 v4, 0, v5, s[28:29]
	v_cndmask_b32_e32 v5, 0, v6, vcc
	v_add_u32_e32 v2, v5, v2
	v_add_u32_e32 v3, v4, v3
	v_bfe_i32 v6, v53, 4, 1
	v_mov_b32_dpp v5, v2 row_bcast:15 row_mask:0xf bank_mask:0xf
	v_mov_b32_dpp v4, v3 row_bcast:15 row_mask:0xf bank_mask:0xf
	v_cmp_eq_u32_e32 vcc, 0, v3
	v_cndmask_b32_e32 v5, 0, v5, vcc
	v_and_b32_e32 v4, v6, v4
	v_add_u32_e32 v3, v4, v3
	v_and_b32_e32 v4, v6, v5
	v_add_u32_e32 v4, v4, v2
	v_mov_b32_dpp v2, v3 row_bcast:31 row_mask:0xf bank_mask:0xf
	v_cmp_eq_u32_e32 vcc, 0, v3
	v_cmp_lt_u32_e64 s[28:29], 31, v53
	v_mov_b32_dpp v5, v4 row_bcast:31 row_mask:0xf bank_mask:0xf
	v_cndmask_b32_e64 v2, 0, v2, s[28:29]
	s_and_b64 vcc, s[28:29], vcc
	v_add_u32_e32 v2, v2, v3
	v_cndmask_b32_e32 v3, 0, v5, vcc
	v_add_u32_e32 v3, v3, v4
	v_cmp_eq_u32_e32 vcc, v84, v0
	v_lshlrev_b32_e32 v4, 3, v83
	s_and_saveexec_b64 s[28:29], vcc
	s_cbranch_execz .LBB383_120
; %bb.119:
	ds_write_b64 v4, v[2:3] offset:2064
.LBB383_120:
	s_or_b64 exec, exec, s[28:29]
	v_cmp_gt_u32_e32 vcc, 4, v0
	s_waitcnt lgkmcnt(0)
	s_barrier
	s_and_saveexec_b64 s[30:31], vcc
	s_cbranch_execz .LBB383_122
; %bb.121:
	v_lshlrev_b32_e32 v5, 3, v0
	ds_read_b64 v[6:7], v5 offset:2064
	v_and_b32_e32 v28, 3, v53
	v_cmp_lt_u32_e64 s[28:29], 1, v28
	s_waitcnt lgkmcnt(0)
	v_mov_b32_dpp v51, v7 row_shr:1 row_mask:0xf bank_mask:0xf
	v_cmp_eq_u32_e32 vcc, 0, v6
	v_mov_b32_dpp v50, v6 row_shr:1 row_mask:0xf bank_mask:0xf
	v_cndmask_b32_e32 v51, 0, v51, vcc
	v_cmp_eq_u32_e32 vcc, 0, v28
	v_cndmask_b32_e64 v50, v50, 0, vcc
	v_add_u32_e32 v6, v50, v6
	v_cndmask_b32_e64 v50, v51, 0, vcc
	v_add_u32_e32 v7, v50, v7
	v_cmp_eq_u32_e32 vcc, 0, v6
	v_mov_b32_dpp v50, v6 row_shr:2 row_mask:0xf bank_mask:0xf
	v_mov_b32_dpp v51, v7 row_shr:2 row_mask:0xf bank_mask:0xf
	v_cndmask_b32_e64 v28, 0, v50, s[28:29]
	s_and_b64 vcc, s[28:29], vcc
	v_add_u32_e32 v6, v28, v6
	v_cndmask_b32_e32 v28, 0, v51, vcc
	v_add_u32_e32 v7, v28, v7
	ds_write_b64 v5, v[6:7] offset:2064
.LBB383_122:
	s_or_b64 exec, exec, s[30:31]
	v_cmp_gt_u32_e32 vcc, 64, v0
	v_cmp_lt_u32_e64 s[28:29], 63, v0
	v_mov_b32_e32 v50, 0
	v_mov_b32_e32 v51, 0
	s_waitcnt lgkmcnt(0)
	s_barrier
	s_and_saveexec_b64 s[30:31], s[28:29]
	s_cbranch_execz .LBB383_124
; %bb.123:
	ds_read_b64 v[50:51], v4 offset:2056
	v_cmp_eq_u32_e64 s[28:29], 0, v2
	s_waitcnt lgkmcnt(0)
	v_add_u32_e32 v4, v50, v2
	v_cndmask_b32_e64 v2, 0, v51, s[28:29]
	v_add_u32_e32 v3, v2, v3
	v_mov_b32_e32 v2, v4
.LBB383_124:
	s_or_b64 exec, exec, s[30:31]
	v_add_u32_e32 v4, -1, v53
	v_and_b32_e32 v5, 64, v53
	v_cmp_lt_i32_e64 s[28:29], v4, v5
	v_cndmask_b32_e64 v4, v4, v53, s[28:29]
	v_lshlrev_b32_e32 v4, 2, v4
	ds_bpermute_b32 v28, v4, v2
	ds_bpermute_b32 v58, v4, v3
	v_cmp_eq_u32_e64 s[28:29], 0, v53
	s_and_saveexec_b64 s[40:41], vcc
	s_cbranch_execz .LBB383_143
; %bb.125:
	v_mov_b32_e32 v7, 0
	ds_read_b64 v[2:3], v7 offset:2088
	s_waitcnt lgkmcnt(0)
	v_readfirstlane_b32 s48, v2
	v_readfirstlane_b32 s49, v3
	s_and_saveexec_b64 s[30:31], s[28:29]
	s_cbranch_execz .LBB383_127
; %bb.126:
	s_add_i32 s46, s62, 64
	s_mov_b32 s47, 0
	s_lshl_b64 s[50:51], s[46:47], 4
	s_add_u32 s50, s44, s50
	s_addc_u32 s51, s45, s51
	s_and_b32 s57, s49, 0xff000000
	s_mov_b32 s56, s47
	s_and_b32 s65, s49, 0xff0000
	s_mov_b32 s64, s47
	s_or_b64 s[56:57], s[64:65], s[56:57]
	s_and_b32 s65, s49, 0xff00
	s_or_b64 s[56:57], s[56:57], s[64:65]
	s_and_b32 s65, s49, 0xff
	s_or_b64 s[46:47], s[56:57], s[64:65]
	v_mov_b32_e32 v4, s48
	v_mov_b32_e32 v5, s47
	;; [unrolled: 1-line block ×3, first 2 shown]
	v_pk_mov_b32 v[2:3], s[50:51], s[50:51] op_sel:[0,1]
	;;#ASMSTART
	global_store_dwordx4 v[2:3], v[4:7] off	
s_waitcnt vmcnt(0)
	;;#ASMEND
.LBB383_127:
	s_or_b64 exec, exec, s[30:31]
	v_xad_u32 v52, v53, -1, s62
	v_add_u32_e32 v6, 64, v52
	v_lshlrev_b64 v[2:3], 4, v[6:7]
	v_mov_b32_e32 v4, s45
	v_add_co_u32_e32 v54, vcc, s44, v2
	v_addc_co_u32_e32 v55, vcc, v4, v3, vcc
	;;#ASMSTART
	global_load_dwordx4 v[2:5], v[54:55] off glc	
s_waitcnt vmcnt(0)
	;;#ASMEND
	v_and_b32_e32 v5, 0xff, v3
	v_and_b32_e32 v6, 0xff00, v3
	;; [unrolled: 1-line block ×3, first 2 shown]
	v_or3_b32 v5, 0, v5, v6
	v_or3_b32 v2, v2, 0, 0
	v_and_b32_e32 v3, 0xff000000, v3
	v_or3_b32 v3, v5, v56, v3
	v_or3_b32 v2, v2, 0, 0
	v_cmp_eq_u16_sdwa s[46:47], v4, v7 src0_sel:BYTE_0 src1_sel:DWORD
	s_and_saveexec_b64 s[30:31], s[46:47]
	s_cbranch_execz .LBB383_131
; %bb.128:
	s_mov_b64 s[46:47], 0
	v_mov_b32_e32 v6, 0
.LBB383_129:                            ; =>This Inner Loop Header: Depth=1
	;;#ASMSTART
	global_load_dwordx4 v[2:5], v[54:55] off glc	
s_waitcnt vmcnt(0)
	;;#ASMEND
	v_cmp_ne_u16_sdwa s[50:51], v4, v6 src0_sel:BYTE_0 src1_sel:DWORD
	s_or_b64 s[46:47], s[50:51], s[46:47]
	s_andn2_b64 exec, exec, s[46:47]
	s_cbranch_execnz .LBB383_129
; %bb.130:
	s_or_b64 exec, exec, s[46:47]
.LBB383_131:
	s_or_b64 exec, exec, s[30:31]
	v_mov_b32_e32 v59, 2
	v_cmp_eq_u16_sdwa s[30:31], v4, v59 src0_sel:BYTE_0 src1_sel:DWORD
	v_lshlrev_b64 v[54:55], v53, -1
	v_and_b32_e32 v5, s31, v55
	v_and_b32_e32 v60, 63, v53
	v_or_b32_e32 v5, 0x80000000, v5
	v_cmp_ne_u32_e32 vcc, 63, v60
	v_and_b32_e32 v6, s30, v54
	v_ffbl_b32_e32 v5, v5
	v_addc_co_u32_e32 v7, vcc, 0, v53, vcc
	v_add_u32_e32 v5, 32, v5
	v_ffbl_b32_e32 v6, v6
	v_lshlrev_b32_e32 v61, 2, v7
	v_min_u32_e32 v5, v6, v5
	ds_bpermute_b32 v6, v61, v3
	v_cmp_eq_u32_e32 vcc, 0, v2
	v_cmp_lt_u32_e64 s[30:31], v60, v5
	ds_bpermute_b32 v7, v61, v2
	s_and_b64 vcc, s[30:31], vcc
	s_waitcnt lgkmcnt(1)
	v_cndmask_b32_e32 v6, 0, v6, vcc
	v_cmp_gt_u32_e32 vcc, 62, v60
	v_add_u32_e32 v3, v6, v3
	v_cndmask_b32_e64 v6, 0, 1, vcc
	v_lshlrev_b32_e32 v6, 1, v6
	v_add_lshl_u32 v62, v6, v53, 2
	s_waitcnt lgkmcnt(0)
	v_cndmask_b32_e64 v7, 0, v7, s[30:31]
	ds_bpermute_b32 v6, v62, v3
	v_add_u32_e32 v2, v7, v2
	ds_bpermute_b32 v7, v62, v2
	v_add_u32_e32 v63, 2, v60
	v_cmp_eq_u32_e32 vcc, 0, v2
	s_waitcnt lgkmcnt(1)
	v_cndmask_b32_e32 v6, 0, v6, vcc
	v_cmp_gt_u32_e32 vcc, v63, v5
	v_cndmask_b32_e64 v6, v6, 0, vcc
	v_add_u32_e32 v3, v6, v3
	s_waitcnt lgkmcnt(0)
	v_cndmask_b32_e64 v6, v7, 0, vcc
	v_cmp_gt_u32_e32 vcc, 60, v60
	v_cndmask_b32_e64 v7, 0, 1, vcc
	v_lshlrev_b32_e32 v7, 2, v7
	v_add_lshl_u32 v64, v7, v53, 2
	ds_bpermute_b32 v7, v64, v3
	v_add_u32_e32 v2, v2, v6
	ds_bpermute_b32 v6, v64, v2
	v_add_u32_e32 v65, 4, v60
	v_cmp_eq_u32_e32 vcc, 0, v2
	s_waitcnt lgkmcnt(1)
	v_cndmask_b32_e32 v7, 0, v7, vcc
	v_cmp_gt_u32_e32 vcc, v65, v5
	v_cndmask_b32_e64 v7, v7, 0, vcc
	s_waitcnt lgkmcnt(0)
	v_cndmask_b32_e64 v6, v6, 0, vcc
	v_cmp_gt_u32_e32 vcc, 56, v60
	v_add_u32_e32 v3, v3, v7
	v_cndmask_b32_e64 v7, 0, 1, vcc
	v_lshlrev_b32_e32 v7, 3, v7
	v_add_lshl_u32 v66, v7, v53, 2
	ds_bpermute_b32 v7, v66, v3
	v_add_u32_e32 v2, v2, v6
	ds_bpermute_b32 v6, v66, v2
	v_add_u32_e32 v67, 8, v60
	v_cmp_eq_u32_e32 vcc, 0, v2
	s_waitcnt lgkmcnt(1)
	v_cndmask_b32_e32 v7, 0, v7, vcc
	v_cmp_gt_u32_e32 vcc, v67, v5
	v_cndmask_b32_e64 v7, v7, 0, vcc
	s_waitcnt lgkmcnt(0)
	v_cndmask_b32_e64 v6, v6, 0, vcc
	v_cmp_gt_u32_e32 vcc, 48, v60
	v_add_u32_e32 v3, v3, v7
	;; [unrolled: 16-line block ×3, first 2 shown]
	v_cndmask_b32_e64 v7, 0, 1, vcc
	v_lshlrev_b32_e32 v7, 5, v7
	v_add_lshl_u32 v70, v7, v53, 2
	ds_bpermute_b32 v7, v70, v3
	v_add_u32_e32 v2, v2, v6
	ds_bpermute_b32 v6, v70, v2
	v_add_u32_e32 v71, 32, v60
	v_cmp_eq_u32_e32 vcc, 0, v2
	s_waitcnt lgkmcnt(1)
	v_cndmask_b32_e32 v7, 0, v7, vcc
	v_cmp_gt_u32_e32 vcc, v71, v5
	v_cndmask_b32_e64 v5, v7, 0, vcc
	v_add_u32_e32 v3, v5, v3
	s_waitcnt lgkmcnt(0)
	v_cndmask_b32_e64 v5, v6, 0, vcc
	v_add_u32_e32 v2, v5, v2
	v_mov_b32_e32 v53, 0
	s_branch .LBB383_133
.LBB383_132:                            ;   in Loop: Header=BB383_133 Depth=1
	s_or_b64 exec, exec, s[30:31]
	v_cmp_eq_u16_sdwa s[30:31], v4, v59 src0_sel:BYTE_0 src1_sel:DWORD
	v_and_b32_e32 v5, s31, v55
	v_or_b32_e32 v5, 0x80000000, v5
	v_and_b32_e32 v56, s30, v54
	v_ffbl_b32_e32 v5, v5
	v_add_u32_e32 v5, 32, v5
	v_ffbl_b32_e32 v56, v56
	v_min_u32_e32 v5, v56, v5
	ds_bpermute_b32 v56, v61, v3
	v_cmp_eq_u32_e32 vcc, 0, v2
	v_cmp_lt_u32_e64 s[30:31], v60, v5
	ds_bpermute_b32 v57, v61, v2
	s_and_b64 vcc, s[30:31], vcc
	s_waitcnt lgkmcnt(1)
	v_cndmask_b32_e32 v56, 0, v56, vcc
	v_add_u32_e32 v3, v56, v3
	ds_bpermute_b32 v56, v62, v3
	s_waitcnt lgkmcnt(1)
	v_cndmask_b32_e64 v57, 0, v57, s[30:31]
	v_add_u32_e32 v2, v57, v2
	v_cmp_eq_u32_e32 vcc, 0, v2
	ds_bpermute_b32 v57, v62, v2
	s_waitcnt lgkmcnt(1)
	v_cndmask_b32_e32 v56, 0, v56, vcc
	v_cmp_gt_u32_e32 vcc, v63, v5
	v_cndmask_b32_e64 v56, v56, 0, vcc
	v_add_u32_e32 v3, v56, v3
	ds_bpermute_b32 v56, v64, v3
	s_waitcnt lgkmcnt(1)
	v_cndmask_b32_e64 v57, v57, 0, vcc
	v_add_u32_e32 v2, v2, v57
	v_cmp_eq_u32_e32 vcc, 0, v2
	ds_bpermute_b32 v57, v64, v2
	s_waitcnt lgkmcnt(1)
	v_cndmask_b32_e32 v56, 0, v56, vcc
	v_cmp_gt_u32_e32 vcc, v65, v5
	v_cndmask_b32_e64 v56, v56, 0, vcc
	v_add_u32_e32 v3, v3, v56
	ds_bpermute_b32 v56, v66, v3
	s_waitcnt lgkmcnt(1)
	v_cndmask_b32_e64 v57, v57, 0, vcc
	v_add_u32_e32 v2, v2, v57
	ds_bpermute_b32 v57, v66, v2
	v_cmp_eq_u32_e32 vcc, 0, v2
	s_waitcnt lgkmcnt(1)
	v_cndmask_b32_e32 v56, 0, v56, vcc
	v_cmp_gt_u32_e32 vcc, v67, v5
	v_cndmask_b32_e64 v56, v56, 0, vcc
	v_add_u32_e32 v3, v3, v56
	ds_bpermute_b32 v56, v68, v3
	s_waitcnt lgkmcnt(1)
	v_cndmask_b32_e64 v57, v57, 0, vcc
	v_add_u32_e32 v2, v2, v57
	ds_bpermute_b32 v57, v68, v2
	v_cmp_eq_u32_e32 vcc, 0, v2
	;; [unrolled: 11-line block ×3, first 2 shown]
	s_waitcnt lgkmcnt(1)
	v_cndmask_b32_e32 v56, 0, v56, vcc
	v_cmp_gt_u32_e32 vcc, v71, v5
	v_cndmask_b32_e64 v5, v56, 0, vcc
	v_add_u32_e32 v3, v5, v3
	s_waitcnt lgkmcnt(0)
	v_cndmask_b32_e64 v5, v57, 0, vcc
	v_cmp_eq_u32_e32 vcc, 0, v6
	v_cndmask_b32_e32 v3, 0, v3, vcc
	v_subrev_u32_e32 v52, 64, v52
	v_add3_u32 v2, v2, v6, v5
	v_add_u32_e32 v3, v3, v7
.LBB383_133:                            ; =>This Loop Header: Depth=1
                                        ;     Child Loop BB383_136 Depth 2
	v_cmp_ne_u16_sdwa s[30:31], v4, v59 src0_sel:BYTE_0 src1_sel:DWORD
	v_mov_b32_e32 v7, v3
	v_cndmask_b32_e64 v3, 0, 1, s[30:31]
	;;#ASMSTART
	;;#ASMEND
	v_cmp_ne_u32_e32 vcc, 0, v3
	s_cmp_lg_u64 vcc, exec
	v_mov_b32_e32 v6, v2
	s_cbranch_scc1 .LBB383_138
; %bb.134:                              ;   in Loop: Header=BB383_133 Depth=1
	v_lshlrev_b64 v[2:3], 4, v[52:53]
	v_mov_b32_e32 v4, s45
	v_add_co_u32_e32 v56, vcc, s44, v2
	v_addc_co_u32_e32 v57, vcc, v4, v3, vcc
	;;#ASMSTART
	global_load_dwordx4 v[2:5], v[56:57] off glc	
s_waitcnt vmcnt(0)
	;;#ASMEND
	v_and_b32_e32 v5, 0xff, v3
	v_and_b32_e32 v72, 0xff00, v3
	;; [unrolled: 1-line block ×3, first 2 shown]
	v_or3_b32 v5, 0, v5, v72
	v_or3_b32 v2, v2, 0, 0
	v_and_b32_e32 v3, 0xff000000, v3
	v_or3_b32 v3, v5, v73, v3
	v_or3_b32 v2, v2, 0, 0
	v_cmp_eq_u16_sdwa s[46:47], v4, v53 src0_sel:BYTE_0 src1_sel:DWORD
	s_and_saveexec_b64 s[30:31], s[46:47]
	s_cbranch_execz .LBB383_132
; %bb.135:                              ;   in Loop: Header=BB383_133 Depth=1
	s_mov_b64 s[46:47], 0
.LBB383_136:                            ;   Parent Loop BB383_133 Depth=1
                                        ; =>  This Inner Loop Header: Depth=2
	;;#ASMSTART
	global_load_dwordx4 v[2:5], v[56:57] off glc	
s_waitcnt vmcnt(0)
	;;#ASMEND
	v_cmp_ne_u16_sdwa s[50:51], v4, v53 src0_sel:BYTE_0 src1_sel:DWORD
	s_or_b64 s[46:47], s[50:51], s[46:47]
	s_andn2_b64 exec, exec, s[46:47]
	s_cbranch_execnz .LBB383_136
; %bb.137:                              ;   in Loop: Header=BB383_133 Depth=1
	s_or_b64 exec, exec, s[46:47]
	s_branch .LBB383_132
.LBB383_138:                            ;   in Loop: Header=BB383_133 Depth=1
                                        ; implicit-def: $vgpr3
                                        ; implicit-def: $vgpr2
                                        ; implicit-def: $vgpr4
	s_cbranch_execz .LBB383_133
; %bb.139:
	s_and_saveexec_b64 s[30:31], s[28:29]
	s_cbranch_execz .LBB383_141
; %bb.140:
	s_cmp_eq_u32 s48, 0
	s_cselect_b64 vcc, -1, 0
	s_mov_b32 s47, 0
	v_cndmask_b32_e32 v2, 0, v7, vcc
	s_add_i32 s46, s62, 64
	v_add_u32_e32 v2, s49, v2
	s_lshl_b64 s[46:47], s[46:47], 4
	s_add_u32 s46, s44, s46
	v_and_b32_e32 v3, 0xff000000, v2
	v_and_b32_e32 v4, 0xff0000, v2
	s_addc_u32 s47, s45, s47
	v_or_b32_e32 v3, v4, v3
	v_and_b32_e32 v4, 0xff00, v2
	v_and_b32_e32 v2, 0xff, v2
	v_add_u32_e32 v52, s48, v6
	v_mov_b32_e32 v55, 0
	v_or3_b32 v53, v3, v4, v2
	v_mov_b32_e32 v54, 2
	v_pk_mov_b32 v[2:3], s[46:47], s[46:47] op_sel:[0,1]
	;;#ASMSTART
	global_store_dwordx4 v[2:3], v[52:55] off	
s_waitcnt vmcnt(0)
	;;#ASMEND
	v_mov_b32_e32 v4, s48
	v_mov_b32_e32 v5, s49
	ds_write_b128 v55, v[4:7] offset:2048
.LBB383_141:
	s_or_b64 exec, exec, s[30:31]
	s_and_b64 exec, exec, s[0:1]
	s_cbranch_execz .LBB383_143
; %bb.142:
	v_mov_b32_e32 v2, 0
	ds_write_b64 v2, v[6:7] offset:2088
.LBB383_143:
	s_or_b64 exec, exec, s[40:41]
	v_mov_b32_e32 v4, 0
	s_waitcnt lgkmcnt(0)
	s_barrier
	ds_read_b64 v[2:3], v4 offset:2088
	v_cndmask_b32_e64 v6, v28, v50, s[28:29]
	v_cmp_eq_u32_e32 vcc, 0, v6
	v_cndmask_b32_e64 v5, v58, v51, s[28:29]
	s_waitcnt lgkmcnt(0)
	v_cndmask_b32_e32 v7, 0, v3, vcc
	v_add_u32_e32 v5, v7, v5
	v_cndmask_b32_e64 v79, v5, v3, s[0:1]
	v_cndmask_b32_e64 v3, v6, 0, s[0:1]
	v_cmp_eq_u32_e32 vcc, 0, v34
	v_add_u32_e32 v78, v2, v3
	v_cndmask_b32_e32 v2, 0, v79, vcc
	v_add_u32_e32 v77, v2, v46
	v_cndmask_b32_e64 v2, 0, v77, s[26:27]
	v_add_u32_e32 v75, v2, v48
	v_cndmask_b32_e64 v2, 0, v75, s[24:25]
	;; [unrolled: 2-line block ×8, first 2 shown]
	v_add_u32_e32 v76, v78, v34
	v_add_u32_e32 v61, v2, v38
	v_add_u32_e32 v74, v76, v35
	v_cndmask_b32_e64 v2, 0, v61, s[10:11]
	v_add_u32_e32 v72, v74, v32
	v_add_u32_e32 v59, v2, v40
	v_add_u32_e32 v70, v72, v33
	v_cndmask_b32_e64 v2, 0, v59, s[8:9]
	;; [unrolled: 4-line block ×3, first 2 shown]
	v_add_u32_e32 v64, v66, v26
	v_add_u32_e32 v55, v2, v41
	s_barrier
	ds_read_b128 v[2:5], v4 offset:2048
	v_add_u32_e32 v62, v64, v27
	v_add_u32_e32 v60, v62, v24
	;; [unrolled: 1-line block ×4, first 2 shown]
	v_cndmask_b32_e64 v6, 0, v55, s[4:5]
	v_add_u32_e32 v54, v56, v23
	v_add_u32_e32 v53, v6, v36
	s_waitcnt lgkmcnt(0)
	v_cmp_eq_u32_e32 vcc, 0, v2
	v_add_u32_e32 v52, v54, v81
	v_cndmask_b32_e64 v6, 0, v53, s[2:3]
	v_cndmask_b32_e32 v5, 0, v5, vcc
	v_add_u32_e32 v50, v52, v29
	v_add_u32_e32 v51, v6, v82
	;; [unrolled: 1-line block ×3, first 2 shown]
	s_branch .LBB383_156
.LBB383_144:
                                        ; implicit-def: $vgpr2
                                        ; implicit-def: $vgpr28
                                        ; implicit-def: $vgpr78_vgpr79
                                        ; implicit-def: $vgpr76_vgpr77
                                        ; implicit-def: $vgpr74_vgpr75
                                        ; implicit-def: $vgpr72_vgpr73
                                        ; implicit-def: $vgpr70_vgpr71
                                        ; implicit-def: $vgpr68_vgpr69
                                        ; implicit-def: $vgpr66_vgpr67
                                        ; implicit-def: $vgpr64_vgpr65
                                        ; implicit-def: $vgpr62_vgpr63
                                        ; implicit-def: $vgpr60_vgpr61
                                        ; implicit-def: $vgpr58_vgpr59
                                        ; implicit-def: $vgpr56_vgpr57
                                        ; implicit-def: $vgpr54_vgpr55
                                        ; implicit-def: $vgpr52_vgpr53
                                        ; implicit-def: $vgpr50_vgpr51
	s_cbranch_execz .LBB383_156
; %bb.145:
	s_and_b64 s[2:3], s[34:35], exec
	s_cselect_b32 s3, 0, s61
	s_cselect_b32 s2, 0, s60
	s_cmp_eq_u64 s[2:3], 0
	s_waitcnt vmcnt(0) lgkmcnt(0)
	v_mov_b32_e32 v6, v46
	s_cbranch_scc1 .LBB383_147
; %bb.146:
	v_mov_b32_e32 v2, 0
	global_load_dword v6, v2, s[2:3]
.LBB383_147:
	v_cmp_eq_u32_e64 s[2:3], 0, v35
	v_cndmask_b32_e64 v2, 0, v46, s[2:3]
	v_add_u32_e32 v2, v2, v48
	v_cmp_eq_u32_e64 s[4:5], 0, v32
	v_cndmask_b32_e64 v2, 0, v2, s[4:5]
	v_add_u32_e32 v2, v2, v47
	;; [unrolled: 3-line block ×11, first 2 shown]
	v_cmp_eq_u32_e64 s[24:25], 0, v81
	v_cndmask_b32_e64 v2, 0, v2, s[24:25]
	v_add3_u32 v3, v86, v31, v26
	v_add_u32_e32 v2, v2, v36
	v_cmp_eq_u32_e32 vcc, 0, v29
	v_add3_u32 v3, v3, v27, v24
	v_cndmask_b32_e32 v2, 0, v2, vcc
	v_add3_u32 v3, v3, v25, v22
	v_add_u32_e32 v2, v2, v82
	v_cmp_eq_u32_e64 s[26:27], 0, v80
	v_add3_u32 v3, v3, v23, v81
	v_cndmask_b32_e64 v2, 0, v2, s[26:27]
	v_add3_u32 v3, v3, v29, v80
	v_add_u32_e32 v2, v2, v37
	v_mbcnt_hi_u32_b32 v7, -1, v85
	v_and_b32_e32 v4, 15, v7
	v_mov_b32_dpp v28, v2 row_shr:1 row_mask:0xf bank_mask:0xf
	v_cmp_eq_u32_e64 s[26:27], 0, v3
	v_mov_b32_dpp v5, v3 row_shr:1 row_mask:0xf bank_mask:0xf
	v_cndmask_b32_e64 v28, 0, v28, s[26:27]
	v_cmp_eq_u32_e64 s[26:27], 0, v4
	v_cndmask_b32_e64 v5, v5, 0, s[26:27]
	v_add_u32_e32 v3, v5, v3
	v_cndmask_b32_e64 v5, v28, 0, s[26:27]
	v_add_u32_e32 v2, v5, v2
	v_cmp_eq_u32_e64 s[26:27], 0, v3
	v_mov_b32_dpp v5, v3 row_shr:2 row_mask:0xf bank_mask:0xf
	v_cmp_lt_u32_e64 s[28:29], 1, v4
	v_mov_b32_dpp v28, v2 row_shr:2 row_mask:0xf bank_mask:0xf
	v_cndmask_b32_e64 v5, 0, v5, s[28:29]
	s_and_b64 s[26:27], s[28:29], s[26:27]
	v_cndmask_b32_e64 v28, 0, v28, s[26:27]
	v_add_u32_e32 v3, v3, v5
	v_add_u32_e32 v2, v28, v2
	v_cmp_eq_u32_e64 s[26:27], 0, v3
	v_mov_b32_dpp v5, v3 row_shr:4 row_mask:0xf bank_mask:0xf
	v_cmp_lt_u32_e64 s[28:29], 3, v4
	v_mov_b32_dpp v28, v2 row_shr:4 row_mask:0xf bank_mask:0xf
	v_cndmask_b32_e64 v5, 0, v5, s[28:29]
	s_and_b64 s[26:27], s[28:29], s[26:27]
	v_cndmask_b32_e64 v28, 0, v28, s[26:27]
	v_add_u32_e32 v3, v5, v3
	v_add_u32_e32 v2, v2, v28
	v_cmp_eq_u32_e64 s[26:27], 0, v3
	v_cmp_lt_u32_e64 s[28:29], 7, v4
	v_mov_b32_dpp v5, v3 row_shr:8 row_mask:0xf bank_mask:0xf
	v_mov_b32_dpp v28, v2 row_shr:8 row_mask:0xf bank_mask:0xf
	s_and_b64 s[26:27], s[28:29], s[26:27]
	v_cndmask_b32_e64 v4, 0, v5, s[28:29]
	v_cndmask_b32_e64 v5, 0, v28, s[26:27]
	v_add_u32_e32 v2, v5, v2
	v_add_u32_e32 v3, v4, v3
	v_bfe_i32 v28, v7, 4, 1
	v_mov_b32_dpp v5, v2 row_bcast:15 row_mask:0xf bank_mask:0xf
	v_mov_b32_dpp v4, v3 row_bcast:15 row_mask:0xf bank_mask:0xf
	v_cmp_eq_u32_e64 s[26:27], 0, v3
	v_cndmask_b32_e64 v5, 0, v5, s[26:27]
	v_and_b32_e32 v4, v28, v4
	v_add_u32_e32 v3, v4, v3
	v_and_b32_e32 v4, v28, v5
	v_add_u32_e32 v4, v4, v2
	v_mov_b32_dpp v2, v3 row_bcast:31 row_mask:0xf bank_mask:0xf
	v_cmp_eq_u32_e64 s[26:27], 0, v3
	v_cmp_lt_u32_e64 s[28:29], 31, v7
	v_mov_b32_dpp v5, v4 row_bcast:31 row_mask:0xf bank_mask:0xf
	v_cndmask_b32_e64 v2, 0, v2, s[28:29]
	s_and_b64 s[26:27], s[28:29], s[26:27]
	v_add_u32_e32 v2, v2, v3
	v_cndmask_b32_e64 v3, 0, v5, s[26:27]
	v_add_u32_e32 v3, v3, v4
	v_cmp_eq_u32_e64 s[26:27], v84, v0
	v_lshlrev_b32_e32 v5, 3, v83
	s_and_saveexec_b64 s[28:29], s[26:27]
	s_cbranch_execz .LBB383_149
; %bb.148:
	ds_write_b64 v5, v[2:3] offset:2064
.LBB383_149:
	s_or_b64 exec, exec, s[28:29]
	v_cmp_gt_u32_e64 s[26:27], 4, v0
	s_waitcnt lgkmcnt(0)
	s_barrier
	s_and_saveexec_b64 s[30:31], s[26:27]
	s_cbranch_execz .LBB383_151
; %bb.150:
	v_lshlrev_b32_e32 v4, 3, v0
	ds_read_b64 v[50:51], v4 offset:2064
	v_and_b32_e32 v28, 3, v7
	v_cmp_lt_u32_e64 s[28:29], 1, v28
	s_waitcnt lgkmcnt(0)
	v_mov_b32_dpp v52, v51 row_shr:1 row_mask:0xf bank_mask:0xf
	v_cmp_eq_u32_e64 s[26:27], 0, v50
	v_mov_b32_dpp v37, v50 row_shr:1 row_mask:0xf bank_mask:0xf
	v_cndmask_b32_e64 v52, 0, v52, s[26:27]
	v_cmp_eq_u32_e64 s[26:27], 0, v28
	v_cndmask_b32_e64 v37, v37, 0, s[26:27]
	v_add_u32_e32 v37, v37, v50
	v_cndmask_b32_e64 v50, v52, 0, s[26:27]
	v_add_u32_e32 v51, v50, v51
	v_cmp_eq_u32_e64 s[26:27], 0, v37
	v_mov_b32_dpp v50, v37 row_shr:2 row_mask:0xf bank_mask:0xf
	v_mov_b32_dpp v52, v51 row_shr:2 row_mask:0xf bank_mask:0xf
	v_cndmask_b32_e64 v28, 0, v50, s[28:29]
	s_and_b64 s[26:27], s[28:29], s[26:27]
	v_add_u32_e32 v50, v28, v37
	v_cndmask_b32_e64 v28, 0, v52, s[26:27]
	v_add_u32_e32 v51, v28, v51
	ds_write_b64 v4, v[50:51] offset:2064
.LBB383_151:
	s_or_b64 exec, exec, s[30:31]
	v_cmp_lt_u32_e64 s[26:27], 63, v0
	v_mov_b32_e32 v28, 0
	v_mov_b32_e32 v4, 0
	s_waitcnt vmcnt(0)
	v_mov_b32_e32 v37, v6
	s_waitcnt lgkmcnt(0)
	s_barrier
	s_and_saveexec_b64 s[28:29], s[26:27]
	s_cbranch_execz .LBB383_153
; %bb.152:
	ds_read_b64 v[4:5], v5 offset:2056
	s_waitcnt lgkmcnt(0)
	v_cmp_eq_u32_e64 s[26:27], 0, v4
	v_cndmask_b32_e64 v37, 0, v6, s[26:27]
	v_add_u32_e32 v37, v37, v5
.LBB383_153:
	s_or_b64 exec, exec, s[28:29]
	v_cmp_eq_u32_e64 s[26:27], 0, v2
	v_add_u32_e32 v5, v4, v2
	v_cndmask_b32_e64 v2, 0, v37, s[26:27]
	v_add_u32_e32 v2, v2, v3
	v_add_u32_e32 v3, -1, v7
	v_and_b32_e32 v50, 64, v7
	v_cmp_lt_i32_e64 s[26:27], v3, v50
	v_cndmask_b32_e64 v3, v3, v7, s[26:27]
	v_lshlrev_b32_e32 v3, 2, v3
	ds_bpermute_b32 v2, v3, v2
	ds_bpermute_b32 v5, v3, v5
	v_cmp_eq_u32_e64 s[26:27], 0, v7
	s_waitcnt lgkmcnt(1)
	v_cndmask_b32_e64 v2, v2, v37, s[26:27]
	s_waitcnt lgkmcnt(0)
	v_cndmask_b32_e64 v3, v5, v4, s[26:27]
	v_cndmask_b32_e64 v79, v2, v6, s[0:1]
	v_cmp_eq_u32_e64 s[26:27], 0, v34
	v_cndmask_b32_e64 v2, 0, v79, s[26:27]
	v_add_u32_e32 v77, v2, v46
	v_cndmask_b32_e64 v2, 0, v77, s[2:3]
	v_add_u32_e32 v75, v2, v48
	;; [unrolled: 2-line block ×8, first 2 shown]
	v_cndmask_b32_e64 v78, v3, 0, s[0:1]
	v_cndmask_b32_e64 v2, 0, v63, s[16:17]
	v_add_u32_e32 v76, v78, v34
	v_add_u32_e32 v61, v2, v38
	v_add_u32_e32 v74, v76, v35
	v_cndmask_b32_e64 v2, 0, v61, s[18:19]
	v_add_u32_e32 v72, v74, v32
	v_add_u32_e32 v59, v2, v40
	v_add_u32_e32 v70, v72, v33
	;; [unrolled: 4-line block ×3, first 2 shown]
	v_cndmask_b32_e64 v2, 0, v57, s[22:23]
	v_add_u32_e32 v64, v66, v26
	v_add_u32_e32 v55, v2, v41
	ds_read_b64 v[2:3], v28 offset:2088
	v_add_u32_e32 v62, v64, v27
	v_add_u32_e32 v60, v62, v24
	;; [unrolled: 1-line block ×3, first 2 shown]
	v_cndmask_b32_e64 v4, 0, v55, s[24:25]
	v_add_u32_e32 v56, v58, v22
	v_add_u32_e32 v53, v4, v36
	;; [unrolled: 1-line block ×3, first 2 shown]
	v_cndmask_b32_e32 v4, 0, v53, vcc
	s_waitcnt lgkmcnt(0)
	v_cmp_eq_u32_e32 vcc, 0, v2
	v_add_u32_e32 v52, v54, v81
	v_add_u32_e32 v51, v4, v82
	v_cndmask_b32_e32 v4, 0, v6, vcc
	v_add_u32_e32 v50, v52, v29
	v_add_u32_e32 v28, v4, v3
	s_and_saveexec_b64 s[2:3], s[0:1]
	s_cbranch_execz .LBB383_155
; %bb.154:
	s_add_u32 s4, s44, 0x400
	v_and_b32_e32 v3, 0xff000000, v28
	v_and_b32_e32 v4, 0xff0000, v28
	s_addc_u32 s5, s45, 0
	v_or_b32_e32 v3, v4, v3
	v_and_b32_e32 v4, 0xff00, v28
	v_and_b32_e32 v6, 0xff, v28
	v_mov_b32_e32 v5, 0
	v_or3_b32 v3, v3, v4, v6
	v_mov_b32_e32 v4, 2
	v_pk_mov_b32 v[6:7], s[4:5], s[4:5] op_sel:[0,1]
	;;#ASMSTART
	global_store_dwordx4 v[6:7], v[2:5] off	
s_waitcnt vmcnt(0)
	;;#ASMEND
.LBB383_155:
	s_or_b64 exec, exec, s[2:3]
	v_mov_b32_e32 v4, 0
.LBB383_156:
	s_and_b64 s[2:3], s[34:35], exec
	s_cselect_b32 s3, 0, s59
	s_cselect_b32 s2, 0, s58
	s_cmp_eq_u64 s[2:3], 0
	s_waitcnt vmcnt(0) lgkmcnt(0)
	v_pk_mov_b32 v[6:7], 0, 0
	s_barrier
	s_cbranch_scc1 .LBB383_158
; %bb.157:
	v_mov_b32_e32 v3, 0
	global_load_dwordx2 v[6:7], v3, s[2:3]
.LBB383_158:
	s_waitcnt vmcnt(0)
	v_lshlrev_b64 v[36:37], 2, v[6:7]
	v_mov_b32_e32 v3, s43
	v_add_co_u32_e32 v40, vcc, s42, v36
	v_mov_b32_e32 v5, 0
	v_addc_co_u32_e32 v41, vcc, v3, v37, vcc
	v_lshlrev_b64 v[38:39], 2, v[4:5]
	v_add_co_u32_e32 v3, vcc, v40, v38
	v_addc_co_u32_e32 v5, vcc, v41, v39, vcc
	v_cmp_eq_u32_e32 vcc, 0, v34
	v_cndmask_b32_e64 v40, 1, 2, vcc
	v_cmp_eq_u32_e32 vcc, 0, v35
	v_cndmask_b32_e64 v41, 1, 2, vcc
	v_cmp_eq_u32_e32 vcc, 0, v32
	v_and_b32_e32 v40, v41, v40
	v_cndmask_b32_e64 v41, 1, 2, vcc
	v_cmp_eq_u32_e32 vcc, 0, v33
	v_and_b32_e32 v40, v40, v41
	;; [unrolled: 3-line block ×13, first 2 shown]
	v_cndmask_b32_e64 v41, 1, 2, vcc
	s_movk_i32 s34, 0x100
	v_and_b32_e32 v40, v40, v41
	v_cmp_gt_u32_e32 vcc, s34, v2
	v_cmp_ne_u32_e64 s[30:31], 0, v34
	v_cmp_ne_u32_e64 s[28:29], 0, v35
	;; [unrolled: 1-line block ×15, first 2 shown]
	s_mov_b64 s[40:41], -1
	v_cmp_gt_i16_e64 s[34:35], 2, v40
	s_cbranch_vccz .LBB383_165
; %bb.159:
	s_and_saveexec_b64 s[40:41], s[34:35]
	s_cbranch_execz .LBB383_164
; %bb.160:
	v_cmp_ne_u16_e32 vcc, 1, v40
	s_mov_b64 s[42:43], 0
	s_and_saveexec_b64 s[34:35], vcc
	s_xor_b64 s[34:35], exec, s[34:35]
	s_cbranch_execnz .LBB383_254
; %bb.161:
	s_andn2_saveexec_b64 s[34:35], s[34:35]
	s_cbranch_execnz .LBB383_270
.LBB383_162:
	s_or_b64 exec, exec, s[34:35]
	s_and_b64 exec, exec, s[42:43]
	s_cbranch_execz .LBB383_164
.LBB383_163:
	v_sub_u32_e32 v42, v50, v4
	v_mov_b32_e32 v43, 0
	v_lshlrev_b64 v[42:43], 2, v[42:43]
	v_add_co_u32_e32 v42, vcc, v3, v42
	v_addc_co_u32_e32 v43, vcc, v5, v43, vcc
	global_store_dword v[42:43], v1, off
.LBB383_164:
	s_or_b64 exec, exec, s[40:41]
	s_mov_b64 s[40:41], 0
.LBB383_165:
	s_and_b64 vcc, exec, s[40:41]
	s_cbranch_vccz .LBB383_187
; %bb.166:
	v_cmp_gt_i16_e32 vcc, 2, v40
	s_and_saveexec_b64 s[34:35], vcc
	s_cbranch_execz .LBB383_171
; %bb.167:
	v_cmp_ne_u16_e32 vcc, 1, v40
	s_mov_b64 s[42:43], 0
	s_and_saveexec_b64 s[40:41], vcc
	s_xor_b64 s[40:41], exec, s[40:41]
	s_cbranch_execnz .LBB383_271
; %bb.168:
	s_andn2_saveexec_b64 s[2:3], s[40:41]
	s_cbranch_execnz .LBB383_287
.LBB383_169:
	s_or_b64 exec, exec, s[2:3]
	s_and_b64 exec, exec, s[42:43]
	s_cbranch_execz .LBB383_171
.LBB383_170:
	v_sub_u32_e32 v8, v50, v4
	v_lshlrev_b32_e32 v8, 2, v8
	ds_write_b32 v8, v1
.LBB383_171:
	s_or_b64 exec, exec, s[34:35]
	v_cmp_lt_u32_e32 vcc, v0, v2
	s_waitcnt lgkmcnt(0)
	s_barrier
	s_and_saveexec_b64 s[4:5], vcc
	s_cbranch_execz .LBB383_186
; %bb.172:
	v_xad_u32 v1, v0, -1, v2
	s_movk_i32 s2, 0x1700
	v_cmp_gt_u32_e64 s[6:7], s2, v1
	s_movk_i32 s2, 0x16ff
	v_cmp_lt_u32_e32 vcc, s2, v1
	v_mov_b32_e32 v8, v0
	s_and_saveexec_b64 s[8:9], vcc
	s_cbranch_execz .LBB383_183
; %bb.173:
	v_sub_u32_e32 v8, v0, v2
	v_or_b32_e32 v8, 0xff, v8
	v_cmp_ge_u32_e32 vcc, v8, v0
	s_mov_b64 s[2:3], -1
	v_mov_b32_e32 v8, v0
	s_and_saveexec_b64 s[10:11], vcc
	s_cbranch_execz .LBB383_182
; %bb.174:
	v_lshrrev_b32_e32 v12, 8, v1
	v_add_u32_e32 v8, -1, v12
	v_or_b32_e32 v1, 0x100, v0
	v_lshrrev_b32_e32 v9, 1, v8
	v_add_u32_e32 v13, 1, v9
	v_cmp_lt_u32_e32 vcc, 13, v8
	v_mov_b32_e32 v16, 0
	v_pk_mov_b32 v[8:9], v[0:1], v[0:1] op_sel:[0,1]
	s_and_saveexec_b64 s[12:13], vcc
	s_cbranch_execz .LBB383_178
; %bb.175:
	v_and_b32_e32 v14, -8, v13
	v_lshlrev_b32_e32 v15, 2, v0
	s_mov_b32 s16, 0
	s_mov_b64 s[14:15], 0
	v_mov_b32_e32 v11, 0
	v_pk_mov_b32 v[8:9], v[0:1], v[0:1] op_sel:[0,1]
.LBB383_176:                            ; =>This Inner Loop Header: Depth=1
	v_mov_b32_e32 v10, v8
	v_add_u32_e32 v14, -8, v14
	v_lshlrev_b64 v[96:97], 2, v[10:11]
	v_mov_b32_e32 v10, v9
	ds_read2st64_b32 v[18:19], v15 offset1:4
	s_add_i32 s16, s16, 16
	v_cmp_eq_u32_e32 vcc, 0, v14
	v_lshlrev_b64 v[100:101], 2, v[10:11]
	v_add_u32_e32 v10, 0x200, v8
	s_or_b64 s[14:15], vcc, s[14:15]
	v_add_co_u32_e32 v100, vcc, v3, v100
	v_add_u32_e32 v16, 0x200, v9
	v_mov_b32_e32 v17, v11
	ds_read2st64_b32 v[20:21], v15 offset0:8 offset1:12
	ds_read2st64_b32 v[42:43], v15 offset0:16 offset1:20
	v_add_co_u32_e64 v96, s[2:3], v3, v96
	v_addc_co_u32_e32 v101, vcc, v5, v101, vcc
	v_lshlrev_b64 v[102:103], 2, v[10:11]
	v_lshlrev_b64 v[98:99], 2, v[16:17]
	v_addc_co_u32_e64 v97, s[2:3], v5, v97, s[2:3]
	v_add_u32_e32 v10, 0x400, v8
	v_add_co_u32_e32 v102, vcc, v3, v102
	v_add_u32_e32 v40, 0x400, v9
	v_mov_b32_e32 v41, v11
	ds_read2st64_b32 v[46:47], v15 offset0:24 offset1:28
	v_add_co_u32_e64 v98, s[2:3], v3, v98
	v_addc_co_u32_e32 v103, vcc, v5, v103, vcc
	v_lshlrev_b64 v[104:105], 2, v[10:11]
	ds_read2st64_b32 v[82:83], v15 offset0:32 offset1:36
	ds_read2st64_b32 v[86:87], v15 offset0:40 offset1:44
	;; [unrolled: 1-line block ×4, first 2 shown]
	v_lshlrev_b64 v[40:41], 2, v[40:41]
	v_addc_co_u32_e64 v99, s[2:3], v5, v99, s[2:3]
	v_add_u32_e32 v10, 0x600, v8
	s_waitcnt lgkmcnt(7)
	global_store_dword v[96:97], v18, off
	global_store_dword v[100:101], v19, off
	s_waitcnt lgkmcnt(6)
	global_store_dword v[102:103], v20, off
	global_store_dword v[98:99], v21, off
	v_add_co_u32_e32 v18, vcc, v3, v104
	v_add_u32_e32 v44, 0x600, v9
	v_mov_b32_e32 v45, v11
	v_add_co_u32_e64 v40, s[2:3], v3, v40
	v_addc_co_u32_e32 v19, vcc, v5, v105, vcc
	v_lshlrev_b64 v[20:21], 2, v[10:11]
	v_lshlrev_b64 v[44:45], 2, v[44:45]
	v_addc_co_u32_e64 v41, s[2:3], v5, v41, s[2:3]
	v_add_u32_e32 v10, 0x800, v8
	s_waitcnt lgkmcnt(5)
	global_store_dword v[18:19], v42, off
	global_store_dword v[40:41], v43, off
	v_add_co_u32_e32 v18, vcc, v3, v20
	v_add_u32_e32 v48, 0x800, v9
	v_mov_b32_e32 v49, v11
	v_add_co_u32_e64 v44, s[2:3], v3, v44
	v_addc_co_u32_e32 v19, vcc, v5, v21, vcc
	v_lshlrev_b64 v[20:21], 2, v[10:11]
	v_lshlrev_b64 v[48:49], 2, v[48:49]
	v_addc_co_u32_e64 v45, s[2:3], v5, v45, s[2:3]
	v_add_u32_e32 v10, 0xa00, v8
	;; [unrolled: 12-line block ×4, first 2 shown]
	s_waitcnt lgkmcnt(2)
	global_store_dword v[18:19], v86, off
	global_store_dword v[84:85], v87, off
	v_add_co_u32_e32 v18, vcc, v3, v20
	v_add_u32_e32 v92, 0xe00, v9
	v_mov_b32_e32 v93, v11
	v_add_co_u32_e64 v88, s[2:3], v3, v88
	v_addc_co_u32_e32 v19, vcc, v5, v21, vcc
	v_lshlrev_b64 v[20:21], 2, v[10:11]
	v_lshlrev_b64 v[92:93], 2, v[92:93]
	v_addc_co_u32_e64 v89, s[2:3], v5, v89, s[2:3]
	s_waitcnt lgkmcnt(1)
	global_store_dword v[18:19], v90, off
	global_store_dword v[88:89], v91, off
	v_add_co_u32_e32 v18, vcc, v3, v20
	v_add_u32_e32 v15, 0x4000, v15
	v_add_u32_e32 v9, 0x1000, v9
	v_mov_b32_e32 v16, s16
	v_add_co_u32_e64 v92, s[2:3], v3, v92
	v_add_u32_e32 v8, 0x1000, v8
	v_addc_co_u32_e32 v19, vcc, v5, v21, vcc
	v_addc_co_u32_e64 v93, s[2:3], v5, v93, s[2:3]
	s_waitcnt lgkmcnt(0)
	global_store_dword v[18:19], v94, off
	global_store_dword v[92:93], v95, off
	s_andn2_b64 exec, exec, s[14:15]
	s_cbranch_execnz .LBB383_176
; %bb.177:
	s_or_b64 exec, exec, s[14:15]
.LBB383_178:
	s_or_b64 exec, exec, s[12:13]
	v_and_b32_e32 v1, 7, v13
	v_cmp_ne_u32_e32 vcc, 0, v1
	s_and_saveexec_b64 s[12:13], vcc
	s_cbranch_execz .LBB383_181
; %bb.179:
	v_lshlrev_b32_e32 v10, 2, v0
	v_lshl_or_b32 v13, v16, 10, v10
	s_mov_b64 s[14:15], 0
	v_mov_b32_e32 v11, 0
.LBB383_180:                            ; =>This Inner Loop Header: Depth=1
	ds_read2st64_b32 v[14:15], v13 offset1:4
	v_mov_b32_e32 v10, v8
	v_add_u32_e32 v1, -1, v1
	v_lshlrev_b64 v[16:17], 2, v[10:11]
	v_mov_b32_e32 v10, v9
	v_cmp_eq_u32_e32 vcc, 0, v1
	v_add_co_u32_e64 v16, s[2:3], v3, v16
	v_lshlrev_b64 v[18:19], 2, v[10:11]
	v_add_u32_e32 v8, 0x200, v8
	v_add_u32_e32 v13, 0x800, v13
	v_add_u32_e32 v9, 0x200, v9
	v_addc_co_u32_e64 v17, s[2:3], v5, v17, s[2:3]
	s_or_b64 s[14:15], vcc, s[14:15]
	v_add_co_u32_e32 v18, vcc, v3, v18
	v_addc_co_u32_e32 v19, vcc, v5, v19, vcc
	s_waitcnt lgkmcnt(0)
	global_store_dword v[16:17], v14, off
	global_store_dword v[18:19], v15, off
	s_andn2_b64 exec, exec, s[14:15]
	s_cbranch_execnz .LBB383_180
.LBB383_181:
	s_or_b64 exec, exec, s[12:13]
	v_add_u32_e32 v1, 1, v12
	v_and_b32_e32 v9, 0x1fffffe, v1
	v_cmp_ne_u32_e32 vcc, v1, v9
	v_lshl_or_b32 v8, v9, 8, v0
	s_orn2_b64 s[2:3], vcc, exec
.LBB383_182:
	s_or_b64 exec, exec, s[10:11]
	s_andn2_b64 s[6:7], s[6:7], exec
	s_and_b64 s[2:3], s[2:3], exec
	s_or_b64 s[6:7], s[6:7], s[2:3]
.LBB383_183:
	s_or_b64 exec, exec, s[8:9]
	s_and_b64 exec, exec, s[6:7]
	s_cbranch_execz .LBB383_186
; %bb.184:
	v_lshlrev_b32_e32 v1, 2, v8
	s_mov_b64 s[2:3], 0
	v_mov_b32_e32 v9, 0
.LBB383_185:                            ; =>This Inner Loop Header: Depth=1
	v_lshlrev_b64 v[10:11], 2, v[8:9]
	ds_read_b32 v12, v1
	v_add_co_u32_e32 v10, vcc, v3, v10
	v_add_u32_e32 v8, 0x100, v8
	v_addc_co_u32_e32 v11, vcc, v5, v11, vcc
	v_cmp_ge_u32_e32 vcc, v8, v2
	v_add_u32_e32 v1, 0x400, v1
	s_or_b64 s[2:3], vcc, s[2:3]
	s_waitcnt lgkmcnt(0)
	global_store_dword v[10:11], v12, off
	s_andn2_b64 exec, exec, s[2:3]
	s_cbranch_execnz .LBB383_185
.LBB383_186:
	s_or_b64 exec, exec, s[4:5]
.LBB383_187:
	s_cmpk_lg_i32 s33, 0xf00
	s_cselect_b64 s[2:3], -1, 0
	s_and_b64 s[0:1], s[0:1], s[38:39]
	v_cndmask_b32_e64 v5, v34, 0, s[0:1]
	s_mul_hi_u32 s0, s33, 0x88888889
	s_lshr_b32 s0, s0, 3
	v_mad_i32_i24 v9, v0, -15, s33
	v_cmp_eq_u32_e32 vcc, s0, v0
	v_cmp_ne_u32_e64 s[0:1], 0, v9
	v_cndmask_b32_e64 v10, 1, v5, s[0:1]
	v_cmp_ne_u32_e64 s[0:1], 1, v9
	v_cndmask_b32_e64 v11, 1, v35, s[0:1]
	;; [unrolled: 2-line block ×15, first 2 shown]
	s_and_b64 vcc, vcc, s[36:37]
	v_cndmask_b32_e32 v41, v80, v9, vcc
	v_cndmask_b32_e32 v29, v29, v40, vcc
	;; [unrolled: 1-line block ×15, first 2 shown]
	v_mov_b32_e32 v5, s53
	v_add_co_u32_e32 v9, vcc, s52, v36
	v_addc_co_u32_e32 v12, vcc, v5, v37, vcc
	v_cndmask_b32_e64 v1, 0, 1, s[38:39]
	v_add_co_u32_e32 v5, vcc, v9, v38
	v_addc_co_u32_e32 v12, vcc, v12, v39, vcc
	v_lshlrev_b32_e32 v9, 2, v1
	v_add_co_u32_e32 v9, vcc, v9, v5
	v_addc_co_u32_e32 v14, vcc, 0, v12, vcc
	v_add_co_u32_e32 v13, vcc, -4, v9
	v_addc_co_u32_e32 v14, vcc, -1, v14, vcc
	v_cmp_eq_u32_e32 vcc, 0, v10
	v_cmp_ne_u32_e64 s[28:29], 0, v10
	v_cndmask_b32_e64 v10, 1, 2, vcc
	v_cmp_eq_u32_e32 vcc, 0, v11
	v_cmp_ne_u32_e64 s[26:27], 0, v11
	v_cndmask_b32_e64 v11, 1, 2, vcc
	v_cmp_eq_u32_e32 vcc, 0, v24
	v_and_b32_e32 v10, v11, v10
	v_cndmask_b32_e64 v11, 1, 2, vcc
	v_cmp_eq_u32_e32 vcc, 0, v23
	v_and_b32_e32 v10, v10, v11
	;; [unrolled: 3-line block ×10, first 2 shown]
	v_cndmask_b32_e64 v11, 1, 2, vcc
	v_cmp_eq_u32_e32 vcc, 0, v34
	s_and_b64 s[2:3], s[2:3], s[36:37]
	v_and_b32_e32 v10, v10, v11
	v_cndmask_b32_e64 v11, 1, 2, vcc
	v_cmp_eq_u32_e32 vcc, 0, v29
	v_sub_u32_e32 v3, v2, v1
	v_cndmask_b32_e64 v8, 0, 1, s[2:3]
	v_and_b32_e32 v10, v10, v11
	v_cndmask_b32_e64 v11, 1, 2, vcc
	v_cmp_eq_u32_e32 vcc, 0, v41
	v_add_u32_e32 v3, v3, v8
	v_and_b32_e32 v10, v10, v11
	v_cndmask_b32_e64 v11, 1, 2, vcc
	s_movk_i32 s30, 0x100
	v_and_b32_e32 v10, v10, v11
	v_cmp_gt_u32_e32 vcc, s30, v3
	v_add_u32_e32 v9, v4, v1
	v_cmp_ne_u32_e64 s[24:25], 0, v24
	v_cmp_ne_u32_e64 s[22:23], 0, v23
	;; [unrolled: 1-line block ×13, first 2 shown]
	s_mov_b64 s[34:35], -1
	v_cmp_gt_i16_e64 s[30:31], 2, v10
	s_barrier
	s_cbranch_vccz .LBB383_194
; %bb.188:
	s_and_saveexec_b64 s[34:35], s[30:31]
	s_cbranch_execz .LBB383_193
; %bb.189:
	v_cmp_ne_u16_e32 vcc, 1, v10
	s_mov_b64 s[38:39], 0
	s_and_saveexec_b64 s[30:31], vcc
	s_xor_b64 s[30:31], exec, s[30:31]
	s_cbranch_execnz .LBB383_288
; %bb.190:
	s_andn2_saveexec_b64 s[30:31], s[30:31]
	s_cbranch_execnz .LBB383_304
.LBB383_191:
	s_or_b64 exec, exec, s[30:31]
	s_and_b64 exec, exec, s[38:39]
	s_cbranch_execz .LBB383_193
.LBB383_192:
	v_sub_u32_e32 v16, v50, v9
	v_mov_b32_e32 v17, 0
	v_lshlrev_b64 v[16:17], 2, v[16:17]
	v_add_co_u32_e32 v16, vcc, v13, v16
	v_addc_co_u32_e32 v17, vcc, v14, v17, vcc
	global_store_dword v[16:17], v51, off
.LBB383_193:
	s_or_b64 exec, exec, s[34:35]
	s_mov_b64 s[34:35], 0
.LBB383_194:
	s_and_b64 vcc, exec, s[34:35]
	s_cbranch_vccz .LBB383_216
; %bb.195:
	v_cmp_gt_i16_e32 vcc, 2, v10
	s_and_saveexec_b64 s[30:31], vcc
	s_cbranch_execz .LBB383_200
; %bb.196:
	v_cmp_ne_u16_e32 vcc, 1, v10
	s_mov_b64 s[38:39], 0
	s_and_saveexec_b64 s[34:35], vcc
	s_xor_b64 s[34:35], exec, s[34:35]
	s_cbranch_execnz .LBB383_305
; %bb.197:
	s_andn2_saveexec_b64 s[0:1], s[34:35]
	s_cbranch_execnz .LBB383_321
.LBB383_198:
	s_or_b64 exec, exec, s[0:1]
	s_and_b64 exec, exec, s[38:39]
	s_cbranch_execz .LBB383_200
.LBB383_199:
	v_sub_u32_e32 v9, v50, v9
	v_lshlrev_b32_e32 v9, 2, v9
	ds_write_b32 v9, v51
.LBB383_200:
	s_or_b64 exec, exec, s[30:31]
	v_cmp_lt_u32_e32 vcc, v0, v3
	s_waitcnt lgkmcnt(0)
	s_barrier
	s_and_saveexec_b64 s[2:3], vcc
	s_cbranch_execz .LBB383_215
; %bb.201:
	v_add_u32_e32 v10, v2, v8
	v_xad_u32 v8, v0, -1, v10
	v_sub_u32_e32 v9, v8, v1
	s_movk_i32 s0, 0x1900
	v_cmp_gt_u32_e64 s[4:5], s0, v9
	s_movk_i32 s0, 0x18ff
	v_cmp_lt_u32_e32 vcc, s0, v9
	v_mov_b32_e32 v8, v0
	s_and_saveexec_b64 s[6:7], vcc
	s_cbranch_execz .LBB383_212
; %bb.202:
	v_sub_u32_e32 v8, v0, v10
	v_add_u32_e32 v1, v8, v1
	v_or_b32_e32 v1, 0xff, v1
	v_cmp_ge_u32_e32 vcc, v1, v0
	s_mov_b64 s[0:1], -1
	v_mov_b32_e32 v8, v0
	s_and_saveexec_b64 s[8:9], vcc
	s_cbranch_execz .LBB383_211
; %bb.203:
	v_lshrrev_b32_e32 v15, 8, v9
	v_add_u32_e32 v8, -1, v15
	v_or_b32_e32 v1, 0x100, v0
	v_lshrrev_b32_e32 v9, 1, v8
	v_add_u32_e32 v17, 1, v9
	v_cmp_lt_u32_e32 vcc, 13, v8
	v_mov_b32_e32 v20, 0
	v_lshlrev_b32_e32 v16, 2, v0
	v_pk_mov_b32 v[8:9], v[0:1], v[0:1] op_sel:[0,1]
	s_and_saveexec_b64 s[10:11], vcc
	s_cbranch_execz .LBB383_207
; %bb.204:
	v_and_b32_e32 v18, -8, v17
	s_mov_b32 s14, 0
	s_mov_b64 s[12:13], 0
	v_mov_b32_e32 v11, 0
	v_mov_b32_e32 v19, v16
	v_pk_mov_b32 v[8:9], v[0:1], v[0:1] op_sel:[0,1]
.LBB383_205:                            ; =>This Inner Loop Header: Depth=1
	v_mov_b32_e32 v10, v8
	v_add_u32_e32 v18, -8, v18
	v_lshlrev_b64 v[52:53], 2, v[10:11]
	v_mov_b32_e32 v10, v9
	ds_read2st64_b32 v[22:23], v19 offset1:4
	s_add_i32 s14, s14, 16
	v_cmp_eq_u32_e32 vcc, 0, v18
	v_lshlrev_b64 v[56:57], 2, v[10:11]
	v_add_u32_e32 v10, 0x200, v8
	s_or_b64 s[12:13], vcc, s[12:13]
	v_add_co_u32_e32 v56, vcc, v13, v56
	v_add_u32_e32 v20, 0x200, v9
	v_mov_b32_e32 v21, v11
	ds_read2st64_b32 v[24:25], v19 offset0:8 offset1:12
	ds_read2st64_b32 v[30:31], v19 offset0:16 offset1:20
	v_add_co_u32_e64 v52, s[0:1], v13, v52
	v_addc_co_u32_e32 v57, vcc, v14, v57, vcc
	v_lshlrev_b64 v[58:59], 2, v[10:11]
	v_lshlrev_b64 v[54:55], 2, v[20:21]
	v_addc_co_u32_e64 v53, s[0:1], v14, v53, s[0:1]
	v_add_u32_e32 v10, 0x400, v8
	v_add_co_u32_e32 v58, vcc, v13, v58
	v_add_u32_e32 v26, 0x400, v9
	v_mov_b32_e32 v27, v11
	ds_read2st64_b32 v[34:35], v19 offset0:24 offset1:28
	v_add_co_u32_e64 v54, s[0:1], v13, v54
	v_addc_co_u32_e32 v59, vcc, v14, v59, vcc
	v_lshlrev_b64 v[60:61], 2, v[10:11]
	ds_read2st64_b32 v[38:39], v19 offset0:32 offset1:36
	ds_read2st64_b32 v[42:43], v19 offset0:40 offset1:44
	ds_read2st64_b32 v[46:47], v19 offset0:48 offset1:52
	ds_read2st64_b32 v[50:51], v19 offset0:56 offset1:60
	v_lshlrev_b64 v[26:27], 2, v[26:27]
	v_addc_co_u32_e64 v55, s[0:1], v14, v55, s[0:1]
	v_add_u32_e32 v10, 0x600, v8
	s_waitcnt lgkmcnt(7)
	global_store_dword v[52:53], v22, off
	global_store_dword v[56:57], v23, off
	s_waitcnt lgkmcnt(6)
	global_store_dword v[58:59], v24, off
	global_store_dword v[54:55], v25, off
	v_add_co_u32_e32 v22, vcc, v13, v60
	v_add_u32_e32 v32, 0x600, v9
	v_mov_b32_e32 v33, v11
	v_add_co_u32_e64 v26, s[0:1], v13, v26
	v_addc_co_u32_e32 v23, vcc, v14, v61, vcc
	v_lshlrev_b64 v[24:25], 2, v[10:11]
	v_lshlrev_b64 v[32:33], 2, v[32:33]
	v_addc_co_u32_e64 v27, s[0:1], v14, v27, s[0:1]
	v_add_u32_e32 v10, 0x800, v8
	s_waitcnt lgkmcnt(5)
	global_store_dword v[22:23], v30, off
	global_store_dword v[26:27], v31, off
	v_add_co_u32_e32 v22, vcc, v13, v24
	v_add_u32_e32 v36, 0x800, v9
	v_mov_b32_e32 v37, v11
	v_add_co_u32_e64 v32, s[0:1], v13, v32
	v_addc_co_u32_e32 v23, vcc, v14, v25, vcc
	v_lshlrev_b64 v[24:25], 2, v[10:11]
	v_lshlrev_b64 v[36:37], 2, v[36:37]
	v_addc_co_u32_e64 v33, s[0:1], v14, v33, s[0:1]
	v_add_u32_e32 v10, 0xa00, v8
	;; [unrolled: 12-line block ×4, first 2 shown]
	s_waitcnt lgkmcnt(2)
	global_store_dword v[22:23], v42, off
	global_store_dword v[40:41], v43, off
	v_add_co_u32_e32 v22, vcc, v13, v24
	v_add_u32_e32 v48, 0xe00, v9
	v_mov_b32_e32 v49, v11
	v_add_co_u32_e64 v44, s[0:1], v13, v44
	v_addc_co_u32_e32 v23, vcc, v14, v25, vcc
	v_lshlrev_b64 v[24:25], 2, v[10:11]
	v_lshlrev_b64 v[48:49], 2, v[48:49]
	v_addc_co_u32_e64 v45, s[0:1], v14, v45, s[0:1]
	s_waitcnt lgkmcnt(1)
	global_store_dword v[22:23], v46, off
	global_store_dword v[44:45], v47, off
	v_add_co_u32_e32 v22, vcc, v13, v24
	v_add_u32_e32 v19, 0x4000, v19
	v_add_u32_e32 v9, 0x1000, v9
	v_mov_b32_e32 v20, s14
	v_add_co_u32_e64 v48, s[0:1], v13, v48
	v_add_u32_e32 v8, 0x1000, v8
	v_addc_co_u32_e32 v23, vcc, v14, v25, vcc
	v_addc_co_u32_e64 v49, s[0:1], v14, v49, s[0:1]
	s_waitcnt lgkmcnt(0)
	global_store_dword v[22:23], v50, off
	global_store_dword v[48:49], v51, off
	s_andn2_b64 exec, exec, s[12:13]
	s_cbranch_execnz .LBB383_205
; %bb.206:
	s_or_b64 exec, exec, s[12:13]
.LBB383_207:
	s_or_b64 exec, exec, s[10:11]
	v_and_b32_e32 v1, 7, v17
	v_cmp_ne_u32_e32 vcc, 0, v1
	s_and_saveexec_b64 s[10:11], vcc
	s_cbranch_execz .LBB383_210
; %bb.208:
	v_lshl_or_b32 v16, v20, 10, v16
	s_mov_b64 s[12:13], 0
	v_mov_b32_e32 v11, 0
.LBB383_209:                            ; =>This Inner Loop Header: Depth=1
	ds_read2st64_b32 v[18:19], v16 offset1:4
	v_mov_b32_e32 v10, v8
	v_add_u32_e32 v1, -1, v1
	v_lshlrev_b64 v[20:21], 2, v[10:11]
	v_mov_b32_e32 v10, v9
	v_cmp_eq_u32_e32 vcc, 0, v1
	v_add_co_u32_e64 v20, s[0:1], v13, v20
	v_lshlrev_b64 v[22:23], 2, v[10:11]
	v_add_u32_e32 v8, 0x200, v8
	v_add_u32_e32 v16, 0x800, v16
	;; [unrolled: 1-line block ×3, first 2 shown]
	v_addc_co_u32_e64 v21, s[0:1], v14, v21, s[0:1]
	s_or_b64 s[12:13], vcc, s[12:13]
	v_add_co_u32_e32 v22, vcc, v13, v22
	v_addc_co_u32_e32 v23, vcc, v14, v23, vcc
	s_waitcnt lgkmcnt(0)
	global_store_dword v[20:21], v18, off
	global_store_dword v[22:23], v19, off
	s_andn2_b64 exec, exec, s[12:13]
	s_cbranch_execnz .LBB383_209
.LBB383_210:
	s_or_b64 exec, exec, s[10:11]
	v_add_u32_e32 v1, 1, v15
	v_and_b32_e32 v9, 0x1fffffe, v1
	v_cmp_ne_u32_e32 vcc, v1, v9
	v_lshl_or_b32 v8, v9, 8, v0
	s_orn2_b64 s[0:1], vcc, exec
.LBB383_211:
	s_or_b64 exec, exec, s[8:9]
	s_andn2_b64 s[4:5], s[4:5], exec
	s_and_b64 s[0:1], s[0:1], exec
	s_or_b64 s[4:5], s[4:5], s[0:1]
.LBB383_212:
	s_or_b64 exec, exec, s[6:7]
	s_and_b64 exec, exec, s[4:5]
	s_cbranch_execz .LBB383_215
; %bb.213:
	v_lshlrev_b32_e32 v1, 2, v8
	s_mov_b64 s[0:1], 0
	v_mov_b32_e32 v9, 0
.LBB383_214:                            ; =>This Inner Loop Header: Depth=1
	v_lshlrev_b64 v[10:11], 2, v[8:9]
	ds_read_b32 v15, v1
	v_add_co_u32_e32 v10, vcc, v13, v10
	v_add_u32_e32 v8, 0x100, v8
	v_addc_co_u32_e32 v11, vcc, v14, v11, vcc
	v_cmp_ge_u32_e32 vcc, v8, v3
	v_add_u32_e32 v1, 0x400, v1
	s_or_b64 s[0:1], vcc, s[0:1]
	s_waitcnt lgkmcnt(0)
	global_store_dword v[10:11], v15, off
	s_andn2_b64 exec, exec, s[0:1]
	s_cbranch_execnz .LBB383_214
.LBB383_215:
	s_or_b64 exec, exec, s[2:3]
.LBB383_216:
	s_movk_i32 s0, 0xff
	v_cmp_eq_u32_e32 vcc, s0, v0
	s_and_b64 s[0:1], vcc, s[36:37]
	s_and_saveexec_b64 s[2:3], s[0:1]
	s_cbranch_execz .LBB383_219
; %bb.217:
	v_add_co_u32_e32 v0, vcc, v2, v4
	v_addc_co_u32_e64 v1, s[0:1], 0, 0, vcc
	v_add_co_u32_e32 v0, vcc, v0, v6
	v_mov_b32_e32 v3, 0
	v_addc_co_u32_e32 v1, vcc, v1, v7, vcc
	s_cmpk_lg_i32 s33, 0xf00
	global_store_dwordx2 v3, v[0:1], s[54:55]
	s_cbranch_scc1 .LBB383_219
; %bb.218:
	v_lshlrev_b64 v[0:1], 2, v[2:3]
	v_add_co_u32_e32 v0, vcc, v5, v0
	v_addc_co_u32_e32 v1, vcc, v12, v1, vcc
	global_store_dword v[0:1], v28, off offset:-4
.LBB383_219:
	s_endpgm
.LBB383_220:
                                        ; implicit-def: $sgpr8_sgpr9
                                        ; implicit-def: $vgpr80
                                        ; implicit-def: $vgpr5
                                        ; implicit-def: $vgpr81
                                        ; implicit-def: $vgpr23
                                        ; implicit-def: $vgpr22
                                        ; implicit-def: $vgpr25
                                        ; implicit-def: $vgpr24
                                        ; implicit-def: $vgpr27
                                        ; implicit-def: $vgpr26
                                        ; implicit-def: $vgpr31
                                        ; implicit-def: $vgpr30
                                        ; implicit-def: $vgpr33
                                        ; implicit-def: $vgpr32
                                        ; implicit-def: $vgpr35
	s_cbranch_execz .LBB383_114
.LBB383_221:
	v_mov_b32_e32 v29, 0
	v_lshlrev_b32_e32 v4, 2, v0
	v_cmp_gt_u64_e32 vcc, s[6:7], v[28:29]
	v_mov_b32_e32 v80, 0
	ds_write_b32 v4, v1
	s_and_saveexec_b64 s[8:9], vcc
	s_cbranch_execz .LBB383_223
; %bb.222:
	s_mov_b32 s10, 0x66666667
	v_mul_hi_i32 v3, v9, s10
	v_lshrrev_b32_e32 v5, 31, v3
	v_ashrrev_i32_e32 v3, 2, v3
	v_add_u32_e32 v3, v3, v5
	v_mul_hi_i32 v5, v1, s10
	s_waitcnt vmcnt(0) lgkmcnt(0)
	v_lshrrev_b32_e32 v6, 31, v5
	v_ashrrev_i32_e32 v5, 2, v5
	v_add_u32_e32 v5, v5, v6
	v_cmp_ne_u32_e32 vcc, v3, v5
	v_cndmask_b32_e64 v80, 0, 1, vcc
.LBB383_223:
	s_or_b64 exec, exec, s[8:9]
	v_add_u32_e32 v28, 13, v2
	v_cmp_gt_u64_e32 vcc, s[6:7], v[28:29]
	s_and_saveexec_b64 s[8:9], vcc
	s_cbranch_execz .LBB383_225
; %bb.224:
	s_mov_b32 s10, 0x66666667
	v_mul_hi_i32 v3, v8, s10
	v_lshrrev_b32_e32 v5, 31, v3
	v_ashrrev_i32_e32 v3, 2, v3
	v_add_u32_e32 v3, v3, v5
	v_mul_hi_i32 v5, v9, s10
	s_waitcnt vmcnt(0) lgkmcnt(0)
	v_lshrrev_b32_e32 v6, 31, v5
	v_ashrrev_i32_e32 v5, 2, v5
	v_add_u32_e32 v5, v5, v6
	v_cmp_ne_u32_e32 vcc, v3, v5
	v_cndmask_b32_e64 v29, 0, 1, vcc
.LBB383_225:
	s_or_b64 exec, exec, s[8:9]
	v_add_u32_e32 v22, 12, v2
	v_mov_b32_e32 v23, 0
	v_cmp_gt_u64_e32 vcc, s[6:7], v[22:23]
	v_mov_b32_e32 v81, 0
	s_and_saveexec_b64 s[8:9], vcc
	s_cbranch_execz .LBB383_227
; %bb.226:
	s_mov_b32 s10, 0x66666667
	v_mul_hi_i32 v3, v11, s10
	v_lshrrev_b32_e32 v5, 31, v3
	v_ashrrev_i32_e32 v3, 2, v3
	v_add_u32_e32 v3, v3, v5
	v_mul_hi_i32 v5, v8, s10
	s_waitcnt vmcnt(0) lgkmcnt(0)
	v_lshrrev_b32_e32 v6, 31, v5
	v_ashrrev_i32_e32 v5, 2, v5
	v_add_u32_e32 v5, v5, v6
	v_cmp_ne_u32_e32 vcc, v3, v5
	v_cndmask_b32_e64 v81, 0, 1, vcc
.LBB383_227:
	s_or_b64 exec, exec, s[8:9]
	v_add_u32_e32 v22, 11, v2
	v_cmp_gt_u64_e32 vcc, s[6:7], v[22:23]
	s_and_saveexec_b64 s[8:9], vcc
	s_cbranch_execz .LBB383_229
; %bb.228:
	s_mov_b32 s10, 0x66666667
	v_mul_hi_i32 v3, v10, s10
	v_lshrrev_b32_e32 v5, 31, v3
	v_ashrrev_i32_e32 v3, 2, v3
	v_add_u32_e32 v3, v3, v5
	v_mul_hi_i32 v5, v11, s10
	s_waitcnt vmcnt(0) lgkmcnt(0)
	v_lshrrev_b32_e32 v6, 31, v5
	v_ashrrev_i32_e32 v5, 2, v5
	v_add_u32_e32 v5, v5, v6
	v_cmp_ne_u32_e32 vcc, v3, v5
	v_cndmask_b32_e64 v23, 0, 1, vcc
.LBB383_229:
	s_or_b64 exec, exec, s[8:9]
	v_add_u32_e32 v24, 10, v2
	v_mov_b32_e32 v25, 0
	v_cmp_gt_u64_e32 vcc, s[6:7], v[24:25]
	v_mov_b32_e32 v22, 0
	;; [unrolled: 40-line block ×6, first 2 shown]
	s_and_saveexec_b64 s[8:9], vcc
	s_cbranch_execz .LBB383_247
; %bb.246:
	s_mov_b32 s10, 0x66666667
	v_mul_hi_i32 v3, v21, s10
	v_lshrrev_b32_e32 v5, 31, v3
	v_ashrrev_i32_e32 v3, 2, v3
	v_add_u32_e32 v3, v3, v5
	v_mul_hi_i32 v5, v18, s10
	s_waitcnt vmcnt(0) lgkmcnt(0)
	v_lshrrev_b32_e32 v6, 31, v5
	v_ashrrev_i32_e32 v5, 2, v5
	v_add_u32_e32 v5, v5, v6
	v_cmp_ne_u32_e32 vcc, v3, v5
	v_cndmask_b32_e64 v32, 0, 1, vcc
.LBB383_247:
	s_or_b64 exec, exec, s[8:9]
	v_add_u32_e32 v34, 1, v2
	v_cmp_gt_u64_e32 vcc, s[6:7], v[34:35]
	s_and_saveexec_b64 s[8:9], vcc
	s_cbranch_execz .LBB383_249
; %bb.248:
	s_mov_b32 s10, 0x66666667
	v_mul_hi_i32 v3, v20, s10
	v_lshrrev_b32_e32 v5, 31, v3
	v_ashrrev_i32_e32 v3, 2, v3
	v_add_u32_e32 v3, v3, v5
	v_mul_hi_i32 v5, v21, s10
	s_waitcnt vmcnt(0) lgkmcnt(0)
	v_lshrrev_b32_e32 v6, 31, v5
	v_ashrrev_i32_e32 v5, 2, v5
	v_add_u32_e32 v5, v5, v6
	v_cmp_ne_u32_e32 vcc, v3, v5
	v_cndmask_b32_e64 v35, 0, 1, vcc
.LBB383_249:
	s_or_b64 exec, exec, s[8:9]
	s_waitcnt lgkmcnt(0)
	s_barrier
	s_waitcnt lgkmcnt(0)
                                        ; implicit-def: $sgpr8_sgpr9
	s_and_saveexec_b64 s[10:11], s[2:3]
	s_cbranch_execz .LBB383_253
; %bb.250:
	v_mov_b32_e32 v3, 0
	v_cmp_gt_u64_e32 vcc, s[6:7], v[2:3]
	s_mov_b64 s[6:7], 0
	s_and_saveexec_b64 s[2:3], vcc
	s_cbranch_execz .LBB383_252
; %bb.251:
	v_add_u32_e32 v2, -4, v4
	ds_read_b32 v2, v2
	s_mov_b32 s6, 0x66666667
	v_mul_hi_i32 v3, v20, s6
	v_lshrrev_b32_e32 v4, 31, v3
	v_ashrrev_i32_e32 v3, 2, v3
	s_waitcnt lgkmcnt(0)
	v_mul_hi_i32 v2, v2, s6
	v_lshrrev_b32_e32 v5, 31, v2
	v_ashrrev_i32_e32 v2, 2, v2
	v_add_u32_e32 v2, v2, v5
	v_add_u32_e32 v3, v3, v4
	v_cmp_ne_u32_e32 vcc, v2, v3
	s_and_b64 s[6:7], vcc, exec
.LBB383_252:
	s_or_b64 exec, exec, s[2:3]
	s_and_b64 s[8:9], s[6:7], exec
	s_or_b64 s[4:5], s[4:5], exec
.LBB383_253:
	s_or_b64 exec, exec, s[10:11]
	s_mov_b32 s12, 1
	v_mov_b32_e32 v5, v29
	v_mov_b32_e32 v34, s12
	s_and_saveexec_b64 s[2:3], s[4:5]
	s_cbranch_execnz .LBB383_116
	s_branch .LBB383_117
.LBB383_254:
	s_and_saveexec_b64 s[42:43], s[30:31]
	s_cbranch_execnz .LBB383_322
; %bb.255:
	s_or_b64 exec, exec, s[42:43]
	s_and_saveexec_b64 s[42:43], s[28:29]
	s_cbranch_execnz .LBB383_323
.LBB383_256:
	s_or_b64 exec, exec, s[42:43]
	s_and_saveexec_b64 s[42:43], s[26:27]
	s_cbranch_execnz .LBB383_324
.LBB383_257:
	s_or_b64 exec, exec, s[42:43]
	s_and_saveexec_b64 s[42:43], s[24:25]
	s_cbranch_execnz .LBB383_325
.LBB383_258:
	s_or_b64 exec, exec, s[42:43]
	s_and_saveexec_b64 s[42:43], s[22:23]
	s_cbranch_execnz .LBB383_326
.LBB383_259:
	s_or_b64 exec, exec, s[42:43]
	s_and_saveexec_b64 s[42:43], s[20:21]
	s_cbranch_execnz .LBB383_327
.LBB383_260:
	s_or_b64 exec, exec, s[42:43]
	s_and_saveexec_b64 s[42:43], s[18:19]
	s_cbranch_execnz .LBB383_328
.LBB383_261:
	s_or_b64 exec, exec, s[42:43]
	s_and_saveexec_b64 s[42:43], s[16:17]
	s_cbranch_execnz .LBB383_329
.LBB383_262:
	s_or_b64 exec, exec, s[42:43]
	s_and_saveexec_b64 s[42:43], s[14:15]
	s_cbranch_execnz .LBB383_330
.LBB383_263:
	s_or_b64 exec, exec, s[42:43]
	s_and_saveexec_b64 s[42:43], s[12:13]
	s_cbranch_execnz .LBB383_331
.LBB383_264:
	s_or_b64 exec, exec, s[42:43]
	s_and_saveexec_b64 s[42:43], s[10:11]
	s_cbranch_execnz .LBB383_332
.LBB383_265:
	s_or_b64 exec, exec, s[42:43]
	s_and_saveexec_b64 s[42:43], s[8:9]
	s_cbranch_execnz .LBB383_333
.LBB383_266:
	s_or_b64 exec, exec, s[42:43]
	s_and_saveexec_b64 s[42:43], s[6:7]
	s_cbranch_execnz .LBB383_334
.LBB383_267:
	s_or_b64 exec, exec, s[42:43]
	s_and_saveexec_b64 s[42:43], s[4:5]
	s_cbranch_execz .LBB383_269
.LBB383_268:
	v_sub_u32_e32 v42, v52, v4
	v_mov_b32_e32 v43, 0
	v_lshlrev_b64 v[42:43], 2, v[42:43]
	v_add_co_u32_e32 v42, vcc, v3, v42
	v_addc_co_u32_e32 v43, vcc, v5, v43, vcc
	global_store_dword v[42:43], v9, off
.LBB383_269:
	s_or_b64 exec, exec, s[42:43]
	s_and_b64 s[42:43], s[2:3], exec
	s_andn2_saveexec_b64 s[34:35], s[34:35]
	s_cbranch_execz .LBB383_162
.LBB383_270:
	v_sub_u32_e32 v42, v78, v4
	v_mov_b32_e32 v43, 0
	v_lshlrev_b64 v[44:45], 2, v[42:43]
	v_add_co_u32_e32 v44, vcc, v3, v44
	v_addc_co_u32_e32 v45, vcc, v5, v45, vcc
	v_sub_u32_e32 v42, v76, v4
	global_store_dword v[44:45], v20, off
	v_lshlrev_b64 v[44:45], 2, v[42:43]
	v_add_co_u32_e32 v44, vcc, v3, v44
	v_addc_co_u32_e32 v45, vcc, v5, v45, vcc
	v_sub_u32_e32 v42, v74, v4
	global_store_dword v[44:45], v21, off
	;; [unrolled: 5-line block ×12, first 2 shown]
	v_lshlrev_b64 v[44:45], 2, v[42:43]
	v_add_co_u32_e32 v44, vcc, v3, v44
	v_sub_u32_e32 v42, v52, v4
	v_addc_co_u32_e32 v45, vcc, v5, v45, vcc
	v_lshlrev_b64 v[42:43], 2, v[42:43]
	v_add_co_u32_e32 v42, vcc, v3, v42
	v_addc_co_u32_e32 v43, vcc, v5, v43, vcc
	s_or_b64 s[42:43], s[42:43], exec
	global_store_dword v[44:45], v8, off
	global_store_dword v[42:43], v9, off
	s_or_b64 exec, exec, s[34:35]
	s_and_b64 exec, exec, s[42:43]
	s_cbranch_execnz .LBB383_163
	s_branch .LBB383_164
.LBB383_271:
	s_and_saveexec_b64 s[42:43], s[30:31]
	s_cbranch_execnz .LBB383_335
; %bb.272:
	s_or_b64 exec, exec, s[42:43]
	s_and_saveexec_b64 s[30:31], s[28:29]
	s_cbranch_execnz .LBB383_336
.LBB383_273:
	s_or_b64 exec, exec, s[30:31]
	s_and_saveexec_b64 s[28:29], s[26:27]
	s_cbranch_execnz .LBB383_337
.LBB383_274:
	s_or_b64 exec, exec, s[28:29]
	s_and_saveexec_b64 s[26:27], s[24:25]
	s_cbranch_execnz .LBB383_338
.LBB383_275:
	s_or_b64 exec, exec, s[26:27]
	s_and_saveexec_b64 s[24:25], s[22:23]
	s_cbranch_execnz .LBB383_339
.LBB383_276:
	s_or_b64 exec, exec, s[24:25]
	s_and_saveexec_b64 s[22:23], s[20:21]
	s_cbranch_execnz .LBB383_340
.LBB383_277:
	s_or_b64 exec, exec, s[22:23]
	s_and_saveexec_b64 s[20:21], s[18:19]
	s_cbranch_execnz .LBB383_341
.LBB383_278:
	s_or_b64 exec, exec, s[20:21]
	s_and_saveexec_b64 s[18:19], s[16:17]
	s_cbranch_execnz .LBB383_342
.LBB383_279:
	s_or_b64 exec, exec, s[18:19]
	s_and_saveexec_b64 s[16:17], s[14:15]
	s_cbranch_execnz .LBB383_343
.LBB383_280:
	s_or_b64 exec, exec, s[16:17]
	s_and_saveexec_b64 s[14:15], s[12:13]
	s_cbranch_execnz .LBB383_344
.LBB383_281:
	s_or_b64 exec, exec, s[14:15]
	s_and_saveexec_b64 s[12:13], s[10:11]
	s_cbranch_execnz .LBB383_345
.LBB383_282:
	s_or_b64 exec, exec, s[12:13]
	s_and_saveexec_b64 s[10:11], s[8:9]
	s_cbranch_execnz .LBB383_346
.LBB383_283:
	s_or_b64 exec, exec, s[10:11]
	s_and_saveexec_b64 s[8:9], s[6:7]
	s_cbranch_execnz .LBB383_347
.LBB383_284:
	s_or_b64 exec, exec, s[8:9]
	s_and_saveexec_b64 s[6:7], s[4:5]
	s_cbranch_execz .LBB383_286
.LBB383_285:
	v_sub_u32_e32 v8, v52, v4
	v_lshlrev_b32_e32 v8, 2, v8
	ds_write_b32 v8, v9
.LBB383_286:
	s_or_b64 exec, exec, s[6:7]
	s_and_b64 s[42:43], s[2:3], exec
                                        ; implicit-def: $vgpr20_vgpr21
                                        ; implicit-def: $vgpr18_vgpr19
                                        ; implicit-def: $vgpr16_vgpr17
                                        ; implicit-def: $vgpr14_vgpr15
                                        ; implicit-def: $vgpr12_vgpr13
                                        ; implicit-def: $vgpr10_vgpr11
                                        ; implicit-def: $vgpr8_vgpr9
	s_andn2_saveexec_b64 s[2:3], s[40:41]
	s_cbranch_execz .LBB383_169
.LBB383_287:
	v_sub_u32_e32 v40, v78, v4
	v_lshlrev_b32_e32 v40, 2, v40
	ds_write_b32 v40, v20
	v_sub_u32_e32 v20, v76, v4
	v_lshlrev_b32_e32 v20, 2, v20
	ds_write_b32 v20, v21
	;; [unrolled: 3-line block ×13, first 2 shown]
	v_sub_u32_e32 v8, v52, v4
	v_lshlrev_b32_e32 v8, 2, v8
	s_or_b64 s[42:43], s[42:43], exec
	ds_write_b32 v8, v9
	s_or_b64 exec, exec, s[2:3]
	s_and_b64 exec, exec, s[42:43]
	s_cbranch_execnz .LBB383_170
	s_branch .LBB383_171
.LBB383_288:
	s_and_saveexec_b64 s[38:39], s[28:29]
	s_cbranch_execnz .LBB383_348
; %bb.289:
	s_or_b64 exec, exec, s[38:39]
	s_and_saveexec_b64 s[38:39], s[26:27]
	s_cbranch_execnz .LBB383_349
.LBB383_290:
	s_or_b64 exec, exec, s[38:39]
	s_and_saveexec_b64 s[38:39], s[24:25]
	s_cbranch_execnz .LBB383_350
.LBB383_291:
	s_or_b64 exec, exec, s[38:39]
	s_and_saveexec_b64 s[38:39], s[22:23]
	s_cbranch_execnz .LBB383_351
.LBB383_292:
	s_or_b64 exec, exec, s[38:39]
	s_and_saveexec_b64 s[38:39], s[20:21]
	s_cbranch_execnz .LBB383_352
.LBB383_293:
	s_or_b64 exec, exec, s[38:39]
	s_and_saveexec_b64 s[38:39], s[18:19]
	s_cbranch_execnz .LBB383_353
.LBB383_294:
	s_or_b64 exec, exec, s[38:39]
	s_and_saveexec_b64 s[38:39], s[16:17]
	s_cbranch_execnz .LBB383_354
.LBB383_295:
	s_or_b64 exec, exec, s[38:39]
	s_and_saveexec_b64 s[38:39], s[14:15]
	s_cbranch_execnz .LBB383_355
.LBB383_296:
	s_or_b64 exec, exec, s[38:39]
	s_and_saveexec_b64 s[38:39], s[12:13]
	s_cbranch_execnz .LBB383_356
.LBB383_297:
	s_or_b64 exec, exec, s[38:39]
	s_and_saveexec_b64 s[38:39], s[10:11]
	s_cbranch_execnz .LBB383_357
.LBB383_298:
	s_or_b64 exec, exec, s[38:39]
	s_and_saveexec_b64 s[38:39], s[8:9]
	s_cbranch_execnz .LBB383_358
.LBB383_299:
	s_or_b64 exec, exec, s[38:39]
	s_and_saveexec_b64 s[38:39], s[6:7]
	s_cbranch_execnz .LBB383_359
.LBB383_300:
	s_or_b64 exec, exec, s[38:39]
	s_and_saveexec_b64 s[38:39], s[4:5]
	s_cbranch_execnz .LBB383_360
.LBB383_301:
	s_or_b64 exec, exec, s[38:39]
	s_and_saveexec_b64 s[38:39], s[2:3]
	s_cbranch_execz .LBB383_303
.LBB383_302:
	v_sub_u32_e32 v16, v52, v9
	v_mov_b32_e32 v17, 0
	v_lshlrev_b64 v[16:17], 2, v[16:17]
	v_add_co_u32_e32 v16, vcc, v13, v16
	v_addc_co_u32_e32 v17, vcc, v14, v17, vcc
	global_store_dword v[16:17], v53, off
.LBB383_303:
	s_or_b64 exec, exec, s[38:39]
	s_and_b64 s[38:39], s[0:1], exec
	s_andn2_saveexec_b64 s[30:31], s[30:31]
	s_cbranch_execz .LBB383_191
.LBB383_304:
	v_sub_u32_e32 v16, v78, v9
	v_mov_b32_e32 v17, 0
	v_lshlrev_b64 v[18:19], 2, v[16:17]
	v_add_co_u32_e32 v18, vcc, v13, v18
	v_addc_co_u32_e32 v19, vcc, v14, v19, vcc
	v_sub_u32_e32 v16, v76, v9
	global_store_dword v[18:19], v79, off
	v_lshlrev_b64 v[18:19], 2, v[16:17]
	v_add_co_u32_e32 v18, vcc, v13, v18
	v_addc_co_u32_e32 v19, vcc, v14, v19, vcc
	v_sub_u32_e32 v16, v74, v9
	global_store_dword v[18:19], v77, off
	;; [unrolled: 5-line block ×12, first 2 shown]
	v_lshlrev_b64 v[18:19], 2, v[16:17]
	v_add_co_u32_e32 v18, vcc, v13, v18
	v_sub_u32_e32 v16, v52, v9
	v_addc_co_u32_e32 v19, vcc, v14, v19, vcc
	v_lshlrev_b64 v[16:17], 2, v[16:17]
	v_add_co_u32_e32 v16, vcc, v13, v16
	v_addc_co_u32_e32 v17, vcc, v14, v17, vcc
	s_or_b64 s[38:39], s[38:39], exec
	global_store_dword v[18:19], v55, off
	global_store_dword v[16:17], v53, off
	s_or_b64 exec, exec, s[30:31]
	s_and_b64 exec, exec, s[38:39]
	s_cbranch_execnz .LBB383_192
	s_branch .LBB383_193
.LBB383_305:
	s_and_saveexec_b64 s[38:39], s[28:29]
	s_cbranch_execnz .LBB383_361
; %bb.306:
	s_or_b64 exec, exec, s[38:39]
	s_and_saveexec_b64 s[28:29], s[26:27]
	s_cbranch_execnz .LBB383_362
.LBB383_307:
	s_or_b64 exec, exec, s[28:29]
	s_and_saveexec_b64 s[26:27], s[24:25]
	s_cbranch_execnz .LBB383_363
.LBB383_308:
	s_or_b64 exec, exec, s[26:27]
	s_and_saveexec_b64 s[24:25], s[22:23]
	s_cbranch_execnz .LBB383_364
.LBB383_309:
	s_or_b64 exec, exec, s[24:25]
	s_and_saveexec_b64 s[22:23], s[20:21]
	s_cbranch_execnz .LBB383_365
.LBB383_310:
	s_or_b64 exec, exec, s[22:23]
	s_and_saveexec_b64 s[20:21], s[18:19]
	s_cbranch_execnz .LBB383_366
.LBB383_311:
	s_or_b64 exec, exec, s[20:21]
	s_and_saveexec_b64 s[18:19], s[16:17]
	s_cbranch_execnz .LBB383_367
.LBB383_312:
	s_or_b64 exec, exec, s[18:19]
	s_and_saveexec_b64 s[16:17], s[14:15]
	s_cbranch_execnz .LBB383_368
.LBB383_313:
	s_or_b64 exec, exec, s[16:17]
	s_and_saveexec_b64 s[14:15], s[12:13]
	s_cbranch_execnz .LBB383_369
.LBB383_314:
	s_or_b64 exec, exec, s[14:15]
	s_and_saveexec_b64 s[12:13], s[10:11]
	s_cbranch_execnz .LBB383_370
.LBB383_315:
	s_or_b64 exec, exec, s[12:13]
	s_and_saveexec_b64 s[10:11], s[8:9]
	s_cbranch_execnz .LBB383_371
.LBB383_316:
	s_or_b64 exec, exec, s[10:11]
	s_and_saveexec_b64 s[8:9], s[6:7]
	s_cbranch_execnz .LBB383_372
.LBB383_317:
	s_or_b64 exec, exec, s[8:9]
	s_and_saveexec_b64 s[6:7], s[4:5]
	s_cbranch_execnz .LBB383_373
.LBB383_318:
	s_or_b64 exec, exec, s[6:7]
	s_and_saveexec_b64 s[4:5], s[2:3]
	s_cbranch_execz .LBB383_320
.LBB383_319:
	v_sub_u32_e32 v10, v52, v9
	v_lshlrev_b32_e32 v10, 2, v10
	ds_write_b32 v10, v53
.LBB383_320:
	s_or_b64 exec, exec, s[4:5]
	s_and_b64 s[38:39], s[0:1], exec
                                        ; implicit-def: $vgpr78_vgpr79
                                        ; implicit-def: $vgpr76_vgpr77
                                        ; implicit-def: $vgpr74_vgpr75
                                        ; implicit-def: $vgpr72_vgpr73
                                        ; implicit-def: $vgpr70_vgpr71
                                        ; implicit-def: $vgpr68_vgpr69
                                        ; implicit-def: $vgpr66_vgpr67
                                        ; implicit-def: $vgpr64_vgpr65
                                        ; implicit-def: $vgpr62_vgpr63
                                        ; implicit-def: $vgpr60_vgpr61
                                        ; implicit-def: $vgpr58_vgpr59
                                        ; implicit-def: $vgpr56_vgpr57
                                        ; implicit-def: $vgpr54_vgpr55
                                        ; implicit-def: $vgpr52_vgpr53
	s_andn2_saveexec_b64 s[0:1], s[34:35]
	s_cbranch_execz .LBB383_198
.LBB383_321:
	v_sub_u32_e32 v10, v78, v9
	v_lshlrev_b32_e32 v10, 2, v10
	ds_write_b32 v10, v79
	v_sub_u32_e32 v10, v76, v9
	v_lshlrev_b32_e32 v10, 2, v10
	ds_write_b32 v10, v77
	;; [unrolled: 3-line block ×13, first 2 shown]
	v_sub_u32_e32 v10, v52, v9
	v_lshlrev_b32_e32 v10, 2, v10
	s_or_b64 s[38:39], s[38:39], exec
	ds_write_b32 v10, v53
	s_or_b64 exec, exec, s[0:1]
	s_and_b64 exec, exec, s[38:39]
	s_cbranch_execnz .LBB383_199
	s_branch .LBB383_200
.LBB383_322:
	v_sub_u32_e32 v42, v78, v4
	v_mov_b32_e32 v43, 0
	v_lshlrev_b64 v[42:43], 2, v[42:43]
	v_add_co_u32_e32 v42, vcc, v3, v42
	v_addc_co_u32_e32 v43, vcc, v5, v43, vcc
	global_store_dword v[42:43], v20, off
	s_or_b64 exec, exec, s[42:43]
	s_and_saveexec_b64 s[42:43], s[28:29]
	s_cbranch_execz .LBB383_256
.LBB383_323:
	v_sub_u32_e32 v42, v76, v4
	v_mov_b32_e32 v43, 0
	v_lshlrev_b64 v[42:43], 2, v[42:43]
	v_add_co_u32_e32 v42, vcc, v3, v42
	v_addc_co_u32_e32 v43, vcc, v5, v43, vcc
	global_store_dword v[42:43], v21, off
	s_or_b64 exec, exec, s[42:43]
	s_and_saveexec_b64 s[42:43], s[26:27]
	s_cbranch_execz .LBB383_257
.LBB383_324:
	v_sub_u32_e32 v42, v74, v4
	v_mov_b32_e32 v43, 0
	v_lshlrev_b64 v[42:43], 2, v[42:43]
	v_add_co_u32_e32 v42, vcc, v3, v42
	v_addc_co_u32_e32 v43, vcc, v5, v43, vcc
	global_store_dword v[42:43], v18, off
	s_or_b64 exec, exec, s[42:43]
	s_and_saveexec_b64 s[42:43], s[24:25]
	s_cbranch_execz .LBB383_258
.LBB383_325:
	v_sub_u32_e32 v42, v72, v4
	v_mov_b32_e32 v43, 0
	v_lshlrev_b64 v[42:43], 2, v[42:43]
	v_add_co_u32_e32 v42, vcc, v3, v42
	v_addc_co_u32_e32 v43, vcc, v5, v43, vcc
	global_store_dword v[42:43], v19, off
	s_or_b64 exec, exec, s[42:43]
	s_and_saveexec_b64 s[42:43], s[22:23]
	s_cbranch_execz .LBB383_259
.LBB383_326:
	v_sub_u32_e32 v42, v70, v4
	v_mov_b32_e32 v43, 0
	v_lshlrev_b64 v[42:43], 2, v[42:43]
	v_add_co_u32_e32 v42, vcc, v3, v42
	v_addc_co_u32_e32 v43, vcc, v5, v43, vcc
	global_store_dword v[42:43], v16, off
	s_or_b64 exec, exec, s[42:43]
	s_and_saveexec_b64 s[42:43], s[20:21]
	s_cbranch_execz .LBB383_260
.LBB383_327:
	v_sub_u32_e32 v42, v68, v4
	v_mov_b32_e32 v43, 0
	v_lshlrev_b64 v[42:43], 2, v[42:43]
	v_add_co_u32_e32 v42, vcc, v3, v42
	v_addc_co_u32_e32 v43, vcc, v5, v43, vcc
	global_store_dword v[42:43], v17, off
	s_or_b64 exec, exec, s[42:43]
	s_and_saveexec_b64 s[42:43], s[18:19]
	s_cbranch_execz .LBB383_261
.LBB383_328:
	v_sub_u32_e32 v42, v66, v4
	v_mov_b32_e32 v43, 0
	v_lshlrev_b64 v[42:43], 2, v[42:43]
	v_add_co_u32_e32 v42, vcc, v3, v42
	v_addc_co_u32_e32 v43, vcc, v5, v43, vcc
	global_store_dword v[42:43], v14, off
	s_or_b64 exec, exec, s[42:43]
	s_and_saveexec_b64 s[42:43], s[16:17]
	s_cbranch_execz .LBB383_262
.LBB383_329:
	v_sub_u32_e32 v42, v64, v4
	v_mov_b32_e32 v43, 0
	v_lshlrev_b64 v[42:43], 2, v[42:43]
	v_add_co_u32_e32 v42, vcc, v3, v42
	v_addc_co_u32_e32 v43, vcc, v5, v43, vcc
	global_store_dword v[42:43], v15, off
	s_or_b64 exec, exec, s[42:43]
	s_and_saveexec_b64 s[42:43], s[14:15]
	s_cbranch_execz .LBB383_263
.LBB383_330:
	v_sub_u32_e32 v42, v62, v4
	v_mov_b32_e32 v43, 0
	v_lshlrev_b64 v[42:43], 2, v[42:43]
	v_add_co_u32_e32 v42, vcc, v3, v42
	v_addc_co_u32_e32 v43, vcc, v5, v43, vcc
	global_store_dword v[42:43], v12, off
	s_or_b64 exec, exec, s[42:43]
	s_and_saveexec_b64 s[42:43], s[12:13]
	s_cbranch_execz .LBB383_264
.LBB383_331:
	v_sub_u32_e32 v42, v60, v4
	v_mov_b32_e32 v43, 0
	v_lshlrev_b64 v[42:43], 2, v[42:43]
	v_add_co_u32_e32 v42, vcc, v3, v42
	v_addc_co_u32_e32 v43, vcc, v5, v43, vcc
	global_store_dword v[42:43], v13, off
	s_or_b64 exec, exec, s[42:43]
	s_and_saveexec_b64 s[42:43], s[10:11]
	s_cbranch_execz .LBB383_265
.LBB383_332:
	v_sub_u32_e32 v42, v58, v4
	v_mov_b32_e32 v43, 0
	v_lshlrev_b64 v[42:43], 2, v[42:43]
	v_add_co_u32_e32 v42, vcc, v3, v42
	v_addc_co_u32_e32 v43, vcc, v5, v43, vcc
	global_store_dword v[42:43], v10, off
	s_or_b64 exec, exec, s[42:43]
	s_and_saveexec_b64 s[42:43], s[8:9]
	s_cbranch_execz .LBB383_266
.LBB383_333:
	v_sub_u32_e32 v42, v56, v4
	v_mov_b32_e32 v43, 0
	v_lshlrev_b64 v[42:43], 2, v[42:43]
	v_add_co_u32_e32 v42, vcc, v3, v42
	v_addc_co_u32_e32 v43, vcc, v5, v43, vcc
	global_store_dword v[42:43], v11, off
	s_or_b64 exec, exec, s[42:43]
	s_and_saveexec_b64 s[42:43], s[6:7]
	s_cbranch_execz .LBB383_267
.LBB383_334:
	v_sub_u32_e32 v42, v54, v4
	v_mov_b32_e32 v43, 0
	v_lshlrev_b64 v[42:43], 2, v[42:43]
	v_add_co_u32_e32 v42, vcc, v3, v42
	v_addc_co_u32_e32 v43, vcc, v5, v43, vcc
	global_store_dword v[42:43], v8, off
	s_or_b64 exec, exec, s[42:43]
	s_and_saveexec_b64 s[42:43], s[4:5]
	s_cbranch_execnz .LBB383_268
	s_branch .LBB383_269
.LBB383_335:
	v_sub_u32_e32 v40, v78, v4
	v_lshlrev_b32_e32 v40, 2, v40
	ds_write_b32 v40, v20
	s_or_b64 exec, exec, s[42:43]
	s_and_saveexec_b64 s[30:31], s[28:29]
	s_cbranch_execz .LBB383_273
.LBB383_336:
	v_sub_u32_e32 v20, v76, v4
	v_lshlrev_b32_e32 v20, 2, v20
	ds_write_b32 v20, v21
	s_or_b64 exec, exec, s[30:31]
	s_and_saveexec_b64 s[28:29], s[26:27]
	s_cbranch_execz .LBB383_274
.LBB383_337:
	v_sub_u32_e32 v20, v74, v4
	v_lshlrev_b32_e32 v20, 2, v20
	ds_write_b32 v20, v18
	s_or_b64 exec, exec, s[28:29]
	s_and_saveexec_b64 s[26:27], s[24:25]
	s_cbranch_execz .LBB383_275
.LBB383_338:
	v_sub_u32_e32 v18, v72, v4
	v_lshlrev_b32_e32 v18, 2, v18
	ds_write_b32 v18, v19
	s_or_b64 exec, exec, s[26:27]
	s_and_saveexec_b64 s[24:25], s[22:23]
	s_cbranch_execz .LBB383_276
.LBB383_339:
	v_sub_u32_e32 v18, v70, v4
	v_lshlrev_b32_e32 v18, 2, v18
	ds_write_b32 v18, v16
	s_or_b64 exec, exec, s[24:25]
	s_and_saveexec_b64 s[22:23], s[20:21]
	s_cbranch_execz .LBB383_277
.LBB383_340:
	v_sub_u32_e32 v16, v68, v4
	v_lshlrev_b32_e32 v16, 2, v16
	ds_write_b32 v16, v17
	s_or_b64 exec, exec, s[22:23]
	s_and_saveexec_b64 s[20:21], s[18:19]
	s_cbranch_execz .LBB383_278
.LBB383_341:
	v_sub_u32_e32 v16, v66, v4
	v_lshlrev_b32_e32 v16, 2, v16
	ds_write_b32 v16, v14
	s_or_b64 exec, exec, s[20:21]
	s_and_saveexec_b64 s[18:19], s[16:17]
	s_cbranch_execz .LBB383_279
.LBB383_342:
	v_sub_u32_e32 v14, v64, v4
	v_lshlrev_b32_e32 v14, 2, v14
	ds_write_b32 v14, v15
	s_or_b64 exec, exec, s[18:19]
	s_and_saveexec_b64 s[16:17], s[14:15]
	s_cbranch_execz .LBB383_280
.LBB383_343:
	v_sub_u32_e32 v14, v62, v4
	v_lshlrev_b32_e32 v14, 2, v14
	ds_write_b32 v14, v12
	s_or_b64 exec, exec, s[16:17]
	s_and_saveexec_b64 s[14:15], s[12:13]
	s_cbranch_execz .LBB383_281
.LBB383_344:
	v_sub_u32_e32 v12, v60, v4
	v_lshlrev_b32_e32 v12, 2, v12
	ds_write_b32 v12, v13
	s_or_b64 exec, exec, s[14:15]
	s_and_saveexec_b64 s[12:13], s[10:11]
	s_cbranch_execz .LBB383_282
.LBB383_345:
	v_sub_u32_e32 v12, v58, v4
	v_lshlrev_b32_e32 v12, 2, v12
	ds_write_b32 v12, v10
	s_or_b64 exec, exec, s[12:13]
	s_and_saveexec_b64 s[10:11], s[8:9]
	s_cbranch_execz .LBB383_283
.LBB383_346:
	v_sub_u32_e32 v10, v56, v4
	v_lshlrev_b32_e32 v10, 2, v10
	ds_write_b32 v10, v11
	s_or_b64 exec, exec, s[10:11]
	s_and_saveexec_b64 s[8:9], s[6:7]
	s_cbranch_execz .LBB383_284
.LBB383_347:
	v_sub_u32_e32 v10, v54, v4
	v_lshlrev_b32_e32 v10, 2, v10
	ds_write_b32 v10, v8
	s_or_b64 exec, exec, s[8:9]
	s_and_saveexec_b64 s[6:7], s[4:5]
	s_cbranch_execnz .LBB383_285
	s_branch .LBB383_286
.LBB383_348:
	v_sub_u32_e32 v16, v78, v9
	v_mov_b32_e32 v17, 0
	v_lshlrev_b64 v[16:17], 2, v[16:17]
	v_add_co_u32_e32 v16, vcc, v13, v16
	v_addc_co_u32_e32 v17, vcc, v14, v17, vcc
	global_store_dword v[16:17], v79, off
	s_or_b64 exec, exec, s[38:39]
	s_and_saveexec_b64 s[38:39], s[26:27]
	s_cbranch_execz .LBB383_290
.LBB383_349:
	v_sub_u32_e32 v16, v76, v9
	v_mov_b32_e32 v17, 0
	v_lshlrev_b64 v[16:17], 2, v[16:17]
	v_add_co_u32_e32 v16, vcc, v13, v16
	v_addc_co_u32_e32 v17, vcc, v14, v17, vcc
	global_store_dword v[16:17], v77, off
	s_or_b64 exec, exec, s[38:39]
	s_and_saveexec_b64 s[38:39], s[24:25]
	s_cbranch_execz .LBB383_291
.LBB383_350:
	v_sub_u32_e32 v16, v74, v9
	v_mov_b32_e32 v17, 0
	v_lshlrev_b64 v[16:17], 2, v[16:17]
	v_add_co_u32_e32 v16, vcc, v13, v16
	v_addc_co_u32_e32 v17, vcc, v14, v17, vcc
	global_store_dword v[16:17], v75, off
	s_or_b64 exec, exec, s[38:39]
	s_and_saveexec_b64 s[38:39], s[22:23]
	s_cbranch_execz .LBB383_292
.LBB383_351:
	v_sub_u32_e32 v16, v72, v9
	v_mov_b32_e32 v17, 0
	v_lshlrev_b64 v[16:17], 2, v[16:17]
	v_add_co_u32_e32 v16, vcc, v13, v16
	v_addc_co_u32_e32 v17, vcc, v14, v17, vcc
	global_store_dword v[16:17], v73, off
	s_or_b64 exec, exec, s[38:39]
	s_and_saveexec_b64 s[38:39], s[20:21]
	s_cbranch_execz .LBB383_293
.LBB383_352:
	v_sub_u32_e32 v16, v70, v9
	v_mov_b32_e32 v17, 0
	v_lshlrev_b64 v[16:17], 2, v[16:17]
	v_add_co_u32_e32 v16, vcc, v13, v16
	v_addc_co_u32_e32 v17, vcc, v14, v17, vcc
	global_store_dword v[16:17], v71, off
	s_or_b64 exec, exec, s[38:39]
	s_and_saveexec_b64 s[38:39], s[18:19]
	s_cbranch_execz .LBB383_294
.LBB383_353:
	v_sub_u32_e32 v16, v68, v9
	v_mov_b32_e32 v17, 0
	v_lshlrev_b64 v[16:17], 2, v[16:17]
	v_add_co_u32_e32 v16, vcc, v13, v16
	v_addc_co_u32_e32 v17, vcc, v14, v17, vcc
	global_store_dword v[16:17], v69, off
	s_or_b64 exec, exec, s[38:39]
	s_and_saveexec_b64 s[38:39], s[16:17]
	s_cbranch_execz .LBB383_295
.LBB383_354:
	v_sub_u32_e32 v16, v66, v9
	v_mov_b32_e32 v17, 0
	v_lshlrev_b64 v[16:17], 2, v[16:17]
	v_add_co_u32_e32 v16, vcc, v13, v16
	v_addc_co_u32_e32 v17, vcc, v14, v17, vcc
	global_store_dword v[16:17], v67, off
	s_or_b64 exec, exec, s[38:39]
	s_and_saveexec_b64 s[38:39], s[14:15]
	s_cbranch_execz .LBB383_296
.LBB383_355:
	v_sub_u32_e32 v16, v64, v9
	v_mov_b32_e32 v17, 0
	v_lshlrev_b64 v[16:17], 2, v[16:17]
	v_add_co_u32_e32 v16, vcc, v13, v16
	v_addc_co_u32_e32 v17, vcc, v14, v17, vcc
	global_store_dword v[16:17], v65, off
	s_or_b64 exec, exec, s[38:39]
	s_and_saveexec_b64 s[38:39], s[12:13]
	s_cbranch_execz .LBB383_297
.LBB383_356:
	v_sub_u32_e32 v16, v62, v9
	v_mov_b32_e32 v17, 0
	v_lshlrev_b64 v[16:17], 2, v[16:17]
	v_add_co_u32_e32 v16, vcc, v13, v16
	v_addc_co_u32_e32 v17, vcc, v14, v17, vcc
	global_store_dword v[16:17], v63, off
	s_or_b64 exec, exec, s[38:39]
	s_and_saveexec_b64 s[38:39], s[10:11]
	s_cbranch_execz .LBB383_298
.LBB383_357:
	v_sub_u32_e32 v16, v60, v9
	v_mov_b32_e32 v17, 0
	v_lshlrev_b64 v[16:17], 2, v[16:17]
	v_add_co_u32_e32 v16, vcc, v13, v16
	v_addc_co_u32_e32 v17, vcc, v14, v17, vcc
	global_store_dword v[16:17], v61, off
	s_or_b64 exec, exec, s[38:39]
	s_and_saveexec_b64 s[38:39], s[8:9]
	s_cbranch_execz .LBB383_299
.LBB383_358:
	v_sub_u32_e32 v16, v58, v9
	v_mov_b32_e32 v17, 0
	v_lshlrev_b64 v[16:17], 2, v[16:17]
	v_add_co_u32_e32 v16, vcc, v13, v16
	v_addc_co_u32_e32 v17, vcc, v14, v17, vcc
	global_store_dword v[16:17], v59, off
	s_or_b64 exec, exec, s[38:39]
	s_and_saveexec_b64 s[38:39], s[6:7]
	s_cbranch_execz .LBB383_300
.LBB383_359:
	v_sub_u32_e32 v16, v56, v9
	v_mov_b32_e32 v17, 0
	v_lshlrev_b64 v[16:17], 2, v[16:17]
	v_add_co_u32_e32 v16, vcc, v13, v16
	v_addc_co_u32_e32 v17, vcc, v14, v17, vcc
	global_store_dword v[16:17], v57, off
	s_or_b64 exec, exec, s[38:39]
	s_and_saveexec_b64 s[38:39], s[4:5]
	s_cbranch_execz .LBB383_301
.LBB383_360:
	v_sub_u32_e32 v16, v54, v9
	v_mov_b32_e32 v17, 0
	v_lshlrev_b64 v[16:17], 2, v[16:17]
	v_add_co_u32_e32 v16, vcc, v13, v16
	v_addc_co_u32_e32 v17, vcc, v14, v17, vcc
	global_store_dword v[16:17], v55, off
	s_or_b64 exec, exec, s[38:39]
	s_and_saveexec_b64 s[38:39], s[2:3]
	s_cbranch_execnz .LBB383_302
	s_branch .LBB383_303
.LBB383_361:
	v_sub_u32_e32 v10, v78, v9
	v_lshlrev_b32_e32 v10, 2, v10
	ds_write_b32 v10, v79
	s_or_b64 exec, exec, s[38:39]
	s_and_saveexec_b64 s[28:29], s[26:27]
	s_cbranch_execz .LBB383_307
.LBB383_362:
	v_sub_u32_e32 v10, v76, v9
	v_lshlrev_b32_e32 v10, 2, v10
	ds_write_b32 v10, v77
	s_or_b64 exec, exec, s[28:29]
	s_and_saveexec_b64 s[26:27], s[24:25]
	s_cbranch_execz .LBB383_308
.LBB383_363:
	v_sub_u32_e32 v10, v74, v9
	v_lshlrev_b32_e32 v10, 2, v10
	ds_write_b32 v10, v75
	s_or_b64 exec, exec, s[26:27]
	s_and_saveexec_b64 s[24:25], s[22:23]
	s_cbranch_execz .LBB383_309
.LBB383_364:
	v_sub_u32_e32 v10, v72, v9
	v_lshlrev_b32_e32 v10, 2, v10
	ds_write_b32 v10, v73
	s_or_b64 exec, exec, s[24:25]
	s_and_saveexec_b64 s[22:23], s[20:21]
	s_cbranch_execz .LBB383_310
.LBB383_365:
	v_sub_u32_e32 v10, v70, v9
	v_lshlrev_b32_e32 v10, 2, v10
	ds_write_b32 v10, v71
	s_or_b64 exec, exec, s[22:23]
	s_and_saveexec_b64 s[20:21], s[18:19]
	s_cbranch_execz .LBB383_311
.LBB383_366:
	v_sub_u32_e32 v10, v68, v9
	v_lshlrev_b32_e32 v10, 2, v10
	ds_write_b32 v10, v69
	s_or_b64 exec, exec, s[20:21]
	s_and_saveexec_b64 s[18:19], s[16:17]
	s_cbranch_execz .LBB383_312
.LBB383_367:
	v_sub_u32_e32 v10, v66, v9
	v_lshlrev_b32_e32 v10, 2, v10
	ds_write_b32 v10, v67
	s_or_b64 exec, exec, s[18:19]
	s_and_saveexec_b64 s[16:17], s[14:15]
	s_cbranch_execz .LBB383_313
.LBB383_368:
	v_sub_u32_e32 v10, v64, v9
	v_lshlrev_b32_e32 v10, 2, v10
	ds_write_b32 v10, v65
	s_or_b64 exec, exec, s[16:17]
	s_and_saveexec_b64 s[14:15], s[12:13]
	s_cbranch_execz .LBB383_314
.LBB383_369:
	v_sub_u32_e32 v10, v62, v9
	v_lshlrev_b32_e32 v10, 2, v10
	ds_write_b32 v10, v63
	s_or_b64 exec, exec, s[14:15]
	s_and_saveexec_b64 s[12:13], s[10:11]
	s_cbranch_execz .LBB383_315
.LBB383_370:
	v_sub_u32_e32 v10, v60, v9
	v_lshlrev_b32_e32 v10, 2, v10
	ds_write_b32 v10, v61
	s_or_b64 exec, exec, s[12:13]
	s_and_saveexec_b64 s[10:11], s[8:9]
	s_cbranch_execz .LBB383_316
.LBB383_371:
	v_sub_u32_e32 v10, v58, v9
	v_lshlrev_b32_e32 v10, 2, v10
	ds_write_b32 v10, v59
	s_or_b64 exec, exec, s[10:11]
	s_and_saveexec_b64 s[8:9], s[6:7]
	s_cbranch_execz .LBB383_317
.LBB383_372:
	v_sub_u32_e32 v10, v56, v9
	v_lshlrev_b32_e32 v10, 2, v10
	ds_write_b32 v10, v57
	s_or_b64 exec, exec, s[8:9]
	s_and_saveexec_b64 s[6:7], s[4:5]
	s_cbranch_execz .LBB383_318
.LBB383_373:
	v_sub_u32_e32 v10, v54, v9
	v_lshlrev_b32_e32 v10, 2, v10
	ds_write_b32 v10, v55
	s_or_b64 exec, exec, s[6:7]
	s_and_saveexec_b64 s[4:5], s[2:3]
	s_cbranch_execnz .LBB383_319
	s_branch .LBB383_320
	.section	.rodata,"a",@progbits
	.p2align	6, 0x0
	.amdhsa_kernel _ZN7rocprim17ROCPRIM_400000_NS6detail17trampoline_kernelINS0_14default_configENS1_29reduce_by_key_config_selectorIjjN6thrust23THRUST_200600_302600_NS4plusIjEEEEZZNS1_33reduce_by_key_impl_wrapped_configILNS1_25lookback_scan_determinismE0ES3_S9_NS6_6detail15normal_iteratorINS6_10device_ptrIjEEEESG_SG_SG_PmS8_22is_equal_div_10_reduceIjEEE10hipError_tPvRmT2_T3_mT4_T5_T6_T7_T8_P12ihipStream_tbENKUlT_T0_E_clISt17integral_constantIbLb0EES10_IbLb1EEEEDaSW_SX_EUlSW_E_NS1_11comp_targetILNS1_3genE4ELNS1_11target_archE910ELNS1_3gpuE8ELNS1_3repE0EEENS1_30default_config_static_selectorELNS0_4arch9wavefront6targetE1EEEvT1_
		.amdhsa_group_segment_fixed_size 15360
		.amdhsa_private_segment_fixed_size 0
		.amdhsa_kernarg_size 120
		.amdhsa_user_sgpr_count 6
		.amdhsa_user_sgpr_private_segment_buffer 1
		.amdhsa_user_sgpr_dispatch_ptr 0
		.amdhsa_user_sgpr_queue_ptr 0
		.amdhsa_user_sgpr_kernarg_segment_ptr 1
		.amdhsa_user_sgpr_dispatch_id 0
		.amdhsa_user_sgpr_flat_scratch_init 0
		.amdhsa_user_sgpr_kernarg_preload_length 0
		.amdhsa_user_sgpr_kernarg_preload_offset 0
		.amdhsa_user_sgpr_private_segment_size 0
		.amdhsa_uses_dynamic_stack 0
		.amdhsa_system_sgpr_private_segment_wavefront_offset 0
		.amdhsa_system_sgpr_workgroup_id_x 1
		.amdhsa_system_sgpr_workgroup_id_y 0
		.amdhsa_system_sgpr_workgroup_id_z 0
		.amdhsa_system_sgpr_workgroup_info 0
		.amdhsa_system_vgpr_workitem_id 0
		.amdhsa_next_free_vgpr 106
		.amdhsa_next_free_sgpr 66
		.amdhsa_accum_offset 108
		.amdhsa_reserve_vcc 1
		.amdhsa_reserve_flat_scratch 0
		.amdhsa_float_round_mode_32 0
		.amdhsa_float_round_mode_16_64 0
		.amdhsa_float_denorm_mode_32 3
		.amdhsa_float_denorm_mode_16_64 3
		.amdhsa_dx10_clamp 1
		.amdhsa_ieee_mode 1
		.amdhsa_fp16_overflow 0
		.amdhsa_tg_split 0
		.amdhsa_exception_fp_ieee_invalid_op 0
		.amdhsa_exception_fp_denorm_src 0
		.amdhsa_exception_fp_ieee_div_zero 0
		.amdhsa_exception_fp_ieee_overflow 0
		.amdhsa_exception_fp_ieee_underflow 0
		.amdhsa_exception_fp_ieee_inexact 0
		.amdhsa_exception_int_div_zero 0
	.end_amdhsa_kernel
	.section	.text._ZN7rocprim17ROCPRIM_400000_NS6detail17trampoline_kernelINS0_14default_configENS1_29reduce_by_key_config_selectorIjjN6thrust23THRUST_200600_302600_NS4plusIjEEEEZZNS1_33reduce_by_key_impl_wrapped_configILNS1_25lookback_scan_determinismE0ES3_S9_NS6_6detail15normal_iteratorINS6_10device_ptrIjEEEESG_SG_SG_PmS8_22is_equal_div_10_reduceIjEEE10hipError_tPvRmT2_T3_mT4_T5_T6_T7_T8_P12ihipStream_tbENKUlT_T0_E_clISt17integral_constantIbLb0EES10_IbLb1EEEEDaSW_SX_EUlSW_E_NS1_11comp_targetILNS1_3genE4ELNS1_11target_archE910ELNS1_3gpuE8ELNS1_3repE0EEENS1_30default_config_static_selectorELNS0_4arch9wavefront6targetE1EEEvT1_,"axG",@progbits,_ZN7rocprim17ROCPRIM_400000_NS6detail17trampoline_kernelINS0_14default_configENS1_29reduce_by_key_config_selectorIjjN6thrust23THRUST_200600_302600_NS4plusIjEEEEZZNS1_33reduce_by_key_impl_wrapped_configILNS1_25lookback_scan_determinismE0ES3_S9_NS6_6detail15normal_iteratorINS6_10device_ptrIjEEEESG_SG_SG_PmS8_22is_equal_div_10_reduceIjEEE10hipError_tPvRmT2_T3_mT4_T5_T6_T7_T8_P12ihipStream_tbENKUlT_T0_E_clISt17integral_constantIbLb0EES10_IbLb1EEEEDaSW_SX_EUlSW_E_NS1_11comp_targetILNS1_3genE4ELNS1_11target_archE910ELNS1_3gpuE8ELNS1_3repE0EEENS1_30default_config_static_selectorELNS0_4arch9wavefront6targetE1EEEvT1_,comdat
.Lfunc_end383:
	.size	_ZN7rocprim17ROCPRIM_400000_NS6detail17trampoline_kernelINS0_14default_configENS1_29reduce_by_key_config_selectorIjjN6thrust23THRUST_200600_302600_NS4plusIjEEEEZZNS1_33reduce_by_key_impl_wrapped_configILNS1_25lookback_scan_determinismE0ES3_S9_NS6_6detail15normal_iteratorINS6_10device_ptrIjEEEESG_SG_SG_PmS8_22is_equal_div_10_reduceIjEEE10hipError_tPvRmT2_T3_mT4_T5_T6_T7_T8_P12ihipStream_tbENKUlT_T0_E_clISt17integral_constantIbLb0EES10_IbLb1EEEEDaSW_SX_EUlSW_E_NS1_11comp_targetILNS1_3genE4ELNS1_11target_archE910ELNS1_3gpuE8ELNS1_3repE0EEENS1_30default_config_static_selectorELNS0_4arch9wavefront6targetE1EEEvT1_, .Lfunc_end383-_ZN7rocprim17ROCPRIM_400000_NS6detail17trampoline_kernelINS0_14default_configENS1_29reduce_by_key_config_selectorIjjN6thrust23THRUST_200600_302600_NS4plusIjEEEEZZNS1_33reduce_by_key_impl_wrapped_configILNS1_25lookback_scan_determinismE0ES3_S9_NS6_6detail15normal_iteratorINS6_10device_ptrIjEEEESG_SG_SG_PmS8_22is_equal_div_10_reduceIjEEE10hipError_tPvRmT2_T3_mT4_T5_T6_T7_T8_P12ihipStream_tbENKUlT_T0_E_clISt17integral_constantIbLb0EES10_IbLb1EEEEDaSW_SX_EUlSW_E_NS1_11comp_targetILNS1_3genE4ELNS1_11target_archE910ELNS1_3gpuE8ELNS1_3repE0EEENS1_30default_config_static_selectorELNS0_4arch9wavefront6targetE1EEEvT1_
                                        ; -- End function
	.section	.AMDGPU.csdata,"",@progbits
; Kernel info:
; codeLenInByte = 19328
; NumSgprs: 70
; NumVgprs: 106
; NumAgprs: 0
; TotalNumVgprs: 106
; ScratchSize: 0
; MemoryBound: 0
; FloatMode: 240
; IeeeMode: 1
; LDSByteSize: 15360 bytes/workgroup (compile time only)
; SGPRBlocks: 8
; VGPRBlocks: 13
; NumSGPRsForWavesPerEU: 70
; NumVGPRsForWavesPerEU: 106
; AccumOffset: 108
; Occupancy: 4
; WaveLimiterHint : 1
; COMPUTE_PGM_RSRC2:SCRATCH_EN: 0
; COMPUTE_PGM_RSRC2:USER_SGPR: 6
; COMPUTE_PGM_RSRC2:TRAP_HANDLER: 0
; COMPUTE_PGM_RSRC2:TGID_X_EN: 1
; COMPUTE_PGM_RSRC2:TGID_Y_EN: 0
; COMPUTE_PGM_RSRC2:TGID_Z_EN: 0
; COMPUTE_PGM_RSRC2:TIDIG_COMP_CNT: 0
; COMPUTE_PGM_RSRC3_GFX90A:ACCUM_OFFSET: 26
; COMPUTE_PGM_RSRC3_GFX90A:TG_SPLIT: 0
	.section	.text._ZN7rocprim17ROCPRIM_400000_NS6detail17trampoline_kernelINS0_14default_configENS1_29reduce_by_key_config_selectorIjjN6thrust23THRUST_200600_302600_NS4plusIjEEEEZZNS1_33reduce_by_key_impl_wrapped_configILNS1_25lookback_scan_determinismE0ES3_S9_NS6_6detail15normal_iteratorINS6_10device_ptrIjEEEESG_SG_SG_PmS8_22is_equal_div_10_reduceIjEEE10hipError_tPvRmT2_T3_mT4_T5_T6_T7_T8_P12ihipStream_tbENKUlT_T0_E_clISt17integral_constantIbLb0EES10_IbLb1EEEEDaSW_SX_EUlSW_E_NS1_11comp_targetILNS1_3genE3ELNS1_11target_archE908ELNS1_3gpuE7ELNS1_3repE0EEENS1_30default_config_static_selectorELNS0_4arch9wavefront6targetE1EEEvT1_,"axG",@progbits,_ZN7rocprim17ROCPRIM_400000_NS6detail17trampoline_kernelINS0_14default_configENS1_29reduce_by_key_config_selectorIjjN6thrust23THRUST_200600_302600_NS4plusIjEEEEZZNS1_33reduce_by_key_impl_wrapped_configILNS1_25lookback_scan_determinismE0ES3_S9_NS6_6detail15normal_iteratorINS6_10device_ptrIjEEEESG_SG_SG_PmS8_22is_equal_div_10_reduceIjEEE10hipError_tPvRmT2_T3_mT4_T5_T6_T7_T8_P12ihipStream_tbENKUlT_T0_E_clISt17integral_constantIbLb0EES10_IbLb1EEEEDaSW_SX_EUlSW_E_NS1_11comp_targetILNS1_3genE3ELNS1_11target_archE908ELNS1_3gpuE7ELNS1_3repE0EEENS1_30default_config_static_selectorELNS0_4arch9wavefront6targetE1EEEvT1_,comdat
	.protected	_ZN7rocprim17ROCPRIM_400000_NS6detail17trampoline_kernelINS0_14default_configENS1_29reduce_by_key_config_selectorIjjN6thrust23THRUST_200600_302600_NS4plusIjEEEEZZNS1_33reduce_by_key_impl_wrapped_configILNS1_25lookback_scan_determinismE0ES3_S9_NS6_6detail15normal_iteratorINS6_10device_ptrIjEEEESG_SG_SG_PmS8_22is_equal_div_10_reduceIjEEE10hipError_tPvRmT2_T3_mT4_T5_T6_T7_T8_P12ihipStream_tbENKUlT_T0_E_clISt17integral_constantIbLb0EES10_IbLb1EEEEDaSW_SX_EUlSW_E_NS1_11comp_targetILNS1_3genE3ELNS1_11target_archE908ELNS1_3gpuE7ELNS1_3repE0EEENS1_30default_config_static_selectorELNS0_4arch9wavefront6targetE1EEEvT1_ ; -- Begin function _ZN7rocprim17ROCPRIM_400000_NS6detail17trampoline_kernelINS0_14default_configENS1_29reduce_by_key_config_selectorIjjN6thrust23THRUST_200600_302600_NS4plusIjEEEEZZNS1_33reduce_by_key_impl_wrapped_configILNS1_25lookback_scan_determinismE0ES3_S9_NS6_6detail15normal_iteratorINS6_10device_ptrIjEEEESG_SG_SG_PmS8_22is_equal_div_10_reduceIjEEE10hipError_tPvRmT2_T3_mT4_T5_T6_T7_T8_P12ihipStream_tbENKUlT_T0_E_clISt17integral_constantIbLb0EES10_IbLb1EEEEDaSW_SX_EUlSW_E_NS1_11comp_targetILNS1_3genE3ELNS1_11target_archE908ELNS1_3gpuE7ELNS1_3repE0EEENS1_30default_config_static_selectorELNS0_4arch9wavefront6targetE1EEEvT1_
	.globl	_ZN7rocprim17ROCPRIM_400000_NS6detail17trampoline_kernelINS0_14default_configENS1_29reduce_by_key_config_selectorIjjN6thrust23THRUST_200600_302600_NS4plusIjEEEEZZNS1_33reduce_by_key_impl_wrapped_configILNS1_25lookback_scan_determinismE0ES3_S9_NS6_6detail15normal_iteratorINS6_10device_ptrIjEEEESG_SG_SG_PmS8_22is_equal_div_10_reduceIjEEE10hipError_tPvRmT2_T3_mT4_T5_T6_T7_T8_P12ihipStream_tbENKUlT_T0_E_clISt17integral_constantIbLb0EES10_IbLb1EEEEDaSW_SX_EUlSW_E_NS1_11comp_targetILNS1_3genE3ELNS1_11target_archE908ELNS1_3gpuE7ELNS1_3repE0EEENS1_30default_config_static_selectorELNS0_4arch9wavefront6targetE1EEEvT1_
	.p2align	8
	.type	_ZN7rocprim17ROCPRIM_400000_NS6detail17trampoline_kernelINS0_14default_configENS1_29reduce_by_key_config_selectorIjjN6thrust23THRUST_200600_302600_NS4plusIjEEEEZZNS1_33reduce_by_key_impl_wrapped_configILNS1_25lookback_scan_determinismE0ES3_S9_NS6_6detail15normal_iteratorINS6_10device_ptrIjEEEESG_SG_SG_PmS8_22is_equal_div_10_reduceIjEEE10hipError_tPvRmT2_T3_mT4_T5_T6_T7_T8_P12ihipStream_tbENKUlT_T0_E_clISt17integral_constantIbLb0EES10_IbLb1EEEEDaSW_SX_EUlSW_E_NS1_11comp_targetILNS1_3genE3ELNS1_11target_archE908ELNS1_3gpuE7ELNS1_3repE0EEENS1_30default_config_static_selectorELNS0_4arch9wavefront6targetE1EEEvT1_,@function
_ZN7rocprim17ROCPRIM_400000_NS6detail17trampoline_kernelINS0_14default_configENS1_29reduce_by_key_config_selectorIjjN6thrust23THRUST_200600_302600_NS4plusIjEEEEZZNS1_33reduce_by_key_impl_wrapped_configILNS1_25lookback_scan_determinismE0ES3_S9_NS6_6detail15normal_iteratorINS6_10device_ptrIjEEEESG_SG_SG_PmS8_22is_equal_div_10_reduceIjEEE10hipError_tPvRmT2_T3_mT4_T5_T6_T7_T8_P12ihipStream_tbENKUlT_T0_E_clISt17integral_constantIbLb0EES10_IbLb1EEEEDaSW_SX_EUlSW_E_NS1_11comp_targetILNS1_3genE3ELNS1_11target_archE908ELNS1_3gpuE7ELNS1_3repE0EEENS1_30default_config_static_selectorELNS0_4arch9wavefront6targetE1EEEvT1_: ; @_ZN7rocprim17ROCPRIM_400000_NS6detail17trampoline_kernelINS0_14default_configENS1_29reduce_by_key_config_selectorIjjN6thrust23THRUST_200600_302600_NS4plusIjEEEEZZNS1_33reduce_by_key_impl_wrapped_configILNS1_25lookback_scan_determinismE0ES3_S9_NS6_6detail15normal_iteratorINS6_10device_ptrIjEEEESG_SG_SG_PmS8_22is_equal_div_10_reduceIjEEE10hipError_tPvRmT2_T3_mT4_T5_T6_T7_T8_P12ihipStream_tbENKUlT_T0_E_clISt17integral_constantIbLb0EES10_IbLb1EEEEDaSW_SX_EUlSW_E_NS1_11comp_targetILNS1_3genE3ELNS1_11target_archE908ELNS1_3gpuE7ELNS1_3repE0EEENS1_30default_config_static_selectorELNS0_4arch9wavefront6targetE1EEEvT1_
; %bb.0:
	.section	.rodata,"a",@progbits
	.p2align	6, 0x0
	.amdhsa_kernel _ZN7rocprim17ROCPRIM_400000_NS6detail17trampoline_kernelINS0_14default_configENS1_29reduce_by_key_config_selectorIjjN6thrust23THRUST_200600_302600_NS4plusIjEEEEZZNS1_33reduce_by_key_impl_wrapped_configILNS1_25lookback_scan_determinismE0ES3_S9_NS6_6detail15normal_iteratorINS6_10device_ptrIjEEEESG_SG_SG_PmS8_22is_equal_div_10_reduceIjEEE10hipError_tPvRmT2_T3_mT4_T5_T6_T7_T8_P12ihipStream_tbENKUlT_T0_E_clISt17integral_constantIbLb0EES10_IbLb1EEEEDaSW_SX_EUlSW_E_NS1_11comp_targetILNS1_3genE3ELNS1_11target_archE908ELNS1_3gpuE7ELNS1_3repE0EEENS1_30default_config_static_selectorELNS0_4arch9wavefront6targetE1EEEvT1_
		.amdhsa_group_segment_fixed_size 0
		.amdhsa_private_segment_fixed_size 0
		.amdhsa_kernarg_size 120
		.amdhsa_user_sgpr_count 6
		.amdhsa_user_sgpr_private_segment_buffer 1
		.amdhsa_user_sgpr_dispatch_ptr 0
		.amdhsa_user_sgpr_queue_ptr 0
		.amdhsa_user_sgpr_kernarg_segment_ptr 1
		.amdhsa_user_sgpr_dispatch_id 0
		.amdhsa_user_sgpr_flat_scratch_init 0
		.amdhsa_user_sgpr_kernarg_preload_length 0
		.amdhsa_user_sgpr_kernarg_preload_offset 0
		.amdhsa_user_sgpr_private_segment_size 0
		.amdhsa_uses_dynamic_stack 0
		.amdhsa_system_sgpr_private_segment_wavefront_offset 0
		.amdhsa_system_sgpr_workgroup_id_x 1
		.amdhsa_system_sgpr_workgroup_id_y 0
		.amdhsa_system_sgpr_workgroup_id_z 0
		.amdhsa_system_sgpr_workgroup_info 0
		.amdhsa_system_vgpr_workitem_id 0
		.amdhsa_next_free_vgpr 1
		.amdhsa_next_free_sgpr 0
		.amdhsa_accum_offset 4
		.amdhsa_reserve_vcc 0
		.amdhsa_reserve_flat_scratch 0
		.amdhsa_float_round_mode_32 0
		.amdhsa_float_round_mode_16_64 0
		.amdhsa_float_denorm_mode_32 3
		.amdhsa_float_denorm_mode_16_64 3
		.amdhsa_dx10_clamp 1
		.amdhsa_ieee_mode 1
		.amdhsa_fp16_overflow 0
		.amdhsa_tg_split 0
		.amdhsa_exception_fp_ieee_invalid_op 0
		.amdhsa_exception_fp_denorm_src 0
		.amdhsa_exception_fp_ieee_div_zero 0
		.amdhsa_exception_fp_ieee_overflow 0
		.amdhsa_exception_fp_ieee_underflow 0
		.amdhsa_exception_fp_ieee_inexact 0
		.amdhsa_exception_int_div_zero 0
	.end_amdhsa_kernel
	.section	.text._ZN7rocprim17ROCPRIM_400000_NS6detail17trampoline_kernelINS0_14default_configENS1_29reduce_by_key_config_selectorIjjN6thrust23THRUST_200600_302600_NS4plusIjEEEEZZNS1_33reduce_by_key_impl_wrapped_configILNS1_25lookback_scan_determinismE0ES3_S9_NS6_6detail15normal_iteratorINS6_10device_ptrIjEEEESG_SG_SG_PmS8_22is_equal_div_10_reduceIjEEE10hipError_tPvRmT2_T3_mT4_T5_T6_T7_T8_P12ihipStream_tbENKUlT_T0_E_clISt17integral_constantIbLb0EES10_IbLb1EEEEDaSW_SX_EUlSW_E_NS1_11comp_targetILNS1_3genE3ELNS1_11target_archE908ELNS1_3gpuE7ELNS1_3repE0EEENS1_30default_config_static_selectorELNS0_4arch9wavefront6targetE1EEEvT1_,"axG",@progbits,_ZN7rocprim17ROCPRIM_400000_NS6detail17trampoline_kernelINS0_14default_configENS1_29reduce_by_key_config_selectorIjjN6thrust23THRUST_200600_302600_NS4plusIjEEEEZZNS1_33reduce_by_key_impl_wrapped_configILNS1_25lookback_scan_determinismE0ES3_S9_NS6_6detail15normal_iteratorINS6_10device_ptrIjEEEESG_SG_SG_PmS8_22is_equal_div_10_reduceIjEEE10hipError_tPvRmT2_T3_mT4_T5_T6_T7_T8_P12ihipStream_tbENKUlT_T0_E_clISt17integral_constantIbLb0EES10_IbLb1EEEEDaSW_SX_EUlSW_E_NS1_11comp_targetILNS1_3genE3ELNS1_11target_archE908ELNS1_3gpuE7ELNS1_3repE0EEENS1_30default_config_static_selectorELNS0_4arch9wavefront6targetE1EEEvT1_,comdat
.Lfunc_end384:
	.size	_ZN7rocprim17ROCPRIM_400000_NS6detail17trampoline_kernelINS0_14default_configENS1_29reduce_by_key_config_selectorIjjN6thrust23THRUST_200600_302600_NS4plusIjEEEEZZNS1_33reduce_by_key_impl_wrapped_configILNS1_25lookback_scan_determinismE0ES3_S9_NS6_6detail15normal_iteratorINS6_10device_ptrIjEEEESG_SG_SG_PmS8_22is_equal_div_10_reduceIjEEE10hipError_tPvRmT2_T3_mT4_T5_T6_T7_T8_P12ihipStream_tbENKUlT_T0_E_clISt17integral_constantIbLb0EES10_IbLb1EEEEDaSW_SX_EUlSW_E_NS1_11comp_targetILNS1_3genE3ELNS1_11target_archE908ELNS1_3gpuE7ELNS1_3repE0EEENS1_30default_config_static_selectorELNS0_4arch9wavefront6targetE1EEEvT1_, .Lfunc_end384-_ZN7rocprim17ROCPRIM_400000_NS6detail17trampoline_kernelINS0_14default_configENS1_29reduce_by_key_config_selectorIjjN6thrust23THRUST_200600_302600_NS4plusIjEEEEZZNS1_33reduce_by_key_impl_wrapped_configILNS1_25lookback_scan_determinismE0ES3_S9_NS6_6detail15normal_iteratorINS6_10device_ptrIjEEEESG_SG_SG_PmS8_22is_equal_div_10_reduceIjEEE10hipError_tPvRmT2_T3_mT4_T5_T6_T7_T8_P12ihipStream_tbENKUlT_T0_E_clISt17integral_constantIbLb0EES10_IbLb1EEEEDaSW_SX_EUlSW_E_NS1_11comp_targetILNS1_3genE3ELNS1_11target_archE908ELNS1_3gpuE7ELNS1_3repE0EEENS1_30default_config_static_selectorELNS0_4arch9wavefront6targetE1EEEvT1_
                                        ; -- End function
	.section	.AMDGPU.csdata,"",@progbits
; Kernel info:
; codeLenInByte = 0
; NumSgprs: 4
; NumVgprs: 0
; NumAgprs: 0
; TotalNumVgprs: 0
; ScratchSize: 0
; MemoryBound: 0
; FloatMode: 240
; IeeeMode: 1
; LDSByteSize: 0 bytes/workgroup (compile time only)
; SGPRBlocks: 0
; VGPRBlocks: 0
; NumSGPRsForWavesPerEU: 4
; NumVGPRsForWavesPerEU: 1
; AccumOffset: 4
; Occupancy: 8
; WaveLimiterHint : 0
; COMPUTE_PGM_RSRC2:SCRATCH_EN: 0
; COMPUTE_PGM_RSRC2:USER_SGPR: 6
; COMPUTE_PGM_RSRC2:TRAP_HANDLER: 0
; COMPUTE_PGM_RSRC2:TGID_X_EN: 1
; COMPUTE_PGM_RSRC2:TGID_Y_EN: 0
; COMPUTE_PGM_RSRC2:TGID_Z_EN: 0
; COMPUTE_PGM_RSRC2:TIDIG_COMP_CNT: 0
; COMPUTE_PGM_RSRC3_GFX90A:ACCUM_OFFSET: 0
; COMPUTE_PGM_RSRC3_GFX90A:TG_SPLIT: 0
	.section	.text._ZN7rocprim17ROCPRIM_400000_NS6detail17trampoline_kernelINS0_14default_configENS1_29reduce_by_key_config_selectorIjjN6thrust23THRUST_200600_302600_NS4plusIjEEEEZZNS1_33reduce_by_key_impl_wrapped_configILNS1_25lookback_scan_determinismE0ES3_S9_NS6_6detail15normal_iteratorINS6_10device_ptrIjEEEESG_SG_SG_PmS8_22is_equal_div_10_reduceIjEEE10hipError_tPvRmT2_T3_mT4_T5_T6_T7_T8_P12ihipStream_tbENKUlT_T0_E_clISt17integral_constantIbLb0EES10_IbLb1EEEEDaSW_SX_EUlSW_E_NS1_11comp_targetILNS1_3genE2ELNS1_11target_archE906ELNS1_3gpuE6ELNS1_3repE0EEENS1_30default_config_static_selectorELNS0_4arch9wavefront6targetE1EEEvT1_,"axG",@progbits,_ZN7rocprim17ROCPRIM_400000_NS6detail17trampoline_kernelINS0_14default_configENS1_29reduce_by_key_config_selectorIjjN6thrust23THRUST_200600_302600_NS4plusIjEEEEZZNS1_33reduce_by_key_impl_wrapped_configILNS1_25lookback_scan_determinismE0ES3_S9_NS6_6detail15normal_iteratorINS6_10device_ptrIjEEEESG_SG_SG_PmS8_22is_equal_div_10_reduceIjEEE10hipError_tPvRmT2_T3_mT4_T5_T6_T7_T8_P12ihipStream_tbENKUlT_T0_E_clISt17integral_constantIbLb0EES10_IbLb1EEEEDaSW_SX_EUlSW_E_NS1_11comp_targetILNS1_3genE2ELNS1_11target_archE906ELNS1_3gpuE6ELNS1_3repE0EEENS1_30default_config_static_selectorELNS0_4arch9wavefront6targetE1EEEvT1_,comdat
	.protected	_ZN7rocprim17ROCPRIM_400000_NS6detail17trampoline_kernelINS0_14default_configENS1_29reduce_by_key_config_selectorIjjN6thrust23THRUST_200600_302600_NS4plusIjEEEEZZNS1_33reduce_by_key_impl_wrapped_configILNS1_25lookback_scan_determinismE0ES3_S9_NS6_6detail15normal_iteratorINS6_10device_ptrIjEEEESG_SG_SG_PmS8_22is_equal_div_10_reduceIjEEE10hipError_tPvRmT2_T3_mT4_T5_T6_T7_T8_P12ihipStream_tbENKUlT_T0_E_clISt17integral_constantIbLb0EES10_IbLb1EEEEDaSW_SX_EUlSW_E_NS1_11comp_targetILNS1_3genE2ELNS1_11target_archE906ELNS1_3gpuE6ELNS1_3repE0EEENS1_30default_config_static_selectorELNS0_4arch9wavefront6targetE1EEEvT1_ ; -- Begin function _ZN7rocprim17ROCPRIM_400000_NS6detail17trampoline_kernelINS0_14default_configENS1_29reduce_by_key_config_selectorIjjN6thrust23THRUST_200600_302600_NS4plusIjEEEEZZNS1_33reduce_by_key_impl_wrapped_configILNS1_25lookback_scan_determinismE0ES3_S9_NS6_6detail15normal_iteratorINS6_10device_ptrIjEEEESG_SG_SG_PmS8_22is_equal_div_10_reduceIjEEE10hipError_tPvRmT2_T3_mT4_T5_T6_T7_T8_P12ihipStream_tbENKUlT_T0_E_clISt17integral_constantIbLb0EES10_IbLb1EEEEDaSW_SX_EUlSW_E_NS1_11comp_targetILNS1_3genE2ELNS1_11target_archE906ELNS1_3gpuE6ELNS1_3repE0EEENS1_30default_config_static_selectorELNS0_4arch9wavefront6targetE1EEEvT1_
	.globl	_ZN7rocprim17ROCPRIM_400000_NS6detail17trampoline_kernelINS0_14default_configENS1_29reduce_by_key_config_selectorIjjN6thrust23THRUST_200600_302600_NS4plusIjEEEEZZNS1_33reduce_by_key_impl_wrapped_configILNS1_25lookback_scan_determinismE0ES3_S9_NS6_6detail15normal_iteratorINS6_10device_ptrIjEEEESG_SG_SG_PmS8_22is_equal_div_10_reduceIjEEE10hipError_tPvRmT2_T3_mT4_T5_T6_T7_T8_P12ihipStream_tbENKUlT_T0_E_clISt17integral_constantIbLb0EES10_IbLb1EEEEDaSW_SX_EUlSW_E_NS1_11comp_targetILNS1_3genE2ELNS1_11target_archE906ELNS1_3gpuE6ELNS1_3repE0EEENS1_30default_config_static_selectorELNS0_4arch9wavefront6targetE1EEEvT1_
	.p2align	8
	.type	_ZN7rocprim17ROCPRIM_400000_NS6detail17trampoline_kernelINS0_14default_configENS1_29reduce_by_key_config_selectorIjjN6thrust23THRUST_200600_302600_NS4plusIjEEEEZZNS1_33reduce_by_key_impl_wrapped_configILNS1_25lookback_scan_determinismE0ES3_S9_NS6_6detail15normal_iteratorINS6_10device_ptrIjEEEESG_SG_SG_PmS8_22is_equal_div_10_reduceIjEEE10hipError_tPvRmT2_T3_mT4_T5_T6_T7_T8_P12ihipStream_tbENKUlT_T0_E_clISt17integral_constantIbLb0EES10_IbLb1EEEEDaSW_SX_EUlSW_E_NS1_11comp_targetILNS1_3genE2ELNS1_11target_archE906ELNS1_3gpuE6ELNS1_3repE0EEENS1_30default_config_static_selectorELNS0_4arch9wavefront6targetE1EEEvT1_,@function
_ZN7rocprim17ROCPRIM_400000_NS6detail17trampoline_kernelINS0_14default_configENS1_29reduce_by_key_config_selectorIjjN6thrust23THRUST_200600_302600_NS4plusIjEEEEZZNS1_33reduce_by_key_impl_wrapped_configILNS1_25lookback_scan_determinismE0ES3_S9_NS6_6detail15normal_iteratorINS6_10device_ptrIjEEEESG_SG_SG_PmS8_22is_equal_div_10_reduceIjEEE10hipError_tPvRmT2_T3_mT4_T5_T6_T7_T8_P12ihipStream_tbENKUlT_T0_E_clISt17integral_constantIbLb0EES10_IbLb1EEEEDaSW_SX_EUlSW_E_NS1_11comp_targetILNS1_3genE2ELNS1_11target_archE906ELNS1_3gpuE6ELNS1_3repE0EEENS1_30default_config_static_selectorELNS0_4arch9wavefront6targetE1EEEvT1_: ; @_ZN7rocprim17ROCPRIM_400000_NS6detail17trampoline_kernelINS0_14default_configENS1_29reduce_by_key_config_selectorIjjN6thrust23THRUST_200600_302600_NS4plusIjEEEEZZNS1_33reduce_by_key_impl_wrapped_configILNS1_25lookback_scan_determinismE0ES3_S9_NS6_6detail15normal_iteratorINS6_10device_ptrIjEEEESG_SG_SG_PmS8_22is_equal_div_10_reduceIjEEE10hipError_tPvRmT2_T3_mT4_T5_T6_T7_T8_P12ihipStream_tbENKUlT_T0_E_clISt17integral_constantIbLb0EES10_IbLb1EEEEDaSW_SX_EUlSW_E_NS1_11comp_targetILNS1_3genE2ELNS1_11target_archE906ELNS1_3gpuE6ELNS1_3repE0EEENS1_30default_config_static_selectorELNS0_4arch9wavefront6targetE1EEEvT1_
; %bb.0:
	.section	.rodata,"a",@progbits
	.p2align	6, 0x0
	.amdhsa_kernel _ZN7rocprim17ROCPRIM_400000_NS6detail17trampoline_kernelINS0_14default_configENS1_29reduce_by_key_config_selectorIjjN6thrust23THRUST_200600_302600_NS4plusIjEEEEZZNS1_33reduce_by_key_impl_wrapped_configILNS1_25lookback_scan_determinismE0ES3_S9_NS6_6detail15normal_iteratorINS6_10device_ptrIjEEEESG_SG_SG_PmS8_22is_equal_div_10_reduceIjEEE10hipError_tPvRmT2_T3_mT4_T5_T6_T7_T8_P12ihipStream_tbENKUlT_T0_E_clISt17integral_constantIbLb0EES10_IbLb1EEEEDaSW_SX_EUlSW_E_NS1_11comp_targetILNS1_3genE2ELNS1_11target_archE906ELNS1_3gpuE6ELNS1_3repE0EEENS1_30default_config_static_selectorELNS0_4arch9wavefront6targetE1EEEvT1_
		.amdhsa_group_segment_fixed_size 0
		.amdhsa_private_segment_fixed_size 0
		.amdhsa_kernarg_size 120
		.amdhsa_user_sgpr_count 6
		.amdhsa_user_sgpr_private_segment_buffer 1
		.amdhsa_user_sgpr_dispatch_ptr 0
		.amdhsa_user_sgpr_queue_ptr 0
		.amdhsa_user_sgpr_kernarg_segment_ptr 1
		.amdhsa_user_sgpr_dispatch_id 0
		.amdhsa_user_sgpr_flat_scratch_init 0
		.amdhsa_user_sgpr_kernarg_preload_length 0
		.amdhsa_user_sgpr_kernarg_preload_offset 0
		.amdhsa_user_sgpr_private_segment_size 0
		.amdhsa_uses_dynamic_stack 0
		.amdhsa_system_sgpr_private_segment_wavefront_offset 0
		.amdhsa_system_sgpr_workgroup_id_x 1
		.amdhsa_system_sgpr_workgroup_id_y 0
		.amdhsa_system_sgpr_workgroup_id_z 0
		.amdhsa_system_sgpr_workgroup_info 0
		.amdhsa_system_vgpr_workitem_id 0
		.amdhsa_next_free_vgpr 1
		.amdhsa_next_free_sgpr 0
		.amdhsa_accum_offset 4
		.amdhsa_reserve_vcc 0
		.amdhsa_reserve_flat_scratch 0
		.amdhsa_float_round_mode_32 0
		.amdhsa_float_round_mode_16_64 0
		.amdhsa_float_denorm_mode_32 3
		.amdhsa_float_denorm_mode_16_64 3
		.amdhsa_dx10_clamp 1
		.amdhsa_ieee_mode 1
		.amdhsa_fp16_overflow 0
		.amdhsa_tg_split 0
		.amdhsa_exception_fp_ieee_invalid_op 0
		.amdhsa_exception_fp_denorm_src 0
		.amdhsa_exception_fp_ieee_div_zero 0
		.amdhsa_exception_fp_ieee_overflow 0
		.amdhsa_exception_fp_ieee_underflow 0
		.amdhsa_exception_fp_ieee_inexact 0
		.amdhsa_exception_int_div_zero 0
	.end_amdhsa_kernel
	.section	.text._ZN7rocprim17ROCPRIM_400000_NS6detail17trampoline_kernelINS0_14default_configENS1_29reduce_by_key_config_selectorIjjN6thrust23THRUST_200600_302600_NS4plusIjEEEEZZNS1_33reduce_by_key_impl_wrapped_configILNS1_25lookback_scan_determinismE0ES3_S9_NS6_6detail15normal_iteratorINS6_10device_ptrIjEEEESG_SG_SG_PmS8_22is_equal_div_10_reduceIjEEE10hipError_tPvRmT2_T3_mT4_T5_T6_T7_T8_P12ihipStream_tbENKUlT_T0_E_clISt17integral_constantIbLb0EES10_IbLb1EEEEDaSW_SX_EUlSW_E_NS1_11comp_targetILNS1_3genE2ELNS1_11target_archE906ELNS1_3gpuE6ELNS1_3repE0EEENS1_30default_config_static_selectorELNS0_4arch9wavefront6targetE1EEEvT1_,"axG",@progbits,_ZN7rocprim17ROCPRIM_400000_NS6detail17trampoline_kernelINS0_14default_configENS1_29reduce_by_key_config_selectorIjjN6thrust23THRUST_200600_302600_NS4plusIjEEEEZZNS1_33reduce_by_key_impl_wrapped_configILNS1_25lookback_scan_determinismE0ES3_S9_NS6_6detail15normal_iteratorINS6_10device_ptrIjEEEESG_SG_SG_PmS8_22is_equal_div_10_reduceIjEEE10hipError_tPvRmT2_T3_mT4_T5_T6_T7_T8_P12ihipStream_tbENKUlT_T0_E_clISt17integral_constantIbLb0EES10_IbLb1EEEEDaSW_SX_EUlSW_E_NS1_11comp_targetILNS1_3genE2ELNS1_11target_archE906ELNS1_3gpuE6ELNS1_3repE0EEENS1_30default_config_static_selectorELNS0_4arch9wavefront6targetE1EEEvT1_,comdat
.Lfunc_end385:
	.size	_ZN7rocprim17ROCPRIM_400000_NS6detail17trampoline_kernelINS0_14default_configENS1_29reduce_by_key_config_selectorIjjN6thrust23THRUST_200600_302600_NS4plusIjEEEEZZNS1_33reduce_by_key_impl_wrapped_configILNS1_25lookback_scan_determinismE0ES3_S9_NS6_6detail15normal_iteratorINS6_10device_ptrIjEEEESG_SG_SG_PmS8_22is_equal_div_10_reduceIjEEE10hipError_tPvRmT2_T3_mT4_T5_T6_T7_T8_P12ihipStream_tbENKUlT_T0_E_clISt17integral_constantIbLb0EES10_IbLb1EEEEDaSW_SX_EUlSW_E_NS1_11comp_targetILNS1_3genE2ELNS1_11target_archE906ELNS1_3gpuE6ELNS1_3repE0EEENS1_30default_config_static_selectorELNS0_4arch9wavefront6targetE1EEEvT1_, .Lfunc_end385-_ZN7rocprim17ROCPRIM_400000_NS6detail17trampoline_kernelINS0_14default_configENS1_29reduce_by_key_config_selectorIjjN6thrust23THRUST_200600_302600_NS4plusIjEEEEZZNS1_33reduce_by_key_impl_wrapped_configILNS1_25lookback_scan_determinismE0ES3_S9_NS6_6detail15normal_iteratorINS6_10device_ptrIjEEEESG_SG_SG_PmS8_22is_equal_div_10_reduceIjEEE10hipError_tPvRmT2_T3_mT4_T5_T6_T7_T8_P12ihipStream_tbENKUlT_T0_E_clISt17integral_constantIbLb0EES10_IbLb1EEEEDaSW_SX_EUlSW_E_NS1_11comp_targetILNS1_3genE2ELNS1_11target_archE906ELNS1_3gpuE6ELNS1_3repE0EEENS1_30default_config_static_selectorELNS0_4arch9wavefront6targetE1EEEvT1_
                                        ; -- End function
	.section	.AMDGPU.csdata,"",@progbits
; Kernel info:
; codeLenInByte = 0
; NumSgprs: 4
; NumVgprs: 0
; NumAgprs: 0
; TotalNumVgprs: 0
; ScratchSize: 0
; MemoryBound: 0
; FloatMode: 240
; IeeeMode: 1
; LDSByteSize: 0 bytes/workgroup (compile time only)
; SGPRBlocks: 0
; VGPRBlocks: 0
; NumSGPRsForWavesPerEU: 4
; NumVGPRsForWavesPerEU: 1
; AccumOffset: 4
; Occupancy: 8
; WaveLimiterHint : 0
; COMPUTE_PGM_RSRC2:SCRATCH_EN: 0
; COMPUTE_PGM_RSRC2:USER_SGPR: 6
; COMPUTE_PGM_RSRC2:TRAP_HANDLER: 0
; COMPUTE_PGM_RSRC2:TGID_X_EN: 1
; COMPUTE_PGM_RSRC2:TGID_Y_EN: 0
; COMPUTE_PGM_RSRC2:TGID_Z_EN: 0
; COMPUTE_PGM_RSRC2:TIDIG_COMP_CNT: 0
; COMPUTE_PGM_RSRC3_GFX90A:ACCUM_OFFSET: 0
; COMPUTE_PGM_RSRC3_GFX90A:TG_SPLIT: 0
	.section	.text._ZN7rocprim17ROCPRIM_400000_NS6detail17trampoline_kernelINS0_14default_configENS1_29reduce_by_key_config_selectorIjjN6thrust23THRUST_200600_302600_NS4plusIjEEEEZZNS1_33reduce_by_key_impl_wrapped_configILNS1_25lookback_scan_determinismE0ES3_S9_NS6_6detail15normal_iteratorINS6_10device_ptrIjEEEESG_SG_SG_PmS8_22is_equal_div_10_reduceIjEEE10hipError_tPvRmT2_T3_mT4_T5_T6_T7_T8_P12ihipStream_tbENKUlT_T0_E_clISt17integral_constantIbLb0EES10_IbLb1EEEEDaSW_SX_EUlSW_E_NS1_11comp_targetILNS1_3genE10ELNS1_11target_archE1201ELNS1_3gpuE5ELNS1_3repE0EEENS1_30default_config_static_selectorELNS0_4arch9wavefront6targetE1EEEvT1_,"axG",@progbits,_ZN7rocprim17ROCPRIM_400000_NS6detail17trampoline_kernelINS0_14default_configENS1_29reduce_by_key_config_selectorIjjN6thrust23THRUST_200600_302600_NS4plusIjEEEEZZNS1_33reduce_by_key_impl_wrapped_configILNS1_25lookback_scan_determinismE0ES3_S9_NS6_6detail15normal_iteratorINS6_10device_ptrIjEEEESG_SG_SG_PmS8_22is_equal_div_10_reduceIjEEE10hipError_tPvRmT2_T3_mT4_T5_T6_T7_T8_P12ihipStream_tbENKUlT_T0_E_clISt17integral_constantIbLb0EES10_IbLb1EEEEDaSW_SX_EUlSW_E_NS1_11comp_targetILNS1_3genE10ELNS1_11target_archE1201ELNS1_3gpuE5ELNS1_3repE0EEENS1_30default_config_static_selectorELNS0_4arch9wavefront6targetE1EEEvT1_,comdat
	.protected	_ZN7rocprim17ROCPRIM_400000_NS6detail17trampoline_kernelINS0_14default_configENS1_29reduce_by_key_config_selectorIjjN6thrust23THRUST_200600_302600_NS4plusIjEEEEZZNS1_33reduce_by_key_impl_wrapped_configILNS1_25lookback_scan_determinismE0ES3_S9_NS6_6detail15normal_iteratorINS6_10device_ptrIjEEEESG_SG_SG_PmS8_22is_equal_div_10_reduceIjEEE10hipError_tPvRmT2_T3_mT4_T5_T6_T7_T8_P12ihipStream_tbENKUlT_T0_E_clISt17integral_constantIbLb0EES10_IbLb1EEEEDaSW_SX_EUlSW_E_NS1_11comp_targetILNS1_3genE10ELNS1_11target_archE1201ELNS1_3gpuE5ELNS1_3repE0EEENS1_30default_config_static_selectorELNS0_4arch9wavefront6targetE1EEEvT1_ ; -- Begin function _ZN7rocprim17ROCPRIM_400000_NS6detail17trampoline_kernelINS0_14default_configENS1_29reduce_by_key_config_selectorIjjN6thrust23THRUST_200600_302600_NS4plusIjEEEEZZNS1_33reduce_by_key_impl_wrapped_configILNS1_25lookback_scan_determinismE0ES3_S9_NS6_6detail15normal_iteratorINS6_10device_ptrIjEEEESG_SG_SG_PmS8_22is_equal_div_10_reduceIjEEE10hipError_tPvRmT2_T3_mT4_T5_T6_T7_T8_P12ihipStream_tbENKUlT_T0_E_clISt17integral_constantIbLb0EES10_IbLb1EEEEDaSW_SX_EUlSW_E_NS1_11comp_targetILNS1_3genE10ELNS1_11target_archE1201ELNS1_3gpuE5ELNS1_3repE0EEENS1_30default_config_static_selectorELNS0_4arch9wavefront6targetE1EEEvT1_
	.globl	_ZN7rocprim17ROCPRIM_400000_NS6detail17trampoline_kernelINS0_14default_configENS1_29reduce_by_key_config_selectorIjjN6thrust23THRUST_200600_302600_NS4plusIjEEEEZZNS1_33reduce_by_key_impl_wrapped_configILNS1_25lookback_scan_determinismE0ES3_S9_NS6_6detail15normal_iteratorINS6_10device_ptrIjEEEESG_SG_SG_PmS8_22is_equal_div_10_reduceIjEEE10hipError_tPvRmT2_T3_mT4_T5_T6_T7_T8_P12ihipStream_tbENKUlT_T0_E_clISt17integral_constantIbLb0EES10_IbLb1EEEEDaSW_SX_EUlSW_E_NS1_11comp_targetILNS1_3genE10ELNS1_11target_archE1201ELNS1_3gpuE5ELNS1_3repE0EEENS1_30default_config_static_selectorELNS0_4arch9wavefront6targetE1EEEvT1_
	.p2align	8
	.type	_ZN7rocprim17ROCPRIM_400000_NS6detail17trampoline_kernelINS0_14default_configENS1_29reduce_by_key_config_selectorIjjN6thrust23THRUST_200600_302600_NS4plusIjEEEEZZNS1_33reduce_by_key_impl_wrapped_configILNS1_25lookback_scan_determinismE0ES3_S9_NS6_6detail15normal_iteratorINS6_10device_ptrIjEEEESG_SG_SG_PmS8_22is_equal_div_10_reduceIjEEE10hipError_tPvRmT2_T3_mT4_T5_T6_T7_T8_P12ihipStream_tbENKUlT_T0_E_clISt17integral_constantIbLb0EES10_IbLb1EEEEDaSW_SX_EUlSW_E_NS1_11comp_targetILNS1_3genE10ELNS1_11target_archE1201ELNS1_3gpuE5ELNS1_3repE0EEENS1_30default_config_static_selectorELNS0_4arch9wavefront6targetE1EEEvT1_,@function
_ZN7rocprim17ROCPRIM_400000_NS6detail17trampoline_kernelINS0_14default_configENS1_29reduce_by_key_config_selectorIjjN6thrust23THRUST_200600_302600_NS4plusIjEEEEZZNS1_33reduce_by_key_impl_wrapped_configILNS1_25lookback_scan_determinismE0ES3_S9_NS6_6detail15normal_iteratorINS6_10device_ptrIjEEEESG_SG_SG_PmS8_22is_equal_div_10_reduceIjEEE10hipError_tPvRmT2_T3_mT4_T5_T6_T7_T8_P12ihipStream_tbENKUlT_T0_E_clISt17integral_constantIbLb0EES10_IbLb1EEEEDaSW_SX_EUlSW_E_NS1_11comp_targetILNS1_3genE10ELNS1_11target_archE1201ELNS1_3gpuE5ELNS1_3repE0EEENS1_30default_config_static_selectorELNS0_4arch9wavefront6targetE1EEEvT1_: ; @_ZN7rocprim17ROCPRIM_400000_NS6detail17trampoline_kernelINS0_14default_configENS1_29reduce_by_key_config_selectorIjjN6thrust23THRUST_200600_302600_NS4plusIjEEEEZZNS1_33reduce_by_key_impl_wrapped_configILNS1_25lookback_scan_determinismE0ES3_S9_NS6_6detail15normal_iteratorINS6_10device_ptrIjEEEESG_SG_SG_PmS8_22is_equal_div_10_reduceIjEEE10hipError_tPvRmT2_T3_mT4_T5_T6_T7_T8_P12ihipStream_tbENKUlT_T0_E_clISt17integral_constantIbLb0EES10_IbLb1EEEEDaSW_SX_EUlSW_E_NS1_11comp_targetILNS1_3genE10ELNS1_11target_archE1201ELNS1_3gpuE5ELNS1_3repE0EEENS1_30default_config_static_selectorELNS0_4arch9wavefront6targetE1EEEvT1_
; %bb.0:
	.section	.rodata,"a",@progbits
	.p2align	6, 0x0
	.amdhsa_kernel _ZN7rocprim17ROCPRIM_400000_NS6detail17trampoline_kernelINS0_14default_configENS1_29reduce_by_key_config_selectorIjjN6thrust23THRUST_200600_302600_NS4plusIjEEEEZZNS1_33reduce_by_key_impl_wrapped_configILNS1_25lookback_scan_determinismE0ES3_S9_NS6_6detail15normal_iteratorINS6_10device_ptrIjEEEESG_SG_SG_PmS8_22is_equal_div_10_reduceIjEEE10hipError_tPvRmT2_T3_mT4_T5_T6_T7_T8_P12ihipStream_tbENKUlT_T0_E_clISt17integral_constantIbLb0EES10_IbLb1EEEEDaSW_SX_EUlSW_E_NS1_11comp_targetILNS1_3genE10ELNS1_11target_archE1201ELNS1_3gpuE5ELNS1_3repE0EEENS1_30default_config_static_selectorELNS0_4arch9wavefront6targetE1EEEvT1_
		.amdhsa_group_segment_fixed_size 0
		.amdhsa_private_segment_fixed_size 0
		.amdhsa_kernarg_size 120
		.amdhsa_user_sgpr_count 6
		.amdhsa_user_sgpr_private_segment_buffer 1
		.amdhsa_user_sgpr_dispatch_ptr 0
		.amdhsa_user_sgpr_queue_ptr 0
		.amdhsa_user_sgpr_kernarg_segment_ptr 1
		.amdhsa_user_sgpr_dispatch_id 0
		.amdhsa_user_sgpr_flat_scratch_init 0
		.amdhsa_user_sgpr_kernarg_preload_length 0
		.amdhsa_user_sgpr_kernarg_preload_offset 0
		.amdhsa_user_sgpr_private_segment_size 0
		.amdhsa_uses_dynamic_stack 0
		.amdhsa_system_sgpr_private_segment_wavefront_offset 0
		.amdhsa_system_sgpr_workgroup_id_x 1
		.amdhsa_system_sgpr_workgroup_id_y 0
		.amdhsa_system_sgpr_workgroup_id_z 0
		.amdhsa_system_sgpr_workgroup_info 0
		.amdhsa_system_vgpr_workitem_id 0
		.amdhsa_next_free_vgpr 1
		.amdhsa_next_free_sgpr 0
		.amdhsa_accum_offset 4
		.amdhsa_reserve_vcc 0
		.amdhsa_reserve_flat_scratch 0
		.amdhsa_float_round_mode_32 0
		.amdhsa_float_round_mode_16_64 0
		.amdhsa_float_denorm_mode_32 3
		.amdhsa_float_denorm_mode_16_64 3
		.amdhsa_dx10_clamp 1
		.amdhsa_ieee_mode 1
		.amdhsa_fp16_overflow 0
		.amdhsa_tg_split 0
		.amdhsa_exception_fp_ieee_invalid_op 0
		.amdhsa_exception_fp_denorm_src 0
		.amdhsa_exception_fp_ieee_div_zero 0
		.amdhsa_exception_fp_ieee_overflow 0
		.amdhsa_exception_fp_ieee_underflow 0
		.amdhsa_exception_fp_ieee_inexact 0
		.amdhsa_exception_int_div_zero 0
	.end_amdhsa_kernel
	.section	.text._ZN7rocprim17ROCPRIM_400000_NS6detail17trampoline_kernelINS0_14default_configENS1_29reduce_by_key_config_selectorIjjN6thrust23THRUST_200600_302600_NS4plusIjEEEEZZNS1_33reduce_by_key_impl_wrapped_configILNS1_25lookback_scan_determinismE0ES3_S9_NS6_6detail15normal_iteratorINS6_10device_ptrIjEEEESG_SG_SG_PmS8_22is_equal_div_10_reduceIjEEE10hipError_tPvRmT2_T3_mT4_T5_T6_T7_T8_P12ihipStream_tbENKUlT_T0_E_clISt17integral_constantIbLb0EES10_IbLb1EEEEDaSW_SX_EUlSW_E_NS1_11comp_targetILNS1_3genE10ELNS1_11target_archE1201ELNS1_3gpuE5ELNS1_3repE0EEENS1_30default_config_static_selectorELNS0_4arch9wavefront6targetE1EEEvT1_,"axG",@progbits,_ZN7rocprim17ROCPRIM_400000_NS6detail17trampoline_kernelINS0_14default_configENS1_29reduce_by_key_config_selectorIjjN6thrust23THRUST_200600_302600_NS4plusIjEEEEZZNS1_33reduce_by_key_impl_wrapped_configILNS1_25lookback_scan_determinismE0ES3_S9_NS6_6detail15normal_iteratorINS6_10device_ptrIjEEEESG_SG_SG_PmS8_22is_equal_div_10_reduceIjEEE10hipError_tPvRmT2_T3_mT4_T5_T6_T7_T8_P12ihipStream_tbENKUlT_T0_E_clISt17integral_constantIbLb0EES10_IbLb1EEEEDaSW_SX_EUlSW_E_NS1_11comp_targetILNS1_3genE10ELNS1_11target_archE1201ELNS1_3gpuE5ELNS1_3repE0EEENS1_30default_config_static_selectorELNS0_4arch9wavefront6targetE1EEEvT1_,comdat
.Lfunc_end386:
	.size	_ZN7rocprim17ROCPRIM_400000_NS6detail17trampoline_kernelINS0_14default_configENS1_29reduce_by_key_config_selectorIjjN6thrust23THRUST_200600_302600_NS4plusIjEEEEZZNS1_33reduce_by_key_impl_wrapped_configILNS1_25lookback_scan_determinismE0ES3_S9_NS6_6detail15normal_iteratorINS6_10device_ptrIjEEEESG_SG_SG_PmS8_22is_equal_div_10_reduceIjEEE10hipError_tPvRmT2_T3_mT4_T5_T6_T7_T8_P12ihipStream_tbENKUlT_T0_E_clISt17integral_constantIbLb0EES10_IbLb1EEEEDaSW_SX_EUlSW_E_NS1_11comp_targetILNS1_3genE10ELNS1_11target_archE1201ELNS1_3gpuE5ELNS1_3repE0EEENS1_30default_config_static_selectorELNS0_4arch9wavefront6targetE1EEEvT1_, .Lfunc_end386-_ZN7rocprim17ROCPRIM_400000_NS6detail17trampoline_kernelINS0_14default_configENS1_29reduce_by_key_config_selectorIjjN6thrust23THRUST_200600_302600_NS4plusIjEEEEZZNS1_33reduce_by_key_impl_wrapped_configILNS1_25lookback_scan_determinismE0ES3_S9_NS6_6detail15normal_iteratorINS6_10device_ptrIjEEEESG_SG_SG_PmS8_22is_equal_div_10_reduceIjEEE10hipError_tPvRmT2_T3_mT4_T5_T6_T7_T8_P12ihipStream_tbENKUlT_T0_E_clISt17integral_constantIbLb0EES10_IbLb1EEEEDaSW_SX_EUlSW_E_NS1_11comp_targetILNS1_3genE10ELNS1_11target_archE1201ELNS1_3gpuE5ELNS1_3repE0EEENS1_30default_config_static_selectorELNS0_4arch9wavefront6targetE1EEEvT1_
                                        ; -- End function
	.section	.AMDGPU.csdata,"",@progbits
; Kernel info:
; codeLenInByte = 0
; NumSgprs: 4
; NumVgprs: 0
; NumAgprs: 0
; TotalNumVgprs: 0
; ScratchSize: 0
; MemoryBound: 0
; FloatMode: 240
; IeeeMode: 1
; LDSByteSize: 0 bytes/workgroup (compile time only)
; SGPRBlocks: 0
; VGPRBlocks: 0
; NumSGPRsForWavesPerEU: 4
; NumVGPRsForWavesPerEU: 1
; AccumOffset: 4
; Occupancy: 8
; WaveLimiterHint : 0
; COMPUTE_PGM_RSRC2:SCRATCH_EN: 0
; COMPUTE_PGM_RSRC2:USER_SGPR: 6
; COMPUTE_PGM_RSRC2:TRAP_HANDLER: 0
; COMPUTE_PGM_RSRC2:TGID_X_EN: 1
; COMPUTE_PGM_RSRC2:TGID_Y_EN: 0
; COMPUTE_PGM_RSRC2:TGID_Z_EN: 0
; COMPUTE_PGM_RSRC2:TIDIG_COMP_CNT: 0
; COMPUTE_PGM_RSRC3_GFX90A:ACCUM_OFFSET: 0
; COMPUTE_PGM_RSRC3_GFX90A:TG_SPLIT: 0
	.section	.text._ZN7rocprim17ROCPRIM_400000_NS6detail17trampoline_kernelINS0_14default_configENS1_29reduce_by_key_config_selectorIjjN6thrust23THRUST_200600_302600_NS4plusIjEEEEZZNS1_33reduce_by_key_impl_wrapped_configILNS1_25lookback_scan_determinismE0ES3_S9_NS6_6detail15normal_iteratorINS6_10device_ptrIjEEEESG_SG_SG_PmS8_22is_equal_div_10_reduceIjEEE10hipError_tPvRmT2_T3_mT4_T5_T6_T7_T8_P12ihipStream_tbENKUlT_T0_E_clISt17integral_constantIbLb0EES10_IbLb1EEEEDaSW_SX_EUlSW_E_NS1_11comp_targetILNS1_3genE10ELNS1_11target_archE1200ELNS1_3gpuE4ELNS1_3repE0EEENS1_30default_config_static_selectorELNS0_4arch9wavefront6targetE1EEEvT1_,"axG",@progbits,_ZN7rocprim17ROCPRIM_400000_NS6detail17trampoline_kernelINS0_14default_configENS1_29reduce_by_key_config_selectorIjjN6thrust23THRUST_200600_302600_NS4plusIjEEEEZZNS1_33reduce_by_key_impl_wrapped_configILNS1_25lookback_scan_determinismE0ES3_S9_NS6_6detail15normal_iteratorINS6_10device_ptrIjEEEESG_SG_SG_PmS8_22is_equal_div_10_reduceIjEEE10hipError_tPvRmT2_T3_mT4_T5_T6_T7_T8_P12ihipStream_tbENKUlT_T0_E_clISt17integral_constantIbLb0EES10_IbLb1EEEEDaSW_SX_EUlSW_E_NS1_11comp_targetILNS1_3genE10ELNS1_11target_archE1200ELNS1_3gpuE4ELNS1_3repE0EEENS1_30default_config_static_selectorELNS0_4arch9wavefront6targetE1EEEvT1_,comdat
	.protected	_ZN7rocprim17ROCPRIM_400000_NS6detail17trampoline_kernelINS0_14default_configENS1_29reduce_by_key_config_selectorIjjN6thrust23THRUST_200600_302600_NS4plusIjEEEEZZNS1_33reduce_by_key_impl_wrapped_configILNS1_25lookback_scan_determinismE0ES3_S9_NS6_6detail15normal_iteratorINS6_10device_ptrIjEEEESG_SG_SG_PmS8_22is_equal_div_10_reduceIjEEE10hipError_tPvRmT2_T3_mT4_T5_T6_T7_T8_P12ihipStream_tbENKUlT_T0_E_clISt17integral_constantIbLb0EES10_IbLb1EEEEDaSW_SX_EUlSW_E_NS1_11comp_targetILNS1_3genE10ELNS1_11target_archE1200ELNS1_3gpuE4ELNS1_3repE0EEENS1_30default_config_static_selectorELNS0_4arch9wavefront6targetE1EEEvT1_ ; -- Begin function _ZN7rocprim17ROCPRIM_400000_NS6detail17trampoline_kernelINS0_14default_configENS1_29reduce_by_key_config_selectorIjjN6thrust23THRUST_200600_302600_NS4plusIjEEEEZZNS1_33reduce_by_key_impl_wrapped_configILNS1_25lookback_scan_determinismE0ES3_S9_NS6_6detail15normal_iteratorINS6_10device_ptrIjEEEESG_SG_SG_PmS8_22is_equal_div_10_reduceIjEEE10hipError_tPvRmT2_T3_mT4_T5_T6_T7_T8_P12ihipStream_tbENKUlT_T0_E_clISt17integral_constantIbLb0EES10_IbLb1EEEEDaSW_SX_EUlSW_E_NS1_11comp_targetILNS1_3genE10ELNS1_11target_archE1200ELNS1_3gpuE4ELNS1_3repE0EEENS1_30default_config_static_selectorELNS0_4arch9wavefront6targetE1EEEvT1_
	.globl	_ZN7rocprim17ROCPRIM_400000_NS6detail17trampoline_kernelINS0_14default_configENS1_29reduce_by_key_config_selectorIjjN6thrust23THRUST_200600_302600_NS4plusIjEEEEZZNS1_33reduce_by_key_impl_wrapped_configILNS1_25lookback_scan_determinismE0ES3_S9_NS6_6detail15normal_iteratorINS6_10device_ptrIjEEEESG_SG_SG_PmS8_22is_equal_div_10_reduceIjEEE10hipError_tPvRmT2_T3_mT4_T5_T6_T7_T8_P12ihipStream_tbENKUlT_T0_E_clISt17integral_constantIbLb0EES10_IbLb1EEEEDaSW_SX_EUlSW_E_NS1_11comp_targetILNS1_3genE10ELNS1_11target_archE1200ELNS1_3gpuE4ELNS1_3repE0EEENS1_30default_config_static_selectorELNS0_4arch9wavefront6targetE1EEEvT1_
	.p2align	8
	.type	_ZN7rocprim17ROCPRIM_400000_NS6detail17trampoline_kernelINS0_14default_configENS1_29reduce_by_key_config_selectorIjjN6thrust23THRUST_200600_302600_NS4plusIjEEEEZZNS1_33reduce_by_key_impl_wrapped_configILNS1_25lookback_scan_determinismE0ES3_S9_NS6_6detail15normal_iteratorINS6_10device_ptrIjEEEESG_SG_SG_PmS8_22is_equal_div_10_reduceIjEEE10hipError_tPvRmT2_T3_mT4_T5_T6_T7_T8_P12ihipStream_tbENKUlT_T0_E_clISt17integral_constantIbLb0EES10_IbLb1EEEEDaSW_SX_EUlSW_E_NS1_11comp_targetILNS1_3genE10ELNS1_11target_archE1200ELNS1_3gpuE4ELNS1_3repE0EEENS1_30default_config_static_selectorELNS0_4arch9wavefront6targetE1EEEvT1_,@function
_ZN7rocprim17ROCPRIM_400000_NS6detail17trampoline_kernelINS0_14default_configENS1_29reduce_by_key_config_selectorIjjN6thrust23THRUST_200600_302600_NS4plusIjEEEEZZNS1_33reduce_by_key_impl_wrapped_configILNS1_25lookback_scan_determinismE0ES3_S9_NS6_6detail15normal_iteratorINS6_10device_ptrIjEEEESG_SG_SG_PmS8_22is_equal_div_10_reduceIjEEE10hipError_tPvRmT2_T3_mT4_T5_T6_T7_T8_P12ihipStream_tbENKUlT_T0_E_clISt17integral_constantIbLb0EES10_IbLb1EEEEDaSW_SX_EUlSW_E_NS1_11comp_targetILNS1_3genE10ELNS1_11target_archE1200ELNS1_3gpuE4ELNS1_3repE0EEENS1_30default_config_static_selectorELNS0_4arch9wavefront6targetE1EEEvT1_: ; @_ZN7rocprim17ROCPRIM_400000_NS6detail17trampoline_kernelINS0_14default_configENS1_29reduce_by_key_config_selectorIjjN6thrust23THRUST_200600_302600_NS4plusIjEEEEZZNS1_33reduce_by_key_impl_wrapped_configILNS1_25lookback_scan_determinismE0ES3_S9_NS6_6detail15normal_iteratorINS6_10device_ptrIjEEEESG_SG_SG_PmS8_22is_equal_div_10_reduceIjEEE10hipError_tPvRmT2_T3_mT4_T5_T6_T7_T8_P12ihipStream_tbENKUlT_T0_E_clISt17integral_constantIbLb0EES10_IbLb1EEEEDaSW_SX_EUlSW_E_NS1_11comp_targetILNS1_3genE10ELNS1_11target_archE1200ELNS1_3gpuE4ELNS1_3repE0EEENS1_30default_config_static_selectorELNS0_4arch9wavefront6targetE1EEEvT1_
; %bb.0:
	.section	.rodata,"a",@progbits
	.p2align	6, 0x0
	.amdhsa_kernel _ZN7rocprim17ROCPRIM_400000_NS6detail17trampoline_kernelINS0_14default_configENS1_29reduce_by_key_config_selectorIjjN6thrust23THRUST_200600_302600_NS4plusIjEEEEZZNS1_33reduce_by_key_impl_wrapped_configILNS1_25lookback_scan_determinismE0ES3_S9_NS6_6detail15normal_iteratorINS6_10device_ptrIjEEEESG_SG_SG_PmS8_22is_equal_div_10_reduceIjEEE10hipError_tPvRmT2_T3_mT4_T5_T6_T7_T8_P12ihipStream_tbENKUlT_T0_E_clISt17integral_constantIbLb0EES10_IbLb1EEEEDaSW_SX_EUlSW_E_NS1_11comp_targetILNS1_3genE10ELNS1_11target_archE1200ELNS1_3gpuE4ELNS1_3repE0EEENS1_30default_config_static_selectorELNS0_4arch9wavefront6targetE1EEEvT1_
		.amdhsa_group_segment_fixed_size 0
		.amdhsa_private_segment_fixed_size 0
		.amdhsa_kernarg_size 120
		.amdhsa_user_sgpr_count 6
		.amdhsa_user_sgpr_private_segment_buffer 1
		.amdhsa_user_sgpr_dispatch_ptr 0
		.amdhsa_user_sgpr_queue_ptr 0
		.amdhsa_user_sgpr_kernarg_segment_ptr 1
		.amdhsa_user_sgpr_dispatch_id 0
		.amdhsa_user_sgpr_flat_scratch_init 0
		.amdhsa_user_sgpr_kernarg_preload_length 0
		.amdhsa_user_sgpr_kernarg_preload_offset 0
		.amdhsa_user_sgpr_private_segment_size 0
		.amdhsa_uses_dynamic_stack 0
		.amdhsa_system_sgpr_private_segment_wavefront_offset 0
		.amdhsa_system_sgpr_workgroup_id_x 1
		.amdhsa_system_sgpr_workgroup_id_y 0
		.amdhsa_system_sgpr_workgroup_id_z 0
		.amdhsa_system_sgpr_workgroup_info 0
		.amdhsa_system_vgpr_workitem_id 0
		.amdhsa_next_free_vgpr 1
		.amdhsa_next_free_sgpr 0
		.amdhsa_accum_offset 4
		.amdhsa_reserve_vcc 0
		.amdhsa_reserve_flat_scratch 0
		.amdhsa_float_round_mode_32 0
		.amdhsa_float_round_mode_16_64 0
		.amdhsa_float_denorm_mode_32 3
		.amdhsa_float_denorm_mode_16_64 3
		.amdhsa_dx10_clamp 1
		.amdhsa_ieee_mode 1
		.amdhsa_fp16_overflow 0
		.amdhsa_tg_split 0
		.amdhsa_exception_fp_ieee_invalid_op 0
		.amdhsa_exception_fp_denorm_src 0
		.amdhsa_exception_fp_ieee_div_zero 0
		.amdhsa_exception_fp_ieee_overflow 0
		.amdhsa_exception_fp_ieee_underflow 0
		.amdhsa_exception_fp_ieee_inexact 0
		.amdhsa_exception_int_div_zero 0
	.end_amdhsa_kernel
	.section	.text._ZN7rocprim17ROCPRIM_400000_NS6detail17trampoline_kernelINS0_14default_configENS1_29reduce_by_key_config_selectorIjjN6thrust23THRUST_200600_302600_NS4plusIjEEEEZZNS1_33reduce_by_key_impl_wrapped_configILNS1_25lookback_scan_determinismE0ES3_S9_NS6_6detail15normal_iteratorINS6_10device_ptrIjEEEESG_SG_SG_PmS8_22is_equal_div_10_reduceIjEEE10hipError_tPvRmT2_T3_mT4_T5_T6_T7_T8_P12ihipStream_tbENKUlT_T0_E_clISt17integral_constantIbLb0EES10_IbLb1EEEEDaSW_SX_EUlSW_E_NS1_11comp_targetILNS1_3genE10ELNS1_11target_archE1200ELNS1_3gpuE4ELNS1_3repE0EEENS1_30default_config_static_selectorELNS0_4arch9wavefront6targetE1EEEvT1_,"axG",@progbits,_ZN7rocprim17ROCPRIM_400000_NS6detail17trampoline_kernelINS0_14default_configENS1_29reduce_by_key_config_selectorIjjN6thrust23THRUST_200600_302600_NS4plusIjEEEEZZNS1_33reduce_by_key_impl_wrapped_configILNS1_25lookback_scan_determinismE0ES3_S9_NS6_6detail15normal_iteratorINS6_10device_ptrIjEEEESG_SG_SG_PmS8_22is_equal_div_10_reduceIjEEE10hipError_tPvRmT2_T3_mT4_T5_T6_T7_T8_P12ihipStream_tbENKUlT_T0_E_clISt17integral_constantIbLb0EES10_IbLb1EEEEDaSW_SX_EUlSW_E_NS1_11comp_targetILNS1_3genE10ELNS1_11target_archE1200ELNS1_3gpuE4ELNS1_3repE0EEENS1_30default_config_static_selectorELNS0_4arch9wavefront6targetE1EEEvT1_,comdat
.Lfunc_end387:
	.size	_ZN7rocprim17ROCPRIM_400000_NS6detail17trampoline_kernelINS0_14default_configENS1_29reduce_by_key_config_selectorIjjN6thrust23THRUST_200600_302600_NS4plusIjEEEEZZNS1_33reduce_by_key_impl_wrapped_configILNS1_25lookback_scan_determinismE0ES3_S9_NS6_6detail15normal_iteratorINS6_10device_ptrIjEEEESG_SG_SG_PmS8_22is_equal_div_10_reduceIjEEE10hipError_tPvRmT2_T3_mT4_T5_T6_T7_T8_P12ihipStream_tbENKUlT_T0_E_clISt17integral_constantIbLb0EES10_IbLb1EEEEDaSW_SX_EUlSW_E_NS1_11comp_targetILNS1_3genE10ELNS1_11target_archE1200ELNS1_3gpuE4ELNS1_3repE0EEENS1_30default_config_static_selectorELNS0_4arch9wavefront6targetE1EEEvT1_, .Lfunc_end387-_ZN7rocprim17ROCPRIM_400000_NS6detail17trampoline_kernelINS0_14default_configENS1_29reduce_by_key_config_selectorIjjN6thrust23THRUST_200600_302600_NS4plusIjEEEEZZNS1_33reduce_by_key_impl_wrapped_configILNS1_25lookback_scan_determinismE0ES3_S9_NS6_6detail15normal_iteratorINS6_10device_ptrIjEEEESG_SG_SG_PmS8_22is_equal_div_10_reduceIjEEE10hipError_tPvRmT2_T3_mT4_T5_T6_T7_T8_P12ihipStream_tbENKUlT_T0_E_clISt17integral_constantIbLb0EES10_IbLb1EEEEDaSW_SX_EUlSW_E_NS1_11comp_targetILNS1_3genE10ELNS1_11target_archE1200ELNS1_3gpuE4ELNS1_3repE0EEENS1_30default_config_static_selectorELNS0_4arch9wavefront6targetE1EEEvT1_
                                        ; -- End function
	.section	.AMDGPU.csdata,"",@progbits
; Kernel info:
; codeLenInByte = 0
; NumSgprs: 4
; NumVgprs: 0
; NumAgprs: 0
; TotalNumVgprs: 0
; ScratchSize: 0
; MemoryBound: 0
; FloatMode: 240
; IeeeMode: 1
; LDSByteSize: 0 bytes/workgroup (compile time only)
; SGPRBlocks: 0
; VGPRBlocks: 0
; NumSGPRsForWavesPerEU: 4
; NumVGPRsForWavesPerEU: 1
; AccumOffset: 4
; Occupancy: 8
; WaveLimiterHint : 0
; COMPUTE_PGM_RSRC2:SCRATCH_EN: 0
; COMPUTE_PGM_RSRC2:USER_SGPR: 6
; COMPUTE_PGM_RSRC2:TRAP_HANDLER: 0
; COMPUTE_PGM_RSRC2:TGID_X_EN: 1
; COMPUTE_PGM_RSRC2:TGID_Y_EN: 0
; COMPUTE_PGM_RSRC2:TGID_Z_EN: 0
; COMPUTE_PGM_RSRC2:TIDIG_COMP_CNT: 0
; COMPUTE_PGM_RSRC3_GFX90A:ACCUM_OFFSET: 0
; COMPUTE_PGM_RSRC3_GFX90A:TG_SPLIT: 0
	.section	.text._ZN7rocprim17ROCPRIM_400000_NS6detail17trampoline_kernelINS0_14default_configENS1_29reduce_by_key_config_selectorIjjN6thrust23THRUST_200600_302600_NS4plusIjEEEEZZNS1_33reduce_by_key_impl_wrapped_configILNS1_25lookback_scan_determinismE0ES3_S9_NS6_6detail15normal_iteratorINS6_10device_ptrIjEEEESG_SG_SG_PmS8_22is_equal_div_10_reduceIjEEE10hipError_tPvRmT2_T3_mT4_T5_T6_T7_T8_P12ihipStream_tbENKUlT_T0_E_clISt17integral_constantIbLb0EES10_IbLb1EEEEDaSW_SX_EUlSW_E_NS1_11comp_targetILNS1_3genE9ELNS1_11target_archE1100ELNS1_3gpuE3ELNS1_3repE0EEENS1_30default_config_static_selectorELNS0_4arch9wavefront6targetE1EEEvT1_,"axG",@progbits,_ZN7rocprim17ROCPRIM_400000_NS6detail17trampoline_kernelINS0_14default_configENS1_29reduce_by_key_config_selectorIjjN6thrust23THRUST_200600_302600_NS4plusIjEEEEZZNS1_33reduce_by_key_impl_wrapped_configILNS1_25lookback_scan_determinismE0ES3_S9_NS6_6detail15normal_iteratorINS6_10device_ptrIjEEEESG_SG_SG_PmS8_22is_equal_div_10_reduceIjEEE10hipError_tPvRmT2_T3_mT4_T5_T6_T7_T8_P12ihipStream_tbENKUlT_T0_E_clISt17integral_constantIbLb0EES10_IbLb1EEEEDaSW_SX_EUlSW_E_NS1_11comp_targetILNS1_3genE9ELNS1_11target_archE1100ELNS1_3gpuE3ELNS1_3repE0EEENS1_30default_config_static_selectorELNS0_4arch9wavefront6targetE1EEEvT1_,comdat
	.protected	_ZN7rocprim17ROCPRIM_400000_NS6detail17trampoline_kernelINS0_14default_configENS1_29reduce_by_key_config_selectorIjjN6thrust23THRUST_200600_302600_NS4plusIjEEEEZZNS1_33reduce_by_key_impl_wrapped_configILNS1_25lookback_scan_determinismE0ES3_S9_NS6_6detail15normal_iteratorINS6_10device_ptrIjEEEESG_SG_SG_PmS8_22is_equal_div_10_reduceIjEEE10hipError_tPvRmT2_T3_mT4_T5_T6_T7_T8_P12ihipStream_tbENKUlT_T0_E_clISt17integral_constantIbLb0EES10_IbLb1EEEEDaSW_SX_EUlSW_E_NS1_11comp_targetILNS1_3genE9ELNS1_11target_archE1100ELNS1_3gpuE3ELNS1_3repE0EEENS1_30default_config_static_selectorELNS0_4arch9wavefront6targetE1EEEvT1_ ; -- Begin function _ZN7rocprim17ROCPRIM_400000_NS6detail17trampoline_kernelINS0_14default_configENS1_29reduce_by_key_config_selectorIjjN6thrust23THRUST_200600_302600_NS4plusIjEEEEZZNS1_33reduce_by_key_impl_wrapped_configILNS1_25lookback_scan_determinismE0ES3_S9_NS6_6detail15normal_iteratorINS6_10device_ptrIjEEEESG_SG_SG_PmS8_22is_equal_div_10_reduceIjEEE10hipError_tPvRmT2_T3_mT4_T5_T6_T7_T8_P12ihipStream_tbENKUlT_T0_E_clISt17integral_constantIbLb0EES10_IbLb1EEEEDaSW_SX_EUlSW_E_NS1_11comp_targetILNS1_3genE9ELNS1_11target_archE1100ELNS1_3gpuE3ELNS1_3repE0EEENS1_30default_config_static_selectorELNS0_4arch9wavefront6targetE1EEEvT1_
	.globl	_ZN7rocprim17ROCPRIM_400000_NS6detail17trampoline_kernelINS0_14default_configENS1_29reduce_by_key_config_selectorIjjN6thrust23THRUST_200600_302600_NS4plusIjEEEEZZNS1_33reduce_by_key_impl_wrapped_configILNS1_25lookback_scan_determinismE0ES3_S9_NS6_6detail15normal_iteratorINS6_10device_ptrIjEEEESG_SG_SG_PmS8_22is_equal_div_10_reduceIjEEE10hipError_tPvRmT2_T3_mT4_T5_T6_T7_T8_P12ihipStream_tbENKUlT_T0_E_clISt17integral_constantIbLb0EES10_IbLb1EEEEDaSW_SX_EUlSW_E_NS1_11comp_targetILNS1_3genE9ELNS1_11target_archE1100ELNS1_3gpuE3ELNS1_3repE0EEENS1_30default_config_static_selectorELNS0_4arch9wavefront6targetE1EEEvT1_
	.p2align	8
	.type	_ZN7rocprim17ROCPRIM_400000_NS6detail17trampoline_kernelINS0_14default_configENS1_29reduce_by_key_config_selectorIjjN6thrust23THRUST_200600_302600_NS4plusIjEEEEZZNS1_33reduce_by_key_impl_wrapped_configILNS1_25lookback_scan_determinismE0ES3_S9_NS6_6detail15normal_iteratorINS6_10device_ptrIjEEEESG_SG_SG_PmS8_22is_equal_div_10_reduceIjEEE10hipError_tPvRmT2_T3_mT4_T5_T6_T7_T8_P12ihipStream_tbENKUlT_T0_E_clISt17integral_constantIbLb0EES10_IbLb1EEEEDaSW_SX_EUlSW_E_NS1_11comp_targetILNS1_3genE9ELNS1_11target_archE1100ELNS1_3gpuE3ELNS1_3repE0EEENS1_30default_config_static_selectorELNS0_4arch9wavefront6targetE1EEEvT1_,@function
_ZN7rocprim17ROCPRIM_400000_NS6detail17trampoline_kernelINS0_14default_configENS1_29reduce_by_key_config_selectorIjjN6thrust23THRUST_200600_302600_NS4plusIjEEEEZZNS1_33reduce_by_key_impl_wrapped_configILNS1_25lookback_scan_determinismE0ES3_S9_NS6_6detail15normal_iteratorINS6_10device_ptrIjEEEESG_SG_SG_PmS8_22is_equal_div_10_reduceIjEEE10hipError_tPvRmT2_T3_mT4_T5_T6_T7_T8_P12ihipStream_tbENKUlT_T0_E_clISt17integral_constantIbLb0EES10_IbLb1EEEEDaSW_SX_EUlSW_E_NS1_11comp_targetILNS1_3genE9ELNS1_11target_archE1100ELNS1_3gpuE3ELNS1_3repE0EEENS1_30default_config_static_selectorELNS0_4arch9wavefront6targetE1EEEvT1_: ; @_ZN7rocprim17ROCPRIM_400000_NS6detail17trampoline_kernelINS0_14default_configENS1_29reduce_by_key_config_selectorIjjN6thrust23THRUST_200600_302600_NS4plusIjEEEEZZNS1_33reduce_by_key_impl_wrapped_configILNS1_25lookback_scan_determinismE0ES3_S9_NS6_6detail15normal_iteratorINS6_10device_ptrIjEEEESG_SG_SG_PmS8_22is_equal_div_10_reduceIjEEE10hipError_tPvRmT2_T3_mT4_T5_T6_T7_T8_P12ihipStream_tbENKUlT_T0_E_clISt17integral_constantIbLb0EES10_IbLb1EEEEDaSW_SX_EUlSW_E_NS1_11comp_targetILNS1_3genE9ELNS1_11target_archE1100ELNS1_3gpuE3ELNS1_3repE0EEENS1_30default_config_static_selectorELNS0_4arch9wavefront6targetE1EEEvT1_
; %bb.0:
	.section	.rodata,"a",@progbits
	.p2align	6, 0x0
	.amdhsa_kernel _ZN7rocprim17ROCPRIM_400000_NS6detail17trampoline_kernelINS0_14default_configENS1_29reduce_by_key_config_selectorIjjN6thrust23THRUST_200600_302600_NS4plusIjEEEEZZNS1_33reduce_by_key_impl_wrapped_configILNS1_25lookback_scan_determinismE0ES3_S9_NS6_6detail15normal_iteratorINS6_10device_ptrIjEEEESG_SG_SG_PmS8_22is_equal_div_10_reduceIjEEE10hipError_tPvRmT2_T3_mT4_T5_T6_T7_T8_P12ihipStream_tbENKUlT_T0_E_clISt17integral_constantIbLb0EES10_IbLb1EEEEDaSW_SX_EUlSW_E_NS1_11comp_targetILNS1_3genE9ELNS1_11target_archE1100ELNS1_3gpuE3ELNS1_3repE0EEENS1_30default_config_static_selectorELNS0_4arch9wavefront6targetE1EEEvT1_
		.amdhsa_group_segment_fixed_size 0
		.amdhsa_private_segment_fixed_size 0
		.amdhsa_kernarg_size 120
		.amdhsa_user_sgpr_count 6
		.amdhsa_user_sgpr_private_segment_buffer 1
		.amdhsa_user_sgpr_dispatch_ptr 0
		.amdhsa_user_sgpr_queue_ptr 0
		.amdhsa_user_sgpr_kernarg_segment_ptr 1
		.amdhsa_user_sgpr_dispatch_id 0
		.amdhsa_user_sgpr_flat_scratch_init 0
		.amdhsa_user_sgpr_kernarg_preload_length 0
		.amdhsa_user_sgpr_kernarg_preload_offset 0
		.amdhsa_user_sgpr_private_segment_size 0
		.amdhsa_uses_dynamic_stack 0
		.amdhsa_system_sgpr_private_segment_wavefront_offset 0
		.amdhsa_system_sgpr_workgroup_id_x 1
		.amdhsa_system_sgpr_workgroup_id_y 0
		.amdhsa_system_sgpr_workgroup_id_z 0
		.amdhsa_system_sgpr_workgroup_info 0
		.amdhsa_system_vgpr_workitem_id 0
		.amdhsa_next_free_vgpr 1
		.amdhsa_next_free_sgpr 0
		.amdhsa_accum_offset 4
		.amdhsa_reserve_vcc 0
		.amdhsa_reserve_flat_scratch 0
		.amdhsa_float_round_mode_32 0
		.amdhsa_float_round_mode_16_64 0
		.amdhsa_float_denorm_mode_32 3
		.amdhsa_float_denorm_mode_16_64 3
		.amdhsa_dx10_clamp 1
		.amdhsa_ieee_mode 1
		.amdhsa_fp16_overflow 0
		.amdhsa_tg_split 0
		.amdhsa_exception_fp_ieee_invalid_op 0
		.amdhsa_exception_fp_denorm_src 0
		.amdhsa_exception_fp_ieee_div_zero 0
		.amdhsa_exception_fp_ieee_overflow 0
		.amdhsa_exception_fp_ieee_underflow 0
		.amdhsa_exception_fp_ieee_inexact 0
		.amdhsa_exception_int_div_zero 0
	.end_amdhsa_kernel
	.section	.text._ZN7rocprim17ROCPRIM_400000_NS6detail17trampoline_kernelINS0_14default_configENS1_29reduce_by_key_config_selectorIjjN6thrust23THRUST_200600_302600_NS4plusIjEEEEZZNS1_33reduce_by_key_impl_wrapped_configILNS1_25lookback_scan_determinismE0ES3_S9_NS6_6detail15normal_iteratorINS6_10device_ptrIjEEEESG_SG_SG_PmS8_22is_equal_div_10_reduceIjEEE10hipError_tPvRmT2_T3_mT4_T5_T6_T7_T8_P12ihipStream_tbENKUlT_T0_E_clISt17integral_constantIbLb0EES10_IbLb1EEEEDaSW_SX_EUlSW_E_NS1_11comp_targetILNS1_3genE9ELNS1_11target_archE1100ELNS1_3gpuE3ELNS1_3repE0EEENS1_30default_config_static_selectorELNS0_4arch9wavefront6targetE1EEEvT1_,"axG",@progbits,_ZN7rocprim17ROCPRIM_400000_NS6detail17trampoline_kernelINS0_14default_configENS1_29reduce_by_key_config_selectorIjjN6thrust23THRUST_200600_302600_NS4plusIjEEEEZZNS1_33reduce_by_key_impl_wrapped_configILNS1_25lookback_scan_determinismE0ES3_S9_NS6_6detail15normal_iteratorINS6_10device_ptrIjEEEESG_SG_SG_PmS8_22is_equal_div_10_reduceIjEEE10hipError_tPvRmT2_T3_mT4_T5_T6_T7_T8_P12ihipStream_tbENKUlT_T0_E_clISt17integral_constantIbLb0EES10_IbLb1EEEEDaSW_SX_EUlSW_E_NS1_11comp_targetILNS1_3genE9ELNS1_11target_archE1100ELNS1_3gpuE3ELNS1_3repE0EEENS1_30default_config_static_selectorELNS0_4arch9wavefront6targetE1EEEvT1_,comdat
.Lfunc_end388:
	.size	_ZN7rocprim17ROCPRIM_400000_NS6detail17trampoline_kernelINS0_14default_configENS1_29reduce_by_key_config_selectorIjjN6thrust23THRUST_200600_302600_NS4plusIjEEEEZZNS1_33reduce_by_key_impl_wrapped_configILNS1_25lookback_scan_determinismE0ES3_S9_NS6_6detail15normal_iteratorINS6_10device_ptrIjEEEESG_SG_SG_PmS8_22is_equal_div_10_reduceIjEEE10hipError_tPvRmT2_T3_mT4_T5_T6_T7_T8_P12ihipStream_tbENKUlT_T0_E_clISt17integral_constantIbLb0EES10_IbLb1EEEEDaSW_SX_EUlSW_E_NS1_11comp_targetILNS1_3genE9ELNS1_11target_archE1100ELNS1_3gpuE3ELNS1_3repE0EEENS1_30default_config_static_selectorELNS0_4arch9wavefront6targetE1EEEvT1_, .Lfunc_end388-_ZN7rocprim17ROCPRIM_400000_NS6detail17trampoline_kernelINS0_14default_configENS1_29reduce_by_key_config_selectorIjjN6thrust23THRUST_200600_302600_NS4plusIjEEEEZZNS1_33reduce_by_key_impl_wrapped_configILNS1_25lookback_scan_determinismE0ES3_S9_NS6_6detail15normal_iteratorINS6_10device_ptrIjEEEESG_SG_SG_PmS8_22is_equal_div_10_reduceIjEEE10hipError_tPvRmT2_T3_mT4_T5_T6_T7_T8_P12ihipStream_tbENKUlT_T0_E_clISt17integral_constantIbLb0EES10_IbLb1EEEEDaSW_SX_EUlSW_E_NS1_11comp_targetILNS1_3genE9ELNS1_11target_archE1100ELNS1_3gpuE3ELNS1_3repE0EEENS1_30default_config_static_selectorELNS0_4arch9wavefront6targetE1EEEvT1_
                                        ; -- End function
	.section	.AMDGPU.csdata,"",@progbits
; Kernel info:
; codeLenInByte = 0
; NumSgprs: 4
; NumVgprs: 0
; NumAgprs: 0
; TotalNumVgprs: 0
; ScratchSize: 0
; MemoryBound: 0
; FloatMode: 240
; IeeeMode: 1
; LDSByteSize: 0 bytes/workgroup (compile time only)
; SGPRBlocks: 0
; VGPRBlocks: 0
; NumSGPRsForWavesPerEU: 4
; NumVGPRsForWavesPerEU: 1
; AccumOffset: 4
; Occupancy: 8
; WaveLimiterHint : 0
; COMPUTE_PGM_RSRC2:SCRATCH_EN: 0
; COMPUTE_PGM_RSRC2:USER_SGPR: 6
; COMPUTE_PGM_RSRC2:TRAP_HANDLER: 0
; COMPUTE_PGM_RSRC2:TGID_X_EN: 1
; COMPUTE_PGM_RSRC2:TGID_Y_EN: 0
; COMPUTE_PGM_RSRC2:TGID_Z_EN: 0
; COMPUTE_PGM_RSRC2:TIDIG_COMP_CNT: 0
; COMPUTE_PGM_RSRC3_GFX90A:ACCUM_OFFSET: 0
; COMPUTE_PGM_RSRC3_GFX90A:TG_SPLIT: 0
	.section	.text._ZN7rocprim17ROCPRIM_400000_NS6detail17trampoline_kernelINS0_14default_configENS1_29reduce_by_key_config_selectorIjjN6thrust23THRUST_200600_302600_NS4plusIjEEEEZZNS1_33reduce_by_key_impl_wrapped_configILNS1_25lookback_scan_determinismE0ES3_S9_NS6_6detail15normal_iteratorINS6_10device_ptrIjEEEESG_SG_SG_PmS8_22is_equal_div_10_reduceIjEEE10hipError_tPvRmT2_T3_mT4_T5_T6_T7_T8_P12ihipStream_tbENKUlT_T0_E_clISt17integral_constantIbLb0EES10_IbLb1EEEEDaSW_SX_EUlSW_E_NS1_11comp_targetILNS1_3genE8ELNS1_11target_archE1030ELNS1_3gpuE2ELNS1_3repE0EEENS1_30default_config_static_selectorELNS0_4arch9wavefront6targetE1EEEvT1_,"axG",@progbits,_ZN7rocprim17ROCPRIM_400000_NS6detail17trampoline_kernelINS0_14default_configENS1_29reduce_by_key_config_selectorIjjN6thrust23THRUST_200600_302600_NS4plusIjEEEEZZNS1_33reduce_by_key_impl_wrapped_configILNS1_25lookback_scan_determinismE0ES3_S9_NS6_6detail15normal_iteratorINS6_10device_ptrIjEEEESG_SG_SG_PmS8_22is_equal_div_10_reduceIjEEE10hipError_tPvRmT2_T3_mT4_T5_T6_T7_T8_P12ihipStream_tbENKUlT_T0_E_clISt17integral_constantIbLb0EES10_IbLb1EEEEDaSW_SX_EUlSW_E_NS1_11comp_targetILNS1_3genE8ELNS1_11target_archE1030ELNS1_3gpuE2ELNS1_3repE0EEENS1_30default_config_static_selectorELNS0_4arch9wavefront6targetE1EEEvT1_,comdat
	.protected	_ZN7rocprim17ROCPRIM_400000_NS6detail17trampoline_kernelINS0_14default_configENS1_29reduce_by_key_config_selectorIjjN6thrust23THRUST_200600_302600_NS4plusIjEEEEZZNS1_33reduce_by_key_impl_wrapped_configILNS1_25lookback_scan_determinismE0ES3_S9_NS6_6detail15normal_iteratorINS6_10device_ptrIjEEEESG_SG_SG_PmS8_22is_equal_div_10_reduceIjEEE10hipError_tPvRmT2_T3_mT4_T5_T6_T7_T8_P12ihipStream_tbENKUlT_T0_E_clISt17integral_constantIbLb0EES10_IbLb1EEEEDaSW_SX_EUlSW_E_NS1_11comp_targetILNS1_3genE8ELNS1_11target_archE1030ELNS1_3gpuE2ELNS1_3repE0EEENS1_30default_config_static_selectorELNS0_4arch9wavefront6targetE1EEEvT1_ ; -- Begin function _ZN7rocprim17ROCPRIM_400000_NS6detail17trampoline_kernelINS0_14default_configENS1_29reduce_by_key_config_selectorIjjN6thrust23THRUST_200600_302600_NS4plusIjEEEEZZNS1_33reduce_by_key_impl_wrapped_configILNS1_25lookback_scan_determinismE0ES3_S9_NS6_6detail15normal_iteratorINS6_10device_ptrIjEEEESG_SG_SG_PmS8_22is_equal_div_10_reduceIjEEE10hipError_tPvRmT2_T3_mT4_T5_T6_T7_T8_P12ihipStream_tbENKUlT_T0_E_clISt17integral_constantIbLb0EES10_IbLb1EEEEDaSW_SX_EUlSW_E_NS1_11comp_targetILNS1_3genE8ELNS1_11target_archE1030ELNS1_3gpuE2ELNS1_3repE0EEENS1_30default_config_static_selectorELNS0_4arch9wavefront6targetE1EEEvT1_
	.globl	_ZN7rocprim17ROCPRIM_400000_NS6detail17trampoline_kernelINS0_14default_configENS1_29reduce_by_key_config_selectorIjjN6thrust23THRUST_200600_302600_NS4plusIjEEEEZZNS1_33reduce_by_key_impl_wrapped_configILNS1_25lookback_scan_determinismE0ES3_S9_NS6_6detail15normal_iteratorINS6_10device_ptrIjEEEESG_SG_SG_PmS8_22is_equal_div_10_reduceIjEEE10hipError_tPvRmT2_T3_mT4_T5_T6_T7_T8_P12ihipStream_tbENKUlT_T0_E_clISt17integral_constantIbLb0EES10_IbLb1EEEEDaSW_SX_EUlSW_E_NS1_11comp_targetILNS1_3genE8ELNS1_11target_archE1030ELNS1_3gpuE2ELNS1_3repE0EEENS1_30default_config_static_selectorELNS0_4arch9wavefront6targetE1EEEvT1_
	.p2align	8
	.type	_ZN7rocprim17ROCPRIM_400000_NS6detail17trampoline_kernelINS0_14default_configENS1_29reduce_by_key_config_selectorIjjN6thrust23THRUST_200600_302600_NS4plusIjEEEEZZNS1_33reduce_by_key_impl_wrapped_configILNS1_25lookback_scan_determinismE0ES3_S9_NS6_6detail15normal_iteratorINS6_10device_ptrIjEEEESG_SG_SG_PmS8_22is_equal_div_10_reduceIjEEE10hipError_tPvRmT2_T3_mT4_T5_T6_T7_T8_P12ihipStream_tbENKUlT_T0_E_clISt17integral_constantIbLb0EES10_IbLb1EEEEDaSW_SX_EUlSW_E_NS1_11comp_targetILNS1_3genE8ELNS1_11target_archE1030ELNS1_3gpuE2ELNS1_3repE0EEENS1_30default_config_static_selectorELNS0_4arch9wavefront6targetE1EEEvT1_,@function
_ZN7rocprim17ROCPRIM_400000_NS6detail17trampoline_kernelINS0_14default_configENS1_29reduce_by_key_config_selectorIjjN6thrust23THRUST_200600_302600_NS4plusIjEEEEZZNS1_33reduce_by_key_impl_wrapped_configILNS1_25lookback_scan_determinismE0ES3_S9_NS6_6detail15normal_iteratorINS6_10device_ptrIjEEEESG_SG_SG_PmS8_22is_equal_div_10_reduceIjEEE10hipError_tPvRmT2_T3_mT4_T5_T6_T7_T8_P12ihipStream_tbENKUlT_T0_E_clISt17integral_constantIbLb0EES10_IbLb1EEEEDaSW_SX_EUlSW_E_NS1_11comp_targetILNS1_3genE8ELNS1_11target_archE1030ELNS1_3gpuE2ELNS1_3repE0EEENS1_30default_config_static_selectorELNS0_4arch9wavefront6targetE1EEEvT1_: ; @_ZN7rocprim17ROCPRIM_400000_NS6detail17trampoline_kernelINS0_14default_configENS1_29reduce_by_key_config_selectorIjjN6thrust23THRUST_200600_302600_NS4plusIjEEEEZZNS1_33reduce_by_key_impl_wrapped_configILNS1_25lookback_scan_determinismE0ES3_S9_NS6_6detail15normal_iteratorINS6_10device_ptrIjEEEESG_SG_SG_PmS8_22is_equal_div_10_reduceIjEEE10hipError_tPvRmT2_T3_mT4_T5_T6_T7_T8_P12ihipStream_tbENKUlT_T0_E_clISt17integral_constantIbLb0EES10_IbLb1EEEEDaSW_SX_EUlSW_E_NS1_11comp_targetILNS1_3genE8ELNS1_11target_archE1030ELNS1_3gpuE2ELNS1_3repE0EEENS1_30default_config_static_selectorELNS0_4arch9wavefront6targetE1EEEvT1_
; %bb.0:
	.section	.rodata,"a",@progbits
	.p2align	6, 0x0
	.amdhsa_kernel _ZN7rocprim17ROCPRIM_400000_NS6detail17trampoline_kernelINS0_14default_configENS1_29reduce_by_key_config_selectorIjjN6thrust23THRUST_200600_302600_NS4plusIjEEEEZZNS1_33reduce_by_key_impl_wrapped_configILNS1_25lookback_scan_determinismE0ES3_S9_NS6_6detail15normal_iteratorINS6_10device_ptrIjEEEESG_SG_SG_PmS8_22is_equal_div_10_reduceIjEEE10hipError_tPvRmT2_T3_mT4_T5_T6_T7_T8_P12ihipStream_tbENKUlT_T0_E_clISt17integral_constantIbLb0EES10_IbLb1EEEEDaSW_SX_EUlSW_E_NS1_11comp_targetILNS1_3genE8ELNS1_11target_archE1030ELNS1_3gpuE2ELNS1_3repE0EEENS1_30default_config_static_selectorELNS0_4arch9wavefront6targetE1EEEvT1_
		.amdhsa_group_segment_fixed_size 0
		.amdhsa_private_segment_fixed_size 0
		.amdhsa_kernarg_size 120
		.amdhsa_user_sgpr_count 6
		.amdhsa_user_sgpr_private_segment_buffer 1
		.amdhsa_user_sgpr_dispatch_ptr 0
		.amdhsa_user_sgpr_queue_ptr 0
		.amdhsa_user_sgpr_kernarg_segment_ptr 1
		.amdhsa_user_sgpr_dispatch_id 0
		.amdhsa_user_sgpr_flat_scratch_init 0
		.amdhsa_user_sgpr_kernarg_preload_length 0
		.amdhsa_user_sgpr_kernarg_preload_offset 0
		.amdhsa_user_sgpr_private_segment_size 0
		.amdhsa_uses_dynamic_stack 0
		.amdhsa_system_sgpr_private_segment_wavefront_offset 0
		.amdhsa_system_sgpr_workgroup_id_x 1
		.amdhsa_system_sgpr_workgroup_id_y 0
		.amdhsa_system_sgpr_workgroup_id_z 0
		.amdhsa_system_sgpr_workgroup_info 0
		.amdhsa_system_vgpr_workitem_id 0
		.amdhsa_next_free_vgpr 1
		.amdhsa_next_free_sgpr 0
		.amdhsa_accum_offset 4
		.amdhsa_reserve_vcc 0
		.amdhsa_reserve_flat_scratch 0
		.amdhsa_float_round_mode_32 0
		.amdhsa_float_round_mode_16_64 0
		.amdhsa_float_denorm_mode_32 3
		.amdhsa_float_denorm_mode_16_64 3
		.amdhsa_dx10_clamp 1
		.amdhsa_ieee_mode 1
		.amdhsa_fp16_overflow 0
		.amdhsa_tg_split 0
		.amdhsa_exception_fp_ieee_invalid_op 0
		.amdhsa_exception_fp_denorm_src 0
		.amdhsa_exception_fp_ieee_div_zero 0
		.amdhsa_exception_fp_ieee_overflow 0
		.amdhsa_exception_fp_ieee_underflow 0
		.amdhsa_exception_fp_ieee_inexact 0
		.amdhsa_exception_int_div_zero 0
	.end_amdhsa_kernel
	.section	.text._ZN7rocprim17ROCPRIM_400000_NS6detail17trampoline_kernelINS0_14default_configENS1_29reduce_by_key_config_selectorIjjN6thrust23THRUST_200600_302600_NS4plusIjEEEEZZNS1_33reduce_by_key_impl_wrapped_configILNS1_25lookback_scan_determinismE0ES3_S9_NS6_6detail15normal_iteratorINS6_10device_ptrIjEEEESG_SG_SG_PmS8_22is_equal_div_10_reduceIjEEE10hipError_tPvRmT2_T3_mT4_T5_T6_T7_T8_P12ihipStream_tbENKUlT_T0_E_clISt17integral_constantIbLb0EES10_IbLb1EEEEDaSW_SX_EUlSW_E_NS1_11comp_targetILNS1_3genE8ELNS1_11target_archE1030ELNS1_3gpuE2ELNS1_3repE0EEENS1_30default_config_static_selectorELNS0_4arch9wavefront6targetE1EEEvT1_,"axG",@progbits,_ZN7rocprim17ROCPRIM_400000_NS6detail17trampoline_kernelINS0_14default_configENS1_29reduce_by_key_config_selectorIjjN6thrust23THRUST_200600_302600_NS4plusIjEEEEZZNS1_33reduce_by_key_impl_wrapped_configILNS1_25lookback_scan_determinismE0ES3_S9_NS6_6detail15normal_iteratorINS6_10device_ptrIjEEEESG_SG_SG_PmS8_22is_equal_div_10_reduceIjEEE10hipError_tPvRmT2_T3_mT4_T5_T6_T7_T8_P12ihipStream_tbENKUlT_T0_E_clISt17integral_constantIbLb0EES10_IbLb1EEEEDaSW_SX_EUlSW_E_NS1_11comp_targetILNS1_3genE8ELNS1_11target_archE1030ELNS1_3gpuE2ELNS1_3repE0EEENS1_30default_config_static_selectorELNS0_4arch9wavefront6targetE1EEEvT1_,comdat
.Lfunc_end389:
	.size	_ZN7rocprim17ROCPRIM_400000_NS6detail17trampoline_kernelINS0_14default_configENS1_29reduce_by_key_config_selectorIjjN6thrust23THRUST_200600_302600_NS4plusIjEEEEZZNS1_33reduce_by_key_impl_wrapped_configILNS1_25lookback_scan_determinismE0ES3_S9_NS6_6detail15normal_iteratorINS6_10device_ptrIjEEEESG_SG_SG_PmS8_22is_equal_div_10_reduceIjEEE10hipError_tPvRmT2_T3_mT4_T5_T6_T7_T8_P12ihipStream_tbENKUlT_T0_E_clISt17integral_constantIbLb0EES10_IbLb1EEEEDaSW_SX_EUlSW_E_NS1_11comp_targetILNS1_3genE8ELNS1_11target_archE1030ELNS1_3gpuE2ELNS1_3repE0EEENS1_30default_config_static_selectorELNS0_4arch9wavefront6targetE1EEEvT1_, .Lfunc_end389-_ZN7rocprim17ROCPRIM_400000_NS6detail17trampoline_kernelINS0_14default_configENS1_29reduce_by_key_config_selectorIjjN6thrust23THRUST_200600_302600_NS4plusIjEEEEZZNS1_33reduce_by_key_impl_wrapped_configILNS1_25lookback_scan_determinismE0ES3_S9_NS6_6detail15normal_iteratorINS6_10device_ptrIjEEEESG_SG_SG_PmS8_22is_equal_div_10_reduceIjEEE10hipError_tPvRmT2_T3_mT4_T5_T6_T7_T8_P12ihipStream_tbENKUlT_T0_E_clISt17integral_constantIbLb0EES10_IbLb1EEEEDaSW_SX_EUlSW_E_NS1_11comp_targetILNS1_3genE8ELNS1_11target_archE1030ELNS1_3gpuE2ELNS1_3repE0EEENS1_30default_config_static_selectorELNS0_4arch9wavefront6targetE1EEEvT1_
                                        ; -- End function
	.section	.AMDGPU.csdata,"",@progbits
; Kernel info:
; codeLenInByte = 0
; NumSgprs: 4
; NumVgprs: 0
; NumAgprs: 0
; TotalNumVgprs: 0
; ScratchSize: 0
; MemoryBound: 0
; FloatMode: 240
; IeeeMode: 1
; LDSByteSize: 0 bytes/workgroup (compile time only)
; SGPRBlocks: 0
; VGPRBlocks: 0
; NumSGPRsForWavesPerEU: 4
; NumVGPRsForWavesPerEU: 1
; AccumOffset: 4
; Occupancy: 8
; WaveLimiterHint : 0
; COMPUTE_PGM_RSRC2:SCRATCH_EN: 0
; COMPUTE_PGM_RSRC2:USER_SGPR: 6
; COMPUTE_PGM_RSRC2:TRAP_HANDLER: 0
; COMPUTE_PGM_RSRC2:TGID_X_EN: 1
; COMPUTE_PGM_RSRC2:TGID_Y_EN: 0
; COMPUTE_PGM_RSRC2:TGID_Z_EN: 0
; COMPUTE_PGM_RSRC2:TIDIG_COMP_CNT: 0
; COMPUTE_PGM_RSRC3_GFX90A:ACCUM_OFFSET: 0
; COMPUTE_PGM_RSRC3_GFX90A:TG_SPLIT: 0
	.section	.text._ZN6thrust23THRUST_200600_302600_NS11hip_rocprim14__parallel_for6kernelILj256ENS1_20__uninitialized_fill7functorINS0_10device_ptrItEEtEEmLj1EEEvT0_T1_SA_,"axG",@progbits,_ZN6thrust23THRUST_200600_302600_NS11hip_rocprim14__parallel_for6kernelILj256ENS1_20__uninitialized_fill7functorINS0_10device_ptrItEEtEEmLj1EEEvT0_T1_SA_,comdat
	.protected	_ZN6thrust23THRUST_200600_302600_NS11hip_rocprim14__parallel_for6kernelILj256ENS1_20__uninitialized_fill7functorINS0_10device_ptrItEEtEEmLj1EEEvT0_T1_SA_ ; -- Begin function _ZN6thrust23THRUST_200600_302600_NS11hip_rocprim14__parallel_for6kernelILj256ENS1_20__uninitialized_fill7functorINS0_10device_ptrItEEtEEmLj1EEEvT0_T1_SA_
	.globl	_ZN6thrust23THRUST_200600_302600_NS11hip_rocprim14__parallel_for6kernelILj256ENS1_20__uninitialized_fill7functorINS0_10device_ptrItEEtEEmLj1EEEvT0_T1_SA_
	.p2align	8
	.type	_ZN6thrust23THRUST_200600_302600_NS11hip_rocprim14__parallel_for6kernelILj256ENS1_20__uninitialized_fill7functorINS0_10device_ptrItEEtEEmLj1EEEvT0_T1_SA_,@function
_ZN6thrust23THRUST_200600_302600_NS11hip_rocprim14__parallel_for6kernelILj256ENS1_20__uninitialized_fill7functorINS0_10device_ptrItEEtEEmLj1EEEvT0_T1_SA_: ; @_ZN6thrust23THRUST_200600_302600_NS11hip_rocprim14__parallel_for6kernelILj256ENS1_20__uninitialized_fill7functorINS0_10device_ptrItEEtEEmLj1EEEvT0_T1_SA_
; %bb.0:
	s_load_dwordx4 s[8:11], s[4:5], 0x10
	s_lshl_b32 s0, s6, 8
	v_mov_b32_e32 v2, 0x100
	v_mov_b32_e32 v3, 0
	s_waitcnt lgkmcnt(0)
	s_add_u32 s0, s0, s10
	s_addc_u32 s1, 0, s11
	s_sub_u32 s2, s8, s0
	s_subb_u32 s3, s9, s1
	v_cmp_lt_u64_e32 vcc, s[2:3], v[2:3]
	s_cbranch_vccz .LBB390_2
; %bb.1:
	v_cmp_gt_u32_e32 vcc, s2, v0
	s_and_b64 s[2:3], vcc, exec
	s_cbranch_execz .LBB390_3
	s_branch .LBB390_4
.LBB390_2:
	s_mov_b64 s[2:3], 0
.LBB390_3:
	s_or_b64 s[2:3], s[2:3], exec
.LBB390_4:
	s_and_saveexec_b64 s[6:7], s[2:3]
	s_cbranch_execnz .LBB390_6
; %bb.5:
	s_endpgm
.LBB390_6:
	s_load_dwordx2 s[2:3], s[4:5], 0x0
	s_load_dword s6, s[4:5], 0x8
	s_lshl_b64 s[0:1], s[0:1], 1
	v_mov_b32_e32 v1, 0
	v_lshlrev_b64 v[0:1], 1, v[0:1]
	s_waitcnt lgkmcnt(0)
	s_add_u32 s0, s2, s0
	s_addc_u32 s1, s3, s1
	v_mov_b32_e32 v2, s1
	v_add_co_u32_e32 v0, vcc, s0, v0
	v_addc_co_u32_e32 v1, vcc, v2, v1, vcc
	v_mov_b32_e32 v2, s6
	flat_store_short v[0:1], v2
	s_endpgm
	.section	.rodata,"a",@progbits
	.p2align	6, 0x0
	.amdhsa_kernel _ZN6thrust23THRUST_200600_302600_NS11hip_rocprim14__parallel_for6kernelILj256ENS1_20__uninitialized_fill7functorINS0_10device_ptrItEEtEEmLj1EEEvT0_T1_SA_
		.amdhsa_group_segment_fixed_size 0
		.amdhsa_private_segment_fixed_size 0
		.amdhsa_kernarg_size 32
		.amdhsa_user_sgpr_count 6
		.amdhsa_user_sgpr_private_segment_buffer 1
		.amdhsa_user_sgpr_dispatch_ptr 0
		.amdhsa_user_sgpr_queue_ptr 0
		.amdhsa_user_sgpr_kernarg_segment_ptr 1
		.amdhsa_user_sgpr_dispatch_id 0
		.amdhsa_user_sgpr_flat_scratch_init 0
		.amdhsa_user_sgpr_kernarg_preload_length 0
		.amdhsa_user_sgpr_kernarg_preload_offset 0
		.amdhsa_user_sgpr_private_segment_size 0
		.amdhsa_uses_dynamic_stack 0
		.amdhsa_system_sgpr_private_segment_wavefront_offset 0
		.amdhsa_system_sgpr_workgroup_id_x 1
		.amdhsa_system_sgpr_workgroup_id_y 0
		.amdhsa_system_sgpr_workgroup_id_z 0
		.amdhsa_system_sgpr_workgroup_info 0
		.amdhsa_system_vgpr_workitem_id 0
		.amdhsa_next_free_vgpr 4
		.amdhsa_next_free_sgpr 12
		.amdhsa_accum_offset 4
		.amdhsa_reserve_vcc 1
		.amdhsa_reserve_flat_scratch 0
		.amdhsa_float_round_mode_32 0
		.amdhsa_float_round_mode_16_64 0
		.amdhsa_float_denorm_mode_32 3
		.amdhsa_float_denorm_mode_16_64 3
		.amdhsa_dx10_clamp 1
		.amdhsa_ieee_mode 1
		.amdhsa_fp16_overflow 0
		.amdhsa_tg_split 0
		.amdhsa_exception_fp_ieee_invalid_op 0
		.amdhsa_exception_fp_denorm_src 0
		.amdhsa_exception_fp_ieee_div_zero 0
		.amdhsa_exception_fp_ieee_overflow 0
		.amdhsa_exception_fp_ieee_underflow 0
		.amdhsa_exception_fp_ieee_inexact 0
		.amdhsa_exception_int_div_zero 0
	.end_amdhsa_kernel
	.section	.text._ZN6thrust23THRUST_200600_302600_NS11hip_rocprim14__parallel_for6kernelILj256ENS1_20__uninitialized_fill7functorINS0_10device_ptrItEEtEEmLj1EEEvT0_T1_SA_,"axG",@progbits,_ZN6thrust23THRUST_200600_302600_NS11hip_rocprim14__parallel_for6kernelILj256ENS1_20__uninitialized_fill7functorINS0_10device_ptrItEEtEEmLj1EEEvT0_T1_SA_,comdat
.Lfunc_end390:
	.size	_ZN6thrust23THRUST_200600_302600_NS11hip_rocprim14__parallel_for6kernelILj256ENS1_20__uninitialized_fill7functorINS0_10device_ptrItEEtEEmLj1EEEvT0_T1_SA_, .Lfunc_end390-_ZN6thrust23THRUST_200600_302600_NS11hip_rocprim14__parallel_for6kernelILj256ENS1_20__uninitialized_fill7functorINS0_10device_ptrItEEtEEmLj1EEEvT0_T1_SA_
                                        ; -- End function
	.section	.AMDGPU.csdata,"",@progbits
; Kernel info:
; codeLenInByte = 160
; NumSgprs: 16
; NumVgprs: 4
; NumAgprs: 0
; TotalNumVgprs: 4
; ScratchSize: 0
; MemoryBound: 0
; FloatMode: 240
; IeeeMode: 1
; LDSByteSize: 0 bytes/workgroup (compile time only)
; SGPRBlocks: 1
; VGPRBlocks: 0
; NumSGPRsForWavesPerEU: 16
; NumVGPRsForWavesPerEU: 4
; AccumOffset: 4
; Occupancy: 8
; WaveLimiterHint : 0
; COMPUTE_PGM_RSRC2:SCRATCH_EN: 0
; COMPUTE_PGM_RSRC2:USER_SGPR: 6
; COMPUTE_PGM_RSRC2:TRAP_HANDLER: 0
; COMPUTE_PGM_RSRC2:TGID_X_EN: 1
; COMPUTE_PGM_RSRC2:TGID_Y_EN: 0
; COMPUTE_PGM_RSRC2:TGID_Z_EN: 0
; COMPUTE_PGM_RSRC2:TIDIG_COMP_CNT: 0
; COMPUTE_PGM_RSRC3_GFX90A:ACCUM_OFFSET: 0
; COMPUTE_PGM_RSRC3_GFX90A:TG_SPLIT: 0
	.section	.text._ZN7rocprim17ROCPRIM_400000_NS6detail25reduce_by_key_init_kernelINS1_19lookback_scan_stateINS0_5tupleIJjtEEELb0ELb1EEEtNS1_16block_id_wrapperIjLb0EEEEEvT_jbjPmPT0_T1_,"axG",@progbits,_ZN7rocprim17ROCPRIM_400000_NS6detail25reduce_by_key_init_kernelINS1_19lookback_scan_stateINS0_5tupleIJjtEEELb0ELb1EEEtNS1_16block_id_wrapperIjLb0EEEEEvT_jbjPmPT0_T1_,comdat
	.protected	_ZN7rocprim17ROCPRIM_400000_NS6detail25reduce_by_key_init_kernelINS1_19lookback_scan_stateINS0_5tupleIJjtEEELb0ELb1EEEtNS1_16block_id_wrapperIjLb0EEEEEvT_jbjPmPT0_T1_ ; -- Begin function _ZN7rocprim17ROCPRIM_400000_NS6detail25reduce_by_key_init_kernelINS1_19lookback_scan_stateINS0_5tupleIJjtEEELb0ELb1EEEtNS1_16block_id_wrapperIjLb0EEEEEvT_jbjPmPT0_T1_
	.globl	_ZN7rocprim17ROCPRIM_400000_NS6detail25reduce_by_key_init_kernelINS1_19lookback_scan_stateINS0_5tupleIJjtEEELb0ELb1EEEtNS1_16block_id_wrapperIjLb0EEEEEvT_jbjPmPT0_T1_
	.p2align	8
	.type	_ZN7rocprim17ROCPRIM_400000_NS6detail25reduce_by_key_init_kernelINS1_19lookback_scan_stateINS0_5tupleIJjtEEELb0ELb1EEEtNS1_16block_id_wrapperIjLb0EEEEEvT_jbjPmPT0_T1_,@function
_ZN7rocprim17ROCPRIM_400000_NS6detail25reduce_by_key_init_kernelINS1_19lookback_scan_stateINS0_5tupleIJjtEEELb0ELb1EEEtNS1_16block_id_wrapperIjLb0EEEEEvT_jbjPmPT0_T1_: ; @_ZN7rocprim17ROCPRIM_400000_NS6detail25reduce_by_key_init_kernelINS1_19lookback_scan_stateINS0_5tupleIJjtEEELb0ELb1EEEtNS1_16block_id_wrapperIjLb0EEEEEvT_jbjPmPT0_T1_
; %bb.0:
	s_load_dwordx8 s[8:15], s[4:5], 0x8
	s_load_dword s2, s[4:5], 0x3c
	s_load_dwordx2 s[0:1], s[4:5], 0x0
	s_waitcnt lgkmcnt(0)
	s_and_b32 s3, s9, 1
	s_and_b32 s2, s2, 0xffff
	s_mul_i32 s6, s6, s2
	s_cmp_eq_u32 s3, 0
	v_add_u32_e32 v0, s6, v0
	s_mov_b64 s[2:3], -1
	s_cbranch_scc1 .LBB391_5
; %bb.1:
	s_andn2_b64 vcc, exec, s[2:3]
	s_cbranch_vccz .LBB391_12
.LBB391_2:
	v_cmp_gt_u32_e32 vcc, s8, v0
	s_and_saveexec_b64 s[2:3], vcc
	s_cbranch_execnz .LBB391_15
.LBB391_3:
	s_or_b64 exec, exec, s[2:3]
	v_cmp_gt_u32_e32 vcc, 64, v0
	s_and_saveexec_b64 s[2:3], vcc
	s_cbranch_execnz .LBB391_16
.LBB391_4:
	s_endpgm
.LBB391_5:
	s_cmp_lt_u32 s10, s8
	s_cselect_b32 s2, s10, 0
	v_cmp_eq_u32_e32 vcc, s2, v0
	s_and_saveexec_b64 s[2:3], vcc
	s_cbranch_execz .LBB391_11
; %bb.6:
	s_add_i32 s4, s10, 64
	s_mov_b32 s5, 0
	s_lshl_b64 s[4:5], s[4:5], 4
	s_add_u32 s10, s0, s4
	s_addc_u32 s11, s1, s5
	v_pk_mov_b32 v[2:3], s[10:11], s[10:11] op_sel:[0,1]
	;;#ASMSTART
	global_load_dwordx4 v[2:5], v[2:3] off glc	
s_waitcnt vmcnt(0)
	;;#ASMEND
	v_mov_b32_e32 v7, 0
	v_and_b32_e32 v6, 0xff, v4
	s_mov_b64 s[6:7], 0
	v_cmp_eq_u64_e32 vcc, 0, v[6:7]
	s_and_saveexec_b64 s[4:5], vcc
	s_cbranch_execz .LBB391_10
; %bb.7:
	v_pk_mov_b32 v[8:9], s[10:11], s[10:11] op_sel:[0,1]
.LBB391_8:                              ; =>This Inner Loop Header: Depth=1
	;;#ASMSTART
	global_load_dwordx4 v[2:5], v[8:9] off glc	
s_waitcnt vmcnt(0)
	;;#ASMEND
	v_and_b32_e32 v6, 0xff, v4
	v_cmp_ne_u64_e32 vcc, 0, v[6:7]
	s_or_b64 s[6:7], vcc, s[6:7]
	s_andn2_b64 exec, exec, s[6:7]
	s_cbranch_execnz .LBB391_8
; %bb.9:
	s_or_b64 exec, exec, s[6:7]
.LBB391_10:
	s_or_b64 exec, exec, s[4:5]
	v_mov_b32_e32 v1, 0
	global_load_dwordx2 v[4:5], v1, s[12:13]
	s_waitcnt vmcnt(0)
	v_add_co_u32_e32 v4, vcc, v4, v2
	v_addc_co_u32_e32 v5, vcc, 0, v5, vcc
	global_store_dwordx2 v1, v[4:5], s[12:13]
	global_store_short v1, v3, s[14:15]
.LBB391_11:
	s_or_b64 exec, exec, s[2:3]
	s_cbranch_execnz .LBB391_2
.LBB391_12:
	s_cmp_lg_u64 s[12:13], 0
	s_cselect_b64 s[2:3], -1, 0
	v_cmp_eq_u32_e32 vcc, 0, v0
	s_and_b64 s[4:5], s[2:3], vcc
	s_and_saveexec_b64 s[2:3], s[4:5]
	s_cbranch_execz .LBB391_14
; %bb.13:
	v_mov_b32_e32 v2, 0
	v_mov_b32_e32 v3, v2
	global_store_dwordx2 v2, v[2:3], s[12:13]
.LBB391_14:
	s_or_b64 exec, exec, s[2:3]
	v_cmp_gt_u32_e32 vcc, s8, v0
	s_and_saveexec_b64 s[2:3], vcc
	s_cbranch_execz .LBB391_3
.LBB391_15:
	v_add_u32_e32 v2, 64, v0
	v_mov_b32_e32 v3, 0
	v_lshlrev_b64 v[4:5], 4, v[2:3]
	v_mov_b32_e32 v1, s1
	v_add_co_u32_e32 v6, vcc, s0, v4
	v_addc_co_u32_e32 v7, vcc, v1, v5, vcc
	v_mov_b32_e32 v2, v3
	v_mov_b32_e32 v4, v3
	;; [unrolled: 1-line block ×3, first 2 shown]
	global_store_dwordx4 v[6:7], v[2:5], off
	s_or_b64 exec, exec, s[2:3]
	v_cmp_gt_u32_e32 vcc, 64, v0
	s_and_saveexec_b64 s[2:3], vcc
	s_cbranch_execz .LBB391_4
.LBB391_16:
	v_mov_b32_e32 v1, 0
	v_lshlrev_b64 v[2:3], 4, v[0:1]
	v_mov_b32_e32 v0, s1
	v_add_co_u32_e32 v4, vcc, s0, v2
	v_addc_co_u32_e32 v5, vcc, v0, v3, vcc
	v_mov_b32_e32 v2, 0xff
	v_mov_b32_e32 v0, v1
	;; [unrolled: 1-line block ×3, first 2 shown]
	global_store_dwordx4 v[4:5], v[0:3], off
	s_endpgm
	.section	.rodata,"a",@progbits
	.p2align	6, 0x0
	.amdhsa_kernel _ZN7rocprim17ROCPRIM_400000_NS6detail25reduce_by_key_init_kernelINS1_19lookback_scan_stateINS0_5tupleIJjtEEELb0ELb1EEEtNS1_16block_id_wrapperIjLb0EEEEEvT_jbjPmPT0_T1_
		.amdhsa_group_segment_fixed_size 0
		.amdhsa_private_segment_fixed_size 0
		.amdhsa_kernarg_size 304
		.amdhsa_user_sgpr_count 6
		.amdhsa_user_sgpr_private_segment_buffer 1
		.amdhsa_user_sgpr_dispatch_ptr 0
		.amdhsa_user_sgpr_queue_ptr 0
		.amdhsa_user_sgpr_kernarg_segment_ptr 1
		.amdhsa_user_sgpr_dispatch_id 0
		.amdhsa_user_sgpr_flat_scratch_init 0
		.amdhsa_user_sgpr_kernarg_preload_length 0
		.amdhsa_user_sgpr_kernarg_preload_offset 0
		.amdhsa_user_sgpr_private_segment_size 0
		.amdhsa_uses_dynamic_stack 0
		.amdhsa_system_sgpr_private_segment_wavefront_offset 0
		.amdhsa_system_sgpr_workgroup_id_x 1
		.amdhsa_system_sgpr_workgroup_id_y 0
		.amdhsa_system_sgpr_workgroup_id_z 0
		.amdhsa_system_sgpr_workgroup_info 0
		.amdhsa_system_vgpr_workitem_id 0
		.amdhsa_next_free_vgpr 10
		.amdhsa_next_free_sgpr 16
		.amdhsa_accum_offset 12
		.amdhsa_reserve_vcc 1
		.amdhsa_reserve_flat_scratch 0
		.amdhsa_float_round_mode_32 0
		.amdhsa_float_round_mode_16_64 0
		.amdhsa_float_denorm_mode_32 3
		.amdhsa_float_denorm_mode_16_64 3
		.amdhsa_dx10_clamp 1
		.amdhsa_ieee_mode 1
		.amdhsa_fp16_overflow 0
		.amdhsa_tg_split 0
		.amdhsa_exception_fp_ieee_invalid_op 0
		.amdhsa_exception_fp_denorm_src 0
		.amdhsa_exception_fp_ieee_div_zero 0
		.amdhsa_exception_fp_ieee_overflow 0
		.amdhsa_exception_fp_ieee_underflow 0
		.amdhsa_exception_fp_ieee_inexact 0
		.amdhsa_exception_int_div_zero 0
	.end_amdhsa_kernel
	.section	.text._ZN7rocprim17ROCPRIM_400000_NS6detail25reduce_by_key_init_kernelINS1_19lookback_scan_stateINS0_5tupleIJjtEEELb0ELb1EEEtNS1_16block_id_wrapperIjLb0EEEEEvT_jbjPmPT0_T1_,"axG",@progbits,_ZN7rocprim17ROCPRIM_400000_NS6detail25reduce_by_key_init_kernelINS1_19lookback_scan_stateINS0_5tupleIJjtEEELb0ELb1EEEtNS1_16block_id_wrapperIjLb0EEEEEvT_jbjPmPT0_T1_,comdat
.Lfunc_end391:
	.size	_ZN7rocprim17ROCPRIM_400000_NS6detail25reduce_by_key_init_kernelINS1_19lookback_scan_stateINS0_5tupleIJjtEEELb0ELb1EEEtNS1_16block_id_wrapperIjLb0EEEEEvT_jbjPmPT0_T1_, .Lfunc_end391-_ZN7rocprim17ROCPRIM_400000_NS6detail25reduce_by_key_init_kernelINS1_19lookback_scan_stateINS0_5tupleIJjtEEELb0ELb1EEEtNS1_16block_id_wrapperIjLb0EEEEEvT_jbjPmPT0_T1_
                                        ; -- End function
	.section	.AMDGPU.csdata,"",@progbits
; Kernel info:
; codeLenInByte = 468
; NumSgprs: 20
; NumVgprs: 10
; NumAgprs: 0
; TotalNumVgprs: 10
; ScratchSize: 0
; MemoryBound: 0
; FloatMode: 240
; IeeeMode: 1
; LDSByteSize: 0 bytes/workgroup (compile time only)
; SGPRBlocks: 2
; VGPRBlocks: 1
; NumSGPRsForWavesPerEU: 20
; NumVGPRsForWavesPerEU: 10
; AccumOffset: 12
; Occupancy: 8
; WaveLimiterHint : 0
; COMPUTE_PGM_RSRC2:SCRATCH_EN: 0
; COMPUTE_PGM_RSRC2:USER_SGPR: 6
; COMPUTE_PGM_RSRC2:TRAP_HANDLER: 0
; COMPUTE_PGM_RSRC2:TGID_X_EN: 1
; COMPUTE_PGM_RSRC2:TGID_Y_EN: 0
; COMPUTE_PGM_RSRC2:TGID_Z_EN: 0
; COMPUTE_PGM_RSRC2:TIDIG_COMP_CNT: 0
; COMPUTE_PGM_RSRC3_GFX90A:ACCUM_OFFSET: 2
; COMPUTE_PGM_RSRC3_GFX90A:TG_SPLIT: 0
	.section	.text._ZN7rocprim17ROCPRIM_400000_NS6detail17trampoline_kernelINS0_14default_configENS1_29reduce_by_key_config_selectorIttN6thrust23THRUST_200600_302600_NS4plusItEEEEZZNS1_33reduce_by_key_impl_wrapped_configILNS1_25lookback_scan_determinismE0ES3_S9_NS6_6detail15normal_iteratorINS6_10device_ptrItEEEESG_SG_SG_PmS8_NS6_8equal_toItEEEE10hipError_tPvRmT2_T3_mT4_T5_T6_T7_T8_P12ihipStream_tbENKUlT_T0_E_clISt17integral_constantIbLb0EES11_EEDaSW_SX_EUlSW_E_NS1_11comp_targetILNS1_3genE0ELNS1_11target_archE4294967295ELNS1_3gpuE0ELNS1_3repE0EEENS1_30default_config_static_selectorELNS0_4arch9wavefront6targetE1EEEvT1_,"axG",@progbits,_ZN7rocprim17ROCPRIM_400000_NS6detail17trampoline_kernelINS0_14default_configENS1_29reduce_by_key_config_selectorIttN6thrust23THRUST_200600_302600_NS4plusItEEEEZZNS1_33reduce_by_key_impl_wrapped_configILNS1_25lookback_scan_determinismE0ES3_S9_NS6_6detail15normal_iteratorINS6_10device_ptrItEEEESG_SG_SG_PmS8_NS6_8equal_toItEEEE10hipError_tPvRmT2_T3_mT4_T5_T6_T7_T8_P12ihipStream_tbENKUlT_T0_E_clISt17integral_constantIbLb0EES11_EEDaSW_SX_EUlSW_E_NS1_11comp_targetILNS1_3genE0ELNS1_11target_archE4294967295ELNS1_3gpuE0ELNS1_3repE0EEENS1_30default_config_static_selectorELNS0_4arch9wavefront6targetE1EEEvT1_,comdat
	.protected	_ZN7rocprim17ROCPRIM_400000_NS6detail17trampoline_kernelINS0_14default_configENS1_29reduce_by_key_config_selectorIttN6thrust23THRUST_200600_302600_NS4plusItEEEEZZNS1_33reduce_by_key_impl_wrapped_configILNS1_25lookback_scan_determinismE0ES3_S9_NS6_6detail15normal_iteratorINS6_10device_ptrItEEEESG_SG_SG_PmS8_NS6_8equal_toItEEEE10hipError_tPvRmT2_T3_mT4_T5_T6_T7_T8_P12ihipStream_tbENKUlT_T0_E_clISt17integral_constantIbLb0EES11_EEDaSW_SX_EUlSW_E_NS1_11comp_targetILNS1_3genE0ELNS1_11target_archE4294967295ELNS1_3gpuE0ELNS1_3repE0EEENS1_30default_config_static_selectorELNS0_4arch9wavefront6targetE1EEEvT1_ ; -- Begin function _ZN7rocprim17ROCPRIM_400000_NS6detail17trampoline_kernelINS0_14default_configENS1_29reduce_by_key_config_selectorIttN6thrust23THRUST_200600_302600_NS4plusItEEEEZZNS1_33reduce_by_key_impl_wrapped_configILNS1_25lookback_scan_determinismE0ES3_S9_NS6_6detail15normal_iteratorINS6_10device_ptrItEEEESG_SG_SG_PmS8_NS6_8equal_toItEEEE10hipError_tPvRmT2_T3_mT4_T5_T6_T7_T8_P12ihipStream_tbENKUlT_T0_E_clISt17integral_constantIbLb0EES11_EEDaSW_SX_EUlSW_E_NS1_11comp_targetILNS1_3genE0ELNS1_11target_archE4294967295ELNS1_3gpuE0ELNS1_3repE0EEENS1_30default_config_static_selectorELNS0_4arch9wavefront6targetE1EEEvT1_
	.globl	_ZN7rocprim17ROCPRIM_400000_NS6detail17trampoline_kernelINS0_14default_configENS1_29reduce_by_key_config_selectorIttN6thrust23THRUST_200600_302600_NS4plusItEEEEZZNS1_33reduce_by_key_impl_wrapped_configILNS1_25lookback_scan_determinismE0ES3_S9_NS6_6detail15normal_iteratorINS6_10device_ptrItEEEESG_SG_SG_PmS8_NS6_8equal_toItEEEE10hipError_tPvRmT2_T3_mT4_T5_T6_T7_T8_P12ihipStream_tbENKUlT_T0_E_clISt17integral_constantIbLb0EES11_EEDaSW_SX_EUlSW_E_NS1_11comp_targetILNS1_3genE0ELNS1_11target_archE4294967295ELNS1_3gpuE0ELNS1_3repE0EEENS1_30default_config_static_selectorELNS0_4arch9wavefront6targetE1EEEvT1_
	.p2align	8
	.type	_ZN7rocprim17ROCPRIM_400000_NS6detail17trampoline_kernelINS0_14default_configENS1_29reduce_by_key_config_selectorIttN6thrust23THRUST_200600_302600_NS4plusItEEEEZZNS1_33reduce_by_key_impl_wrapped_configILNS1_25lookback_scan_determinismE0ES3_S9_NS6_6detail15normal_iteratorINS6_10device_ptrItEEEESG_SG_SG_PmS8_NS6_8equal_toItEEEE10hipError_tPvRmT2_T3_mT4_T5_T6_T7_T8_P12ihipStream_tbENKUlT_T0_E_clISt17integral_constantIbLb0EES11_EEDaSW_SX_EUlSW_E_NS1_11comp_targetILNS1_3genE0ELNS1_11target_archE4294967295ELNS1_3gpuE0ELNS1_3repE0EEENS1_30default_config_static_selectorELNS0_4arch9wavefront6targetE1EEEvT1_,@function
_ZN7rocprim17ROCPRIM_400000_NS6detail17trampoline_kernelINS0_14default_configENS1_29reduce_by_key_config_selectorIttN6thrust23THRUST_200600_302600_NS4plusItEEEEZZNS1_33reduce_by_key_impl_wrapped_configILNS1_25lookback_scan_determinismE0ES3_S9_NS6_6detail15normal_iteratorINS6_10device_ptrItEEEESG_SG_SG_PmS8_NS6_8equal_toItEEEE10hipError_tPvRmT2_T3_mT4_T5_T6_T7_T8_P12ihipStream_tbENKUlT_T0_E_clISt17integral_constantIbLb0EES11_EEDaSW_SX_EUlSW_E_NS1_11comp_targetILNS1_3genE0ELNS1_11target_archE4294967295ELNS1_3gpuE0ELNS1_3repE0EEENS1_30default_config_static_selectorELNS0_4arch9wavefront6targetE1EEEvT1_: ; @_ZN7rocprim17ROCPRIM_400000_NS6detail17trampoline_kernelINS0_14default_configENS1_29reduce_by_key_config_selectorIttN6thrust23THRUST_200600_302600_NS4plusItEEEEZZNS1_33reduce_by_key_impl_wrapped_configILNS1_25lookback_scan_determinismE0ES3_S9_NS6_6detail15normal_iteratorINS6_10device_ptrItEEEESG_SG_SG_PmS8_NS6_8equal_toItEEEE10hipError_tPvRmT2_T3_mT4_T5_T6_T7_T8_P12ihipStream_tbENKUlT_T0_E_clISt17integral_constantIbLb0EES11_EEDaSW_SX_EUlSW_E_NS1_11comp_targetILNS1_3genE0ELNS1_11target_archE4294967295ELNS1_3gpuE0ELNS1_3repE0EEENS1_30default_config_static_selectorELNS0_4arch9wavefront6targetE1EEEvT1_
; %bb.0:
	.section	.rodata,"a",@progbits
	.p2align	6, 0x0
	.amdhsa_kernel _ZN7rocprim17ROCPRIM_400000_NS6detail17trampoline_kernelINS0_14default_configENS1_29reduce_by_key_config_selectorIttN6thrust23THRUST_200600_302600_NS4plusItEEEEZZNS1_33reduce_by_key_impl_wrapped_configILNS1_25lookback_scan_determinismE0ES3_S9_NS6_6detail15normal_iteratorINS6_10device_ptrItEEEESG_SG_SG_PmS8_NS6_8equal_toItEEEE10hipError_tPvRmT2_T3_mT4_T5_T6_T7_T8_P12ihipStream_tbENKUlT_T0_E_clISt17integral_constantIbLb0EES11_EEDaSW_SX_EUlSW_E_NS1_11comp_targetILNS1_3genE0ELNS1_11target_archE4294967295ELNS1_3gpuE0ELNS1_3repE0EEENS1_30default_config_static_selectorELNS0_4arch9wavefront6targetE1EEEvT1_
		.amdhsa_group_segment_fixed_size 0
		.amdhsa_private_segment_fixed_size 0
		.amdhsa_kernarg_size 120
		.amdhsa_user_sgpr_count 6
		.amdhsa_user_sgpr_private_segment_buffer 1
		.amdhsa_user_sgpr_dispatch_ptr 0
		.amdhsa_user_sgpr_queue_ptr 0
		.amdhsa_user_sgpr_kernarg_segment_ptr 1
		.amdhsa_user_sgpr_dispatch_id 0
		.amdhsa_user_sgpr_flat_scratch_init 0
		.amdhsa_user_sgpr_kernarg_preload_length 0
		.amdhsa_user_sgpr_kernarg_preload_offset 0
		.amdhsa_user_sgpr_private_segment_size 0
		.amdhsa_uses_dynamic_stack 0
		.amdhsa_system_sgpr_private_segment_wavefront_offset 0
		.amdhsa_system_sgpr_workgroup_id_x 1
		.amdhsa_system_sgpr_workgroup_id_y 0
		.amdhsa_system_sgpr_workgroup_id_z 0
		.amdhsa_system_sgpr_workgroup_info 0
		.amdhsa_system_vgpr_workitem_id 0
		.amdhsa_next_free_vgpr 1
		.amdhsa_next_free_sgpr 0
		.amdhsa_accum_offset 4
		.amdhsa_reserve_vcc 0
		.amdhsa_reserve_flat_scratch 0
		.amdhsa_float_round_mode_32 0
		.amdhsa_float_round_mode_16_64 0
		.amdhsa_float_denorm_mode_32 3
		.amdhsa_float_denorm_mode_16_64 3
		.amdhsa_dx10_clamp 1
		.amdhsa_ieee_mode 1
		.amdhsa_fp16_overflow 0
		.amdhsa_tg_split 0
		.amdhsa_exception_fp_ieee_invalid_op 0
		.amdhsa_exception_fp_denorm_src 0
		.amdhsa_exception_fp_ieee_div_zero 0
		.amdhsa_exception_fp_ieee_overflow 0
		.amdhsa_exception_fp_ieee_underflow 0
		.amdhsa_exception_fp_ieee_inexact 0
		.amdhsa_exception_int_div_zero 0
	.end_amdhsa_kernel
	.section	.text._ZN7rocprim17ROCPRIM_400000_NS6detail17trampoline_kernelINS0_14default_configENS1_29reduce_by_key_config_selectorIttN6thrust23THRUST_200600_302600_NS4plusItEEEEZZNS1_33reduce_by_key_impl_wrapped_configILNS1_25lookback_scan_determinismE0ES3_S9_NS6_6detail15normal_iteratorINS6_10device_ptrItEEEESG_SG_SG_PmS8_NS6_8equal_toItEEEE10hipError_tPvRmT2_T3_mT4_T5_T6_T7_T8_P12ihipStream_tbENKUlT_T0_E_clISt17integral_constantIbLb0EES11_EEDaSW_SX_EUlSW_E_NS1_11comp_targetILNS1_3genE0ELNS1_11target_archE4294967295ELNS1_3gpuE0ELNS1_3repE0EEENS1_30default_config_static_selectorELNS0_4arch9wavefront6targetE1EEEvT1_,"axG",@progbits,_ZN7rocprim17ROCPRIM_400000_NS6detail17trampoline_kernelINS0_14default_configENS1_29reduce_by_key_config_selectorIttN6thrust23THRUST_200600_302600_NS4plusItEEEEZZNS1_33reduce_by_key_impl_wrapped_configILNS1_25lookback_scan_determinismE0ES3_S9_NS6_6detail15normal_iteratorINS6_10device_ptrItEEEESG_SG_SG_PmS8_NS6_8equal_toItEEEE10hipError_tPvRmT2_T3_mT4_T5_T6_T7_T8_P12ihipStream_tbENKUlT_T0_E_clISt17integral_constantIbLb0EES11_EEDaSW_SX_EUlSW_E_NS1_11comp_targetILNS1_3genE0ELNS1_11target_archE4294967295ELNS1_3gpuE0ELNS1_3repE0EEENS1_30default_config_static_selectorELNS0_4arch9wavefront6targetE1EEEvT1_,comdat
.Lfunc_end392:
	.size	_ZN7rocprim17ROCPRIM_400000_NS6detail17trampoline_kernelINS0_14default_configENS1_29reduce_by_key_config_selectorIttN6thrust23THRUST_200600_302600_NS4plusItEEEEZZNS1_33reduce_by_key_impl_wrapped_configILNS1_25lookback_scan_determinismE0ES3_S9_NS6_6detail15normal_iteratorINS6_10device_ptrItEEEESG_SG_SG_PmS8_NS6_8equal_toItEEEE10hipError_tPvRmT2_T3_mT4_T5_T6_T7_T8_P12ihipStream_tbENKUlT_T0_E_clISt17integral_constantIbLb0EES11_EEDaSW_SX_EUlSW_E_NS1_11comp_targetILNS1_3genE0ELNS1_11target_archE4294967295ELNS1_3gpuE0ELNS1_3repE0EEENS1_30default_config_static_selectorELNS0_4arch9wavefront6targetE1EEEvT1_, .Lfunc_end392-_ZN7rocprim17ROCPRIM_400000_NS6detail17trampoline_kernelINS0_14default_configENS1_29reduce_by_key_config_selectorIttN6thrust23THRUST_200600_302600_NS4plusItEEEEZZNS1_33reduce_by_key_impl_wrapped_configILNS1_25lookback_scan_determinismE0ES3_S9_NS6_6detail15normal_iteratorINS6_10device_ptrItEEEESG_SG_SG_PmS8_NS6_8equal_toItEEEE10hipError_tPvRmT2_T3_mT4_T5_T6_T7_T8_P12ihipStream_tbENKUlT_T0_E_clISt17integral_constantIbLb0EES11_EEDaSW_SX_EUlSW_E_NS1_11comp_targetILNS1_3genE0ELNS1_11target_archE4294967295ELNS1_3gpuE0ELNS1_3repE0EEENS1_30default_config_static_selectorELNS0_4arch9wavefront6targetE1EEEvT1_
                                        ; -- End function
	.section	.AMDGPU.csdata,"",@progbits
; Kernel info:
; codeLenInByte = 0
; NumSgprs: 4
; NumVgprs: 0
; NumAgprs: 0
; TotalNumVgprs: 0
; ScratchSize: 0
; MemoryBound: 0
; FloatMode: 240
; IeeeMode: 1
; LDSByteSize: 0 bytes/workgroup (compile time only)
; SGPRBlocks: 0
; VGPRBlocks: 0
; NumSGPRsForWavesPerEU: 4
; NumVGPRsForWavesPerEU: 1
; AccumOffset: 4
; Occupancy: 8
; WaveLimiterHint : 0
; COMPUTE_PGM_RSRC2:SCRATCH_EN: 0
; COMPUTE_PGM_RSRC2:USER_SGPR: 6
; COMPUTE_PGM_RSRC2:TRAP_HANDLER: 0
; COMPUTE_PGM_RSRC2:TGID_X_EN: 1
; COMPUTE_PGM_RSRC2:TGID_Y_EN: 0
; COMPUTE_PGM_RSRC2:TGID_Z_EN: 0
; COMPUTE_PGM_RSRC2:TIDIG_COMP_CNT: 0
; COMPUTE_PGM_RSRC3_GFX90A:ACCUM_OFFSET: 0
; COMPUTE_PGM_RSRC3_GFX90A:TG_SPLIT: 0
	.section	.text._ZN7rocprim17ROCPRIM_400000_NS6detail17trampoline_kernelINS0_14default_configENS1_29reduce_by_key_config_selectorIttN6thrust23THRUST_200600_302600_NS4plusItEEEEZZNS1_33reduce_by_key_impl_wrapped_configILNS1_25lookback_scan_determinismE0ES3_S9_NS6_6detail15normal_iteratorINS6_10device_ptrItEEEESG_SG_SG_PmS8_NS6_8equal_toItEEEE10hipError_tPvRmT2_T3_mT4_T5_T6_T7_T8_P12ihipStream_tbENKUlT_T0_E_clISt17integral_constantIbLb0EES11_EEDaSW_SX_EUlSW_E_NS1_11comp_targetILNS1_3genE5ELNS1_11target_archE942ELNS1_3gpuE9ELNS1_3repE0EEENS1_30default_config_static_selectorELNS0_4arch9wavefront6targetE1EEEvT1_,"axG",@progbits,_ZN7rocprim17ROCPRIM_400000_NS6detail17trampoline_kernelINS0_14default_configENS1_29reduce_by_key_config_selectorIttN6thrust23THRUST_200600_302600_NS4plusItEEEEZZNS1_33reduce_by_key_impl_wrapped_configILNS1_25lookback_scan_determinismE0ES3_S9_NS6_6detail15normal_iteratorINS6_10device_ptrItEEEESG_SG_SG_PmS8_NS6_8equal_toItEEEE10hipError_tPvRmT2_T3_mT4_T5_T6_T7_T8_P12ihipStream_tbENKUlT_T0_E_clISt17integral_constantIbLb0EES11_EEDaSW_SX_EUlSW_E_NS1_11comp_targetILNS1_3genE5ELNS1_11target_archE942ELNS1_3gpuE9ELNS1_3repE0EEENS1_30default_config_static_selectorELNS0_4arch9wavefront6targetE1EEEvT1_,comdat
	.protected	_ZN7rocprim17ROCPRIM_400000_NS6detail17trampoline_kernelINS0_14default_configENS1_29reduce_by_key_config_selectorIttN6thrust23THRUST_200600_302600_NS4plusItEEEEZZNS1_33reduce_by_key_impl_wrapped_configILNS1_25lookback_scan_determinismE0ES3_S9_NS6_6detail15normal_iteratorINS6_10device_ptrItEEEESG_SG_SG_PmS8_NS6_8equal_toItEEEE10hipError_tPvRmT2_T3_mT4_T5_T6_T7_T8_P12ihipStream_tbENKUlT_T0_E_clISt17integral_constantIbLb0EES11_EEDaSW_SX_EUlSW_E_NS1_11comp_targetILNS1_3genE5ELNS1_11target_archE942ELNS1_3gpuE9ELNS1_3repE0EEENS1_30default_config_static_selectorELNS0_4arch9wavefront6targetE1EEEvT1_ ; -- Begin function _ZN7rocprim17ROCPRIM_400000_NS6detail17trampoline_kernelINS0_14default_configENS1_29reduce_by_key_config_selectorIttN6thrust23THRUST_200600_302600_NS4plusItEEEEZZNS1_33reduce_by_key_impl_wrapped_configILNS1_25lookback_scan_determinismE0ES3_S9_NS6_6detail15normal_iteratorINS6_10device_ptrItEEEESG_SG_SG_PmS8_NS6_8equal_toItEEEE10hipError_tPvRmT2_T3_mT4_T5_T6_T7_T8_P12ihipStream_tbENKUlT_T0_E_clISt17integral_constantIbLb0EES11_EEDaSW_SX_EUlSW_E_NS1_11comp_targetILNS1_3genE5ELNS1_11target_archE942ELNS1_3gpuE9ELNS1_3repE0EEENS1_30default_config_static_selectorELNS0_4arch9wavefront6targetE1EEEvT1_
	.globl	_ZN7rocprim17ROCPRIM_400000_NS6detail17trampoline_kernelINS0_14default_configENS1_29reduce_by_key_config_selectorIttN6thrust23THRUST_200600_302600_NS4plusItEEEEZZNS1_33reduce_by_key_impl_wrapped_configILNS1_25lookback_scan_determinismE0ES3_S9_NS6_6detail15normal_iteratorINS6_10device_ptrItEEEESG_SG_SG_PmS8_NS6_8equal_toItEEEE10hipError_tPvRmT2_T3_mT4_T5_T6_T7_T8_P12ihipStream_tbENKUlT_T0_E_clISt17integral_constantIbLb0EES11_EEDaSW_SX_EUlSW_E_NS1_11comp_targetILNS1_3genE5ELNS1_11target_archE942ELNS1_3gpuE9ELNS1_3repE0EEENS1_30default_config_static_selectorELNS0_4arch9wavefront6targetE1EEEvT1_
	.p2align	8
	.type	_ZN7rocprim17ROCPRIM_400000_NS6detail17trampoline_kernelINS0_14default_configENS1_29reduce_by_key_config_selectorIttN6thrust23THRUST_200600_302600_NS4plusItEEEEZZNS1_33reduce_by_key_impl_wrapped_configILNS1_25lookback_scan_determinismE0ES3_S9_NS6_6detail15normal_iteratorINS6_10device_ptrItEEEESG_SG_SG_PmS8_NS6_8equal_toItEEEE10hipError_tPvRmT2_T3_mT4_T5_T6_T7_T8_P12ihipStream_tbENKUlT_T0_E_clISt17integral_constantIbLb0EES11_EEDaSW_SX_EUlSW_E_NS1_11comp_targetILNS1_3genE5ELNS1_11target_archE942ELNS1_3gpuE9ELNS1_3repE0EEENS1_30default_config_static_selectorELNS0_4arch9wavefront6targetE1EEEvT1_,@function
_ZN7rocprim17ROCPRIM_400000_NS6detail17trampoline_kernelINS0_14default_configENS1_29reduce_by_key_config_selectorIttN6thrust23THRUST_200600_302600_NS4plusItEEEEZZNS1_33reduce_by_key_impl_wrapped_configILNS1_25lookback_scan_determinismE0ES3_S9_NS6_6detail15normal_iteratorINS6_10device_ptrItEEEESG_SG_SG_PmS8_NS6_8equal_toItEEEE10hipError_tPvRmT2_T3_mT4_T5_T6_T7_T8_P12ihipStream_tbENKUlT_T0_E_clISt17integral_constantIbLb0EES11_EEDaSW_SX_EUlSW_E_NS1_11comp_targetILNS1_3genE5ELNS1_11target_archE942ELNS1_3gpuE9ELNS1_3repE0EEENS1_30default_config_static_selectorELNS0_4arch9wavefront6targetE1EEEvT1_: ; @_ZN7rocprim17ROCPRIM_400000_NS6detail17trampoline_kernelINS0_14default_configENS1_29reduce_by_key_config_selectorIttN6thrust23THRUST_200600_302600_NS4plusItEEEEZZNS1_33reduce_by_key_impl_wrapped_configILNS1_25lookback_scan_determinismE0ES3_S9_NS6_6detail15normal_iteratorINS6_10device_ptrItEEEESG_SG_SG_PmS8_NS6_8equal_toItEEEE10hipError_tPvRmT2_T3_mT4_T5_T6_T7_T8_P12ihipStream_tbENKUlT_T0_E_clISt17integral_constantIbLb0EES11_EEDaSW_SX_EUlSW_E_NS1_11comp_targetILNS1_3genE5ELNS1_11target_archE942ELNS1_3gpuE9ELNS1_3repE0EEENS1_30default_config_static_selectorELNS0_4arch9wavefront6targetE1EEEvT1_
; %bb.0:
	.section	.rodata,"a",@progbits
	.p2align	6, 0x0
	.amdhsa_kernel _ZN7rocprim17ROCPRIM_400000_NS6detail17trampoline_kernelINS0_14default_configENS1_29reduce_by_key_config_selectorIttN6thrust23THRUST_200600_302600_NS4plusItEEEEZZNS1_33reduce_by_key_impl_wrapped_configILNS1_25lookback_scan_determinismE0ES3_S9_NS6_6detail15normal_iteratorINS6_10device_ptrItEEEESG_SG_SG_PmS8_NS6_8equal_toItEEEE10hipError_tPvRmT2_T3_mT4_T5_T6_T7_T8_P12ihipStream_tbENKUlT_T0_E_clISt17integral_constantIbLb0EES11_EEDaSW_SX_EUlSW_E_NS1_11comp_targetILNS1_3genE5ELNS1_11target_archE942ELNS1_3gpuE9ELNS1_3repE0EEENS1_30default_config_static_selectorELNS0_4arch9wavefront6targetE1EEEvT1_
		.amdhsa_group_segment_fixed_size 0
		.amdhsa_private_segment_fixed_size 0
		.amdhsa_kernarg_size 120
		.amdhsa_user_sgpr_count 6
		.amdhsa_user_sgpr_private_segment_buffer 1
		.amdhsa_user_sgpr_dispatch_ptr 0
		.amdhsa_user_sgpr_queue_ptr 0
		.amdhsa_user_sgpr_kernarg_segment_ptr 1
		.amdhsa_user_sgpr_dispatch_id 0
		.amdhsa_user_sgpr_flat_scratch_init 0
		.amdhsa_user_sgpr_kernarg_preload_length 0
		.amdhsa_user_sgpr_kernarg_preload_offset 0
		.amdhsa_user_sgpr_private_segment_size 0
		.amdhsa_uses_dynamic_stack 0
		.amdhsa_system_sgpr_private_segment_wavefront_offset 0
		.amdhsa_system_sgpr_workgroup_id_x 1
		.amdhsa_system_sgpr_workgroup_id_y 0
		.amdhsa_system_sgpr_workgroup_id_z 0
		.amdhsa_system_sgpr_workgroup_info 0
		.amdhsa_system_vgpr_workitem_id 0
		.amdhsa_next_free_vgpr 1
		.amdhsa_next_free_sgpr 0
		.amdhsa_accum_offset 4
		.amdhsa_reserve_vcc 0
		.amdhsa_reserve_flat_scratch 0
		.amdhsa_float_round_mode_32 0
		.amdhsa_float_round_mode_16_64 0
		.amdhsa_float_denorm_mode_32 3
		.amdhsa_float_denorm_mode_16_64 3
		.amdhsa_dx10_clamp 1
		.amdhsa_ieee_mode 1
		.amdhsa_fp16_overflow 0
		.amdhsa_tg_split 0
		.amdhsa_exception_fp_ieee_invalid_op 0
		.amdhsa_exception_fp_denorm_src 0
		.amdhsa_exception_fp_ieee_div_zero 0
		.amdhsa_exception_fp_ieee_overflow 0
		.amdhsa_exception_fp_ieee_underflow 0
		.amdhsa_exception_fp_ieee_inexact 0
		.amdhsa_exception_int_div_zero 0
	.end_amdhsa_kernel
	.section	.text._ZN7rocprim17ROCPRIM_400000_NS6detail17trampoline_kernelINS0_14default_configENS1_29reduce_by_key_config_selectorIttN6thrust23THRUST_200600_302600_NS4plusItEEEEZZNS1_33reduce_by_key_impl_wrapped_configILNS1_25lookback_scan_determinismE0ES3_S9_NS6_6detail15normal_iteratorINS6_10device_ptrItEEEESG_SG_SG_PmS8_NS6_8equal_toItEEEE10hipError_tPvRmT2_T3_mT4_T5_T6_T7_T8_P12ihipStream_tbENKUlT_T0_E_clISt17integral_constantIbLb0EES11_EEDaSW_SX_EUlSW_E_NS1_11comp_targetILNS1_3genE5ELNS1_11target_archE942ELNS1_3gpuE9ELNS1_3repE0EEENS1_30default_config_static_selectorELNS0_4arch9wavefront6targetE1EEEvT1_,"axG",@progbits,_ZN7rocprim17ROCPRIM_400000_NS6detail17trampoline_kernelINS0_14default_configENS1_29reduce_by_key_config_selectorIttN6thrust23THRUST_200600_302600_NS4plusItEEEEZZNS1_33reduce_by_key_impl_wrapped_configILNS1_25lookback_scan_determinismE0ES3_S9_NS6_6detail15normal_iteratorINS6_10device_ptrItEEEESG_SG_SG_PmS8_NS6_8equal_toItEEEE10hipError_tPvRmT2_T3_mT4_T5_T6_T7_T8_P12ihipStream_tbENKUlT_T0_E_clISt17integral_constantIbLb0EES11_EEDaSW_SX_EUlSW_E_NS1_11comp_targetILNS1_3genE5ELNS1_11target_archE942ELNS1_3gpuE9ELNS1_3repE0EEENS1_30default_config_static_selectorELNS0_4arch9wavefront6targetE1EEEvT1_,comdat
.Lfunc_end393:
	.size	_ZN7rocprim17ROCPRIM_400000_NS6detail17trampoline_kernelINS0_14default_configENS1_29reduce_by_key_config_selectorIttN6thrust23THRUST_200600_302600_NS4plusItEEEEZZNS1_33reduce_by_key_impl_wrapped_configILNS1_25lookback_scan_determinismE0ES3_S9_NS6_6detail15normal_iteratorINS6_10device_ptrItEEEESG_SG_SG_PmS8_NS6_8equal_toItEEEE10hipError_tPvRmT2_T3_mT4_T5_T6_T7_T8_P12ihipStream_tbENKUlT_T0_E_clISt17integral_constantIbLb0EES11_EEDaSW_SX_EUlSW_E_NS1_11comp_targetILNS1_3genE5ELNS1_11target_archE942ELNS1_3gpuE9ELNS1_3repE0EEENS1_30default_config_static_selectorELNS0_4arch9wavefront6targetE1EEEvT1_, .Lfunc_end393-_ZN7rocprim17ROCPRIM_400000_NS6detail17trampoline_kernelINS0_14default_configENS1_29reduce_by_key_config_selectorIttN6thrust23THRUST_200600_302600_NS4plusItEEEEZZNS1_33reduce_by_key_impl_wrapped_configILNS1_25lookback_scan_determinismE0ES3_S9_NS6_6detail15normal_iteratorINS6_10device_ptrItEEEESG_SG_SG_PmS8_NS6_8equal_toItEEEE10hipError_tPvRmT2_T3_mT4_T5_T6_T7_T8_P12ihipStream_tbENKUlT_T0_E_clISt17integral_constantIbLb0EES11_EEDaSW_SX_EUlSW_E_NS1_11comp_targetILNS1_3genE5ELNS1_11target_archE942ELNS1_3gpuE9ELNS1_3repE0EEENS1_30default_config_static_selectorELNS0_4arch9wavefront6targetE1EEEvT1_
                                        ; -- End function
	.section	.AMDGPU.csdata,"",@progbits
; Kernel info:
; codeLenInByte = 0
; NumSgprs: 4
; NumVgprs: 0
; NumAgprs: 0
; TotalNumVgprs: 0
; ScratchSize: 0
; MemoryBound: 0
; FloatMode: 240
; IeeeMode: 1
; LDSByteSize: 0 bytes/workgroup (compile time only)
; SGPRBlocks: 0
; VGPRBlocks: 0
; NumSGPRsForWavesPerEU: 4
; NumVGPRsForWavesPerEU: 1
; AccumOffset: 4
; Occupancy: 8
; WaveLimiterHint : 0
; COMPUTE_PGM_RSRC2:SCRATCH_EN: 0
; COMPUTE_PGM_RSRC2:USER_SGPR: 6
; COMPUTE_PGM_RSRC2:TRAP_HANDLER: 0
; COMPUTE_PGM_RSRC2:TGID_X_EN: 1
; COMPUTE_PGM_RSRC2:TGID_Y_EN: 0
; COMPUTE_PGM_RSRC2:TGID_Z_EN: 0
; COMPUTE_PGM_RSRC2:TIDIG_COMP_CNT: 0
; COMPUTE_PGM_RSRC3_GFX90A:ACCUM_OFFSET: 0
; COMPUTE_PGM_RSRC3_GFX90A:TG_SPLIT: 0
	.section	.text._ZN7rocprim17ROCPRIM_400000_NS6detail17trampoline_kernelINS0_14default_configENS1_29reduce_by_key_config_selectorIttN6thrust23THRUST_200600_302600_NS4plusItEEEEZZNS1_33reduce_by_key_impl_wrapped_configILNS1_25lookback_scan_determinismE0ES3_S9_NS6_6detail15normal_iteratorINS6_10device_ptrItEEEESG_SG_SG_PmS8_NS6_8equal_toItEEEE10hipError_tPvRmT2_T3_mT4_T5_T6_T7_T8_P12ihipStream_tbENKUlT_T0_E_clISt17integral_constantIbLb0EES11_EEDaSW_SX_EUlSW_E_NS1_11comp_targetILNS1_3genE4ELNS1_11target_archE910ELNS1_3gpuE8ELNS1_3repE0EEENS1_30default_config_static_selectorELNS0_4arch9wavefront6targetE1EEEvT1_,"axG",@progbits,_ZN7rocprim17ROCPRIM_400000_NS6detail17trampoline_kernelINS0_14default_configENS1_29reduce_by_key_config_selectorIttN6thrust23THRUST_200600_302600_NS4plusItEEEEZZNS1_33reduce_by_key_impl_wrapped_configILNS1_25lookback_scan_determinismE0ES3_S9_NS6_6detail15normal_iteratorINS6_10device_ptrItEEEESG_SG_SG_PmS8_NS6_8equal_toItEEEE10hipError_tPvRmT2_T3_mT4_T5_T6_T7_T8_P12ihipStream_tbENKUlT_T0_E_clISt17integral_constantIbLb0EES11_EEDaSW_SX_EUlSW_E_NS1_11comp_targetILNS1_3genE4ELNS1_11target_archE910ELNS1_3gpuE8ELNS1_3repE0EEENS1_30default_config_static_selectorELNS0_4arch9wavefront6targetE1EEEvT1_,comdat
	.protected	_ZN7rocprim17ROCPRIM_400000_NS6detail17trampoline_kernelINS0_14default_configENS1_29reduce_by_key_config_selectorIttN6thrust23THRUST_200600_302600_NS4plusItEEEEZZNS1_33reduce_by_key_impl_wrapped_configILNS1_25lookback_scan_determinismE0ES3_S9_NS6_6detail15normal_iteratorINS6_10device_ptrItEEEESG_SG_SG_PmS8_NS6_8equal_toItEEEE10hipError_tPvRmT2_T3_mT4_T5_T6_T7_T8_P12ihipStream_tbENKUlT_T0_E_clISt17integral_constantIbLb0EES11_EEDaSW_SX_EUlSW_E_NS1_11comp_targetILNS1_3genE4ELNS1_11target_archE910ELNS1_3gpuE8ELNS1_3repE0EEENS1_30default_config_static_selectorELNS0_4arch9wavefront6targetE1EEEvT1_ ; -- Begin function _ZN7rocprim17ROCPRIM_400000_NS6detail17trampoline_kernelINS0_14default_configENS1_29reduce_by_key_config_selectorIttN6thrust23THRUST_200600_302600_NS4plusItEEEEZZNS1_33reduce_by_key_impl_wrapped_configILNS1_25lookback_scan_determinismE0ES3_S9_NS6_6detail15normal_iteratorINS6_10device_ptrItEEEESG_SG_SG_PmS8_NS6_8equal_toItEEEE10hipError_tPvRmT2_T3_mT4_T5_T6_T7_T8_P12ihipStream_tbENKUlT_T0_E_clISt17integral_constantIbLb0EES11_EEDaSW_SX_EUlSW_E_NS1_11comp_targetILNS1_3genE4ELNS1_11target_archE910ELNS1_3gpuE8ELNS1_3repE0EEENS1_30default_config_static_selectorELNS0_4arch9wavefront6targetE1EEEvT1_
	.globl	_ZN7rocprim17ROCPRIM_400000_NS6detail17trampoline_kernelINS0_14default_configENS1_29reduce_by_key_config_selectorIttN6thrust23THRUST_200600_302600_NS4plusItEEEEZZNS1_33reduce_by_key_impl_wrapped_configILNS1_25lookback_scan_determinismE0ES3_S9_NS6_6detail15normal_iteratorINS6_10device_ptrItEEEESG_SG_SG_PmS8_NS6_8equal_toItEEEE10hipError_tPvRmT2_T3_mT4_T5_T6_T7_T8_P12ihipStream_tbENKUlT_T0_E_clISt17integral_constantIbLb0EES11_EEDaSW_SX_EUlSW_E_NS1_11comp_targetILNS1_3genE4ELNS1_11target_archE910ELNS1_3gpuE8ELNS1_3repE0EEENS1_30default_config_static_selectorELNS0_4arch9wavefront6targetE1EEEvT1_
	.p2align	8
	.type	_ZN7rocprim17ROCPRIM_400000_NS6detail17trampoline_kernelINS0_14default_configENS1_29reduce_by_key_config_selectorIttN6thrust23THRUST_200600_302600_NS4plusItEEEEZZNS1_33reduce_by_key_impl_wrapped_configILNS1_25lookback_scan_determinismE0ES3_S9_NS6_6detail15normal_iteratorINS6_10device_ptrItEEEESG_SG_SG_PmS8_NS6_8equal_toItEEEE10hipError_tPvRmT2_T3_mT4_T5_T6_T7_T8_P12ihipStream_tbENKUlT_T0_E_clISt17integral_constantIbLb0EES11_EEDaSW_SX_EUlSW_E_NS1_11comp_targetILNS1_3genE4ELNS1_11target_archE910ELNS1_3gpuE8ELNS1_3repE0EEENS1_30default_config_static_selectorELNS0_4arch9wavefront6targetE1EEEvT1_,@function
_ZN7rocprim17ROCPRIM_400000_NS6detail17trampoline_kernelINS0_14default_configENS1_29reduce_by_key_config_selectorIttN6thrust23THRUST_200600_302600_NS4plusItEEEEZZNS1_33reduce_by_key_impl_wrapped_configILNS1_25lookback_scan_determinismE0ES3_S9_NS6_6detail15normal_iteratorINS6_10device_ptrItEEEESG_SG_SG_PmS8_NS6_8equal_toItEEEE10hipError_tPvRmT2_T3_mT4_T5_T6_T7_T8_P12ihipStream_tbENKUlT_T0_E_clISt17integral_constantIbLb0EES11_EEDaSW_SX_EUlSW_E_NS1_11comp_targetILNS1_3genE4ELNS1_11target_archE910ELNS1_3gpuE8ELNS1_3repE0EEENS1_30default_config_static_selectorELNS0_4arch9wavefront6targetE1EEEvT1_: ; @_ZN7rocprim17ROCPRIM_400000_NS6detail17trampoline_kernelINS0_14default_configENS1_29reduce_by_key_config_selectorIttN6thrust23THRUST_200600_302600_NS4plusItEEEEZZNS1_33reduce_by_key_impl_wrapped_configILNS1_25lookback_scan_determinismE0ES3_S9_NS6_6detail15normal_iteratorINS6_10device_ptrItEEEESG_SG_SG_PmS8_NS6_8equal_toItEEEE10hipError_tPvRmT2_T3_mT4_T5_T6_T7_T8_P12ihipStream_tbENKUlT_T0_E_clISt17integral_constantIbLb0EES11_EEDaSW_SX_EUlSW_E_NS1_11comp_targetILNS1_3genE4ELNS1_11target_archE910ELNS1_3gpuE8ELNS1_3repE0EEENS1_30default_config_static_selectorELNS0_4arch9wavefront6targetE1EEEvT1_
; %bb.0:
	s_load_dwordx8 s[36:43], s[4:5], 0x0
	s_load_dwordx4 s[52:55], s[4:5], 0x20
	s_load_dwordx8 s[44:51], s[4:5], 0x38
	s_load_dwordx2 s[60:61], s[4:5], 0x68
	s_load_dwordx4 s[56:59], s[4:5], 0x58
	s_waitcnt lgkmcnt(0)
	s_lshl_b64 s[0:1], s[38:39], 1
	s_add_u32 s2, s36, s0
	s_addc_u32 s3, s37, s1
	s_add_u32 s4, s40, s0
	s_addc_u32 s5, s41, s1
	s_mul_i32 s0, s48, s47
	s_mul_hi_u32 s1, s48, s46
	s_add_i32 s0, s1, s0
	s_mul_i32 s1, s49, s46
	s_add_i32 s8, s0, s1
	s_mul_i32 s0, s6, 0xf00
	s_mov_b32 s1, 0
	s_lshl_b64 s[0:1], s[0:1], 1
	s_add_u32 s7, s2, s0
	s_mul_i32 s9, s48, s46
	s_addc_u32 s48, s3, s1
	s_add_u32 s49, s4, s0
	s_addc_u32 s62, s5, s1
	s_add_u32 s38, s9, s6
	s_addc_u32 s39, s8, 0
	s_add_u32 s2, s50, -1
	s_addc_u32 s3, s51, -1
	s_cmp_eq_u64 s[38:39], s[2:3]
	s_cselect_b64 s[34:35], -1, 0
	s_cmp_lg_u64 s[38:39], s[2:3]
	s_mov_b64 s[0:1], -1
	s_cselect_b64 s[40:41], -1, 0
	s_mul_i32 s33, s2, 0xfffff100
	s_and_b64 vcc, exec, s[34:35]
	s_cbranch_vccnz .LBB394_2
; %bb.1:
	v_lshlrev_b32_e32 v12, 1, v0
	v_mov_b32_e32 v1, s48
	v_add_co_u32_e32 v2, vcc, s7, v12
	v_addc_co_u32_e32 v3, vcc, 0, v1, vcc
	flat_load_ushort v1, v[2:3]
	flat_load_ushort v4, v[2:3] offset:512
	flat_load_ushort v5, v[2:3] offset:1024
	;; [unrolled: 1-line block ×7, first 2 shown]
	v_add_co_u32_e32 v2, vcc, 0x1000, v2
	v_addc_co_u32_e32 v3, vcc, 0, v3, vcc
	flat_load_ushort v17, v[2:3]
	flat_load_ushort v18, v[2:3] offset:512
	flat_load_ushort v19, v[2:3] offset:1024
	;; [unrolled: 1-line block ×6, first 2 shown]
	v_mov_b32_e32 v2, s62
	v_add_co_u32_e32 v8, vcc, s49, v12
	s_movk_i32 s0, 0x1000
	v_addc_co_u32_e32 v9, vcc, 0, v2, vcc
	v_mad_u32_u24 v6, v0, 28, v12
	v_add_co_u32_e32 v10, vcc, s0, v8
	v_addc_co_u32_e32 v11, vcc, 0, v9, vcc
	s_waitcnt vmcnt(0) lgkmcnt(0)
	ds_write_b16 v12, v1
	ds_write_b16 v12, v4 offset:512
	ds_write_b16 v12, v5 offset:1024
	;; [unrolled: 1-line block ×14, first 2 shown]
	s_waitcnt lgkmcnt(0)
	s_barrier
	ds_read_u16 v1, v6
	ds_read_b128 v[2:5], v6 offset:2
	ds_read_b96 v[14:16], v6 offset:18
	s_waitcnt lgkmcnt(0)
	s_barrier
	flat_load_ushort v13, v[8:9]
	flat_load_ushort v17, v[8:9] offset:512
	flat_load_ushort v18, v[8:9] offset:1024
	flat_load_ushort v19, v[8:9] offset:1536
	flat_load_ushort v20, v[8:9] offset:2048
	flat_load_ushort v21, v[8:9] offset:2560
	flat_load_ushort v22, v[8:9] offset:3072
	flat_load_ushort v23, v[8:9] offset:3584
	flat_load_ushort v24, v[10:11]
	flat_load_ushort v25, v[10:11] offset:512
	flat_load_ushort v26, v[10:11] offset:1024
	;; [unrolled: 1-line block ×6, first 2 shown]
	v_mul_u32_u24_e32 v7, 15, v0
	s_waitcnt vmcnt(0) lgkmcnt(0)
	ds_write_b16 v12, v13
	ds_write_b16 v12, v17 offset:512
	ds_write_b16 v12, v18 offset:1024
	;; [unrolled: 1-line block ×14, first 2 shown]
	s_waitcnt lgkmcnt(0)
	s_barrier
	s_add_i32 s33, s33, s56
	s_cbranch_execz .LBB394_3
	s_branch .LBB394_50
.LBB394_2:
                                        ; implicit-def: $vgpr2
                                        ; implicit-def: $vgpr14
                                        ; implicit-def: $vgpr7
                                        ; implicit-def: $vgpr6
                                        ; implicit-def: $vgpr1
	s_andn2_b64 vcc, exec, s[0:1]
	s_add_i32 s33, s33, s56
	s_cbranch_vccnz .LBB394_50
.LBB394_3:
	v_cmp_gt_u32_e32 vcc, s33, v0
                                        ; implicit-def: $vgpr1
	s_and_saveexec_b64 s[2:3], vcc
	s_cbranch_execz .LBB394_5
; %bb.4:
	v_lshlrev_b32_e32 v1, 1, v0
	v_mov_b32_e32 v3, s48
	v_add_co_u32_e64 v2, s[0:1], s7, v1
	v_addc_co_u32_e64 v3, s[0:1], 0, v3, s[0:1]
	flat_load_ushort v1, v[2:3]
.LBB394_5:
	s_or_b64 exec, exec, s[2:3]
	v_or_b32_e32 v2, 0x100, v0
	v_cmp_gt_u32_e64 s[0:1], s33, v2
                                        ; implicit-def: $vgpr2
	s_and_saveexec_b64 s[4:5], s[0:1]
	s_cbranch_execz .LBB394_7
; %bb.6:
	v_lshlrev_b32_e32 v2, 1, v0
	v_mov_b32_e32 v3, s48
	v_add_co_u32_e64 v2, s[2:3], s7, v2
	v_addc_co_u32_e64 v3, s[2:3], 0, v3, s[2:3]
	flat_load_ushort v2, v[2:3] offset:512
.LBB394_7:
	s_or_b64 exec, exec, s[4:5]
	v_or_b32_e32 v3, 0x200, v0
	v_cmp_gt_u32_e64 s[2:3], s33, v3
                                        ; implicit-def: $vgpr3
	s_and_saveexec_b64 s[8:9], s[2:3]
	s_cbranch_execz .LBB394_9
; %bb.8:
	v_lshlrev_b32_e32 v3, 1, v0
	v_mov_b32_e32 v5, s48
	v_add_co_u32_e64 v4, s[4:5], s7, v3
	v_addc_co_u32_e64 v5, s[4:5], 0, v5, s[4:5]
	flat_load_ushort v3, v[4:5] offset:1024
.LBB394_9:
	s_or_b64 exec, exec, s[8:9]
	v_or_b32_e32 v4, 0x300, v0
	v_cmp_gt_u32_e64 s[4:5], s33, v4
                                        ; implicit-def: $vgpr4
	s_and_saveexec_b64 s[10:11], s[4:5]
	s_cbranch_execz .LBB394_11
; %bb.10:
	v_lshlrev_b32_e32 v4, 1, v0
	v_mov_b32_e32 v5, s48
	v_add_co_u32_e64 v4, s[8:9], s7, v4
	v_addc_co_u32_e64 v5, s[8:9], 0, v5, s[8:9]
	flat_load_ushort v4, v[4:5] offset:1536
.LBB394_11:
	s_or_b64 exec, exec, s[10:11]
	v_or_b32_e32 v5, 0x400, v0
	v_cmp_gt_u32_e64 s[28:29], s33, v5
                                        ; implicit-def: $vgpr5
	s_and_saveexec_b64 s[10:11], s[28:29]
	s_cbranch_execz .LBB394_13
; %bb.12:
	v_lshlrev_b32_e32 v5, 1, v0
	v_mov_b32_e32 v7, s48
	v_add_co_u32_e64 v6, s[8:9], s7, v5
	v_addc_co_u32_e64 v7, s[8:9], 0, v7, s[8:9]
	flat_load_ushort v5, v[6:7] offset:2048
.LBB394_13:
	s_or_b64 exec, exec, s[10:11]
	v_or_b32_e32 v6, 0x500, v0
	v_cmp_gt_u32_e64 s[8:9], s33, v6
                                        ; implicit-def: $vgpr6
	s_and_saveexec_b64 s[12:13], s[8:9]
	s_cbranch_execz .LBB394_15
; %bb.14:
	v_lshlrev_b32_e32 v6, 1, v0
	v_mov_b32_e32 v7, s48
	v_add_co_u32_e64 v6, s[10:11], s7, v6
	v_addc_co_u32_e64 v7, s[10:11], 0, v7, s[10:11]
	flat_load_ushort v6, v[6:7] offset:2560
.LBB394_15:
	s_or_b64 exec, exec, s[12:13]
	v_or_b32_e32 v7, 0x600, v0
	v_cmp_gt_u32_e64 s[10:11], s33, v7
                                        ; implicit-def: $vgpr14
	s_and_saveexec_b64 s[14:15], s[10:11]
	s_cbranch_execz .LBB394_17
; %bb.16:
	v_lshlrev_b32_e32 v7, 1, v0
	v_mov_b32_e32 v9, s48
	v_add_co_u32_e64 v8, s[12:13], s7, v7
	v_addc_co_u32_e64 v9, s[12:13], 0, v9, s[12:13]
	flat_load_ushort v14, v[8:9] offset:3072
.LBB394_17:
	s_or_b64 exec, exec, s[14:15]
	v_or_b32_e32 v7, 0x700, v0
	v_cmp_gt_u32_e64 s[12:13], s33, v7
                                        ; implicit-def: $vgpr15
	s_and_saveexec_b64 s[16:17], s[12:13]
	s_cbranch_execz .LBB394_19
; %bb.18:
	v_lshlrev_b32_e32 v7, 1, v0
	v_mov_b32_e32 v9, s48
	v_add_co_u32_e64 v8, s[14:15], s7, v7
	v_addc_co_u32_e64 v9, s[14:15], 0, v9, s[14:15]
	flat_load_ushort v15, v[8:9] offset:3584
.LBB394_19:
	s_or_b64 exec, exec, s[16:17]
	v_or_b32_e32 v7, 0x800, v0
	v_cmp_gt_u32_e64 s[14:15], s33, v7
	v_lshlrev_b32_e32 v7, 1, v7
                                        ; implicit-def: $vgpr16
	s_and_saveexec_b64 s[18:19], s[14:15]
	s_cbranch_execz .LBB394_21
; %bb.20:
	v_mov_b32_e32 v9, s48
	v_add_co_u32_e64 v8, s[16:17], s7, v7
	v_addc_co_u32_e64 v9, s[16:17], 0, v9, s[16:17]
	flat_load_ushort v16, v[8:9]
.LBB394_21:
	s_or_b64 exec, exec, s[18:19]
	v_or_b32_e32 v8, 0x900, v0
	v_cmp_gt_u32_e64 s[16:17], s33, v8
	v_lshlrev_b32_e32 v8, 1, v8
                                        ; implicit-def: $vgpr18
	s_and_saveexec_b64 s[20:21], s[16:17]
	s_cbranch_execz .LBB394_23
; %bb.22:
	v_mov_b32_e32 v9, s48
	v_add_co_u32_e64 v10, s[18:19], s7, v8
	v_addc_co_u32_e64 v11, s[18:19], 0, v9, s[18:19]
	flat_load_ushort v18, v[10:11]
.LBB394_23:
	s_or_b64 exec, exec, s[20:21]
	v_or_b32_e32 v9, 0xa00, v0
	v_cmp_gt_u32_e64 s[18:19], s33, v9
	v_lshlrev_b32_e32 v10, 1, v9
                                        ; implicit-def: $vgpr19
	s_and_saveexec_b64 s[22:23], s[18:19]
	s_cbranch_execz .LBB394_25
; %bb.24:
	v_mov_b32_e32 v9, s48
	v_add_co_u32_e64 v12, s[20:21], s7, v10
	v_addc_co_u32_e64 v13, s[20:21], 0, v9, s[20:21]
	flat_load_ushort v19, v[12:13]
.LBB394_25:
	s_or_b64 exec, exec, s[22:23]
	v_or_b32_e32 v9, 0xb00, v0
	v_cmp_gt_u32_e64 s[20:21], s33, v9
	v_lshlrev_b32_e32 v11, 1, v9
                                        ; implicit-def: $vgpr20
	s_and_saveexec_b64 s[24:25], s[20:21]
	s_cbranch_execz .LBB394_27
; %bb.26:
	v_mov_b32_e32 v9, s48
	v_add_co_u32_e64 v12, s[22:23], s7, v11
	v_addc_co_u32_e64 v13, s[22:23], 0, v9, s[22:23]
	flat_load_ushort v20, v[12:13]
.LBB394_27:
	s_or_b64 exec, exec, s[24:25]
	v_or_b32_e32 v9, 0xc00, v0
	v_cmp_gt_u32_e64 s[22:23], s33, v9
	v_lshlrev_b32_e32 v12, 1, v9
                                        ; implicit-def: $vgpr21
	s_and_saveexec_b64 s[26:27], s[22:23]
	s_cbranch_execz .LBB394_29
; %bb.28:
	v_mov_b32_e32 v9, s48
	v_add_co_u32_e64 v22, s[24:25], s7, v12
	v_addc_co_u32_e64 v23, s[24:25], 0, v9, s[24:25]
	flat_load_ushort v21, v[22:23]
.LBB394_29:
	s_or_b64 exec, exec, s[26:27]
	v_or_b32_e32 v9, 0xd00, v0
	v_cmp_gt_u32_e64 s[24:25], s33, v9
	v_lshlrev_b32_e32 v13, 1, v9
                                        ; implicit-def: $vgpr22
	s_and_saveexec_b64 s[30:31], s[24:25]
	s_cbranch_execz .LBB394_31
; %bb.30:
	v_mov_b32_e32 v9, s48
	v_add_co_u32_e64 v22, s[26:27], s7, v13
	v_addc_co_u32_e64 v23, s[26:27], 0, v9, s[26:27]
	flat_load_ushort v22, v[22:23]
.LBB394_31:
	s_or_b64 exec, exec, s[30:31]
	v_or_b32_e32 v9, 0xe00, v0
	v_cmp_gt_u32_e64 s[26:27], s33, v9
	v_lshlrev_b32_e32 v17, 1, v9
                                        ; implicit-def: $vgpr23
	s_and_saveexec_b64 s[36:37], s[26:27]
	s_cbranch_execz .LBB394_33
; %bb.32:
	v_mov_b32_e32 v9, s48
	v_add_co_u32_e64 v24, s[30:31], s7, v17
	v_addc_co_u32_e64 v25, s[30:31], 0, v9, s[30:31]
	flat_load_ushort v23, v[24:25]
.LBB394_33:
	s_or_b64 exec, exec, s[36:37]
	v_lshlrev_b32_e32 v9, 1, v0
	s_waitcnt vmcnt(0) lgkmcnt(0)
	ds_write_b16 v9, v1
	ds_write_b16 v9, v2 offset:512
	ds_write_b16 v9, v3 offset:1024
	;; [unrolled: 1-line block ×14, first 2 shown]
	v_mad_u32_u24 v6, v0, 28, v9
	s_waitcnt lgkmcnt(0)
	s_barrier
	ds_read_u16 v1, v6
	ds_read_b128 v[2:5], v6 offset:2
	ds_read_b96 v[14:16], v6 offset:18
	s_waitcnt lgkmcnt(0)
	s_barrier
	s_waitcnt lgkmcnt(0)
                                        ; implicit-def: $vgpr18
	s_and_saveexec_b64 s[30:31], vcc
	s_cbranch_execnz .LBB394_57
; %bb.34:
	s_or_b64 exec, exec, s[30:31]
                                        ; implicit-def: $vgpr19
	s_and_saveexec_b64 s[30:31], s[0:1]
	s_cbranch_execnz .LBB394_58
.LBB394_35:
	s_or_b64 exec, exec, s[30:31]
                                        ; implicit-def: $vgpr20
	s_and_saveexec_b64 s[0:1], s[2:3]
	s_cbranch_execnz .LBB394_59
.LBB394_36:
	s_or_b64 exec, exec, s[0:1]
                                        ; implicit-def: $vgpr21
	s_and_saveexec_b64 s[0:1], s[4:5]
	s_cbranch_execnz .LBB394_60
.LBB394_37:
	s_or_b64 exec, exec, s[0:1]
                                        ; implicit-def: $vgpr22
	s_and_saveexec_b64 s[0:1], s[28:29]
	s_cbranch_execnz .LBB394_61
.LBB394_38:
	s_or_b64 exec, exec, s[0:1]
                                        ; implicit-def: $vgpr23
	s_and_saveexec_b64 s[0:1], s[8:9]
	s_cbranch_execnz .LBB394_62
.LBB394_39:
	s_or_b64 exec, exec, s[0:1]
                                        ; implicit-def: $vgpr24
	s_and_saveexec_b64 s[0:1], s[10:11]
	s_cbranch_execnz .LBB394_63
.LBB394_40:
	s_or_b64 exec, exec, s[0:1]
                                        ; implicit-def: $vgpr25
	s_and_saveexec_b64 s[0:1], s[12:13]
	s_cbranch_execnz .LBB394_64
.LBB394_41:
	s_or_b64 exec, exec, s[0:1]
                                        ; implicit-def: $vgpr26
	s_and_saveexec_b64 s[0:1], s[14:15]
	s_cbranch_execnz .LBB394_65
.LBB394_42:
	s_or_b64 exec, exec, s[0:1]
                                        ; implicit-def: $vgpr27
	s_and_saveexec_b64 s[0:1], s[16:17]
	s_cbranch_execnz .LBB394_66
.LBB394_43:
	s_or_b64 exec, exec, s[0:1]
                                        ; implicit-def: $vgpr8
	s_and_saveexec_b64 s[0:1], s[18:19]
	s_cbranch_execnz .LBB394_67
.LBB394_44:
	s_or_b64 exec, exec, s[0:1]
                                        ; implicit-def: $vgpr10
	s_and_saveexec_b64 s[0:1], s[20:21]
	s_cbranch_execnz .LBB394_68
.LBB394_45:
	s_or_b64 exec, exec, s[0:1]
                                        ; implicit-def: $vgpr11
	s_and_saveexec_b64 s[0:1], s[22:23]
	s_cbranch_execnz .LBB394_69
.LBB394_46:
	s_or_b64 exec, exec, s[0:1]
                                        ; implicit-def: $vgpr12
	s_and_saveexec_b64 s[0:1], s[24:25]
	s_cbranch_execnz .LBB394_70
.LBB394_47:
	s_or_b64 exec, exec, s[0:1]
                                        ; implicit-def: $vgpr13
	s_and_saveexec_b64 s[0:1], s[26:27]
	s_cbranch_execz .LBB394_49
.LBB394_48:
	v_mov_b32_e32 v7, s62
	v_add_co_u32_e32 v28, vcc, s49, v17
	v_addc_co_u32_e32 v29, vcc, 0, v7, vcc
	flat_load_ushort v13, v[28:29]
.LBB394_49:
	s_or_b64 exec, exec, s[0:1]
	v_mul_u32_u24_e32 v7, 15, v0
	s_waitcnt vmcnt(0) lgkmcnt(0)
	ds_write_b16 v9, v18
	ds_write_b16 v9, v19 offset:512
	ds_write_b16 v9, v20 offset:1024
	;; [unrolled: 1-line block ×14, first 2 shown]
	s_waitcnt lgkmcnt(0)
	s_barrier
.LBB394_50:
	v_lshlrev_b32_e32 v7, 1, v7
	ds_read_u16 v77, v6
	ds_read_u16 v76, v6 offset:2
	ds_read_u16 v74, v6 offset:6
	;; [unrolled: 1-line block ×14, first 2 shown]
	s_cmp_eq_u64 s[38:39], 0
	s_cselect_b64 s[36:37], -1, 0
	s_cmp_lg_u64 s[38:39], 0
	s_mov_b64 s[4:5], 0
	s_cselect_b64 s[8:9], -1, 0
	s_and_b64 vcc, exec, s[40:41]
	s_waitcnt lgkmcnt(0)
	s_barrier
	s_cbranch_vccz .LBB394_56
; %bb.51:
	s_and_b64 vcc, exec, s[8:9]
	s_cbranch_vccz .LBB394_71
; %bb.52:
	v_mov_b32_e32 v7, s48
	v_add_co_u32_e64 v6, vcc, -2, s7
	v_addc_co_u32_e32 v7, vcc, -1, v7, vcc
	flat_load_ushort v6, v[6:7]
	v_lshrrev_b32_e32 v8, 16, v16
	v_lshlrev_b32_e32 v7, 1, v0
	v_cmp_ne_u16_e32 vcc, v16, v8
	v_cmp_ne_u16_sdwa s[4:5], v15, v16 src0_sel:WORD_1 src1_sel:DWORD
	v_cmp_ne_u16_sdwa s[10:11], v15, v15 src0_sel:DWORD src1_sel:WORD_1
	v_cmp_ne_u16_sdwa s[12:13], v14, v15 src0_sel:WORD_1 src1_sel:DWORD
	v_cmp_ne_u16_sdwa s[14:15], v14, v14 src0_sel:DWORD src1_sel:WORD_1
	v_cmp_ne_u16_sdwa s[16:17], v5, v14 src0_sel:WORD_1 src1_sel:DWORD
	v_cmp_ne_u16_sdwa s[18:19], v5, v5 src0_sel:DWORD src1_sel:WORD_1
	v_cmp_ne_u16_sdwa s[20:21], v4, v5 src0_sel:WORD_1 src1_sel:DWORD
	v_cmp_ne_u16_sdwa s[22:23], v4, v4 src0_sel:DWORD src1_sel:WORD_1
	v_cmp_ne_u16_sdwa s[24:25], v3, v4 src0_sel:WORD_1 src1_sel:DWORD
	v_cmp_ne_u16_sdwa s[26:27], v3, v3 src0_sel:DWORD src1_sel:WORD_1
	v_cmp_ne_u16_sdwa s[28:29], v2, v3 src0_sel:WORD_1 src1_sel:DWORD
	v_cmp_ne_u16_sdwa s[30:31], v2, v2 src0_sel:DWORD src1_sel:WORD_1
	v_cmp_ne_u16_e64 s[0:1], v1, v2
	v_cmp_ne_u32_e64 s[2:3], 0, v0
	ds_write_b16 v7, v8
	s_waitcnt lgkmcnt(0)
	s_barrier
	s_and_saveexec_b64 s[40:41], s[2:3]
	s_cbranch_execz .LBB394_54
; %bb.53:
	s_waitcnt vmcnt(0)
	v_add_u32_e32 v6, -2, v7
	ds_read_u16 v6, v6
.LBB394_54:
	s_or_b64 exec, exec, s[40:41]
	v_cndmask_b32_e64 v17, 0, 1, vcc
	v_cndmask_b32_e64 v54, 0, 1, s[4:5]
	v_cndmask_b32_e64 v55, 0, 1, s[10:11]
	;; [unrolled: 1-line block ×13, first 2 shown]
	s_waitcnt vmcnt(0) lgkmcnt(0)
	v_cmp_ne_u16_e64 s[0:1], v6, v1
	s_mov_b64 s[4:5], -1
.LBB394_55:
                                        ; implicit-def: $sgpr12
	s_branch .LBB394_83
.LBB394_56:
                                        ; implicit-def: $sgpr0_sgpr1
                                        ; implicit-def: $vgpr17
                                        ; implicit-def: $vgpr54
                                        ; implicit-def: $vgpr55
                                        ; implicit-def: $vgpr56
                                        ; implicit-def: $vgpr57
                                        ; implicit-def: $vgpr58
                                        ; implicit-def: $vgpr59
                                        ; implicit-def: $vgpr60
                                        ; implicit-def: $vgpr61
                                        ; implicit-def: $vgpr62
                                        ; implicit-def: $vgpr63
                                        ; implicit-def: $vgpr64
                                        ; implicit-def: $vgpr65
                                        ; implicit-def: $vgpr66
                                        ; implicit-def: $sgpr12
	s_cbranch_execnz .LBB394_75
	s_branch .LBB394_83
.LBB394_57:
	v_mov_b32_e32 v19, s62
	v_add_co_u32_e32 v18, vcc, s49, v9
	v_addc_co_u32_e32 v19, vcc, 0, v19, vcc
	flat_load_ushort v18, v[18:19]
	s_or_b64 exec, exec, s[30:31]
                                        ; implicit-def: $vgpr19
	s_and_saveexec_b64 s[30:31], s[0:1]
	s_cbranch_execz .LBB394_35
.LBB394_58:
	v_mov_b32_e32 v19, s62
	v_add_co_u32_e32 v20, vcc, s49, v9
	v_addc_co_u32_e32 v21, vcc, 0, v19, vcc
	flat_load_ushort v19, v[20:21] offset:512
	s_or_b64 exec, exec, s[30:31]
                                        ; implicit-def: $vgpr20
	s_and_saveexec_b64 s[0:1], s[2:3]
	s_cbranch_execz .LBB394_36
.LBB394_59:
	v_mov_b32_e32 v21, s62
	v_add_co_u32_e32 v20, vcc, s49, v9
	v_addc_co_u32_e32 v21, vcc, 0, v21, vcc
	flat_load_ushort v20, v[20:21] offset:1024
	s_or_b64 exec, exec, s[0:1]
                                        ; implicit-def: $vgpr21
	s_and_saveexec_b64 s[0:1], s[4:5]
	s_cbranch_execz .LBB394_37
.LBB394_60:
	v_mov_b32_e32 v21, s62
	v_add_co_u32_e32 v22, vcc, s49, v9
	v_addc_co_u32_e32 v23, vcc, 0, v21, vcc
	flat_load_ushort v21, v[22:23] offset:1536
	s_or_b64 exec, exec, s[0:1]
                                        ; implicit-def: $vgpr22
	s_and_saveexec_b64 s[0:1], s[28:29]
	s_cbranch_execz .LBB394_38
.LBB394_61:
	v_mov_b32_e32 v23, s62
	v_add_co_u32_e32 v22, vcc, s49, v9
	v_addc_co_u32_e32 v23, vcc, 0, v23, vcc
	flat_load_ushort v22, v[22:23] offset:2048
	s_or_b64 exec, exec, s[0:1]
                                        ; implicit-def: $vgpr23
	s_and_saveexec_b64 s[0:1], s[8:9]
	s_cbranch_execz .LBB394_39
.LBB394_62:
	v_mov_b32_e32 v23, s62
	v_add_co_u32_e32 v24, vcc, s49, v9
	v_addc_co_u32_e32 v25, vcc, 0, v23, vcc
	flat_load_ushort v23, v[24:25] offset:2560
	s_or_b64 exec, exec, s[0:1]
                                        ; implicit-def: $vgpr24
	s_and_saveexec_b64 s[0:1], s[10:11]
	s_cbranch_execz .LBB394_40
.LBB394_63:
	v_mov_b32_e32 v25, s62
	v_add_co_u32_e32 v24, vcc, s49, v9
	v_addc_co_u32_e32 v25, vcc, 0, v25, vcc
	flat_load_ushort v24, v[24:25] offset:3072
	s_or_b64 exec, exec, s[0:1]
                                        ; implicit-def: $vgpr25
	s_and_saveexec_b64 s[0:1], s[12:13]
	s_cbranch_execz .LBB394_41
.LBB394_64:
	v_mov_b32_e32 v25, s62
	v_add_co_u32_e32 v26, vcc, s49, v9
	v_addc_co_u32_e32 v27, vcc, 0, v25, vcc
	flat_load_ushort v25, v[26:27] offset:3584
	s_or_b64 exec, exec, s[0:1]
                                        ; implicit-def: $vgpr26
	s_and_saveexec_b64 s[0:1], s[14:15]
	s_cbranch_execz .LBB394_42
.LBB394_65:
	v_mov_b32_e32 v27, s62
	v_add_co_u32_e32 v26, vcc, s49, v7
	v_addc_co_u32_e32 v27, vcc, 0, v27, vcc
	flat_load_ushort v26, v[26:27]
	s_or_b64 exec, exec, s[0:1]
                                        ; implicit-def: $vgpr27
	s_and_saveexec_b64 s[0:1], s[16:17]
	s_cbranch_execz .LBB394_43
.LBB394_66:
	v_mov_b32_e32 v7, s62
	v_add_co_u32_e32 v28, vcc, s49, v8
	v_addc_co_u32_e32 v29, vcc, 0, v7, vcc
	flat_load_ushort v27, v[28:29]
	s_or_b64 exec, exec, s[0:1]
                                        ; implicit-def: $vgpr8
	s_and_saveexec_b64 s[0:1], s[18:19]
	s_cbranch_execz .LBB394_44
.LBB394_67:
	v_mov_b32_e32 v7, s62
	v_add_co_u32_e32 v28, vcc, s49, v10
	v_addc_co_u32_e32 v29, vcc, 0, v7, vcc
	flat_load_ushort v8, v[28:29]
	s_or_b64 exec, exec, s[0:1]
                                        ; implicit-def: $vgpr10
	s_and_saveexec_b64 s[0:1], s[20:21]
	s_cbranch_execz .LBB394_45
.LBB394_68:
	v_mov_b32_e32 v7, s62
	v_add_co_u32_e32 v10, vcc, s49, v11
	v_addc_co_u32_e32 v11, vcc, 0, v7, vcc
	flat_load_ushort v10, v[10:11]
	s_or_b64 exec, exec, s[0:1]
                                        ; implicit-def: $vgpr11
	s_and_saveexec_b64 s[0:1], s[22:23]
	s_cbranch_execz .LBB394_46
.LBB394_69:
	v_mov_b32_e32 v7, s62
	v_add_co_u32_e32 v28, vcc, s49, v12
	v_addc_co_u32_e32 v29, vcc, 0, v7, vcc
	flat_load_ushort v11, v[28:29]
	s_or_b64 exec, exec, s[0:1]
                                        ; implicit-def: $vgpr12
	s_and_saveexec_b64 s[0:1], s[24:25]
	s_cbranch_execz .LBB394_47
.LBB394_70:
	v_mov_b32_e32 v7, s62
	v_add_co_u32_e32 v12, vcc, s49, v13
	v_addc_co_u32_e32 v13, vcc, 0, v7, vcc
	flat_load_ushort v12, v[12:13]
	s_or_b64 exec, exec, s[0:1]
                                        ; implicit-def: $vgpr13
	s_and_saveexec_b64 s[0:1], s[26:27]
	s_cbranch_execnz .LBB394_48
	s_branch .LBB394_49
.LBB394_71:
                                        ; implicit-def: $sgpr0_sgpr1
                                        ; implicit-def: $vgpr17
                                        ; implicit-def: $vgpr54
                                        ; implicit-def: $vgpr55
                                        ; implicit-def: $vgpr56
                                        ; implicit-def: $vgpr57
                                        ; implicit-def: $vgpr58
                                        ; implicit-def: $vgpr59
                                        ; implicit-def: $vgpr60
                                        ; implicit-def: $vgpr61
                                        ; implicit-def: $vgpr62
                                        ; implicit-def: $vgpr63
                                        ; implicit-def: $vgpr64
                                        ; implicit-def: $vgpr65
                                        ; implicit-def: $vgpr66
	s_cbranch_execz .LBB394_55
; %bb.72:
	v_cmp_ne_u16_sdwa s[0:1], v15, v16 src0_sel:WORD_1 src1_sel:DWORD
	v_cndmask_b32_e64 v54, 0, 1, s[0:1]
	v_cmp_ne_u16_sdwa s[0:1], v15, v15 src0_sel:DWORD src1_sel:WORD_1
	v_cndmask_b32_e64 v55, 0, 1, s[0:1]
	v_cmp_ne_u16_sdwa s[0:1], v14, v15 src0_sel:WORD_1 src1_sel:DWORD
	v_cndmask_b32_e64 v56, 0, 1, s[0:1]
	v_cmp_ne_u16_sdwa s[0:1], v14, v14 src0_sel:DWORD src1_sel:WORD_1
	v_cndmask_b32_e64 v57, 0, 1, s[0:1]
	v_cmp_ne_u16_sdwa s[0:1], v5, v14 src0_sel:WORD_1 src1_sel:DWORD
	v_cndmask_b32_e64 v58, 0, 1, s[0:1]
	v_cmp_ne_u16_sdwa s[0:1], v5, v5 src0_sel:DWORD src1_sel:WORD_1
	v_cndmask_b32_e64 v59, 0, 1, s[0:1]
	v_cmp_ne_u16_sdwa s[0:1], v4, v5 src0_sel:WORD_1 src1_sel:DWORD
	v_cndmask_b32_e64 v60, 0, 1, s[0:1]
	v_cmp_ne_u16_sdwa s[0:1], v4, v4 src0_sel:DWORD src1_sel:WORD_1
	v_cndmask_b32_e64 v61, 0, 1, s[0:1]
	v_cmp_ne_u16_sdwa s[0:1], v3, v4 src0_sel:WORD_1 src1_sel:DWORD
	v_lshrrev_b32_e32 v7, 16, v16
	v_cndmask_b32_e64 v62, 0, 1, s[0:1]
	v_cmp_ne_u16_sdwa s[0:1], v3, v3 src0_sel:DWORD src1_sel:WORD_1
	v_cmp_ne_u16_e32 vcc, v16, v7
	v_cndmask_b32_e64 v63, 0, 1, s[0:1]
	v_cmp_ne_u16_sdwa s[0:1], v2, v3 src0_sel:WORD_1 src1_sel:DWORD
	v_cndmask_b32_e64 v17, 0, 1, vcc
	v_cndmask_b32_e64 v64, 0, 1, s[0:1]
	v_cmp_ne_u16_sdwa s[0:1], v2, v2 src0_sel:DWORD src1_sel:WORD_1
	v_cmp_ne_u16_e32 vcc, v1, v2
	s_mov_b32 s12, 1
	v_lshlrev_b32_e32 v6, 1, v0
	v_cndmask_b32_e64 v65, 0, 1, s[0:1]
	v_cndmask_b32_e64 v66, 0, 1, vcc
	v_cmp_ne_u32_e32 vcc, 0, v0
	ds_write_b16 v6, v7
	s_waitcnt lgkmcnt(0)
	s_barrier
	s_waitcnt lgkmcnt(0)
                                        ; implicit-def: $sgpr0_sgpr1
	s_and_saveexec_b64 s[2:3], vcc
	s_xor_b64 s[2:3], exec, s[2:3]
	s_cbranch_execz .LBB394_74
; %bb.73:
	v_add_u32_e32 v6, -2, v6
	ds_read_u16 v6, v6
	s_or_b64 s[4:5], s[4:5], exec
	s_waitcnt lgkmcnt(0)
	v_cmp_ne_u16_e32 vcc, v6, v1
	s_and_b64 s[0:1], vcc, exec
.LBB394_74:
	s_or_b64 exec, exec, s[2:3]
	s_branch .LBB394_83
.LBB394_75:
	s_mul_hi_u32 s1, s38, 0xfffff100
	s_mul_i32 s0, s39, 0xfffff100
	s_sub_i32 s1, s1, s38
	s_add_i32 s1, s1, s0
	s_mul_i32 s0, s38, 0xfffff100
	s_add_u32 s10, s0, s56
	s_addc_u32 s11, s1, s57
	s_and_b64 vcc, exec, s[8:9]
	v_lshrrev_b32_e32 v40, 16, v16
	v_mad_u32_u24 v6, v0, 15, 14
	v_mad_u32_u24 v36, v0, 15, 13
	v_cmp_ne_u16_sdwa s[14:15], v15, v16 src0_sel:WORD_1 src1_sel:DWORD
	v_mad_u32_u24 v34, v0, 15, 12
	v_cmp_ne_u16_sdwa s[18:19], v15, v15 src0_sel:DWORD src1_sel:WORD_1
	v_mad_u32_u24 v32, v0, 15, 11
	v_cmp_ne_u16_sdwa s[24:25], v14, v15 src0_sel:WORD_1 src1_sel:DWORD
	v_mad_u32_u24 v30, v0, 15, 10
	v_cmp_ne_u16_sdwa s[28:29], v14, v14 src0_sel:DWORD src1_sel:WORD_1
	;; [unrolled: 4-line block ×6, first 2 shown]
	v_mad_u32_u24 v8, v0, 15, 1
	v_cmp_ne_u16_e64 s[2:3], v1, v2
	v_cmp_ne_u32_e64 s[0:1], 0, v0
	s_cbranch_vccz .LBB394_80
; %bb.76:
	v_mov_b32_e32 v7, s48
	v_add_co_u32_e64 v38, vcc, -2, s7
	v_addc_co_u32_e32 v39, vcc, -1, v7, vcc
	flat_load_ushort v41, v[38:39]
	v_mov_b32_e32 v7, 0
	v_cmp_gt_u64_e32 vcc, s[10:11], v[6:7]
	v_cmp_ne_u16_e64 s[4:5], v16, v40
	v_mov_b32_e32 v37, v7
	s_and_b64 s[4:5], vcc, s[4:5]
	v_cmp_gt_u64_e32 vcc, s[10:11], v[36:37]
	v_mov_b32_e32 v35, v7
	s_and_b64 s[14:15], vcc, s[14:15]
	v_cmp_gt_u64_e32 vcc, s[10:11], v[34:35]
	;; [unrolled: 3-line block ×13, first 2 shown]
	v_lshlrev_b32_e32 v17, 1, v0
	v_mul_u32_u24_e32 v38, 15, v0
	s_and_b64 s[2:3], vcc, s[2:3]
	ds_write_b16 v17, v40
	s_waitcnt lgkmcnt(0)
	s_barrier
	s_and_saveexec_b64 s[40:41], s[0:1]
	s_cbranch_execz .LBB394_78
; %bb.77:
	v_add_u32_e32 v9, -2, v17
	s_waitcnt vmcnt(0)
	ds_read_u16 v41, v9
.LBB394_78:
	s_or_b64 exec, exec, s[40:41]
	v_mov_b32_e32 v39, v7
	v_cmp_gt_u64_e32 vcc, s[10:11], v[38:39]
	s_waitcnt vmcnt(0) lgkmcnt(0)
	v_cmp_ne_u16_e64 s[0:1], v41, v1
	v_cndmask_b32_e64 v17, 0, 1, s[4:5]
	v_cndmask_b32_e64 v54, 0, 1, s[14:15]
	;; [unrolled: 1-line block ×14, first 2 shown]
	s_and_b64 s[0:1], vcc, s[0:1]
	s_mov_b64 s[4:5], -1
.LBB394_79:
                                        ; implicit-def: $sgpr12
	v_mov_b32_e32 v68, s12
	s_and_saveexec_b64 s[2:3], s[4:5]
	s_cbranch_execnz .LBB394_84
	s_branch .LBB394_85
.LBB394_80:
                                        ; implicit-def: $sgpr0_sgpr1
                                        ; implicit-def: $vgpr17
                                        ; implicit-def: $vgpr54
                                        ; implicit-def: $vgpr55
                                        ; implicit-def: $vgpr56
                                        ; implicit-def: $vgpr57
                                        ; implicit-def: $vgpr58
                                        ; implicit-def: $vgpr59
                                        ; implicit-def: $vgpr60
                                        ; implicit-def: $vgpr61
                                        ; implicit-def: $vgpr62
                                        ; implicit-def: $vgpr63
                                        ; implicit-def: $vgpr64
                                        ; implicit-def: $vgpr65
                                        ; implicit-def: $vgpr66
	s_cbranch_execz .LBB394_79
; %bb.81:
	v_mov_b32_e32 v7, 0
	v_cmp_gt_u64_e32 vcc, s[10:11], v[6:7]
	v_cmp_ne_u16_e64 s[0:1], v16, v40
	s_and_b64 s[0:1], vcc, s[0:1]
	v_mov_b32_e32 v37, v7
	v_cndmask_b32_e64 v17, 0, 1, s[0:1]
	v_cmp_gt_u64_e32 vcc, s[10:11], v[36:37]
	v_cmp_ne_u16_sdwa s[0:1], v15, v16 src0_sel:WORD_1 src1_sel:DWORD
	s_and_b64 s[0:1], vcc, s[0:1]
	v_mov_b32_e32 v35, v7
	v_cndmask_b32_e64 v54, 0, 1, s[0:1]
	v_cmp_gt_u64_e32 vcc, s[10:11], v[34:35]
	v_cmp_ne_u16_sdwa s[0:1], v15, v15 src0_sel:DWORD src1_sel:WORD_1
	s_and_b64 s[0:1], vcc, s[0:1]
	v_mov_b32_e32 v33, v7
	v_cndmask_b32_e64 v55, 0, 1, s[0:1]
	v_cmp_gt_u64_e32 vcc, s[10:11], v[32:33]
	v_cmp_ne_u16_sdwa s[0:1], v14, v15 src0_sel:WORD_1 src1_sel:DWORD
	s_and_b64 s[0:1], vcc, s[0:1]
	v_mov_b32_e32 v31, v7
	v_cndmask_b32_e64 v56, 0, 1, s[0:1]
	v_cmp_gt_u64_e32 vcc, s[10:11], v[30:31]
	v_cmp_ne_u16_sdwa s[0:1], v14, v14 src0_sel:DWORD src1_sel:WORD_1
	s_and_b64 s[0:1], vcc, s[0:1]
	v_mov_b32_e32 v29, v7
	v_cndmask_b32_e64 v57, 0, 1, s[0:1]
	v_cmp_gt_u64_e32 vcc, s[10:11], v[28:29]
	v_cmp_ne_u16_sdwa s[0:1], v5, v14 src0_sel:WORD_1 src1_sel:DWORD
	s_and_b64 s[0:1], vcc, s[0:1]
	v_mov_b32_e32 v27, v7
	v_cndmask_b32_e64 v58, 0, 1, s[0:1]
	v_cmp_gt_u64_e32 vcc, s[10:11], v[26:27]
	v_cmp_ne_u16_sdwa s[0:1], v5, v5 src0_sel:DWORD src1_sel:WORD_1
	s_and_b64 s[0:1], vcc, s[0:1]
	v_mov_b32_e32 v25, v7
	v_cndmask_b32_e64 v59, 0, 1, s[0:1]
	v_cmp_gt_u64_e32 vcc, s[10:11], v[24:25]
	v_cmp_ne_u16_sdwa s[0:1], v4, v5 src0_sel:WORD_1 src1_sel:DWORD
	s_and_b64 s[0:1], vcc, s[0:1]
	v_mov_b32_e32 v23, v7
	v_cndmask_b32_e64 v60, 0, 1, s[0:1]
	v_cmp_gt_u64_e32 vcc, s[10:11], v[22:23]
	v_cmp_ne_u16_sdwa s[0:1], v4, v4 src0_sel:DWORD src1_sel:WORD_1
	s_and_b64 s[0:1], vcc, s[0:1]
	v_mov_b32_e32 v21, v7
	v_cndmask_b32_e64 v61, 0, 1, s[0:1]
	v_cmp_gt_u64_e32 vcc, s[10:11], v[20:21]
	v_cmp_ne_u16_sdwa s[0:1], v3, v4 src0_sel:WORD_1 src1_sel:DWORD
	s_and_b64 s[0:1], vcc, s[0:1]
	v_mov_b32_e32 v19, v7
	v_cndmask_b32_e64 v62, 0, 1, s[0:1]
	v_cmp_gt_u64_e32 vcc, s[10:11], v[18:19]
	v_cmp_ne_u16_sdwa s[0:1], v3, v3 src0_sel:DWORD src1_sel:WORD_1
	s_and_b64 s[0:1], vcc, s[0:1]
	v_mov_b32_e32 v13, v7
	v_cndmask_b32_e64 v63, 0, 1, s[0:1]
	v_cmp_gt_u64_e32 vcc, s[10:11], v[12:13]
	v_cmp_ne_u16_sdwa s[0:1], v2, v3 src0_sel:WORD_1 src1_sel:DWORD
	s_and_b64 s[0:1], vcc, s[0:1]
	v_mov_b32_e32 v11, v7
	v_cndmask_b32_e64 v64, 0, 1, s[0:1]
	v_cmp_gt_u64_e32 vcc, s[10:11], v[10:11]
	v_cmp_ne_u16_sdwa s[0:1], v2, v2 src0_sel:DWORD src1_sel:WORD_1
	s_and_b64 s[0:1], vcc, s[0:1]
	v_mov_b32_e32 v9, v7
	v_cndmask_b32_e64 v65, 0, 1, s[0:1]
	v_cmp_gt_u64_e32 vcc, s[10:11], v[8:9]
	v_cmp_ne_u16_e64 s[0:1], v1, v2
	s_and_b64 s[0:1], vcc, s[0:1]
	s_mov_b32 s12, 1
	v_lshlrev_b32_e32 v38, 1, v0
	v_cndmask_b32_e64 v66, 0, 1, s[0:1]
	v_cmp_ne_u32_e32 vcc, 0, v0
	ds_write_b16 v38, v40
	s_waitcnt lgkmcnt(0)
	s_barrier
	s_waitcnt lgkmcnt(0)
                                        ; implicit-def: $sgpr0_sgpr1
	s_and_saveexec_b64 s[2:3], vcc
	s_cbranch_execz .LBB394_188
; %bb.82:
	v_add_u32_e32 v6, -2, v38
	ds_read_u16 v8, v6
	v_mul_u32_u24_e32 v6, 15, v0
	v_cmp_gt_u64_e32 vcc, s[10:11], v[6:7]
	s_or_b64 s[4:5], s[4:5], exec
	s_waitcnt lgkmcnt(0)
	v_cmp_ne_u16_e64 s[0:1], v8, v1
	s_and_b64 s[0:1], vcc, s[0:1]
	s_and_b64 s[0:1], s[0:1], exec
	s_or_b64 exec, exec, s[2:3]
.LBB394_83:
	v_mov_b32_e32 v68, s12
	s_and_saveexec_b64 s[2:3], s[4:5]
.LBB394_84:
	v_cndmask_b32_e64 v68, 0, 1, s[0:1]
.LBB394_85:
	s_or_b64 exec, exec, s[2:3]
	s_cmp_eq_u64 s[46:47], 0
	v_add3_u32 v6, v66, v68, v65
	s_cselect_b64 s[30:31], -1, 0
	s_cmp_lg_u32 s6, 0
	v_cmp_eq_u32_e64 s[24:25], 0, v66
	v_cmp_eq_u32_e64 s[22:23], 0, v65
	v_cmp_eq_u32_e64 s[20:21], 0, v64
	v_add3_u32 v83, v6, v64, v63
	v_cmp_eq_u32_e64 s[18:19], 0, v63
	v_cmp_eq_u32_e64 s[16:17], 0, v62
	;; [unrolled: 1-line block ×10, first 2 shown]
	v_cmp_eq_u32_e32 vcc, 0, v17
	v_mbcnt_lo_u32_b32 v82, -1, 0
	v_lshrrev_b32_e32 v80, 6, v0
	v_or_b32_e32 v81, 63, v0
	s_cbranch_scc0 .LBB394_112
; %bb.86:
	v_cndmask_b32_e64 v6, 0, v77, s[24:25]
	v_add_u16_e32 v6, v6, v76
	v_cndmask_b32_e64 v6, 0, v6, s[22:23]
	v_add_u16_e32 v6, v6, v78
	;; [unrolled: 2-line block ×11, first 2 shown]
	v_cndmask_b32_e64 v6, 0, v6, s[2:3]
	v_add3_u32 v7, v83, v62, v61
	v_add_u16_e32 v6, v6, v52
	v_add3_u32 v7, v7, v60, v59
	v_cndmask_b32_e64 v6, 0, v6, s[0:1]
	v_add3_u32 v7, v7, v58, v57
	v_add_u16_e32 v6, v6, v50
	v_add3_u32 v7, v7, v56, v55
	v_cndmask_b32_e32 v6, 0, v6, vcc
	v_add3_u32 v7, v7, v54, v17
	v_add_u16_e32 v6, v6, v79
	v_mbcnt_hi_u32_b32 v19, -1, v82
	v_and_b32_e32 v8, 15, v19
	v_mov_b32_dpp v10, v6 row_shr:1 row_mask:0xf bank_mask:0xf
	v_cmp_eq_u32_e32 vcc, 0, v7
	v_mov_b32_dpp v9, v7 row_shr:1 row_mask:0xf bank_mask:0xf
	v_cndmask_b32_e32 v10, 0, v10, vcc
	v_cmp_eq_u32_e32 vcc, 0, v8
	v_add_u16_e32 v10, v10, v6
	v_cndmask_b32_e64 v9, v9, 0, vcc
	v_add_u32_e32 v7, v9, v7
	v_cndmask_b32_e32 v6, v10, v6, vcc
	v_cmp_eq_u32_e32 vcc, 0, v7
	v_mov_b32_dpp v9, v7 row_shr:2 row_mask:0xf bank_mask:0xf
	v_mov_b32_dpp v10, v6 row_shr:2 row_mask:0xf bank_mask:0xf
	v_cndmask_b32_e32 v10, 0, v10, vcc
	v_cmp_lt_u32_e32 vcc, 1, v8
	v_add_u16_e32 v10, v10, v6
	v_cndmask_b32_e32 v9, 0, v9, vcc
	v_cndmask_b32_e32 v6, v6, v10, vcc
	v_add_u32_e32 v7, v7, v9
	v_cmp_eq_u32_e32 vcc, 0, v7
	v_mov_b32_dpp v10, v6 row_shr:4 row_mask:0xf bank_mask:0xf
	v_mov_b32_dpp v9, v7 row_shr:4 row_mask:0xf bank_mask:0xf
	v_cndmask_b32_e32 v10, 0, v10, vcc
	v_cmp_lt_u32_e32 vcc, 3, v8
	v_add_u16_e32 v10, v10, v6
	v_cndmask_b32_e32 v9, 0, v9, vcc
	v_cndmask_b32_e32 v6, v6, v10, vcc
	v_add_u32_e32 v7, v9, v7
	;; [unrolled: 9-line block ×3, first 2 shown]
	v_bfe_i32 v10, v19, 4, 1
	v_mov_b32_dpp v9, v6 row_bcast:15 row_mask:0xf bank_mask:0xf
	v_mov_b32_dpp v8, v7 row_bcast:15 row_mask:0xf bank_mask:0xf
	v_cmp_eq_u32_e32 vcc, 0, v7
	v_and_b32_e32 v11, 16, v19
	v_cndmask_b32_e32 v9, 0, v9, vcc
	v_and_b32_e32 v8, v10, v8
	v_add_u16_e32 v9, v9, v6
	v_add_u32_e32 v7, v8, v7
	v_cmp_eq_u32_e32 vcc, 0, v11
	v_cndmask_b32_e32 v8, v9, v6, vcc
	v_mov_b32_dpp v6, v7 row_bcast:31 row_mask:0xf bank_mask:0xf
	v_cmp_eq_u32_e32 vcc, 0, v7
	v_cmp_lt_u32_e64 s[26:27], 31, v19
	v_mov_b32_dpp v9, v8 row_bcast:31 row_mask:0xf bank_mask:0xf
	v_cndmask_b32_e64 v6, 0, v6, s[26:27]
	s_and_b64 vcc, s[26:27], vcc
	v_add_u32_e32 v6, v6, v7
	v_cndmask_b32_e32 v7, 0, v9, vcc
	v_add_u16_e32 v7, v7, v8
	v_cmp_eq_u32_e32 vcc, v81, v0
	v_lshlrev_b32_e32 v8, 3, v80
	s_and_saveexec_b64 s[26:27], vcc
	s_cbranch_execz .LBB394_88
; %bb.87:
	ds_write_b32 v8, v6 offset:1040
	ds_write_b16 v8, v7 offset:1044
.LBB394_88:
	s_or_b64 exec, exec, s[26:27]
	v_cmp_gt_u32_e32 vcc, 4, v0
	s_waitcnt lgkmcnt(0)
	s_barrier
	s_and_saveexec_b64 s[38:39], vcc
	s_cbranch_execz .LBB394_90
; %bb.89:
	v_lshlrev_b32_e32 v9, 3, v0
	ds_read_b64 v[10:11], v9 offset:1040
	v_and_b32_e32 v12, 3, v19
	s_mov_b32 s7, 0xffff0000
	v_cmp_lt_u32_e64 s[26:27], 1, v12
	s_waitcnt lgkmcnt(0)
	v_mov_b32_dpp v18, v11 row_shr:1 row_mask:0xf bank_mask:0xf
	v_cmp_eq_u32_e32 vcc, 0, v10
	v_mov_b32_dpp v13, v10 row_shr:1 row_mask:0xf bank_mask:0xf
	v_cndmask_b32_e32 v18, 0, v18, vcc
	v_cmp_eq_u32_e32 vcc, 0, v12
	v_add_u16_e32 v18, v18, v11
	v_cndmask_b32_e64 v13, v13, 0, vcc
	v_and_or_b32 v20, v11, s7, v18
	v_add_u32_e32 v10, v13, v10
	v_cndmask_b32_e32 v13, v18, v11, vcc
	v_cndmask_b32_e32 v11, v20, v11, vcc
	v_mov_b32_dpp v18, v10 row_shr:2 row_mask:0xf bank_mask:0xf
	v_cmp_eq_u32_e32 vcc, 0, v10
	v_mov_b32_dpp v11, v11 row_shr:2 row_mask:0xf bank_mask:0xf
	v_cndmask_b32_e64 v12, 0, v18, s[26:27]
	s_and_b64 vcc, s[26:27], vcc
	v_add_u32_e32 v10, v12, v10
	v_cndmask_b32_e32 v11, 0, v11, vcc
	v_add_u16_e32 v11, v13, v11
	ds_write_b32 v9, v10 offset:1040
	ds_write_b16 v9, v11 offset:1044
.LBB394_90:
	s_or_b64 exec, exec, s[38:39]
	v_cmp_gt_u32_e32 vcc, 64, v0
	v_cmp_lt_u32_e64 s[26:27], 63, v0
	v_mov_b32_e32 v22, 0
	v_mov_b32_e32 v23, 0
	s_waitcnt lgkmcnt(0)
	s_barrier
	s_and_saveexec_b64 s[38:39], s[26:27]
	s_cbranch_execz .LBB394_92
; %bb.91:
	ds_read_b32 v22, v8 offset:1032
	ds_read_u16 v23, v8 offset:1036
	v_cmp_eq_u32_e64 s[26:27], 0, v6
	s_waitcnt lgkmcnt(1)
	v_add_u32_e32 v8, v22, v6
	s_waitcnt lgkmcnt(0)
	v_cndmask_b32_e64 v6, 0, v23, s[26:27]
	v_add_u16_e32 v7, v6, v7
	v_mov_b32_e32 v6, v8
.LBB394_92:
	s_or_b64 exec, exec, s[38:39]
	v_add_u32_e32 v8, -1, v19
	v_and_b32_e32 v9, 64, v19
	v_cmp_lt_i32_e64 s[26:27], v8, v9
	v_cndmask_b32_e64 v8, v8, v19, s[26:27]
	v_and_b32_e32 v7, 0xffff, v7
	v_lshlrev_b32_e32 v8, 2, v8
	ds_bpermute_b32 v24, v8, v6
	ds_bpermute_b32 v25, v8, v7
	v_cmp_eq_u32_e64 s[26:27], 0, v19
	s_and_saveexec_b64 s[38:39], vcc
	s_cbranch_execz .LBB394_111
; %bb.93:
	v_mov_b32_e32 v9, 0
	ds_read_b64 v[6:7], v9 offset:1064
	s_waitcnt lgkmcnt(0)
	v_readfirstlane_b32 s7, v7
	s_and_saveexec_b64 s[40:41], s[26:27]
	s_cbranch_execz .LBB394_95
; %bb.94:
	s_add_i32 s46, s6, 64
	s_mov_b32 s47, 0
	s_lshl_b64 s[48:49], s[46:47], 4
	s_add_u32 s48, s44, s48
	s_addc_u32 s49, s45, s49
	s_and_b32 s51, s7, 0xff000000
	s_mov_b32 s50, s47
	s_and_b32 s57, s7, 0xff0000
	s_mov_b32 s56, s47
	s_or_b64 s[50:51], s[56:57], s[50:51]
	s_and_b32 s57, s7, 0xff00
	s_or_b64 s[50:51], s[50:51], s[56:57]
	s_and_b32 s57, s7, 0xff
	s_or_b64 s[46:47], s[50:51], s[56:57]
	v_mov_b32_e32 v7, s47
	v_mov_b32_e32 v8, 1
	v_pk_mov_b32 v[10:11], s[48:49], s[48:49] op_sel:[0,1]
	;;#ASMSTART
	global_store_dwordx4 v[10:11], v[6:9] off	
s_waitcnt vmcnt(0)
	;;#ASMEND
.LBB394_95:
	s_or_b64 exec, exec, s[40:41]
	v_xad_u32 v18, v19, -1, s6
	v_add_u32_e32 v8, 64, v18
	v_lshlrev_b64 v[10:11], 4, v[8:9]
	v_mov_b32_e32 v7, s45
	v_add_co_u32_e32 v20, vcc, s44, v10
	v_addc_co_u32_e32 v21, vcc, v7, v11, vcc
	;;#ASMSTART
	global_load_dwordx4 v[10:13], v[20:21] off glc	
s_waitcnt vmcnt(0)
	;;#ASMEND
	v_and_b32_e32 v7, 0xffffff, v10
	v_and_b32_e32 v8, 0xff000000, v10
	v_or_b32_e32 v7, v7, v8
	v_and_b32_e32 v8, 0xff, v11
	v_and_b32_e32 v10, 0xff00, v11
	v_or3_b32 v11, 0, v8, v10
	v_or3_b32 v10, v7, 0, 0
	v_cmp_eq_u16_sdwa s[46:47], v12, v9 src0_sel:BYTE_0 src1_sel:DWORD
	s_and_saveexec_b64 s[40:41], s[46:47]
	s_cbranch_execz .LBB394_99
; %bb.96:
	s_mov_b64 s[46:47], 0
	v_mov_b32_e32 v7, 0
.LBB394_97:                             ; =>This Inner Loop Header: Depth=1
	;;#ASMSTART
	global_load_dwordx4 v[10:13], v[20:21] off glc	
s_waitcnt vmcnt(0)
	;;#ASMEND
	v_cmp_ne_u16_sdwa s[48:49], v12, v7 src0_sel:BYTE_0 src1_sel:DWORD
	s_or_b64 s[46:47], s[48:49], s[46:47]
	s_andn2_b64 exec, exec, s[46:47]
	s_cbranch_execnz .LBB394_97
; %bb.98:
	s_or_b64 exec, exec, s[46:47]
	v_and_b32_e32 v11, 0xffff, v11
.LBB394_99:
	s_or_b64 exec, exec, s[40:41]
	v_mov_b32_e32 v7, 2
	v_and_b32_e32 v26, 63, v19
	v_cmp_eq_u16_sdwa s[40:41], v12, v7 src0_sel:BYTE_0 src1_sel:DWORD
	v_lshlrev_b64 v[8:9], v19, -1
	v_cmp_ne_u32_e32 vcc, 63, v26
	v_and_b32_e32 v13, s41, v9
	v_addc_co_u32_e32 v21, vcc, 0, v19, vcc
	v_or_b32_e32 v13, 0x80000000, v13
	v_lshlrev_b32_e32 v27, 2, v21
	v_and_b32_e32 v20, s40, v8
	v_ffbl_b32_e32 v13, v13
	ds_bpermute_b32 v21, v27, v11
	v_add_u32_e32 v13, 32, v13
	v_ffbl_b32_e32 v20, v20
	v_min_u32_e32 v13, v20, v13
	ds_bpermute_b32 v20, v27, v10
	v_cmp_eq_u32_e32 vcc, 0, v10
	s_waitcnt lgkmcnt(1)
	v_cndmask_b32_e32 v21, 0, v21, vcc
	v_add_u16_e32 v21, v21, v11
	v_cmp_lt_u32_e32 vcc, v26, v13
	v_cndmask_b32_e32 v11, v11, v21, vcc
	s_waitcnt lgkmcnt(0)
	v_cndmask_b32_e32 v20, 0, v20, vcc
	v_cmp_gt_u32_e32 vcc, 62, v26
	v_cndmask_b32_e64 v21, 0, 1, vcc
	v_lshlrev_b32_e32 v21, 1, v21
	v_add_lshl_u32 v28, v21, v19, 2
	ds_bpermute_b32 v21, v28, v11
	v_add_u32_e32 v10, v20, v10
	ds_bpermute_b32 v20, v28, v10
	v_cmp_eq_u32_e32 vcc, 0, v10
	v_add_u32_e32 v29, 2, v26
	s_waitcnt lgkmcnt(1)
	v_cndmask_b32_e32 v21, 0, v21, vcc
	v_add_u16_e32 v21, v21, v11
	v_cmp_gt_u32_e32 vcc, v29, v13
	v_cndmask_b32_e32 v11, v21, v11, vcc
	s_waitcnt lgkmcnt(0)
	v_cndmask_b32_e64 v20, v20, 0, vcc
	v_cmp_gt_u32_e32 vcc, 60, v26
	v_cndmask_b32_e64 v21, 0, 1, vcc
	v_lshlrev_b32_e32 v21, 2, v21
	v_add_lshl_u32 v30, v21, v19, 2
	ds_bpermute_b32 v21, v30, v11
	v_add_u32_e32 v10, v10, v20
	ds_bpermute_b32 v20, v30, v10
	v_cmp_eq_u32_e32 vcc, 0, v10
	v_add_u32_e32 v31, 4, v26
	s_waitcnt lgkmcnt(1)
	v_cndmask_b32_e32 v21, 0, v21, vcc
	v_add_u16_e32 v21, v11, v21
	v_cmp_gt_u32_e32 vcc, v31, v13
	v_cndmask_b32_e32 v11, v21, v11, vcc
	s_waitcnt lgkmcnt(0)
	v_cndmask_b32_e64 v20, v20, 0, vcc
	;; [unrolled: 16-line block ×4, first 2 shown]
	v_cmp_gt_u32_e32 vcc, 32, v26
	v_cndmask_b32_e64 v21, 0, 1, vcc
	v_lshlrev_b32_e32 v21, 5, v21
	v_add_lshl_u32 v38, v21, v19, 2
	ds_bpermute_b32 v19, v38, v11
	v_add_u32_e32 v10, v10, v20
	ds_bpermute_b32 v20, v38, v10
	v_add_u32_e32 v39, 32, v26
	v_cmp_eq_u32_e32 vcc, 0, v10
	s_waitcnt lgkmcnt(1)
	v_cndmask_b32_e32 v19, 0, v19, vcc
	v_cmp_gt_u32_e32 vcc, v39, v13
	v_cndmask_b32_e64 v13, v19, 0, vcc
	v_add_u16_e32 v11, v11, v13
	s_waitcnt lgkmcnt(0)
	v_cndmask_b32_e64 v13, v20, 0, vcc
	v_add_u32_e32 v10, v13, v10
	v_mov_b32_e32 v19, 0
	s_branch .LBB394_101
.LBB394_100:                            ;   in Loop: Header=BB394_101 Depth=1
	s_or_b64 exec, exec, s[40:41]
	v_cmp_eq_u16_sdwa s[40:41], v12, v7 src0_sel:BYTE_0 src1_sel:DWORD
	ds_bpermute_b32 v21, v27, v11
	v_and_b32_e32 v13, s41, v9
	v_or_b32_e32 v13, 0x80000000, v13
	v_and_b32_e32 v20, s40, v8
	v_ffbl_b32_e32 v13, v13
	v_add_u32_e32 v13, 32, v13
	v_ffbl_b32_e32 v20, v20
	v_cmp_eq_u32_e32 vcc, 0, v10
	v_min_u32_e32 v13, v20, v13
	ds_bpermute_b32 v20, v27, v10
	s_waitcnt lgkmcnt(1)
	v_cndmask_b32_e32 v21, 0, v21, vcc
	v_add_u16_e32 v21, v21, v11
	v_cmp_lt_u32_e32 vcc, v26, v13
	v_cndmask_b32_e32 v11, v11, v21, vcc
	ds_bpermute_b32 v21, v28, v11
	s_waitcnt lgkmcnt(1)
	v_cndmask_b32_e32 v20, 0, v20, vcc
	v_add_u32_e32 v10, v20, v10
	v_cmp_eq_u32_e32 vcc, 0, v10
	ds_bpermute_b32 v20, v28, v10
	s_waitcnt lgkmcnt(1)
	v_cndmask_b32_e32 v21, 0, v21, vcc
	v_add_u16_e32 v21, v21, v11
	v_cmp_gt_u32_e32 vcc, v29, v13
	v_cndmask_b32_e32 v11, v21, v11, vcc
	ds_bpermute_b32 v21, v30, v11
	s_waitcnt lgkmcnt(1)
	v_cndmask_b32_e64 v20, v20, 0, vcc
	v_add_u32_e32 v10, v10, v20
	v_cmp_eq_u32_e32 vcc, 0, v10
	ds_bpermute_b32 v20, v30, v10
	s_waitcnt lgkmcnt(1)
	v_cndmask_b32_e32 v21, 0, v21, vcc
	v_add_u16_e32 v21, v11, v21
	v_cmp_gt_u32_e32 vcc, v31, v13
	v_cndmask_b32_e32 v11, v21, v11, vcc
	ds_bpermute_b32 v21, v32, v11
	s_waitcnt lgkmcnt(1)
	v_cndmask_b32_e64 v20, v20, 0, vcc
	v_add_u32_e32 v10, v10, v20
	ds_bpermute_b32 v20, v32, v10
	v_cmp_eq_u32_e32 vcc, 0, v10
	s_waitcnt lgkmcnt(1)
	v_cndmask_b32_e32 v21, 0, v21, vcc
	v_add_u16_e32 v21, v11, v21
	v_cmp_gt_u32_e32 vcc, v33, v13
	v_cndmask_b32_e32 v11, v21, v11, vcc
	ds_bpermute_b32 v21, v35, v11
	s_waitcnt lgkmcnt(1)
	v_cndmask_b32_e64 v20, v20, 0, vcc
	v_add_u32_e32 v10, v10, v20
	ds_bpermute_b32 v20, v35, v10
	v_cmp_eq_u32_e32 vcc, 0, v10
	;; [unrolled: 11-line block ×3, first 2 shown]
	s_waitcnt lgkmcnt(1)
	v_cndmask_b32_e32 v21, 0, v21, vcc
	v_cmp_gt_u32_e32 vcc, v39, v13
	v_cndmask_b32_e64 v13, v21, 0, vcc
	v_add_u16_e32 v11, v11, v13
	s_waitcnt lgkmcnt(0)
	v_cndmask_b32_e64 v13, v20, 0, vcc
	v_cmp_eq_u32_e32 vcc, 0, v36
	v_cndmask_b32_e32 v11, 0, v11, vcc
	v_subrev_u32_e32 v18, 64, v18
	v_add3_u32 v10, v10, v36, v13
	v_add_u16_e32 v11, v11, v34
.LBB394_101:                            ; =>This Loop Header: Depth=1
                                        ;     Child Loop BB394_104 Depth 2
	v_cmp_ne_u16_sdwa s[40:41], v12, v7 src0_sel:BYTE_0 src1_sel:DWORD
	v_mov_b32_e32 v34, v11
	v_cndmask_b32_e64 v11, 0, 1, s[40:41]
	;;#ASMSTART
	;;#ASMEND
	v_cmp_ne_u32_e32 vcc, 0, v11
	s_cmp_lg_u64 vcc, exec
	v_mov_b32_e32 v36, v10
	s_cbranch_scc1 .LBB394_106
; %bb.102:                              ;   in Loop: Header=BB394_101 Depth=1
	v_lshlrev_b64 v[10:11], 4, v[18:19]
	v_mov_b32_e32 v12, s45
	v_add_co_u32_e32 v20, vcc, s44, v10
	v_addc_co_u32_e32 v21, vcc, v12, v11, vcc
	;;#ASMSTART
	global_load_dwordx4 v[10:13], v[20:21] off glc	
s_waitcnt vmcnt(0)
	;;#ASMEND
	v_and_b32_e32 v13, 0xffffff, v10
	v_and_b32_e32 v10, 0xff000000, v10
	v_or_b32_e32 v10, v13, v10
	v_and_b32_e32 v13, 0xff, v11
	v_and_b32_e32 v11, 0xff00, v11
	v_or3_b32 v11, 0, v13, v11
	v_or3_b32 v10, v10, 0, 0
	v_cmp_eq_u16_sdwa s[46:47], v12, v19 src0_sel:BYTE_0 src1_sel:DWORD
	s_and_saveexec_b64 s[40:41], s[46:47]
	s_cbranch_execz .LBB394_100
; %bb.103:                              ;   in Loop: Header=BB394_101 Depth=1
	s_mov_b64 s[46:47], 0
.LBB394_104:                            ;   Parent Loop BB394_101 Depth=1
                                        ; =>  This Inner Loop Header: Depth=2
	;;#ASMSTART
	global_load_dwordx4 v[10:13], v[20:21] off glc	
s_waitcnt vmcnt(0)
	;;#ASMEND
	v_cmp_ne_u16_sdwa s[48:49], v12, v19 src0_sel:BYTE_0 src1_sel:DWORD
	s_or_b64 s[46:47], s[48:49], s[46:47]
	s_andn2_b64 exec, exec, s[46:47]
	s_cbranch_execnz .LBB394_104
; %bb.105:                              ;   in Loop: Header=BB394_101 Depth=1
	s_or_b64 exec, exec, s[46:47]
	v_and_b32_e32 v11, 0xffff, v11
	s_branch .LBB394_100
.LBB394_106:                            ;   in Loop: Header=BB394_101 Depth=1
                                        ; implicit-def: $vgpr11
                                        ; implicit-def: $vgpr10
                                        ; implicit-def: $vgpr12
	s_cbranch_execz .LBB394_101
; %bb.107:
	s_and_saveexec_b64 s[40:41], s[26:27]
	s_cbranch_execz .LBB394_109
; %bb.108:
	s_mov_b32 s47, 0
	v_cmp_eq_u32_e32 vcc, 0, v6
	s_add_i32 s46, s6, 64
	v_cndmask_b32_e32 v7, 0, v34, vcc
	s_lshl_b64 s[46:47], s[46:47], 4
	v_add_u16_e32 v7, s7, v7
	s_add_u32 s46, s44, s46
	s_addc_u32 s47, s45, s47
	v_and_b32_e32 v9, 0xff00, v7
	v_add_u32_e32 v8, v36, v6
	v_mov_b32_e32 v11, 0
	v_or_b32_sdwa v9, v9, v7 dst_sel:DWORD dst_unused:UNUSED_PAD src0_sel:DWORD src1_sel:BYTE_0
	v_mov_b32_e32 v10, 2
	v_pk_mov_b32 v[12:13], s[46:47], s[46:47] op_sel:[0,1]
	;;#ASMSTART
	global_store_dwordx4 v[12:13], v[8:11] off	
s_waitcnt vmcnt(0)
	;;#ASMEND
	v_mov_b32_e32 v7, s7
	s_movk_i32 s6, 0x400
	ds_write_b16 v11, v7 offset:1028
	v_add_u32_e64 v7, s6, 0
	ds_write2_b32 v7, v6, v36 offset1:2
	ds_write_b16 v11, v34 offset:1036
.LBB394_109:
	s_or_b64 exec, exec, s[40:41]
	v_cmp_eq_u32_e32 vcc, 0, v0
	s_and_b64 exec, exec, vcc
	s_cbranch_execz .LBB394_111
; %bb.110:
	v_mov_b32_e32 v6, 0
	ds_write_b32 v6, v36 offset:1064
	ds_write_b16 v6, v34 offset:1068
.LBB394_111:
	s_or_b64 exec, exec, s[38:39]
	v_mov_b32_e32 v8, 0
	s_waitcnt lgkmcnt(0)
	s_barrier
	ds_read_b64 v[6:7], v8 offset:1064
	v_cndmask_b32_e64 v10, v24, v22, s[26:27]
	v_cmp_eq_u32_e32 vcc, 0, v10
	v_cndmask_b32_e64 v9, v25, v23, s[26:27]
	s_waitcnt lgkmcnt(0)
	v_cndmask_b32_e32 v11, 0, v7, vcc
	v_add_u16_e32 v9, v11, v9
	v_cmp_eq_u32_e32 vcc, 0, v0
	v_cndmask_b32_e32 v7, v9, v7, vcc
	v_cndmask_b32_e64 v9, v10, 0, vcc
	v_cmp_eq_u32_e32 vcc, 0, v68
	v_add_u32_e32 v48, v6, v9
	v_cndmask_b32_e32 v6, 0, v7, vcc
	v_add_u16_e32 v47, v6, v77
	v_cndmask_b32_e64 v6, 0, v47, s[24:25]
	v_add_u16_e32 v45, v6, v76
	v_cndmask_b32_e64 v6, 0, v45, s[22:23]
	;; [unrolled: 2-line block ×8, first 2 shown]
	v_add_u32_e32 v46, v48, v68
	v_add_u16_e32 v31, v6, v71
	v_add_u32_e32 v44, v46, v66
	v_cndmask_b32_e64 v6, 0, v31, s[8:9]
	v_add_u32_e32 v42, v44, v65
	v_add_u16_e32 v29, v6, v53
	v_add_u32_e32 v40, v42, v64
	v_cndmask_b32_e64 v6, 0, v29, s[28:29]
	;; [unrolled: 4-line block ×3, first 2 shown]
	v_and_b32_e32 v49, 0xffff, v7
	v_add_u32_e32 v34, v36, v61
	v_add_u16_e32 v25, v6, v51
	s_barrier
	ds_read_b128 v[6:9], v8 offset:1024
	v_add_u32_e32 v32, v34, v60
	v_add_u32_e32 v30, v32, v59
	v_add_u32_e32 v28, v30, v58
	v_add_u32_e32 v26, v28, v57
	v_cndmask_b32_e64 v10, 0, v25, s[2:3]
	v_add_u32_e32 v24, v26, v56
	v_add_u16_e32 v23, v10, v52
	s_waitcnt lgkmcnt(0)
	v_cmp_eq_u32_e32 vcc, 0, v6
	v_add_u32_e32 v22, v24, v55
	v_cndmask_b32_e64 v10, 0, v23, s[0:1]
	v_cndmask_b32_e32 v9, 0, v9, vcc
	v_add_u32_e32 v20, v22, v54
	v_add_u16_e32 v21, v10, v50
	v_add_u32_e32 v67, v9, v7
	s_branch .LBB394_124
.LBB394_112:
                                        ; implicit-def: $vgpr6
                                        ; implicit-def: $vgpr67
                                        ; implicit-def: $vgpr48_vgpr49
                                        ; implicit-def: $vgpr46_vgpr47
                                        ; implicit-def: $vgpr44_vgpr45
                                        ; implicit-def: $vgpr42_vgpr43
                                        ; implicit-def: $vgpr40_vgpr41
                                        ; implicit-def: $vgpr38_vgpr39
                                        ; implicit-def: $vgpr36_vgpr37
                                        ; implicit-def: $vgpr34_vgpr35
                                        ; implicit-def: $vgpr32_vgpr33
                                        ; implicit-def: $vgpr30_vgpr31
                                        ; implicit-def: $vgpr28_vgpr29
                                        ; implicit-def: $vgpr26_vgpr27
                                        ; implicit-def: $vgpr24_vgpr25
                                        ; implicit-def: $vgpr22_vgpr23
                                        ; implicit-def: $vgpr20_vgpr21
	s_cbranch_execz .LBB394_124
; %bb.113:
	s_and_b64 s[0:1], s[30:31], exec
	s_cselect_b32 s1, 0, s61
	s_cselect_b32 s0, 0, s60
	s_cmp_eq_u64 s[0:1], 0
	v_mov_b32_e32 v7, v77
	s_cbranch_scc1 .LBB394_115
; %bb.114:
	v_mov_b32_e32 v6, 0
	global_load_ushort v7, v6, s[0:1]
.LBB394_115:
	v_cmp_eq_u32_e64 s[0:1], 0, v66
	v_cndmask_b32_e64 v6, 0, v77, s[0:1]
	v_add_u16_e32 v6, v6, v76
	v_cmp_eq_u32_e64 s[2:3], 0, v65
	v_cndmask_b32_e64 v6, 0, v6, s[2:3]
	v_add_u16_e32 v6, v6, v78
	v_cmp_eq_u32_e64 s[4:5], 0, v64
	v_cndmask_b32_e64 v6, 0, v6, s[4:5]
	v_add_u16_e32 v6, v6, v74
	v_cmp_eq_u32_e64 s[6:7], 0, v63
	v_cndmask_b32_e64 v6, 0, v6, s[6:7]
	v_add_u16_e32 v6, v6, v75
	v_cmp_eq_u32_e64 s[8:9], 0, v62
	v_cndmask_b32_e64 v6, 0, v6, s[8:9]
	v_add_u16_e32 v6, v6, v72
	v_cmp_eq_u32_e64 s[10:11], 0, v61
	v_cndmask_b32_e64 v6, 0, v6, s[10:11]
	v_add_u16_e32 v6, v6, v73
	v_cmp_eq_u32_e64 s[12:13], 0, v60
	v_cndmask_b32_e64 v6, 0, v6, s[12:13]
	v_add_u16_e32 v6, v6, v70
	v_cmp_eq_u32_e64 s[14:15], 0, v59
	v_cndmask_b32_e64 v6, 0, v6, s[14:15]
	v_add_u16_e32 v6, v6, v71
	v_cmp_eq_u32_e64 s[16:17], 0, v58
	v_cndmask_b32_e64 v6, 0, v6, s[16:17]
	v_add_u16_e32 v6, v6, v53
	v_cmp_eq_u32_e64 s[18:19], 0, v57
	v_cndmask_b32_e64 v6, 0, v6, s[18:19]
	v_add_u16_e32 v6, v6, v69
	v_cmp_eq_u32_e64 s[20:21], 0, v56
	v_cndmask_b32_e64 v6, 0, v6, s[20:21]
	v_add_u16_e32 v6, v6, v51
	v_cmp_eq_u32_e64 s[22:23], 0, v55
	v_cndmask_b32_e64 v6, 0, v6, s[22:23]
	v_add3_u32 v8, v83, v62, v61
	v_add_u16_e32 v6, v6, v52
	v_cmp_eq_u32_e32 vcc, 0, v54
	v_add3_u32 v8, v8, v60, v59
	v_cndmask_b32_e32 v6, 0, v6, vcc
	v_add3_u32 v8, v8, v58, v57
	v_add_u16_e32 v6, v6, v50
	v_cmp_eq_u32_e64 s[24:25], 0, v17
	v_add3_u32 v8, v8, v56, v55
	v_cndmask_b32_e64 v6, 0, v6, s[24:25]
	v_add3_u32 v8, v8, v54, v17
	v_add_u16_e32 v9, v6, v79
	v_mbcnt_hi_u32_b32 v6, -1, v82
	v_and_b32_e32 v10, 15, v6
	v_mov_b32_dpp v12, v9 row_shr:1 row_mask:0xf bank_mask:0xf
	v_cmp_eq_u32_e64 s[24:25], 0, v8
	v_mov_b32_dpp v11, v8 row_shr:1 row_mask:0xf bank_mask:0xf
	v_cndmask_b32_e64 v12, 0, v12, s[24:25]
	v_cmp_eq_u32_e64 s[24:25], 0, v10
	v_add_u16_e32 v12, v12, v9
	v_cndmask_b32_e64 v11, v11, 0, s[24:25]
	v_add_u32_e32 v8, v11, v8
	v_cndmask_b32_e64 v9, v12, v9, s[24:25]
	v_cmp_eq_u32_e64 s[24:25], 0, v8
	v_mov_b32_dpp v11, v8 row_shr:2 row_mask:0xf bank_mask:0xf
	v_mov_b32_dpp v12, v9 row_shr:2 row_mask:0xf bank_mask:0xf
	v_cndmask_b32_e64 v12, 0, v12, s[24:25]
	v_cmp_lt_u32_e64 s[24:25], 1, v10
	v_add_u16_e32 v12, v12, v9
	v_cndmask_b32_e64 v11, 0, v11, s[24:25]
	v_cndmask_b32_e64 v9, v9, v12, s[24:25]
	v_add_u32_e32 v8, v8, v11
	v_cmp_eq_u32_e64 s[24:25], 0, v8
	v_mov_b32_dpp v12, v9 row_shr:4 row_mask:0xf bank_mask:0xf
	v_mov_b32_dpp v11, v8 row_shr:4 row_mask:0xf bank_mask:0xf
	v_cndmask_b32_e64 v12, 0, v12, s[24:25]
	v_cmp_lt_u32_e64 s[24:25], 3, v10
	v_add_u16_e32 v12, v12, v9
	v_cndmask_b32_e64 v11, 0, v11, s[24:25]
	v_cndmask_b32_e64 v9, v9, v12, s[24:25]
	v_add_u32_e32 v8, v11, v8
	v_cmp_eq_u32_e64 s[24:25], 0, v8
	v_mov_b32_dpp v12, v9 row_shr:8 row_mask:0xf bank_mask:0xf
	v_mov_b32_dpp v11, v8 row_shr:8 row_mask:0xf bank_mask:0xf
	v_cndmask_b32_e64 v12, 0, v12, s[24:25]
	v_cmp_lt_u32_e64 s[24:25], 7, v10
	v_add_u16_e32 v12, v12, v9
	v_cndmask_b32_e64 v10, 0, v11, s[24:25]
	v_cndmask_b32_e64 v9, v9, v12, s[24:25]
	v_add_u32_e32 v8, v10, v8
	v_bfe_i32 v12, v6, 4, 1
	v_mov_b32_dpp v11, v9 row_bcast:15 row_mask:0xf bank_mask:0xf
	v_mov_b32_dpp v10, v8 row_bcast:15 row_mask:0xf bank_mask:0xf
	v_cmp_eq_u32_e64 s[24:25], 0, v8
	v_and_b32_e32 v13, 16, v6
	v_cndmask_b32_e64 v11, 0, v11, s[24:25]
	v_and_b32_e32 v10, v12, v10
	v_add_u16_e32 v11, v11, v9
	v_add_u32_e32 v8, v10, v8
	v_cmp_eq_u32_e64 s[24:25], 0, v13
	v_cndmask_b32_e64 v9, v11, v9, s[24:25]
	v_mov_b32_dpp v10, v8 row_bcast:31 row_mask:0xf bank_mask:0xf
	v_cmp_eq_u32_e64 s[24:25], 0, v8
	v_cmp_lt_u32_e64 s[26:27], 31, v6
	v_mov_b32_dpp v11, v9 row_bcast:31 row_mask:0xf bank_mask:0xf
	v_cndmask_b32_e64 v10, 0, v10, s[26:27]
	s_and_b64 s[24:25], s[26:27], s[24:25]
	v_add_u32_e32 v8, v10, v8
	v_cndmask_b32_e64 v10, 0, v11, s[24:25]
	v_add_u16_e32 v9, v10, v9
	v_cmp_eq_u32_e64 s[24:25], v81, v0
	v_lshlrev_b32_e32 v11, 3, v80
	s_and_saveexec_b64 s[26:27], s[24:25]
	s_cbranch_execz .LBB394_117
; %bb.116:
	ds_write_b32 v11, v8 offset:1040
	ds_write_b16 v11, v9 offset:1044
.LBB394_117:
	s_or_b64 exec, exec, s[26:27]
	v_cmp_gt_u32_e64 s[24:25], 4, v0
	s_waitcnt lgkmcnt(0)
	s_barrier
	s_and_saveexec_b64 s[28:29], s[24:25]
	s_cbranch_execz .LBB394_119
; %bb.118:
	v_lshlrev_b32_e32 v10, 3, v0
	ds_read_b64 v[12:13], v10 offset:1040
	v_and_b32_e32 v18, 3, v6
	s_mov_b32 s26, 0xffff0000
	s_waitcnt lgkmcnt(0)
	v_mov_b32_dpp v20, v13 row_shr:1 row_mask:0xf bank_mask:0xf
	v_cmp_eq_u32_e64 s[24:25], 0, v12
	v_mov_b32_dpp v19, v12 row_shr:1 row_mask:0xf bank_mask:0xf
	v_cndmask_b32_e64 v20, 0, v20, s[24:25]
	v_cmp_eq_u32_e64 s[24:25], 0, v18
	v_add_u16_e32 v20, v20, v13
	v_cndmask_b32_e64 v19, v19, 0, s[24:25]
	v_and_or_b32 v21, v13, s26, v20
	v_add_u32_e32 v12, v19, v12
	v_cndmask_b32_e64 v19, v20, v13, s[24:25]
	v_cndmask_b32_e64 v13, v21, v13, s[24:25]
	v_mov_b32_dpp v20, v12 row_shr:2 row_mask:0xf bank_mask:0xf
	v_cmp_eq_u32_e64 s[24:25], 0, v12
	v_cmp_lt_u32_e64 s[26:27], 1, v18
	v_mov_b32_dpp v13, v13 row_shr:2 row_mask:0xf bank_mask:0xf
	v_cndmask_b32_e64 v18, 0, v20, s[26:27]
	s_and_b64 s[24:25], s[26:27], s[24:25]
	v_add_u32_e32 v12, v18, v12
	v_cndmask_b32_e64 v13, 0, v13, s[24:25]
	v_add_u16_e32 v13, v19, v13
	ds_write_b32 v10, v12 offset:1040
	ds_write_b16 v10, v13 offset:1044
.LBB394_119:
	s_or_b64 exec, exec, s[28:29]
	v_cmp_lt_u32_e64 s[24:25], 63, v0
	v_mov_b32_e32 v10, 0
	v_mov_b32_e32 v12, 0
	s_waitcnt vmcnt(0)
	v_mov_b32_e32 v13, v7
	s_waitcnt lgkmcnt(0)
	s_barrier
	s_and_saveexec_b64 s[26:27], s[24:25]
	s_cbranch_execz .LBB394_121
; %bb.120:
	ds_read_b32 v12, v11 offset:1032
	ds_read_u16 v11, v11 offset:1036
	s_waitcnt lgkmcnt(1)
	v_cmp_eq_u32_e64 s[24:25], 0, v12
	v_cndmask_b32_e64 v13, 0, v7, s[24:25]
	s_waitcnt lgkmcnt(0)
	v_add_u16_e32 v13, v13, v11
.LBB394_121:
	s_or_b64 exec, exec, s[26:27]
	v_cmp_eq_u32_e64 s[24:25], 0, v8
	v_add_u32_e32 v11, v12, v8
	v_cndmask_b32_e64 v8, 0, v13, s[24:25]
	v_add_u16_e32 v8, v8, v9
	v_add_u32_e32 v9, -1, v6
	v_and_b32_e32 v18, 64, v6
	v_cmp_lt_i32_e64 s[24:25], v9, v18
	v_cndmask_b32_e64 v9, v9, v6, s[24:25]
	v_lshlrev_b32_e32 v9, 2, v9
	ds_bpermute_b32 v11, v9, v11
	ds_bpermute_b32 v8, v9, v8
	v_cmp_eq_u32_e64 s[24:25], 0, v6
	v_cmp_eq_u32_e64 s[26:27], 0, v68
	s_waitcnt lgkmcnt(1)
	v_cndmask_b32_e64 v6, v11, v12, s[24:25]
	s_waitcnt lgkmcnt(0)
	v_cndmask_b32_e64 v8, v8, v13, s[24:25]
	v_cmp_eq_u32_e64 s[24:25], 0, v0
	v_cndmask_b32_e64 v8, v8, v7, s[24:25]
	v_cndmask_b32_e64 v48, v6, 0, s[24:25]
	;; [unrolled: 1-line block ×3, first 2 shown]
	v_add_u16_e32 v47, v6, v77
	v_cndmask_b32_e64 v6, 0, v47, s[0:1]
	v_add_u16_e32 v45, v6, v76
	v_cndmask_b32_e64 v6, 0, v45, s[2:3]
	;; [unrolled: 2-line block ×9, first 2 shown]
	v_add_u32_e32 v46, v48, v68
	v_add_u16_e32 v29, v6, v53
	v_add_u32_e32 v44, v46, v66
	v_cndmask_b32_e64 v6, 0, v29, s[18:19]
	v_add_u32_e32 v42, v44, v65
	v_add_u16_e32 v27, v6, v69
	v_add_u32_e32 v40, v42, v64
	v_cndmask_b32_e64 v6, 0, v27, s[20:21]
	;; [unrolled: 4-line block ×3, first 2 shown]
	v_add_u32_e32 v34, v36, v61
	v_add_u16_e32 v23, v6, v52
	ds_read_b32 v6, v10 offset:1064
	v_add_u32_e32 v32, v34, v60
	v_and_b32_e32 v49, 0xffff, v8
	ds_read_u16 v8, v10 offset:1068
	v_add_u32_e32 v30, v32, v59
	v_add_u32_e32 v28, v30, v58
	;; [unrolled: 1-line block ×4, first 2 shown]
	v_cndmask_b32_e32 v9, 0, v23, vcc
	s_waitcnt lgkmcnt(1)
	v_cmp_eq_u32_e32 vcc, 0, v6
	v_add_u32_e32 v22, v24, v55
	v_cndmask_b32_e32 v7, 0, v7, vcc
	v_add_u32_e32 v20, v22, v54
	v_add_u16_e32 v21, v9, v50
	s_waitcnt lgkmcnt(0)
	v_add_u16_e32 v67, v7, v8
	s_and_saveexec_b64 s[0:1], s[24:25]
	s_cbranch_execz .LBB394_123
; %bb.122:
	s_add_u32 s2, s44, 0x400
	s_addc_u32 s3, s45, 0
	v_and_b32_e32 v7, 0xff00, v67
	v_mov_b32_e32 v9, 0
	v_or_b32_sdwa v7, v7, v67 dst_sel:DWORD dst_unused:UNUSED_PAD src0_sel:DWORD src1_sel:BYTE_0
	v_mov_b32_e32 v8, 2
	v_pk_mov_b32 v[10:11], s[2:3], s[2:3] op_sel:[0,1]
	;;#ASMSTART
	global_store_dwordx4 v[10:11], v[6:9] off	
s_waitcnt vmcnt(0)
	;;#ASMEND
.LBB394_123:
	s_or_b64 exec, exec, s[0:1]
	v_mov_b32_e32 v8, 0
.LBB394_124:
	s_and_b64 s[0:1], s[30:31], exec
	s_cselect_b32 s1, 0, s59
	s_cselect_b32 s0, 0, s58
	s_cmp_eq_u64 s[0:1], 0
	v_pk_mov_b32 v[18:19], 0, 0
	s_barrier
	s_cbranch_scc1 .LBB394_126
; %bb.125:
	v_mov_b32_e32 v7, 0
	global_load_dwordx2 v[18:19], v7, s[0:1]
.LBB394_126:
	s_waitcnt vmcnt(0)
	v_lshlrev_b64 v[50:51], 1, v[18:19]
	v_mov_b32_e32 v7, s43
	v_add_co_u32_e32 v10, vcc, s42, v50
	v_mov_b32_e32 v9, 0
	v_addc_co_u32_e32 v11, vcc, v7, v51, vcc
	v_lshlrev_b64 v[52:53], 1, v[8:9]
	v_add_co_u32_e32 v7, vcc, v10, v52
	v_addc_co_u32_e32 v9, vcc, v11, v53, vcc
	v_cmp_eq_u32_e32 vcc, 0, v68
	v_cndmask_b32_e64 v10, 1, 2, vcc
	v_cmp_eq_u32_e32 vcc, 0, v66
	v_cndmask_b32_e64 v11, 1, 2, vcc
	v_cmp_eq_u32_e32 vcc, 0, v65
	v_and_b32_e32 v10, v11, v10
	v_cndmask_b32_e64 v11, 1, 2, vcc
	v_cmp_eq_u32_e32 vcc, 0, v64
	v_and_b32_e32 v10, v10, v11
	v_cndmask_b32_e64 v11, 1, 2, vcc
	v_cmp_eq_u32_e32 vcc, 0, v63
	v_and_b32_e32 v10, v10, v11
	v_cndmask_b32_e64 v11, 1, 2, vcc
	v_cmp_eq_u32_e32 vcc, 0, v62
	v_and_b32_e32 v10, v10, v11
	v_cndmask_b32_e64 v11, 1, 2, vcc
	v_cmp_eq_u32_e32 vcc, 0, v61
	v_and_b32_e32 v10, v10, v11
	v_cndmask_b32_e64 v11, 1, 2, vcc
	v_cmp_eq_u32_e32 vcc, 0, v60
	v_and_b32_e32 v10, v10, v11
	v_cndmask_b32_e64 v11, 1, 2, vcc
	v_cmp_eq_u32_e32 vcc, 0, v59
	v_and_b32_e32 v10, v10, v11
	v_cndmask_b32_e64 v11, 1, 2, vcc
	v_cmp_eq_u32_e32 vcc, 0, v58
	v_and_b32_e32 v10, v10, v11
	v_cndmask_b32_e64 v11, 1, 2, vcc
	v_cmp_eq_u32_e32 vcc, 0, v57
	v_and_b32_e32 v10, v10, v11
	v_cndmask_b32_e64 v11, 1, 2, vcc
	v_cmp_eq_u32_e32 vcc, 0, v56
	v_and_b32_e32 v10, v10, v11
	v_cndmask_b32_e64 v11, 1, 2, vcc
	v_cmp_eq_u32_e32 vcc, 0, v55
	v_and_b32_e32 v10, v10, v11
	v_cndmask_b32_e64 v11, 1, 2, vcc
	v_cmp_eq_u32_e32 vcc, 0, v54
	v_and_b32_e32 v10, v10, v11
	v_cndmask_b32_e64 v11, 1, 2, vcc
	v_cmp_eq_u32_e32 vcc, 0, v17
	v_and_b32_e32 v10, v10, v11
	v_cndmask_b32_e64 v11, 1, 2, vcc
	s_movk_i32 s30, 0x100
	v_and_b32_e32 v10, v10, v11
	v_cmp_gt_u32_e32 vcc, s30, v6
	v_cmp_ne_u32_e64 s[28:29], 0, v68
	v_cmp_ne_u32_e64 s[26:27], 0, v66
	;; [unrolled: 1-line block ×15, first 2 shown]
	s_mov_b64 s[38:39], -1
	v_cmp_gt_i16_e64 s[30:31], 2, v10
	s_cbranch_vccz .LBB394_133
; %bb.127:
	s_and_saveexec_b64 s[38:39], s[30:31]
	s_cbranch_execz .LBB394_132
; %bb.128:
	v_cmp_ne_u16_e32 vcc, 1, v10
	s_mov_b64 s[40:41], 0
	s_and_saveexec_b64 s[30:31], vcc
	s_xor_b64 s[30:31], exec, s[30:31]
	s_cbranch_execnz .LBB394_189
; %bb.129:
	s_andn2_saveexec_b64 s[30:31], s[30:31]
	s_cbranch_execnz .LBB394_205
.LBB394_130:
	s_or_b64 exec, exec, s[30:31]
	s_and_b64 exec, exec, s[40:41]
	s_cbranch_execz .LBB394_132
.LBB394_131:
	v_sub_u32_e32 v12, v20, v8
	v_mov_b32_e32 v13, 0
	v_lshlrev_b64 v[12:13], 1, v[12:13]
	v_add_co_u32_e32 v12, vcc, v7, v12
	v_addc_co_u32_e32 v13, vcc, v9, v13, vcc
	global_store_short_d16_hi v[12:13], v16, off
.LBB394_132:
	s_or_b64 exec, exec, s[38:39]
	s_mov_b64 s[38:39], 0
.LBB394_133:
	s_and_b64 vcc, exec, s[38:39]
	s_cbranch_vccz .LBB394_155
; %bb.134:
	v_cmp_gt_i16_e32 vcc, 2, v10
	s_and_saveexec_b64 s[30:31], vcc
	s_cbranch_execz .LBB394_139
; %bb.135:
	v_cmp_ne_u16_e32 vcc, 1, v10
	s_mov_b64 s[40:41], 0
	s_and_saveexec_b64 s[38:39], vcc
	s_xor_b64 s[38:39], exec, s[38:39]
	s_cbranch_execnz .LBB394_206
; %bb.136:
	s_andn2_saveexec_b64 s[0:1], s[38:39]
	s_cbranch_execnz .LBB394_222
.LBB394_137:
	s_or_b64 exec, exec, s[0:1]
	s_and_b64 exec, exec, s[40:41]
	s_cbranch_execz .LBB394_139
.LBB394_138:
	v_sub_u32_e32 v1, v20, v8
	v_lshlrev_b32_e32 v1, 1, v1
	ds_write_b16_d16_hi v1, v16
.LBB394_139:
	s_or_b64 exec, exec, s[30:31]
	v_cmp_lt_u32_e32 vcc, v0, v6
	s_waitcnt lgkmcnt(0)
	s_barrier
	s_and_saveexec_b64 s[2:3], vcc
	s_cbranch_execz .LBB394_154
; %bb.140:
	v_xad_u32 v1, v0, -1, v6
	s_movk_i32 s0, 0x1700
	v_cmp_gt_u32_e64 s[4:5], s0, v1
	s_movk_i32 s0, 0x16ff
	v_cmp_lt_u32_e32 vcc, s0, v1
	v_mov_b32_e32 v2, v0
	s_and_saveexec_b64 s[6:7], vcc
	s_cbranch_execz .LBB394_151
; %bb.141:
	v_sub_u32_e32 v2, v0, v6
	v_or_b32_e32 v2, 0xff, v2
	v_cmp_ge_u32_e32 vcc, v2, v0
	s_mov_b64 s[0:1], -1
	v_mov_b32_e32 v2, v0
	s_and_saveexec_b64 s[8:9], vcc
	s_cbranch_execz .LBB394_150
; %bb.142:
	v_lshrrev_b32_e32 v14, 8, v1
	v_or_b32_e32 v3, 0x300, v0
	v_or_b32_e32 v2, 0x200, v0
	v_add_u32_e32 v4, -3, v14
	v_or_b32_e32 v1, 0x100, v0
	v_lshrrev_b32_e32 v5, 2, v4
	v_pk_mov_b32 v[12:13], v[2:3], v[2:3] op_sel:[0,1]
	v_add_u32_e32 v15, 1, v5
	v_cmp_lt_u32_e32 vcc, 11, v4
	v_mov_b32_e32 v70, 0
	v_pk_mov_b32 v[10:11], v[0:1], v[0:1] op_sel:[0,1]
	s_and_saveexec_b64 s[10:11], vcc
	s_cbranch_execz .LBB394_146
; %bb.143:
	v_pk_mov_b32 v[12:13], v[2:3], v[2:3] op_sel:[0,1]
	v_and_b32_e32 v16, 0x7ffffffc, v15
	v_lshlrev_b32_e32 v69, 1, v0
	s_mov_b32 s14, 0
	s_mov_b64 s[12:13], 0
	v_mov_b32_e32 v5, 0
	v_pk_mov_b32 v[10:11], v[0:1], v[0:1] op_sel:[0,1]
.LBB394_144:                            ; =>This Inner Loop Header: Depth=1
	v_mov_b32_e32 v4, v10
	v_lshlrev_b64 v[86:87], 1, v[4:5]
	v_add_u32_e32 v72, 0x400, v11
	v_mov_b32_e32 v73, v5
	v_add_co_u32_e64 v86, s[0:1], v7, v86
	v_lshlrev_b64 v[72:73], 1, v[72:73]
	v_addc_co_u32_e64 v87, s[0:1], v9, v87, s[0:1]
	v_add_u32_e32 v70, 0x400, v12
	v_mov_b32_e32 v71, v5
	v_add_co_u32_e64 v72, s[0:1], v7, v72
	v_lshlrev_b64 v[88:89], 1, v[70:71]
	v_addc_co_u32_e64 v73, s[0:1], v9, v73, s[0:1]
	v_add_u32_e32 v2, 0x400, v13
	v_mov_b32_e32 v3, v5
	v_add_co_u32_e64 v88, s[0:1], v7, v88
	v_add_u32_e32 v16, -4, v16
	v_mov_b32_e32 v4, v11
	v_lshlrev_b64 v[2:3], 1, v[2:3]
	v_addc_co_u32_e64 v89, s[0:1], v9, v89, s[0:1]
	v_add_u32_e32 v78, 0x800, v11
	v_mov_b32_e32 v79, v5
	s_add_i32 s14, s14, 16
	v_cmp_eq_u32_e32 vcc, 0, v16
	v_lshlrev_b64 v[90:91], 1, v[4:5]
	v_add_co_u32_e64 v2, s[0:1], v7, v2
	v_lshlrev_b64 v[78:79], 1, v[78:79]
	v_mov_b32_e32 v4, v12
	v_addc_co_u32_e64 v3, s[0:1], v9, v3, s[0:1]
	s_or_b64 s[12:13], vcc, s[12:13]
	v_add_co_u32_e32 v90, vcc, v7, v90
	v_add_u32_e32 v76, 0x800, v12
	v_mov_b32_e32 v77, v5
	v_add_co_u32_e64 v78, s[0:1], v7, v78
	v_addc_co_u32_e32 v91, vcc, v9, v91, vcc
	v_lshlrev_b64 v[92:93], 1, v[4:5]
	v_lshlrev_b64 v[76:77], 1, v[76:77]
	v_addc_co_u32_e64 v79, s[0:1], v9, v79, s[0:1]
	v_mov_b32_e32 v4, v13
	v_add_co_u32_e32 v92, vcc, v7, v92
	ds_read_u16 v1, v69
	ds_read_u16 v96, v69 offset:512
	ds_read_u16 v97, v69 offset:1024
	;; [unrolled: 1-line block ×7, first 2 shown]
	v_add_u32_e32 v74, 0x800, v13
	v_mov_b32_e32 v75, v5
	v_add_co_u32_e64 v76, s[0:1], v7, v76
	v_addc_co_u32_e32 v93, vcc, v9, v93, vcc
	v_lshlrev_b64 v[94:95], 1, v[4:5]
	v_lshlrev_b64 v[74:75], 1, v[74:75]
	v_addc_co_u32_e64 v77, s[0:1], v9, v77, s[0:1]
	v_add_u32_e32 v4, 0x400, v10
	v_add_co_u32_e32 v94, vcc, v7, v94
	v_add_u32_e32 v84, 0xc00, v11
	v_mov_b32_e32 v85, v5
	ds_read_u16 v103, v69 offset:4096
	ds_read_u16 v104, v69 offset:4608
	;; [unrolled: 1-line block ×8, first 2 shown]
	v_add_co_u32_e64 v74, s[0:1], v7, v74
	v_addc_co_u32_e32 v95, vcc, v9, v95, vcc
	s_waitcnt lgkmcnt(14)
	global_store_short v[86:87], v1, off
	global_store_short v[90:91], v96, off
	s_waitcnt lgkmcnt(13)
	global_store_short v[92:93], v97, off
	v_lshlrev_b64 v[86:87], 1, v[4:5]
	v_lshlrev_b64 v[84:85], 1, v[84:85]
	v_addc_co_u32_e64 v75, s[0:1], v9, v75, s[0:1]
	v_add_u32_e32 v4, 0x800, v10
	v_add_co_u32_e32 v86, vcc, v7, v86
	v_add_u32_e32 v82, 0xc00, v12
	v_mov_b32_e32 v83, v5
	v_add_co_u32_e64 v84, s[0:1], v7, v84
	v_addc_co_u32_e32 v87, vcc, v9, v87, vcc
	v_lshlrev_b64 v[90:91], 1, v[4:5]
	v_lshlrev_b64 v[82:83], 1, v[82:83]
	v_addc_co_u32_e64 v85, s[0:1], v9, v85, s[0:1]
	s_waitcnt lgkmcnt(12)
	global_store_short v[94:95], v98, off
	v_add_u32_e32 v4, 0xc00, v10
	s_waitcnt lgkmcnt(11)
	global_store_short v[86:87], v99, off
	s_waitcnt lgkmcnt(10)
	global_store_short v[72:73], v100, off
	;; [unrolled: 2-line block ×4, first 2 shown]
	v_add_co_u32_e32 v2, vcc, v7, v90
	v_add_u32_e32 v80, 0xc00, v13
	v_mov_b32_e32 v81, v5
	v_add_co_u32_e64 v82, s[0:1], v7, v82
	v_addc_co_u32_e32 v3, vcc, v9, v91, vcc
	v_lshlrev_b64 v[72:73], 1, v[4:5]
	v_lshlrev_b64 v[80:81], 1, v[80:81]
	v_addc_co_u32_e64 v83, s[0:1], v9, v83, s[0:1]
	s_waitcnt lgkmcnt(7)
	global_store_short v[2:3], v103, off
	s_waitcnt lgkmcnt(6)
	global_store_short v[78:79], v104, off
	;; [unrolled: 2-line block ×4, first 2 shown]
	v_add_co_u32_e32 v2, vcc, v7, v72
	v_add_u32_e32 v69, 0x2000, v69
	v_add_u32_e32 v11, 0x1000, v11
	v_mov_b32_e32 v70, s14
	v_add_co_u32_e64 v80, s[0:1], v7, v80
	v_add_u32_e32 v12, 0x1000, v12
	v_add_u32_e32 v13, 0x1000, v13
	;; [unrolled: 1-line block ×3, first 2 shown]
	v_addc_co_u32_e32 v3, vcc, v9, v73, vcc
	v_addc_co_u32_e64 v81, s[0:1], v9, v81, s[0:1]
	s_waitcnt lgkmcnt(3)
	global_store_short v[2:3], v107, off
	s_waitcnt lgkmcnt(2)
	global_store_short v[84:85], v108, off
	;; [unrolled: 2-line block ×4, first 2 shown]
	s_andn2_b64 exec, exec, s[12:13]
	s_cbranch_execnz .LBB394_144
; %bb.145:
	s_or_b64 exec, exec, s[12:13]
.LBB394_146:
	s_or_b64 exec, exec, s[10:11]
	v_and_b32_e32 v1, 3, v15
	v_cmp_ne_u32_e32 vcc, 0, v1
	s_and_saveexec_b64 s[10:11], vcc
	s_cbranch_execz .LBB394_149
; %bb.147:
	v_lshlrev_b32_e32 v2, 1, v0
	v_lshl_or_b32 v4, v70, 9, v2
	s_mov_b64 s[12:13], 0
	v_mov_b32_e32 v3, 0
.LBB394_148:                            ; =>This Inner Loop Header: Depth=1
	v_mov_b32_e32 v2, v10
	v_add_u32_e32 v1, -1, v1
	v_lshlrev_b64 v[70:71], 1, v[2:3]
	v_mov_b32_e32 v2, v11
	v_cmp_eq_u32_e32 vcc, 0, v1
	v_lshlrev_b64 v[72:73], 1, v[2:3]
	ds_read_u16 v5, v4
	ds_read_u16 v15, v4 offset:512
	ds_read_u16 v16, v4 offset:1024
	;; [unrolled: 1-line block ×3, first 2 shown]
	v_mov_b32_e32 v2, v12
	s_or_b64 s[12:13], vcc, s[12:13]
	v_add_co_u32_e32 v72, vcc, v7, v72
	v_addc_co_u32_e32 v73, vcc, v9, v73, vcc
	v_lshlrev_b64 v[74:75], 1, v[2:3]
	v_mov_b32_e32 v2, v13
	v_add_co_u32_e32 v74, vcc, v7, v74
	v_add_co_u32_e64 v70, s[0:1], v7, v70
	v_addc_co_u32_e32 v75, vcc, v9, v75, vcc
	v_lshlrev_b64 v[76:77], 1, v[2:3]
	v_add_u32_e32 v10, 0x400, v10
	v_add_u32_e32 v4, 0x800, v4
	;; [unrolled: 1-line block ×3, first 2 shown]
	v_addc_co_u32_e64 v71, s[0:1], v9, v71, s[0:1]
	v_add_u32_e32 v12, 0x400, v12
	v_add_u32_e32 v13, 0x400, v13
	v_add_co_u32_e32 v76, vcc, v7, v76
	v_addc_co_u32_e32 v77, vcc, v9, v77, vcc
	s_waitcnt lgkmcnt(3)
	global_store_short v[70:71], v5, off
	s_waitcnt lgkmcnt(2)
	global_store_short v[72:73], v15, off
	s_waitcnt lgkmcnt(1)
	global_store_short v[74:75], v16, off
	s_waitcnt lgkmcnt(0)
	global_store_short v[76:77], v69, off
	s_andn2_b64 exec, exec, s[12:13]
	s_cbranch_execnz .LBB394_148
.LBB394_149:
	s_or_b64 exec, exec, s[10:11]
	v_add_u32_e32 v1, 1, v14
	v_and_b32_e32 v3, 0x1fffffc, v1
	v_cmp_ne_u32_e32 vcc, v1, v3
	v_lshl_or_b32 v2, v3, 8, v0
	s_orn2_b64 s[0:1], vcc, exec
.LBB394_150:
	s_or_b64 exec, exec, s[8:9]
	s_andn2_b64 s[4:5], s[4:5], exec
	s_and_b64 s[0:1], s[0:1], exec
	s_or_b64 s[4:5], s[4:5], s[0:1]
.LBB394_151:
	s_or_b64 exec, exec, s[6:7]
	s_and_b64 exec, exec, s[4:5]
	s_cbranch_execz .LBB394_154
; %bb.152:
	v_lshlrev_b32_e32 v1, 1, v2
	s_mov_b64 s[0:1], 0
	v_mov_b32_e32 v3, 0
.LBB394_153:                            ; =>This Inner Loop Header: Depth=1
	v_lshlrev_b64 v[4:5], 1, v[2:3]
	ds_read_u16 v10, v1
	v_add_co_u32_e32 v4, vcc, v7, v4
	v_add_u32_e32 v2, 0x100, v2
	v_addc_co_u32_e32 v5, vcc, v9, v5, vcc
	v_cmp_ge_u32_e32 vcc, v2, v6
	v_add_u32_e32 v1, 0x200, v1
	s_or_b64 s[0:1], vcc, s[0:1]
	s_waitcnt lgkmcnt(0)
	global_store_short v[4:5], v10, off
	s_andn2_b64 exec, exec, s[0:1]
	s_cbranch_execnz .LBB394_153
.LBB394_154:
	s_or_b64 exec, exec, s[2:3]
.LBB394_155:
	s_cmpk_lg_i32 s33, 0xf00
	s_cselect_b64 s[0:1], -1, 0
	v_cndmask_b32_e64 v1, 0, 1, s[36:37]
	s_and_b64 s[0:1], s[34:35], s[0:1]
	v_cmp_eq_u32_e32 vcc, 0, v0
	v_sub_u32_e32 v3, v6, v1
	v_cndmask_b32_e64 v2, 0, 1, s[0:1]
	s_and_b64 s[0:1], vcc, s[36:37]
	v_add_u32_e32 v7, v3, v2
	v_cndmask_b32_e64 v3, v68, 0, s[0:1]
	s_mul_hi_u32 s0, s33, 0x88888889
	s_lshr_b32 s0, s0, 3
	v_mad_i32_i24 v4, v0, -15, s33
	v_cmp_eq_u32_e32 vcc, s0, v0
	v_cmp_ne_u32_e64 s[0:1], 0, v4
	v_cndmask_b32_e64 v5, 1, v3, s[0:1]
	v_cmp_ne_u32_e64 s[0:1], 1, v4
	v_cndmask_b32_e64 v9, 1, v66, s[0:1]
	v_cmp_ne_u32_e64 s[0:1], 2, v4
	v_cndmask_b32_e64 v10, 1, v65, s[0:1]
	v_cmp_ne_u32_e64 s[0:1], 3, v4
	v_cndmask_b32_e64 v11, 1, v64, s[0:1]
	v_cmp_ne_u32_e64 s[0:1], 4, v4
	v_cndmask_b32_e64 v12, 1, v63, s[0:1]
	v_cmp_ne_u32_e64 s[0:1], 5, v4
	v_cndmask_b32_e64 v13, 1, v62, s[0:1]
	v_cmp_ne_u32_e64 s[0:1], 6, v4
	v_cndmask_b32_e64 v14, 1, v61, s[0:1]
	v_cmp_ne_u32_e64 s[0:1], 7, v4
	v_cndmask_b32_e64 v15, 1, v60, s[0:1]
	v_cmp_ne_u32_e64 s[0:1], 8, v4
	v_cndmask_b32_e64 v16, 1, v59, s[0:1]
	v_cmp_ne_u32_e64 s[0:1], 9, v4
	v_cndmask_b32_e64 v68, 1, v58, s[0:1]
	v_cmp_ne_u32_e64 s[0:1], 10, v4
	v_cndmask_b32_e64 v69, 1, v57, s[0:1]
	v_cmp_ne_u32_e64 s[0:1], 11, v4
	v_cndmask_b32_e64 v70, 1, v56, s[0:1]
	v_cmp_ne_u32_e64 s[0:1], 12, v4
	v_cndmask_b32_e64 v71, 1, v55, s[0:1]
	v_cmp_ne_u32_e64 s[0:1], 13, v4
	v_cndmask_b32_e64 v72, 1, v54, s[0:1]
	v_cmp_ne_u32_e64 s[0:1], 14, v4
	v_cndmask_b32_e64 v4, 1, v17, s[0:1]
	s_and_b64 vcc, s[34:35], vcc
	v_cndmask_b32_e32 v4, v17, v4, vcc
	v_cndmask_b32_e32 v17, v54, v72, vcc
	;; [unrolled: 1-line block ×15, first 2 shown]
	v_mov_b32_e32 v3, s53
	v_add_co_u32_e32 v9, vcc, s52, v50
	v_addc_co_u32_e32 v3, vcc, v3, v51, vcc
	v_add_co_u32_e32 v9, vcc, v9, v52
	v_addc_co_u32_e32 v14, vcc, v3, v53, vcc
	v_lshlrev_b32_e32 v3, 1, v1
	v_add_co_u32_e32 v3, vcc, v3, v9
	v_addc_co_u32_e32 v16, vcc, 0, v14, vcc
	v_add_co_u32_e32 v15, vcc, -2, v3
	v_addc_co_u32_e32 v16, vcc, -1, v16, vcc
	v_cmp_eq_u32_e32 vcc, 0, v5
	v_cmp_ne_u32_e64 s[28:29], 0, v5
	v_cndmask_b32_e64 v5, 1, 2, vcc
	v_cmp_eq_u32_e32 vcc, 0, v61
	v_cndmask_b32_e64 v50, 1, 2, vcc
	v_cmp_eq_u32_e32 vcc, 0, v10
	v_and_b32_e32 v5, v50, v5
	v_cmp_ne_u32_e64 s[24:25], 0, v10
	v_cndmask_b32_e64 v10, 1, 2, vcc
	v_cmp_eq_u32_e32 vcc, 0, v11
	v_and_b32_e32 v5, v5, v10
	v_cndmask_b32_e64 v10, 1, 2, vcc
	v_cmp_eq_u32_e32 vcc, 0, v12
	v_and_b32_e32 v5, v5, v10
	;; [unrolled: 3-line block ×12, first 2 shown]
	v_cmp_ne_u32_e64 s[0:1], 0, v4
	v_cndmask_b32_e64 v4, 1, 2, vcc
	s_movk_i32 s30, 0x100
	v_and_b32_e32 v4, v5, v4
	v_cmp_gt_u32_e32 vcc, s30, v7
	v_add_u32_e32 v3, v8, v1
	v_cmp_ne_u32_e64 s[26:27], 0, v61
	v_cmp_ne_u32_e64 s[22:23], 0, v11
	;; [unrolled: 1-line block ×12, first 2 shown]
	s_mov_b64 s[36:37], -1
	v_cmp_gt_i16_e64 s[30:31], 2, v4
	s_barrier
	s_cbranch_vccz .LBB394_162
; %bb.156:
	s_and_saveexec_b64 s[36:37], s[30:31]
	s_cbranch_execz .LBB394_161
; %bb.157:
	v_cmp_ne_u16_e32 vcc, 1, v4
	s_mov_b64 s[38:39], 0
	s_and_saveexec_b64 s[30:31], vcc
	s_xor_b64 s[30:31], exec, s[30:31]
	s_cbranch_execnz .LBB394_223
; %bb.158:
	s_andn2_saveexec_b64 s[30:31], s[30:31]
	s_cbranch_execnz .LBB394_239
.LBB394_159:
	s_or_b64 exec, exec, s[30:31]
	s_and_b64 exec, exec, s[38:39]
	s_cbranch_execz .LBB394_161
.LBB394_160:
	v_sub_u32_e32 v10, v20, v3
	v_mov_b32_e32 v11, 0
	v_lshlrev_b64 v[10:11], 1, v[10:11]
	v_add_co_u32_e32 v10, vcc, v15, v10
	v_addc_co_u32_e32 v11, vcc, v16, v11, vcc
	global_store_short v[10:11], v21, off
.LBB394_161:
	s_or_b64 exec, exec, s[36:37]
	s_mov_b64 s[36:37], 0
.LBB394_162:
	s_and_b64 vcc, exec, s[36:37]
	s_cbranch_vccz .LBB394_184
; %bb.163:
	v_cmp_gt_i16_e32 vcc, 2, v4
	s_and_saveexec_b64 s[30:31], vcc
	s_cbranch_execz .LBB394_168
; %bb.164:
	v_cmp_ne_u16_e32 vcc, 1, v4
	s_mov_b64 s[38:39], 0
	s_and_saveexec_b64 s[36:37], vcc
	s_xor_b64 s[36:37], exec, s[36:37]
	s_cbranch_execnz .LBB394_240
; %bb.165:
	s_andn2_saveexec_b64 s[0:1], s[36:37]
	s_cbranch_execnz .LBB394_256
.LBB394_166:
	s_or_b64 exec, exec, s[0:1]
	s_and_b64 exec, exec, s[38:39]
	s_cbranch_execz .LBB394_168
.LBB394_167:
	v_sub_u32_e32 v3, v20, v3
	v_lshlrev_b32_e32 v3, 1, v3
	ds_write_b16 v3, v21
.LBB394_168:
	s_or_b64 exec, exec, s[30:31]
	v_cmp_lt_u32_e32 vcc, v0, v7
	s_waitcnt lgkmcnt(0)
	s_barrier
	s_and_saveexec_b64 s[2:3], vcc
	s_cbranch_execz .LBB394_183
; %bb.169:
	v_add_u32_e32 v4, v6, v2
	v_xad_u32 v2, v0, -1, v4
	v_sub_u32_e32 v3, v2, v1
	s_movk_i32 s0, 0x1b00
	v_cmp_gt_u32_e64 s[4:5], s0, v3
	s_movk_i32 s0, 0x1aff
	v_cmp_lt_u32_e32 vcc, s0, v3
	v_mov_b32_e32 v2, v0
	s_and_saveexec_b64 s[6:7], vcc
	s_cbranch_execz .LBB394_180
; %bb.170:
	v_sub_u32_e32 v2, v0, v4
	v_add_u32_e32 v1, v2, v1
	v_or_b32_e32 v1, 0xff, v1
	v_cmp_ge_u32_e32 vcc, v1, v0
	s_mov_b64 s[0:1], -1
	v_mov_b32_e32 v2, v0
	s_and_saveexec_b64 s[8:9], vcc
	s_cbranch_execz .LBB394_179
; %bb.171:
	v_lshrrev_b32_e32 v17, 8, v3
	v_or_b32_e32 v3, 0x300, v0
	v_or_b32_e32 v2, 0x200, v0
	v_add_u32_e32 v4, -3, v17
	v_or_b32_e32 v1, 0x100, v0
	v_lshrrev_b32_e32 v5, 2, v4
	v_pk_mov_b32 v[12:13], v[2:3], v[2:3] op_sel:[0,1]
	v_add_u32_e32 v21, 1, v5
	v_cmp_lt_u32_e32 vcc, 11, v4
	v_mov_b32_e32 v24, 0
	v_lshlrev_b32_e32 v20, 1, v0
	v_pk_mov_b32 v[10:11], v[0:1], v[0:1] op_sel:[0,1]
	s_and_saveexec_b64 s[10:11], vcc
	s_cbranch_execz .LBB394_175
; %bb.172:
	v_pk_mov_b32 v[12:13], v[2:3], v[2:3] op_sel:[0,1]
	v_and_b32_e32 v22, 0x7ffffffc, v21
	s_mov_b32 s14, 0
	s_mov_b64 s[12:13], 0
	v_mov_b32_e32 v5, 0
	v_mov_b32_e32 v23, v20
	v_pk_mov_b32 v[10:11], v[0:1], v[0:1] op_sel:[0,1]
.LBB394_173:                            ; =>This Inner Loop Header: Depth=1
	v_mov_b32_e32 v4, v10
	v_lshlrev_b64 v[40:41], 1, v[4:5]
	v_add_u32_e32 v26, 0x400, v11
	v_mov_b32_e32 v27, v5
	v_add_co_u32_e64 v40, s[0:1], v15, v40
	v_lshlrev_b64 v[26:27], 1, v[26:27]
	v_addc_co_u32_e64 v41, s[0:1], v16, v41, s[0:1]
	v_add_u32_e32 v24, 0x400, v12
	v_mov_b32_e32 v25, v5
	v_add_co_u32_e64 v26, s[0:1], v15, v26
	v_lshlrev_b64 v[42:43], 1, v[24:25]
	v_addc_co_u32_e64 v27, s[0:1], v16, v27, s[0:1]
	v_add_u32_e32 v2, 0x400, v13
	v_mov_b32_e32 v3, v5
	v_add_co_u32_e64 v42, s[0:1], v15, v42
	v_add_u32_e32 v22, -4, v22
	v_mov_b32_e32 v4, v11
	v_lshlrev_b64 v[2:3], 1, v[2:3]
	v_addc_co_u32_e64 v43, s[0:1], v16, v43, s[0:1]
	v_add_u32_e32 v32, 0x800, v11
	v_mov_b32_e32 v33, v5
	s_add_i32 s14, s14, 16
	v_cmp_eq_u32_e32 vcc, 0, v22
	v_lshlrev_b64 v[44:45], 1, v[4:5]
	v_add_co_u32_e64 v2, s[0:1], v15, v2
	v_lshlrev_b64 v[32:33], 1, v[32:33]
	v_mov_b32_e32 v4, v12
	v_addc_co_u32_e64 v3, s[0:1], v16, v3, s[0:1]
	s_or_b64 s[12:13], vcc, s[12:13]
	v_add_co_u32_e32 v44, vcc, v15, v44
	v_add_u32_e32 v30, 0x800, v12
	v_mov_b32_e32 v31, v5
	v_add_co_u32_e64 v32, s[0:1], v15, v32
	v_addc_co_u32_e32 v45, vcc, v16, v45, vcc
	v_lshlrev_b64 v[46:47], 1, v[4:5]
	v_lshlrev_b64 v[30:31], 1, v[30:31]
	v_addc_co_u32_e64 v33, s[0:1], v16, v33, s[0:1]
	v_mov_b32_e32 v4, v13
	v_add_co_u32_e32 v46, vcc, v15, v46
	ds_read_u16 v1, v23
	ds_read_u16 v50, v23 offset:512
	ds_read_u16 v51, v23 offset:1024
	;; [unrolled: 1-line block ×7, first 2 shown]
	v_add_u32_e32 v28, 0x800, v13
	v_mov_b32_e32 v29, v5
	v_add_co_u32_e64 v30, s[0:1], v15, v30
	v_addc_co_u32_e32 v47, vcc, v16, v47, vcc
	v_lshlrev_b64 v[48:49], 1, v[4:5]
	v_lshlrev_b64 v[28:29], 1, v[28:29]
	v_addc_co_u32_e64 v31, s[0:1], v16, v31, s[0:1]
	v_add_u32_e32 v4, 0x400, v10
	v_add_co_u32_e32 v48, vcc, v15, v48
	v_add_u32_e32 v38, 0xc00, v11
	v_mov_b32_e32 v39, v5
	ds_read_u16 v57, v23 offset:4096
	ds_read_u16 v58, v23 offset:4608
	;; [unrolled: 1-line block ×8, first 2 shown]
	v_add_co_u32_e64 v28, s[0:1], v15, v28
	v_addc_co_u32_e32 v49, vcc, v16, v49, vcc
	s_waitcnt lgkmcnt(14)
	global_store_short v[40:41], v1, off
	global_store_short v[44:45], v50, off
	s_waitcnt lgkmcnt(13)
	global_store_short v[46:47], v51, off
	v_lshlrev_b64 v[40:41], 1, v[4:5]
	v_lshlrev_b64 v[38:39], 1, v[38:39]
	v_addc_co_u32_e64 v29, s[0:1], v16, v29, s[0:1]
	v_add_u32_e32 v4, 0x800, v10
	v_add_co_u32_e32 v40, vcc, v15, v40
	v_add_u32_e32 v36, 0xc00, v12
	v_mov_b32_e32 v37, v5
	v_add_co_u32_e64 v38, s[0:1], v15, v38
	v_addc_co_u32_e32 v41, vcc, v16, v41, vcc
	v_lshlrev_b64 v[44:45], 1, v[4:5]
	v_lshlrev_b64 v[36:37], 1, v[36:37]
	v_addc_co_u32_e64 v39, s[0:1], v16, v39, s[0:1]
	s_waitcnt lgkmcnt(12)
	global_store_short v[48:49], v52, off
	v_add_u32_e32 v4, 0xc00, v10
	s_waitcnt lgkmcnt(11)
	global_store_short v[40:41], v53, off
	s_waitcnt lgkmcnt(10)
	global_store_short v[26:27], v54, off
	;; [unrolled: 2-line block ×4, first 2 shown]
	v_add_co_u32_e32 v2, vcc, v15, v44
	v_add_u32_e32 v34, 0xc00, v13
	v_mov_b32_e32 v35, v5
	v_add_co_u32_e64 v36, s[0:1], v15, v36
	v_addc_co_u32_e32 v3, vcc, v16, v45, vcc
	v_lshlrev_b64 v[26:27], 1, v[4:5]
	v_lshlrev_b64 v[34:35], 1, v[34:35]
	v_addc_co_u32_e64 v37, s[0:1], v16, v37, s[0:1]
	s_waitcnt lgkmcnt(7)
	global_store_short v[2:3], v57, off
	s_waitcnt lgkmcnt(6)
	global_store_short v[32:33], v58, off
	;; [unrolled: 2-line block ×4, first 2 shown]
	v_add_co_u32_e32 v2, vcc, v15, v26
	v_add_u32_e32 v23, 0x2000, v23
	v_add_u32_e32 v11, 0x1000, v11
	v_mov_b32_e32 v24, s14
	v_add_co_u32_e64 v34, s[0:1], v15, v34
	v_add_u32_e32 v12, 0x1000, v12
	v_add_u32_e32 v13, 0x1000, v13
	;; [unrolled: 1-line block ×3, first 2 shown]
	v_addc_co_u32_e32 v3, vcc, v16, v27, vcc
	v_addc_co_u32_e64 v35, s[0:1], v16, v35, s[0:1]
	s_waitcnt lgkmcnt(3)
	global_store_short v[2:3], v61, off
	s_waitcnt lgkmcnt(2)
	global_store_short v[38:39], v62, off
	;; [unrolled: 2-line block ×4, first 2 shown]
	s_andn2_b64 exec, exec, s[12:13]
	s_cbranch_execnz .LBB394_173
; %bb.174:
	s_or_b64 exec, exec, s[12:13]
.LBB394_175:
	s_or_b64 exec, exec, s[10:11]
	v_and_b32_e32 v1, 3, v21
	v_cmp_ne_u32_e32 vcc, 0, v1
	s_and_saveexec_b64 s[10:11], vcc
	s_cbranch_execz .LBB394_178
; %bb.176:
	v_lshl_or_b32 v4, v24, 9, v20
	s_mov_b64 s[12:13], 0
	v_mov_b32_e32 v3, 0
.LBB394_177:                            ; =>This Inner Loop Header: Depth=1
	v_mov_b32_e32 v2, v10
	v_add_u32_e32 v1, -1, v1
	v_lshlrev_b64 v[20:21], 1, v[2:3]
	v_mov_b32_e32 v2, v11
	v_cmp_eq_u32_e32 vcc, 0, v1
	v_lshlrev_b64 v[22:23], 1, v[2:3]
	ds_read_u16 v5, v4
	ds_read_u16 v28, v4 offset:512
	ds_read_u16 v29, v4 offset:1024
	;; [unrolled: 1-line block ×3, first 2 shown]
	v_mov_b32_e32 v2, v12
	s_or_b64 s[12:13], vcc, s[12:13]
	v_add_co_u32_e32 v22, vcc, v15, v22
	v_addc_co_u32_e32 v23, vcc, v16, v23, vcc
	v_lshlrev_b64 v[24:25], 1, v[2:3]
	v_mov_b32_e32 v2, v13
	v_add_co_u32_e32 v24, vcc, v15, v24
	v_add_co_u32_e64 v20, s[0:1], v15, v20
	v_addc_co_u32_e32 v25, vcc, v16, v25, vcc
	v_lshlrev_b64 v[26:27], 1, v[2:3]
	v_add_u32_e32 v10, 0x400, v10
	v_add_u32_e32 v4, 0x800, v4
	;; [unrolled: 1-line block ×3, first 2 shown]
	v_addc_co_u32_e64 v21, s[0:1], v16, v21, s[0:1]
	v_add_u32_e32 v12, 0x400, v12
	v_add_u32_e32 v13, 0x400, v13
	v_add_co_u32_e32 v26, vcc, v15, v26
	v_addc_co_u32_e32 v27, vcc, v16, v27, vcc
	s_waitcnt lgkmcnt(3)
	global_store_short v[20:21], v5, off
	s_waitcnt lgkmcnt(2)
	global_store_short v[22:23], v28, off
	;; [unrolled: 2-line block ×4, first 2 shown]
	s_andn2_b64 exec, exec, s[12:13]
	s_cbranch_execnz .LBB394_177
.LBB394_178:
	s_or_b64 exec, exec, s[10:11]
	v_add_u32_e32 v1, 1, v17
	v_and_b32_e32 v3, 0x1fffffc, v1
	v_cmp_ne_u32_e32 vcc, v1, v3
	v_lshl_or_b32 v2, v3, 8, v0
	s_orn2_b64 s[0:1], vcc, exec
.LBB394_179:
	s_or_b64 exec, exec, s[8:9]
	s_andn2_b64 s[4:5], s[4:5], exec
	s_and_b64 s[0:1], s[0:1], exec
	s_or_b64 s[4:5], s[4:5], s[0:1]
.LBB394_180:
	s_or_b64 exec, exec, s[6:7]
	s_and_b64 exec, exec, s[4:5]
	s_cbranch_execz .LBB394_183
; %bb.181:
	v_lshlrev_b32_e32 v1, 1, v2
	s_mov_b64 s[0:1], 0
	v_mov_b32_e32 v3, 0
.LBB394_182:                            ; =>This Inner Loop Header: Depth=1
	v_lshlrev_b64 v[4:5], 1, v[2:3]
	ds_read_u16 v10, v1
	v_add_co_u32_e32 v4, vcc, v15, v4
	v_add_u32_e32 v2, 0x100, v2
	v_addc_co_u32_e32 v5, vcc, v16, v5, vcc
	v_cmp_ge_u32_e32 vcc, v2, v7
	v_add_u32_e32 v1, 0x200, v1
	s_or_b64 s[0:1], vcc, s[0:1]
	s_waitcnt lgkmcnt(0)
	global_store_short v[4:5], v10, off
	s_andn2_b64 exec, exec, s[0:1]
	s_cbranch_execnz .LBB394_182
.LBB394_183:
	s_or_b64 exec, exec, s[2:3]
.LBB394_184:
	s_movk_i32 s0, 0xff
	v_cmp_eq_u32_e32 vcc, s0, v0
	s_and_b64 s[0:1], vcc, s[34:35]
	s_and_saveexec_b64 s[2:3], s[0:1]
	s_cbranch_execz .LBB394_187
; %bb.185:
	v_add_co_u32_e32 v0, vcc, v6, v8
	v_addc_co_u32_e64 v1, s[0:1], 0, 0, vcc
	v_add_co_u32_e32 v0, vcc, v0, v18
	v_mov_b32_e32 v7, 0
	v_addc_co_u32_e32 v1, vcc, v1, v19, vcc
	s_cmpk_lg_i32 s33, 0xf00
	global_store_dwordx2 v7, v[0:1], s[54:55]
	s_cbranch_scc1 .LBB394_187
; %bb.186:
	v_lshlrev_b64 v[0:1], 1, v[6:7]
	v_add_co_u32_e32 v0, vcc, v9, v0
	v_addc_co_u32_e32 v1, vcc, v14, v1, vcc
	global_store_short v[0:1], v67, off offset:-2
.LBB394_187:
	s_endpgm
.LBB394_188:
	s_or_b64 exec, exec, s[2:3]
	v_mov_b32_e32 v68, s12
	s_and_saveexec_b64 s[2:3], s[4:5]
	s_cbranch_execnz .LBB394_84
	s_branch .LBB394_85
.LBB394_189:
	s_and_saveexec_b64 s[40:41], s[28:29]
	s_cbranch_execnz .LBB394_257
; %bb.190:
	s_or_b64 exec, exec, s[40:41]
	s_and_saveexec_b64 s[40:41], s[26:27]
	s_cbranch_execnz .LBB394_258
.LBB394_191:
	s_or_b64 exec, exec, s[40:41]
	s_and_saveexec_b64 s[40:41], s[24:25]
	s_cbranch_execnz .LBB394_259
.LBB394_192:
	s_or_b64 exec, exec, s[40:41]
	s_and_saveexec_b64 s[40:41], s[22:23]
	s_cbranch_execnz .LBB394_260
.LBB394_193:
	s_or_b64 exec, exec, s[40:41]
	s_and_saveexec_b64 s[40:41], s[20:21]
	s_cbranch_execnz .LBB394_261
.LBB394_194:
	s_or_b64 exec, exec, s[40:41]
	s_and_saveexec_b64 s[40:41], s[18:19]
	s_cbranch_execnz .LBB394_262
.LBB394_195:
	s_or_b64 exec, exec, s[40:41]
	s_and_saveexec_b64 s[40:41], s[16:17]
	s_cbranch_execnz .LBB394_263
.LBB394_196:
	s_or_b64 exec, exec, s[40:41]
	s_and_saveexec_b64 s[40:41], s[14:15]
	s_cbranch_execnz .LBB394_264
.LBB394_197:
	s_or_b64 exec, exec, s[40:41]
	s_and_saveexec_b64 s[40:41], s[12:13]
	s_cbranch_execnz .LBB394_265
.LBB394_198:
	s_or_b64 exec, exec, s[40:41]
	s_and_saveexec_b64 s[40:41], s[10:11]
	s_cbranch_execnz .LBB394_266
.LBB394_199:
	s_or_b64 exec, exec, s[40:41]
	s_and_saveexec_b64 s[40:41], s[8:9]
	s_cbranch_execnz .LBB394_267
.LBB394_200:
	s_or_b64 exec, exec, s[40:41]
	s_and_saveexec_b64 s[40:41], s[6:7]
	s_cbranch_execnz .LBB394_268
.LBB394_201:
	s_or_b64 exec, exec, s[40:41]
	s_and_saveexec_b64 s[40:41], s[4:5]
	s_cbranch_execnz .LBB394_269
.LBB394_202:
	s_or_b64 exec, exec, s[40:41]
	s_and_saveexec_b64 s[40:41], s[2:3]
	s_cbranch_execz .LBB394_204
.LBB394_203:
	v_sub_u32_e32 v12, v22, v8
	v_mov_b32_e32 v13, 0
	v_lshlrev_b64 v[12:13], 1, v[12:13]
	v_add_co_u32_e32 v12, vcc, v7, v12
	v_addc_co_u32_e32 v13, vcc, v9, v13, vcc
	global_store_short v[12:13], v16, off
.LBB394_204:
	s_or_b64 exec, exec, s[40:41]
	s_and_b64 s[40:41], s[0:1], exec
	s_andn2_saveexec_b64 s[30:31], s[30:31]
	s_cbranch_execz .LBB394_130
.LBB394_205:
	v_sub_u32_e32 v12, v48, v8
	v_mov_b32_e32 v13, 0
	v_lshlrev_b64 v[70:71], 1, v[12:13]
	v_add_co_u32_e32 v70, vcc, v7, v70
	v_addc_co_u32_e32 v71, vcc, v9, v71, vcc
	v_sub_u32_e32 v12, v46, v8
	global_store_short v[70:71], v1, off
	v_lshlrev_b64 v[70:71], 1, v[12:13]
	v_add_co_u32_e32 v70, vcc, v7, v70
	v_addc_co_u32_e32 v71, vcc, v9, v71, vcc
	v_sub_u32_e32 v12, v44, v8
	global_store_short v[70:71], v2, off
	v_lshlrev_b64 v[70:71], 1, v[12:13]
	v_add_co_u32_e32 v70, vcc, v7, v70
	v_addc_co_u32_e32 v71, vcc, v9, v71, vcc
	v_sub_u32_e32 v12, v42, v8
	global_store_short_d16_hi v[70:71], v2, off
	v_lshlrev_b64 v[70:71], 1, v[12:13]
	v_add_co_u32_e32 v70, vcc, v7, v70
	v_addc_co_u32_e32 v71, vcc, v9, v71, vcc
	v_sub_u32_e32 v12, v40, v8
	global_store_short v[70:71], v3, off
	v_lshlrev_b64 v[70:71], 1, v[12:13]
	v_add_co_u32_e32 v70, vcc, v7, v70
	v_addc_co_u32_e32 v71, vcc, v9, v71, vcc
	v_sub_u32_e32 v12, v38, v8
	global_store_short_d16_hi v[70:71], v3, off
	;; [unrolled: 10-line block ×5, first 2 shown]
	v_lshlrev_b64 v[70:71], 1, v[12:13]
	v_add_co_u32_e32 v70, vcc, v7, v70
	v_addc_co_u32_e32 v71, vcc, v9, v71, vcc
	v_sub_u32_e32 v12, v24, v8
	global_store_short v[70:71], v15, off
	v_lshlrev_b64 v[70:71], 1, v[12:13]
	v_add_co_u32_e32 v70, vcc, v7, v70
	v_sub_u32_e32 v12, v22, v8
	v_addc_co_u32_e32 v71, vcc, v9, v71, vcc
	v_lshlrev_b64 v[12:13], 1, v[12:13]
	v_add_co_u32_e32 v12, vcc, v7, v12
	v_addc_co_u32_e32 v13, vcc, v9, v13, vcc
	s_or_b64 s[40:41], s[40:41], exec
	global_store_short_d16_hi v[70:71], v15, off
	global_store_short v[12:13], v16, off
	s_or_b64 exec, exec, s[30:31]
	s_and_b64 exec, exec, s[40:41]
	s_cbranch_execnz .LBB394_131
	s_branch .LBB394_132
.LBB394_206:
	s_and_saveexec_b64 s[40:41], s[28:29]
	s_cbranch_execnz .LBB394_270
; %bb.207:
	s_or_b64 exec, exec, s[40:41]
	s_and_saveexec_b64 s[28:29], s[26:27]
	s_cbranch_execnz .LBB394_271
.LBB394_208:
	s_or_b64 exec, exec, s[28:29]
	s_and_saveexec_b64 s[26:27], s[24:25]
	s_cbranch_execnz .LBB394_272
.LBB394_209:
	s_or_b64 exec, exec, s[26:27]
	s_and_saveexec_b64 s[24:25], s[22:23]
	s_cbranch_execnz .LBB394_273
.LBB394_210:
	s_or_b64 exec, exec, s[24:25]
	s_and_saveexec_b64 s[22:23], s[20:21]
	s_cbranch_execnz .LBB394_274
.LBB394_211:
	s_or_b64 exec, exec, s[22:23]
	s_and_saveexec_b64 s[20:21], s[18:19]
	s_cbranch_execnz .LBB394_275
.LBB394_212:
	s_or_b64 exec, exec, s[20:21]
	s_and_saveexec_b64 s[18:19], s[16:17]
	s_cbranch_execnz .LBB394_276
.LBB394_213:
	s_or_b64 exec, exec, s[18:19]
	s_and_saveexec_b64 s[16:17], s[14:15]
	s_cbranch_execnz .LBB394_277
.LBB394_214:
	s_or_b64 exec, exec, s[16:17]
	s_and_saveexec_b64 s[14:15], s[12:13]
	s_cbranch_execnz .LBB394_278
.LBB394_215:
	s_or_b64 exec, exec, s[14:15]
	s_and_saveexec_b64 s[12:13], s[10:11]
	s_cbranch_execnz .LBB394_279
.LBB394_216:
	s_or_b64 exec, exec, s[12:13]
	s_and_saveexec_b64 s[10:11], s[8:9]
	s_cbranch_execnz .LBB394_280
.LBB394_217:
	s_or_b64 exec, exec, s[10:11]
	s_and_saveexec_b64 s[8:9], s[6:7]
	s_cbranch_execnz .LBB394_281
.LBB394_218:
	s_or_b64 exec, exec, s[8:9]
	s_and_saveexec_b64 s[6:7], s[4:5]
	s_cbranch_execnz .LBB394_282
.LBB394_219:
	s_or_b64 exec, exec, s[6:7]
	s_and_saveexec_b64 s[4:5], s[2:3]
	s_cbranch_execz .LBB394_221
.LBB394_220:
	v_sub_u32_e32 v1, v22, v8
	v_lshlrev_b32_e32 v1, 1, v1
	ds_write_b16 v1, v16
.LBB394_221:
	s_or_b64 exec, exec, s[4:5]
	s_and_b64 s[40:41], s[0:1], exec
                                        ; implicit-def: $vgpr1
                                        ; implicit-def: $vgpr2
	s_andn2_saveexec_b64 s[0:1], s[38:39]
	s_cbranch_execz .LBB394_137
.LBB394_222:
	v_sub_u32_e32 v10, v48, v8
	v_lshlrev_b32_e32 v10, 1, v10
	ds_write_b16 v10, v1
	v_sub_u32_e32 v1, v46, v8
	v_lshlrev_b32_e32 v1, 1, v1
	ds_write_b16 v1, v2
	v_sub_u32_e32 v1, v44, v8
	v_lshlrev_b32_e32 v1, 1, v1
	ds_write_b16_d16_hi v1, v2
	v_sub_u32_e32 v1, v42, v8
	v_lshlrev_b32_e32 v1, 1, v1
	ds_write_b16 v1, v3
	v_sub_u32_e32 v1, v40, v8
	v_lshlrev_b32_e32 v1, 1, v1
	ds_write_b16_d16_hi v1, v3
	;; [unrolled: 6-line block ×6, first 2 shown]
	v_sub_u32_e32 v1, v22, v8
	v_lshlrev_b32_e32 v1, 1, v1
	s_or_b64 s[40:41], s[40:41], exec
	ds_write_b16 v1, v16
	s_or_b64 exec, exec, s[0:1]
	s_and_b64 exec, exec, s[40:41]
	s_cbranch_execnz .LBB394_138
	s_branch .LBB394_139
.LBB394_223:
	s_and_saveexec_b64 s[38:39], s[28:29]
	s_cbranch_execnz .LBB394_283
; %bb.224:
	s_or_b64 exec, exec, s[38:39]
	s_and_saveexec_b64 s[38:39], s[26:27]
	s_cbranch_execnz .LBB394_284
.LBB394_225:
	s_or_b64 exec, exec, s[38:39]
	s_and_saveexec_b64 s[38:39], s[24:25]
	s_cbranch_execnz .LBB394_285
.LBB394_226:
	s_or_b64 exec, exec, s[38:39]
	s_and_saveexec_b64 s[38:39], s[22:23]
	s_cbranch_execnz .LBB394_286
.LBB394_227:
	s_or_b64 exec, exec, s[38:39]
	s_and_saveexec_b64 s[38:39], s[20:21]
	s_cbranch_execnz .LBB394_287
.LBB394_228:
	s_or_b64 exec, exec, s[38:39]
	s_and_saveexec_b64 s[38:39], s[18:19]
	s_cbranch_execnz .LBB394_288
.LBB394_229:
	s_or_b64 exec, exec, s[38:39]
	s_and_saveexec_b64 s[38:39], s[16:17]
	s_cbranch_execnz .LBB394_289
.LBB394_230:
	s_or_b64 exec, exec, s[38:39]
	s_and_saveexec_b64 s[38:39], s[14:15]
	s_cbranch_execnz .LBB394_290
.LBB394_231:
	s_or_b64 exec, exec, s[38:39]
	s_and_saveexec_b64 s[38:39], s[12:13]
	s_cbranch_execnz .LBB394_291
.LBB394_232:
	s_or_b64 exec, exec, s[38:39]
	s_and_saveexec_b64 s[38:39], s[10:11]
	s_cbranch_execnz .LBB394_292
.LBB394_233:
	s_or_b64 exec, exec, s[38:39]
	s_and_saveexec_b64 s[38:39], s[8:9]
	s_cbranch_execnz .LBB394_293
.LBB394_234:
	s_or_b64 exec, exec, s[38:39]
	s_and_saveexec_b64 s[38:39], s[6:7]
	s_cbranch_execnz .LBB394_294
.LBB394_235:
	s_or_b64 exec, exec, s[38:39]
	s_and_saveexec_b64 s[38:39], s[4:5]
	s_cbranch_execnz .LBB394_295
.LBB394_236:
	s_or_b64 exec, exec, s[38:39]
	s_and_saveexec_b64 s[38:39], s[2:3]
	s_cbranch_execz .LBB394_238
.LBB394_237:
	v_sub_u32_e32 v10, v22, v3
	v_mov_b32_e32 v11, 0
	v_lshlrev_b64 v[10:11], 1, v[10:11]
	v_add_co_u32_e32 v10, vcc, v15, v10
	v_addc_co_u32_e32 v11, vcc, v16, v11, vcc
	global_store_short v[10:11], v23, off
.LBB394_238:
	s_or_b64 exec, exec, s[38:39]
	s_and_b64 s[38:39], s[0:1], exec
	s_andn2_saveexec_b64 s[30:31], s[30:31]
	s_cbranch_execz .LBB394_159
.LBB394_239:
	v_sub_u32_e32 v10, v48, v3
	v_mov_b32_e32 v11, 0
	v_lshlrev_b64 v[12:13], 1, v[10:11]
	v_add_co_u32_e32 v12, vcc, v15, v12
	v_addc_co_u32_e32 v13, vcc, v16, v13, vcc
	v_sub_u32_e32 v10, v46, v3
	global_store_short v[12:13], v49, off
	v_lshlrev_b64 v[12:13], 1, v[10:11]
	v_add_co_u32_e32 v12, vcc, v15, v12
	v_addc_co_u32_e32 v13, vcc, v16, v13, vcc
	v_sub_u32_e32 v10, v44, v3
	global_store_short v[12:13], v47, off
	;; [unrolled: 5-line block ×12, first 2 shown]
	v_lshlrev_b64 v[12:13], 1, v[10:11]
	v_add_co_u32_e32 v12, vcc, v15, v12
	v_sub_u32_e32 v10, v22, v3
	v_addc_co_u32_e32 v13, vcc, v16, v13, vcc
	v_lshlrev_b64 v[10:11], 1, v[10:11]
	v_add_co_u32_e32 v10, vcc, v15, v10
	v_addc_co_u32_e32 v11, vcc, v16, v11, vcc
	s_or_b64 s[38:39], s[38:39], exec
	global_store_short v[12:13], v25, off
	global_store_short v[10:11], v23, off
	s_or_b64 exec, exec, s[30:31]
	s_and_b64 exec, exec, s[38:39]
	s_cbranch_execnz .LBB394_160
	s_branch .LBB394_161
.LBB394_240:
	s_and_saveexec_b64 s[38:39], s[28:29]
	s_cbranch_execnz .LBB394_296
; %bb.241:
	s_or_b64 exec, exec, s[38:39]
	s_and_saveexec_b64 s[28:29], s[26:27]
	s_cbranch_execnz .LBB394_297
.LBB394_242:
	s_or_b64 exec, exec, s[28:29]
	s_and_saveexec_b64 s[26:27], s[24:25]
	s_cbranch_execnz .LBB394_298
.LBB394_243:
	s_or_b64 exec, exec, s[26:27]
	s_and_saveexec_b64 s[24:25], s[22:23]
	s_cbranch_execnz .LBB394_299
.LBB394_244:
	s_or_b64 exec, exec, s[24:25]
	s_and_saveexec_b64 s[22:23], s[20:21]
	s_cbranch_execnz .LBB394_300
.LBB394_245:
	s_or_b64 exec, exec, s[22:23]
	s_and_saveexec_b64 s[20:21], s[18:19]
	s_cbranch_execnz .LBB394_301
.LBB394_246:
	s_or_b64 exec, exec, s[20:21]
	s_and_saveexec_b64 s[18:19], s[16:17]
	s_cbranch_execnz .LBB394_302
.LBB394_247:
	s_or_b64 exec, exec, s[18:19]
	s_and_saveexec_b64 s[16:17], s[14:15]
	s_cbranch_execnz .LBB394_303
.LBB394_248:
	s_or_b64 exec, exec, s[16:17]
	s_and_saveexec_b64 s[14:15], s[12:13]
	s_cbranch_execnz .LBB394_304
.LBB394_249:
	s_or_b64 exec, exec, s[14:15]
	s_and_saveexec_b64 s[12:13], s[10:11]
	s_cbranch_execnz .LBB394_305
.LBB394_250:
	s_or_b64 exec, exec, s[12:13]
	s_and_saveexec_b64 s[10:11], s[8:9]
	s_cbranch_execnz .LBB394_306
.LBB394_251:
	s_or_b64 exec, exec, s[10:11]
	s_and_saveexec_b64 s[8:9], s[6:7]
	s_cbranch_execnz .LBB394_307
.LBB394_252:
	s_or_b64 exec, exec, s[8:9]
	s_and_saveexec_b64 s[6:7], s[4:5]
	s_cbranch_execnz .LBB394_308
.LBB394_253:
	s_or_b64 exec, exec, s[6:7]
	s_and_saveexec_b64 s[4:5], s[2:3]
	s_cbranch_execz .LBB394_255
.LBB394_254:
	v_sub_u32_e32 v4, v22, v3
	v_lshlrev_b32_e32 v4, 1, v4
	ds_write_b16 v4, v23
.LBB394_255:
	s_or_b64 exec, exec, s[4:5]
	s_and_b64 s[38:39], s[0:1], exec
                                        ; implicit-def: $vgpr48_vgpr49
                                        ; implicit-def: $vgpr46_vgpr47
                                        ; implicit-def: $vgpr44_vgpr45
                                        ; implicit-def: $vgpr42_vgpr43
                                        ; implicit-def: $vgpr40_vgpr41
                                        ; implicit-def: $vgpr38_vgpr39
                                        ; implicit-def: $vgpr36_vgpr37
                                        ; implicit-def: $vgpr34_vgpr35
                                        ; implicit-def: $vgpr32_vgpr33
                                        ; implicit-def: $vgpr30_vgpr31
                                        ; implicit-def: $vgpr28_vgpr29
                                        ; implicit-def: $vgpr26_vgpr27
                                        ; implicit-def: $vgpr24_vgpr25
                                        ; implicit-def: $vgpr22_vgpr23
	s_andn2_saveexec_b64 s[0:1], s[36:37]
	s_cbranch_execz .LBB394_166
.LBB394_256:
	v_sub_u32_e32 v4, v48, v3
	v_lshlrev_b32_e32 v4, 1, v4
	ds_write_b16 v4, v49
	v_sub_u32_e32 v4, v46, v3
	v_lshlrev_b32_e32 v4, 1, v4
	ds_write_b16 v4, v47
	;; [unrolled: 3-line block ×13, first 2 shown]
	v_sub_u32_e32 v4, v22, v3
	v_lshlrev_b32_e32 v4, 1, v4
	s_or_b64 s[38:39], s[38:39], exec
	ds_write_b16 v4, v23
	s_or_b64 exec, exec, s[0:1]
	s_and_b64 exec, exec, s[38:39]
	s_cbranch_execnz .LBB394_167
	s_branch .LBB394_168
.LBB394_257:
	v_sub_u32_e32 v12, v48, v8
	v_mov_b32_e32 v13, 0
	v_lshlrev_b64 v[12:13], 1, v[12:13]
	v_add_co_u32_e32 v12, vcc, v7, v12
	v_addc_co_u32_e32 v13, vcc, v9, v13, vcc
	global_store_short v[12:13], v1, off
	s_or_b64 exec, exec, s[40:41]
	s_and_saveexec_b64 s[40:41], s[26:27]
	s_cbranch_execz .LBB394_191
.LBB394_258:
	v_sub_u32_e32 v12, v46, v8
	v_mov_b32_e32 v13, 0
	v_lshlrev_b64 v[12:13], 1, v[12:13]
	v_add_co_u32_e32 v12, vcc, v7, v12
	v_addc_co_u32_e32 v13, vcc, v9, v13, vcc
	global_store_short v[12:13], v2, off
	s_or_b64 exec, exec, s[40:41]
	s_and_saveexec_b64 s[40:41], s[24:25]
	s_cbranch_execz .LBB394_192
.LBB394_259:
	v_sub_u32_e32 v12, v44, v8
	v_mov_b32_e32 v13, 0
	v_lshlrev_b64 v[12:13], 1, v[12:13]
	v_add_co_u32_e32 v12, vcc, v7, v12
	v_addc_co_u32_e32 v13, vcc, v9, v13, vcc
	global_store_short_d16_hi v[12:13], v2, off
	s_or_b64 exec, exec, s[40:41]
	s_and_saveexec_b64 s[40:41], s[22:23]
	s_cbranch_execz .LBB394_193
.LBB394_260:
	v_sub_u32_e32 v12, v42, v8
	v_mov_b32_e32 v13, 0
	v_lshlrev_b64 v[12:13], 1, v[12:13]
	v_add_co_u32_e32 v12, vcc, v7, v12
	v_addc_co_u32_e32 v13, vcc, v9, v13, vcc
	global_store_short v[12:13], v3, off
	s_or_b64 exec, exec, s[40:41]
	s_and_saveexec_b64 s[40:41], s[20:21]
	s_cbranch_execz .LBB394_194
.LBB394_261:
	v_sub_u32_e32 v12, v40, v8
	v_mov_b32_e32 v13, 0
	v_lshlrev_b64 v[12:13], 1, v[12:13]
	v_add_co_u32_e32 v12, vcc, v7, v12
	v_addc_co_u32_e32 v13, vcc, v9, v13, vcc
	global_store_short_d16_hi v[12:13], v3, off
	s_or_b64 exec, exec, s[40:41]
	s_and_saveexec_b64 s[40:41], s[18:19]
	s_cbranch_execz .LBB394_195
.LBB394_262:
	v_sub_u32_e32 v12, v38, v8
	v_mov_b32_e32 v13, 0
	v_lshlrev_b64 v[12:13], 1, v[12:13]
	v_add_co_u32_e32 v12, vcc, v7, v12
	v_addc_co_u32_e32 v13, vcc, v9, v13, vcc
	global_store_short v[12:13], v4, off
	s_or_b64 exec, exec, s[40:41]
	s_and_saveexec_b64 s[40:41], s[16:17]
	s_cbranch_execz .LBB394_196
.LBB394_263:
	v_sub_u32_e32 v12, v36, v8
	v_mov_b32_e32 v13, 0
	v_lshlrev_b64 v[12:13], 1, v[12:13]
	v_add_co_u32_e32 v12, vcc, v7, v12
	v_addc_co_u32_e32 v13, vcc, v9, v13, vcc
	global_store_short_d16_hi v[12:13], v4, off
	s_or_b64 exec, exec, s[40:41]
	s_and_saveexec_b64 s[40:41], s[14:15]
	s_cbranch_execz .LBB394_197
.LBB394_264:
	v_sub_u32_e32 v12, v34, v8
	v_mov_b32_e32 v13, 0
	v_lshlrev_b64 v[12:13], 1, v[12:13]
	v_add_co_u32_e32 v12, vcc, v7, v12
	v_addc_co_u32_e32 v13, vcc, v9, v13, vcc
	global_store_short v[12:13], v5, off
	s_or_b64 exec, exec, s[40:41]
	s_and_saveexec_b64 s[40:41], s[12:13]
	s_cbranch_execz .LBB394_198
.LBB394_265:
	v_sub_u32_e32 v12, v32, v8
	v_mov_b32_e32 v13, 0
	v_lshlrev_b64 v[12:13], 1, v[12:13]
	v_add_co_u32_e32 v12, vcc, v7, v12
	v_addc_co_u32_e32 v13, vcc, v9, v13, vcc
	global_store_short_d16_hi v[12:13], v5, off
	s_or_b64 exec, exec, s[40:41]
	s_and_saveexec_b64 s[40:41], s[10:11]
	s_cbranch_execz .LBB394_199
.LBB394_266:
	v_sub_u32_e32 v12, v30, v8
	v_mov_b32_e32 v13, 0
	v_lshlrev_b64 v[12:13], 1, v[12:13]
	v_add_co_u32_e32 v12, vcc, v7, v12
	v_addc_co_u32_e32 v13, vcc, v9, v13, vcc
	global_store_short v[12:13], v14, off
	s_or_b64 exec, exec, s[40:41]
	s_and_saveexec_b64 s[40:41], s[8:9]
	s_cbranch_execz .LBB394_200
.LBB394_267:
	v_sub_u32_e32 v12, v28, v8
	v_mov_b32_e32 v13, 0
	v_lshlrev_b64 v[12:13], 1, v[12:13]
	v_add_co_u32_e32 v12, vcc, v7, v12
	v_addc_co_u32_e32 v13, vcc, v9, v13, vcc
	global_store_short_d16_hi v[12:13], v14, off
	s_or_b64 exec, exec, s[40:41]
	s_and_saveexec_b64 s[40:41], s[6:7]
	s_cbranch_execz .LBB394_201
.LBB394_268:
	v_sub_u32_e32 v12, v26, v8
	v_mov_b32_e32 v13, 0
	v_lshlrev_b64 v[12:13], 1, v[12:13]
	v_add_co_u32_e32 v12, vcc, v7, v12
	v_addc_co_u32_e32 v13, vcc, v9, v13, vcc
	global_store_short v[12:13], v15, off
	s_or_b64 exec, exec, s[40:41]
	s_and_saveexec_b64 s[40:41], s[4:5]
	s_cbranch_execz .LBB394_202
.LBB394_269:
	v_sub_u32_e32 v12, v24, v8
	v_mov_b32_e32 v13, 0
	v_lshlrev_b64 v[12:13], 1, v[12:13]
	v_add_co_u32_e32 v12, vcc, v7, v12
	v_addc_co_u32_e32 v13, vcc, v9, v13, vcc
	global_store_short_d16_hi v[12:13], v15, off
	s_or_b64 exec, exec, s[40:41]
	s_and_saveexec_b64 s[40:41], s[2:3]
	s_cbranch_execnz .LBB394_203
	s_branch .LBB394_204
.LBB394_270:
	v_sub_u32_e32 v10, v48, v8
	v_lshlrev_b32_e32 v10, 1, v10
	ds_write_b16 v10, v1
	s_or_b64 exec, exec, s[40:41]
	s_and_saveexec_b64 s[28:29], s[26:27]
	s_cbranch_execz .LBB394_208
.LBB394_271:
	v_sub_u32_e32 v1, v46, v8
	v_lshlrev_b32_e32 v1, 1, v1
	ds_write_b16 v1, v2
	s_or_b64 exec, exec, s[28:29]
	s_and_saveexec_b64 s[26:27], s[24:25]
	s_cbranch_execz .LBB394_209
.LBB394_272:
	v_sub_u32_e32 v1, v44, v8
	v_lshlrev_b32_e32 v1, 1, v1
	ds_write_b16_d16_hi v1, v2
	s_or_b64 exec, exec, s[26:27]
	s_and_saveexec_b64 s[24:25], s[22:23]
	s_cbranch_execz .LBB394_210
.LBB394_273:
	v_sub_u32_e32 v1, v42, v8
	v_lshlrev_b32_e32 v1, 1, v1
	ds_write_b16 v1, v3
	s_or_b64 exec, exec, s[24:25]
	s_and_saveexec_b64 s[22:23], s[20:21]
	s_cbranch_execz .LBB394_211
.LBB394_274:
	v_sub_u32_e32 v1, v40, v8
	v_lshlrev_b32_e32 v1, 1, v1
	ds_write_b16_d16_hi v1, v3
	s_or_b64 exec, exec, s[22:23]
	s_and_saveexec_b64 s[20:21], s[18:19]
	s_cbranch_execz .LBB394_212
.LBB394_275:
	v_sub_u32_e32 v1, v38, v8
	v_lshlrev_b32_e32 v1, 1, v1
	ds_write_b16 v1, v4
	s_or_b64 exec, exec, s[20:21]
	s_and_saveexec_b64 s[18:19], s[16:17]
	s_cbranch_execz .LBB394_213
.LBB394_276:
	v_sub_u32_e32 v1, v36, v8
	v_lshlrev_b32_e32 v1, 1, v1
	ds_write_b16_d16_hi v1, v4
	s_or_b64 exec, exec, s[18:19]
	s_and_saveexec_b64 s[16:17], s[14:15]
	s_cbranch_execz .LBB394_214
.LBB394_277:
	v_sub_u32_e32 v1, v34, v8
	v_lshlrev_b32_e32 v1, 1, v1
	ds_write_b16 v1, v5
	s_or_b64 exec, exec, s[16:17]
	s_and_saveexec_b64 s[14:15], s[12:13]
	s_cbranch_execz .LBB394_215
.LBB394_278:
	v_sub_u32_e32 v1, v32, v8
	v_lshlrev_b32_e32 v1, 1, v1
	ds_write_b16_d16_hi v1, v5
	s_or_b64 exec, exec, s[14:15]
	s_and_saveexec_b64 s[12:13], s[10:11]
	s_cbranch_execz .LBB394_216
.LBB394_279:
	v_sub_u32_e32 v1, v30, v8
	v_lshlrev_b32_e32 v1, 1, v1
	ds_write_b16 v1, v14
	s_or_b64 exec, exec, s[12:13]
	s_and_saveexec_b64 s[10:11], s[8:9]
	s_cbranch_execz .LBB394_217
.LBB394_280:
	v_sub_u32_e32 v1, v28, v8
	v_lshlrev_b32_e32 v1, 1, v1
	ds_write_b16_d16_hi v1, v14
	s_or_b64 exec, exec, s[10:11]
	s_and_saveexec_b64 s[8:9], s[6:7]
	s_cbranch_execz .LBB394_218
.LBB394_281:
	v_sub_u32_e32 v1, v26, v8
	v_lshlrev_b32_e32 v1, 1, v1
	ds_write_b16 v1, v15
	s_or_b64 exec, exec, s[8:9]
	s_and_saveexec_b64 s[6:7], s[4:5]
	s_cbranch_execz .LBB394_219
.LBB394_282:
	v_sub_u32_e32 v1, v24, v8
	v_lshlrev_b32_e32 v1, 1, v1
	ds_write_b16_d16_hi v1, v15
	s_or_b64 exec, exec, s[6:7]
	s_and_saveexec_b64 s[4:5], s[2:3]
	s_cbranch_execnz .LBB394_220
	s_branch .LBB394_221
.LBB394_283:
	v_sub_u32_e32 v10, v48, v3
	v_mov_b32_e32 v11, 0
	v_lshlrev_b64 v[10:11], 1, v[10:11]
	v_add_co_u32_e32 v10, vcc, v15, v10
	v_addc_co_u32_e32 v11, vcc, v16, v11, vcc
	global_store_short v[10:11], v49, off
	s_or_b64 exec, exec, s[38:39]
	s_and_saveexec_b64 s[38:39], s[26:27]
	s_cbranch_execz .LBB394_225
.LBB394_284:
	v_sub_u32_e32 v10, v46, v3
	v_mov_b32_e32 v11, 0
	v_lshlrev_b64 v[10:11], 1, v[10:11]
	v_add_co_u32_e32 v10, vcc, v15, v10
	v_addc_co_u32_e32 v11, vcc, v16, v11, vcc
	global_store_short v[10:11], v47, off
	s_or_b64 exec, exec, s[38:39]
	s_and_saveexec_b64 s[38:39], s[24:25]
	s_cbranch_execz .LBB394_226
.LBB394_285:
	v_sub_u32_e32 v10, v44, v3
	v_mov_b32_e32 v11, 0
	v_lshlrev_b64 v[10:11], 1, v[10:11]
	v_add_co_u32_e32 v10, vcc, v15, v10
	v_addc_co_u32_e32 v11, vcc, v16, v11, vcc
	global_store_short v[10:11], v45, off
	s_or_b64 exec, exec, s[38:39]
	s_and_saveexec_b64 s[38:39], s[22:23]
	s_cbranch_execz .LBB394_227
.LBB394_286:
	v_sub_u32_e32 v10, v42, v3
	v_mov_b32_e32 v11, 0
	v_lshlrev_b64 v[10:11], 1, v[10:11]
	v_add_co_u32_e32 v10, vcc, v15, v10
	v_addc_co_u32_e32 v11, vcc, v16, v11, vcc
	global_store_short v[10:11], v43, off
	s_or_b64 exec, exec, s[38:39]
	s_and_saveexec_b64 s[38:39], s[20:21]
	s_cbranch_execz .LBB394_228
.LBB394_287:
	v_sub_u32_e32 v10, v40, v3
	v_mov_b32_e32 v11, 0
	v_lshlrev_b64 v[10:11], 1, v[10:11]
	v_add_co_u32_e32 v10, vcc, v15, v10
	v_addc_co_u32_e32 v11, vcc, v16, v11, vcc
	global_store_short v[10:11], v41, off
	s_or_b64 exec, exec, s[38:39]
	s_and_saveexec_b64 s[38:39], s[18:19]
	s_cbranch_execz .LBB394_229
.LBB394_288:
	v_sub_u32_e32 v10, v38, v3
	v_mov_b32_e32 v11, 0
	v_lshlrev_b64 v[10:11], 1, v[10:11]
	v_add_co_u32_e32 v10, vcc, v15, v10
	v_addc_co_u32_e32 v11, vcc, v16, v11, vcc
	global_store_short v[10:11], v39, off
	s_or_b64 exec, exec, s[38:39]
	s_and_saveexec_b64 s[38:39], s[16:17]
	s_cbranch_execz .LBB394_230
.LBB394_289:
	v_sub_u32_e32 v10, v36, v3
	v_mov_b32_e32 v11, 0
	v_lshlrev_b64 v[10:11], 1, v[10:11]
	v_add_co_u32_e32 v10, vcc, v15, v10
	v_addc_co_u32_e32 v11, vcc, v16, v11, vcc
	global_store_short v[10:11], v37, off
	s_or_b64 exec, exec, s[38:39]
	s_and_saveexec_b64 s[38:39], s[14:15]
	s_cbranch_execz .LBB394_231
.LBB394_290:
	v_sub_u32_e32 v10, v34, v3
	v_mov_b32_e32 v11, 0
	v_lshlrev_b64 v[10:11], 1, v[10:11]
	v_add_co_u32_e32 v10, vcc, v15, v10
	v_addc_co_u32_e32 v11, vcc, v16, v11, vcc
	global_store_short v[10:11], v35, off
	s_or_b64 exec, exec, s[38:39]
	s_and_saveexec_b64 s[38:39], s[12:13]
	s_cbranch_execz .LBB394_232
.LBB394_291:
	v_sub_u32_e32 v10, v32, v3
	v_mov_b32_e32 v11, 0
	v_lshlrev_b64 v[10:11], 1, v[10:11]
	v_add_co_u32_e32 v10, vcc, v15, v10
	v_addc_co_u32_e32 v11, vcc, v16, v11, vcc
	global_store_short v[10:11], v33, off
	s_or_b64 exec, exec, s[38:39]
	s_and_saveexec_b64 s[38:39], s[10:11]
	s_cbranch_execz .LBB394_233
.LBB394_292:
	v_sub_u32_e32 v10, v30, v3
	v_mov_b32_e32 v11, 0
	v_lshlrev_b64 v[10:11], 1, v[10:11]
	v_add_co_u32_e32 v10, vcc, v15, v10
	v_addc_co_u32_e32 v11, vcc, v16, v11, vcc
	global_store_short v[10:11], v31, off
	s_or_b64 exec, exec, s[38:39]
	s_and_saveexec_b64 s[38:39], s[8:9]
	s_cbranch_execz .LBB394_234
.LBB394_293:
	v_sub_u32_e32 v10, v28, v3
	v_mov_b32_e32 v11, 0
	v_lshlrev_b64 v[10:11], 1, v[10:11]
	v_add_co_u32_e32 v10, vcc, v15, v10
	v_addc_co_u32_e32 v11, vcc, v16, v11, vcc
	global_store_short v[10:11], v29, off
	s_or_b64 exec, exec, s[38:39]
	s_and_saveexec_b64 s[38:39], s[6:7]
	s_cbranch_execz .LBB394_235
.LBB394_294:
	v_sub_u32_e32 v10, v26, v3
	v_mov_b32_e32 v11, 0
	v_lshlrev_b64 v[10:11], 1, v[10:11]
	v_add_co_u32_e32 v10, vcc, v15, v10
	v_addc_co_u32_e32 v11, vcc, v16, v11, vcc
	global_store_short v[10:11], v27, off
	s_or_b64 exec, exec, s[38:39]
	s_and_saveexec_b64 s[38:39], s[4:5]
	s_cbranch_execz .LBB394_236
.LBB394_295:
	v_sub_u32_e32 v10, v24, v3
	v_mov_b32_e32 v11, 0
	v_lshlrev_b64 v[10:11], 1, v[10:11]
	v_add_co_u32_e32 v10, vcc, v15, v10
	v_addc_co_u32_e32 v11, vcc, v16, v11, vcc
	global_store_short v[10:11], v25, off
	s_or_b64 exec, exec, s[38:39]
	s_and_saveexec_b64 s[38:39], s[2:3]
	s_cbranch_execnz .LBB394_237
	s_branch .LBB394_238
.LBB394_296:
	v_sub_u32_e32 v4, v48, v3
	v_lshlrev_b32_e32 v4, 1, v4
	ds_write_b16 v4, v49
	s_or_b64 exec, exec, s[38:39]
	s_and_saveexec_b64 s[28:29], s[26:27]
	s_cbranch_execz .LBB394_242
.LBB394_297:
	v_sub_u32_e32 v4, v46, v3
	v_lshlrev_b32_e32 v4, 1, v4
	ds_write_b16 v4, v47
	s_or_b64 exec, exec, s[28:29]
	s_and_saveexec_b64 s[26:27], s[24:25]
	s_cbranch_execz .LBB394_243
.LBB394_298:
	v_sub_u32_e32 v4, v44, v3
	v_lshlrev_b32_e32 v4, 1, v4
	ds_write_b16 v4, v45
	s_or_b64 exec, exec, s[26:27]
	s_and_saveexec_b64 s[24:25], s[22:23]
	s_cbranch_execz .LBB394_244
.LBB394_299:
	v_sub_u32_e32 v4, v42, v3
	v_lshlrev_b32_e32 v4, 1, v4
	ds_write_b16 v4, v43
	s_or_b64 exec, exec, s[24:25]
	s_and_saveexec_b64 s[22:23], s[20:21]
	s_cbranch_execz .LBB394_245
.LBB394_300:
	v_sub_u32_e32 v4, v40, v3
	v_lshlrev_b32_e32 v4, 1, v4
	ds_write_b16 v4, v41
	s_or_b64 exec, exec, s[22:23]
	s_and_saveexec_b64 s[20:21], s[18:19]
	s_cbranch_execz .LBB394_246
.LBB394_301:
	v_sub_u32_e32 v4, v38, v3
	v_lshlrev_b32_e32 v4, 1, v4
	ds_write_b16 v4, v39
	s_or_b64 exec, exec, s[20:21]
	s_and_saveexec_b64 s[18:19], s[16:17]
	s_cbranch_execz .LBB394_247
.LBB394_302:
	v_sub_u32_e32 v4, v36, v3
	v_lshlrev_b32_e32 v4, 1, v4
	ds_write_b16 v4, v37
	s_or_b64 exec, exec, s[18:19]
	s_and_saveexec_b64 s[16:17], s[14:15]
	s_cbranch_execz .LBB394_248
.LBB394_303:
	v_sub_u32_e32 v4, v34, v3
	v_lshlrev_b32_e32 v4, 1, v4
	ds_write_b16 v4, v35
	s_or_b64 exec, exec, s[16:17]
	s_and_saveexec_b64 s[14:15], s[12:13]
	s_cbranch_execz .LBB394_249
.LBB394_304:
	v_sub_u32_e32 v4, v32, v3
	v_lshlrev_b32_e32 v4, 1, v4
	ds_write_b16 v4, v33
	s_or_b64 exec, exec, s[14:15]
	s_and_saveexec_b64 s[12:13], s[10:11]
	s_cbranch_execz .LBB394_250
.LBB394_305:
	v_sub_u32_e32 v4, v30, v3
	v_lshlrev_b32_e32 v4, 1, v4
	ds_write_b16 v4, v31
	s_or_b64 exec, exec, s[12:13]
	s_and_saveexec_b64 s[10:11], s[8:9]
	s_cbranch_execz .LBB394_251
.LBB394_306:
	v_sub_u32_e32 v4, v28, v3
	v_lshlrev_b32_e32 v4, 1, v4
	ds_write_b16 v4, v29
	s_or_b64 exec, exec, s[10:11]
	s_and_saveexec_b64 s[8:9], s[6:7]
	s_cbranch_execz .LBB394_252
.LBB394_307:
	v_sub_u32_e32 v4, v26, v3
	v_lshlrev_b32_e32 v4, 1, v4
	ds_write_b16 v4, v27
	s_or_b64 exec, exec, s[8:9]
	s_and_saveexec_b64 s[6:7], s[4:5]
	s_cbranch_execz .LBB394_253
.LBB394_308:
	v_sub_u32_e32 v4, v24, v3
	v_lshlrev_b32_e32 v4, 1, v4
	ds_write_b16 v4, v25
	s_or_b64 exec, exec, s[6:7]
	s_and_saveexec_b64 s[4:5], s[2:3]
	s_cbranch_execnz .LBB394_254
	s_branch .LBB394_255
	.section	.rodata,"a",@progbits
	.p2align	6, 0x0
	.amdhsa_kernel _ZN7rocprim17ROCPRIM_400000_NS6detail17trampoline_kernelINS0_14default_configENS1_29reduce_by_key_config_selectorIttN6thrust23THRUST_200600_302600_NS4plusItEEEEZZNS1_33reduce_by_key_impl_wrapped_configILNS1_25lookback_scan_determinismE0ES3_S9_NS6_6detail15normal_iteratorINS6_10device_ptrItEEEESG_SG_SG_PmS8_NS6_8equal_toItEEEE10hipError_tPvRmT2_T3_mT4_T5_T6_T7_T8_P12ihipStream_tbENKUlT_T0_E_clISt17integral_constantIbLb0EES11_EEDaSW_SX_EUlSW_E_NS1_11comp_targetILNS1_3genE4ELNS1_11target_archE910ELNS1_3gpuE8ELNS1_3repE0EEENS1_30default_config_static_selectorELNS0_4arch9wavefront6targetE1EEEvT1_
		.amdhsa_group_segment_fixed_size 7680
		.amdhsa_private_segment_fixed_size 0
		.amdhsa_kernarg_size 120
		.amdhsa_user_sgpr_count 6
		.amdhsa_user_sgpr_private_segment_buffer 1
		.amdhsa_user_sgpr_dispatch_ptr 0
		.amdhsa_user_sgpr_queue_ptr 0
		.amdhsa_user_sgpr_kernarg_segment_ptr 1
		.amdhsa_user_sgpr_dispatch_id 0
		.amdhsa_user_sgpr_flat_scratch_init 0
		.amdhsa_user_sgpr_kernarg_preload_length 0
		.amdhsa_user_sgpr_kernarg_preload_offset 0
		.amdhsa_user_sgpr_private_segment_size 0
		.amdhsa_uses_dynamic_stack 0
		.amdhsa_system_sgpr_private_segment_wavefront_offset 0
		.amdhsa_system_sgpr_workgroup_id_x 1
		.amdhsa_system_sgpr_workgroup_id_y 0
		.amdhsa_system_sgpr_workgroup_id_z 0
		.amdhsa_system_sgpr_workgroup_info 0
		.amdhsa_system_vgpr_workitem_id 0
		.amdhsa_next_free_vgpr 111
		.amdhsa_next_free_sgpr 63
		.amdhsa_accum_offset 112
		.amdhsa_reserve_vcc 1
		.amdhsa_reserve_flat_scratch 0
		.amdhsa_float_round_mode_32 0
		.amdhsa_float_round_mode_16_64 0
		.amdhsa_float_denorm_mode_32 3
		.amdhsa_float_denorm_mode_16_64 3
		.amdhsa_dx10_clamp 1
		.amdhsa_ieee_mode 1
		.amdhsa_fp16_overflow 0
		.amdhsa_tg_split 0
		.amdhsa_exception_fp_ieee_invalid_op 0
		.amdhsa_exception_fp_denorm_src 0
		.amdhsa_exception_fp_ieee_div_zero 0
		.amdhsa_exception_fp_ieee_overflow 0
		.amdhsa_exception_fp_ieee_underflow 0
		.amdhsa_exception_fp_ieee_inexact 0
		.amdhsa_exception_int_div_zero 0
	.end_amdhsa_kernel
	.section	.text._ZN7rocprim17ROCPRIM_400000_NS6detail17trampoline_kernelINS0_14default_configENS1_29reduce_by_key_config_selectorIttN6thrust23THRUST_200600_302600_NS4plusItEEEEZZNS1_33reduce_by_key_impl_wrapped_configILNS1_25lookback_scan_determinismE0ES3_S9_NS6_6detail15normal_iteratorINS6_10device_ptrItEEEESG_SG_SG_PmS8_NS6_8equal_toItEEEE10hipError_tPvRmT2_T3_mT4_T5_T6_T7_T8_P12ihipStream_tbENKUlT_T0_E_clISt17integral_constantIbLb0EES11_EEDaSW_SX_EUlSW_E_NS1_11comp_targetILNS1_3genE4ELNS1_11target_archE910ELNS1_3gpuE8ELNS1_3repE0EEENS1_30default_config_static_selectorELNS0_4arch9wavefront6targetE1EEEvT1_,"axG",@progbits,_ZN7rocprim17ROCPRIM_400000_NS6detail17trampoline_kernelINS0_14default_configENS1_29reduce_by_key_config_selectorIttN6thrust23THRUST_200600_302600_NS4plusItEEEEZZNS1_33reduce_by_key_impl_wrapped_configILNS1_25lookback_scan_determinismE0ES3_S9_NS6_6detail15normal_iteratorINS6_10device_ptrItEEEESG_SG_SG_PmS8_NS6_8equal_toItEEEE10hipError_tPvRmT2_T3_mT4_T5_T6_T7_T8_P12ihipStream_tbENKUlT_T0_E_clISt17integral_constantIbLb0EES11_EEDaSW_SX_EUlSW_E_NS1_11comp_targetILNS1_3genE4ELNS1_11target_archE910ELNS1_3gpuE8ELNS1_3repE0EEENS1_30default_config_static_selectorELNS0_4arch9wavefront6targetE1EEEvT1_,comdat
.Lfunc_end394:
	.size	_ZN7rocprim17ROCPRIM_400000_NS6detail17trampoline_kernelINS0_14default_configENS1_29reduce_by_key_config_selectorIttN6thrust23THRUST_200600_302600_NS4plusItEEEEZZNS1_33reduce_by_key_impl_wrapped_configILNS1_25lookback_scan_determinismE0ES3_S9_NS6_6detail15normal_iteratorINS6_10device_ptrItEEEESG_SG_SG_PmS8_NS6_8equal_toItEEEE10hipError_tPvRmT2_T3_mT4_T5_T6_T7_T8_P12ihipStream_tbENKUlT_T0_E_clISt17integral_constantIbLb0EES11_EEDaSW_SX_EUlSW_E_NS1_11comp_targetILNS1_3genE4ELNS1_11target_archE910ELNS1_3gpuE8ELNS1_3repE0EEENS1_30default_config_static_selectorELNS0_4arch9wavefront6targetE1EEEvT1_, .Lfunc_end394-_ZN7rocprim17ROCPRIM_400000_NS6detail17trampoline_kernelINS0_14default_configENS1_29reduce_by_key_config_selectorIttN6thrust23THRUST_200600_302600_NS4plusItEEEEZZNS1_33reduce_by_key_impl_wrapped_configILNS1_25lookback_scan_determinismE0ES3_S9_NS6_6detail15normal_iteratorINS6_10device_ptrItEEEESG_SG_SG_PmS8_NS6_8equal_toItEEEE10hipError_tPvRmT2_T3_mT4_T5_T6_T7_T8_P12ihipStream_tbENKUlT_T0_E_clISt17integral_constantIbLb0EES11_EEDaSW_SX_EUlSW_E_NS1_11comp_targetILNS1_3genE4ELNS1_11target_archE910ELNS1_3gpuE8ELNS1_3repE0EEENS1_30default_config_static_selectorELNS0_4arch9wavefront6targetE1EEEvT1_
                                        ; -- End function
	.section	.AMDGPU.csdata,"",@progbits
; Kernel info:
; codeLenInByte = 17948
; NumSgprs: 67
; NumVgprs: 111
; NumAgprs: 0
; TotalNumVgprs: 111
; ScratchSize: 0
; MemoryBound: 0
; FloatMode: 240
; IeeeMode: 1
; LDSByteSize: 7680 bytes/workgroup (compile time only)
; SGPRBlocks: 8
; VGPRBlocks: 13
; NumSGPRsForWavesPerEU: 67
; NumVGPRsForWavesPerEU: 111
; AccumOffset: 112
; Occupancy: 4
; WaveLimiterHint : 1
; COMPUTE_PGM_RSRC2:SCRATCH_EN: 0
; COMPUTE_PGM_RSRC2:USER_SGPR: 6
; COMPUTE_PGM_RSRC2:TRAP_HANDLER: 0
; COMPUTE_PGM_RSRC2:TGID_X_EN: 1
; COMPUTE_PGM_RSRC2:TGID_Y_EN: 0
; COMPUTE_PGM_RSRC2:TGID_Z_EN: 0
; COMPUTE_PGM_RSRC2:TIDIG_COMP_CNT: 0
; COMPUTE_PGM_RSRC3_GFX90A:ACCUM_OFFSET: 27
; COMPUTE_PGM_RSRC3_GFX90A:TG_SPLIT: 0
	.section	.text._ZN7rocprim17ROCPRIM_400000_NS6detail17trampoline_kernelINS0_14default_configENS1_29reduce_by_key_config_selectorIttN6thrust23THRUST_200600_302600_NS4plusItEEEEZZNS1_33reduce_by_key_impl_wrapped_configILNS1_25lookback_scan_determinismE0ES3_S9_NS6_6detail15normal_iteratorINS6_10device_ptrItEEEESG_SG_SG_PmS8_NS6_8equal_toItEEEE10hipError_tPvRmT2_T3_mT4_T5_T6_T7_T8_P12ihipStream_tbENKUlT_T0_E_clISt17integral_constantIbLb0EES11_EEDaSW_SX_EUlSW_E_NS1_11comp_targetILNS1_3genE3ELNS1_11target_archE908ELNS1_3gpuE7ELNS1_3repE0EEENS1_30default_config_static_selectorELNS0_4arch9wavefront6targetE1EEEvT1_,"axG",@progbits,_ZN7rocprim17ROCPRIM_400000_NS6detail17trampoline_kernelINS0_14default_configENS1_29reduce_by_key_config_selectorIttN6thrust23THRUST_200600_302600_NS4plusItEEEEZZNS1_33reduce_by_key_impl_wrapped_configILNS1_25lookback_scan_determinismE0ES3_S9_NS6_6detail15normal_iteratorINS6_10device_ptrItEEEESG_SG_SG_PmS8_NS6_8equal_toItEEEE10hipError_tPvRmT2_T3_mT4_T5_T6_T7_T8_P12ihipStream_tbENKUlT_T0_E_clISt17integral_constantIbLb0EES11_EEDaSW_SX_EUlSW_E_NS1_11comp_targetILNS1_3genE3ELNS1_11target_archE908ELNS1_3gpuE7ELNS1_3repE0EEENS1_30default_config_static_selectorELNS0_4arch9wavefront6targetE1EEEvT1_,comdat
	.protected	_ZN7rocprim17ROCPRIM_400000_NS6detail17trampoline_kernelINS0_14default_configENS1_29reduce_by_key_config_selectorIttN6thrust23THRUST_200600_302600_NS4plusItEEEEZZNS1_33reduce_by_key_impl_wrapped_configILNS1_25lookback_scan_determinismE0ES3_S9_NS6_6detail15normal_iteratorINS6_10device_ptrItEEEESG_SG_SG_PmS8_NS6_8equal_toItEEEE10hipError_tPvRmT2_T3_mT4_T5_T6_T7_T8_P12ihipStream_tbENKUlT_T0_E_clISt17integral_constantIbLb0EES11_EEDaSW_SX_EUlSW_E_NS1_11comp_targetILNS1_3genE3ELNS1_11target_archE908ELNS1_3gpuE7ELNS1_3repE0EEENS1_30default_config_static_selectorELNS0_4arch9wavefront6targetE1EEEvT1_ ; -- Begin function _ZN7rocprim17ROCPRIM_400000_NS6detail17trampoline_kernelINS0_14default_configENS1_29reduce_by_key_config_selectorIttN6thrust23THRUST_200600_302600_NS4plusItEEEEZZNS1_33reduce_by_key_impl_wrapped_configILNS1_25lookback_scan_determinismE0ES3_S9_NS6_6detail15normal_iteratorINS6_10device_ptrItEEEESG_SG_SG_PmS8_NS6_8equal_toItEEEE10hipError_tPvRmT2_T3_mT4_T5_T6_T7_T8_P12ihipStream_tbENKUlT_T0_E_clISt17integral_constantIbLb0EES11_EEDaSW_SX_EUlSW_E_NS1_11comp_targetILNS1_3genE3ELNS1_11target_archE908ELNS1_3gpuE7ELNS1_3repE0EEENS1_30default_config_static_selectorELNS0_4arch9wavefront6targetE1EEEvT1_
	.globl	_ZN7rocprim17ROCPRIM_400000_NS6detail17trampoline_kernelINS0_14default_configENS1_29reduce_by_key_config_selectorIttN6thrust23THRUST_200600_302600_NS4plusItEEEEZZNS1_33reduce_by_key_impl_wrapped_configILNS1_25lookback_scan_determinismE0ES3_S9_NS6_6detail15normal_iteratorINS6_10device_ptrItEEEESG_SG_SG_PmS8_NS6_8equal_toItEEEE10hipError_tPvRmT2_T3_mT4_T5_T6_T7_T8_P12ihipStream_tbENKUlT_T0_E_clISt17integral_constantIbLb0EES11_EEDaSW_SX_EUlSW_E_NS1_11comp_targetILNS1_3genE3ELNS1_11target_archE908ELNS1_3gpuE7ELNS1_3repE0EEENS1_30default_config_static_selectorELNS0_4arch9wavefront6targetE1EEEvT1_
	.p2align	8
	.type	_ZN7rocprim17ROCPRIM_400000_NS6detail17trampoline_kernelINS0_14default_configENS1_29reduce_by_key_config_selectorIttN6thrust23THRUST_200600_302600_NS4plusItEEEEZZNS1_33reduce_by_key_impl_wrapped_configILNS1_25lookback_scan_determinismE0ES3_S9_NS6_6detail15normal_iteratorINS6_10device_ptrItEEEESG_SG_SG_PmS8_NS6_8equal_toItEEEE10hipError_tPvRmT2_T3_mT4_T5_T6_T7_T8_P12ihipStream_tbENKUlT_T0_E_clISt17integral_constantIbLb0EES11_EEDaSW_SX_EUlSW_E_NS1_11comp_targetILNS1_3genE3ELNS1_11target_archE908ELNS1_3gpuE7ELNS1_3repE0EEENS1_30default_config_static_selectorELNS0_4arch9wavefront6targetE1EEEvT1_,@function
_ZN7rocprim17ROCPRIM_400000_NS6detail17trampoline_kernelINS0_14default_configENS1_29reduce_by_key_config_selectorIttN6thrust23THRUST_200600_302600_NS4plusItEEEEZZNS1_33reduce_by_key_impl_wrapped_configILNS1_25lookback_scan_determinismE0ES3_S9_NS6_6detail15normal_iteratorINS6_10device_ptrItEEEESG_SG_SG_PmS8_NS6_8equal_toItEEEE10hipError_tPvRmT2_T3_mT4_T5_T6_T7_T8_P12ihipStream_tbENKUlT_T0_E_clISt17integral_constantIbLb0EES11_EEDaSW_SX_EUlSW_E_NS1_11comp_targetILNS1_3genE3ELNS1_11target_archE908ELNS1_3gpuE7ELNS1_3repE0EEENS1_30default_config_static_selectorELNS0_4arch9wavefront6targetE1EEEvT1_: ; @_ZN7rocprim17ROCPRIM_400000_NS6detail17trampoline_kernelINS0_14default_configENS1_29reduce_by_key_config_selectorIttN6thrust23THRUST_200600_302600_NS4plusItEEEEZZNS1_33reduce_by_key_impl_wrapped_configILNS1_25lookback_scan_determinismE0ES3_S9_NS6_6detail15normal_iteratorINS6_10device_ptrItEEEESG_SG_SG_PmS8_NS6_8equal_toItEEEE10hipError_tPvRmT2_T3_mT4_T5_T6_T7_T8_P12ihipStream_tbENKUlT_T0_E_clISt17integral_constantIbLb0EES11_EEDaSW_SX_EUlSW_E_NS1_11comp_targetILNS1_3genE3ELNS1_11target_archE908ELNS1_3gpuE7ELNS1_3repE0EEENS1_30default_config_static_selectorELNS0_4arch9wavefront6targetE1EEEvT1_
; %bb.0:
	.section	.rodata,"a",@progbits
	.p2align	6, 0x0
	.amdhsa_kernel _ZN7rocprim17ROCPRIM_400000_NS6detail17trampoline_kernelINS0_14default_configENS1_29reduce_by_key_config_selectorIttN6thrust23THRUST_200600_302600_NS4plusItEEEEZZNS1_33reduce_by_key_impl_wrapped_configILNS1_25lookback_scan_determinismE0ES3_S9_NS6_6detail15normal_iteratorINS6_10device_ptrItEEEESG_SG_SG_PmS8_NS6_8equal_toItEEEE10hipError_tPvRmT2_T3_mT4_T5_T6_T7_T8_P12ihipStream_tbENKUlT_T0_E_clISt17integral_constantIbLb0EES11_EEDaSW_SX_EUlSW_E_NS1_11comp_targetILNS1_3genE3ELNS1_11target_archE908ELNS1_3gpuE7ELNS1_3repE0EEENS1_30default_config_static_selectorELNS0_4arch9wavefront6targetE1EEEvT1_
		.amdhsa_group_segment_fixed_size 0
		.amdhsa_private_segment_fixed_size 0
		.amdhsa_kernarg_size 120
		.amdhsa_user_sgpr_count 6
		.amdhsa_user_sgpr_private_segment_buffer 1
		.amdhsa_user_sgpr_dispatch_ptr 0
		.amdhsa_user_sgpr_queue_ptr 0
		.amdhsa_user_sgpr_kernarg_segment_ptr 1
		.amdhsa_user_sgpr_dispatch_id 0
		.amdhsa_user_sgpr_flat_scratch_init 0
		.amdhsa_user_sgpr_kernarg_preload_length 0
		.amdhsa_user_sgpr_kernarg_preload_offset 0
		.amdhsa_user_sgpr_private_segment_size 0
		.amdhsa_uses_dynamic_stack 0
		.amdhsa_system_sgpr_private_segment_wavefront_offset 0
		.amdhsa_system_sgpr_workgroup_id_x 1
		.amdhsa_system_sgpr_workgroup_id_y 0
		.amdhsa_system_sgpr_workgroup_id_z 0
		.amdhsa_system_sgpr_workgroup_info 0
		.amdhsa_system_vgpr_workitem_id 0
		.amdhsa_next_free_vgpr 1
		.amdhsa_next_free_sgpr 0
		.amdhsa_accum_offset 4
		.amdhsa_reserve_vcc 0
		.amdhsa_reserve_flat_scratch 0
		.amdhsa_float_round_mode_32 0
		.amdhsa_float_round_mode_16_64 0
		.amdhsa_float_denorm_mode_32 3
		.amdhsa_float_denorm_mode_16_64 3
		.amdhsa_dx10_clamp 1
		.amdhsa_ieee_mode 1
		.amdhsa_fp16_overflow 0
		.amdhsa_tg_split 0
		.amdhsa_exception_fp_ieee_invalid_op 0
		.amdhsa_exception_fp_denorm_src 0
		.amdhsa_exception_fp_ieee_div_zero 0
		.amdhsa_exception_fp_ieee_overflow 0
		.amdhsa_exception_fp_ieee_underflow 0
		.amdhsa_exception_fp_ieee_inexact 0
		.amdhsa_exception_int_div_zero 0
	.end_amdhsa_kernel
	.section	.text._ZN7rocprim17ROCPRIM_400000_NS6detail17trampoline_kernelINS0_14default_configENS1_29reduce_by_key_config_selectorIttN6thrust23THRUST_200600_302600_NS4plusItEEEEZZNS1_33reduce_by_key_impl_wrapped_configILNS1_25lookback_scan_determinismE0ES3_S9_NS6_6detail15normal_iteratorINS6_10device_ptrItEEEESG_SG_SG_PmS8_NS6_8equal_toItEEEE10hipError_tPvRmT2_T3_mT4_T5_T6_T7_T8_P12ihipStream_tbENKUlT_T0_E_clISt17integral_constantIbLb0EES11_EEDaSW_SX_EUlSW_E_NS1_11comp_targetILNS1_3genE3ELNS1_11target_archE908ELNS1_3gpuE7ELNS1_3repE0EEENS1_30default_config_static_selectorELNS0_4arch9wavefront6targetE1EEEvT1_,"axG",@progbits,_ZN7rocprim17ROCPRIM_400000_NS6detail17trampoline_kernelINS0_14default_configENS1_29reduce_by_key_config_selectorIttN6thrust23THRUST_200600_302600_NS4plusItEEEEZZNS1_33reduce_by_key_impl_wrapped_configILNS1_25lookback_scan_determinismE0ES3_S9_NS6_6detail15normal_iteratorINS6_10device_ptrItEEEESG_SG_SG_PmS8_NS6_8equal_toItEEEE10hipError_tPvRmT2_T3_mT4_T5_T6_T7_T8_P12ihipStream_tbENKUlT_T0_E_clISt17integral_constantIbLb0EES11_EEDaSW_SX_EUlSW_E_NS1_11comp_targetILNS1_3genE3ELNS1_11target_archE908ELNS1_3gpuE7ELNS1_3repE0EEENS1_30default_config_static_selectorELNS0_4arch9wavefront6targetE1EEEvT1_,comdat
.Lfunc_end395:
	.size	_ZN7rocprim17ROCPRIM_400000_NS6detail17trampoline_kernelINS0_14default_configENS1_29reduce_by_key_config_selectorIttN6thrust23THRUST_200600_302600_NS4plusItEEEEZZNS1_33reduce_by_key_impl_wrapped_configILNS1_25lookback_scan_determinismE0ES3_S9_NS6_6detail15normal_iteratorINS6_10device_ptrItEEEESG_SG_SG_PmS8_NS6_8equal_toItEEEE10hipError_tPvRmT2_T3_mT4_T5_T6_T7_T8_P12ihipStream_tbENKUlT_T0_E_clISt17integral_constantIbLb0EES11_EEDaSW_SX_EUlSW_E_NS1_11comp_targetILNS1_3genE3ELNS1_11target_archE908ELNS1_3gpuE7ELNS1_3repE0EEENS1_30default_config_static_selectorELNS0_4arch9wavefront6targetE1EEEvT1_, .Lfunc_end395-_ZN7rocprim17ROCPRIM_400000_NS6detail17trampoline_kernelINS0_14default_configENS1_29reduce_by_key_config_selectorIttN6thrust23THRUST_200600_302600_NS4plusItEEEEZZNS1_33reduce_by_key_impl_wrapped_configILNS1_25lookback_scan_determinismE0ES3_S9_NS6_6detail15normal_iteratorINS6_10device_ptrItEEEESG_SG_SG_PmS8_NS6_8equal_toItEEEE10hipError_tPvRmT2_T3_mT4_T5_T6_T7_T8_P12ihipStream_tbENKUlT_T0_E_clISt17integral_constantIbLb0EES11_EEDaSW_SX_EUlSW_E_NS1_11comp_targetILNS1_3genE3ELNS1_11target_archE908ELNS1_3gpuE7ELNS1_3repE0EEENS1_30default_config_static_selectorELNS0_4arch9wavefront6targetE1EEEvT1_
                                        ; -- End function
	.section	.AMDGPU.csdata,"",@progbits
; Kernel info:
; codeLenInByte = 0
; NumSgprs: 4
; NumVgprs: 0
; NumAgprs: 0
; TotalNumVgprs: 0
; ScratchSize: 0
; MemoryBound: 0
; FloatMode: 240
; IeeeMode: 1
; LDSByteSize: 0 bytes/workgroup (compile time only)
; SGPRBlocks: 0
; VGPRBlocks: 0
; NumSGPRsForWavesPerEU: 4
; NumVGPRsForWavesPerEU: 1
; AccumOffset: 4
; Occupancy: 8
; WaveLimiterHint : 0
; COMPUTE_PGM_RSRC2:SCRATCH_EN: 0
; COMPUTE_PGM_RSRC2:USER_SGPR: 6
; COMPUTE_PGM_RSRC2:TRAP_HANDLER: 0
; COMPUTE_PGM_RSRC2:TGID_X_EN: 1
; COMPUTE_PGM_RSRC2:TGID_Y_EN: 0
; COMPUTE_PGM_RSRC2:TGID_Z_EN: 0
; COMPUTE_PGM_RSRC2:TIDIG_COMP_CNT: 0
; COMPUTE_PGM_RSRC3_GFX90A:ACCUM_OFFSET: 0
; COMPUTE_PGM_RSRC3_GFX90A:TG_SPLIT: 0
	.section	.text._ZN7rocprim17ROCPRIM_400000_NS6detail17trampoline_kernelINS0_14default_configENS1_29reduce_by_key_config_selectorIttN6thrust23THRUST_200600_302600_NS4plusItEEEEZZNS1_33reduce_by_key_impl_wrapped_configILNS1_25lookback_scan_determinismE0ES3_S9_NS6_6detail15normal_iteratorINS6_10device_ptrItEEEESG_SG_SG_PmS8_NS6_8equal_toItEEEE10hipError_tPvRmT2_T3_mT4_T5_T6_T7_T8_P12ihipStream_tbENKUlT_T0_E_clISt17integral_constantIbLb0EES11_EEDaSW_SX_EUlSW_E_NS1_11comp_targetILNS1_3genE2ELNS1_11target_archE906ELNS1_3gpuE6ELNS1_3repE0EEENS1_30default_config_static_selectorELNS0_4arch9wavefront6targetE1EEEvT1_,"axG",@progbits,_ZN7rocprim17ROCPRIM_400000_NS6detail17trampoline_kernelINS0_14default_configENS1_29reduce_by_key_config_selectorIttN6thrust23THRUST_200600_302600_NS4plusItEEEEZZNS1_33reduce_by_key_impl_wrapped_configILNS1_25lookback_scan_determinismE0ES3_S9_NS6_6detail15normal_iteratorINS6_10device_ptrItEEEESG_SG_SG_PmS8_NS6_8equal_toItEEEE10hipError_tPvRmT2_T3_mT4_T5_T6_T7_T8_P12ihipStream_tbENKUlT_T0_E_clISt17integral_constantIbLb0EES11_EEDaSW_SX_EUlSW_E_NS1_11comp_targetILNS1_3genE2ELNS1_11target_archE906ELNS1_3gpuE6ELNS1_3repE0EEENS1_30default_config_static_selectorELNS0_4arch9wavefront6targetE1EEEvT1_,comdat
	.protected	_ZN7rocprim17ROCPRIM_400000_NS6detail17trampoline_kernelINS0_14default_configENS1_29reduce_by_key_config_selectorIttN6thrust23THRUST_200600_302600_NS4plusItEEEEZZNS1_33reduce_by_key_impl_wrapped_configILNS1_25lookback_scan_determinismE0ES3_S9_NS6_6detail15normal_iteratorINS6_10device_ptrItEEEESG_SG_SG_PmS8_NS6_8equal_toItEEEE10hipError_tPvRmT2_T3_mT4_T5_T6_T7_T8_P12ihipStream_tbENKUlT_T0_E_clISt17integral_constantIbLb0EES11_EEDaSW_SX_EUlSW_E_NS1_11comp_targetILNS1_3genE2ELNS1_11target_archE906ELNS1_3gpuE6ELNS1_3repE0EEENS1_30default_config_static_selectorELNS0_4arch9wavefront6targetE1EEEvT1_ ; -- Begin function _ZN7rocprim17ROCPRIM_400000_NS6detail17trampoline_kernelINS0_14default_configENS1_29reduce_by_key_config_selectorIttN6thrust23THRUST_200600_302600_NS4plusItEEEEZZNS1_33reduce_by_key_impl_wrapped_configILNS1_25lookback_scan_determinismE0ES3_S9_NS6_6detail15normal_iteratorINS6_10device_ptrItEEEESG_SG_SG_PmS8_NS6_8equal_toItEEEE10hipError_tPvRmT2_T3_mT4_T5_T6_T7_T8_P12ihipStream_tbENKUlT_T0_E_clISt17integral_constantIbLb0EES11_EEDaSW_SX_EUlSW_E_NS1_11comp_targetILNS1_3genE2ELNS1_11target_archE906ELNS1_3gpuE6ELNS1_3repE0EEENS1_30default_config_static_selectorELNS0_4arch9wavefront6targetE1EEEvT1_
	.globl	_ZN7rocprim17ROCPRIM_400000_NS6detail17trampoline_kernelINS0_14default_configENS1_29reduce_by_key_config_selectorIttN6thrust23THRUST_200600_302600_NS4plusItEEEEZZNS1_33reduce_by_key_impl_wrapped_configILNS1_25lookback_scan_determinismE0ES3_S9_NS6_6detail15normal_iteratorINS6_10device_ptrItEEEESG_SG_SG_PmS8_NS6_8equal_toItEEEE10hipError_tPvRmT2_T3_mT4_T5_T6_T7_T8_P12ihipStream_tbENKUlT_T0_E_clISt17integral_constantIbLb0EES11_EEDaSW_SX_EUlSW_E_NS1_11comp_targetILNS1_3genE2ELNS1_11target_archE906ELNS1_3gpuE6ELNS1_3repE0EEENS1_30default_config_static_selectorELNS0_4arch9wavefront6targetE1EEEvT1_
	.p2align	8
	.type	_ZN7rocprim17ROCPRIM_400000_NS6detail17trampoline_kernelINS0_14default_configENS1_29reduce_by_key_config_selectorIttN6thrust23THRUST_200600_302600_NS4plusItEEEEZZNS1_33reduce_by_key_impl_wrapped_configILNS1_25lookback_scan_determinismE0ES3_S9_NS6_6detail15normal_iteratorINS6_10device_ptrItEEEESG_SG_SG_PmS8_NS6_8equal_toItEEEE10hipError_tPvRmT2_T3_mT4_T5_T6_T7_T8_P12ihipStream_tbENKUlT_T0_E_clISt17integral_constantIbLb0EES11_EEDaSW_SX_EUlSW_E_NS1_11comp_targetILNS1_3genE2ELNS1_11target_archE906ELNS1_3gpuE6ELNS1_3repE0EEENS1_30default_config_static_selectorELNS0_4arch9wavefront6targetE1EEEvT1_,@function
_ZN7rocprim17ROCPRIM_400000_NS6detail17trampoline_kernelINS0_14default_configENS1_29reduce_by_key_config_selectorIttN6thrust23THRUST_200600_302600_NS4plusItEEEEZZNS1_33reduce_by_key_impl_wrapped_configILNS1_25lookback_scan_determinismE0ES3_S9_NS6_6detail15normal_iteratorINS6_10device_ptrItEEEESG_SG_SG_PmS8_NS6_8equal_toItEEEE10hipError_tPvRmT2_T3_mT4_T5_T6_T7_T8_P12ihipStream_tbENKUlT_T0_E_clISt17integral_constantIbLb0EES11_EEDaSW_SX_EUlSW_E_NS1_11comp_targetILNS1_3genE2ELNS1_11target_archE906ELNS1_3gpuE6ELNS1_3repE0EEENS1_30default_config_static_selectorELNS0_4arch9wavefront6targetE1EEEvT1_: ; @_ZN7rocprim17ROCPRIM_400000_NS6detail17trampoline_kernelINS0_14default_configENS1_29reduce_by_key_config_selectorIttN6thrust23THRUST_200600_302600_NS4plusItEEEEZZNS1_33reduce_by_key_impl_wrapped_configILNS1_25lookback_scan_determinismE0ES3_S9_NS6_6detail15normal_iteratorINS6_10device_ptrItEEEESG_SG_SG_PmS8_NS6_8equal_toItEEEE10hipError_tPvRmT2_T3_mT4_T5_T6_T7_T8_P12ihipStream_tbENKUlT_T0_E_clISt17integral_constantIbLb0EES11_EEDaSW_SX_EUlSW_E_NS1_11comp_targetILNS1_3genE2ELNS1_11target_archE906ELNS1_3gpuE6ELNS1_3repE0EEENS1_30default_config_static_selectorELNS0_4arch9wavefront6targetE1EEEvT1_
; %bb.0:
	.section	.rodata,"a",@progbits
	.p2align	6, 0x0
	.amdhsa_kernel _ZN7rocprim17ROCPRIM_400000_NS6detail17trampoline_kernelINS0_14default_configENS1_29reduce_by_key_config_selectorIttN6thrust23THRUST_200600_302600_NS4plusItEEEEZZNS1_33reduce_by_key_impl_wrapped_configILNS1_25lookback_scan_determinismE0ES3_S9_NS6_6detail15normal_iteratorINS6_10device_ptrItEEEESG_SG_SG_PmS8_NS6_8equal_toItEEEE10hipError_tPvRmT2_T3_mT4_T5_T6_T7_T8_P12ihipStream_tbENKUlT_T0_E_clISt17integral_constantIbLb0EES11_EEDaSW_SX_EUlSW_E_NS1_11comp_targetILNS1_3genE2ELNS1_11target_archE906ELNS1_3gpuE6ELNS1_3repE0EEENS1_30default_config_static_selectorELNS0_4arch9wavefront6targetE1EEEvT1_
		.amdhsa_group_segment_fixed_size 0
		.amdhsa_private_segment_fixed_size 0
		.amdhsa_kernarg_size 120
		.amdhsa_user_sgpr_count 6
		.amdhsa_user_sgpr_private_segment_buffer 1
		.amdhsa_user_sgpr_dispatch_ptr 0
		.amdhsa_user_sgpr_queue_ptr 0
		.amdhsa_user_sgpr_kernarg_segment_ptr 1
		.amdhsa_user_sgpr_dispatch_id 0
		.amdhsa_user_sgpr_flat_scratch_init 0
		.amdhsa_user_sgpr_kernarg_preload_length 0
		.amdhsa_user_sgpr_kernarg_preload_offset 0
		.amdhsa_user_sgpr_private_segment_size 0
		.amdhsa_uses_dynamic_stack 0
		.amdhsa_system_sgpr_private_segment_wavefront_offset 0
		.amdhsa_system_sgpr_workgroup_id_x 1
		.amdhsa_system_sgpr_workgroup_id_y 0
		.amdhsa_system_sgpr_workgroup_id_z 0
		.amdhsa_system_sgpr_workgroup_info 0
		.amdhsa_system_vgpr_workitem_id 0
		.amdhsa_next_free_vgpr 1
		.amdhsa_next_free_sgpr 0
		.amdhsa_accum_offset 4
		.amdhsa_reserve_vcc 0
		.amdhsa_reserve_flat_scratch 0
		.amdhsa_float_round_mode_32 0
		.amdhsa_float_round_mode_16_64 0
		.amdhsa_float_denorm_mode_32 3
		.amdhsa_float_denorm_mode_16_64 3
		.amdhsa_dx10_clamp 1
		.amdhsa_ieee_mode 1
		.amdhsa_fp16_overflow 0
		.amdhsa_tg_split 0
		.amdhsa_exception_fp_ieee_invalid_op 0
		.amdhsa_exception_fp_denorm_src 0
		.amdhsa_exception_fp_ieee_div_zero 0
		.amdhsa_exception_fp_ieee_overflow 0
		.amdhsa_exception_fp_ieee_underflow 0
		.amdhsa_exception_fp_ieee_inexact 0
		.amdhsa_exception_int_div_zero 0
	.end_amdhsa_kernel
	.section	.text._ZN7rocprim17ROCPRIM_400000_NS6detail17trampoline_kernelINS0_14default_configENS1_29reduce_by_key_config_selectorIttN6thrust23THRUST_200600_302600_NS4plusItEEEEZZNS1_33reduce_by_key_impl_wrapped_configILNS1_25lookback_scan_determinismE0ES3_S9_NS6_6detail15normal_iteratorINS6_10device_ptrItEEEESG_SG_SG_PmS8_NS6_8equal_toItEEEE10hipError_tPvRmT2_T3_mT4_T5_T6_T7_T8_P12ihipStream_tbENKUlT_T0_E_clISt17integral_constantIbLb0EES11_EEDaSW_SX_EUlSW_E_NS1_11comp_targetILNS1_3genE2ELNS1_11target_archE906ELNS1_3gpuE6ELNS1_3repE0EEENS1_30default_config_static_selectorELNS0_4arch9wavefront6targetE1EEEvT1_,"axG",@progbits,_ZN7rocprim17ROCPRIM_400000_NS6detail17trampoline_kernelINS0_14default_configENS1_29reduce_by_key_config_selectorIttN6thrust23THRUST_200600_302600_NS4plusItEEEEZZNS1_33reduce_by_key_impl_wrapped_configILNS1_25lookback_scan_determinismE0ES3_S9_NS6_6detail15normal_iteratorINS6_10device_ptrItEEEESG_SG_SG_PmS8_NS6_8equal_toItEEEE10hipError_tPvRmT2_T3_mT4_T5_T6_T7_T8_P12ihipStream_tbENKUlT_T0_E_clISt17integral_constantIbLb0EES11_EEDaSW_SX_EUlSW_E_NS1_11comp_targetILNS1_3genE2ELNS1_11target_archE906ELNS1_3gpuE6ELNS1_3repE0EEENS1_30default_config_static_selectorELNS0_4arch9wavefront6targetE1EEEvT1_,comdat
.Lfunc_end396:
	.size	_ZN7rocprim17ROCPRIM_400000_NS6detail17trampoline_kernelINS0_14default_configENS1_29reduce_by_key_config_selectorIttN6thrust23THRUST_200600_302600_NS4plusItEEEEZZNS1_33reduce_by_key_impl_wrapped_configILNS1_25lookback_scan_determinismE0ES3_S9_NS6_6detail15normal_iteratorINS6_10device_ptrItEEEESG_SG_SG_PmS8_NS6_8equal_toItEEEE10hipError_tPvRmT2_T3_mT4_T5_T6_T7_T8_P12ihipStream_tbENKUlT_T0_E_clISt17integral_constantIbLb0EES11_EEDaSW_SX_EUlSW_E_NS1_11comp_targetILNS1_3genE2ELNS1_11target_archE906ELNS1_3gpuE6ELNS1_3repE0EEENS1_30default_config_static_selectorELNS0_4arch9wavefront6targetE1EEEvT1_, .Lfunc_end396-_ZN7rocprim17ROCPRIM_400000_NS6detail17trampoline_kernelINS0_14default_configENS1_29reduce_by_key_config_selectorIttN6thrust23THRUST_200600_302600_NS4plusItEEEEZZNS1_33reduce_by_key_impl_wrapped_configILNS1_25lookback_scan_determinismE0ES3_S9_NS6_6detail15normal_iteratorINS6_10device_ptrItEEEESG_SG_SG_PmS8_NS6_8equal_toItEEEE10hipError_tPvRmT2_T3_mT4_T5_T6_T7_T8_P12ihipStream_tbENKUlT_T0_E_clISt17integral_constantIbLb0EES11_EEDaSW_SX_EUlSW_E_NS1_11comp_targetILNS1_3genE2ELNS1_11target_archE906ELNS1_3gpuE6ELNS1_3repE0EEENS1_30default_config_static_selectorELNS0_4arch9wavefront6targetE1EEEvT1_
                                        ; -- End function
	.section	.AMDGPU.csdata,"",@progbits
; Kernel info:
; codeLenInByte = 0
; NumSgprs: 4
; NumVgprs: 0
; NumAgprs: 0
; TotalNumVgprs: 0
; ScratchSize: 0
; MemoryBound: 0
; FloatMode: 240
; IeeeMode: 1
; LDSByteSize: 0 bytes/workgroup (compile time only)
; SGPRBlocks: 0
; VGPRBlocks: 0
; NumSGPRsForWavesPerEU: 4
; NumVGPRsForWavesPerEU: 1
; AccumOffset: 4
; Occupancy: 8
; WaveLimiterHint : 0
; COMPUTE_PGM_RSRC2:SCRATCH_EN: 0
; COMPUTE_PGM_RSRC2:USER_SGPR: 6
; COMPUTE_PGM_RSRC2:TRAP_HANDLER: 0
; COMPUTE_PGM_RSRC2:TGID_X_EN: 1
; COMPUTE_PGM_RSRC2:TGID_Y_EN: 0
; COMPUTE_PGM_RSRC2:TGID_Z_EN: 0
; COMPUTE_PGM_RSRC2:TIDIG_COMP_CNT: 0
; COMPUTE_PGM_RSRC3_GFX90A:ACCUM_OFFSET: 0
; COMPUTE_PGM_RSRC3_GFX90A:TG_SPLIT: 0
	.section	.text._ZN7rocprim17ROCPRIM_400000_NS6detail17trampoline_kernelINS0_14default_configENS1_29reduce_by_key_config_selectorIttN6thrust23THRUST_200600_302600_NS4plusItEEEEZZNS1_33reduce_by_key_impl_wrapped_configILNS1_25lookback_scan_determinismE0ES3_S9_NS6_6detail15normal_iteratorINS6_10device_ptrItEEEESG_SG_SG_PmS8_NS6_8equal_toItEEEE10hipError_tPvRmT2_T3_mT4_T5_T6_T7_T8_P12ihipStream_tbENKUlT_T0_E_clISt17integral_constantIbLb0EES11_EEDaSW_SX_EUlSW_E_NS1_11comp_targetILNS1_3genE10ELNS1_11target_archE1201ELNS1_3gpuE5ELNS1_3repE0EEENS1_30default_config_static_selectorELNS0_4arch9wavefront6targetE1EEEvT1_,"axG",@progbits,_ZN7rocprim17ROCPRIM_400000_NS6detail17trampoline_kernelINS0_14default_configENS1_29reduce_by_key_config_selectorIttN6thrust23THRUST_200600_302600_NS4plusItEEEEZZNS1_33reduce_by_key_impl_wrapped_configILNS1_25lookback_scan_determinismE0ES3_S9_NS6_6detail15normal_iteratorINS6_10device_ptrItEEEESG_SG_SG_PmS8_NS6_8equal_toItEEEE10hipError_tPvRmT2_T3_mT4_T5_T6_T7_T8_P12ihipStream_tbENKUlT_T0_E_clISt17integral_constantIbLb0EES11_EEDaSW_SX_EUlSW_E_NS1_11comp_targetILNS1_3genE10ELNS1_11target_archE1201ELNS1_3gpuE5ELNS1_3repE0EEENS1_30default_config_static_selectorELNS0_4arch9wavefront6targetE1EEEvT1_,comdat
	.protected	_ZN7rocprim17ROCPRIM_400000_NS6detail17trampoline_kernelINS0_14default_configENS1_29reduce_by_key_config_selectorIttN6thrust23THRUST_200600_302600_NS4plusItEEEEZZNS1_33reduce_by_key_impl_wrapped_configILNS1_25lookback_scan_determinismE0ES3_S9_NS6_6detail15normal_iteratorINS6_10device_ptrItEEEESG_SG_SG_PmS8_NS6_8equal_toItEEEE10hipError_tPvRmT2_T3_mT4_T5_T6_T7_T8_P12ihipStream_tbENKUlT_T0_E_clISt17integral_constantIbLb0EES11_EEDaSW_SX_EUlSW_E_NS1_11comp_targetILNS1_3genE10ELNS1_11target_archE1201ELNS1_3gpuE5ELNS1_3repE0EEENS1_30default_config_static_selectorELNS0_4arch9wavefront6targetE1EEEvT1_ ; -- Begin function _ZN7rocprim17ROCPRIM_400000_NS6detail17trampoline_kernelINS0_14default_configENS1_29reduce_by_key_config_selectorIttN6thrust23THRUST_200600_302600_NS4plusItEEEEZZNS1_33reduce_by_key_impl_wrapped_configILNS1_25lookback_scan_determinismE0ES3_S9_NS6_6detail15normal_iteratorINS6_10device_ptrItEEEESG_SG_SG_PmS8_NS6_8equal_toItEEEE10hipError_tPvRmT2_T3_mT4_T5_T6_T7_T8_P12ihipStream_tbENKUlT_T0_E_clISt17integral_constantIbLb0EES11_EEDaSW_SX_EUlSW_E_NS1_11comp_targetILNS1_3genE10ELNS1_11target_archE1201ELNS1_3gpuE5ELNS1_3repE0EEENS1_30default_config_static_selectorELNS0_4arch9wavefront6targetE1EEEvT1_
	.globl	_ZN7rocprim17ROCPRIM_400000_NS6detail17trampoline_kernelINS0_14default_configENS1_29reduce_by_key_config_selectorIttN6thrust23THRUST_200600_302600_NS4plusItEEEEZZNS1_33reduce_by_key_impl_wrapped_configILNS1_25lookback_scan_determinismE0ES3_S9_NS6_6detail15normal_iteratorINS6_10device_ptrItEEEESG_SG_SG_PmS8_NS6_8equal_toItEEEE10hipError_tPvRmT2_T3_mT4_T5_T6_T7_T8_P12ihipStream_tbENKUlT_T0_E_clISt17integral_constantIbLb0EES11_EEDaSW_SX_EUlSW_E_NS1_11comp_targetILNS1_3genE10ELNS1_11target_archE1201ELNS1_3gpuE5ELNS1_3repE0EEENS1_30default_config_static_selectorELNS0_4arch9wavefront6targetE1EEEvT1_
	.p2align	8
	.type	_ZN7rocprim17ROCPRIM_400000_NS6detail17trampoline_kernelINS0_14default_configENS1_29reduce_by_key_config_selectorIttN6thrust23THRUST_200600_302600_NS4plusItEEEEZZNS1_33reduce_by_key_impl_wrapped_configILNS1_25lookback_scan_determinismE0ES3_S9_NS6_6detail15normal_iteratorINS6_10device_ptrItEEEESG_SG_SG_PmS8_NS6_8equal_toItEEEE10hipError_tPvRmT2_T3_mT4_T5_T6_T7_T8_P12ihipStream_tbENKUlT_T0_E_clISt17integral_constantIbLb0EES11_EEDaSW_SX_EUlSW_E_NS1_11comp_targetILNS1_3genE10ELNS1_11target_archE1201ELNS1_3gpuE5ELNS1_3repE0EEENS1_30default_config_static_selectorELNS0_4arch9wavefront6targetE1EEEvT1_,@function
_ZN7rocprim17ROCPRIM_400000_NS6detail17trampoline_kernelINS0_14default_configENS1_29reduce_by_key_config_selectorIttN6thrust23THRUST_200600_302600_NS4plusItEEEEZZNS1_33reduce_by_key_impl_wrapped_configILNS1_25lookback_scan_determinismE0ES3_S9_NS6_6detail15normal_iteratorINS6_10device_ptrItEEEESG_SG_SG_PmS8_NS6_8equal_toItEEEE10hipError_tPvRmT2_T3_mT4_T5_T6_T7_T8_P12ihipStream_tbENKUlT_T0_E_clISt17integral_constantIbLb0EES11_EEDaSW_SX_EUlSW_E_NS1_11comp_targetILNS1_3genE10ELNS1_11target_archE1201ELNS1_3gpuE5ELNS1_3repE0EEENS1_30default_config_static_selectorELNS0_4arch9wavefront6targetE1EEEvT1_: ; @_ZN7rocprim17ROCPRIM_400000_NS6detail17trampoline_kernelINS0_14default_configENS1_29reduce_by_key_config_selectorIttN6thrust23THRUST_200600_302600_NS4plusItEEEEZZNS1_33reduce_by_key_impl_wrapped_configILNS1_25lookback_scan_determinismE0ES3_S9_NS6_6detail15normal_iteratorINS6_10device_ptrItEEEESG_SG_SG_PmS8_NS6_8equal_toItEEEE10hipError_tPvRmT2_T3_mT4_T5_T6_T7_T8_P12ihipStream_tbENKUlT_T0_E_clISt17integral_constantIbLb0EES11_EEDaSW_SX_EUlSW_E_NS1_11comp_targetILNS1_3genE10ELNS1_11target_archE1201ELNS1_3gpuE5ELNS1_3repE0EEENS1_30default_config_static_selectorELNS0_4arch9wavefront6targetE1EEEvT1_
; %bb.0:
	.section	.rodata,"a",@progbits
	.p2align	6, 0x0
	.amdhsa_kernel _ZN7rocprim17ROCPRIM_400000_NS6detail17trampoline_kernelINS0_14default_configENS1_29reduce_by_key_config_selectorIttN6thrust23THRUST_200600_302600_NS4plusItEEEEZZNS1_33reduce_by_key_impl_wrapped_configILNS1_25lookback_scan_determinismE0ES3_S9_NS6_6detail15normal_iteratorINS6_10device_ptrItEEEESG_SG_SG_PmS8_NS6_8equal_toItEEEE10hipError_tPvRmT2_T3_mT4_T5_T6_T7_T8_P12ihipStream_tbENKUlT_T0_E_clISt17integral_constantIbLb0EES11_EEDaSW_SX_EUlSW_E_NS1_11comp_targetILNS1_3genE10ELNS1_11target_archE1201ELNS1_3gpuE5ELNS1_3repE0EEENS1_30default_config_static_selectorELNS0_4arch9wavefront6targetE1EEEvT1_
		.amdhsa_group_segment_fixed_size 0
		.amdhsa_private_segment_fixed_size 0
		.amdhsa_kernarg_size 120
		.amdhsa_user_sgpr_count 6
		.amdhsa_user_sgpr_private_segment_buffer 1
		.amdhsa_user_sgpr_dispatch_ptr 0
		.amdhsa_user_sgpr_queue_ptr 0
		.amdhsa_user_sgpr_kernarg_segment_ptr 1
		.amdhsa_user_sgpr_dispatch_id 0
		.amdhsa_user_sgpr_flat_scratch_init 0
		.amdhsa_user_sgpr_kernarg_preload_length 0
		.amdhsa_user_sgpr_kernarg_preload_offset 0
		.amdhsa_user_sgpr_private_segment_size 0
		.amdhsa_uses_dynamic_stack 0
		.amdhsa_system_sgpr_private_segment_wavefront_offset 0
		.amdhsa_system_sgpr_workgroup_id_x 1
		.amdhsa_system_sgpr_workgroup_id_y 0
		.amdhsa_system_sgpr_workgroup_id_z 0
		.amdhsa_system_sgpr_workgroup_info 0
		.amdhsa_system_vgpr_workitem_id 0
		.amdhsa_next_free_vgpr 1
		.amdhsa_next_free_sgpr 0
		.amdhsa_accum_offset 4
		.amdhsa_reserve_vcc 0
		.amdhsa_reserve_flat_scratch 0
		.amdhsa_float_round_mode_32 0
		.amdhsa_float_round_mode_16_64 0
		.amdhsa_float_denorm_mode_32 3
		.amdhsa_float_denorm_mode_16_64 3
		.amdhsa_dx10_clamp 1
		.amdhsa_ieee_mode 1
		.amdhsa_fp16_overflow 0
		.amdhsa_tg_split 0
		.amdhsa_exception_fp_ieee_invalid_op 0
		.amdhsa_exception_fp_denorm_src 0
		.amdhsa_exception_fp_ieee_div_zero 0
		.amdhsa_exception_fp_ieee_overflow 0
		.amdhsa_exception_fp_ieee_underflow 0
		.amdhsa_exception_fp_ieee_inexact 0
		.amdhsa_exception_int_div_zero 0
	.end_amdhsa_kernel
	.section	.text._ZN7rocprim17ROCPRIM_400000_NS6detail17trampoline_kernelINS0_14default_configENS1_29reduce_by_key_config_selectorIttN6thrust23THRUST_200600_302600_NS4plusItEEEEZZNS1_33reduce_by_key_impl_wrapped_configILNS1_25lookback_scan_determinismE0ES3_S9_NS6_6detail15normal_iteratorINS6_10device_ptrItEEEESG_SG_SG_PmS8_NS6_8equal_toItEEEE10hipError_tPvRmT2_T3_mT4_T5_T6_T7_T8_P12ihipStream_tbENKUlT_T0_E_clISt17integral_constantIbLb0EES11_EEDaSW_SX_EUlSW_E_NS1_11comp_targetILNS1_3genE10ELNS1_11target_archE1201ELNS1_3gpuE5ELNS1_3repE0EEENS1_30default_config_static_selectorELNS0_4arch9wavefront6targetE1EEEvT1_,"axG",@progbits,_ZN7rocprim17ROCPRIM_400000_NS6detail17trampoline_kernelINS0_14default_configENS1_29reduce_by_key_config_selectorIttN6thrust23THRUST_200600_302600_NS4plusItEEEEZZNS1_33reduce_by_key_impl_wrapped_configILNS1_25lookback_scan_determinismE0ES3_S9_NS6_6detail15normal_iteratorINS6_10device_ptrItEEEESG_SG_SG_PmS8_NS6_8equal_toItEEEE10hipError_tPvRmT2_T3_mT4_T5_T6_T7_T8_P12ihipStream_tbENKUlT_T0_E_clISt17integral_constantIbLb0EES11_EEDaSW_SX_EUlSW_E_NS1_11comp_targetILNS1_3genE10ELNS1_11target_archE1201ELNS1_3gpuE5ELNS1_3repE0EEENS1_30default_config_static_selectorELNS0_4arch9wavefront6targetE1EEEvT1_,comdat
.Lfunc_end397:
	.size	_ZN7rocprim17ROCPRIM_400000_NS6detail17trampoline_kernelINS0_14default_configENS1_29reduce_by_key_config_selectorIttN6thrust23THRUST_200600_302600_NS4plusItEEEEZZNS1_33reduce_by_key_impl_wrapped_configILNS1_25lookback_scan_determinismE0ES3_S9_NS6_6detail15normal_iteratorINS6_10device_ptrItEEEESG_SG_SG_PmS8_NS6_8equal_toItEEEE10hipError_tPvRmT2_T3_mT4_T5_T6_T7_T8_P12ihipStream_tbENKUlT_T0_E_clISt17integral_constantIbLb0EES11_EEDaSW_SX_EUlSW_E_NS1_11comp_targetILNS1_3genE10ELNS1_11target_archE1201ELNS1_3gpuE5ELNS1_3repE0EEENS1_30default_config_static_selectorELNS0_4arch9wavefront6targetE1EEEvT1_, .Lfunc_end397-_ZN7rocprim17ROCPRIM_400000_NS6detail17trampoline_kernelINS0_14default_configENS1_29reduce_by_key_config_selectorIttN6thrust23THRUST_200600_302600_NS4plusItEEEEZZNS1_33reduce_by_key_impl_wrapped_configILNS1_25lookback_scan_determinismE0ES3_S9_NS6_6detail15normal_iteratorINS6_10device_ptrItEEEESG_SG_SG_PmS8_NS6_8equal_toItEEEE10hipError_tPvRmT2_T3_mT4_T5_T6_T7_T8_P12ihipStream_tbENKUlT_T0_E_clISt17integral_constantIbLb0EES11_EEDaSW_SX_EUlSW_E_NS1_11comp_targetILNS1_3genE10ELNS1_11target_archE1201ELNS1_3gpuE5ELNS1_3repE0EEENS1_30default_config_static_selectorELNS0_4arch9wavefront6targetE1EEEvT1_
                                        ; -- End function
	.section	.AMDGPU.csdata,"",@progbits
; Kernel info:
; codeLenInByte = 0
; NumSgprs: 4
; NumVgprs: 0
; NumAgprs: 0
; TotalNumVgprs: 0
; ScratchSize: 0
; MemoryBound: 0
; FloatMode: 240
; IeeeMode: 1
; LDSByteSize: 0 bytes/workgroup (compile time only)
; SGPRBlocks: 0
; VGPRBlocks: 0
; NumSGPRsForWavesPerEU: 4
; NumVGPRsForWavesPerEU: 1
; AccumOffset: 4
; Occupancy: 8
; WaveLimiterHint : 0
; COMPUTE_PGM_RSRC2:SCRATCH_EN: 0
; COMPUTE_PGM_RSRC2:USER_SGPR: 6
; COMPUTE_PGM_RSRC2:TRAP_HANDLER: 0
; COMPUTE_PGM_RSRC2:TGID_X_EN: 1
; COMPUTE_PGM_RSRC2:TGID_Y_EN: 0
; COMPUTE_PGM_RSRC2:TGID_Z_EN: 0
; COMPUTE_PGM_RSRC2:TIDIG_COMP_CNT: 0
; COMPUTE_PGM_RSRC3_GFX90A:ACCUM_OFFSET: 0
; COMPUTE_PGM_RSRC3_GFX90A:TG_SPLIT: 0
	.section	.text._ZN7rocprim17ROCPRIM_400000_NS6detail17trampoline_kernelINS0_14default_configENS1_29reduce_by_key_config_selectorIttN6thrust23THRUST_200600_302600_NS4plusItEEEEZZNS1_33reduce_by_key_impl_wrapped_configILNS1_25lookback_scan_determinismE0ES3_S9_NS6_6detail15normal_iteratorINS6_10device_ptrItEEEESG_SG_SG_PmS8_NS6_8equal_toItEEEE10hipError_tPvRmT2_T3_mT4_T5_T6_T7_T8_P12ihipStream_tbENKUlT_T0_E_clISt17integral_constantIbLb0EES11_EEDaSW_SX_EUlSW_E_NS1_11comp_targetILNS1_3genE10ELNS1_11target_archE1200ELNS1_3gpuE4ELNS1_3repE0EEENS1_30default_config_static_selectorELNS0_4arch9wavefront6targetE1EEEvT1_,"axG",@progbits,_ZN7rocprim17ROCPRIM_400000_NS6detail17trampoline_kernelINS0_14default_configENS1_29reduce_by_key_config_selectorIttN6thrust23THRUST_200600_302600_NS4plusItEEEEZZNS1_33reduce_by_key_impl_wrapped_configILNS1_25lookback_scan_determinismE0ES3_S9_NS6_6detail15normal_iteratorINS6_10device_ptrItEEEESG_SG_SG_PmS8_NS6_8equal_toItEEEE10hipError_tPvRmT2_T3_mT4_T5_T6_T7_T8_P12ihipStream_tbENKUlT_T0_E_clISt17integral_constantIbLb0EES11_EEDaSW_SX_EUlSW_E_NS1_11comp_targetILNS1_3genE10ELNS1_11target_archE1200ELNS1_3gpuE4ELNS1_3repE0EEENS1_30default_config_static_selectorELNS0_4arch9wavefront6targetE1EEEvT1_,comdat
	.protected	_ZN7rocprim17ROCPRIM_400000_NS6detail17trampoline_kernelINS0_14default_configENS1_29reduce_by_key_config_selectorIttN6thrust23THRUST_200600_302600_NS4plusItEEEEZZNS1_33reduce_by_key_impl_wrapped_configILNS1_25lookback_scan_determinismE0ES3_S9_NS6_6detail15normal_iteratorINS6_10device_ptrItEEEESG_SG_SG_PmS8_NS6_8equal_toItEEEE10hipError_tPvRmT2_T3_mT4_T5_T6_T7_T8_P12ihipStream_tbENKUlT_T0_E_clISt17integral_constantIbLb0EES11_EEDaSW_SX_EUlSW_E_NS1_11comp_targetILNS1_3genE10ELNS1_11target_archE1200ELNS1_3gpuE4ELNS1_3repE0EEENS1_30default_config_static_selectorELNS0_4arch9wavefront6targetE1EEEvT1_ ; -- Begin function _ZN7rocprim17ROCPRIM_400000_NS6detail17trampoline_kernelINS0_14default_configENS1_29reduce_by_key_config_selectorIttN6thrust23THRUST_200600_302600_NS4plusItEEEEZZNS1_33reduce_by_key_impl_wrapped_configILNS1_25lookback_scan_determinismE0ES3_S9_NS6_6detail15normal_iteratorINS6_10device_ptrItEEEESG_SG_SG_PmS8_NS6_8equal_toItEEEE10hipError_tPvRmT2_T3_mT4_T5_T6_T7_T8_P12ihipStream_tbENKUlT_T0_E_clISt17integral_constantIbLb0EES11_EEDaSW_SX_EUlSW_E_NS1_11comp_targetILNS1_3genE10ELNS1_11target_archE1200ELNS1_3gpuE4ELNS1_3repE0EEENS1_30default_config_static_selectorELNS0_4arch9wavefront6targetE1EEEvT1_
	.globl	_ZN7rocprim17ROCPRIM_400000_NS6detail17trampoline_kernelINS0_14default_configENS1_29reduce_by_key_config_selectorIttN6thrust23THRUST_200600_302600_NS4plusItEEEEZZNS1_33reduce_by_key_impl_wrapped_configILNS1_25lookback_scan_determinismE0ES3_S9_NS6_6detail15normal_iteratorINS6_10device_ptrItEEEESG_SG_SG_PmS8_NS6_8equal_toItEEEE10hipError_tPvRmT2_T3_mT4_T5_T6_T7_T8_P12ihipStream_tbENKUlT_T0_E_clISt17integral_constantIbLb0EES11_EEDaSW_SX_EUlSW_E_NS1_11comp_targetILNS1_3genE10ELNS1_11target_archE1200ELNS1_3gpuE4ELNS1_3repE0EEENS1_30default_config_static_selectorELNS0_4arch9wavefront6targetE1EEEvT1_
	.p2align	8
	.type	_ZN7rocprim17ROCPRIM_400000_NS6detail17trampoline_kernelINS0_14default_configENS1_29reduce_by_key_config_selectorIttN6thrust23THRUST_200600_302600_NS4plusItEEEEZZNS1_33reduce_by_key_impl_wrapped_configILNS1_25lookback_scan_determinismE0ES3_S9_NS6_6detail15normal_iteratorINS6_10device_ptrItEEEESG_SG_SG_PmS8_NS6_8equal_toItEEEE10hipError_tPvRmT2_T3_mT4_T5_T6_T7_T8_P12ihipStream_tbENKUlT_T0_E_clISt17integral_constantIbLb0EES11_EEDaSW_SX_EUlSW_E_NS1_11comp_targetILNS1_3genE10ELNS1_11target_archE1200ELNS1_3gpuE4ELNS1_3repE0EEENS1_30default_config_static_selectorELNS0_4arch9wavefront6targetE1EEEvT1_,@function
_ZN7rocprim17ROCPRIM_400000_NS6detail17trampoline_kernelINS0_14default_configENS1_29reduce_by_key_config_selectorIttN6thrust23THRUST_200600_302600_NS4plusItEEEEZZNS1_33reduce_by_key_impl_wrapped_configILNS1_25lookback_scan_determinismE0ES3_S9_NS6_6detail15normal_iteratorINS6_10device_ptrItEEEESG_SG_SG_PmS8_NS6_8equal_toItEEEE10hipError_tPvRmT2_T3_mT4_T5_T6_T7_T8_P12ihipStream_tbENKUlT_T0_E_clISt17integral_constantIbLb0EES11_EEDaSW_SX_EUlSW_E_NS1_11comp_targetILNS1_3genE10ELNS1_11target_archE1200ELNS1_3gpuE4ELNS1_3repE0EEENS1_30default_config_static_selectorELNS0_4arch9wavefront6targetE1EEEvT1_: ; @_ZN7rocprim17ROCPRIM_400000_NS6detail17trampoline_kernelINS0_14default_configENS1_29reduce_by_key_config_selectorIttN6thrust23THRUST_200600_302600_NS4plusItEEEEZZNS1_33reduce_by_key_impl_wrapped_configILNS1_25lookback_scan_determinismE0ES3_S9_NS6_6detail15normal_iteratorINS6_10device_ptrItEEEESG_SG_SG_PmS8_NS6_8equal_toItEEEE10hipError_tPvRmT2_T3_mT4_T5_T6_T7_T8_P12ihipStream_tbENKUlT_T0_E_clISt17integral_constantIbLb0EES11_EEDaSW_SX_EUlSW_E_NS1_11comp_targetILNS1_3genE10ELNS1_11target_archE1200ELNS1_3gpuE4ELNS1_3repE0EEENS1_30default_config_static_selectorELNS0_4arch9wavefront6targetE1EEEvT1_
; %bb.0:
	.section	.rodata,"a",@progbits
	.p2align	6, 0x0
	.amdhsa_kernel _ZN7rocprim17ROCPRIM_400000_NS6detail17trampoline_kernelINS0_14default_configENS1_29reduce_by_key_config_selectorIttN6thrust23THRUST_200600_302600_NS4plusItEEEEZZNS1_33reduce_by_key_impl_wrapped_configILNS1_25lookback_scan_determinismE0ES3_S9_NS6_6detail15normal_iteratorINS6_10device_ptrItEEEESG_SG_SG_PmS8_NS6_8equal_toItEEEE10hipError_tPvRmT2_T3_mT4_T5_T6_T7_T8_P12ihipStream_tbENKUlT_T0_E_clISt17integral_constantIbLb0EES11_EEDaSW_SX_EUlSW_E_NS1_11comp_targetILNS1_3genE10ELNS1_11target_archE1200ELNS1_3gpuE4ELNS1_3repE0EEENS1_30default_config_static_selectorELNS0_4arch9wavefront6targetE1EEEvT1_
		.amdhsa_group_segment_fixed_size 0
		.amdhsa_private_segment_fixed_size 0
		.amdhsa_kernarg_size 120
		.amdhsa_user_sgpr_count 6
		.amdhsa_user_sgpr_private_segment_buffer 1
		.amdhsa_user_sgpr_dispatch_ptr 0
		.amdhsa_user_sgpr_queue_ptr 0
		.amdhsa_user_sgpr_kernarg_segment_ptr 1
		.amdhsa_user_sgpr_dispatch_id 0
		.amdhsa_user_sgpr_flat_scratch_init 0
		.amdhsa_user_sgpr_kernarg_preload_length 0
		.amdhsa_user_sgpr_kernarg_preload_offset 0
		.amdhsa_user_sgpr_private_segment_size 0
		.amdhsa_uses_dynamic_stack 0
		.amdhsa_system_sgpr_private_segment_wavefront_offset 0
		.amdhsa_system_sgpr_workgroup_id_x 1
		.amdhsa_system_sgpr_workgroup_id_y 0
		.amdhsa_system_sgpr_workgroup_id_z 0
		.amdhsa_system_sgpr_workgroup_info 0
		.amdhsa_system_vgpr_workitem_id 0
		.amdhsa_next_free_vgpr 1
		.amdhsa_next_free_sgpr 0
		.amdhsa_accum_offset 4
		.amdhsa_reserve_vcc 0
		.amdhsa_reserve_flat_scratch 0
		.amdhsa_float_round_mode_32 0
		.amdhsa_float_round_mode_16_64 0
		.amdhsa_float_denorm_mode_32 3
		.amdhsa_float_denorm_mode_16_64 3
		.amdhsa_dx10_clamp 1
		.amdhsa_ieee_mode 1
		.amdhsa_fp16_overflow 0
		.amdhsa_tg_split 0
		.amdhsa_exception_fp_ieee_invalid_op 0
		.amdhsa_exception_fp_denorm_src 0
		.amdhsa_exception_fp_ieee_div_zero 0
		.amdhsa_exception_fp_ieee_overflow 0
		.amdhsa_exception_fp_ieee_underflow 0
		.amdhsa_exception_fp_ieee_inexact 0
		.amdhsa_exception_int_div_zero 0
	.end_amdhsa_kernel
	.section	.text._ZN7rocprim17ROCPRIM_400000_NS6detail17trampoline_kernelINS0_14default_configENS1_29reduce_by_key_config_selectorIttN6thrust23THRUST_200600_302600_NS4plusItEEEEZZNS1_33reduce_by_key_impl_wrapped_configILNS1_25lookback_scan_determinismE0ES3_S9_NS6_6detail15normal_iteratorINS6_10device_ptrItEEEESG_SG_SG_PmS8_NS6_8equal_toItEEEE10hipError_tPvRmT2_T3_mT4_T5_T6_T7_T8_P12ihipStream_tbENKUlT_T0_E_clISt17integral_constantIbLb0EES11_EEDaSW_SX_EUlSW_E_NS1_11comp_targetILNS1_3genE10ELNS1_11target_archE1200ELNS1_3gpuE4ELNS1_3repE0EEENS1_30default_config_static_selectorELNS0_4arch9wavefront6targetE1EEEvT1_,"axG",@progbits,_ZN7rocprim17ROCPRIM_400000_NS6detail17trampoline_kernelINS0_14default_configENS1_29reduce_by_key_config_selectorIttN6thrust23THRUST_200600_302600_NS4plusItEEEEZZNS1_33reduce_by_key_impl_wrapped_configILNS1_25lookback_scan_determinismE0ES3_S9_NS6_6detail15normal_iteratorINS6_10device_ptrItEEEESG_SG_SG_PmS8_NS6_8equal_toItEEEE10hipError_tPvRmT2_T3_mT4_T5_T6_T7_T8_P12ihipStream_tbENKUlT_T0_E_clISt17integral_constantIbLb0EES11_EEDaSW_SX_EUlSW_E_NS1_11comp_targetILNS1_3genE10ELNS1_11target_archE1200ELNS1_3gpuE4ELNS1_3repE0EEENS1_30default_config_static_selectorELNS0_4arch9wavefront6targetE1EEEvT1_,comdat
.Lfunc_end398:
	.size	_ZN7rocprim17ROCPRIM_400000_NS6detail17trampoline_kernelINS0_14default_configENS1_29reduce_by_key_config_selectorIttN6thrust23THRUST_200600_302600_NS4plusItEEEEZZNS1_33reduce_by_key_impl_wrapped_configILNS1_25lookback_scan_determinismE0ES3_S9_NS6_6detail15normal_iteratorINS6_10device_ptrItEEEESG_SG_SG_PmS8_NS6_8equal_toItEEEE10hipError_tPvRmT2_T3_mT4_T5_T6_T7_T8_P12ihipStream_tbENKUlT_T0_E_clISt17integral_constantIbLb0EES11_EEDaSW_SX_EUlSW_E_NS1_11comp_targetILNS1_3genE10ELNS1_11target_archE1200ELNS1_3gpuE4ELNS1_3repE0EEENS1_30default_config_static_selectorELNS0_4arch9wavefront6targetE1EEEvT1_, .Lfunc_end398-_ZN7rocprim17ROCPRIM_400000_NS6detail17trampoline_kernelINS0_14default_configENS1_29reduce_by_key_config_selectorIttN6thrust23THRUST_200600_302600_NS4plusItEEEEZZNS1_33reduce_by_key_impl_wrapped_configILNS1_25lookback_scan_determinismE0ES3_S9_NS6_6detail15normal_iteratorINS6_10device_ptrItEEEESG_SG_SG_PmS8_NS6_8equal_toItEEEE10hipError_tPvRmT2_T3_mT4_T5_T6_T7_T8_P12ihipStream_tbENKUlT_T0_E_clISt17integral_constantIbLb0EES11_EEDaSW_SX_EUlSW_E_NS1_11comp_targetILNS1_3genE10ELNS1_11target_archE1200ELNS1_3gpuE4ELNS1_3repE0EEENS1_30default_config_static_selectorELNS0_4arch9wavefront6targetE1EEEvT1_
                                        ; -- End function
	.section	.AMDGPU.csdata,"",@progbits
; Kernel info:
; codeLenInByte = 0
; NumSgprs: 4
; NumVgprs: 0
; NumAgprs: 0
; TotalNumVgprs: 0
; ScratchSize: 0
; MemoryBound: 0
; FloatMode: 240
; IeeeMode: 1
; LDSByteSize: 0 bytes/workgroup (compile time only)
; SGPRBlocks: 0
; VGPRBlocks: 0
; NumSGPRsForWavesPerEU: 4
; NumVGPRsForWavesPerEU: 1
; AccumOffset: 4
; Occupancy: 8
; WaveLimiterHint : 0
; COMPUTE_PGM_RSRC2:SCRATCH_EN: 0
; COMPUTE_PGM_RSRC2:USER_SGPR: 6
; COMPUTE_PGM_RSRC2:TRAP_HANDLER: 0
; COMPUTE_PGM_RSRC2:TGID_X_EN: 1
; COMPUTE_PGM_RSRC2:TGID_Y_EN: 0
; COMPUTE_PGM_RSRC2:TGID_Z_EN: 0
; COMPUTE_PGM_RSRC2:TIDIG_COMP_CNT: 0
; COMPUTE_PGM_RSRC3_GFX90A:ACCUM_OFFSET: 0
; COMPUTE_PGM_RSRC3_GFX90A:TG_SPLIT: 0
	.section	.text._ZN7rocprim17ROCPRIM_400000_NS6detail17trampoline_kernelINS0_14default_configENS1_29reduce_by_key_config_selectorIttN6thrust23THRUST_200600_302600_NS4plusItEEEEZZNS1_33reduce_by_key_impl_wrapped_configILNS1_25lookback_scan_determinismE0ES3_S9_NS6_6detail15normal_iteratorINS6_10device_ptrItEEEESG_SG_SG_PmS8_NS6_8equal_toItEEEE10hipError_tPvRmT2_T3_mT4_T5_T6_T7_T8_P12ihipStream_tbENKUlT_T0_E_clISt17integral_constantIbLb0EES11_EEDaSW_SX_EUlSW_E_NS1_11comp_targetILNS1_3genE9ELNS1_11target_archE1100ELNS1_3gpuE3ELNS1_3repE0EEENS1_30default_config_static_selectorELNS0_4arch9wavefront6targetE1EEEvT1_,"axG",@progbits,_ZN7rocprim17ROCPRIM_400000_NS6detail17trampoline_kernelINS0_14default_configENS1_29reduce_by_key_config_selectorIttN6thrust23THRUST_200600_302600_NS4plusItEEEEZZNS1_33reduce_by_key_impl_wrapped_configILNS1_25lookback_scan_determinismE0ES3_S9_NS6_6detail15normal_iteratorINS6_10device_ptrItEEEESG_SG_SG_PmS8_NS6_8equal_toItEEEE10hipError_tPvRmT2_T3_mT4_T5_T6_T7_T8_P12ihipStream_tbENKUlT_T0_E_clISt17integral_constantIbLb0EES11_EEDaSW_SX_EUlSW_E_NS1_11comp_targetILNS1_3genE9ELNS1_11target_archE1100ELNS1_3gpuE3ELNS1_3repE0EEENS1_30default_config_static_selectorELNS0_4arch9wavefront6targetE1EEEvT1_,comdat
	.protected	_ZN7rocprim17ROCPRIM_400000_NS6detail17trampoline_kernelINS0_14default_configENS1_29reduce_by_key_config_selectorIttN6thrust23THRUST_200600_302600_NS4plusItEEEEZZNS1_33reduce_by_key_impl_wrapped_configILNS1_25lookback_scan_determinismE0ES3_S9_NS6_6detail15normal_iteratorINS6_10device_ptrItEEEESG_SG_SG_PmS8_NS6_8equal_toItEEEE10hipError_tPvRmT2_T3_mT4_T5_T6_T7_T8_P12ihipStream_tbENKUlT_T0_E_clISt17integral_constantIbLb0EES11_EEDaSW_SX_EUlSW_E_NS1_11comp_targetILNS1_3genE9ELNS1_11target_archE1100ELNS1_3gpuE3ELNS1_3repE0EEENS1_30default_config_static_selectorELNS0_4arch9wavefront6targetE1EEEvT1_ ; -- Begin function _ZN7rocprim17ROCPRIM_400000_NS6detail17trampoline_kernelINS0_14default_configENS1_29reduce_by_key_config_selectorIttN6thrust23THRUST_200600_302600_NS4plusItEEEEZZNS1_33reduce_by_key_impl_wrapped_configILNS1_25lookback_scan_determinismE0ES3_S9_NS6_6detail15normal_iteratorINS6_10device_ptrItEEEESG_SG_SG_PmS8_NS6_8equal_toItEEEE10hipError_tPvRmT2_T3_mT4_T5_T6_T7_T8_P12ihipStream_tbENKUlT_T0_E_clISt17integral_constantIbLb0EES11_EEDaSW_SX_EUlSW_E_NS1_11comp_targetILNS1_3genE9ELNS1_11target_archE1100ELNS1_3gpuE3ELNS1_3repE0EEENS1_30default_config_static_selectorELNS0_4arch9wavefront6targetE1EEEvT1_
	.globl	_ZN7rocprim17ROCPRIM_400000_NS6detail17trampoline_kernelINS0_14default_configENS1_29reduce_by_key_config_selectorIttN6thrust23THRUST_200600_302600_NS4plusItEEEEZZNS1_33reduce_by_key_impl_wrapped_configILNS1_25lookback_scan_determinismE0ES3_S9_NS6_6detail15normal_iteratorINS6_10device_ptrItEEEESG_SG_SG_PmS8_NS6_8equal_toItEEEE10hipError_tPvRmT2_T3_mT4_T5_T6_T7_T8_P12ihipStream_tbENKUlT_T0_E_clISt17integral_constantIbLb0EES11_EEDaSW_SX_EUlSW_E_NS1_11comp_targetILNS1_3genE9ELNS1_11target_archE1100ELNS1_3gpuE3ELNS1_3repE0EEENS1_30default_config_static_selectorELNS0_4arch9wavefront6targetE1EEEvT1_
	.p2align	8
	.type	_ZN7rocprim17ROCPRIM_400000_NS6detail17trampoline_kernelINS0_14default_configENS1_29reduce_by_key_config_selectorIttN6thrust23THRUST_200600_302600_NS4plusItEEEEZZNS1_33reduce_by_key_impl_wrapped_configILNS1_25lookback_scan_determinismE0ES3_S9_NS6_6detail15normal_iteratorINS6_10device_ptrItEEEESG_SG_SG_PmS8_NS6_8equal_toItEEEE10hipError_tPvRmT2_T3_mT4_T5_T6_T7_T8_P12ihipStream_tbENKUlT_T0_E_clISt17integral_constantIbLb0EES11_EEDaSW_SX_EUlSW_E_NS1_11comp_targetILNS1_3genE9ELNS1_11target_archE1100ELNS1_3gpuE3ELNS1_3repE0EEENS1_30default_config_static_selectorELNS0_4arch9wavefront6targetE1EEEvT1_,@function
_ZN7rocprim17ROCPRIM_400000_NS6detail17trampoline_kernelINS0_14default_configENS1_29reduce_by_key_config_selectorIttN6thrust23THRUST_200600_302600_NS4plusItEEEEZZNS1_33reduce_by_key_impl_wrapped_configILNS1_25lookback_scan_determinismE0ES3_S9_NS6_6detail15normal_iteratorINS6_10device_ptrItEEEESG_SG_SG_PmS8_NS6_8equal_toItEEEE10hipError_tPvRmT2_T3_mT4_T5_T6_T7_T8_P12ihipStream_tbENKUlT_T0_E_clISt17integral_constantIbLb0EES11_EEDaSW_SX_EUlSW_E_NS1_11comp_targetILNS1_3genE9ELNS1_11target_archE1100ELNS1_3gpuE3ELNS1_3repE0EEENS1_30default_config_static_selectorELNS0_4arch9wavefront6targetE1EEEvT1_: ; @_ZN7rocprim17ROCPRIM_400000_NS6detail17trampoline_kernelINS0_14default_configENS1_29reduce_by_key_config_selectorIttN6thrust23THRUST_200600_302600_NS4plusItEEEEZZNS1_33reduce_by_key_impl_wrapped_configILNS1_25lookback_scan_determinismE0ES3_S9_NS6_6detail15normal_iteratorINS6_10device_ptrItEEEESG_SG_SG_PmS8_NS6_8equal_toItEEEE10hipError_tPvRmT2_T3_mT4_T5_T6_T7_T8_P12ihipStream_tbENKUlT_T0_E_clISt17integral_constantIbLb0EES11_EEDaSW_SX_EUlSW_E_NS1_11comp_targetILNS1_3genE9ELNS1_11target_archE1100ELNS1_3gpuE3ELNS1_3repE0EEENS1_30default_config_static_selectorELNS0_4arch9wavefront6targetE1EEEvT1_
; %bb.0:
	.section	.rodata,"a",@progbits
	.p2align	6, 0x0
	.amdhsa_kernel _ZN7rocprim17ROCPRIM_400000_NS6detail17trampoline_kernelINS0_14default_configENS1_29reduce_by_key_config_selectorIttN6thrust23THRUST_200600_302600_NS4plusItEEEEZZNS1_33reduce_by_key_impl_wrapped_configILNS1_25lookback_scan_determinismE0ES3_S9_NS6_6detail15normal_iteratorINS6_10device_ptrItEEEESG_SG_SG_PmS8_NS6_8equal_toItEEEE10hipError_tPvRmT2_T3_mT4_T5_T6_T7_T8_P12ihipStream_tbENKUlT_T0_E_clISt17integral_constantIbLb0EES11_EEDaSW_SX_EUlSW_E_NS1_11comp_targetILNS1_3genE9ELNS1_11target_archE1100ELNS1_3gpuE3ELNS1_3repE0EEENS1_30default_config_static_selectorELNS0_4arch9wavefront6targetE1EEEvT1_
		.amdhsa_group_segment_fixed_size 0
		.amdhsa_private_segment_fixed_size 0
		.amdhsa_kernarg_size 120
		.amdhsa_user_sgpr_count 6
		.amdhsa_user_sgpr_private_segment_buffer 1
		.amdhsa_user_sgpr_dispatch_ptr 0
		.amdhsa_user_sgpr_queue_ptr 0
		.amdhsa_user_sgpr_kernarg_segment_ptr 1
		.amdhsa_user_sgpr_dispatch_id 0
		.amdhsa_user_sgpr_flat_scratch_init 0
		.amdhsa_user_sgpr_kernarg_preload_length 0
		.amdhsa_user_sgpr_kernarg_preload_offset 0
		.amdhsa_user_sgpr_private_segment_size 0
		.amdhsa_uses_dynamic_stack 0
		.amdhsa_system_sgpr_private_segment_wavefront_offset 0
		.amdhsa_system_sgpr_workgroup_id_x 1
		.amdhsa_system_sgpr_workgroup_id_y 0
		.amdhsa_system_sgpr_workgroup_id_z 0
		.amdhsa_system_sgpr_workgroup_info 0
		.amdhsa_system_vgpr_workitem_id 0
		.amdhsa_next_free_vgpr 1
		.amdhsa_next_free_sgpr 0
		.amdhsa_accum_offset 4
		.amdhsa_reserve_vcc 0
		.amdhsa_reserve_flat_scratch 0
		.amdhsa_float_round_mode_32 0
		.amdhsa_float_round_mode_16_64 0
		.amdhsa_float_denorm_mode_32 3
		.amdhsa_float_denorm_mode_16_64 3
		.amdhsa_dx10_clamp 1
		.amdhsa_ieee_mode 1
		.amdhsa_fp16_overflow 0
		.amdhsa_tg_split 0
		.amdhsa_exception_fp_ieee_invalid_op 0
		.amdhsa_exception_fp_denorm_src 0
		.amdhsa_exception_fp_ieee_div_zero 0
		.amdhsa_exception_fp_ieee_overflow 0
		.amdhsa_exception_fp_ieee_underflow 0
		.amdhsa_exception_fp_ieee_inexact 0
		.amdhsa_exception_int_div_zero 0
	.end_amdhsa_kernel
	.section	.text._ZN7rocprim17ROCPRIM_400000_NS6detail17trampoline_kernelINS0_14default_configENS1_29reduce_by_key_config_selectorIttN6thrust23THRUST_200600_302600_NS4plusItEEEEZZNS1_33reduce_by_key_impl_wrapped_configILNS1_25lookback_scan_determinismE0ES3_S9_NS6_6detail15normal_iteratorINS6_10device_ptrItEEEESG_SG_SG_PmS8_NS6_8equal_toItEEEE10hipError_tPvRmT2_T3_mT4_T5_T6_T7_T8_P12ihipStream_tbENKUlT_T0_E_clISt17integral_constantIbLb0EES11_EEDaSW_SX_EUlSW_E_NS1_11comp_targetILNS1_3genE9ELNS1_11target_archE1100ELNS1_3gpuE3ELNS1_3repE0EEENS1_30default_config_static_selectorELNS0_4arch9wavefront6targetE1EEEvT1_,"axG",@progbits,_ZN7rocprim17ROCPRIM_400000_NS6detail17trampoline_kernelINS0_14default_configENS1_29reduce_by_key_config_selectorIttN6thrust23THRUST_200600_302600_NS4plusItEEEEZZNS1_33reduce_by_key_impl_wrapped_configILNS1_25lookback_scan_determinismE0ES3_S9_NS6_6detail15normal_iteratorINS6_10device_ptrItEEEESG_SG_SG_PmS8_NS6_8equal_toItEEEE10hipError_tPvRmT2_T3_mT4_T5_T6_T7_T8_P12ihipStream_tbENKUlT_T0_E_clISt17integral_constantIbLb0EES11_EEDaSW_SX_EUlSW_E_NS1_11comp_targetILNS1_3genE9ELNS1_11target_archE1100ELNS1_3gpuE3ELNS1_3repE0EEENS1_30default_config_static_selectorELNS0_4arch9wavefront6targetE1EEEvT1_,comdat
.Lfunc_end399:
	.size	_ZN7rocprim17ROCPRIM_400000_NS6detail17trampoline_kernelINS0_14default_configENS1_29reduce_by_key_config_selectorIttN6thrust23THRUST_200600_302600_NS4plusItEEEEZZNS1_33reduce_by_key_impl_wrapped_configILNS1_25lookback_scan_determinismE0ES3_S9_NS6_6detail15normal_iteratorINS6_10device_ptrItEEEESG_SG_SG_PmS8_NS6_8equal_toItEEEE10hipError_tPvRmT2_T3_mT4_T5_T6_T7_T8_P12ihipStream_tbENKUlT_T0_E_clISt17integral_constantIbLb0EES11_EEDaSW_SX_EUlSW_E_NS1_11comp_targetILNS1_3genE9ELNS1_11target_archE1100ELNS1_3gpuE3ELNS1_3repE0EEENS1_30default_config_static_selectorELNS0_4arch9wavefront6targetE1EEEvT1_, .Lfunc_end399-_ZN7rocprim17ROCPRIM_400000_NS6detail17trampoline_kernelINS0_14default_configENS1_29reduce_by_key_config_selectorIttN6thrust23THRUST_200600_302600_NS4plusItEEEEZZNS1_33reduce_by_key_impl_wrapped_configILNS1_25lookback_scan_determinismE0ES3_S9_NS6_6detail15normal_iteratorINS6_10device_ptrItEEEESG_SG_SG_PmS8_NS6_8equal_toItEEEE10hipError_tPvRmT2_T3_mT4_T5_T6_T7_T8_P12ihipStream_tbENKUlT_T0_E_clISt17integral_constantIbLb0EES11_EEDaSW_SX_EUlSW_E_NS1_11comp_targetILNS1_3genE9ELNS1_11target_archE1100ELNS1_3gpuE3ELNS1_3repE0EEENS1_30default_config_static_selectorELNS0_4arch9wavefront6targetE1EEEvT1_
                                        ; -- End function
	.section	.AMDGPU.csdata,"",@progbits
; Kernel info:
; codeLenInByte = 0
; NumSgprs: 4
; NumVgprs: 0
; NumAgprs: 0
; TotalNumVgprs: 0
; ScratchSize: 0
; MemoryBound: 0
; FloatMode: 240
; IeeeMode: 1
; LDSByteSize: 0 bytes/workgroup (compile time only)
; SGPRBlocks: 0
; VGPRBlocks: 0
; NumSGPRsForWavesPerEU: 4
; NumVGPRsForWavesPerEU: 1
; AccumOffset: 4
; Occupancy: 8
; WaveLimiterHint : 0
; COMPUTE_PGM_RSRC2:SCRATCH_EN: 0
; COMPUTE_PGM_RSRC2:USER_SGPR: 6
; COMPUTE_PGM_RSRC2:TRAP_HANDLER: 0
; COMPUTE_PGM_RSRC2:TGID_X_EN: 1
; COMPUTE_PGM_RSRC2:TGID_Y_EN: 0
; COMPUTE_PGM_RSRC2:TGID_Z_EN: 0
; COMPUTE_PGM_RSRC2:TIDIG_COMP_CNT: 0
; COMPUTE_PGM_RSRC3_GFX90A:ACCUM_OFFSET: 0
; COMPUTE_PGM_RSRC3_GFX90A:TG_SPLIT: 0
	.section	.text._ZN7rocprim17ROCPRIM_400000_NS6detail17trampoline_kernelINS0_14default_configENS1_29reduce_by_key_config_selectorIttN6thrust23THRUST_200600_302600_NS4plusItEEEEZZNS1_33reduce_by_key_impl_wrapped_configILNS1_25lookback_scan_determinismE0ES3_S9_NS6_6detail15normal_iteratorINS6_10device_ptrItEEEESG_SG_SG_PmS8_NS6_8equal_toItEEEE10hipError_tPvRmT2_T3_mT4_T5_T6_T7_T8_P12ihipStream_tbENKUlT_T0_E_clISt17integral_constantIbLb0EES11_EEDaSW_SX_EUlSW_E_NS1_11comp_targetILNS1_3genE8ELNS1_11target_archE1030ELNS1_3gpuE2ELNS1_3repE0EEENS1_30default_config_static_selectorELNS0_4arch9wavefront6targetE1EEEvT1_,"axG",@progbits,_ZN7rocprim17ROCPRIM_400000_NS6detail17trampoline_kernelINS0_14default_configENS1_29reduce_by_key_config_selectorIttN6thrust23THRUST_200600_302600_NS4plusItEEEEZZNS1_33reduce_by_key_impl_wrapped_configILNS1_25lookback_scan_determinismE0ES3_S9_NS6_6detail15normal_iteratorINS6_10device_ptrItEEEESG_SG_SG_PmS8_NS6_8equal_toItEEEE10hipError_tPvRmT2_T3_mT4_T5_T6_T7_T8_P12ihipStream_tbENKUlT_T0_E_clISt17integral_constantIbLb0EES11_EEDaSW_SX_EUlSW_E_NS1_11comp_targetILNS1_3genE8ELNS1_11target_archE1030ELNS1_3gpuE2ELNS1_3repE0EEENS1_30default_config_static_selectorELNS0_4arch9wavefront6targetE1EEEvT1_,comdat
	.protected	_ZN7rocprim17ROCPRIM_400000_NS6detail17trampoline_kernelINS0_14default_configENS1_29reduce_by_key_config_selectorIttN6thrust23THRUST_200600_302600_NS4plusItEEEEZZNS1_33reduce_by_key_impl_wrapped_configILNS1_25lookback_scan_determinismE0ES3_S9_NS6_6detail15normal_iteratorINS6_10device_ptrItEEEESG_SG_SG_PmS8_NS6_8equal_toItEEEE10hipError_tPvRmT2_T3_mT4_T5_T6_T7_T8_P12ihipStream_tbENKUlT_T0_E_clISt17integral_constantIbLb0EES11_EEDaSW_SX_EUlSW_E_NS1_11comp_targetILNS1_3genE8ELNS1_11target_archE1030ELNS1_3gpuE2ELNS1_3repE0EEENS1_30default_config_static_selectorELNS0_4arch9wavefront6targetE1EEEvT1_ ; -- Begin function _ZN7rocprim17ROCPRIM_400000_NS6detail17trampoline_kernelINS0_14default_configENS1_29reduce_by_key_config_selectorIttN6thrust23THRUST_200600_302600_NS4plusItEEEEZZNS1_33reduce_by_key_impl_wrapped_configILNS1_25lookback_scan_determinismE0ES3_S9_NS6_6detail15normal_iteratorINS6_10device_ptrItEEEESG_SG_SG_PmS8_NS6_8equal_toItEEEE10hipError_tPvRmT2_T3_mT4_T5_T6_T7_T8_P12ihipStream_tbENKUlT_T0_E_clISt17integral_constantIbLb0EES11_EEDaSW_SX_EUlSW_E_NS1_11comp_targetILNS1_3genE8ELNS1_11target_archE1030ELNS1_3gpuE2ELNS1_3repE0EEENS1_30default_config_static_selectorELNS0_4arch9wavefront6targetE1EEEvT1_
	.globl	_ZN7rocprim17ROCPRIM_400000_NS6detail17trampoline_kernelINS0_14default_configENS1_29reduce_by_key_config_selectorIttN6thrust23THRUST_200600_302600_NS4plusItEEEEZZNS1_33reduce_by_key_impl_wrapped_configILNS1_25lookback_scan_determinismE0ES3_S9_NS6_6detail15normal_iteratorINS6_10device_ptrItEEEESG_SG_SG_PmS8_NS6_8equal_toItEEEE10hipError_tPvRmT2_T3_mT4_T5_T6_T7_T8_P12ihipStream_tbENKUlT_T0_E_clISt17integral_constantIbLb0EES11_EEDaSW_SX_EUlSW_E_NS1_11comp_targetILNS1_3genE8ELNS1_11target_archE1030ELNS1_3gpuE2ELNS1_3repE0EEENS1_30default_config_static_selectorELNS0_4arch9wavefront6targetE1EEEvT1_
	.p2align	8
	.type	_ZN7rocprim17ROCPRIM_400000_NS6detail17trampoline_kernelINS0_14default_configENS1_29reduce_by_key_config_selectorIttN6thrust23THRUST_200600_302600_NS4plusItEEEEZZNS1_33reduce_by_key_impl_wrapped_configILNS1_25lookback_scan_determinismE0ES3_S9_NS6_6detail15normal_iteratorINS6_10device_ptrItEEEESG_SG_SG_PmS8_NS6_8equal_toItEEEE10hipError_tPvRmT2_T3_mT4_T5_T6_T7_T8_P12ihipStream_tbENKUlT_T0_E_clISt17integral_constantIbLb0EES11_EEDaSW_SX_EUlSW_E_NS1_11comp_targetILNS1_3genE8ELNS1_11target_archE1030ELNS1_3gpuE2ELNS1_3repE0EEENS1_30default_config_static_selectorELNS0_4arch9wavefront6targetE1EEEvT1_,@function
_ZN7rocprim17ROCPRIM_400000_NS6detail17trampoline_kernelINS0_14default_configENS1_29reduce_by_key_config_selectorIttN6thrust23THRUST_200600_302600_NS4plusItEEEEZZNS1_33reduce_by_key_impl_wrapped_configILNS1_25lookback_scan_determinismE0ES3_S9_NS6_6detail15normal_iteratorINS6_10device_ptrItEEEESG_SG_SG_PmS8_NS6_8equal_toItEEEE10hipError_tPvRmT2_T3_mT4_T5_T6_T7_T8_P12ihipStream_tbENKUlT_T0_E_clISt17integral_constantIbLb0EES11_EEDaSW_SX_EUlSW_E_NS1_11comp_targetILNS1_3genE8ELNS1_11target_archE1030ELNS1_3gpuE2ELNS1_3repE0EEENS1_30default_config_static_selectorELNS0_4arch9wavefront6targetE1EEEvT1_: ; @_ZN7rocprim17ROCPRIM_400000_NS6detail17trampoline_kernelINS0_14default_configENS1_29reduce_by_key_config_selectorIttN6thrust23THRUST_200600_302600_NS4plusItEEEEZZNS1_33reduce_by_key_impl_wrapped_configILNS1_25lookback_scan_determinismE0ES3_S9_NS6_6detail15normal_iteratorINS6_10device_ptrItEEEESG_SG_SG_PmS8_NS6_8equal_toItEEEE10hipError_tPvRmT2_T3_mT4_T5_T6_T7_T8_P12ihipStream_tbENKUlT_T0_E_clISt17integral_constantIbLb0EES11_EEDaSW_SX_EUlSW_E_NS1_11comp_targetILNS1_3genE8ELNS1_11target_archE1030ELNS1_3gpuE2ELNS1_3repE0EEENS1_30default_config_static_selectorELNS0_4arch9wavefront6targetE1EEEvT1_
; %bb.0:
	.section	.rodata,"a",@progbits
	.p2align	6, 0x0
	.amdhsa_kernel _ZN7rocprim17ROCPRIM_400000_NS6detail17trampoline_kernelINS0_14default_configENS1_29reduce_by_key_config_selectorIttN6thrust23THRUST_200600_302600_NS4plusItEEEEZZNS1_33reduce_by_key_impl_wrapped_configILNS1_25lookback_scan_determinismE0ES3_S9_NS6_6detail15normal_iteratorINS6_10device_ptrItEEEESG_SG_SG_PmS8_NS6_8equal_toItEEEE10hipError_tPvRmT2_T3_mT4_T5_T6_T7_T8_P12ihipStream_tbENKUlT_T0_E_clISt17integral_constantIbLb0EES11_EEDaSW_SX_EUlSW_E_NS1_11comp_targetILNS1_3genE8ELNS1_11target_archE1030ELNS1_3gpuE2ELNS1_3repE0EEENS1_30default_config_static_selectorELNS0_4arch9wavefront6targetE1EEEvT1_
		.amdhsa_group_segment_fixed_size 0
		.amdhsa_private_segment_fixed_size 0
		.amdhsa_kernarg_size 120
		.amdhsa_user_sgpr_count 6
		.amdhsa_user_sgpr_private_segment_buffer 1
		.amdhsa_user_sgpr_dispatch_ptr 0
		.amdhsa_user_sgpr_queue_ptr 0
		.amdhsa_user_sgpr_kernarg_segment_ptr 1
		.amdhsa_user_sgpr_dispatch_id 0
		.amdhsa_user_sgpr_flat_scratch_init 0
		.amdhsa_user_sgpr_kernarg_preload_length 0
		.amdhsa_user_sgpr_kernarg_preload_offset 0
		.amdhsa_user_sgpr_private_segment_size 0
		.amdhsa_uses_dynamic_stack 0
		.amdhsa_system_sgpr_private_segment_wavefront_offset 0
		.amdhsa_system_sgpr_workgroup_id_x 1
		.amdhsa_system_sgpr_workgroup_id_y 0
		.amdhsa_system_sgpr_workgroup_id_z 0
		.amdhsa_system_sgpr_workgroup_info 0
		.amdhsa_system_vgpr_workitem_id 0
		.amdhsa_next_free_vgpr 1
		.amdhsa_next_free_sgpr 0
		.amdhsa_accum_offset 4
		.amdhsa_reserve_vcc 0
		.amdhsa_reserve_flat_scratch 0
		.amdhsa_float_round_mode_32 0
		.amdhsa_float_round_mode_16_64 0
		.amdhsa_float_denorm_mode_32 3
		.amdhsa_float_denorm_mode_16_64 3
		.amdhsa_dx10_clamp 1
		.amdhsa_ieee_mode 1
		.amdhsa_fp16_overflow 0
		.amdhsa_tg_split 0
		.amdhsa_exception_fp_ieee_invalid_op 0
		.amdhsa_exception_fp_denorm_src 0
		.amdhsa_exception_fp_ieee_div_zero 0
		.amdhsa_exception_fp_ieee_overflow 0
		.amdhsa_exception_fp_ieee_underflow 0
		.amdhsa_exception_fp_ieee_inexact 0
		.amdhsa_exception_int_div_zero 0
	.end_amdhsa_kernel
	.section	.text._ZN7rocprim17ROCPRIM_400000_NS6detail17trampoline_kernelINS0_14default_configENS1_29reduce_by_key_config_selectorIttN6thrust23THRUST_200600_302600_NS4plusItEEEEZZNS1_33reduce_by_key_impl_wrapped_configILNS1_25lookback_scan_determinismE0ES3_S9_NS6_6detail15normal_iteratorINS6_10device_ptrItEEEESG_SG_SG_PmS8_NS6_8equal_toItEEEE10hipError_tPvRmT2_T3_mT4_T5_T6_T7_T8_P12ihipStream_tbENKUlT_T0_E_clISt17integral_constantIbLb0EES11_EEDaSW_SX_EUlSW_E_NS1_11comp_targetILNS1_3genE8ELNS1_11target_archE1030ELNS1_3gpuE2ELNS1_3repE0EEENS1_30default_config_static_selectorELNS0_4arch9wavefront6targetE1EEEvT1_,"axG",@progbits,_ZN7rocprim17ROCPRIM_400000_NS6detail17trampoline_kernelINS0_14default_configENS1_29reduce_by_key_config_selectorIttN6thrust23THRUST_200600_302600_NS4plusItEEEEZZNS1_33reduce_by_key_impl_wrapped_configILNS1_25lookback_scan_determinismE0ES3_S9_NS6_6detail15normal_iteratorINS6_10device_ptrItEEEESG_SG_SG_PmS8_NS6_8equal_toItEEEE10hipError_tPvRmT2_T3_mT4_T5_T6_T7_T8_P12ihipStream_tbENKUlT_T0_E_clISt17integral_constantIbLb0EES11_EEDaSW_SX_EUlSW_E_NS1_11comp_targetILNS1_3genE8ELNS1_11target_archE1030ELNS1_3gpuE2ELNS1_3repE0EEENS1_30default_config_static_selectorELNS0_4arch9wavefront6targetE1EEEvT1_,comdat
.Lfunc_end400:
	.size	_ZN7rocprim17ROCPRIM_400000_NS6detail17trampoline_kernelINS0_14default_configENS1_29reduce_by_key_config_selectorIttN6thrust23THRUST_200600_302600_NS4plusItEEEEZZNS1_33reduce_by_key_impl_wrapped_configILNS1_25lookback_scan_determinismE0ES3_S9_NS6_6detail15normal_iteratorINS6_10device_ptrItEEEESG_SG_SG_PmS8_NS6_8equal_toItEEEE10hipError_tPvRmT2_T3_mT4_T5_T6_T7_T8_P12ihipStream_tbENKUlT_T0_E_clISt17integral_constantIbLb0EES11_EEDaSW_SX_EUlSW_E_NS1_11comp_targetILNS1_3genE8ELNS1_11target_archE1030ELNS1_3gpuE2ELNS1_3repE0EEENS1_30default_config_static_selectorELNS0_4arch9wavefront6targetE1EEEvT1_, .Lfunc_end400-_ZN7rocprim17ROCPRIM_400000_NS6detail17trampoline_kernelINS0_14default_configENS1_29reduce_by_key_config_selectorIttN6thrust23THRUST_200600_302600_NS4plusItEEEEZZNS1_33reduce_by_key_impl_wrapped_configILNS1_25lookback_scan_determinismE0ES3_S9_NS6_6detail15normal_iteratorINS6_10device_ptrItEEEESG_SG_SG_PmS8_NS6_8equal_toItEEEE10hipError_tPvRmT2_T3_mT4_T5_T6_T7_T8_P12ihipStream_tbENKUlT_T0_E_clISt17integral_constantIbLb0EES11_EEDaSW_SX_EUlSW_E_NS1_11comp_targetILNS1_3genE8ELNS1_11target_archE1030ELNS1_3gpuE2ELNS1_3repE0EEENS1_30default_config_static_selectorELNS0_4arch9wavefront6targetE1EEEvT1_
                                        ; -- End function
	.section	.AMDGPU.csdata,"",@progbits
; Kernel info:
; codeLenInByte = 0
; NumSgprs: 4
; NumVgprs: 0
; NumAgprs: 0
; TotalNumVgprs: 0
; ScratchSize: 0
; MemoryBound: 0
; FloatMode: 240
; IeeeMode: 1
; LDSByteSize: 0 bytes/workgroup (compile time only)
; SGPRBlocks: 0
; VGPRBlocks: 0
; NumSGPRsForWavesPerEU: 4
; NumVGPRsForWavesPerEU: 1
; AccumOffset: 4
; Occupancy: 8
; WaveLimiterHint : 0
; COMPUTE_PGM_RSRC2:SCRATCH_EN: 0
; COMPUTE_PGM_RSRC2:USER_SGPR: 6
; COMPUTE_PGM_RSRC2:TRAP_HANDLER: 0
; COMPUTE_PGM_RSRC2:TGID_X_EN: 1
; COMPUTE_PGM_RSRC2:TGID_Y_EN: 0
; COMPUTE_PGM_RSRC2:TGID_Z_EN: 0
; COMPUTE_PGM_RSRC2:TIDIG_COMP_CNT: 0
; COMPUTE_PGM_RSRC3_GFX90A:ACCUM_OFFSET: 0
; COMPUTE_PGM_RSRC3_GFX90A:TG_SPLIT: 0
	.section	.text._ZN7rocprim17ROCPRIM_400000_NS6detail25reduce_by_key_init_kernelINS1_19lookback_scan_stateINS0_5tupleIJjtEEELb1ELb1EEEtNS1_16block_id_wrapperIjLb1EEEEEvT_jbjPmPT0_T1_,"axG",@progbits,_ZN7rocprim17ROCPRIM_400000_NS6detail25reduce_by_key_init_kernelINS1_19lookback_scan_stateINS0_5tupleIJjtEEELb1ELb1EEEtNS1_16block_id_wrapperIjLb1EEEEEvT_jbjPmPT0_T1_,comdat
	.protected	_ZN7rocprim17ROCPRIM_400000_NS6detail25reduce_by_key_init_kernelINS1_19lookback_scan_stateINS0_5tupleIJjtEEELb1ELb1EEEtNS1_16block_id_wrapperIjLb1EEEEEvT_jbjPmPT0_T1_ ; -- Begin function _ZN7rocprim17ROCPRIM_400000_NS6detail25reduce_by_key_init_kernelINS1_19lookback_scan_stateINS0_5tupleIJjtEEELb1ELb1EEEtNS1_16block_id_wrapperIjLb1EEEEEvT_jbjPmPT0_T1_
	.globl	_ZN7rocprim17ROCPRIM_400000_NS6detail25reduce_by_key_init_kernelINS1_19lookback_scan_stateINS0_5tupleIJjtEEELb1ELb1EEEtNS1_16block_id_wrapperIjLb1EEEEEvT_jbjPmPT0_T1_
	.p2align	8
	.type	_ZN7rocprim17ROCPRIM_400000_NS6detail25reduce_by_key_init_kernelINS1_19lookback_scan_stateINS0_5tupleIJjtEEELb1ELb1EEEtNS1_16block_id_wrapperIjLb1EEEEEvT_jbjPmPT0_T1_,@function
_ZN7rocprim17ROCPRIM_400000_NS6detail25reduce_by_key_init_kernelINS1_19lookback_scan_stateINS0_5tupleIJjtEEELb1ELb1EEEtNS1_16block_id_wrapperIjLb1EEEEEvT_jbjPmPT0_T1_: ; @_ZN7rocprim17ROCPRIM_400000_NS6detail25reduce_by_key_init_kernelINS1_19lookback_scan_stateINS0_5tupleIJjtEEELb1ELb1EEEtNS1_16block_id_wrapperIjLb1EEEEEvT_jbjPmPT0_T1_
; %bb.0:
	s_load_dwordx8 s[8:15], s[4:5], 0x8
	s_load_dword s0, s[4:5], 0x3c
	s_load_dwordx2 s[16:17], s[4:5], 0x28
	s_load_dwordx2 s[2:3], s[4:5], 0x0
	s_waitcnt lgkmcnt(0)
	s_and_b32 s1, s9, 1
	s_and_b32 s0, s0, 0xffff
	s_mul_i32 s6, s6, s0
	s_cmp_eq_u32 s1, 0
	v_add_u32_e32 v0, s6, v0
	s_mov_b64 s[0:1], -1
	s_cbranch_scc1 .LBB401_6
; %bb.1:
	s_andn2_b64 vcc, exec, s[0:1]
	v_cmp_eq_u32_e64 s[0:1], 0, v0
	s_cbranch_vccz .LBB401_15
.LBB401_2:
	v_cmp_eq_u32_e32 vcc, 0, v0
	s_and_saveexec_b64 s[0:1], vcc
	s_cbranch_execnz .LBB401_18
.LBB401_3:
	s_or_b64 exec, exec, s[0:1]
	v_cmp_gt_u32_e32 vcc, s8, v0
	s_and_saveexec_b64 s[0:1], vcc
	s_cbranch_execnz .LBB401_19
.LBB401_4:
	s_or_b64 exec, exec, s[0:1]
	v_cmp_gt_u32_e32 vcc, 64, v0
	s_and_saveexec_b64 s[0:1], vcc
	s_cbranch_execnz .LBB401_20
.LBB401_5:
	s_endpgm
.LBB401_6:
	s_cmp_lt_u32 s10, s8
	s_cselect_b32 s0, s10, 0
	v_cmp_eq_u32_e32 vcc, s0, v0
	s_and_saveexec_b64 s[0:1], vcc
	s_cbranch_execz .LBB401_14
; %bb.7:
	s_add_i32 s4, s10, 64
	s_mov_b32 s5, 0
	s_lshl_b64 s[4:5], s[4:5], 4
	s_add_u32 s10, s2, s4
	s_addc_u32 s11, s3, s5
	v_pk_mov_b32 v[2:3], s[10:11], s[10:11] op_sel:[0,1]
	;;#ASMSTART
	global_load_dwordx4 v[2:5], v[2:3] off glc	
s_waitcnt vmcnt(0)
	;;#ASMEND
	v_mov_b32_e32 v7, 0
	v_and_b32_e32 v6, 0xff, v4
	s_mov_b64 s[6:7], 0
	v_cmp_eq_u64_e32 vcc, 0, v[6:7]
	s_and_saveexec_b64 s[4:5], vcc
	s_cbranch_execz .LBB401_13
; %bb.8:
	s_mov_b32 s9, 1
	v_pk_mov_b32 v[8:9], s[10:11], s[10:11] op_sel:[0,1]
.LBB401_9:                              ; =>This Loop Header: Depth=1
                                        ;     Child Loop BB401_10 Depth 2
	s_max_u32 s10, s9, 1
.LBB401_10:                             ;   Parent Loop BB401_9 Depth=1
                                        ; =>  This Inner Loop Header: Depth=2
	s_add_i32 s10, s10, -1
	s_cmp_eq_u32 s10, 0
	s_sleep 1
	s_cbranch_scc0 .LBB401_10
; %bb.11:                               ;   in Loop: Header=BB401_9 Depth=1
	s_cmp_lt_u32 s9, 32
	s_cselect_b64 s[10:11], -1, 0
	s_cmp_lg_u64 s[10:11], 0
	;;#ASMSTART
	global_load_dwordx4 v[2:5], v[8:9] off glc	
s_waitcnt vmcnt(0)
	;;#ASMEND
	v_and_b32_e32 v6, 0xff, v4
	s_addc_u32 s9, s9, 0
	v_cmp_ne_u64_e32 vcc, 0, v[6:7]
	s_or_b64 s[6:7], vcc, s[6:7]
	s_andn2_b64 exec, exec, s[6:7]
	s_cbranch_execnz .LBB401_9
; %bb.12:
	s_or_b64 exec, exec, s[6:7]
.LBB401_13:
	s_or_b64 exec, exec, s[4:5]
	v_mov_b32_e32 v1, 0
	global_load_dwordx2 v[4:5], v1, s[12:13]
	s_waitcnt vmcnt(0)
	v_add_co_u32_e32 v4, vcc, v4, v2
	v_addc_co_u32_e32 v5, vcc, 0, v5, vcc
	global_store_dwordx2 v1, v[4:5], s[12:13]
	global_store_short v1, v3, s[14:15]
.LBB401_14:
	s_or_b64 exec, exec, s[0:1]
	v_cmp_eq_u32_e64 s[0:1], 0, v0
	s_cbranch_execnz .LBB401_2
.LBB401_15:
	s_cmp_lg_u64 s[12:13], 0
	s_cselect_b64 s[4:5], -1, 0
	s_and_b64 s[4:5], s[4:5], s[0:1]
	s_and_saveexec_b64 s[0:1], s[4:5]
	s_cbranch_execz .LBB401_17
; %bb.16:
	v_mov_b32_e32 v2, 0
	v_mov_b32_e32 v3, v2
	global_store_dwordx2 v2, v[2:3], s[12:13]
.LBB401_17:
	s_or_b64 exec, exec, s[0:1]
	v_cmp_eq_u32_e32 vcc, 0, v0
	s_and_saveexec_b64 s[0:1], vcc
	s_cbranch_execz .LBB401_3
.LBB401_18:
	v_mov_b32_e32 v1, 0
	global_store_dword v1, v1, s[16:17]
	s_or_b64 exec, exec, s[0:1]
	v_cmp_gt_u32_e32 vcc, s8, v0
	s_and_saveexec_b64 s[0:1], vcc
	s_cbranch_execz .LBB401_4
.LBB401_19:
	v_add_u32_e32 v2, 64, v0
	v_mov_b32_e32 v3, 0
	v_lshlrev_b64 v[4:5], 4, v[2:3]
	v_mov_b32_e32 v1, s3
	v_add_co_u32_e32 v6, vcc, s2, v4
	v_addc_co_u32_e32 v7, vcc, v1, v5, vcc
	v_mov_b32_e32 v2, v3
	v_mov_b32_e32 v4, v3
	;; [unrolled: 1-line block ×3, first 2 shown]
	global_store_dwordx4 v[6:7], v[2:5], off
	s_or_b64 exec, exec, s[0:1]
	v_cmp_gt_u32_e32 vcc, 64, v0
	s_and_saveexec_b64 s[0:1], vcc
	s_cbranch_execz .LBB401_5
.LBB401_20:
	v_mov_b32_e32 v1, 0
	v_lshlrev_b64 v[2:3], 4, v[0:1]
	v_mov_b32_e32 v0, s3
	v_add_co_u32_e32 v4, vcc, s2, v2
	v_addc_co_u32_e32 v5, vcc, v0, v3, vcc
	v_mov_b32_e32 v2, 0xff
	v_mov_b32_e32 v0, v1
	v_mov_b32_e32 v3, v1
	global_store_dwordx4 v[4:5], v[0:3], off
	s_endpgm
	.section	.rodata,"a",@progbits
	.p2align	6, 0x0
	.amdhsa_kernel _ZN7rocprim17ROCPRIM_400000_NS6detail25reduce_by_key_init_kernelINS1_19lookback_scan_stateINS0_5tupleIJjtEEELb1ELb1EEEtNS1_16block_id_wrapperIjLb1EEEEEvT_jbjPmPT0_T1_
		.amdhsa_group_segment_fixed_size 0
		.amdhsa_private_segment_fixed_size 0
		.amdhsa_kernarg_size 304
		.amdhsa_user_sgpr_count 6
		.amdhsa_user_sgpr_private_segment_buffer 1
		.amdhsa_user_sgpr_dispatch_ptr 0
		.amdhsa_user_sgpr_queue_ptr 0
		.amdhsa_user_sgpr_kernarg_segment_ptr 1
		.amdhsa_user_sgpr_dispatch_id 0
		.amdhsa_user_sgpr_flat_scratch_init 0
		.amdhsa_user_sgpr_kernarg_preload_length 0
		.amdhsa_user_sgpr_kernarg_preload_offset 0
		.amdhsa_user_sgpr_private_segment_size 0
		.amdhsa_uses_dynamic_stack 0
		.amdhsa_system_sgpr_private_segment_wavefront_offset 0
		.amdhsa_system_sgpr_workgroup_id_x 1
		.amdhsa_system_sgpr_workgroup_id_y 0
		.amdhsa_system_sgpr_workgroup_id_z 0
		.amdhsa_system_sgpr_workgroup_info 0
		.amdhsa_system_vgpr_workitem_id 0
		.amdhsa_next_free_vgpr 10
		.amdhsa_next_free_sgpr 18
		.amdhsa_accum_offset 12
		.amdhsa_reserve_vcc 1
		.amdhsa_reserve_flat_scratch 0
		.amdhsa_float_round_mode_32 0
		.amdhsa_float_round_mode_16_64 0
		.amdhsa_float_denorm_mode_32 3
		.amdhsa_float_denorm_mode_16_64 3
		.amdhsa_dx10_clamp 1
		.amdhsa_ieee_mode 1
		.amdhsa_fp16_overflow 0
		.amdhsa_tg_split 0
		.amdhsa_exception_fp_ieee_invalid_op 0
		.amdhsa_exception_fp_denorm_src 0
		.amdhsa_exception_fp_ieee_div_zero 0
		.amdhsa_exception_fp_ieee_overflow 0
		.amdhsa_exception_fp_ieee_underflow 0
		.amdhsa_exception_fp_ieee_inexact 0
		.amdhsa_exception_int_div_zero 0
	.end_amdhsa_kernel
	.section	.text._ZN7rocprim17ROCPRIM_400000_NS6detail25reduce_by_key_init_kernelINS1_19lookback_scan_stateINS0_5tupleIJjtEEELb1ELb1EEEtNS1_16block_id_wrapperIjLb1EEEEEvT_jbjPmPT0_T1_,"axG",@progbits,_ZN7rocprim17ROCPRIM_400000_NS6detail25reduce_by_key_init_kernelINS1_19lookback_scan_stateINS0_5tupleIJjtEEELb1ELb1EEEtNS1_16block_id_wrapperIjLb1EEEEEvT_jbjPmPT0_T1_,comdat
.Lfunc_end401:
	.size	_ZN7rocprim17ROCPRIM_400000_NS6detail25reduce_by_key_init_kernelINS1_19lookback_scan_stateINS0_5tupleIJjtEEELb1ELb1EEEtNS1_16block_id_wrapperIjLb1EEEEEvT_jbjPmPT0_T1_, .Lfunc_end401-_ZN7rocprim17ROCPRIM_400000_NS6detail25reduce_by_key_init_kernelINS1_19lookback_scan_stateINS0_5tupleIJjtEEELb1ELb1EEEtNS1_16block_id_wrapperIjLb1EEEEEvT_jbjPmPT0_T1_
                                        ; -- End function
	.section	.AMDGPU.csdata,"",@progbits
; Kernel info:
; codeLenInByte = 572
; NumSgprs: 22
; NumVgprs: 10
; NumAgprs: 0
; TotalNumVgprs: 10
; ScratchSize: 0
; MemoryBound: 0
; FloatMode: 240
; IeeeMode: 1
; LDSByteSize: 0 bytes/workgroup (compile time only)
; SGPRBlocks: 2
; VGPRBlocks: 1
; NumSGPRsForWavesPerEU: 22
; NumVGPRsForWavesPerEU: 10
; AccumOffset: 12
; Occupancy: 8
; WaveLimiterHint : 0
; COMPUTE_PGM_RSRC2:SCRATCH_EN: 0
; COMPUTE_PGM_RSRC2:USER_SGPR: 6
; COMPUTE_PGM_RSRC2:TRAP_HANDLER: 0
; COMPUTE_PGM_RSRC2:TGID_X_EN: 1
; COMPUTE_PGM_RSRC2:TGID_Y_EN: 0
; COMPUTE_PGM_RSRC2:TGID_Z_EN: 0
; COMPUTE_PGM_RSRC2:TIDIG_COMP_CNT: 0
; COMPUTE_PGM_RSRC3_GFX90A:ACCUM_OFFSET: 2
; COMPUTE_PGM_RSRC3_GFX90A:TG_SPLIT: 0
	.section	.text._ZN7rocprim17ROCPRIM_400000_NS6detail17trampoline_kernelINS0_14default_configENS1_29reduce_by_key_config_selectorIttN6thrust23THRUST_200600_302600_NS4plusItEEEEZZNS1_33reduce_by_key_impl_wrapped_configILNS1_25lookback_scan_determinismE0ES3_S9_NS6_6detail15normal_iteratorINS6_10device_ptrItEEEESG_SG_SG_PmS8_NS6_8equal_toItEEEE10hipError_tPvRmT2_T3_mT4_T5_T6_T7_T8_P12ihipStream_tbENKUlT_T0_E_clISt17integral_constantIbLb1EES11_EEDaSW_SX_EUlSW_E_NS1_11comp_targetILNS1_3genE0ELNS1_11target_archE4294967295ELNS1_3gpuE0ELNS1_3repE0EEENS1_30default_config_static_selectorELNS0_4arch9wavefront6targetE1EEEvT1_,"axG",@progbits,_ZN7rocprim17ROCPRIM_400000_NS6detail17trampoline_kernelINS0_14default_configENS1_29reduce_by_key_config_selectorIttN6thrust23THRUST_200600_302600_NS4plusItEEEEZZNS1_33reduce_by_key_impl_wrapped_configILNS1_25lookback_scan_determinismE0ES3_S9_NS6_6detail15normal_iteratorINS6_10device_ptrItEEEESG_SG_SG_PmS8_NS6_8equal_toItEEEE10hipError_tPvRmT2_T3_mT4_T5_T6_T7_T8_P12ihipStream_tbENKUlT_T0_E_clISt17integral_constantIbLb1EES11_EEDaSW_SX_EUlSW_E_NS1_11comp_targetILNS1_3genE0ELNS1_11target_archE4294967295ELNS1_3gpuE0ELNS1_3repE0EEENS1_30default_config_static_selectorELNS0_4arch9wavefront6targetE1EEEvT1_,comdat
	.protected	_ZN7rocprim17ROCPRIM_400000_NS6detail17trampoline_kernelINS0_14default_configENS1_29reduce_by_key_config_selectorIttN6thrust23THRUST_200600_302600_NS4plusItEEEEZZNS1_33reduce_by_key_impl_wrapped_configILNS1_25lookback_scan_determinismE0ES3_S9_NS6_6detail15normal_iteratorINS6_10device_ptrItEEEESG_SG_SG_PmS8_NS6_8equal_toItEEEE10hipError_tPvRmT2_T3_mT4_T5_T6_T7_T8_P12ihipStream_tbENKUlT_T0_E_clISt17integral_constantIbLb1EES11_EEDaSW_SX_EUlSW_E_NS1_11comp_targetILNS1_3genE0ELNS1_11target_archE4294967295ELNS1_3gpuE0ELNS1_3repE0EEENS1_30default_config_static_selectorELNS0_4arch9wavefront6targetE1EEEvT1_ ; -- Begin function _ZN7rocprim17ROCPRIM_400000_NS6detail17trampoline_kernelINS0_14default_configENS1_29reduce_by_key_config_selectorIttN6thrust23THRUST_200600_302600_NS4plusItEEEEZZNS1_33reduce_by_key_impl_wrapped_configILNS1_25lookback_scan_determinismE0ES3_S9_NS6_6detail15normal_iteratorINS6_10device_ptrItEEEESG_SG_SG_PmS8_NS6_8equal_toItEEEE10hipError_tPvRmT2_T3_mT4_T5_T6_T7_T8_P12ihipStream_tbENKUlT_T0_E_clISt17integral_constantIbLb1EES11_EEDaSW_SX_EUlSW_E_NS1_11comp_targetILNS1_3genE0ELNS1_11target_archE4294967295ELNS1_3gpuE0ELNS1_3repE0EEENS1_30default_config_static_selectorELNS0_4arch9wavefront6targetE1EEEvT1_
	.globl	_ZN7rocprim17ROCPRIM_400000_NS6detail17trampoline_kernelINS0_14default_configENS1_29reduce_by_key_config_selectorIttN6thrust23THRUST_200600_302600_NS4plusItEEEEZZNS1_33reduce_by_key_impl_wrapped_configILNS1_25lookback_scan_determinismE0ES3_S9_NS6_6detail15normal_iteratorINS6_10device_ptrItEEEESG_SG_SG_PmS8_NS6_8equal_toItEEEE10hipError_tPvRmT2_T3_mT4_T5_T6_T7_T8_P12ihipStream_tbENKUlT_T0_E_clISt17integral_constantIbLb1EES11_EEDaSW_SX_EUlSW_E_NS1_11comp_targetILNS1_3genE0ELNS1_11target_archE4294967295ELNS1_3gpuE0ELNS1_3repE0EEENS1_30default_config_static_selectorELNS0_4arch9wavefront6targetE1EEEvT1_
	.p2align	8
	.type	_ZN7rocprim17ROCPRIM_400000_NS6detail17trampoline_kernelINS0_14default_configENS1_29reduce_by_key_config_selectorIttN6thrust23THRUST_200600_302600_NS4plusItEEEEZZNS1_33reduce_by_key_impl_wrapped_configILNS1_25lookback_scan_determinismE0ES3_S9_NS6_6detail15normal_iteratorINS6_10device_ptrItEEEESG_SG_SG_PmS8_NS6_8equal_toItEEEE10hipError_tPvRmT2_T3_mT4_T5_T6_T7_T8_P12ihipStream_tbENKUlT_T0_E_clISt17integral_constantIbLb1EES11_EEDaSW_SX_EUlSW_E_NS1_11comp_targetILNS1_3genE0ELNS1_11target_archE4294967295ELNS1_3gpuE0ELNS1_3repE0EEENS1_30default_config_static_selectorELNS0_4arch9wavefront6targetE1EEEvT1_,@function
_ZN7rocprim17ROCPRIM_400000_NS6detail17trampoline_kernelINS0_14default_configENS1_29reduce_by_key_config_selectorIttN6thrust23THRUST_200600_302600_NS4plusItEEEEZZNS1_33reduce_by_key_impl_wrapped_configILNS1_25lookback_scan_determinismE0ES3_S9_NS6_6detail15normal_iteratorINS6_10device_ptrItEEEESG_SG_SG_PmS8_NS6_8equal_toItEEEE10hipError_tPvRmT2_T3_mT4_T5_T6_T7_T8_P12ihipStream_tbENKUlT_T0_E_clISt17integral_constantIbLb1EES11_EEDaSW_SX_EUlSW_E_NS1_11comp_targetILNS1_3genE0ELNS1_11target_archE4294967295ELNS1_3gpuE0ELNS1_3repE0EEENS1_30default_config_static_selectorELNS0_4arch9wavefront6targetE1EEEvT1_: ; @_ZN7rocprim17ROCPRIM_400000_NS6detail17trampoline_kernelINS0_14default_configENS1_29reduce_by_key_config_selectorIttN6thrust23THRUST_200600_302600_NS4plusItEEEEZZNS1_33reduce_by_key_impl_wrapped_configILNS1_25lookback_scan_determinismE0ES3_S9_NS6_6detail15normal_iteratorINS6_10device_ptrItEEEESG_SG_SG_PmS8_NS6_8equal_toItEEEE10hipError_tPvRmT2_T3_mT4_T5_T6_T7_T8_P12ihipStream_tbENKUlT_T0_E_clISt17integral_constantIbLb1EES11_EEDaSW_SX_EUlSW_E_NS1_11comp_targetILNS1_3genE0ELNS1_11target_archE4294967295ELNS1_3gpuE0ELNS1_3repE0EEENS1_30default_config_static_selectorELNS0_4arch9wavefront6targetE1EEEvT1_
; %bb.0:
	.section	.rodata,"a",@progbits
	.p2align	6, 0x0
	.amdhsa_kernel _ZN7rocprim17ROCPRIM_400000_NS6detail17trampoline_kernelINS0_14default_configENS1_29reduce_by_key_config_selectorIttN6thrust23THRUST_200600_302600_NS4plusItEEEEZZNS1_33reduce_by_key_impl_wrapped_configILNS1_25lookback_scan_determinismE0ES3_S9_NS6_6detail15normal_iteratorINS6_10device_ptrItEEEESG_SG_SG_PmS8_NS6_8equal_toItEEEE10hipError_tPvRmT2_T3_mT4_T5_T6_T7_T8_P12ihipStream_tbENKUlT_T0_E_clISt17integral_constantIbLb1EES11_EEDaSW_SX_EUlSW_E_NS1_11comp_targetILNS1_3genE0ELNS1_11target_archE4294967295ELNS1_3gpuE0ELNS1_3repE0EEENS1_30default_config_static_selectorELNS0_4arch9wavefront6targetE1EEEvT1_
		.amdhsa_group_segment_fixed_size 0
		.amdhsa_private_segment_fixed_size 0
		.amdhsa_kernarg_size 120
		.amdhsa_user_sgpr_count 6
		.amdhsa_user_sgpr_private_segment_buffer 1
		.amdhsa_user_sgpr_dispatch_ptr 0
		.amdhsa_user_sgpr_queue_ptr 0
		.amdhsa_user_sgpr_kernarg_segment_ptr 1
		.amdhsa_user_sgpr_dispatch_id 0
		.amdhsa_user_sgpr_flat_scratch_init 0
		.amdhsa_user_sgpr_kernarg_preload_length 0
		.amdhsa_user_sgpr_kernarg_preload_offset 0
		.amdhsa_user_sgpr_private_segment_size 0
		.amdhsa_uses_dynamic_stack 0
		.amdhsa_system_sgpr_private_segment_wavefront_offset 0
		.amdhsa_system_sgpr_workgroup_id_x 1
		.amdhsa_system_sgpr_workgroup_id_y 0
		.amdhsa_system_sgpr_workgroup_id_z 0
		.amdhsa_system_sgpr_workgroup_info 0
		.amdhsa_system_vgpr_workitem_id 0
		.amdhsa_next_free_vgpr 1
		.amdhsa_next_free_sgpr 0
		.amdhsa_accum_offset 4
		.amdhsa_reserve_vcc 0
		.amdhsa_reserve_flat_scratch 0
		.amdhsa_float_round_mode_32 0
		.amdhsa_float_round_mode_16_64 0
		.amdhsa_float_denorm_mode_32 3
		.amdhsa_float_denorm_mode_16_64 3
		.amdhsa_dx10_clamp 1
		.amdhsa_ieee_mode 1
		.amdhsa_fp16_overflow 0
		.amdhsa_tg_split 0
		.amdhsa_exception_fp_ieee_invalid_op 0
		.amdhsa_exception_fp_denorm_src 0
		.amdhsa_exception_fp_ieee_div_zero 0
		.amdhsa_exception_fp_ieee_overflow 0
		.amdhsa_exception_fp_ieee_underflow 0
		.amdhsa_exception_fp_ieee_inexact 0
		.amdhsa_exception_int_div_zero 0
	.end_amdhsa_kernel
	.section	.text._ZN7rocprim17ROCPRIM_400000_NS6detail17trampoline_kernelINS0_14default_configENS1_29reduce_by_key_config_selectorIttN6thrust23THRUST_200600_302600_NS4plusItEEEEZZNS1_33reduce_by_key_impl_wrapped_configILNS1_25lookback_scan_determinismE0ES3_S9_NS6_6detail15normal_iteratorINS6_10device_ptrItEEEESG_SG_SG_PmS8_NS6_8equal_toItEEEE10hipError_tPvRmT2_T3_mT4_T5_T6_T7_T8_P12ihipStream_tbENKUlT_T0_E_clISt17integral_constantIbLb1EES11_EEDaSW_SX_EUlSW_E_NS1_11comp_targetILNS1_3genE0ELNS1_11target_archE4294967295ELNS1_3gpuE0ELNS1_3repE0EEENS1_30default_config_static_selectorELNS0_4arch9wavefront6targetE1EEEvT1_,"axG",@progbits,_ZN7rocprim17ROCPRIM_400000_NS6detail17trampoline_kernelINS0_14default_configENS1_29reduce_by_key_config_selectorIttN6thrust23THRUST_200600_302600_NS4plusItEEEEZZNS1_33reduce_by_key_impl_wrapped_configILNS1_25lookback_scan_determinismE0ES3_S9_NS6_6detail15normal_iteratorINS6_10device_ptrItEEEESG_SG_SG_PmS8_NS6_8equal_toItEEEE10hipError_tPvRmT2_T3_mT4_T5_T6_T7_T8_P12ihipStream_tbENKUlT_T0_E_clISt17integral_constantIbLb1EES11_EEDaSW_SX_EUlSW_E_NS1_11comp_targetILNS1_3genE0ELNS1_11target_archE4294967295ELNS1_3gpuE0ELNS1_3repE0EEENS1_30default_config_static_selectorELNS0_4arch9wavefront6targetE1EEEvT1_,comdat
.Lfunc_end402:
	.size	_ZN7rocprim17ROCPRIM_400000_NS6detail17trampoline_kernelINS0_14default_configENS1_29reduce_by_key_config_selectorIttN6thrust23THRUST_200600_302600_NS4plusItEEEEZZNS1_33reduce_by_key_impl_wrapped_configILNS1_25lookback_scan_determinismE0ES3_S9_NS6_6detail15normal_iteratorINS6_10device_ptrItEEEESG_SG_SG_PmS8_NS6_8equal_toItEEEE10hipError_tPvRmT2_T3_mT4_T5_T6_T7_T8_P12ihipStream_tbENKUlT_T0_E_clISt17integral_constantIbLb1EES11_EEDaSW_SX_EUlSW_E_NS1_11comp_targetILNS1_3genE0ELNS1_11target_archE4294967295ELNS1_3gpuE0ELNS1_3repE0EEENS1_30default_config_static_selectorELNS0_4arch9wavefront6targetE1EEEvT1_, .Lfunc_end402-_ZN7rocprim17ROCPRIM_400000_NS6detail17trampoline_kernelINS0_14default_configENS1_29reduce_by_key_config_selectorIttN6thrust23THRUST_200600_302600_NS4plusItEEEEZZNS1_33reduce_by_key_impl_wrapped_configILNS1_25lookback_scan_determinismE0ES3_S9_NS6_6detail15normal_iteratorINS6_10device_ptrItEEEESG_SG_SG_PmS8_NS6_8equal_toItEEEE10hipError_tPvRmT2_T3_mT4_T5_T6_T7_T8_P12ihipStream_tbENKUlT_T0_E_clISt17integral_constantIbLb1EES11_EEDaSW_SX_EUlSW_E_NS1_11comp_targetILNS1_3genE0ELNS1_11target_archE4294967295ELNS1_3gpuE0ELNS1_3repE0EEENS1_30default_config_static_selectorELNS0_4arch9wavefront6targetE1EEEvT1_
                                        ; -- End function
	.section	.AMDGPU.csdata,"",@progbits
; Kernel info:
; codeLenInByte = 0
; NumSgprs: 4
; NumVgprs: 0
; NumAgprs: 0
; TotalNumVgprs: 0
; ScratchSize: 0
; MemoryBound: 0
; FloatMode: 240
; IeeeMode: 1
; LDSByteSize: 0 bytes/workgroup (compile time only)
; SGPRBlocks: 0
; VGPRBlocks: 0
; NumSGPRsForWavesPerEU: 4
; NumVGPRsForWavesPerEU: 1
; AccumOffset: 4
; Occupancy: 8
; WaveLimiterHint : 0
; COMPUTE_PGM_RSRC2:SCRATCH_EN: 0
; COMPUTE_PGM_RSRC2:USER_SGPR: 6
; COMPUTE_PGM_RSRC2:TRAP_HANDLER: 0
; COMPUTE_PGM_RSRC2:TGID_X_EN: 1
; COMPUTE_PGM_RSRC2:TGID_Y_EN: 0
; COMPUTE_PGM_RSRC2:TGID_Z_EN: 0
; COMPUTE_PGM_RSRC2:TIDIG_COMP_CNT: 0
; COMPUTE_PGM_RSRC3_GFX90A:ACCUM_OFFSET: 0
; COMPUTE_PGM_RSRC3_GFX90A:TG_SPLIT: 0
	.section	.text._ZN7rocprim17ROCPRIM_400000_NS6detail17trampoline_kernelINS0_14default_configENS1_29reduce_by_key_config_selectorIttN6thrust23THRUST_200600_302600_NS4plusItEEEEZZNS1_33reduce_by_key_impl_wrapped_configILNS1_25lookback_scan_determinismE0ES3_S9_NS6_6detail15normal_iteratorINS6_10device_ptrItEEEESG_SG_SG_PmS8_NS6_8equal_toItEEEE10hipError_tPvRmT2_T3_mT4_T5_T6_T7_T8_P12ihipStream_tbENKUlT_T0_E_clISt17integral_constantIbLb1EES11_EEDaSW_SX_EUlSW_E_NS1_11comp_targetILNS1_3genE5ELNS1_11target_archE942ELNS1_3gpuE9ELNS1_3repE0EEENS1_30default_config_static_selectorELNS0_4arch9wavefront6targetE1EEEvT1_,"axG",@progbits,_ZN7rocprim17ROCPRIM_400000_NS6detail17trampoline_kernelINS0_14default_configENS1_29reduce_by_key_config_selectorIttN6thrust23THRUST_200600_302600_NS4plusItEEEEZZNS1_33reduce_by_key_impl_wrapped_configILNS1_25lookback_scan_determinismE0ES3_S9_NS6_6detail15normal_iteratorINS6_10device_ptrItEEEESG_SG_SG_PmS8_NS6_8equal_toItEEEE10hipError_tPvRmT2_T3_mT4_T5_T6_T7_T8_P12ihipStream_tbENKUlT_T0_E_clISt17integral_constantIbLb1EES11_EEDaSW_SX_EUlSW_E_NS1_11comp_targetILNS1_3genE5ELNS1_11target_archE942ELNS1_3gpuE9ELNS1_3repE0EEENS1_30default_config_static_selectorELNS0_4arch9wavefront6targetE1EEEvT1_,comdat
	.protected	_ZN7rocprim17ROCPRIM_400000_NS6detail17trampoline_kernelINS0_14default_configENS1_29reduce_by_key_config_selectorIttN6thrust23THRUST_200600_302600_NS4plusItEEEEZZNS1_33reduce_by_key_impl_wrapped_configILNS1_25lookback_scan_determinismE0ES3_S9_NS6_6detail15normal_iteratorINS6_10device_ptrItEEEESG_SG_SG_PmS8_NS6_8equal_toItEEEE10hipError_tPvRmT2_T3_mT4_T5_T6_T7_T8_P12ihipStream_tbENKUlT_T0_E_clISt17integral_constantIbLb1EES11_EEDaSW_SX_EUlSW_E_NS1_11comp_targetILNS1_3genE5ELNS1_11target_archE942ELNS1_3gpuE9ELNS1_3repE0EEENS1_30default_config_static_selectorELNS0_4arch9wavefront6targetE1EEEvT1_ ; -- Begin function _ZN7rocprim17ROCPRIM_400000_NS6detail17trampoline_kernelINS0_14default_configENS1_29reduce_by_key_config_selectorIttN6thrust23THRUST_200600_302600_NS4plusItEEEEZZNS1_33reduce_by_key_impl_wrapped_configILNS1_25lookback_scan_determinismE0ES3_S9_NS6_6detail15normal_iteratorINS6_10device_ptrItEEEESG_SG_SG_PmS8_NS6_8equal_toItEEEE10hipError_tPvRmT2_T3_mT4_T5_T6_T7_T8_P12ihipStream_tbENKUlT_T0_E_clISt17integral_constantIbLb1EES11_EEDaSW_SX_EUlSW_E_NS1_11comp_targetILNS1_3genE5ELNS1_11target_archE942ELNS1_3gpuE9ELNS1_3repE0EEENS1_30default_config_static_selectorELNS0_4arch9wavefront6targetE1EEEvT1_
	.globl	_ZN7rocprim17ROCPRIM_400000_NS6detail17trampoline_kernelINS0_14default_configENS1_29reduce_by_key_config_selectorIttN6thrust23THRUST_200600_302600_NS4plusItEEEEZZNS1_33reduce_by_key_impl_wrapped_configILNS1_25lookback_scan_determinismE0ES3_S9_NS6_6detail15normal_iteratorINS6_10device_ptrItEEEESG_SG_SG_PmS8_NS6_8equal_toItEEEE10hipError_tPvRmT2_T3_mT4_T5_T6_T7_T8_P12ihipStream_tbENKUlT_T0_E_clISt17integral_constantIbLb1EES11_EEDaSW_SX_EUlSW_E_NS1_11comp_targetILNS1_3genE5ELNS1_11target_archE942ELNS1_3gpuE9ELNS1_3repE0EEENS1_30default_config_static_selectorELNS0_4arch9wavefront6targetE1EEEvT1_
	.p2align	8
	.type	_ZN7rocprim17ROCPRIM_400000_NS6detail17trampoline_kernelINS0_14default_configENS1_29reduce_by_key_config_selectorIttN6thrust23THRUST_200600_302600_NS4plusItEEEEZZNS1_33reduce_by_key_impl_wrapped_configILNS1_25lookback_scan_determinismE0ES3_S9_NS6_6detail15normal_iteratorINS6_10device_ptrItEEEESG_SG_SG_PmS8_NS6_8equal_toItEEEE10hipError_tPvRmT2_T3_mT4_T5_T6_T7_T8_P12ihipStream_tbENKUlT_T0_E_clISt17integral_constantIbLb1EES11_EEDaSW_SX_EUlSW_E_NS1_11comp_targetILNS1_3genE5ELNS1_11target_archE942ELNS1_3gpuE9ELNS1_3repE0EEENS1_30default_config_static_selectorELNS0_4arch9wavefront6targetE1EEEvT1_,@function
_ZN7rocprim17ROCPRIM_400000_NS6detail17trampoline_kernelINS0_14default_configENS1_29reduce_by_key_config_selectorIttN6thrust23THRUST_200600_302600_NS4plusItEEEEZZNS1_33reduce_by_key_impl_wrapped_configILNS1_25lookback_scan_determinismE0ES3_S9_NS6_6detail15normal_iteratorINS6_10device_ptrItEEEESG_SG_SG_PmS8_NS6_8equal_toItEEEE10hipError_tPvRmT2_T3_mT4_T5_T6_T7_T8_P12ihipStream_tbENKUlT_T0_E_clISt17integral_constantIbLb1EES11_EEDaSW_SX_EUlSW_E_NS1_11comp_targetILNS1_3genE5ELNS1_11target_archE942ELNS1_3gpuE9ELNS1_3repE0EEENS1_30default_config_static_selectorELNS0_4arch9wavefront6targetE1EEEvT1_: ; @_ZN7rocprim17ROCPRIM_400000_NS6detail17trampoline_kernelINS0_14default_configENS1_29reduce_by_key_config_selectorIttN6thrust23THRUST_200600_302600_NS4plusItEEEEZZNS1_33reduce_by_key_impl_wrapped_configILNS1_25lookback_scan_determinismE0ES3_S9_NS6_6detail15normal_iteratorINS6_10device_ptrItEEEESG_SG_SG_PmS8_NS6_8equal_toItEEEE10hipError_tPvRmT2_T3_mT4_T5_T6_T7_T8_P12ihipStream_tbENKUlT_T0_E_clISt17integral_constantIbLb1EES11_EEDaSW_SX_EUlSW_E_NS1_11comp_targetILNS1_3genE5ELNS1_11target_archE942ELNS1_3gpuE9ELNS1_3repE0EEENS1_30default_config_static_selectorELNS0_4arch9wavefront6targetE1EEEvT1_
; %bb.0:
	.section	.rodata,"a",@progbits
	.p2align	6, 0x0
	.amdhsa_kernel _ZN7rocprim17ROCPRIM_400000_NS6detail17trampoline_kernelINS0_14default_configENS1_29reduce_by_key_config_selectorIttN6thrust23THRUST_200600_302600_NS4plusItEEEEZZNS1_33reduce_by_key_impl_wrapped_configILNS1_25lookback_scan_determinismE0ES3_S9_NS6_6detail15normal_iteratorINS6_10device_ptrItEEEESG_SG_SG_PmS8_NS6_8equal_toItEEEE10hipError_tPvRmT2_T3_mT4_T5_T6_T7_T8_P12ihipStream_tbENKUlT_T0_E_clISt17integral_constantIbLb1EES11_EEDaSW_SX_EUlSW_E_NS1_11comp_targetILNS1_3genE5ELNS1_11target_archE942ELNS1_3gpuE9ELNS1_3repE0EEENS1_30default_config_static_selectorELNS0_4arch9wavefront6targetE1EEEvT1_
		.amdhsa_group_segment_fixed_size 0
		.amdhsa_private_segment_fixed_size 0
		.amdhsa_kernarg_size 120
		.amdhsa_user_sgpr_count 6
		.amdhsa_user_sgpr_private_segment_buffer 1
		.amdhsa_user_sgpr_dispatch_ptr 0
		.amdhsa_user_sgpr_queue_ptr 0
		.amdhsa_user_sgpr_kernarg_segment_ptr 1
		.amdhsa_user_sgpr_dispatch_id 0
		.amdhsa_user_sgpr_flat_scratch_init 0
		.amdhsa_user_sgpr_kernarg_preload_length 0
		.amdhsa_user_sgpr_kernarg_preload_offset 0
		.amdhsa_user_sgpr_private_segment_size 0
		.amdhsa_uses_dynamic_stack 0
		.amdhsa_system_sgpr_private_segment_wavefront_offset 0
		.amdhsa_system_sgpr_workgroup_id_x 1
		.amdhsa_system_sgpr_workgroup_id_y 0
		.amdhsa_system_sgpr_workgroup_id_z 0
		.amdhsa_system_sgpr_workgroup_info 0
		.amdhsa_system_vgpr_workitem_id 0
		.amdhsa_next_free_vgpr 1
		.amdhsa_next_free_sgpr 0
		.amdhsa_accum_offset 4
		.amdhsa_reserve_vcc 0
		.amdhsa_reserve_flat_scratch 0
		.amdhsa_float_round_mode_32 0
		.amdhsa_float_round_mode_16_64 0
		.amdhsa_float_denorm_mode_32 3
		.amdhsa_float_denorm_mode_16_64 3
		.amdhsa_dx10_clamp 1
		.amdhsa_ieee_mode 1
		.amdhsa_fp16_overflow 0
		.amdhsa_tg_split 0
		.amdhsa_exception_fp_ieee_invalid_op 0
		.amdhsa_exception_fp_denorm_src 0
		.amdhsa_exception_fp_ieee_div_zero 0
		.amdhsa_exception_fp_ieee_overflow 0
		.amdhsa_exception_fp_ieee_underflow 0
		.amdhsa_exception_fp_ieee_inexact 0
		.amdhsa_exception_int_div_zero 0
	.end_amdhsa_kernel
	.section	.text._ZN7rocprim17ROCPRIM_400000_NS6detail17trampoline_kernelINS0_14default_configENS1_29reduce_by_key_config_selectorIttN6thrust23THRUST_200600_302600_NS4plusItEEEEZZNS1_33reduce_by_key_impl_wrapped_configILNS1_25lookback_scan_determinismE0ES3_S9_NS6_6detail15normal_iteratorINS6_10device_ptrItEEEESG_SG_SG_PmS8_NS6_8equal_toItEEEE10hipError_tPvRmT2_T3_mT4_T5_T6_T7_T8_P12ihipStream_tbENKUlT_T0_E_clISt17integral_constantIbLb1EES11_EEDaSW_SX_EUlSW_E_NS1_11comp_targetILNS1_3genE5ELNS1_11target_archE942ELNS1_3gpuE9ELNS1_3repE0EEENS1_30default_config_static_selectorELNS0_4arch9wavefront6targetE1EEEvT1_,"axG",@progbits,_ZN7rocprim17ROCPRIM_400000_NS6detail17trampoline_kernelINS0_14default_configENS1_29reduce_by_key_config_selectorIttN6thrust23THRUST_200600_302600_NS4plusItEEEEZZNS1_33reduce_by_key_impl_wrapped_configILNS1_25lookback_scan_determinismE0ES3_S9_NS6_6detail15normal_iteratorINS6_10device_ptrItEEEESG_SG_SG_PmS8_NS6_8equal_toItEEEE10hipError_tPvRmT2_T3_mT4_T5_T6_T7_T8_P12ihipStream_tbENKUlT_T0_E_clISt17integral_constantIbLb1EES11_EEDaSW_SX_EUlSW_E_NS1_11comp_targetILNS1_3genE5ELNS1_11target_archE942ELNS1_3gpuE9ELNS1_3repE0EEENS1_30default_config_static_selectorELNS0_4arch9wavefront6targetE1EEEvT1_,comdat
.Lfunc_end403:
	.size	_ZN7rocprim17ROCPRIM_400000_NS6detail17trampoline_kernelINS0_14default_configENS1_29reduce_by_key_config_selectorIttN6thrust23THRUST_200600_302600_NS4plusItEEEEZZNS1_33reduce_by_key_impl_wrapped_configILNS1_25lookback_scan_determinismE0ES3_S9_NS6_6detail15normal_iteratorINS6_10device_ptrItEEEESG_SG_SG_PmS8_NS6_8equal_toItEEEE10hipError_tPvRmT2_T3_mT4_T5_T6_T7_T8_P12ihipStream_tbENKUlT_T0_E_clISt17integral_constantIbLb1EES11_EEDaSW_SX_EUlSW_E_NS1_11comp_targetILNS1_3genE5ELNS1_11target_archE942ELNS1_3gpuE9ELNS1_3repE0EEENS1_30default_config_static_selectorELNS0_4arch9wavefront6targetE1EEEvT1_, .Lfunc_end403-_ZN7rocprim17ROCPRIM_400000_NS6detail17trampoline_kernelINS0_14default_configENS1_29reduce_by_key_config_selectorIttN6thrust23THRUST_200600_302600_NS4plusItEEEEZZNS1_33reduce_by_key_impl_wrapped_configILNS1_25lookback_scan_determinismE0ES3_S9_NS6_6detail15normal_iteratorINS6_10device_ptrItEEEESG_SG_SG_PmS8_NS6_8equal_toItEEEE10hipError_tPvRmT2_T3_mT4_T5_T6_T7_T8_P12ihipStream_tbENKUlT_T0_E_clISt17integral_constantIbLb1EES11_EEDaSW_SX_EUlSW_E_NS1_11comp_targetILNS1_3genE5ELNS1_11target_archE942ELNS1_3gpuE9ELNS1_3repE0EEENS1_30default_config_static_selectorELNS0_4arch9wavefront6targetE1EEEvT1_
                                        ; -- End function
	.section	.AMDGPU.csdata,"",@progbits
; Kernel info:
; codeLenInByte = 0
; NumSgprs: 4
; NumVgprs: 0
; NumAgprs: 0
; TotalNumVgprs: 0
; ScratchSize: 0
; MemoryBound: 0
; FloatMode: 240
; IeeeMode: 1
; LDSByteSize: 0 bytes/workgroup (compile time only)
; SGPRBlocks: 0
; VGPRBlocks: 0
; NumSGPRsForWavesPerEU: 4
; NumVGPRsForWavesPerEU: 1
; AccumOffset: 4
; Occupancy: 8
; WaveLimiterHint : 0
; COMPUTE_PGM_RSRC2:SCRATCH_EN: 0
; COMPUTE_PGM_RSRC2:USER_SGPR: 6
; COMPUTE_PGM_RSRC2:TRAP_HANDLER: 0
; COMPUTE_PGM_RSRC2:TGID_X_EN: 1
; COMPUTE_PGM_RSRC2:TGID_Y_EN: 0
; COMPUTE_PGM_RSRC2:TGID_Z_EN: 0
; COMPUTE_PGM_RSRC2:TIDIG_COMP_CNT: 0
; COMPUTE_PGM_RSRC3_GFX90A:ACCUM_OFFSET: 0
; COMPUTE_PGM_RSRC3_GFX90A:TG_SPLIT: 0
	.section	.text._ZN7rocprim17ROCPRIM_400000_NS6detail17trampoline_kernelINS0_14default_configENS1_29reduce_by_key_config_selectorIttN6thrust23THRUST_200600_302600_NS4plusItEEEEZZNS1_33reduce_by_key_impl_wrapped_configILNS1_25lookback_scan_determinismE0ES3_S9_NS6_6detail15normal_iteratorINS6_10device_ptrItEEEESG_SG_SG_PmS8_NS6_8equal_toItEEEE10hipError_tPvRmT2_T3_mT4_T5_T6_T7_T8_P12ihipStream_tbENKUlT_T0_E_clISt17integral_constantIbLb1EES11_EEDaSW_SX_EUlSW_E_NS1_11comp_targetILNS1_3genE4ELNS1_11target_archE910ELNS1_3gpuE8ELNS1_3repE0EEENS1_30default_config_static_selectorELNS0_4arch9wavefront6targetE1EEEvT1_,"axG",@progbits,_ZN7rocprim17ROCPRIM_400000_NS6detail17trampoline_kernelINS0_14default_configENS1_29reduce_by_key_config_selectorIttN6thrust23THRUST_200600_302600_NS4plusItEEEEZZNS1_33reduce_by_key_impl_wrapped_configILNS1_25lookback_scan_determinismE0ES3_S9_NS6_6detail15normal_iteratorINS6_10device_ptrItEEEESG_SG_SG_PmS8_NS6_8equal_toItEEEE10hipError_tPvRmT2_T3_mT4_T5_T6_T7_T8_P12ihipStream_tbENKUlT_T0_E_clISt17integral_constantIbLb1EES11_EEDaSW_SX_EUlSW_E_NS1_11comp_targetILNS1_3genE4ELNS1_11target_archE910ELNS1_3gpuE8ELNS1_3repE0EEENS1_30default_config_static_selectorELNS0_4arch9wavefront6targetE1EEEvT1_,comdat
	.protected	_ZN7rocprim17ROCPRIM_400000_NS6detail17trampoline_kernelINS0_14default_configENS1_29reduce_by_key_config_selectorIttN6thrust23THRUST_200600_302600_NS4plusItEEEEZZNS1_33reduce_by_key_impl_wrapped_configILNS1_25lookback_scan_determinismE0ES3_S9_NS6_6detail15normal_iteratorINS6_10device_ptrItEEEESG_SG_SG_PmS8_NS6_8equal_toItEEEE10hipError_tPvRmT2_T3_mT4_T5_T6_T7_T8_P12ihipStream_tbENKUlT_T0_E_clISt17integral_constantIbLb1EES11_EEDaSW_SX_EUlSW_E_NS1_11comp_targetILNS1_3genE4ELNS1_11target_archE910ELNS1_3gpuE8ELNS1_3repE0EEENS1_30default_config_static_selectorELNS0_4arch9wavefront6targetE1EEEvT1_ ; -- Begin function _ZN7rocprim17ROCPRIM_400000_NS6detail17trampoline_kernelINS0_14default_configENS1_29reduce_by_key_config_selectorIttN6thrust23THRUST_200600_302600_NS4plusItEEEEZZNS1_33reduce_by_key_impl_wrapped_configILNS1_25lookback_scan_determinismE0ES3_S9_NS6_6detail15normal_iteratorINS6_10device_ptrItEEEESG_SG_SG_PmS8_NS6_8equal_toItEEEE10hipError_tPvRmT2_T3_mT4_T5_T6_T7_T8_P12ihipStream_tbENKUlT_T0_E_clISt17integral_constantIbLb1EES11_EEDaSW_SX_EUlSW_E_NS1_11comp_targetILNS1_3genE4ELNS1_11target_archE910ELNS1_3gpuE8ELNS1_3repE0EEENS1_30default_config_static_selectorELNS0_4arch9wavefront6targetE1EEEvT1_
	.globl	_ZN7rocprim17ROCPRIM_400000_NS6detail17trampoline_kernelINS0_14default_configENS1_29reduce_by_key_config_selectorIttN6thrust23THRUST_200600_302600_NS4plusItEEEEZZNS1_33reduce_by_key_impl_wrapped_configILNS1_25lookback_scan_determinismE0ES3_S9_NS6_6detail15normal_iteratorINS6_10device_ptrItEEEESG_SG_SG_PmS8_NS6_8equal_toItEEEE10hipError_tPvRmT2_T3_mT4_T5_T6_T7_T8_P12ihipStream_tbENKUlT_T0_E_clISt17integral_constantIbLb1EES11_EEDaSW_SX_EUlSW_E_NS1_11comp_targetILNS1_3genE4ELNS1_11target_archE910ELNS1_3gpuE8ELNS1_3repE0EEENS1_30default_config_static_selectorELNS0_4arch9wavefront6targetE1EEEvT1_
	.p2align	8
	.type	_ZN7rocprim17ROCPRIM_400000_NS6detail17trampoline_kernelINS0_14default_configENS1_29reduce_by_key_config_selectorIttN6thrust23THRUST_200600_302600_NS4plusItEEEEZZNS1_33reduce_by_key_impl_wrapped_configILNS1_25lookback_scan_determinismE0ES3_S9_NS6_6detail15normal_iteratorINS6_10device_ptrItEEEESG_SG_SG_PmS8_NS6_8equal_toItEEEE10hipError_tPvRmT2_T3_mT4_T5_T6_T7_T8_P12ihipStream_tbENKUlT_T0_E_clISt17integral_constantIbLb1EES11_EEDaSW_SX_EUlSW_E_NS1_11comp_targetILNS1_3genE4ELNS1_11target_archE910ELNS1_3gpuE8ELNS1_3repE0EEENS1_30default_config_static_selectorELNS0_4arch9wavefront6targetE1EEEvT1_,@function
_ZN7rocprim17ROCPRIM_400000_NS6detail17trampoline_kernelINS0_14default_configENS1_29reduce_by_key_config_selectorIttN6thrust23THRUST_200600_302600_NS4plusItEEEEZZNS1_33reduce_by_key_impl_wrapped_configILNS1_25lookback_scan_determinismE0ES3_S9_NS6_6detail15normal_iteratorINS6_10device_ptrItEEEESG_SG_SG_PmS8_NS6_8equal_toItEEEE10hipError_tPvRmT2_T3_mT4_T5_T6_T7_T8_P12ihipStream_tbENKUlT_T0_E_clISt17integral_constantIbLb1EES11_EEDaSW_SX_EUlSW_E_NS1_11comp_targetILNS1_3genE4ELNS1_11target_archE910ELNS1_3gpuE8ELNS1_3repE0EEENS1_30default_config_static_selectorELNS0_4arch9wavefront6targetE1EEEvT1_: ; @_ZN7rocprim17ROCPRIM_400000_NS6detail17trampoline_kernelINS0_14default_configENS1_29reduce_by_key_config_selectorIttN6thrust23THRUST_200600_302600_NS4plusItEEEEZZNS1_33reduce_by_key_impl_wrapped_configILNS1_25lookback_scan_determinismE0ES3_S9_NS6_6detail15normal_iteratorINS6_10device_ptrItEEEESG_SG_SG_PmS8_NS6_8equal_toItEEEE10hipError_tPvRmT2_T3_mT4_T5_T6_T7_T8_P12ihipStream_tbENKUlT_T0_E_clISt17integral_constantIbLb1EES11_EEDaSW_SX_EUlSW_E_NS1_11comp_targetILNS1_3genE4ELNS1_11target_archE910ELNS1_3gpuE8ELNS1_3repE0EEENS1_30default_config_static_selectorELNS0_4arch9wavefront6targetE1EEEvT1_
; %bb.0:
	s_load_dwordx8 s[36:43], s[4:5], 0x0
	s_load_dwordx4 s[52:55], s[4:5], 0x20
	s_load_dwordx8 s[44:51], s[4:5], 0x38
	s_load_dwordx2 s[60:61], s[4:5], 0x68
	s_load_dwordx4 s[56:59], s[4:5], 0x58
	v_cmp_ne_u32_e64 s[2:3], 0, v0
	v_cmp_eq_u32_e64 s[0:1], 0, v0
	s_and_saveexec_b64 s[6:7], s[0:1]
	s_cbranch_execz .LBB404_4
; %bb.1:
	s_mov_b64 s[10:11], exec
	v_mbcnt_lo_u32_b32 v1, s10, 0
	v_mbcnt_hi_u32_b32 v1, s11, v1
	v_cmp_eq_u32_e32 vcc, 0, v1
                                        ; implicit-def: $vgpr2
	s_and_saveexec_b64 s[8:9], vcc
	s_cbranch_execz .LBB404_3
; %bb.2:
	s_load_dwordx2 s[4:5], s[4:5], 0x70
	s_bcnt1_i32_b64 s10, s[10:11]
	v_mov_b32_e32 v2, 0
	v_mov_b32_e32 v3, s10
	s_waitcnt lgkmcnt(0)
	global_atomic_add v2, v2, v3, s[4:5] glc
.LBB404_3:
	s_or_b64 exec, exec, s[8:9]
	s_waitcnt vmcnt(0)
	v_readfirstlane_b32 s4, v2
	v_add_u32_e32 v1, s4, v1
	v_mov_b32_e32 v2, 0
	ds_write_b32 v2, v1
.LBB404_4:
	s_or_b64 exec, exec, s[6:7]
	v_mov_b32_e32 v3, 0
	s_waitcnt lgkmcnt(0)
	s_lshl_b64 s[4:5], s[38:39], 1
	s_barrier
	ds_read_b32 v1, v3
	s_add_u32 s6, s36, s4
	s_addc_u32 s7, s37, s5
	s_add_u32 s4, s40, s4
	s_mul_i32 s8, s48, s47
	s_mul_hi_u32 s9, s48, s46
	s_addc_u32 s5, s41, s5
	s_add_i32 s8, s9, s8
	s_mul_i32 s9, s49, s46
	s_add_i32 s8, s8, s9
	s_mul_i32 s9, s48, s46
	s_waitcnt lgkmcnt(0)
	v_readfirstlane_b32 s62, v1
	s_movk_i32 s10, 0xf00
	v_mul_lo_u32 v2, v1, s10
	s_add_u32 s40, s9, s62
	v_lshlrev_b64 v[2:3], 1, v[2:3]
	s_addc_u32 s41, s8, 0
	v_mov_b32_e32 v1, s7
	v_add_co_u32_e32 v6, vcc, s6, v2
	s_add_u32 s6, s50, -1
	v_addc_co_u32_e32 v7, vcc, v1, v3, vcc
	s_addc_u32 s7, s51, -1
	v_mov_b32_e32 v1, s5
	v_add_co_u32_e32 v8, vcc, s4, v2
	s_cmp_eq_u64 s[40:41], s[6:7]
	v_addc_co_u32_e32 v9, vcc, v1, v3, vcc
	s_cselect_b64 s[36:37], -1, 0
	s_cmp_lg_u64 s[40:41], s[6:7]
	s_mov_b64 s[4:5], -1
	s_cselect_b64 s[48:49], -1, 0
	s_mul_i32 s33, s6, 0xfffff100
	s_and_b64 vcc, exec, s[36:37]
	s_barrier
	s_cbranch_vccnz .LBB404_6
; %bb.5:
	v_lshlrev_b32_e32 v11, 1, v0
	v_add_co_u32_e32 v2, vcc, v6, v11
	v_addc_co_u32_e32 v3, vcc, 0, v7, vcc
	flat_load_ushort v1, v[2:3]
	flat_load_ushort v4, v[2:3] offset:512
	flat_load_ushort v5, v[2:3] offset:1024
	;; [unrolled: 1-line block ×7, first 2 shown]
	v_add_co_u32_e32 v2, vcc, 0x1000, v2
	v_addc_co_u32_e32 v3, vcc, 0, v3, vcc
	flat_load_ushort v21, v[2:3]
	flat_load_ushort v22, v[2:3] offset:512
	flat_load_ushort v23, v[2:3] offset:1024
	;; [unrolled: 1-line block ×6, first 2 shown]
	v_add_co_u32_e32 v12, vcc, v8, v11
	s_movk_i32 s4, 0x1000
	v_addc_co_u32_e32 v13, vcc, 0, v9, vcc
	v_mad_u32_u24 v10, v0, 28, v11
	v_add_co_u32_e32 v18, vcc, s4, v12
	v_addc_co_u32_e32 v19, vcc, 0, v13, vcc
	s_waitcnt vmcnt(0) lgkmcnt(0)
	ds_write_b16 v11, v1
	ds_write_b16 v11, v4 offset:512
	ds_write_b16 v11, v5 offset:1024
	;; [unrolled: 1-line block ×14, first 2 shown]
	s_waitcnt lgkmcnt(0)
	s_barrier
	ds_read_u16 v1, v10
	ds_read_b128 v[2:5], v10 offset:2
	ds_read_b96 v[14:16], v10 offset:18
	s_waitcnt lgkmcnt(0)
	s_barrier
	flat_load_ushort v17, v[12:13]
	flat_load_ushort v20, v[12:13] offset:512
	flat_load_ushort v21, v[12:13] offset:1024
	;; [unrolled: 1-line block ×7, first 2 shown]
	flat_load_ushort v27, v[18:19]
	flat_load_ushort v28, v[18:19] offset:512
	flat_load_ushort v29, v[18:19] offset:1024
	;; [unrolled: 1-line block ×6, first 2 shown]
	v_mul_u32_u24_e32 v12, 15, v0
	s_waitcnt vmcnt(0) lgkmcnt(0)
	ds_write_b16 v11, v17
	ds_write_b16 v11, v20 offset:512
	ds_write_b16 v11, v21 offset:1024
	;; [unrolled: 1-line block ×14, first 2 shown]
	s_waitcnt lgkmcnt(0)
	s_barrier
	s_add_i32 s33, s33, s56
	s_cbranch_execz .LBB404_7
	s_branch .LBB404_54
.LBB404_6:
                                        ; implicit-def: $vgpr2
                                        ; implicit-def: $vgpr14
                                        ; implicit-def: $vgpr12
                                        ; implicit-def: $vgpr10
                                        ; implicit-def: $vgpr1
	s_andn2_b64 vcc, exec, s[4:5]
	s_add_i32 s33, s33, s56
	s_cbranch_vccnz .LBB404_54
.LBB404_7:
	v_cmp_gt_u32_e32 vcc, s33, v0
                                        ; implicit-def: $vgpr1
	s_and_saveexec_b64 s[6:7], vcc
	s_cbranch_execz .LBB404_9
; %bb.8:
	v_lshlrev_b32_e32 v1, 1, v0
	v_add_co_u32_e64 v2, s[4:5], v6, v1
	v_addc_co_u32_e64 v3, s[4:5], 0, v7, s[4:5]
	flat_load_ushort v1, v[2:3]
.LBB404_9:
	s_or_b64 exec, exec, s[6:7]
	v_or_b32_e32 v2, 0x100, v0
	v_cmp_gt_u32_e64 s[4:5], s33, v2
                                        ; implicit-def: $vgpr2
	s_and_saveexec_b64 s[8:9], s[4:5]
	s_cbranch_execz .LBB404_11
; %bb.10:
	v_lshlrev_b32_e32 v2, 1, v0
	v_add_co_u32_e64 v2, s[6:7], v6, v2
	v_addc_co_u32_e64 v3, s[6:7], 0, v7, s[6:7]
	flat_load_ushort v2, v[2:3] offset:512
.LBB404_11:
	s_or_b64 exec, exec, s[8:9]
	v_or_b32_e32 v3, 0x200, v0
	v_cmp_gt_u32_e64 s[6:7], s33, v3
                                        ; implicit-def: $vgpr3
	s_and_saveexec_b64 s[10:11], s[6:7]
	s_cbranch_execz .LBB404_13
; %bb.12:
	v_lshlrev_b32_e32 v3, 1, v0
	v_add_co_u32_e64 v4, s[8:9], v6, v3
	v_addc_co_u32_e64 v5, s[8:9], 0, v7, s[8:9]
	flat_load_ushort v3, v[4:5] offset:1024
.LBB404_13:
	s_or_b64 exec, exec, s[10:11]
	v_or_b32_e32 v4, 0x300, v0
	v_cmp_gt_u32_e64 s[8:9], s33, v4
                                        ; implicit-def: $vgpr4
	s_and_saveexec_b64 s[12:13], s[8:9]
	s_cbranch_execz .LBB404_15
; %bb.14:
	v_lshlrev_b32_e32 v4, 1, v0
	v_add_co_u32_e64 v4, s[10:11], v6, v4
	v_addc_co_u32_e64 v5, s[10:11], 0, v7, s[10:11]
	flat_load_ushort v4, v[4:5] offset:1536
.LBB404_15:
	s_or_b64 exec, exec, s[12:13]
	v_or_b32_e32 v5, 0x400, v0
	v_cmp_gt_u32_e64 s[10:11], s33, v5
                                        ; implicit-def: $vgpr5
	s_and_saveexec_b64 s[14:15], s[10:11]
	s_cbranch_execz .LBB404_17
; %bb.16:
	v_lshlrev_b32_e32 v5, 1, v0
	v_add_co_u32_e64 v10, s[12:13], v6, v5
	v_addc_co_u32_e64 v11, s[12:13], 0, v7, s[12:13]
	flat_load_ushort v5, v[10:11] offset:2048
.LBB404_17:
	s_or_b64 exec, exec, s[14:15]
	v_or_b32_e32 v10, 0x500, v0
	v_cmp_gt_u32_e64 s[12:13], s33, v10
                                        ; implicit-def: $vgpr10
	s_and_saveexec_b64 s[16:17], s[12:13]
	s_cbranch_execz .LBB404_19
; %bb.18:
	v_lshlrev_b32_e32 v10, 1, v0
	v_add_co_u32_e64 v10, s[14:15], v6, v10
	v_addc_co_u32_e64 v11, s[14:15], 0, v7, s[14:15]
	flat_load_ushort v10, v[10:11] offset:2560
.LBB404_19:
	s_or_b64 exec, exec, s[16:17]
	v_or_b32_e32 v11, 0x600, v0
	v_cmp_gt_u32_e64 s[14:15], s33, v11
                                        ; implicit-def: $vgpr14
	s_and_saveexec_b64 s[18:19], s[14:15]
	s_cbranch_execz .LBB404_21
; %bb.20:
	v_lshlrev_b32_e32 v11, 1, v0
	v_add_co_u32_e64 v12, s[16:17], v6, v11
	v_addc_co_u32_e64 v13, s[16:17], 0, v7, s[16:17]
	flat_load_ushort v14, v[12:13] offset:3072
.LBB404_21:
	s_or_b64 exec, exec, s[18:19]
	v_or_b32_e32 v11, 0x700, v0
	v_cmp_gt_u32_e64 s[16:17], s33, v11
                                        ; implicit-def: $vgpr15
	s_and_saveexec_b64 s[20:21], s[16:17]
	s_cbranch_execz .LBB404_23
; %bb.22:
	v_lshlrev_b32_e32 v11, 1, v0
	v_add_co_u32_e64 v12, s[18:19], v6, v11
	v_addc_co_u32_e64 v13, s[18:19], 0, v7, s[18:19]
	flat_load_ushort v15, v[12:13] offset:3584
.LBB404_23:
	s_or_b64 exec, exec, s[20:21]
	v_or_b32_e32 v12, 0x800, v0
	v_cmp_gt_u32_e64 s[18:19], s33, v12
                                        ; implicit-def: $vgpr16
	s_and_saveexec_b64 s[22:23], s[18:19]
	s_cbranch_execz .LBB404_25
; %bb.24:
	v_lshlrev_b32_e32 v11, 1, v12
	v_add_co_u32_e64 v16, s[20:21], v6, v11
	v_addc_co_u32_e64 v17, s[20:21], 0, v7, s[20:21]
	flat_load_ushort v16, v[16:17]
.LBB404_25:
	s_or_b64 exec, exec, s[22:23]
	v_or_b32_e32 v13, 0x900, v0
	v_cmp_gt_u32_e64 s[20:21], s33, v13
                                        ; implicit-def: $vgpr22
	s_and_saveexec_b64 s[24:25], s[20:21]
	s_cbranch_execz .LBB404_27
; %bb.26:
	v_lshlrev_b32_e32 v11, 1, v13
	v_add_co_u32_e64 v18, s[22:23], v6, v11
	v_addc_co_u32_e64 v19, s[22:23], 0, v7, s[22:23]
	flat_load_ushort v22, v[18:19]
.LBB404_27:
	s_or_b64 exec, exec, s[24:25]
	v_or_b32_e32 v17, 0xa00, v0
	v_cmp_gt_u32_e64 s[22:23], s33, v17
                                        ; implicit-def: $vgpr23
	s_and_saveexec_b64 s[26:27], s[22:23]
	s_cbranch_execz .LBB404_29
; %bb.28:
	v_lshlrev_b32_e32 v11, 1, v17
	v_add_co_u32_e64 v18, s[24:25], v6, v11
	v_addc_co_u32_e64 v19, s[24:25], 0, v7, s[24:25]
	flat_load_ushort v23, v[18:19]
.LBB404_29:
	s_or_b64 exec, exec, s[26:27]
	v_or_b32_e32 v18, 0xb00, v0
	v_cmp_gt_u32_e64 s[24:25], s33, v18
                                        ; implicit-def: $vgpr24
	s_and_saveexec_b64 s[28:29], s[24:25]
	s_cbranch_execz .LBB404_31
; %bb.30:
	v_lshlrev_b32_e32 v11, 1, v18
	v_add_co_u32_e64 v20, s[26:27], v6, v11
	v_addc_co_u32_e64 v21, s[26:27], 0, v7, s[26:27]
	flat_load_ushort v24, v[20:21]
.LBB404_31:
	s_or_b64 exec, exec, s[28:29]
	v_or_b32_e32 v19, 0xc00, v0
	v_cmp_gt_u32_e64 s[26:27], s33, v19
                                        ; implicit-def: $vgpr25
	s_and_saveexec_b64 s[30:31], s[26:27]
	s_cbranch_execz .LBB404_33
; %bb.32:
	v_lshlrev_b32_e32 v11, 1, v19
	v_add_co_u32_e64 v20, s[28:29], v6, v11
	v_addc_co_u32_e64 v21, s[28:29], 0, v7, s[28:29]
	flat_load_ushort v25, v[20:21]
.LBB404_33:
	s_or_b64 exec, exec, s[30:31]
	v_or_b32_e32 v20, 0xd00, v0
	v_cmp_gt_u32_e64 s[28:29], s33, v20
                                        ; implicit-def: $vgpr26
	s_and_saveexec_b64 s[34:35], s[28:29]
	s_cbranch_execz .LBB404_35
; %bb.34:
	v_lshlrev_b32_e32 v11, 1, v20
	v_add_co_u32_e64 v26, s[30:31], v6, v11
	v_addc_co_u32_e64 v27, s[30:31], 0, v7, s[30:31]
	flat_load_ushort v26, v[26:27]
.LBB404_35:
	s_or_b64 exec, exec, s[34:35]
	v_or_b32_e32 v21, 0xe00, v0
	v_cmp_gt_u32_e64 s[30:31], s33, v21
                                        ; implicit-def: $vgpr27
	s_and_saveexec_b64 s[38:39], s[30:31]
	s_cbranch_execz .LBB404_37
; %bb.36:
	v_lshlrev_b32_e32 v11, 1, v21
	v_add_co_u32_e64 v28, s[34:35], v6, v11
	v_addc_co_u32_e64 v29, s[34:35], 0, v7, s[34:35]
	flat_load_ushort v27, v[28:29]
.LBB404_37:
	s_or_b64 exec, exec, s[38:39]
	v_lshlrev_b32_e32 v11, 1, v0
	s_waitcnt vmcnt(0) lgkmcnt(0)
	ds_write_b16 v11, v1
	ds_write_b16 v11, v2 offset:512
	ds_write_b16 v11, v3 offset:1024
	;; [unrolled: 1-line block ×14, first 2 shown]
	v_mad_u32_u24 v10, v0, 28, v11
	s_waitcnt lgkmcnt(0)
	s_barrier
	ds_read_u16 v1, v10
	ds_read_b128 v[2:5], v10 offset:2
	ds_read_b96 v[14:16], v10 offset:18
	s_waitcnt lgkmcnt(0)
	s_barrier
	s_waitcnt lgkmcnt(0)
                                        ; implicit-def: $vgpr22
	s_and_saveexec_b64 s[34:35], vcc
	s_cbranch_execnz .LBB404_61
; %bb.38:
	s_or_b64 exec, exec, s[34:35]
                                        ; implicit-def: $vgpr23
	s_and_saveexec_b64 s[34:35], s[4:5]
	s_cbranch_execnz .LBB404_62
.LBB404_39:
	s_or_b64 exec, exec, s[34:35]
                                        ; implicit-def: $vgpr24
	s_and_saveexec_b64 s[4:5], s[6:7]
	s_cbranch_execnz .LBB404_63
.LBB404_40:
	s_or_b64 exec, exec, s[4:5]
                                        ; implicit-def: $vgpr25
	s_and_saveexec_b64 s[4:5], s[8:9]
	s_cbranch_execnz .LBB404_64
.LBB404_41:
	s_or_b64 exec, exec, s[4:5]
                                        ; implicit-def: $vgpr26
	s_and_saveexec_b64 s[4:5], s[10:11]
	s_cbranch_execnz .LBB404_65
.LBB404_42:
	s_or_b64 exec, exec, s[4:5]
                                        ; implicit-def: $vgpr27
	s_and_saveexec_b64 s[4:5], s[12:13]
	s_cbranch_execnz .LBB404_66
.LBB404_43:
	s_or_b64 exec, exec, s[4:5]
                                        ; implicit-def: $vgpr28
	s_and_saveexec_b64 s[4:5], s[14:15]
	s_cbranch_execnz .LBB404_67
.LBB404_44:
	s_or_b64 exec, exec, s[4:5]
                                        ; implicit-def: $vgpr29
	s_and_saveexec_b64 s[4:5], s[16:17]
	s_cbranch_execnz .LBB404_68
.LBB404_45:
	s_or_b64 exec, exec, s[4:5]
                                        ; implicit-def: $vgpr30
	s_and_saveexec_b64 s[4:5], s[18:19]
	s_cbranch_execnz .LBB404_69
.LBB404_46:
	s_or_b64 exec, exec, s[4:5]
                                        ; implicit-def: $vgpr31
	s_and_saveexec_b64 s[4:5], s[20:21]
	s_cbranch_execnz .LBB404_70
.LBB404_47:
	s_or_b64 exec, exec, s[4:5]
                                        ; implicit-def: $vgpr13
	s_and_saveexec_b64 s[4:5], s[22:23]
	s_cbranch_execnz .LBB404_71
.LBB404_48:
	s_or_b64 exec, exec, s[4:5]
                                        ; implicit-def: $vgpr17
	s_and_saveexec_b64 s[4:5], s[24:25]
	s_cbranch_execnz .LBB404_72
.LBB404_49:
	s_or_b64 exec, exec, s[4:5]
                                        ; implicit-def: $vgpr18
	s_and_saveexec_b64 s[4:5], s[26:27]
	s_cbranch_execnz .LBB404_73
.LBB404_50:
	s_or_b64 exec, exec, s[4:5]
                                        ; implicit-def: $vgpr19
	s_and_saveexec_b64 s[4:5], s[28:29]
	s_cbranch_execnz .LBB404_74
.LBB404_51:
	s_or_b64 exec, exec, s[4:5]
                                        ; implicit-def: $vgpr20
	s_and_saveexec_b64 s[4:5], s[30:31]
	s_cbranch_execz .LBB404_53
.LBB404_52:
	v_lshlrev_b32_e32 v12, 1, v21
	v_add_co_u32_e32 v8, vcc, v8, v12
	v_addc_co_u32_e32 v9, vcc, 0, v9, vcc
	flat_load_ushort v20, v[8:9]
.LBB404_53:
	s_or_b64 exec, exec, s[4:5]
	v_mul_u32_u24_e32 v12, 15, v0
	s_waitcnt vmcnt(0) lgkmcnt(0)
	ds_write_b16 v11, v22
	ds_write_b16 v11, v23 offset:512
	ds_write_b16 v11, v24 offset:1024
	;; [unrolled: 1-line block ×14, first 2 shown]
	s_waitcnt lgkmcnt(0)
	s_barrier
.LBB404_54:
	v_lshlrev_b32_e32 v8, 1, v12
	ds_read_u16 v77, v10
	ds_read_u16 v76, v10 offset:2
	ds_read_u16 v74, v10 offset:6
	;; [unrolled: 1-line block ×14, first 2 shown]
	s_cmp_eq_u64 s[40:41], 0
	s_cselect_b64 s[38:39], -1, 0
	s_cmp_lg_u64 s[40:41], 0
	s_mov_b64 s[6:7], 0
	s_cselect_b64 s[8:9], -1, 0
	s_and_b64 vcc, exec, s[48:49]
	s_waitcnt lgkmcnt(0)
	s_barrier
	s_cbranch_vccz .LBB404_60
; %bb.55:
	s_and_b64 vcc, exec, s[8:9]
	s_cbranch_vccz .LBB404_75
; %bb.56:
	v_add_co_u32_e32 v8, vcc, -2, v6
	v_addc_co_u32_e32 v9, vcc, -1, v7, vcc
	flat_load_ushort v8, v[8:9]
	v_lshrrev_b32_e32 v10, 16, v16
	v_lshlrev_b32_e32 v9, 1, v0
	v_cmp_ne_u16_e32 vcc, v16, v10
	v_cmp_ne_u16_sdwa s[6:7], v15, v16 src0_sel:WORD_1 src1_sel:DWORD
	v_cmp_ne_u16_sdwa s[10:11], v15, v15 src0_sel:DWORD src1_sel:WORD_1
	v_cmp_ne_u16_sdwa s[12:13], v14, v15 src0_sel:WORD_1 src1_sel:DWORD
	v_cmp_ne_u16_sdwa s[14:15], v14, v14 src0_sel:DWORD src1_sel:WORD_1
	;; [unrolled: 2-line block ×6, first 2 shown]
	v_cmp_ne_u16_e64 s[4:5], v1, v2
	ds_write_b16 v9, v10
	s_waitcnt lgkmcnt(0)
	s_barrier
	s_and_saveexec_b64 s[34:35], s[2:3]
	s_cbranch_execz .LBB404_58
; %bb.57:
	s_waitcnt vmcnt(0)
	v_add_u32_e32 v8, -2, v9
	ds_read_u16 v8, v8
.LBB404_58:
	s_or_b64 exec, exec, s[34:35]
	v_cndmask_b32_e64 v17, 0, 1, vcc
	v_cndmask_b32_e64 v54, 0, 1, s[6:7]
	v_cndmask_b32_e64 v55, 0, 1, s[10:11]
	;; [unrolled: 1-line block ×13, first 2 shown]
	s_waitcnt vmcnt(0) lgkmcnt(0)
	v_cmp_ne_u16_e64 s[4:5], v8, v1
	s_mov_b64 s[6:7], -1
.LBB404_59:
                                        ; implicit-def: $sgpr12
	s_branch .LBB404_87
.LBB404_60:
                                        ; implicit-def: $sgpr4_sgpr5
                                        ; implicit-def: $vgpr17
                                        ; implicit-def: $vgpr54
                                        ; implicit-def: $vgpr55
                                        ; implicit-def: $vgpr56
                                        ; implicit-def: $vgpr57
                                        ; implicit-def: $vgpr58
                                        ; implicit-def: $vgpr59
                                        ; implicit-def: $vgpr60
                                        ; implicit-def: $vgpr61
                                        ; implicit-def: $vgpr62
                                        ; implicit-def: $vgpr63
                                        ; implicit-def: $vgpr64
                                        ; implicit-def: $vgpr65
                                        ; implicit-def: $vgpr66
                                        ; implicit-def: $sgpr12
	s_cbranch_execnz .LBB404_79
	s_branch .LBB404_87
.LBB404_61:
	v_add_co_u32_e32 v22, vcc, v8, v11
	v_addc_co_u32_e32 v23, vcc, 0, v9, vcc
	flat_load_ushort v22, v[22:23]
	s_or_b64 exec, exec, s[34:35]
                                        ; implicit-def: $vgpr23
	s_and_saveexec_b64 s[34:35], s[4:5]
	s_cbranch_execz .LBB404_39
.LBB404_62:
	v_add_co_u32_e32 v24, vcc, v8, v11
	v_addc_co_u32_e32 v25, vcc, 0, v9, vcc
	flat_load_ushort v23, v[24:25] offset:512
	s_or_b64 exec, exec, s[34:35]
                                        ; implicit-def: $vgpr24
	s_and_saveexec_b64 s[4:5], s[6:7]
	s_cbranch_execz .LBB404_40
.LBB404_63:
	v_add_co_u32_e32 v24, vcc, v8, v11
	v_addc_co_u32_e32 v25, vcc, 0, v9, vcc
	flat_load_ushort v24, v[24:25] offset:1024
	s_or_b64 exec, exec, s[4:5]
                                        ; implicit-def: $vgpr25
	s_and_saveexec_b64 s[4:5], s[8:9]
	s_cbranch_execz .LBB404_41
.LBB404_64:
	v_add_co_u32_e32 v26, vcc, v8, v11
	v_addc_co_u32_e32 v27, vcc, 0, v9, vcc
	flat_load_ushort v25, v[26:27] offset:1536
	s_or_b64 exec, exec, s[4:5]
                                        ; implicit-def: $vgpr26
	s_and_saveexec_b64 s[4:5], s[10:11]
	s_cbranch_execz .LBB404_42
.LBB404_65:
	v_add_co_u32_e32 v26, vcc, v8, v11
	v_addc_co_u32_e32 v27, vcc, 0, v9, vcc
	flat_load_ushort v26, v[26:27] offset:2048
	s_or_b64 exec, exec, s[4:5]
                                        ; implicit-def: $vgpr27
	s_and_saveexec_b64 s[4:5], s[12:13]
	s_cbranch_execz .LBB404_43
.LBB404_66:
	v_add_co_u32_e32 v28, vcc, v8, v11
	v_addc_co_u32_e32 v29, vcc, 0, v9, vcc
	flat_load_ushort v27, v[28:29] offset:2560
	s_or_b64 exec, exec, s[4:5]
                                        ; implicit-def: $vgpr28
	s_and_saveexec_b64 s[4:5], s[14:15]
	s_cbranch_execz .LBB404_44
.LBB404_67:
	v_add_co_u32_e32 v28, vcc, v8, v11
	v_addc_co_u32_e32 v29, vcc, 0, v9, vcc
	flat_load_ushort v28, v[28:29] offset:3072
	s_or_b64 exec, exec, s[4:5]
                                        ; implicit-def: $vgpr29
	s_and_saveexec_b64 s[4:5], s[16:17]
	s_cbranch_execz .LBB404_45
.LBB404_68:
	v_add_co_u32_e32 v30, vcc, v8, v11
	v_addc_co_u32_e32 v31, vcc, 0, v9, vcc
	flat_load_ushort v29, v[30:31] offset:3584
	s_or_b64 exec, exec, s[4:5]
                                        ; implicit-def: $vgpr30
	s_and_saveexec_b64 s[4:5], s[18:19]
	s_cbranch_execz .LBB404_46
.LBB404_69:
	v_lshlrev_b32_e32 v12, 1, v12
	v_add_co_u32_e32 v30, vcc, v8, v12
	v_addc_co_u32_e32 v31, vcc, 0, v9, vcc
	flat_load_ushort v30, v[30:31]
	s_or_b64 exec, exec, s[4:5]
                                        ; implicit-def: $vgpr31
	s_and_saveexec_b64 s[4:5], s[20:21]
	s_cbranch_execz .LBB404_47
.LBB404_70:
	v_lshlrev_b32_e32 v12, 1, v13
	v_add_co_u32_e32 v12, vcc, v8, v12
	v_addc_co_u32_e32 v13, vcc, 0, v9, vcc
	flat_load_ushort v31, v[12:13]
	s_or_b64 exec, exec, s[4:5]
                                        ; implicit-def: $vgpr13
	s_and_saveexec_b64 s[4:5], s[22:23]
	s_cbranch_execz .LBB404_48
.LBB404_71:
	v_lshlrev_b32_e32 v12, 1, v17
	v_add_co_u32_e32 v12, vcc, v8, v12
	v_addc_co_u32_e32 v13, vcc, 0, v9, vcc
	flat_load_ushort v13, v[12:13]
	s_or_b64 exec, exec, s[4:5]
                                        ; implicit-def: $vgpr17
	s_and_saveexec_b64 s[4:5], s[24:25]
	s_cbranch_execz .LBB404_49
.LBB404_72:
	v_lshlrev_b32_e32 v12, 1, v18
	v_add_co_u32_e32 v32, vcc, v8, v12
	v_addc_co_u32_e32 v33, vcc, 0, v9, vcc
	flat_load_ushort v17, v[32:33]
	s_or_b64 exec, exec, s[4:5]
                                        ; implicit-def: $vgpr18
	s_and_saveexec_b64 s[4:5], s[26:27]
	s_cbranch_execz .LBB404_50
.LBB404_73:
	v_lshlrev_b32_e32 v12, 1, v19
	v_add_co_u32_e32 v18, vcc, v8, v12
	v_addc_co_u32_e32 v19, vcc, 0, v9, vcc
	flat_load_ushort v18, v[18:19]
	s_or_b64 exec, exec, s[4:5]
                                        ; implicit-def: $vgpr19
	s_and_saveexec_b64 s[4:5], s[28:29]
	s_cbranch_execz .LBB404_51
.LBB404_74:
	v_lshlrev_b32_e32 v12, 1, v20
	v_add_co_u32_e32 v32, vcc, v8, v12
	v_addc_co_u32_e32 v33, vcc, 0, v9, vcc
	flat_load_ushort v19, v[32:33]
	s_or_b64 exec, exec, s[4:5]
                                        ; implicit-def: $vgpr20
	s_and_saveexec_b64 s[4:5], s[30:31]
	s_cbranch_execnz .LBB404_52
	s_branch .LBB404_53
.LBB404_75:
                                        ; implicit-def: $sgpr4_sgpr5
                                        ; implicit-def: $vgpr17
                                        ; implicit-def: $vgpr54
                                        ; implicit-def: $vgpr55
                                        ; implicit-def: $vgpr56
                                        ; implicit-def: $vgpr57
                                        ; implicit-def: $vgpr58
                                        ; implicit-def: $vgpr59
                                        ; implicit-def: $vgpr60
                                        ; implicit-def: $vgpr61
                                        ; implicit-def: $vgpr62
                                        ; implicit-def: $vgpr63
                                        ; implicit-def: $vgpr64
                                        ; implicit-def: $vgpr65
                                        ; implicit-def: $vgpr66
	s_cbranch_execz .LBB404_59
; %bb.76:
	v_cmp_ne_u16_sdwa s[4:5], v15, v16 src0_sel:WORD_1 src1_sel:DWORD
	v_cndmask_b32_e64 v54, 0, 1, s[4:5]
	v_cmp_ne_u16_sdwa s[4:5], v15, v15 src0_sel:DWORD src1_sel:WORD_1
	v_cndmask_b32_e64 v55, 0, 1, s[4:5]
	v_cmp_ne_u16_sdwa s[4:5], v14, v15 src0_sel:WORD_1 src1_sel:DWORD
	v_cndmask_b32_e64 v56, 0, 1, s[4:5]
	v_cmp_ne_u16_sdwa s[4:5], v14, v14 src0_sel:DWORD src1_sel:WORD_1
	v_cndmask_b32_e64 v57, 0, 1, s[4:5]
	;; [unrolled: 4-line block ×4, first 2 shown]
	v_cmp_ne_u16_sdwa s[4:5], v3, v4 src0_sel:WORD_1 src1_sel:DWORD
	v_lshrrev_b32_e32 v9, 16, v16
	v_cndmask_b32_e64 v62, 0, 1, s[4:5]
	v_cmp_ne_u16_sdwa s[4:5], v3, v3 src0_sel:DWORD src1_sel:WORD_1
	v_cmp_ne_u16_e32 vcc, v16, v9
	v_cndmask_b32_e64 v63, 0, 1, s[4:5]
	v_cmp_ne_u16_sdwa s[4:5], v2, v3 src0_sel:WORD_1 src1_sel:DWORD
	v_cndmask_b32_e64 v17, 0, 1, vcc
	v_cndmask_b32_e64 v64, 0, 1, s[4:5]
	v_cmp_ne_u16_sdwa s[4:5], v2, v2 src0_sel:DWORD src1_sel:WORD_1
	v_cmp_ne_u16_e32 vcc, v1, v2
	s_mov_b32 s12, 1
	v_lshlrev_b32_e32 v8, 1, v0
	v_cndmask_b32_e64 v65, 0, 1, s[4:5]
	v_cndmask_b32_e64 v66, 0, 1, vcc
	ds_write_b16 v8, v9
	s_waitcnt lgkmcnt(0)
	s_barrier
	s_waitcnt lgkmcnt(0)
                                        ; implicit-def: $sgpr4_sgpr5
	s_and_saveexec_b64 s[10:11], s[2:3]
	s_xor_b64 s[10:11], exec, s[10:11]
	s_cbranch_execz .LBB404_78
; %bb.77:
	v_add_u32_e32 v8, -2, v8
	ds_read_u16 v8, v8
	s_or_b64 s[6:7], s[6:7], exec
	s_waitcnt lgkmcnt(0)
	v_cmp_ne_u16_e32 vcc, v8, v1
	s_and_b64 s[4:5], vcc, exec
.LBB404_78:
	s_or_b64 exec, exec, s[10:11]
	s_branch .LBB404_87
.LBB404_79:
	s_mul_hi_u32 s5, s40, 0xfffff100
	s_mul_i32 s4, s41, 0xfffff100
	s_sub_i32 s5, s5, s40
	s_add_i32 s5, s5, s4
	s_mul_i32 s4, s40, 0xfffff100
	s_add_u32 s10, s4, s56
	s_addc_u32 s11, s5, s57
	s_and_b64 vcc, exec, s[8:9]
	s_cbranch_vccz .LBB404_84
; %bb.80:
	v_add_co_u32_e32 v6, vcc, -2, v6
	v_addc_co_u32_e32 v7, vcc, -1, v7, vcc
	flat_load_ushort v10, v[6:7]
	v_lshrrev_b32_e32 v11, 16, v16
	v_mad_u32_u24 v8, v0, 15, 14
	v_mov_b32_e32 v9, 0
	v_cmp_gt_u64_e32 vcc, s[10:11], v[8:9]
	v_cmp_ne_u16_e64 s[4:5], v16, v11
	v_mad_u32_u24 v8, v0, 15, 13
	s_and_b64 s[6:7], vcc, s[4:5]
	v_cmp_gt_u64_e32 vcc, s[10:11], v[8:9]
	v_cmp_ne_u16_sdwa s[4:5], v15, v16 src0_sel:WORD_1 src1_sel:DWORD
	v_mad_u32_u24 v8, v0, 15, 12
	s_and_b64 s[8:9], vcc, s[4:5]
	v_cmp_gt_u64_e32 vcc, s[10:11], v[8:9]
	v_cmp_ne_u16_sdwa s[4:5], v15, v15 src0_sel:DWORD src1_sel:WORD_1
	v_mad_u32_u24 v8, v0, 15, 11
	s_and_b64 s[12:13], vcc, s[4:5]
	v_cmp_gt_u64_e32 vcc, s[10:11], v[8:9]
	v_cmp_ne_u16_sdwa s[4:5], v14, v15 src0_sel:WORD_1 src1_sel:DWORD
	v_mad_u32_u24 v8, v0, 15, 10
	s_and_b64 s[14:15], vcc, s[4:5]
	v_cmp_gt_u64_e32 vcc, s[10:11], v[8:9]
	v_cmp_ne_u16_sdwa s[4:5], v14, v14 src0_sel:DWORD src1_sel:WORD_1
	;; [unrolled: 8-line block ×6, first 2 shown]
	v_mad_u32_u24 v8, v0, 15, 1
	s_and_b64 s[34:35], vcc, s[4:5]
	v_cmp_gt_u64_e32 vcc, s[10:11], v[8:9]
	v_cmp_ne_u16_e64 s[4:5], v1, v2
	v_lshlrev_b32_e32 v7, 1, v0
	v_mul_u32_u24_e32 v6, 15, v0
	s_and_b64 s[4:5], vcc, s[4:5]
	ds_write_b16 v7, v11
	s_waitcnt lgkmcnt(0)
	s_barrier
	s_and_saveexec_b64 s[40:41], s[2:3]
	s_cbranch_execz .LBB404_82
; %bb.81:
	v_add_u32_e32 v7, -2, v7
	s_waitcnt vmcnt(0)
	ds_read_u16 v10, v7
.LBB404_82:
	s_or_b64 exec, exec, s[40:41]
	v_mov_b32_e32 v7, v9
	v_cndmask_b32_e64 v66, 0, 1, s[4:5]
	v_cmp_gt_u64_e32 vcc, s[10:11], v[6:7]
	s_waitcnt vmcnt(0) lgkmcnt(0)
	v_cmp_ne_u16_e64 s[4:5], v10, v1
	v_cndmask_b32_e64 v17, 0, 1, s[6:7]
	v_cndmask_b32_e64 v54, 0, 1, s[8:9]
	;; [unrolled: 1-line block ×13, first 2 shown]
	s_and_b64 s[4:5], vcc, s[4:5]
	s_mov_b64 s[6:7], -1
.LBB404_83:
                                        ; implicit-def: $sgpr12
	v_mov_b32_e32 v68, s12
	s_and_saveexec_b64 s[2:3], s[6:7]
	s_cbranch_execnz .LBB404_88
	s_branch .LBB404_89
.LBB404_84:
                                        ; implicit-def: $sgpr4_sgpr5
                                        ; implicit-def: $vgpr17
                                        ; implicit-def: $vgpr54
                                        ; implicit-def: $vgpr55
                                        ; implicit-def: $vgpr56
                                        ; implicit-def: $vgpr57
                                        ; implicit-def: $vgpr58
                                        ; implicit-def: $vgpr59
                                        ; implicit-def: $vgpr60
                                        ; implicit-def: $vgpr61
                                        ; implicit-def: $vgpr62
                                        ; implicit-def: $vgpr63
                                        ; implicit-def: $vgpr64
                                        ; implicit-def: $vgpr65
                                        ; implicit-def: $vgpr66
	s_cbranch_execz .LBB404_83
; %bb.85:
	v_lshrrev_b32_e32 v9, 16, v16
	v_mad_u32_u24 v6, v0, 15, 14
	v_mov_b32_e32 v7, 0
	v_cmp_gt_u64_e32 vcc, s[10:11], v[6:7]
	v_cmp_ne_u16_e64 s[4:5], v16, v9
	s_and_b64 s[4:5], vcc, s[4:5]
	v_mad_u32_u24 v6, v0, 15, 13
	v_cndmask_b32_e64 v17, 0, 1, s[4:5]
	v_cmp_gt_u64_e32 vcc, s[10:11], v[6:7]
	v_cmp_ne_u16_sdwa s[4:5], v15, v16 src0_sel:WORD_1 src1_sel:DWORD
	s_and_b64 s[4:5], vcc, s[4:5]
	v_mad_u32_u24 v6, v0, 15, 12
	v_cndmask_b32_e64 v54, 0, 1, s[4:5]
	v_cmp_gt_u64_e32 vcc, s[10:11], v[6:7]
	v_cmp_ne_u16_sdwa s[4:5], v15, v15 src0_sel:DWORD src1_sel:WORD_1
	s_and_b64 s[4:5], vcc, s[4:5]
	v_mad_u32_u24 v6, v0, 15, 11
	v_cndmask_b32_e64 v55, 0, 1, s[4:5]
	v_cmp_gt_u64_e32 vcc, s[10:11], v[6:7]
	v_cmp_ne_u16_sdwa s[4:5], v14, v15 src0_sel:WORD_1 src1_sel:DWORD
	s_and_b64 s[4:5], vcc, s[4:5]
	v_mad_u32_u24 v6, v0, 15, 10
	v_cndmask_b32_e64 v56, 0, 1, s[4:5]
	v_cmp_gt_u64_e32 vcc, s[10:11], v[6:7]
	v_cmp_ne_u16_sdwa s[4:5], v14, v14 src0_sel:DWORD src1_sel:WORD_1
	;; [unrolled: 10-line block ×6, first 2 shown]
	s_and_b64 s[4:5], vcc, s[4:5]
	v_mad_u32_u24 v6, v0, 15, 1
	v_cndmask_b32_e64 v65, 0, 1, s[4:5]
	v_cmp_gt_u64_e32 vcc, s[10:11], v[6:7]
	v_cmp_ne_u16_e64 s[4:5], v1, v2
	s_and_b64 s[4:5], vcc, s[4:5]
	s_mov_b32 s12, 1
	v_lshlrev_b32_e32 v8, 1, v0
	v_cndmask_b32_e64 v66, 0, 1, s[4:5]
	ds_write_b16 v8, v9
	s_waitcnt lgkmcnt(0)
	s_barrier
	s_waitcnt lgkmcnt(0)
                                        ; implicit-def: $sgpr4_sgpr5
	s_and_saveexec_b64 s[8:9], s[2:3]
	s_cbranch_execz .LBB404_196
; %bb.86:
	v_add_u32_e32 v6, -2, v8
	ds_read_u16 v8, v6
	v_mul_u32_u24_e32 v6, 15, v0
	v_cmp_gt_u64_e32 vcc, s[10:11], v[6:7]
	s_or_b64 s[6:7], s[6:7], exec
	s_waitcnt lgkmcnt(0)
	v_cmp_ne_u16_e64 s[2:3], v8, v1
	s_and_b64 s[2:3], vcc, s[2:3]
	s_and_b64 s[4:5], s[2:3], exec
	s_or_b64 exec, exec, s[8:9]
.LBB404_87:
	v_mov_b32_e32 v68, s12
	s_and_saveexec_b64 s[2:3], s[6:7]
.LBB404_88:
	v_cndmask_b32_e64 v68, 0, 1, s[4:5]
.LBB404_89:
	s_or_b64 exec, exec, s[2:3]
	s_cmp_eq_u64 s[46:47], 0
	v_add3_u32 v6, v66, v68, v65
	s_cselect_b64 s[30:31], -1, 0
	s_cmp_lg_u32 s62, 0
	v_cmp_eq_u32_e64 s[26:27], 0, v66
	v_cmp_eq_u32_e64 s[24:25], 0, v65
	;; [unrolled: 1-line block ×3, first 2 shown]
	v_add3_u32 v83, v6, v64, v63
	v_cmp_eq_u32_e64 s[20:21], 0, v63
	v_cmp_eq_u32_e64 s[18:19], 0, v62
	;; [unrolled: 1-line block ×10, first 2 shown]
	v_cmp_eq_u32_e32 vcc, 0, v17
	v_mbcnt_lo_u32_b32 v82, -1, 0
	v_lshrrev_b32_e32 v80, 6, v0
	v_or_b32_e32 v81, 63, v0
	s_cbranch_scc0 .LBB404_120
; %bb.90:
	v_cndmask_b32_e64 v6, 0, v77, s[26:27]
	v_add_u16_e32 v6, v6, v76
	v_cndmask_b32_e64 v6, 0, v6, s[24:25]
	v_add_u16_e32 v6, v6, v78
	;; [unrolled: 2-line block ×11, first 2 shown]
	v_cndmask_b32_e64 v6, 0, v6, s[4:5]
	v_add3_u32 v7, v83, v62, v61
	v_add_u16_e32 v6, v6, v52
	v_add3_u32 v7, v7, v60, v59
	v_cndmask_b32_e64 v6, 0, v6, s[2:3]
	v_add3_u32 v7, v7, v58, v57
	v_add_u16_e32 v6, v6, v50
	v_add3_u32 v7, v7, v56, v55
	v_cndmask_b32_e32 v6, 0, v6, vcc
	v_add3_u32 v7, v7, v54, v17
	v_add_u16_e32 v6, v6, v79
	v_mbcnt_hi_u32_b32 v19, -1, v82
	v_and_b32_e32 v8, 15, v19
	v_mov_b32_dpp v10, v6 row_shr:1 row_mask:0xf bank_mask:0xf
	v_cmp_eq_u32_e32 vcc, 0, v7
	v_mov_b32_dpp v9, v7 row_shr:1 row_mask:0xf bank_mask:0xf
	v_cndmask_b32_e32 v10, 0, v10, vcc
	v_cmp_eq_u32_e32 vcc, 0, v8
	v_add_u16_e32 v10, v10, v6
	v_cndmask_b32_e64 v9, v9, 0, vcc
	v_add_u32_e32 v7, v9, v7
	v_cndmask_b32_e32 v6, v10, v6, vcc
	v_cmp_eq_u32_e32 vcc, 0, v7
	v_mov_b32_dpp v9, v7 row_shr:2 row_mask:0xf bank_mask:0xf
	v_mov_b32_dpp v10, v6 row_shr:2 row_mask:0xf bank_mask:0xf
	v_cndmask_b32_e32 v10, 0, v10, vcc
	v_cmp_lt_u32_e32 vcc, 1, v8
	v_add_u16_e32 v10, v10, v6
	v_cndmask_b32_e32 v9, 0, v9, vcc
	v_cndmask_b32_e32 v6, v6, v10, vcc
	v_add_u32_e32 v7, v7, v9
	v_cmp_eq_u32_e32 vcc, 0, v7
	v_mov_b32_dpp v10, v6 row_shr:4 row_mask:0xf bank_mask:0xf
	v_mov_b32_dpp v9, v7 row_shr:4 row_mask:0xf bank_mask:0xf
	v_cndmask_b32_e32 v10, 0, v10, vcc
	v_cmp_lt_u32_e32 vcc, 3, v8
	v_add_u16_e32 v10, v10, v6
	v_cndmask_b32_e32 v9, 0, v9, vcc
	v_cndmask_b32_e32 v6, v6, v10, vcc
	v_add_u32_e32 v7, v9, v7
	;; [unrolled: 9-line block ×3, first 2 shown]
	v_bfe_i32 v10, v19, 4, 1
	v_mov_b32_dpp v9, v6 row_bcast:15 row_mask:0xf bank_mask:0xf
	v_mov_b32_dpp v8, v7 row_bcast:15 row_mask:0xf bank_mask:0xf
	v_cmp_eq_u32_e32 vcc, 0, v7
	v_and_b32_e32 v11, 16, v19
	v_cndmask_b32_e32 v9, 0, v9, vcc
	v_and_b32_e32 v8, v10, v8
	v_add_u16_e32 v9, v9, v6
	v_add_u32_e32 v7, v8, v7
	v_cmp_eq_u32_e32 vcc, 0, v11
	v_cndmask_b32_e32 v8, v9, v6, vcc
	v_mov_b32_dpp v6, v7 row_bcast:31 row_mask:0xf bank_mask:0xf
	v_cmp_eq_u32_e32 vcc, 0, v7
	v_cmp_lt_u32_e64 s[28:29], 31, v19
	v_mov_b32_dpp v9, v8 row_bcast:31 row_mask:0xf bank_mask:0xf
	v_cndmask_b32_e64 v6, 0, v6, s[28:29]
	s_and_b64 vcc, s[28:29], vcc
	v_add_u32_e32 v6, v6, v7
	v_cndmask_b32_e32 v7, 0, v9, vcc
	v_add_u16_e32 v7, v7, v8
	v_cmp_eq_u32_e32 vcc, v81, v0
	v_lshlrev_b32_e32 v8, 3, v80
	s_and_saveexec_b64 s[28:29], vcc
	s_cbranch_execz .LBB404_92
; %bb.91:
	ds_write_b32 v8, v6 offset:1040
	ds_write_b16 v8, v7 offset:1044
.LBB404_92:
	s_or_b64 exec, exec, s[28:29]
	v_cmp_gt_u32_e32 vcc, 4, v0
	s_waitcnt lgkmcnt(0)
	s_barrier
	s_and_saveexec_b64 s[34:35], vcc
	s_cbranch_execz .LBB404_94
; %bb.93:
	v_lshlrev_b32_e32 v9, 3, v0
	ds_read_b64 v[10:11], v9 offset:1040
	v_and_b32_e32 v12, 3, v19
	s_mov_b32 s28, 0xffff0000
	s_waitcnt lgkmcnt(0)
	v_mov_b32_dpp v18, v11 row_shr:1 row_mask:0xf bank_mask:0xf
	v_cmp_eq_u32_e32 vcc, 0, v10
	v_mov_b32_dpp v13, v10 row_shr:1 row_mask:0xf bank_mask:0xf
	v_cndmask_b32_e32 v18, 0, v18, vcc
	v_cmp_eq_u32_e32 vcc, 0, v12
	v_add_u16_e32 v18, v18, v11
	v_cndmask_b32_e64 v13, v13, 0, vcc
	v_and_or_b32 v20, v11, s28, v18
	v_add_u32_e32 v10, v13, v10
	v_cndmask_b32_e32 v13, v18, v11, vcc
	v_cndmask_b32_e32 v11, v20, v11, vcc
	v_mov_b32_dpp v18, v10 row_shr:2 row_mask:0xf bank_mask:0xf
	v_cmp_eq_u32_e32 vcc, 0, v10
	v_cmp_lt_u32_e64 s[28:29], 1, v12
	v_mov_b32_dpp v11, v11 row_shr:2 row_mask:0xf bank_mask:0xf
	v_cndmask_b32_e64 v12, 0, v18, s[28:29]
	s_and_b64 vcc, s[28:29], vcc
	v_add_u32_e32 v10, v12, v10
	v_cndmask_b32_e32 v11, 0, v11, vcc
	v_add_u16_e32 v11, v13, v11
	ds_write_b32 v9, v10 offset:1040
	ds_write_b16 v9, v11 offset:1044
.LBB404_94:
	s_or_b64 exec, exec, s[34:35]
	v_cmp_gt_u32_e32 vcc, 64, v0
	v_cmp_lt_u32_e64 s[28:29], 63, v0
	v_mov_b32_e32 v22, 0
	v_mov_b32_e32 v23, 0
	s_waitcnt lgkmcnt(0)
	s_barrier
	s_and_saveexec_b64 s[34:35], s[28:29]
	s_cbranch_execz .LBB404_96
; %bb.95:
	ds_read_b32 v22, v8 offset:1032
	ds_read_u16 v23, v8 offset:1036
	v_cmp_eq_u32_e64 s[28:29], 0, v6
	s_waitcnt lgkmcnt(1)
	v_add_u32_e32 v8, v22, v6
	s_waitcnt lgkmcnt(0)
	v_cndmask_b32_e64 v6, 0, v23, s[28:29]
	v_add_u16_e32 v7, v6, v7
	v_mov_b32_e32 v6, v8
.LBB404_96:
	s_or_b64 exec, exec, s[34:35]
	v_add_u32_e32 v8, -1, v19
	v_and_b32_e32 v9, 64, v19
	v_cmp_lt_i32_e64 s[28:29], v8, v9
	v_cndmask_b32_e64 v8, v8, v19, s[28:29]
	v_and_b32_e32 v7, 0xffff, v7
	v_lshlrev_b32_e32 v8, 2, v8
	ds_bpermute_b32 v24, v8, v6
	ds_bpermute_b32 v25, v8, v7
	v_cmp_eq_u32_e64 s[28:29], 0, v19
	s_and_saveexec_b64 s[34:35], vcc
	s_cbranch_execz .LBB404_119
; %bb.97:
	v_mov_b32_e32 v9, 0
	ds_read_b64 v[6:7], v9 offset:1064
	s_waitcnt lgkmcnt(0)
	v_readfirstlane_b32 s48, v7
	s_and_saveexec_b64 s[40:41], s[28:29]
	s_cbranch_execz .LBB404_99
; %bb.98:
	s_add_i32 s46, s62, 64
	s_mov_b32 s47, 0
	s_lshl_b64 s[50:51], s[46:47], 4
	s_add_u32 s50, s44, s50
	s_addc_u32 s51, s45, s51
	s_and_b32 s57, s48, 0xff000000
	s_mov_b32 s56, s47
	s_and_b32 s65, s48, 0xff0000
	s_mov_b32 s64, s47
	s_or_b64 s[56:57], s[64:65], s[56:57]
	s_and_b32 s65, s48, 0xff00
	s_or_b64 s[56:57], s[56:57], s[64:65]
	s_and_b32 s65, s48, 0xff
	s_or_b64 s[46:47], s[56:57], s[64:65]
	v_mov_b32_e32 v7, s47
	v_mov_b32_e32 v8, 1
	v_pk_mov_b32 v[10:11], s[50:51], s[50:51] op_sel:[0,1]
	;;#ASMSTART
	global_store_dwordx4 v[10:11], v[6:9] off	
s_waitcnt vmcnt(0)
	;;#ASMEND
.LBB404_99:
	s_or_b64 exec, exec, s[40:41]
	v_xad_u32 v18, v19, -1, s62
	v_add_u32_e32 v8, 64, v18
	v_lshlrev_b64 v[10:11], 4, v[8:9]
	v_mov_b32_e32 v7, s45
	v_add_co_u32_e32 v20, vcc, s44, v10
	v_addc_co_u32_e32 v21, vcc, v7, v11, vcc
	;;#ASMSTART
	global_load_dwordx4 v[10:13], v[20:21] off glc	
s_waitcnt vmcnt(0)
	;;#ASMEND
	v_and_b32_e32 v7, 0xffffff, v10
	v_and_b32_e32 v8, 0xff000000, v10
	v_or_b32_e32 v7, v7, v8
	v_and_b32_e32 v8, 0xff, v11
	v_and_b32_e32 v10, 0xff00, v11
	v_or3_b32 v11, 0, v8, v10
	v_or3_b32 v10, v7, 0, 0
	v_cmp_eq_u16_sdwa s[46:47], v12, v9 src0_sel:BYTE_0 src1_sel:DWORD
	s_and_saveexec_b64 s[40:41], s[46:47]
	s_cbranch_execz .LBB404_105
; %bb.100:
	s_mov_b32 s49, 1
	s_mov_b64 s[46:47], 0
	v_mov_b32_e32 v7, 0
.LBB404_101:                            ; =>This Loop Header: Depth=1
                                        ;     Child Loop BB404_102 Depth 2
	s_max_u32 s50, s49, 1
.LBB404_102:                            ;   Parent Loop BB404_101 Depth=1
                                        ; =>  This Inner Loop Header: Depth=2
	s_add_i32 s50, s50, -1
	s_cmp_eq_u32 s50, 0
	s_sleep 1
	s_cbranch_scc0 .LBB404_102
; %bb.103:                              ;   in Loop: Header=BB404_101 Depth=1
	s_cmp_lt_u32 s49, 32
	s_cselect_b64 s[50:51], -1, 0
	s_cmp_lg_u64 s[50:51], 0
	s_addc_u32 s49, s49, 0
	;;#ASMSTART
	global_load_dwordx4 v[10:13], v[20:21] off glc	
s_waitcnt vmcnt(0)
	;;#ASMEND
	v_cmp_ne_u16_sdwa s[50:51], v12, v7 src0_sel:BYTE_0 src1_sel:DWORD
	s_or_b64 s[46:47], s[50:51], s[46:47]
	s_andn2_b64 exec, exec, s[46:47]
	s_cbranch_execnz .LBB404_101
; %bb.104:
	s_or_b64 exec, exec, s[46:47]
	v_and_b32_e32 v11, 0xffff, v11
.LBB404_105:
	s_or_b64 exec, exec, s[40:41]
	v_mov_b32_e32 v7, 2
	v_and_b32_e32 v26, 63, v19
	v_cmp_eq_u16_sdwa s[40:41], v12, v7 src0_sel:BYTE_0 src1_sel:DWORD
	v_lshlrev_b64 v[8:9], v19, -1
	v_cmp_ne_u32_e32 vcc, 63, v26
	v_and_b32_e32 v13, s41, v9
	v_addc_co_u32_e32 v21, vcc, 0, v19, vcc
	v_or_b32_e32 v13, 0x80000000, v13
	v_lshlrev_b32_e32 v27, 2, v21
	v_and_b32_e32 v20, s40, v8
	v_ffbl_b32_e32 v13, v13
	ds_bpermute_b32 v21, v27, v11
	v_add_u32_e32 v13, 32, v13
	v_ffbl_b32_e32 v20, v20
	v_min_u32_e32 v13, v20, v13
	ds_bpermute_b32 v20, v27, v10
	v_cmp_eq_u32_e32 vcc, 0, v10
	s_waitcnt lgkmcnt(1)
	v_cndmask_b32_e32 v21, 0, v21, vcc
	v_add_u16_e32 v21, v21, v11
	v_cmp_lt_u32_e32 vcc, v26, v13
	v_cndmask_b32_e32 v11, v11, v21, vcc
	s_waitcnt lgkmcnt(0)
	v_cndmask_b32_e32 v20, 0, v20, vcc
	v_cmp_gt_u32_e32 vcc, 62, v26
	v_cndmask_b32_e64 v21, 0, 1, vcc
	v_lshlrev_b32_e32 v21, 1, v21
	v_add_lshl_u32 v28, v21, v19, 2
	ds_bpermute_b32 v21, v28, v11
	v_add_u32_e32 v10, v20, v10
	ds_bpermute_b32 v20, v28, v10
	v_cmp_eq_u32_e32 vcc, 0, v10
	v_add_u32_e32 v29, 2, v26
	s_waitcnt lgkmcnt(1)
	v_cndmask_b32_e32 v21, 0, v21, vcc
	v_add_u16_e32 v21, v21, v11
	v_cmp_gt_u32_e32 vcc, v29, v13
	v_cndmask_b32_e32 v11, v21, v11, vcc
	s_waitcnt lgkmcnt(0)
	v_cndmask_b32_e64 v20, v20, 0, vcc
	v_cmp_gt_u32_e32 vcc, 60, v26
	v_cndmask_b32_e64 v21, 0, 1, vcc
	v_lshlrev_b32_e32 v21, 2, v21
	v_add_lshl_u32 v30, v21, v19, 2
	ds_bpermute_b32 v21, v30, v11
	v_add_u32_e32 v10, v10, v20
	ds_bpermute_b32 v20, v30, v10
	v_cmp_eq_u32_e32 vcc, 0, v10
	v_add_u32_e32 v31, 4, v26
	s_waitcnt lgkmcnt(1)
	v_cndmask_b32_e32 v21, 0, v21, vcc
	v_add_u16_e32 v21, v11, v21
	v_cmp_gt_u32_e32 vcc, v31, v13
	v_cndmask_b32_e32 v11, v21, v11, vcc
	s_waitcnt lgkmcnt(0)
	v_cndmask_b32_e64 v20, v20, 0, vcc
	;; [unrolled: 16-line block ×4, first 2 shown]
	v_cmp_gt_u32_e32 vcc, 32, v26
	v_cndmask_b32_e64 v21, 0, 1, vcc
	v_lshlrev_b32_e32 v21, 5, v21
	v_add_lshl_u32 v38, v21, v19, 2
	ds_bpermute_b32 v19, v38, v11
	v_add_u32_e32 v10, v10, v20
	ds_bpermute_b32 v20, v38, v10
	v_add_u32_e32 v39, 32, v26
	v_cmp_eq_u32_e32 vcc, 0, v10
	s_waitcnt lgkmcnt(1)
	v_cndmask_b32_e32 v19, 0, v19, vcc
	v_cmp_gt_u32_e32 vcc, v39, v13
	v_cndmask_b32_e64 v13, v19, 0, vcc
	v_add_u16_e32 v11, v11, v13
	s_waitcnt lgkmcnt(0)
	v_cndmask_b32_e64 v13, v20, 0, vcc
	v_add_u32_e32 v10, v13, v10
	v_mov_b32_e32 v19, 0
	s_branch .LBB404_107
.LBB404_106:                            ;   in Loop: Header=BB404_107 Depth=1
	s_or_b64 exec, exec, s[40:41]
	v_cmp_eq_u16_sdwa s[40:41], v12, v7 src0_sel:BYTE_0 src1_sel:DWORD
	ds_bpermute_b32 v21, v27, v11
	v_and_b32_e32 v13, s41, v9
	v_or_b32_e32 v13, 0x80000000, v13
	v_and_b32_e32 v20, s40, v8
	v_ffbl_b32_e32 v13, v13
	v_add_u32_e32 v13, 32, v13
	v_ffbl_b32_e32 v20, v20
	v_cmp_eq_u32_e32 vcc, 0, v10
	v_min_u32_e32 v13, v20, v13
	ds_bpermute_b32 v20, v27, v10
	s_waitcnt lgkmcnt(1)
	v_cndmask_b32_e32 v21, 0, v21, vcc
	v_add_u16_e32 v21, v21, v11
	v_cmp_lt_u32_e32 vcc, v26, v13
	v_cndmask_b32_e32 v11, v11, v21, vcc
	ds_bpermute_b32 v21, v28, v11
	s_waitcnt lgkmcnt(1)
	v_cndmask_b32_e32 v20, 0, v20, vcc
	v_add_u32_e32 v10, v20, v10
	v_cmp_eq_u32_e32 vcc, 0, v10
	ds_bpermute_b32 v20, v28, v10
	s_waitcnt lgkmcnt(1)
	v_cndmask_b32_e32 v21, 0, v21, vcc
	v_add_u16_e32 v21, v21, v11
	v_cmp_gt_u32_e32 vcc, v29, v13
	v_cndmask_b32_e32 v11, v21, v11, vcc
	ds_bpermute_b32 v21, v30, v11
	s_waitcnt lgkmcnt(1)
	v_cndmask_b32_e64 v20, v20, 0, vcc
	v_add_u32_e32 v10, v10, v20
	v_cmp_eq_u32_e32 vcc, 0, v10
	ds_bpermute_b32 v20, v30, v10
	s_waitcnt lgkmcnt(1)
	v_cndmask_b32_e32 v21, 0, v21, vcc
	v_add_u16_e32 v21, v11, v21
	v_cmp_gt_u32_e32 vcc, v31, v13
	v_cndmask_b32_e32 v11, v21, v11, vcc
	ds_bpermute_b32 v21, v32, v11
	s_waitcnt lgkmcnt(1)
	v_cndmask_b32_e64 v20, v20, 0, vcc
	v_add_u32_e32 v10, v10, v20
	ds_bpermute_b32 v20, v32, v10
	v_cmp_eq_u32_e32 vcc, 0, v10
	s_waitcnt lgkmcnt(1)
	v_cndmask_b32_e32 v21, 0, v21, vcc
	v_add_u16_e32 v21, v11, v21
	v_cmp_gt_u32_e32 vcc, v33, v13
	v_cndmask_b32_e32 v11, v21, v11, vcc
	ds_bpermute_b32 v21, v35, v11
	s_waitcnt lgkmcnt(1)
	v_cndmask_b32_e64 v20, v20, 0, vcc
	v_add_u32_e32 v10, v10, v20
	ds_bpermute_b32 v20, v35, v10
	v_cmp_eq_u32_e32 vcc, 0, v10
	s_waitcnt lgkmcnt(1)
	v_cndmask_b32_e32 v21, 0, v21, vcc
	v_add_u16_e32 v21, v11, v21
	v_cmp_gt_u32_e32 vcc, v37, v13
	v_cndmask_b32_e32 v11, v21, v11, vcc
	ds_bpermute_b32 v21, v38, v11
	s_waitcnt lgkmcnt(1)
	v_cndmask_b32_e64 v20, v20, 0, vcc
	v_add_u32_e32 v10, v10, v20
	ds_bpermute_b32 v20, v38, v10
	v_cmp_eq_u32_e32 vcc, 0, v10
	s_waitcnt lgkmcnt(1)
	v_cndmask_b32_e32 v21, 0, v21, vcc
	v_cmp_gt_u32_e32 vcc, v39, v13
	v_cndmask_b32_e64 v13, v21, 0, vcc
	v_add_u16_e32 v11, v11, v13
	s_waitcnt lgkmcnt(0)
	v_cndmask_b32_e64 v13, v20, 0, vcc
	v_cmp_eq_u32_e32 vcc, 0, v36
	v_cndmask_b32_e32 v11, 0, v11, vcc
	v_subrev_u32_e32 v18, 64, v18
	v_add3_u32 v10, v10, v36, v13
	v_add_u16_e32 v11, v11, v34
.LBB404_107:                            ; =>This Loop Header: Depth=1
                                        ;     Child Loop BB404_110 Depth 2
                                        ;       Child Loop BB404_111 Depth 3
	v_cmp_ne_u16_sdwa s[40:41], v12, v7 src0_sel:BYTE_0 src1_sel:DWORD
	v_mov_b32_e32 v34, v11
	v_cndmask_b32_e64 v11, 0, 1, s[40:41]
	;;#ASMSTART
	;;#ASMEND
	v_cmp_ne_u32_e32 vcc, 0, v11
	s_cmp_lg_u64 vcc, exec
	v_mov_b32_e32 v36, v10
	s_cbranch_scc1 .LBB404_114
; %bb.108:                              ;   in Loop: Header=BB404_107 Depth=1
	v_lshlrev_b64 v[10:11], 4, v[18:19]
	v_mov_b32_e32 v12, s45
	v_add_co_u32_e32 v20, vcc, s44, v10
	v_addc_co_u32_e32 v21, vcc, v12, v11, vcc
	;;#ASMSTART
	global_load_dwordx4 v[10:13], v[20:21] off glc	
s_waitcnt vmcnt(0)
	;;#ASMEND
	v_and_b32_e32 v13, 0xffffff, v10
	v_and_b32_e32 v10, 0xff000000, v10
	v_or_b32_e32 v10, v13, v10
	v_and_b32_e32 v13, 0xff, v11
	v_and_b32_e32 v11, 0xff00, v11
	v_or3_b32 v11, 0, v13, v11
	v_or3_b32 v10, v10, 0, 0
	v_cmp_eq_u16_sdwa s[46:47], v12, v19 src0_sel:BYTE_0 src1_sel:DWORD
	s_and_saveexec_b64 s[40:41], s[46:47]
	s_cbranch_execz .LBB404_106
; %bb.109:                              ;   in Loop: Header=BB404_107 Depth=1
	s_mov_b32 s49, 1
	s_mov_b64 s[46:47], 0
.LBB404_110:                            ;   Parent Loop BB404_107 Depth=1
                                        ; =>  This Loop Header: Depth=2
                                        ;       Child Loop BB404_111 Depth 3
	s_max_u32 s50, s49, 1
.LBB404_111:                            ;   Parent Loop BB404_107 Depth=1
                                        ;     Parent Loop BB404_110 Depth=2
                                        ; =>    This Inner Loop Header: Depth=3
	s_add_i32 s50, s50, -1
	s_cmp_eq_u32 s50, 0
	s_sleep 1
	s_cbranch_scc0 .LBB404_111
; %bb.112:                              ;   in Loop: Header=BB404_110 Depth=2
	s_cmp_lt_u32 s49, 32
	s_cselect_b64 s[50:51], -1, 0
	s_cmp_lg_u64 s[50:51], 0
	s_addc_u32 s49, s49, 0
	;;#ASMSTART
	global_load_dwordx4 v[10:13], v[20:21] off glc	
s_waitcnt vmcnt(0)
	;;#ASMEND
	v_cmp_ne_u16_sdwa s[50:51], v12, v19 src0_sel:BYTE_0 src1_sel:DWORD
	s_or_b64 s[46:47], s[50:51], s[46:47]
	s_andn2_b64 exec, exec, s[46:47]
	s_cbranch_execnz .LBB404_110
; %bb.113:                              ;   in Loop: Header=BB404_107 Depth=1
	s_or_b64 exec, exec, s[46:47]
	v_and_b32_e32 v11, 0xffff, v11
	s_branch .LBB404_106
.LBB404_114:                            ;   in Loop: Header=BB404_107 Depth=1
                                        ; implicit-def: $vgpr11
                                        ; implicit-def: $vgpr10
                                        ; implicit-def: $vgpr12
	s_cbranch_execz .LBB404_107
; %bb.115:
	s_and_saveexec_b64 s[40:41], s[28:29]
	s_cbranch_execz .LBB404_117
; %bb.116:
	s_mov_b32 s47, 0
	v_cmp_eq_u32_e32 vcc, 0, v6
	s_add_i32 s46, s62, 64
	v_cndmask_b32_e32 v7, 0, v34, vcc
	s_lshl_b64 s[46:47], s[46:47], 4
	v_add_u16_e32 v7, s48, v7
	s_add_u32 s46, s44, s46
	s_addc_u32 s47, s45, s47
	v_and_b32_e32 v9, 0xff00, v7
	v_add_u32_e32 v8, v36, v6
	v_mov_b32_e32 v11, 0
	v_or_b32_sdwa v9, v9, v7 dst_sel:DWORD dst_unused:UNUSED_PAD src0_sel:DWORD src1_sel:BYTE_0
	v_mov_b32_e32 v10, 2
	v_pk_mov_b32 v[12:13], s[46:47], s[46:47] op_sel:[0,1]
	;;#ASMSTART
	global_store_dwordx4 v[12:13], v[8:11] off	
s_waitcnt vmcnt(0)
	;;#ASMEND
	v_mov_b32_e32 v7, s48
	s_movk_i32 s46, 0x400
	ds_write_b16 v11, v7 offset:1028
	v_add_u32_e64 v7, s46, 0
	ds_write2_b32 v7, v6, v36 offset1:2
	ds_write_b16 v11, v34 offset:1036
.LBB404_117:
	s_or_b64 exec, exec, s[40:41]
	s_and_b64 exec, exec, s[0:1]
	s_cbranch_execz .LBB404_119
; %bb.118:
	v_mov_b32_e32 v6, 0
	ds_write_b32 v6, v36 offset:1064
	ds_write_b16 v6, v34 offset:1068
.LBB404_119:
	s_or_b64 exec, exec, s[34:35]
	v_mov_b32_e32 v8, 0
	s_waitcnt lgkmcnt(0)
	s_barrier
	ds_read_b64 v[6:7], v8 offset:1064
	v_cndmask_b32_e64 v10, v24, v22, s[28:29]
	v_cmp_eq_u32_e32 vcc, 0, v10
	v_cndmask_b32_e64 v9, v25, v23, s[28:29]
	s_waitcnt lgkmcnt(0)
	v_cndmask_b32_e32 v11, 0, v7, vcc
	v_add_u16_e32 v9, v11, v9
	v_cndmask_b32_e64 v7, v9, v7, s[0:1]
	v_cndmask_b32_e64 v9, v10, 0, s[0:1]
	v_cmp_eq_u32_e32 vcc, 0, v68
	v_add_u32_e32 v48, v6, v9
	v_cndmask_b32_e32 v6, 0, v7, vcc
	v_add_u16_e32 v47, v6, v77
	v_cndmask_b32_e64 v6, 0, v47, s[26:27]
	v_add_u16_e32 v45, v6, v76
	v_cndmask_b32_e64 v6, 0, v45, s[24:25]
	;; [unrolled: 2-line block ×8, first 2 shown]
	v_add_u32_e32 v46, v48, v68
	v_add_u16_e32 v31, v6, v71
	v_add_u32_e32 v44, v46, v66
	v_cndmask_b32_e64 v6, 0, v31, s[10:11]
	v_add_u32_e32 v42, v44, v65
	v_add_u16_e32 v29, v6, v53
	v_add_u32_e32 v40, v42, v64
	v_cndmask_b32_e64 v6, 0, v29, s[8:9]
	;; [unrolled: 4-line block ×3, first 2 shown]
	v_and_b32_e32 v49, 0xffff, v7
	v_add_u32_e32 v34, v36, v61
	v_add_u16_e32 v25, v6, v51
	s_barrier
	ds_read_b128 v[6:9], v8 offset:1024
	v_add_u32_e32 v32, v34, v60
	v_add_u32_e32 v30, v32, v59
	;; [unrolled: 1-line block ×4, first 2 shown]
	v_cndmask_b32_e64 v10, 0, v25, s[4:5]
	v_add_u32_e32 v24, v26, v56
	v_add_u16_e32 v23, v10, v52
	s_waitcnt lgkmcnt(0)
	v_cmp_eq_u32_e32 vcc, 0, v6
	v_add_u32_e32 v22, v24, v55
	v_cndmask_b32_e64 v10, 0, v23, s[2:3]
	v_cndmask_b32_e32 v9, 0, v9, vcc
	v_add_u32_e32 v20, v22, v54
	v_add_u16_e32 v21, v10, v50
	v_add_u32_e32 v67, v9, v7
	s_branch .LBB404_132
.LBB404_120:
                                        ; implicit-def: $vgpr6
                                        ; implicit-def: $vgpr67
                                        ; implicit-def: $vgpr48_vgpr49
                                        ; implicit-def: $vgpr46_vgpr47
                                        ; implicit-def: $vgpr44_vgpr45
                                        ; implicit-def: $vgpr42_vgpr43
                                        ; implicit-def: $vgpr40_vgpr41
                                        ; implicit-def: $vgpr38_vgpr39
                                        ; implicit-def: $vgpr36_vgpr37
                                        ; implicit-def: $vgpr34_vgpr35
                                        ; implicit-def: $vgpr32_vgpr33
                                        ; implicit-def: $vgpr30_vgpr31
                                        ; implicit-def: $vgpr28_vgpr29
                                        ; implicit-def: $vgpr26_vgpr27
                                        ; implicit-def: $vgpr24_vgpr25
                                        ; implicit-def: $vgpr22_vgpr23
                                        ; implicit-def: $vgpr20_vgpr21
	s_cbranch_execz .LBB404_132
; %bb.121:
	s_and_b64 s[2:3], s[30:31], exec
	s_cselect_b32 s3, 0, s61
	s_cselect_b32 s2, 0, s60
	s_cmp_eq_u64 s[2:3], 0
	v_mov_b32_e32 v7, v77
	s_cbranch_scc1 .LBB404_123
; %bb.122:
	v_mov_b32_e32 v6, 0
	global_load_ushort v7, v6, s[2:3]
.LBB404_123:
	v_cmp_eq_u32_e64 s[2:3], 0, v66
	v_cndmask_b32_e64 v6, 0, v77, s[2:3]
	v_add_u16_e32 v6, v6, v76
	v_cmp_eq_u32_e64 s[4:5], 0, v65
	v_cndmask_b32_e64 v6, 0, v6, s[4:5]
	v_add_u16_e32 v6, v6, v78
	;; [unrolled: 3-line block ×11, first 2 shown]
	v_cmp_eq_u32_e64 s[24:25], 0, v55
	v_cndmask_b32_e64 v6, 0, v6, s[24:25]
	v_add3_u32 v8, v83, v62, v61
	v_add_u16_e32 v6, v6, v52
	v_cmp_eq_u32_e32 vcc, 0, v54
	v_add3_u32 v8, v8, v60, v59
	v_cndmask_b32_e32 v6, 0, v6, vcc
	v_add3_u32 v8, v8, v58, v57
	v_add_u16_e32 v6, v6, v50
	v_cmp_eq_u32_e64 s[26:27], 0, v17
	v_add3_u32 v8, v8, v56, v55
	v_cndmask_b32_e64 v6, 0, v6, s[26:27]
	v_add3_u32 v8, v8, v54, v17
	v_add_u16_e32 v9, v6, v79
	v_mbcnt_hi_u32_b32 v6, -1, v82
	v_and_b32_e32 v10, 15, v6
	v_mov_b32_dpp v12, v9 row_shr:1 row_mask:0xf bank_mask:0xf
	v_cmp_eq_u32_e64 s[26:27], 0, v8
	v_mov_b32_dpp v11, v8 row_shr:1 row_mask:0xf bank_mask:0xf
	v_cndmask_b32_e64 v12, 0, v12, s[26:27]
	v_cmp_eq_u32_e64 s[26:27], 0, v10
	v_add_u16_e32 v12, v12, v9
	v_cndmask_b32_e64 v11, v11, 0, s[26:27]
	v_add_u32_e32 v8, v11, v8
	v_cndmask_b32_e64 v9, v12, v9, s[26:27]
	v_cmp_eq_u32_e64 s[26:27], 0, v8
	v_mov_b32_dpp v11, v8 row_shr:2 row_mask:0xf bank_mask:0xf
	v_mov_b32_dpp v12, v9 row_shr:2 row_mask:0xf bank_mask:0xf
	v_cndmask_b32_e64 v12, 0, v12, s[26:27]
	v_cmp_lt_u32_e64 s[26:27], 1, v10
	v_add_u16_e32 v12, v12, v9
	v_cndmask_b32_e64 v11, 0, v11, s[26:27]
	v_cndmask_b32_e64 v9, v9, v12, s[26:27]
	v_add_u32_e32 v8, v8, v11
	v_cmp_eq_u32_e64 s[26:27], 0, v8
	v_mov_b32_dpp v12, v9 row_shr:4 row_mask:0xf bank_mask:0xf
	v_mov_b32_dpp v11, v8 row_shr:4 row_mask:0xf bank_mask:0xf
	v_cndmask_b32_e64 v12, 0, v12, s[26:27]
	v_cmp_lt_u32_e64 s[26:27], 3, v10
	v_add_u16_e32 v12, v12, v9
	v_cndmask_b32_e64 v11, 0, v11, s[26:27]
	v_cndmask_b32_e64 v9, v9, v12, s[26:27]
	v_add_u32_e32 v8, v11, v8
	;; [unrolled: 9-line block ×3, first 2 shown]
	v_bfe_i32 v12, v6, 4, 1
	v_mov_b32_dpp v11, v9 row_bcast:15 row_mask:0xf bank_mask:0xf
	v_mov_b32_dpp v10, v8 row_bcast:15 row_mask:0xf bank_mask:0xf
	v_cmp_eq_u32_e64 s[26:27], 0, v8
	v_and_b32_e32 v13, 16, v6
	v_cndmask_b32_e64 v11, 0, v11, s[26:27]
	v_and_b32_e32 v10, v12, v10
	v_add_u16_e32 v11, v11, v9
	v_add_u32_e32 v8, v10, v8
	v_cmp_eq_u32_e64 s[26:27], 0, v13
	v_cndmask_b32_e64 v9, v11, v9, s[26:27]
	v_mov_b32_dpp v10, v8 row_bcast:31 row_mask:0xf bank_mask:0xf
	v_cmp_eq_u32_e64 s[26:27], 0, v8
	v_cmp_lt_u32_e64 s[28:29], 31, v6
	v_mov_b32_dpp v11, v9 row_bcast:31 row_mask:0xf bank_mask:0xf
	v_cndmask_b32_e64 v10, 0, v10, s[28:29]
	s_and_b64 s[26:27], s[28:29], s[26:27]
	v_add_u32_e32 v8, v10, v8
	v_cndmask_b32_e64 v10, 0, v11, s[26:27]
	v_add_u16_e32 v9, v10, v9
	v_cmp_eq_u32_e64 s[26:27], v81, v0
	s_and_saveexec_b64 s[28:29], s[26:27]
	s_cbranch_execz .LBB404_125
; %bb.124:
	v_lshlrev_b32_e32 v10, 3, v80
	ds_write_b32 v10, v8 offset:1040
	ds_write_b16 v10, v9 offset:1044
.LBB404_125:
	s_or_b64 exec, exec, s[28:29]
	v_cmp_gt_u32_e64 s[26:27], 4, v0
	s_waitcnt lgkmcnt(0)
	s_barrier
	s_and_saveexec_b64 s[34:35], s[26:27]
	s_cbranch_execz .LBB404_127
; %bb.126:
	v_lshlrev_b32_e32 v12, 3, v0
	ds_read_b64 v[10:11], v12 offset:1040
	v_and_b32_e32 v13, 3, v6
	s_mov_b32 s28, 0xffff0000
	s_waitcnt lgkmcnt(0)
	v_mov_b32_dpp v19, v11 row_shr:1 row_mask:0xf bank_mask:0xf
	v_cmp_eq_u32_e64 s[26:27], 0, v10
	v_mov_b32_dpp v18, v10 row_shr:1 row_mask:0xf bank_mask:0xf
	v_cndmask_b32_e64 v19, 0, v19, s[26:27]
	v_cmp_eq_u32_e64 s[26:27], 0, v13
	v_add_u16_e32 v19, v19, v11
	v_cndmask_b32_e64 v18, v18, 0, s[26:27]
	v_and_or_b32 v20, v11, s28, v19
	v_add_u32_e32 v10, v18, v10
	v_cndmask_b32_e64 v18, v19, v11, s[26:27]
	v_cndmask_b32_e64 v11, v20, v11, s[26:27]
	v_mov_b32_dpp v19, v10 row_shr:2 row_mask:0xf bank_mask:0xf
	v_cmp_eq_u32_e64 s[26:27], 0, v10
	v_cmp_lt_u32_e64 s[28:29], 1, v13
	v_mov_b32_dpp v11, v11 row_shr:2 row_mask:0xf bank_mask:0xf
	v_cndmask_b32_e64 v13, 0, v19, s[28:29]
	s_and_b64 s[26:27], s[28:29], s[26:27]
	v_add_u32_e32 v10, v13, v10
	v_cndmask_b32_e64 v11, 0, v11, s[26:27]
	v_add_u16_e32 v11, v18, v11
	ds_write_b32 v12, v10 offset:1040
	ds_write_b16 v12, v11 offset:1044
.LBB404_127:
	s_or_b64 exec, exec, s[34:35]
	v_cmp_lt_u32_e64 s[26:27], 63, v0
	v_mov_b32_e32 v10, 0
	v_mov_b32_e32 v11, 0
	s_waitcnt vmcnt(0)
	v_mov_b32_e32 v12, v7
	s_waitcnt lgkmcnt(0)
	s_barrier
	s_and_saveexec_b64 s[28:29], s[26:27]
	s_cbranch_execz .LBB404_129
; %bb.128:
	v_lshlrev_b32_e32 v12, 3, v80
	ds_read_b32 v11, v12 offset:1032
	ds_read_u16 v12, v12 offset:1036
	s_waitcnt lgkmcnt(1)
	v_cmp_eq_u32_e64 s[26:27], 0, v11
	v_cndmask_b32_e64 v13, 0, v7, s[26:27]
	s_waitcnt lgkmcnt(0)
	v_add_u16_e32 v12, v13, v12
.LBB404_129:
	s_or_b64 exec, exec, s[28:29]
	v_cmp_eq_u32_e64 s[26:27], 0, v8
	v_add_u32_e32 v13, v11, v8
	v_cndmask_b32_e64 v8, 0, v12, s[26:27]
	v_add_u16_e32 v8, v8, v9
	v_add_u32_e32 v9, -1, v6
	v_and_b32_e32 v18, 64, v6
	v_cmp_lt_i32_e64 s[26:27], v9, v18
	v_cndmask_b32_e64 v9, v9, v6, s[26:27]
	v_lshlrev_b32_e32 v9, 2, v9
	ds_bpermute_b32 v8, v9, v8
	ds_bpermute_b32 v13, v9, v13
	v_cmp_eq_u32_e64 s[26:27], 0, v6
	s_waitcnt lgkmcnt(1)
	v_cndmask_b32_e64 v8, v8, v12, s[26:27]
	s_waitcnt lgkmcnt(0)
	v_cndmask_b32_e64 v6, v13, v11, s[26:27]
	v_cndmask_b32_e64 v8, v8, v7, s[0:1]
	v_cmp_eq_u32_e64 s[26:27], 0, v68
	v_cndmask_b32_e64 v48, v6, 0, s[0:1]
	v_cndmask_b32_e64 v6, 0, v8, s[26:27]
	v_add_u16_e32 v47, v6, v77
	v_cndmask_b32_e64 v6, 0, v47, s[2:3]
	v_add_u16_e32 v45, v6, v76
	;; [unrolled: 2-line block ×9, first 2 shown]
	v_cndmask_b32_e64 v6, 0, v31, s[18:19]
	v_add_u32_e32 v46, v48, v68
	v_add_u16_e32 v29, v6, v53
	v_add_u32_e32 v44, v46, v66
	v_cndmask_b32_e64 v6, 0, v29, s[20:21]
	v_add_u32_e32 v42, v44, v65
	v_add_u16_e32 v27, v6, v69
	v_add_u32_e32 v40, v42, v64
	;; [unrolled: 4-line block ×3, first 2 shown]
	v_cndmask_b32_e64 v6, 0, v25, s[24:25]
	v_add_u32_e32 v34, v36, v61
	v_add_u16_e32 v23, v6, v52
	ds_read_b32 v6, v10 offset:1064
	v_add_u32_e32 v32, v34, v60
	v_and_b32_e32 v49, 0xffff, v8
	ds_read_u16 v8, v10 offset:1068
	v_add_u32_e32 v30, v32, v59
	v_add_u32_e32 v28, v30, v58
	v_add_u32_e32 v26, v28, v57
	v_add_u32_e32 v24, v26, v56
	v_cndmask_b32_e32 v9, 0, v23, vcc
	s_waitcnt lgkmcnt(1)
	v_cmp_eq_u32_e32 vcc, 0, v6
	v_add_u32_e32 v22, v24, v55
	v_cndmask_b32_e32 v7, 0, v7, vcc
	v_add_u32_e32 v20, v22, v54
	v_add_u16_e32 v21, v9, v50
	s_waitcnt lgkmcnt(0)
	v_add_u16_e32 v67, v7, v8
	s_and_saveexec_b64 s[2:3], s[0:1]
	s_cbranch_execz .LBB404_131
; %bb.130:
	s_add_u32 s4, s44, 0x400
	s_addc_u32 s5, s45, 0
	v_and_b32_e32 v7, 0xff00, v67
	v_mov_b32_e32 v9, 0
	v_or_b32_sdwa v7, v7, v67 dst_sel:DWORD dst_unused:UNUSED_PAD src0_sel:DWORD src1_sel:BYTE_0
	v_mov_b32_e32 v8, 2
	v_pk_mov_b32 v[10:11], s[4:5], s[4:5] op_sel:[0,1]
	;;#ASMSTART
	global_store_dwordx4 v[10:11], v[6:9] off	
s_waitcnt vmcnt(0)
	;;#ASMEND
.LBB404_131:
	s_or_b64 exec, exec, s[2:3]
	v_mov_b32_e32 v8, 0
.LBB404_132:
	s_and_b64 s[2:3], s[30:31], exec
	s_cselect_b32 s3, 0, s59
	s_cselect_b32 s2, 0, s58
	s_cmp_eq_u64 s[2:3], 0
	v_pk_mov_b32 v[18:19], 0, 0
	s_barrier
	s_cbranch_scc1 .LBB404_134
; %bb.133:
	v_mov_b32_e32 v7, 0
	global_load_dwordx2 v[18:19], v7, s[2:3]
.LBB404_134:
	s_waitcnt vmcnt(0)
	v_lshlrev_b64 v[50:51], 1, v[18:19]
	v_mov_b32_e32 v7, s43
	v_add_co_u32_e32 v10, vcc, s42, v50
	v_mov_b32_e32 v9, 0
	v_addc_co_u32_e32 v11, vcc, v7, v51, vcc
	v_lshlrev_b64 v[52:53], 1, v[8:9]
	v_add_co_u32_e32 v7, vcc, v10, v52
	v_addc_co_u32_e32 v9, vcc, v11, v53, vcc
	v_cmp_eq_u32_e32 vcc, 0, v68
	v_cndmask_b32_e64 v10, 1, 2, vcc
	v_cmp_eq_u32_e32 vcc, 0, v66
	v_cndmask_b32_e64 v11, 1, 2, vcc
	v_cmp_eq_u32_e32 vcc, 0, v65
	v_and_b32_e32 v10, v11, v10
	v_cndmask_b32_e64 v11, 1, 2, vcc
	v_cmp_eq_u32_e32 vcc, 0, v64
	v_and_b32_e32 v10, v10, v11
	;; [unrolled: 3-line block ×13, first 2 shown]
	v_cndmask_b32_e64 v11, 1, 2, vcc
	s_movk_i32 s34, 0x100
	v_and_b32_e32 v10, v10, v11
	v_cmp_gt_u32_e32 vcc, s34, v6
	v_cmp_ne_u32_e64 s[30:31], 0, v68
	v_cmp_ne_u32_e64 s[28:29], 0, v66
	v_cmp_ne_u32_e64 s[26:27], 0, v65
	v_cmp_ne_u32_e64 s[24:25], 0, v64
	v_cmp_ne_u32_e64 s[22:23], 0, v63
	v_cmp_ne_u32_e64 s[20:21], 0, v62
	v_cmp_ne_u32_e64 s[18:19], 0, v61
	v_cmp_ne_u32_e64 s[16:17], 0, v60
	v_cmp_ne_u32_e64 s[14:15], 0, v59
	v_cmp_ne_u32_e64 s[12:13], 0, v58
	v_cmp_ne_u32_e64 s[10:11], 0, v57
	v_cmp_ne_u32_e64 s[8:9], 0, v56
	v_cmp_ne_u32_e64 s[6:7], 0, v55
	v_cmp_ne_u32_e64 s[4:5], 0, v54
	v_cmp_ne_u32_e64 s[2:3], 0, v17
	s_mov_b64 s[40:41], -1
	v_cmp_gt_i16_e64 s[34:35], 2, v10
	s_cbranch_vccz .LBB404_141
; %bb.135:
	s_and_saveexec_b64 s[40:41], s[34:35]
	s_cbranch_execz .LBB404_140
; %bb.136:
	v_cmp_ne_u16_e32 vcc, 1, v10
	s_mov_b64 s[42:43], 0
	s_and_saveexec_b64 s[34:35], vcc
	s_xor_b64 s[34:35], exec, s[34:35]
	s_cbranch_execnz .LBB404_197
; %bb.137:
	s_andn2_saveexec_b64 s[34:35], s[34:35]
	s_cbranch_execnz .LBB404_213
.LBB404_138:
	s_or_b64 exec, exec, s[34:35]
	s_and_b64 exec, exec, s[42:43]
	s_cbranch_execz .LBB404_140
.LBB404_139:
	v_sub_u32_e32 v12, v20, v8
	v_mov_b32_e32 v13, 0
	v_lshlrev_b64 v[12:13], 1, v[12:13]
	v_add_co_u32_e32 v12, vcc, v7, v12
	v_addc_co_u32_e32 v13, vcc, v9, v13, vcc
	global_store_short_d16_hi v[12:13], v16, off
.LBB404_140:
	s_or_b64 exec, exec, s[40:41]
	s_mov_b64 s[40:41], 0
.LBB404_141:
	s_and_b64 vcc, exec, s[40:41]
	s_cbranch_vccz .LBB404_163
; %bb.142:
	v_cmp_gt_i16_e32 vcc, 2, v10
	s_and_saveexec_b64 s[34:35], vcc
	s_cbranch_execz .LBB404_147
; %bb.143:
	v_cmp_ne_u16_e32 vcc, 1, v10
	s_mov_b64 s[42:43], 0
	s_and_saveexec_b64 s[40:41], vcc
	s_xor_b64 s[40:41], exec, s[40:41]
	s_cbranch_execnz .LBB404_214
; %bb.144:
	s_andn2_saveexec_b64 s[2:3], s[40:41]
	s_cbranch_execnz .LBB404_230
.LBB404_145:
	s_or_b64 exec, exec, s[2:3]
	s_and_b64 exec, exec, s[42:43]
	s_cbranch_execz .LBB404_147
.LBB404_146:
	v_sub_u32_e32 v1, v20, v8
	v_lshlrev_b32_e32 v1, 1, v1
	ds_write_b16_d16_hi v1, v16
.LBB404_147:
	s_or_b64 exec, exec, s[34:35]
	v_cmp_lt_u32_e32 vcc, v0, v6
	s_waitcnt lgkmcnt(0)
	s_barrier
	s_and_saveexec_b64 s[4:5], vcc
	s_cbranch_execz .LBB404_162
; %bb.148:
	v_xad_u32 v1, v0, -1, v6
	s_movk_i32 s2, 0x1700
	v_cmp_gt_u32_e64 s[6:7], s2, v1
	s_movk_i32 s2, 0x16ff
	v_cmp_lt_u32_e32 vcc, s2, v1
	v_mov_b32_e32 v2, v0
	s_and_saveexec_b64 s[8:9], vcc
	s_cbranch_execz .LBB404_159
; %bb.149:
	v_sub_u32_e32 v2, v0, v6
	v_or_b32_e32 v2, 0xff, v2
	v_cmp_ge_u32_e32 vcc, v2, v0
	s_mov_b64 s[2:3], -1
	v_mov_b32_e32 v2, v0
	s_and_saveexec_b64 s[10:11], vcc
	s_cbranch_execz .LBB404_158
; %bb.150:
	v_lshrrev_b32_e32 v14, 8, v1
	v_or_b32_e32 v3, 0x300, v0
	v_or_b32_e32 v2, 0x200, v0
	v_add_u32_e32 v4, -3, v14
	v_or_b32_e32 v1, 0x100, v0
	v_lshrrev_b32_e32 v5, 2, v4
	v_pk_mov_b32 v[12:13], v[2:3], v[2:3] op_sel:[0,1]
	v_add_u32_e32 v15, 1, v5
	v_cmp_lt_u32_e32 vcc, 11, v4
	v_mov_b32_e32 v70, 0
	v_pk_mov_b32 v[10:11], v[0:1], v[0:1] op_sel:[0,1]
	s_and_saveexec_b64 s[12:13], vcc
	s_cbranch_execz .LBB404_154
; %bb.151:
	v_pk_mov_b32 v[12:13], v[2:3], v[2:3] op_sel:[0,1]
	v_and_b32_e32 v16, 0x7ffffffc, v15
	v_lshlrev_b32_e32 v69, 1, v0
	s_mov_b32 s16, 0
	s_mov_b64 s[14:15], 0
	v_mov_b32_e32 v5, 0
	v_pk_mov_b32 v[10:11], v[0:1], v[0:1] op_sel:[0,1]
.LBB404_152:                            ; =>This Inner Loop Header: Depth=1
	v_mov_b32_e32 v4, v10
	v_lshlrev_b64 v[86:87], 1, v[4:5]
	v_add_u32_e32 v72, 0x400, v11
	v_mov_b32_e32 v73, v5
	v_add_co_u32_e64 v86, s[2:3], v7, v86
	v_lshlrev_b64 v[72:73], 1, v[72:73]
	v_addc_co_u32_e64 v87, s[2:3], v9, v87, s[2:3]
	v_add_u32_e32 v70, 0x400, v12
	v_mov_b32_e32 v71, v5
	v_add_co_u32_e64 v72, s[2:3], v7, v72
	v_lshlrev_b64 v[88:89], 1, v[70:71]
	v_addc_co_u32_e64 v73, s[2:3], v9, v73, s[2:3]
	v_add_u32_e32 v2, 0x400, v13
	v_mov_b32_e32 v3, v5
	v_add_co_u32_e64 v88, s[2:3], v7, v88
	v_add_u32_e32 v16, -4, v16
	v_mov_b32_e32 v4, v11
	v_lshlrev_b64 v[2:3], 1, v[2:3]
	v_addc_co_u32_e64 v89, s[2:3], v9, v89, s[2:3]
	v_add_u32_e32 v78, 0x800, v11
	v_mov_b32_e32 v79, v5
	s_add_i32 s16, s16, 16
	v_cmp_eq_u32_e32 vcc, 0, v16
	v_lshlrev_b64 v[90:91], 1, v[4:5]
	v_add_co_u32_e64 v2, s[2:3], v7, v2
	v_lshlrev_b64 v[78:79], 1, v[78:79]
	v_mov_b32_e32 v4, v12
	v_addc_co_u32_e64 v3, s[2:3], v9, v3, s[2:3]
	s_or_b64 s[14:15], vcc, s[14:15]
	v_add_co_u32_e32 v90, vcc, v7, v90
	v_add_u32_e32 v76, 0x800, v12
	v_mov_b32_e32 v77, v5
	v_add_co_u32_e64 v78, s[2:3], v7, v78
	v_addc_co_u32_e32 v91, vcc, v9, v91, vcc
	v_lshlrev_b64 v[92:93], 1, v[4:5]
	v_lshlrev_b64 v[76:77], 1, v[76:77]
	v_addc_co_u32_e64 v79, s[2:3], v9, v79, s[2:3]
	v_mov_b32_e32 v4, v13
	v_add_co_u32_e32 v92, vcc, v7, v92
	ds_read_u16 v1, v69
	ds_read_u16 v96, v69 offset:512
	ds_read_u16 v97, v69 offset:1024
	;; [unrolled: 1-line block ×7, first 2 shown]
	v_add_u32_e32 v74, 0x800, v13
	v_mov_b32_e32 v75, v5
	v_add_co_u32_e64 v76, s[2:3], v7, v76
	v_addc_co_u32_e32 v93, vcc, v9, v93, vcc
	v_lshlrev_b64 v[94:95], 1, v[4:5]
	v_lshlrev_b64 v[74:75], 1, v[74:75]
	v_addc_co_u32_e64 v77, s[2:3], v9, v77, s[2:3]
	v_add_u32_e32 v4, 0x400, v10
	v_add_co_u32_e32 v94, vcc, v7, v94
	v_add_u32_e32 v84, 0xc00, v11
	v_mov_b32_e32 v85, v5
	ds_read_u16 v103, v69 offset:4096
	ds_read_u16 v104, v69 offset:4608
	;; [unrolled: 1-line block ×8, first 2 shown]
	v_add_co_u32_e64 v74, s[2:3], v7, v74
	v_addc_co_u32_e32 v95, vcc, v9, v95, vcc
	s_waitcnt lgkmcnt(14)
	global_store_short v[86:87], v1, off
	global_store_short v[90:91], v96, off
	s_waitcnt lgkmcnt(13)
	global_store_short v[92:93], v97, off
	v_lshlrev_b64 v[86:87], 1, v[4:5]
	v_lshlrev_b64 v[84:85], 1, v[84:85]
	v_addc_co_u32_e64 v75, s[2:3], v9, v75, s[2:3]
	v_add_u32_e32 v4, 0x800, v10
	v_add_co_u32_e32 v86, vcc, v7, v86
	v_add_u32_e32 v82, 0xc00, v12
	v_mov_b32_e32 v83, v5
	v_add_co_u32_e64 v84, s[2:3], v7, v84
	v_addc_co_u32_e32 v87, vcc, v9, v87, vcc
	v_lshlrev_b64 v[90:91], 1, v[4:5]
	v_lshlrev_b64 v[82:83], 1, v[82:83]
	v_addc_co_u32_e64 v85, s[2:3], v9, v85, s[2:3]
	s_waitcnt lgkmcnt(12)
	global_store_short v[94:95], v98, off
	v_add_u32_e32 v4, 0xc00, v10
	s_waitcnt lgkmcnt(11)
	global_store_short v[86:87], v99, off
	s_waitcnt lgkmcnt(10)
	global_store_short v[72:73], v100, off
	;; [unrolled: 2-line block ×4, first 2 shown]
	v_add_co_u32_e32 v2, vcc, v7, v90
	v_add_u32_e32 v80, 0xc00, v13
	v_mov_b32_e32 v81, v5
	v_add_co_u32_e64 v82, s[2:3], v7, v82
	v_addc_co_u32_e32 v3, vcc, v9, v91, vcc
	v_lshlrev_b64 v[72:73], 1, v[4:5]
	v_lshlrev_b64 v[80:81], 1, v[80:81]
	v_addc_co_u32_e64 v83, s[2:3], v9, v83, s[2:3]
	s_waitcnt lgkmcnt(7)
	global_store_short v[2:3], v103, off
	s_waitcnt lgkmcnt(6)
	global_store_short v[78:79], v104, off
	;; [unrolled: 2-line block ×4, first 2 shown]
	v_add_co_u32_e32 v2, vcc, v7, v72
	v_add_u32_e32 v69, 0x2000, v69
	v_add_u32_e32 v11, 0x1000, v11
	v_mov_b32_e32 v70, s16
	v_add_co_u32_e64 v80, s[2:3], v7, v80
	v_add_u32_e32 v12, 0x1000, v12
	v_add_u32_e32 v13, 0x1000, v13
	;; [unrolled: 1-line block ×3, first 2 shown]
	v_addc_co_u32_e32 v3, vcc, v9, v73, vcc
	v_addc_co_u32_e64 v81, s[2:3], v9, v81, s[2:3]
	s_waitcnt lgkmcnt(3)
	global_store_short v[2:3], v107, off
	s_waitcnt lgkmcnt(2)
	global_store_short v[84:85], v108, off
	;; [unrolled: 2-line block ×4, first 2 shown]
	s_andn2_b64 exec, exec, s[14:15]
	s_cbranch_execnz .LBB404_152
; %bb.153:
	s_or_b64 exec, exec, s[14:15]
.LBB404_154:
	s_or_b64 exec, exec, s[12:13]
	v_and_b32_e32 v1, 3, v15
	v_cmp_ne_u32_e32 vcc, 0, v1
	s_and_saveexec_b64 s[12:13], vcc
	s_cbranch_execz .LBB404_157
; %bb.155:
	v_lshlrev_b32_e32 v2, 1, v0
	v_lshl_or_b32 v4, v70, 9, v2
	s_mov_b64 s[14:15], 0
	v_mov_b32_e32 v3, 0
.LBB404_156:                            ; =>This Inner Loop Header: Depth=1
	v_mov_b32_e32 v2, v10
	v_add_u32_e32 v1, -1, v1
	v_lshlrev_b64 v[70:71], 1, v[2:3]
	v_mov_b32_e32 v2, v11
	v_cmp_eq_u32_e32 vcc, 0, v1
	v_lshlrev_b64 v[72:73], 1, v[2:3]
	ds_read_u16 v5, v4
	ds_read_u16 v15, v4 offset:512
	ds_read_u16 v16, v4 offset:1024
	;; [unrolled: 1-line block ×3, first 2 shown]
	v_mov_b32_e32 v2, v12
	s_or_b64 s[14:15], vcc, s[14:15]
	v_add_co_u32_e32 v72, vcc, v7, v72
	v_addc_co_u32_e32 v73, vcc, v9, v73, vcc
	v_lshlrev_b64 v[74:75], 1, v[2:3]
	v_mov_b32_e32 v2, v13
	v_add_co_u32_e32 v74, vcc, v7, v74
	v_add_co_u32_e64 v70, s[2:3], v7, v70
	v_addc_co_u32_e32 v75, vcc, v9, v75, vcc
	v_lshlrev_b64 v[76:77], 1, v[2:3]
	v_add_u32_e32 v10, 0x400, v10
	v_add_u32_e32 v4, 0x800, v4
	;; [unrolled: 1-line block ×3, first 2 shown]
	v_addc_co_u32_e64 v71, s[2:3], v9, v71, s[2:3]
	v_add_u32_e32 v12, 0x400, v12
	v_add_u32_e32 v13, 0x400, v13
	v_add_co_u32_e32 v76, vcc, v7, v76
	v_addc_co_u32_e32 v77, vcc, v9, v77, vcc
	s_waitcnt lgkmcnt(3)
	global_store_short v[70:71], v5, off
	s_waitcnt lgkmcnt(2)
	global_store_short v[72:73], v15, off
	s_waitcnt lgkmcnt(1)
	global_store_short v[74:75], v16, off
	s_waitcnt lgkmcnt(0)
	global_store_short v[76:77], v69, off
	s_andn2_b64 exec, exec, s[14:15]
	s_cbranch_execnz .LBB404_156
.LBB404_157:
	s_or_b64 exec, exec, s[12:13]
	v_add_u32_e32 v1, 1, v14
	v_and_b32_e32 v3, 0x1fffffc, v1
	v_cmp_ne_u32_e32 vcc, v1, v3
	v_lshl_or_b32 v2, v3, 8, v0
	s_orn2_b64 s[2:3], vcc, exec
.LBB404_158:
	s_or_b64 exec, exec, s[10:11]
	s_andn2_b64 s[6:7], s[6:7], exec
	s_and_b64 s[2:3], s[2:3], exec
	s_or_b64 s[6:7], s[6:7], s[2:3]
.LBB404_159:
	s_or_b64 exec, exec, s[8:9]
	s_and_b64 exec, exec, s[6:7]
	s_cbranch_execz .LBB404_162
; %bb.160:
	v_lshlrev_b32_e32 v1, 1, v2
	s_mov_b64 s[2:3], 0
	v_mov_b32_e32 v3, 0
.LBB404_161:                            ; =>This Inner Loop Header: Depth=1
	v_lshlrev_b64 v[4:5], 1, v[2:3]
	ds_read_u16 v10, v1
	v_add_co_u32_e32 v4, vcc, v7, v4
	v_add_u32_e32 v2, 0x100, v2
	v_addc_co_u32_e32 v5, vcc, v9, v5, vcc
	v_cmp_ge_u32_e32 vcc, v2, v6
	v_add_u32_e32 v1, 0x200, v1
	s_or_b64 s[2:3], vcc, s[2:3]
	s_waitcnt lgkmcnt(0)
	global_store_short v[4:5], v10, off
	s_andn2_b64 exec, exec, s[2:3]
	s_cbranch_execnz .LBB404_161
.LBB404_162:
	s_or_b64 exec, exec, s[4:5]
.LBB404_163:
	s_cmpk_lg_i32 s33, 0xf00
	s_cselect_b64 s[2:3], -1, 0
	v_cndmask_b32_e64 v1, 0, 1, s[38:39]
	s_and_b64 s[2:3], s[2:3], s[36:37]
	v_sub_u32_e32 v3, v6, v1
	v_cndmask_b32_e64 v2, 0, 1, s[2:3]
	s_and_b64 s[0:1], s[0:1], s[38:39]
	v_add_u32_e32 v7, v3, v2
	v_cndmask_b32_e64 v3, v68, 0, s[0:1]
	s_mul_hi_u32 s0, s33, 0x88888889
	s_lshr_b32 s0, s0, 3
	v_mad_i32_i24 v4, v0, -15, s33
	v_cmp_eq_u32_e32 vcc, s0, v0
	v_cmp_ne_u32_e64 s[0:1], 0, v4
	v_cndmask_b32_e64 v5, 1, v3, s[0:1]
	v_cmp_ne_u32_e64 s[0:1], 1, v4
	v_cndmask_b32_e64 v9, 1, v66, s[0:1]
	;; [unrolled: 2-line block ×15, first 2 shown]
	s_and_b64 vcc, vcc, s[36:37]
	v_cndmask_b32_e32 v4, v17, v4, vcc
	v_cndmask_b32_e32 v17, v54, v72, vcc
	v_cndmask_b32_e32 v54, v55, v71, vcc
	v_cndmask_b32_e32 v55, v56, v70, vcc
	v_cndmask_b32_e32 v56, v57, v69, vcc
	v_cndmask_b32_e32 v57, v58, v68, vcc
	v_cndmask_b32_e32 v58, v59, v16, vcc
	v_cndmask_b32_e32 v59, v60, v15, vcc
	v_cndmask_b32_e32 v60, v61, v14, vcc
	v_cndmask_b32_e32 v13, v62, v13, vcc
	v_cndmask_b32_e32 v12, v63, v12, vcc
	v_cndmask_b32_e32 v11, v64, v11, vcc
	v_cndmask_b32_e32 v10, v65, v10, vcc
	v_cndmask_b32_e32 v61, v66, v9, vcc
	v_cndmask_b32_e32 v5, v3, v5, vcc
	v_mov_b32_e32 v3, s53
	v_add_co_u32_e32 v9, vcc, s52, v50
	v_addc_co_u32_e32 v3, vcc, v3, v51, vcc
	v_add_co_u32_e32 v9, vcc, v9, v52
	v_addc_co_u32_e32 v14, vcc, v3, v53, vcc
	v_lshlrev_b32_e32 v3, 1, v1
	v_add_co_u32_e32 v3, vcc, v3, v9
	v_addc_co_u32_e32 v16, vcc, 0, v14, vcc
	v_add_co_u32_e32 v15, vcc, -2, v3
	v_addc_co_u32_e32 v16, vcc, -1, v16, vcc
	v_cmp_eq_u32_e32 vcc, 0, v5
	v_cmp_ne_u32_e64 s[28:29], 0, v5
	v_cndmask_b32_e64 v5, 1, 2, vcc
	v_cmp_eq_u32_e32 vcc, 0, v61
	v_cndmask_b32_e64 v50, 1, 2, vcc
	v_cmp_eq_u32_e32 vcc, 0, v10
	v_and_b32_e32 v5, v50, v5
	v_cmp_ne_u32_e64 s[24:25], 0, v10
	v_cndmask_b32_e64 v10, 1, 2, vcc
	v_cmp_eq_u32_e32 vcc, 0, v11
	v_and_b32_e32 v5, v5, v10
	v_cndmask_b32_e64 v10, 1, 2, vcc
	v_cmp_eq_u32_e32 vcc, 0, v12
	v_and_b32_e32 v5, v5, v10
	;; [unrolled: 3-line block ×12, first 2 shown]
	v_cmp_ne_u32_e64 s[0:1], 0, v4
	v_cndmask_b32_e64 v4, 1, 2, vcc
	s_movk_i32 s30, 0x100
	v_and_b32_e32 v4, v5, v4
	v_cmp_gt_u32_e32 vcc, s30, v7
	v_add_u32_e32 v3, v8, v1
	v_cmp_ne_u32_e64 s[26:27], 0, v61
	v_cmp_ne_u32_e64 s[22:23], 0, v11
	;; [unrolled: 1-line block ×12, first 2 shown]
	s_mov_b64 s[34:35], -1
	v_cmp_gt_i16_e64 s[30:31], 2, v4
	s_barrier
	s_cbranch_vccz .LBB404_170
; %bb.164:
	s_and_saveexec_b64 s[34:35], s[30:31]
	s_cbranch_execz .LBB404_169
; %bb.165:
	v_cmp_ne_u16_e32 vcc, 1, v4
	s_mov_b64 s[38:39], 0
	s_and_saveexec_b64 s[30:31], vcc
	s_xor_b64 s[30:31], exec, s[30:31]
	s_cbranch_execnz .LBB404_231
; %bb.166:
	s_andn2_saveexec_b64 s[30:31], s[30:31]
	s_cbranch_execnz .LBB404_247
.LBB404_167:
	s_or_b64 exec, exec, s[30:31]
	s_and_b64 exec, exec, s[38:39]
	s_cbranch_execz .LBB404_169
.LBB404_168:
	v_sub_u32_e32 v10, v20, v3
	v_mov_b32_e32 v11, 0
	v_lshlrev_b64 v[10:11], 1, v[10:11]
	v_add_co_u32_e32 v10, vcc, v15, v10
	v_addc_co_u32_e32 v11, vcc, v16, v11, vcc
	global_store_short v[10:11], v21, off
.LBB404_169:
	s_or_b64 exec, exec, s[34:35]
	s_mov_b64 s[34:35], 0
.LBB404_170:
	s_and_b64 vcc, exec, s[34:35]
	s_cbranch_vccz .LBB404_192
; %bb.171:
	v_cmp_gt_i16_e32 vcc, 2, v4
	s_and_saveexec_b64 s[30:31], vcc
	s_cbranch_execz .LBB404_176
; %bb.172:
	v_cmp_ne_u16_e32 vcc, 1, v4
	s_mov_b64 s[38:39], 0
	s_and_saveexec_b64 s[34:35], vcc
	s_xor_b64 s[34:35], exec, s[34:35]
	s_cbranch_execnz .LBB404_248
; %bb.173:
	s_andn2_saveexec_b64 s[0:1], s[34:35]
	s_cbranch_execnz .LBB404_264
.LBB404_174:
	s_or_b64 exec, exec, s[0:1]
	s_and_b64 exec, exec, s[38:39]
	s_cbranch_execz .LBB404_176
.LBB404_175:
	v_sub_u32_e32 v3, v20, v3
	v_lshlrev_b32_e32 v3, 1, v3
	ds_write_b16 v3, v21
.LBB404_176:
	s_or_b64 exec, exec, s[30:31]
	v_cmp_lt_u32_e32 vcc, v0, v7
	s_waitcnt lgkmcnt(0)
	s_barrier
	s_and_saveexec_b64 s[2:3], vcc
	s_cbranch_execz .LBB404_191
; %bb.177:
	v_add_u32_e32 v4, v6, v2
	v_xad_u32 v2, v0, -1, v4
	v_sub_u32_e32 v3, v2, v1
	s_movk_i32 s0, 0x1b00
	v_cmp_gt_u32_e64 s[4:5], s0, v3
	s_movk_i32 s0, 0x1aff
	v_cmp_lt_u32_e32 vcc, s0, v3
	v_mov_b32_e32 v2, v0
	s_and_saveexec_b64 s[6:7], vcc
	s_cbranch_execz .LBB404_188
; %bb.178:
	v_sub_u32_e32 v2, v0, v4
	v_add_u32_e32 v1, v2, v1
	v_or_b32_e32 v1, 0xff, v1
	v_cmp_ge_u32_e32 vcc, v1, v0
	s_mov_b64 s[0:1], -1
	v_mov_b32_e32 v2, v0
	s_and_saveexec_b64 s[8:9], vcc
	s_cbranch_execz .LBB404_187
; %bb.179:
	v_lshrrev_b32_e32 v17, 8, v3
	v_or_b32_e32 v3, 0x300, v0
	v_or_b32_e32 v2, 0x200, v0
	v_add_u32_e32 v4, -3, v17
	v_or_b32_e32 v1, 0x100, v0
	v_lshrrev_b32_e32 v5, 2, v4
	v_pk_mov_b32 v[12:13], v[2:3], v[2:3] op_sel:[0,1]
	v_add_u32_e32 v21, 1, v5
	v_cmp_lt_u32_e32 vcc, 11, v4
	v_mov_b32_e32 v24, 0
	v_lshlrev_b32_e32 v20, 1, v0
	v_pk_mov_b32 v[10:11], v[0:1], v[0:1] op_sel:[0,1]
	s_and_saveexec_b64 s[10:11], vcc
	s_cbranch_execz .LBB404_183
; %bb.180:
	v_pk_mov_b32 v[12:13], v[2:3], v[2:3] op_sel:[0,1]
	v_and_b32_e32 v22, 0x7ffffffc, v21
	s_mov_b32 s14, 0
	s_mov_b64 s[12:13], 0
	v_mov_b32_e32 v5, 0
	v_mov_b32_e32 v23, v20
	v_pk_mov_b32 v[10:11], v[0:1], v[0:1] op_sel:[0,1]
.LBB404_181:                            ; =>This Inner Loop Header: Depth=1
	v_mov_b32_e32 v4, v10
	v_lshlrev_b64 v[40:41], 1, v[4:5]
	v_add_u32_e32 v26, 0x400, v11
	v_mov_b32_e32 v27, v5
	v_add_co_u32_e64 v40, s[0:1], v15, v40
	v_lshlrev_b64 v[26:27], 1, v[26:27]
	v_addc_co_u32_e64 v41, s[0:1], v16, v41, s[0:1]
	v_add_u32_e32 v24, 0x400, v12
	v_mov_b32_e32 v25, v5
	v_add_co_u32_e64 v26, s[0:1], v15, v26
	v_lshlrev_b64 v[42:43], 1, v[24:25]
	v_addc_co_u32_e64 v27, s[0:1], v16, v27, s[0:1]
	v_add_u32_e32 v2, 0x400, v13
	v_mov_b32_e32 v3, v5
	v_add_co_u32_e64 v42, s[0:1], v15, v42
	v_add_u32_e32 v22, -4, v22
	v_mov_b32_e32 v4, v11
	v_lshlrev_b64 v[2:3], 1, v[2:3]
	v_addc_co_u32_e64 v43, s[0:1], v16, v43, s[0:1]
	v_add_u32_e32 v32, 0x800, v11
	v_mov_b32_e32 v33, v5
	s_add_i32 s14, s14, 16
	v_cmp_eq_u32_e32 vcc, 0, v22
	v_lshlrev_b64 v[44:45], 1, v[4:5]
	v_add_co_u32_e64 v2, s[0:1], v15, v2
	v_lshlrev_b64 v[32:33], 1, v[32:33]
	v_mov_b32_e32 v4, v12
	v_addc_co_u32_e64 v3, s[0:1], v16, v3, s[0:1]
	s_or_b64 s[12:13], vcc, s[12:13]
	v_add_co_u32_e32 v44, vcc, v15, v44
	v_add_u32_e32 v30, 0x800, v12
	v_mov_b32_e32 v31, v5
	v_add_co_u32_e64 v32, s[0:1], v15, v32
	v_addc_co_u32_e32 v45, vcc, v16, v45, vcc
	v_lshlrev_b64 v[46:47], 1, v[4:5]
	v_lshlrev_b64 v[30:31], 1, v[30:31]
	v_addc_co_u32_e64 v33, s[0:1], v16, v33, s[0:1]
	v_mov_b32_e32 v4, v13
	v_add_co_u32_e32 v46, vcc, v15, v46
	ds_read_u16 v1, v23
	ds_read_u16 v50, v23 offset:512
	ds_read_u16 v51, v23 offset:1024
	;; [unrolled: 1-line block ×7, first 2 shown]
	v_add_u32_e32 v28, 0x800, v13
	v_mov_b32_e32 v29, v5
	v_add_co_u32_e64 v30, s[0:1], v15, v30
	v_addc_co_u32_e32 v47, vcc, v16, v47, vcc
	v_lshlrev_b64 v[48:49], 1, v[4:5]
	v_lshlrev_b64 v[28:29], 1, v[28:29]
	v_addc_co_u32_e64 v31, s[0:1], v16, v31, s[0:1]
	v_add_u32_e32 v4, 0x400, v10
	v_add_co_u32_e32 v48, vcc, v15, v48
	v_add_u32_e32 v38, 0xc00, v11
	v_mov_b32_e32 v39, v5
	ds_read_u16 v57, v23 offset:4096
	ds_read_u16 v58, v23 offset:4608
	;; [unrolled: 1-line block ×8, first 2 shown]
	v_add_co_u32_e64 v28, s[0:1], v15, v28
	v_addc_co_u32_e32 v49, vcc, v16, v49, vcc
	s_waitcnt lgkmcnt(14)
	global_store_short v[40:41], v1, off
	global_store_short v[44:45], v50, off
	s_waitcnt lgkmcnt(13)
	global_store_short v[46:47], v51, off
	v_lshlrev_b64 v[40:41], 1, v[4:5]
	v_lshlrev_b64 v[38:39], 1, v[38:39]
	v_addc_co_u32_e64 v29, s[0:1], v16, v29, s[0:1]
	v_add_u32_e32 v4, 0x800, v10
	v_add_co_u32_e32 v40, vcc, v15, v40
	v_add_u32_e32 v36, 0xc00, v12
	v_mov_b32_e32 v37, v5
	v_add_co_u32_e64 v38, s[0:1], v15, v38
	v_addc_co_u32_e32 v41, vcc, v16, v41, vcc
	v_lshlrev_b64 v[44:45], 1, v[4:5]
	v_lshlrev_b64 v[36:37], 1, v[36:37]
	v_addc_co_u32_e64 v39, s[0:1], v16, v39, s[0:1]
	s_waitcnt lgkmcnt(12)
	global_store_short v[48:49], v52, off
	v_add_u32_e32 v4, 0xc00, v10
	s_waitcnt lgkmcnt(11)
	global_store_short v[40:41], v53, off
	s_waitcnt lgkmcnt(10)
	global_store_short v[26:27], v54, off
	s_waitcnt lgkmcnt(9)
	global_store_short v[42:43], v55, off
	s_waitcnt lgkmcnt(8)
	global_store_short v[2:3], v56, off
	v_add_co_u32_e32 v2, vcc, v15, v44
	v_add_u32_e32 v34, 0xc00, v13
	v_mov_b32_e32 v35, v5
	v_add_co_u32_e64 v36, s[0:1], v15, v36
	v_addc_co_u32_e32 v3, vcc, v16, v45, vcc
	v_lshlrev_b64 v[26:27], 1, v[4:5]
	v_lshlrev_b64 v[34:35], 1, v[34:35]
	v_addc_co_u32_e64 v37, s[0:1], v16, v37, s[0:1]
	s_waitcnt lgkmcnt(7)
	global_store_short v[2:3], v57, off
	s_waitcnt lgkmcnt(6)
	global_store_short v[32:33], v58, off
	;; [unrolled: 2-line block ×4, first 2 shown]
	v_add_co_u32_e32 v2, vcc, v15, v26
	v_add_u32_e32 v23, 0x2000, v23
	v_add_u32_e32 v11, 0x1000, v11
	v_mov_b32_e32 v24, s14
	v_add_co_u32_e64 v34, s[0:1], v15, v34
	v_add_u32_e32 v12, 0x1000, v12
	v_add_u32_e32 v13, 0x1000, v13
	;; [unrolled: 1-line block ×3, first 2 shown]
	v_addc_co_u32_e32 v3, vcc, v16, v27, vcc
	v_addc_co_u32_e64 v35, s[0:1], v16, v35, s[0:1]
	s_waitcnt lgkmcnt(3)
	global_store_short v[2:3], v61, off
	s_waitcnt lgkmcnt(2)
	global_store_short v[38:39], v62, off
	;; [unrolled: 2-line block ×4, first 2 shown]
	s_andn2_b64 exec, exec, s[12:13]
	s_cbranch_execnz .LBB404_181
; %bb.182:
	s_or_b64 exec, exec, s[12:13]
.LBB404_183:
	s_or_b64 exec, exec, s[10:11]
	v_and_b32_e32 v1, 3, v21
	v_cmp_ne_u32_e32 vcc, 0, v1
	s_and_saveexec_b64 s[10:11], vcc
	s_cbranch_execz .LBB404_186
; %bb.184:
	v_lshl_or_b32 v4, v24, 9, v20
	s_mov_b64 s[12:13], 0
	v_mov_b32_e32 v3, 0
.LBB404_185:                            ; =>This Inner Loop Header: Depth=1
	v_mov_b32_e32 v2, v10
	v_add_u32_e32 v1, -1, v1
	v_lshlrev_b64 v[20:21], 1, v[2:3]
	v_mov_b32_e32 v2, v11
	v_cmp_eq_u32_e32 vcc, 0, v1
	v_lshlrev_b64 v[22:23], 1, v[2:3]
	ds_read_u16 v5, v4
	ds_read_u16 v28, v4 offset:512
	ds_read_u16 v29, v4 offset:1024
	ds_read_u16 v30, v4 offset:1536
	v_mov_b32_e32 v2, v12
	s_or_b64 s[12:13], vcc, s[12:13]
	v_add_co_u32_e32 v22, vcc, v15, v22
	v_addc_co_u32_e32 v23, vcc, v16, v23, vcc
	v_lshlrev_b64 v[24:25], 1, v[2:3]
	v_mov_b32_e32 v2, v13
	v_add_co_u32_e32 v24, vcc, v15, v24
	v_add_co_u32_e64 v20, s[0:1], v15, v20
	v_addc_co_u32_e32 v25, vcc, v16, v25, vcc
	v_lshlrev_b64 v[26:27], 1, v[2:3]
	v_add_u32_e32 v10, 0x400, v10
	v_add_u32_e32 v4, 0x800, v4
	;; [unrolled: 1-line block ×3, first 2 shown]
	v_addc_co_u32_e64 v21, s[0:1], v16, v21, s[0:1]
	v_add_u32_e32 v12, 0x400, v12
	v_add_u32_e32 v13, 0x400, v13
	v_add_co_u32_e32 v26, vcc, v15, v26
	v_addc_co_u32_e32 v27, vcc, v16, v27, vcc
	s_waitcnt lgkmcnt(3)
	global_store_short v[20:21], v5, off
	s_waitcnt lgkmcnt(2)
	global_store_short v[22:23], v28, off
	;; [unrolled: 2-line block ×4, first 2 shown]
	s_andn2_b64 exec, exec, s[12:13]
	s_cbranch_execnz .LBB404_185
.LBB404_186:
	s_or_b64 exec, exec, s[10:11]
	v_add_u32_e32 v1, 1, v17
	v_and_b32_e32 v3, 0x1fffffc, v1
	v_cmp_ne_u32_e32 vcc, v1, v3
	v_lshl_or_b32 v2, v3, 8, v0
	s_orn2_b64 s[0:1], vcc, exec
.LBB404_187:
	s_or_b64 exec, exec, s[8:9]
	s_andn2_b64 s[4:5], s[4:5], exec
	s_and_b64 s[0:1], s[0:1], exec
	s_or_b64 s[4:5], s[4:5], s[0:1]
.LBB404_188:
	s_or_b64 exec, exec, s[6:7]
	s_and_b64 exec, exec, s[4:5]
	s_cbranch_execz .LBB404_191
; %bb.189:
	v_lshlrev_b32_e32 v1, 1, v2
	s_mov_b64 s[0:1], 0
	v_mov_b32_e32 v3, 0
.LBB404_190:                            ; =>This Inner Loop Header: Depth=1
	v_lshlrev_b64 v[4:5], 1, v[2:3]
	ds_read_u16 v10, v1
	v_add_co_u32_e32 v4, vcc, v15, v4
	v_add_u32_e32 v2, 0x100, v2
	v_addc_co_u32_e32 v5, vcc, v16, v5, vcc
	v_cmp_ge_u32_e32 vcc, v2, v7
	v_add_u32_e32 v1, 0x200, v1
	s_or_b64 s[0:1], vcc, s[0:1]
	s_waitcnt lgkmcnt(0)
	global_store_short v[4:5], v10, off
	s_andn2_b64 exec, exec, s[0:1]
	s_cbranch_execnz .LBB404_190
.LBB404_191:
	s_or_b64 exec, exec, s[2:3]
.LBB404_192:
	s_movk_i32 s0, 0xff
	v_cmp_eq_u32_e32 vcc, s0, v0
	s_and_b64 s[0:1], vcc, s[36:37]
	s_and_saveexec_b64 s[2:3], s[0:1]
	s_cbranch_execz .LBB404_195
; %bb.193:
	v_add_co_u32_e32 v0, vcc, v6, v8
	v_addc_co_u32_e64 v1, s[0:1], 0, 0, vcc
	v_add_co_u32_e32 v0, vcc, v0, v18
	v_mov_b32_e32 v7, 0
	v_addc_co_u32_e32 v1, vcc, v1, v19, vcc
	s_cmpk_lg_i32 s33, 0xf00
	global_store_dwordx2 v7, v[0:1], s[54:55]
	s_cbranch_scc1 .LBB404_195
; %bb.194:
	v_lshlrev_b64 v[0:1], 1, v[6:7]
	v_add_co_u32_e32 v0, vcc, v9, v0
	v_addc_co_u32_e32 v1, vcc, v14, v1, vcc
	global_store_short v[0:1], v67, off offset:-2
.LBB404_195:
	s_endpgm
.LBB404_196:
	s_or_b64 exec, exec, s[8:9]
	v_mov_b32_e32 v68, s12
	s_and_saveexec_b64 s[2:3], s[6:7]
	s_cbranch_execnz .LBB404_88
	s_branch .LBB404_89
.LBB404_197:
	s_and_saveexec_b64 s[42:43], s[30:31]
	s_cbranch_execnz .LBB404_265
; %bb.198:
	s_or_b64 exec, exec, s[42:43]
	s_and_saveexec_b64 s[42:43], s[28:29]
	s_cbranch_execnz .LBB404_266
.LBB404_199:
	s_or_b64 exec, exec, s[42:43]
	s_and_saveexec_b64 s[42:43], s[26:27]
	s_cbranch_execnz .LBB404_267
.LBB404_200:
	s_or_b64 exec, exec, s[42:43]
	s_and_saveexec_b64 s[42:43], s[24:25]
	s_cbranch_execnz .LBB404_268
.LBB404_201:
	s_or_b64 exec, exec, s[42:43]
	s_and_saveexec_b64 s[42:43], s[22:23]
	s_cbranch_execnz .LBB404_269
.LBB404_202:
	s_or_b64 exec, exec, s[42:43]
	s_and_saveexec_b64 s[42:43], s[20:21]
	s_cbranch_execnz .LBB404_270
.LBB404_203:
	s_or_b64 exec, exec, s[42:43]
	s_and_saveexec_b64 s[42:43], s[18:19]
	s_cbranch_execnz .LBB404_271
.LBB404_204:
	s_or_b64 exec, exec, s[42:43]
	s_and_saveexec_b64 s[42:43], s[16:17]
	s_cbranch_execnz .LBB404_272
.LBB404_205:
	s_or_b64 exec, exec, s[42:43]
	s_and_saveexec_b64 s[42:43], s[14:15]
	s_cbranch_execnz .LBB404_273
.LBB404_206:
	s_or_b64 exec, exec, s[42:43]
	s_and_saveexec_b64 s[42:43], s[12:13]
	s_cbranch_execnz .LBB404_274
.LBB404_207:
	s_or_b64 exec, exec, s[42:43]
	s_and_saveexec_b64 s[42:43], s[10:11]
	s_cbranch_execnz .LBB404_275
.LBB404_208:
	s_or_b64 exec, exec, s[42:43]
	s_and_saveexec_b64 s[42:43], s[8:9]
	s_cbranch_execnz .LBB404_276
.LBB404_209:
	s_or_b64 exec, exec, s[42:43]
	s_and_saveexec_b64 s[42:43], s[6:7]
	s_cbranch_execnz .LBB404_277
.LBB404_210:
	s_or_b64 exec, exec, s[42:43]
	s_and_saveexec_b64 s[42:43], s[4:5]
	s_cbranch_execz .LBB404_212
.LBB404_211:
	v_sub_u32_e32 v12, v22, v8
	v_mov_b32_e32 v13, 0
	v_lshlrev_b64 v[12:13], 1, v[12:13]
	v_add_co_u32_e32 v12, vcc, v7, v12
	v_addc_co_u32_e32 v13, vcc, v9, v13, vcc
	global_store_short v[12:13], v16, off
.LBB404_212:
	s_or_b64 exec, exec, s[42:43]
	s_and_b64 s[42:43], s[2:3], exec
	s_andn2_saveexec_b64 s[34:35], s[34:35]
	s_cbranch_execz .LBB404_138
.LBB404_213:
	v_sub_u32_e32 v12, v48, v8
	v_mov_b32_e32 v13, 0
	v_lshlrev_b64 v[70:71], 1, v[12:13]
	v_add_co_u32_e32 v70, vcc, v7, v70
	v_addc_co_u32_e32 v71, vcc, v9, v71, vcc
	v_sub_u32_e32 v12, v46, v8
	global_store_short v[70:71], v1, off
	v_lshlrev_b64 v[70:71], 1, v[12:13]
	v_add_co_u32_e32 v70, vcc, v7, v70
	v_addc_co_u32_e32 v71, vcc, v9, v71, vcc
	v_sub_u32_e32 v12, v44, v8
	global_store_short v[70:71], v2, off
	v_lshlrev_b64 v[70:71], 1, v[12:13]
	v_add_co_u32_e32 v70, vcc, v7, v70
	v_addc_co_u32_e32 v71, vcc, v9, v71, vcc
	v_sub_u32_e32 v12, v42, v8
	global_store_short_d16_hi v[70:71], v2, off
	v_lshlrev_b64 v[70:71], 1, v[12:13]
	v_add_co_u32_e32 v70, vcc, v7, v70
	v_addc_co_u32_e32 v71, vcc, v9, v71, vcc
	v_sub_u32_e32 v12, v40, v8
	global_store_short v[70:71], v3, off
	v_lshlrev_b64 v[70:71], 1, v[12:13]
	v_add_co_u32_e32 v70, vcc, v7, v70
	v_addc_co_u32_e32 v71, vcc, v9, v71, vcc
	v_sub_u32_e32 v12, v38, v8
	global_store_short_d16_hi v[70:71], v3, off
	;; [unrolled: 10-line block ×5, first 2 shown]
	v_lshlrev_b64 v[70:71], 1, v[12:13]
	v_add_co_u32_e32 v70, vcc, v7, v70
	v_addc_co_u32_e32 v71, vcc, v9, v71, vcc
	v_sub_u32_e32 v12, v24, v8
	global_store_short v[70:71], v15, off
	v_lshlrev_b64 v[70:71], 1, v[12:13]
	v_add_co_u32_e32 v70, vcc, v7, v70
	v_sub_u32_e32 v12, v22, v8
	v_addc_co_u32_e32 v71, vcc, v9, v71, vcc
	v_lshlrev_b64 v[12:13], 1, v[12:13]
	v_add_co_u32_e32 v12, vcc, v7, v12
	v_addc_co_u32_e32 v13, vcc, v9, v13, vcc
	s_or_b64 s[42:43], s[42:43], exec
	global_store_short_d16_hi v[70:71], v15, off
	global_store_short v[12:13], v16, off
	s_or_b64 exec, exec, s[34:35]
	s_and_b64 exec, exec, s[42:43]
	s_cbranch_execnz .LBB404_139
	s_branch .LBB404_140
.LBB404_214:
	s_and_saveexec_b64 s[42:43], s[30:31]
	s_cbranch_execnz .LBB404_278
; %bb.215:
	s_or_b64 exec, exec, s[42:43]
	s_and_saveexec_b64 s[30:31], s[28:29]
	s_cbranch_execnz .LBB404_279
.LBB404_216:
	s_or_b64 exec, exec, s[30:31]
	s_and_saveexec_b64 s[28:29], s[26:27]
	s_cbranch_execnz .LBB404_280
.LBB404_217:
	s_or_b64 exec, exec, s[28:29]
	s_and_saveexec_b64 s[26:27], s[24:25]
	s_cbranch_execnz .LBB404_281
.LBB404_218:
	s_or_b64 exec, exec, s[26:27]
	s_and_saveexec_b64 s[24:25], s[22:23]
	s_cbranch_execnz .LBB404_282
.LBB404_219:
	s_or_b64 exec, exec, s[24:25]
	s_and_saveexec_b64 s[22:23], s[20:21]
	s_cbranch_execnz .LBB404_283
.LBB404_220:
	s_or_b64 exec, exec, s[22:23]
	s_and_saveexec_b64 s[20:21], s[18:19]
	s_cbranch_execnz .LBB404_284
.LBB404_221:
	s_or_b64 exec, exec, s[20:21]
	s_and_saveexec_b64 s[18:19], s[16:17]
	s_cbranch_execnz .LBB404_285
.LBB404_222:
	s_or_b64 exec, exec, s[18:19]
	s_and_saveexec_b64 s[16:17], s[14:15]
	s_cbranch_execnz .LBB404_286
.LBB404_223:
	s_or_b64 exec, exec, s[16:17]
	s_and_saveexec_b64 s[14:15], s[12:13]
	s_cbranch_execnz .LBB404_287
.LBB404_224:
	s_or_b64 exec, exec, s[14:15]
	s_and_saveexec_b64 s[12:13], s[10:11]
	s_cbranch_execnz .LBB404_288
.LBB404_225:
	s_or_b64 exec, exec, s[12:13]
	s_and_saveexec_b64 s[10:11], s[8:9]
	s_cbranch_execnz .LBB404_289
.LBB404_226:
	s_or_b64 exec, exec, s[10:11]
	s_and_saveexec_b64 s[8:9], s[6:7]
	s_cbranch_execnz .LBB404_290
.LBB404_227:
	s_or_b64 exec, exec, s[8:9]
	s_and_saveexec_b64 s[6:7], s[4:5]
	s_cbranch_execz .LBB404_229
.LBB404_228:
	v_sub_u32_e32 v1, v22, v8
	v_lshlrev_b32_e32 v1, 1, v1
	ds_write_b16 v1, v16
.LBB404_229:
	s_or_b64 exec, exec, s[6:7]
	s_and_b64 s[42:43], s[2:3], exec
                                        ; implicit-def: $vgpr1
                                        ; implicit-def: $vgpr2
	s_andn2_saveexec_b64 s[2:3], s[40:41]
	s_cbranch_execz .LBB404_145
.LBB404_230:
	v_sub_u32_e32 v10, v48, v8
	v_lshlrev_b32_e32 v10, 1, v10
	ds_write_b16 v10, v1
	v_sub_u32_e32 v1, v46, v8
	v_lshlrev_b32_e32 v1, 1, v1
	ds_write_b16 v1, v2
	v_sub_u32_e32 v1, v44, v8
	v_lshlrev_b32_e32 v1, 1, v1
	ds_write_b16_d16_hi v1, v2
	v_sub_u32_e32 v1, v42, v8
	v_lshlrev_b32_e32 v1, 1, v1
	ds_write_b16 v1, v3
	v_sub_u32_e32 v1, v40, v8
	v_lshlrev_b32_e32 v1, 1, v1
	ds_write_b16_d16_hi v1, v3
	;; [unrolled: 6-line block ×6, first 2 shown]
	v_sub_u32_e32 v1, v22, v8
	v_lshlrev_b32_e32 v1, 1, v1
	s_or_b64 s[42:43], s[42:43], exec
	ds_write_b16 v1, v16
	s_or_b64 exec, exec, s[2:3]
	s_and_b64 exec, exec, s[42:43]
	s_cbranch_execnz .LBB404_146
	s_branch .LBB404_147
.LBB404_231:
	s_and_saveexec_b64 s[38:39], s[28:29]
	s_cbranch_execnz .LBB404_291
; %bb.232:
	s_or_b64 exec, exec, s[38:39]
	s_and_saveexec_b64 s[38:39], s[26:27]
	s_cbranch_execnz .LBB404_292
.LBB404_233:
	s_or_b64 exec, exec, s[38:39]
	s_and_saveexec_b64 s[38:39], s[24:25]
	s_cbranch_execnz .LBB404_293
.LBB404_234:
	s_or_b64 exec, exec, s[38:39]
	s_and_saveexec_b64 s[38:39], s[22:23]
	s_cbranch_execnz .LBB404_294
.LBB404_235:
	s_or_b64 exec, exec, s[38:39]
	s_and_saveexec_b64 s[38:39], s[20:21]
	s_cbranch_execnz .LBB404_295
.LBB404_236:
	s_or_b64 exec, exec, s[38:39]
	s_and_saveexec_b64 s[38:39], s[18:19]
	s_cbranch_execnz .LBB404_296
.LBB404_237:
	s_or_b64 exec, exec, s[38:39]
	s_and_saveexec_b64 s[38:39], s[16:17]
	s_cbranch_execnz .LBB404_297
.LBB404_238:
	s_or_b64 exec, exec, s[38:39]
	s_and_saveexec_b64 s[38:39], s[14:15]
	s_cbranch_execnz .LBB404_298
.LBB404_239:
	s_or_b64 exec, exec, s[38:39]
	s_and_saveexec_b64 s[38:39], s[12:13]
	s_cbranch_execnz .LBB404_299
.LBB404_240:
	s_or_b64 exec, exec, s[38:39]
	s_and_saveexec_b64 s[38:39], s[10:11]
	s_cbranch_execnz .LBB404_300
.LBB404_241:
	s_or_b64 exec, exec, s[38:39]
	s_and_saveexec_b64 s[38:39], s[8:9]
	s_cbranch_execnz .LBB404_301
.LBB404_242:
	s_or_b64 exec, exec, s[38:39]
	s_and_saveexec_b64 s[38:39], s[6:7]
	s_cbranch_execnz .LBB404_302
.LBB404_243:
	s_or_b64 exec, exec, s[38:39]
	s_and_saveexec_b64 s[38:39], s[4:5]
	s_cbranch_execnz .LBB404_303
.LBB404_244:
	s_or_b64 exec, exec, s[38:39]
	s_and_saveexec_b64 s[38:39], s[2:3]
	s_cbranch_execz .LBB404_246
.LBB404_245:
	v_sub_u32_e32 v10, v22, v3
	v_mov_b32_e32 v11, 0
	v_lshlrev_b64 v[10:11], 1, v[10:11]
	v_add_co_u32_e32 v10, vcc, v15, v10
	v_addc_co_u32_e32 v11, vcc, v16, v11, vcc
	global_store_short v[10:11], v23, off
.LBB404_246:
	s_or_b64 exec, exec, s[38:39]
	s_and_b64 s[38:39], s[0:1], exec
	s_andn2_saveexec_b64 s[30:31], s[30:31]
	s_cbranch_execz .LBB404_167
.LBB404_247:
	v_sub_u32_e32 v10, v48, v3
	v_mov_b32_e32 v11, 0
	v_lshlrev_b64 v[12:13], 1, v[10:11]
	v_add_co_u32_e32 v12, vcc, v15, v12
	v_addc_co_u32_e32 v13, vcc, v16, v13, vcc
	v_sub_u32_e32 v10, v46, v3
	global_store_short v[12:13], v49, off
	v_lshlrev_b64 v[12:13], 1, v[10:11]
	v_add_co_u32_e32 v12, vcc, v15, v12
	v_addc_co_u32_e32 v13, vcc, v16, v13, vcc
	v_sub_u32_e32 v10, v44, v3
	global_store_short v[12:13], v47, off
	;; [unrolled: 5-line block ×12, first 2 shown]
	v_lshlrev_b64 v[12:13], 1, v[10:11]
	v_add_co_u32_e32 v12, vcc, v15, v12
	v_sub_u32_e32 v10, v22, v3
	v_addc_co_u32_e32 v13, vcc, v16, v13, vcc
	v_lshlrev_b64 v[10:11], 1, v[10:11]
	v_add_co_u32_e32 v10, vcc, v15, v10
	v_addc_co_u32_e32 v11, vcc, v16, v11, vcc
	s_or_b64 s[38:39], s[38:39], exec
	global_store_short v[12:13], v25, off
	global_store_short v[10:11], v23, off
	s_or_b64 exec, exec, s[30:31]
	s_and_b64 exec, exec, s[38:39]
	s_cbranch_execnz .LBB404_168
	s_branch .LBB404_169
.LBB404_248:
	s_and_saveexec_b64 s[38:39], s[28:29]
	s_cbranch_execnz .LBB404_304
; %bb.249:
	s_or_b64 exec, exec, s[38:39]
	s_and_saveexec_b64 s[28:29], s[26:27]
	s_cbranch_execnz .LBB404_305
.LBB404_250:
	s_or_b64 exec, exec, s[28:29]
	s_and_saveexec_b64 s[26:27], s[24:25]
	s_cbranch_execnz .LBB404_306
.LBB404_251:
	s_or_b64 exec, exec, s[26:27]
	s_and_saveexec_b64 s[24:25], s[22:23]
	s_cbranch_execnz .LBB404_307
.LBB404_252:
	s_or_b64 exec, exec, s[24:25]
	s_and_saveexec_b64 s[22:23], s[20:21]
	s_cbranch_execnz .LBB404_308
.LBB404_253:
	s_or_b64 exec, exec, s[22:23]
	s_and_saveexec_b64 s[20:21], s[18:19]
	s_cbranch_execnz .LBB404_309
.LBB404_254:
	s_or_b64 exec, exec, s[20:21]
	s_and_saveexec_b64 s[18:19], s[16:17]
	s_cbranch_execnz .LBB404_310
.LBB404_255:
	s_or_b64 exec, exec, s[18:19]
	s_and_saveexec_b64 s[16:17], s[14:15]
	s_cbranch_execnz .LBB404_311
.LBB404_256:
	s_or_b64 exec, exec, s[16:17]
	s_and_saveexec_b64 s[14:15], s[12:13]
	s_cbranch_execnz .LBB404_312
.LBB404_257:
	s_or_b64 exec, exec, s[14:15]
	s_and_saveexec_b64 s[12:13], s[10:11]
	s_cbranch_execnz .LBB404_313
.LBB404_258:
	s_or_b64 exec, exec, s[12:13]
	s_and_saveexec_b64 s[10:11], s[8:9]
	s_cbranch_execnz .LBB404_314
.LBB404_259:
	s_or_b64 exec, exec, s[10:11]
	s_and_saveexec_b64 s[8:9], s[6:7]
	s_cbranch_execnz .LBB404_315
.LBB404_260:
	s_or_b64 exec, exec, s[8:9]
	s_and_saveexec_b64 s[6:7], s[4:5]
	s_cbranch_execnz .LBB404_316
.LBB404_261:
	s_or_b64 exec, exec, s[6:7]
	s_and_saveexec_b64 s[4:5], s[2:3]
	s_cbranch_execz .LBB404_263
.LBB404_262:
	v_sub_u32_e32 v4, v22, v3
	v_lshlrev_b32_e32 v4, 1, v4
	ds_write_b16 v4, v23
.LBB404_263:
	s_or_b64 exec, exec, s[4:5]
	s_and_b64 s[38:39], s[0:1], exec
                                        ; implicit-def: $vgpr48_vgpr49
                                        ; implicit-def: $vgpr46_vgpr47
                                        ; implicit-def: $vgpr44_vgpr45
                                        ; implicit-def: $vgpr42_vgpr43
                                        ; implicit-def: $vgpr40_vgpr41
                                        ; implicit-def: $vgpr38_vgpr39
                                        ; implicit-def: $vgpr36_vgpr37
                                        ; implicit-def: $vgpr34_vgpr35
                                        ; implicit-def: $vgpr32_vgpr33
                                        ; implicit-def: $vgpr30_vgpr31
                                        ; implicit-def: $vgpr28_vgpr29
                                        ; implicit-def: $vgpr26_vgpr27
                                        ; implicit-def: $vgpr24_vgpr25
                                        ; implicit-def: $vgpr22_vgpr23
	s_andn2_saveexec_b64 s[0:1], s[34:35]
	s_cbranch_execz .LBB404_174
.LBB404_264:
	v_sub_u32_e32 v4, v48, v3
	v_lshlrev_b32_e32 v4, 1, v4
	ds_write_b16 v4, v49
	v_sub_u32_e32 v4, v46, v3
	v_lshlrev_b32_e32 v4, 1, v4
	ds_write_b16 v4, v47
	;; [unrolled: 3-line block ×13, first 2 shown]
	v_sub_u32_e32 v4, v22, v3
	v_lshlrev_b32_e32 v4, 1, v4
	s_or_b64 s[38:39], s[38:39], exec
	ds_write_b16 v4, v23
	s_or_b64 exec, exec, s[0:1]
	s_and_b64 exec, exec, s[38:39]
	s_cbranch_execnz .LBB404_175
	s_branch .LBB404_176
.LBB404_265:
	v_sub_u32_e32 v12, v48, v8
	v_mov_b32_e32 v13, 0
	v_lshlrev_b64 v[12:13], 1, v[12:13]
	v_add_co_u32_e32 v12, vcc, v7, v12
	v_addc_co_u32_e32 v13, vcc, v9, v13, vcc
	global_store_short v[12:13], v1, off
	s_or_b64 exec, exec, s[42:43]
	s_and_saveexec_b64 s[42:43], s[28:29]
	s_cbranch_execz .LBB404_199
.LBB404_266:
	v_sub_u32_e32 v12, v46, v8
	v_mov_b32_e32 v13, 0
	v_lshlrev_b64 v[12:13], 1, v[12:13]
	v_add_co_u32_e32 v12, vcc, v7, v12
	v_addc_co_u32_e32 v13, vcc, v9, v13, vcc
	global_store_short v[12:13], v2, off
	s_or_b64 exec, exec, s[42:43]
	s_and_saveexec_b64 s[42:43], s[26:27]
	s_cbranch_execz .LBB404_200
.LBB404_267:
	v_sub_u32_e32 v12, v44, v8
	v_mov_b32_e32 v13, 0
	v_lshlrev_b64 v[12:13], 1, v[12:13]
	v_add_co_u32_e32 v12, vcc, v7, v12
	v_addc_co_u32_e32 v13, vcc, v9, v13, vcc
	global_store_short_d16_hi v[12:13], v2, off
	s_or_b64 exec, exec, s[42:43]
	s_and_saveexec_b64 s[42:43], s[24:25]
	s_cbranch_execz .LBB404_201
.LBB404_268:
	v_sub_u32_e32 v12, v42, v8
	v_mov_b32_e32 v13, 0
	v_lshlrev_b64 v[12:13], 1, v[12:13]
	v_add_co_u32_e32 v12, vcc, v7, v12
	v_addc_co_u32_e32 v13, vcc, v9, v13, vcc
	global_store_short v[12:13], v3, off
	s_or_b64 exec, exec, s[42:43]
	s_and_saveexec_b64 s[42:43], s[22:23]
	s_cbranch_execz .LBB404_202
.LBB404_269:
	v_sub_u32_e32 v12, v40, v8
	v_mov_b32_e32 v13, 0
	v_lshlrev_b64 v[12:13], 1, v[12:13]
	v_add_co_u32_e32 v12, vcc, v7, v12
	v_addc_co_u32_e32 v13, vcc, v9, v13, vcc
	global_store_short_d16_hi v[12:13], v3, off
	s_or_b64 exec, exec, s[42:43]
	s_and_saveexec_b64 s[42:43], s[20:21]
	s_cbranch_execz .LBB404_203
.LBB404_270:
	v_sub_u32_e32 v12, v38, v8
	v_mov_b32_e32 v13, 0
	v_lshlrev_b64 v[12:13], 1, v[12:13]
	v_add_co_u32_e32 v12, vcc, v7, v12
	v_addc_co_u32_e32 v13, vcc, v9, v13, vcc
	global_store_short v[12:13], v4, off
	s_or_b64 exec, exec, s[42:43]
	s_and_saveexec_b64 s[42:43], s[18:19]
	s_cbranch_execz .LBB404_204
.LBB404_271:
	v_sub_u32_e32 v12, v36, v8
	v_mov_b32_e32 v13, 0
	v_lshlrev_b64 v[12:13], 1, v[12:13]
	v_add_co_u32_e32 v12, vcc, v7, v12
	v_addc_co_u32_e32 v13, vcc, v9, v13, vcc
	global_store_short_d16_hi v[12:13], v4, off
	s_or_b64 exec, exec, s[42:43]
	s_and_saveexec_b64 s[42:43], s[16:17]
	s_cbranch_execz .LBB404_205
.LBB404_272:
	v_sub_u32_e32 v12, v34, v8
	v_mov_b32_e32 v13, 0
	v_lshlrev_b64 v[12:13], 1, v[12:13]
	v_add_co_u32_e32 v12, vcc, v7, v12
	v_addc_co_u32_e32 v13, vcc, v9, v13, vcc
	global_store_short v[12:13], v5, off
	s_or_b64 exec, exec, s[42:43]
	s_and_saveexec_b64 s[42:43], s[14:15]
	s_cbranch_execz .LBB404_206
.LBB404_273:
	v_sub_u32_e32 v12, v32, v8
	v_mov_b32_e32 v13, 0
	v_lshlrev_b64 v[12:13], 1, v[12:13]
	v_add_co_u32_e32 v12, vcc, v7, v12
	v_addc_co_u32_e32 v13, vcc, v9, v13, vcc
	global_store_short_d16_hi v[12:13], v5, off
	s_or_b64 exec, exec, s[42:43]
	s_and_saveexec_b64 s[42:43], s[12:13]
	s_cbranch_execz .LBB404_207
.LBB404_274:
	v_sub_u32_e32 v12, v30, v8
	v_mov_b32_e32 v13, 0
	v_lshlrev_b64 v[12:13], 1, v[12:13]
	v_add_co_u32_e32 v12, vcc, v7, v12
	v_addc_co_u32_e32 v13, vcc, v9, v13, vcc
	global_store_short v[12:13], v14, off
	s_or_b64 exec, exec, s[42:43]
	s_and_saveexec_b64 s[42:43], s[10:11]
	s_cbranch_execz .LBB404_208
.LBB404_275:
	v_sub_u32_e32 v12, v28, v8
	v_mov_b32_e32 v13, 0
	v_lshlrev_b64 v[12:13], 1, v[12:13]
	v_add_co_u32_e32 v12, vcc, v7, v12
	v_addc_co_u32_e32 v13, vcc, v9, v13, vcc
	global_store_short_d16_hi v[12:13], v14, off
	s_or_b64 exec, exec, s[42:43]
	s_and_saveexec_b64 s[42:43], s[8:9]
	s_cbranch_execz .LBB404_209
.LBB404_276:
	v_sub_u32_e32 v12, v26, v8
	v_mov_b32_e32 v13, 0
	v_lshlrev_b64 v[12:13], 1, v[12:13]
	v_add_co_u32_e32 v12, vcc, v7, v12
	v_addc_co_u32_e32 v13, vcc, v9, v13, vcc
	global_store_short v[12:13], v15, off
	s_or_b64 exec, exec, s[42:43]
	s_and_saveexec_b64 s[42:43], s[6:7]
	s_cbranch_execz .LBB404_210
.LBB404_277:
	v_sub_u32_e32 v12, v24, v8
	v_mov_b32_e32 v13, 0
	v_lshlrev_b64 v[12:13], 1, v[12:13]
	v_add_co_u32_e32 v12, vcc, v7, v12
	v_addc_co_u32_e32 v13, vcc, v9, v13, vcc
	global_store_short_d16_hi v[12:13], v15, off
	s_or_b64 exec, exec, s[42:43]
	s_and_saveexec_b64 s[42:43], s[4:5]
	s_cbranch_execnz .LBB404_211
	s_branch .LBB404_212
.LBB404_278:
	v_sub_u32_e32 v10, v48, v8
	v_lshlrev_b32_e32 v10, 1, v10
	ds_write_b16 v10, v1
	s_or_b64 exec, exec, s[42:43]
	s_and_saveexec_b64 s[30:31], s[28:29]
	s_cbranch_execz .LBB404_216
.LBB404_279:
	v_sub_u32_e32 v1, v46, v8
	v_lshlrev_b32_e32 v1, 1, v1
	ds_write_b16 v1, v2
	s_or_b64 exec, exec, s[30:31]
	s_and_saveexec_b64 s[28:29], s[26:27]
	s_cbranch_execz .LBB404_217
.LBB404_280:
	v_sub_u32_e32 v1, v44, v8
	v_lshlrev_b32_e32 v1, 1, v1
	ds_write_b16_d16_hi v1, v2
	s_or_b64 exec, exec, s[28:29]
	s_and_saveexec_b64 s[26:27], s[24:25]
	s_cbranch_execz .LBB404_218
.LBB404_281:
	v_sub_u32_e32 v1, v42, v8
	v_lshlrev_b32_e32 v1, 1, v1
	ds_write_b16 v1, v3
	s_or_b64 exec, exec, s[26:27]
	s_and_saveexec_b64 s[24:25], s[22:23]
	s_cbranch_execz .LBB404_219
.LBB404_282:
	v_sub_u32_e32 v1, v40, v8
	v_lshlrev_b32_e32 v1, 1, v1
	ds_write_b16_d16_hi v1, v3
	s_or_b64 exec, exec, s[24:25]
	s_and_saveexec_b64 s[22:23], s[20:21]
	s_cbranch_execz .LBB404_220
.LBB404_283:
	v_sub_u32_e32 v1, v38, v8
	v_lshlrev_b32_e32 v1, 1, v1
	ds_write_b16 v1, v4
	s_or_b64 exec, exec, s[22:23]
	s_and_saveexec_b64 s[20:21], s[18:19]
	s_cbranch_execz .LBB404_221
.LBB404_284:
	v_sub_u32_e32 v1, v36, v8
	v_lshlrev_b32_e32 v1, 1, v1
	ds_write_b16_d16_hi v1, v4
	s_or_b64 exec, exec, s[20:21]
	s_and_saveexec_b64 s[18:19], s[16:17]
	s_cbranch_execz .LBB404_222
.LBB404_285:
	v_sub_u32_e32 v1, v34, v8
	v_lshlrev_b32_e32 v1, 1, v1
	ds_write_b16 v1, v5
	s_or_b64 exec, exec, s[18:19]
	s_and_saveexec_b64 s[16:17], s[14:15]
	s_cbranch_execz .LBB404_223
.LBB404_286:
	v_sub_u32_e32 v1, v32, v8
	v_lshlrev_b32_e32 v1, 1, v1
	ds_write_b16_d16_hi v1, v5
	s_or_b64 exec, exec, s[16:17]
	s_and_saveexec_b64 s[14:15], s[12:13]
	s_cbranch_execz .LBB404_224
.LBB404_287:
	v_sub_u32_e32 v1, v30, v8
	v_lshlrev_b32_e32 v1, 1, v1
	ds_write_b16 v1, v14
	s_or_b64 exec, exec, s[14:15]
	s_and_saveexec_b64 s[12:13], s[10:11]
	s_cbranch_execz .LBB404_225
.LBB404_288:
	v_sub_u32_e32 v1, v28, v8
	v_lshlrev_b32_e32 v1, 1, v1
	ds_write_b16_d16_hi v1, v14
	s_or_b64 exec, exec, s[12:13]
	s_and_saveexec_b64 s[10:11], s[8:9]
	s_cbranch_execz .LBB404_226
.LBB404_289:
	v_sub_u32_e32 v1, v26, v8
	v_lshlrev_b32_e32 v1, 1, v1
	ds_write_b16 v1, v15
	s_or_b64 exec, exec, s[10:11]
	s_and_saveexec_b64 s[8:9], s[6:7]
	s_cbranch_execz .LBB404_227
.LBB404_290:
	v_sub_u32_e32 v1, v24, v8
	v_lshlrev_b32_e32 v1, 1, v1
	ds_write_b16_d16_hi v1, v15
	s_or_b64 exec, exec, s[8:9]
	s_and_saveexec_b64 s[6:7], s[4:5]
	s_cbranch_execnz .LBB404_228
	s_branch .LBB404_229
.LBB404_291:
	v_sub_u32_e32 v10, v48, v3
	v_mov_b32_e32 v11, 0
	v_lshlrev_b64 v[10:11], 1, v[10:11]
	v_add_co_u32_e32 v10, vcc, v15, v10
	v_addc_co_u32_e32 v11, vcc, v16, v11, vcc
	global_store_short v[10:11], v49, off
	s_or_b64 exec, exec, s[38:39]
	s_and_saveexec_b64 s[38:39], s[26:27]
	s_cbranch_execz .LBB404_233
.LBB404_292:
	v_sub_u32_e32 v10, v46, v3
	v_mov_b32_e32 v11, 0
	v_lshlrev_b64 v[10:11], 1, v[10:11]
	v_add_co_u32_e32 v10, vcc, v15, v10
	v_addc_co_u32_e32 v11, vcc, v16, v11, vcc
	global_store_short v[10:11], v47, off
	s_or_b64 exec, exec, s[38:39]
	s_and_saveexec_b64 s[38:39], s[24:25]
	s_cbranch_execz .LBB404_234
.LBB404_293:
	v_sub_u32_e32 v10, v44, v3
	v_mov_b32_e32 v11, 0
	v_lshlrev_b64 v[10:11], 1, v[10:11]
	v_add_co_u32_e32 v10, vcc, v15, v10
	v_addc_co_u32_e32 v11, vcc, v16, v11, vcc
	global_store_short v[10:11], v45, off
	s_or_b64 exec, exec, s[38:39]
	s_and_saveexec_b64 s[38:39], s[22:23]
	s_cbranch_execz .LBB404_235
.LBB404_294:
	v_sub_u32_e32 v10, v42, v3
	v_mov_b32_e32 v11, 0
	v_lshlrev_b64 v[10:11], 1, v[10:11]
	v_add_co_u32_e32 v10, vcc, v15, v10
	v_addc_co_u32_e32 v11, vcc, v16, v11, vcc
	global_store_short v[10:11], v43, off
	s_or_b64 exec, exec, s[38:39]
	s_and_saveexec_b64 s[38:39], s[20:21]
	s_cbranch_execz .LBB404_236
.LBB404_295:
	v_sub_u32_e32 v10, v40, v3
	v_mov_b32_e32 v11, 0
	v_lshlrev_b64 v[10:11], 1, v[10:11]
	v_add_co_u32_e32 v10, vcc, v15, v10
	v_addc_co_u32_e32 v11, vcc, v16, v11, vcc
	global_store_short v[10:11], v41, off
	s_or_b64 exec, exec, s[38:39]
	s_and_saveexec_b64 s[38:39], s[18:19]
	s_cbranch_execz .LBB404_237
.LBB404_296:
	v_sub_u32_e32 v10, v38, v3
	v_mov_b32_e32 v11, 0
	v_lshlrev_b64 v[10:11], 1, v[10:11]
	v_add_co_u32_e32 v10, vcc, v15, v10
	v_addc_co_u32_e32 v11, vcc, v16, v11, vcc
	global_store_short v[10:11], v39, off
	s_or_b64 exec, exec, s[38:39]
	s_and_saveexec_b64 s[38:39], s[16:17]
	s_cbranch_execz .LBB404_238
.LBB404_297:
	v_sub_u32_e32 v10, v36, v3
	v_mov_b32_e32 v11, 0
	v_lshlrev_b64 v[10:11], 1, v[10:11]
	v_add_co_u32_e32 v10, vcc, v15, v10
	v_addc_co_u32_e32 v11, vcc, v16, v11, vcc
	global_store_short v[10:11], v37, off
	s_or_b64 exec, exec, s[38:39]
	s_and_saveexec_b64 s[38:39], s[14:15]
	s_cbranch_execz .LBB404_239
.LBB404_298:
	v_sub_u32_e32 v10, v34, v3
	v_mov_b32_e32 v11, 0
	v_lshlrev_b64 v[10:11], 1, v[10:11]
	v_add_co_u32_e32 v10, vcc, v15, v10
	v_addc_co_u32_e32 v11, vcc, v16, v11, vcc
	global_store_short v[10:11], v35, off
	s_or_b64 exec, exec, s[38:39]
	s_and_saveexec_b64 s[38:39], s[12:13]
	s_cbranch_execz .LBB404_240
.LBB404_299:
	v_sub_u32_e32 v10, v32, v3
	v_mov_b32_e32 v11, 0
	v_lshlrev_b64 v[10:11], 1, v[10:11]
	v_add_co_u32_e32 v10, vcc, v15, v10
	v_addc_co_u32_e32 v11, vcc, v16, v11, vcc
	global_store_short v[10:11], v33, off
	s_or_b64 exec, exec, s[38:39]
	s_and_saveexec_b64 s[38:39], s[10:11]
	s_cbranch_execz .LBB404_241
.LBB404_300:
	v_sub_u32_e32 v10, v30, v3
	v_mov_b32_e32 v11, 0
	v_lshlrev_b64 v[10:11], 1, v[10:11]
	v_add_co_u32_e32 v10, vcc, v15, v10
	v_addc_co_u32_e32 v11, vcc, v16, v11, vcc
	global_store_short v[10:11], v31, off
	s_or_b64 exec, exec, s[38:39]
	s_and_saveexec_b64 s[38:39], s[8:9]
	s_cbranch_execz .LBB404_242
.LBB404_301:
	v_sub_u32_e32 v10, v28, v3
	v_mov_b32_e32 v11, 0
	v_lshlrev_b64 v[10:11], 1, v[10:11]
	v_add_co_u32_e32 v10, vcc, v15, v10
	v_addc_co_u32_e32 v11, vcc, v16, v11, vcc
	global_store_short v[10:11], v29, off
	s_or_b64 exec, exec, s[38:39]
	s_and_saveexec_b64 s[38:39], s[6:7]
	s_cbranch_execz .LBB404_243
.LBB404_302:
	v_sub_u32_e32 v10, v26, v3
	v_mov_b32_e32 v11, 0
	v_lshlrev_b64 v[10:11], 1, v[10:11]
	v_add_co_u32_e32 v10, vcc, v15, v10
	v_addc_co_u32_e32 v11, vcc, v16, v11, vcc
	global_store_short v[10:11], v27, off
	s_or_b64 exec, exec, s[38:39]
	s_and_saveexec_b64 s[38:39], s[4:5]
	s_cbranch_execz .LBB404_244
.LBB404_303:
	v_sub_u32_e32 v10, v24, v3
	v_mov_b32_e32 v11, 0
	v_lshlrev_b64 v[10:11], 1, v[10:11]
	v_add_co_u32_e32 v10, vcc, v15, v10
	v_addc_co_u32_e32 v11, vcc, v16, v11, vcc
	global_store_short v[10:11], v25, off
	s_or_b64 exec, exec, s[38:39]
	s_and_saveexec_b64 s[38:39], s[2:3]
	s_cbranch_execnz .LBB404_245
	s_branch .LBB404_246
.LBB404_304:
	v_sub_u32_e32 v4, v48, v3
	v_lshlrev_b32_e32 v4, 1, v4
	ds_write_b16 v4, v49
	s_or_b64 exec, exec, s[38:39]
	s_and_saveexec_b64 s[28:29], s[26:27]
	s_cbranch_execz .LBB404_250
.LBB404_305:
	v_sub_u32_e32 v4, v46, v3
	v_lshlrev_b32_e32 v4, 1, v4
	ds_write_b16 v4, v47
	s_or_b64 exec, exec, s[28:29]
	s_and_saveexec_b64 s[26:27], s[24:25]
	s_cbranch_execz .LBB404_251
.LBB404_306:
	v_sub_u32_e32 v4, v44, v3
	v_lshlrev_b32_e32 v4, 1, v4
	ds_write_b16 v4, v45
	s_or_b64 exec, exec, s[26:27]
	s_and_saveexec_b64 s[24:25], s[22:23]
	s_cbranch_execz .LBB404_252
.LBB404_307:
	v_sub_u32_e32 v4, v42, v3
	v_lshlrev_b32_e32 v4, 1, v4
	ds_write_b16 v4, v43
	s_or_b64 exec, exec, s[24:25]
	s_and_saveexec_b64 s[22:23], s[20:21]
	s_cbranch_execz .LBB404_253
.LBB404_308:
	v_sub_u32_e32 v4, v40, v3
	v_lshlrev_b32_e32 v4, 1, v4
	ds_write_b16 v4, v41
	s_or_b64 exec, exec, s[22:23]
	s_and_saveexec_b64 s[20:21], s[18:19]
	s_cbranch_execz .LBB404_254
.LBB404_309:
	v_sub_u32_e32 v4, v38, v3
	v_lshlrev_b32_e32 v4, 1, v4
	ds_write_b16 v4, v39
	s_or_b64 exec, exec, s[20:21]
	s_and_saveexec_b64 s[18:19], s[16:17]
	s_cbranch_execz .LBB404_255
.LBB404_310:
	v_sub_u32_e32 v4, v36, v3
	v_lshlrev_b32_e32 v4, 1, v4
	ds_write_b16 v4, v37
	s_or_b64 exec, exec, s[18:19]
	s_and_saveexec_b64 s[16:17], s[14:15]
	s_cbranch_execz .LBB404_256
.LBB404_311:
	v_sub_u32_e32 v4, v34, v3
	v_lshlrev_b32_e32 v4, 1, v4
	ds_write_b16 v4, v35
	s_or_b64 exec, exec, s[16:17]
	s_and_saveexec_b64 s[14:15], s[12:13]
	s_cbranch_execz .LBB404_257
.LBB404_312:
	v_sub_u32_e32 v4, v32, v3
	v_lshlrev_b32_e32 v4, 1, v4
	ds_write_b16 v4, v33
	s_or_b64 exec, exec, s[14:15]
	s_and_saveexec_b64 s[12:13], s[10:11]
	s_cbranch_execz .LBB404_258
.LBB404_313:
	v_sub_u32_e32 v4, v30, v3
	v_lshlrev_b32_e32 v4, 1, v4
	ds_write_b16 v4, v31
	s_or_b64 exec, exec, s[12:13]
	s_and_saveexec_b64 s[10:11], s[8:9]
	s_cbranch_execz .LBB404_259
.LBB404_314:
	v_sub_u32_e32 v4, v28, v3
	v_lshlrev_b32_e32 v4, 1, v4
	ds_write_b16 v4, v29
	s_or_b64 exec, exec, s[10:11]
	s_and_saveexec_b64 s[8:9], s[6:7]
	s_cbranch_execz .LBB404_260
.LBB404_315:
	v_sub_u32_e32 v4, v26, v3
	v_lshlrev_b32_e32 v4, 1, v4
	ds_write_b16 v4, v27
	s_or_b64 exec, exec, s[8:9]
	s_and_saveexec_b64 s[6:7], s[4:5]
	s_cbranch_execz .LBB404_261
.LBB404_316:
	v_sub_u32_e32 v4, v24, v3
	v_lshlrev_b32_e32 v4, 1, v4
	ds_write_b16 v4, v25
	s_or_b64 exec, exec, s[6:7]
	s_and_saveexec_b64 s[4:5], s[2:3]
	s_cbranch_execnz .LBB404_262
	s_branch .LBB404_263
	.section	.rodata,"a",@progbits
	.p2align	6, 0x0
	.amdhsa_kernel _ZN7rocprim17ROCPRIM_400000_NS6detail17trampoline_kernelINS0_14default_configENS1_29reduce_by_key_config_selectorIttN6thrust23THRUST_200600_302600_NS4plusItEEEEZZNS1_33reduce_by_key_impl_wrapped_configILNS1_25lookback_scan_determinismE0ES3_S9_NS6_6detail15normal_iteratorINS6_10device_ptrItEEEESG_SG_SG_PmS8_NS6_8equal_toItEEEE10hipError_tPvRmT2_T3_mT4_T5_T6_T7_T8_P12ihipStream_tbENKUlT_T0_E_clISt17integral_constantIbLb1EES11_EEDaSW_SX_EUlSW_E_NS1_11comp_targetILNS1_3genE4ELNS1_11target_archE910ELNS1_3gpuE8ELNS1_3repE0EEENS1_30default_config_static_selectorELNS0_4arch9wavefront6targetE1EEEvT1_
		.amdhsa_group_segment_fixed_size 7680
		.amdhsa_private_segment_fixed_size 0
		.amdhsa_kernarg_size 120
		.amdhsa_user_sgpr_count 6
		.amdhsa_user_sgpr_private_segment_buffer 1
		.amdhsa_user_sgpr_dispatch_ptr 0
		.amdhsa_user_sgpr_queue_ptr 0
		.amdhsa_user_sgpr_kernarg_segment_ptr 1
		.amdhsa_user_sgpr_dispatch_id 0
		.amdhsa_user_sgpr_flat_scratch_init 0
		.amdhsa_user_sgpr_kernarg_preload_length 0
		.amdhsa_user_sgpr_kernarg_preload_offset 0
		.amdhsa_user_sgpr_private_segment_size 0
		.amdhsa_uses_dynamic_stack 0
		.amdhsa_system_sgpr_private_segment_wavefront_offset 0
		.amdhsa_system_sgpr_workgroup_id_x 1
		.amdhsa_system_sgpr_workgroup_id_y 0
		.amdhsa_system_sgpr_workgroup_id_z 0
		.amdhsa_system_sgpr_workgroup_info 0
		.amdhsa_system_vgpr_workitem_id 0
		.amdhsa_next_free_vgpr 111
		.amdhsa_next_free_sgpr 66
		.amdhsa_accum_offset 112
		.amdhsa_reserve_vcc 1
		.amdhsa_reserve_flat_scratch 0
		.amdhsa_float_round_mode_32 0
		.amdhsa_float_round_mode_16_64 0
		.amdhsa_float_denorm_mode_32 3
		.amdhsa_float_denorm_mode_16_64 3
		.amdhsa_dx10_clamp 1
		.amdhsa_ieee_mode 1
		.amdhsa_fp16_overflow 0
		.amdhsa_tg_split 0
		.amdhsa_exception_fp_ieee_invalid_op 0
		.amdhsa_exception_fp_denorm_src 0
		.amdhsa_exception_fp_ieee_div_zero 0
		.amdhsa_exception_fp_ieee_overflow 0
		.amdhsa_exception_fp_ieee_underflow 0
		.amdhsa_exception_fp_ieee_inexact 0
		.amdhsa_exception_int_div_zero 0
	.end_amdhsa_kernel
	.section	.text._ZN7rocprim17ROCPRIM_400000_NS6detail17trampoline_kernelINS0_14default_configENS1_29reduce_by_key_config_selectorIttN6thrust23THRUST_200600_302600_NS4plusItEEEEZZNS1_33reduce_by_key_impl_wrapped_configILNS1_25lookback_scan_determinismE0ES3_S9_NS6_6detail15normal_iteratorINS6_10device_ptrItEEEESG_SG_SG_PmS8_NS6_8equal_toItEEEE10hipError_tPvRmT2_T3_mT4_T5_T6_T7_T8_P12ihipStream_tbENKUlT_T0_E_clISt17integral_constantIbLb1EES11_EEDaSW_SX_EUlSW_E_NS1_11comp_targetILNS1_3genE4ELNS1_11target_archE910ELNS1_3gpuE8ELNS1_3repE0EEENS1_30default_config_static_selectorELNS0_4arch9wavefront6targetE1EEEvT1_,"axG",@progbits,_ZN7rocprim17ROCPRIM_400000_NS6detail17trampoline_kernelINS0_14default_configENS1_29reduce_by_key_config_selectorIttN6thrust23THRUST_200600_302600_NS4plusItEEEEZZNS1_33reduce_by_key_impl_wrapped_configILNS1_25lookback_scan_determinismE0ES3_S9_NS6_6detail15normal_iteratorINS6_10device_ptrItEEEESG_SG_SG_PmS8_NS6_8equal_toItEEEE10hipError_tPvRmT2_T3_mT4_T5_T6_T7_T8_P12ihipStream_tbENKUlT_T0_E_clISt17integral_constantIbLb1EES11_EEDaSW_SX_EUlSW_E_NS1_11comp_targetILNS1_3genE4ELNS1_11target_archE910ELNS1_3gpuE8ELNS1_3repE0EEENS1_30default_config_static_selectorELNS0_4arch9wavefront6targetE1EEEvT1_,comdat
.Lfunc_end404:
	.size	_ZN7rocprim17ROCPRIM_400000_NS6detail17trampoline_kernelINS0_14default_configENS1_29reduce_by_key_config_selectorIttN6thrust23THRUST_200600_302600_NS4plusItEEEEZZNS1_33reduce_by_key_impl_wrapped_configILNS1_25lookback_scan_determinismE0ES3_S9_NS6_6detail15normal_iteratorINS6_10device_ptrItEEEESG_SG_SG_PmS8_NS6_8equal_toItEEEE10hipError_tPvRmT2_T3_mT4_T5_T6_T7_T8_P12ihipStream_tbENKUlT_T0_E_clISt17integral_constantIbLb1EES11_EEDaSW_SX_EUlSW_E_NS1_11comp_targetILNS1_3genE4ELNS1_11target_archE910ELNS1_3gpuE8ELNS1_3repE0EEENS1_30default_config_static_selectorELNS0_4arch9wavefront6targetE1EEEvT1_, .Lfunc_end404-_ZN7rocprim17ROCPRIM_400000_NS6detail17trampoline_kernelINS0_14default_configENS1_29reduce_by_key_config_selectorIttN6thrust23THRUST_200600_302600_NS4plusItEEEEZZNS1_33reduce_by_key_impl_wrapped_configILNS1_25lookback_scan_determinismE0ES3_S9_NS6_6detail15normal_iteratorINS6_10device_ptrItEEEESG_SG_SG_PmS8_NS6_8equal_toItEEEE10hipError_tPvRmT2_T3_mT4_T5_T6_T7_T8_P12ihipStream_tbENKUlT_T0_E_clISt17integral_constantIbLb1EES11_EEDaSW_SX_EUlSW_E_NS1_11comp_targetILNS1_3genE4ELNS1_11target_archE910ELNS1_3gpuE8ELNS1_3repE0EEENS1_30default_config_static_selectorELNS0_4arch9wavefront6targetE1EEEvT1_
                                        ; -- End function
	.section	.AMDGPU.csdata,"",@progbits
; Kernel info:
; codeLenInByte = 18048
; NumSgprs: 70
; NumVgprs: 111
; NumAgprs: 0
; TotalNumVgprs: 111
; ScratchSize: 0
; MemoryBound: 0
; FloatMode: 240
; IeeeMode: 1
; LDSByteSize: 7680 bytes/workgroup (compile time only)
; SGPRBlocks: 8
; VGPRBlocks: 13
; NumSGPRsForWavesPerEU: 70
; NumVGPRsForWavesPerEU: 111
; AccumOffset: 112
; Occupancy: 4
; WaveLimiterHint : 1
; COMPUTE_PGM_RSRC2:SCRATCH_EN: 0
; COMPUTE_PGM_RSRC2:USER_SGPR: 6
; COMPUTE_PGM_RSRC2:TRAP_HANDLER: 0
; COMPUTE_PGM_RSRC2:TGID_X_EN: 1
; COMPUTE_PGM_RSRC2:TGID_Y_EN: 0
; COMPUTE_PGM_RSRC2:TGID_Z_EN: 0
; COMPUTE_PGM_RSRC2:TIDIG_COMP_CNT: 0
; COMPUTE_PGM_RSRC3_GFX90A:ACCUM_OFFSET: 27
; COMPUTE_PGM_RSRC3_GFX90A:TG_SPLIT: 0
	.section	.text._ZN7rocprim17ROCPRIM_400000_NS6detail17trampoline_kernelINS0_14default_configENS1_29reduce_by_key_config_selectorIttN6thrust23THRUST_200600_302600_NS4plusItEEEEZZNS1_33reduce_by_key_impl_wrapped_configILNS1_25lookback_scan_determinismE0ES3_S9_NS6_6detail15normal_iteratorINS6_10device_ptrItEEEESG_SG_SG_PmS8_NS6_8equal_toItEEEE10hipError_tPvRmT2_T3_mT4_T5_T6_T7_T8_P12ihipStream_tbENKUlT_T0_E_clISt17integral_constantIbLb1EES11_EEDaSW_SX_EUlSW_E_NS1_11comp_targetILNS1_3genE3ELNS1_11target_archE908ELNS1_3gpuE7ELNS1_3repE0EEENS1_30default_config_static_selectorELNS0_4arch9wavefront6targetE1EEEvT1_,"axG",@progbits,_ZN7rocprim17ROCPRIM_400000_NS6detail17trampoline_kernelINS0_14default_configENS1_29reduce_by_key_config_selectorIttN6thrust23THRUST_200600_302600_NS4plusItEEEEZZNS1_33reduce_by_key_impl_wrapped_configILNS1_25lookback_scan_determinismE0ES3_S9_NS6_6detail15normal_iteratorINS6_10device_ptrItEEEESG_SG_SG_PmS8_NS6_8equal_toItEEEE10hipError_tPvRmT2_T3_mT4_T5_T6_T7_T8_P12ihipStream_tbENKUlT_T0_E_clISt17integral_constantIbLb1EES11_EEDaSW_SX_EUlSW_E_NS1_11comp_targetILNS1_3genE3ELNS1_11target_archE908ELNS1_3gpuE7ELNS1_3repE0EEENS1_30default_config_static_selectorELNS0_4arch9wavefront6targetE1EEEvT1_,comdat
	.protected	_ZN7rocprim17ROCPRIM_400000_NS6detail17trampoline_kernelINS0_14default_configENS1_29reduce_by_key_config_selectorIttN6thrust23THRUST_200600_302600_NS4plusItEEEEZZNS1_33reduce_by_key_impl_wrapped_configILNS1_25lookback_scan_determinismE0ES3_S9_NS6_6detail15normal_iteratorINS6_10device_ptrItEEEESG_SG_SG_PmS8_NS6_8equal_toItEEEE10hipError_tPvRmT2_T3_mT4_T5_T6_T7_T8_P12ihipStream_tbENKUlT_T0_E_clISt17integral_constantIbLb1EES11_EEDaSW_SX_EUlSW_E_NS1_11comp_targetILNS1_3genE3ELNS1_11target_archE908ELNS1_3gpuE7ELNS1_3repE0EEENS1_30default_config_static_selectorELNS0_4arch9wavefront6targetE1EEEvT1_ ; -- Begin function _ZN7rocprim17ROCPRIM_400000_NS6detail17trampoline_kernelINS0_14default_configENS1_29reduce_by_key_config_selectorIttN6thrust23THRUST_200600_302600_NS4plusItEEEEZZNS1_33reduce_by_key_impl_wrapped_configILNS1_25lookback_scan_determinismE0ES3_S9_NS6_6detail15normal_iteratorINS6_10device_ptrItEEEESG_SG_SG_PmS8_NS6_8equal_toItEEEE10hipError_tPvRmT2_T3_mT4_T5_T6_T7_T8_P12ihipStream_tbENKUlT_T0_E_clISt17integral_constantIbLb1EES11_EEDaSW_SX_EUlSW_E_NS1_11comp_targetILNS1_3genE3ELNS1_11target_archE908ELNS1_3gpuE7ELNS1_3repE0EEENS1_30default_config_static_selectorELNS0_4arch9wavefront6targetE1EEEvT1_
	.globl	_ZN7rocprim17ROCPRIM_400000_NS6detail17trampoline_kernelINS0_14default_configENS1_29reduce_by_key_config_selectorIttN6thrust23THRUST_200600_302600_NS4plusItEEEEZZNS1_33reduce_by_key_impl_wrapped_configILNS1_25lookback_scan_determinismE0ES3_S9_NS6_6detail15normal_iteratorINS6_10device_ptrItEEEESG_SG_SG_PmS8_NS6_8equal_toItEEEE10hipError_tPvRmT2_T3_mT4_T5_T6_T7_T8_P12ihipStream_tbENKUlT_T0_E_clISt17integral_constantIbLb1EES11_EEDaSW_SX_EUlSW_E_NS1_11comp_targetILNS1_3genE3ELNS1_11target_archE908ELNS1_3gpuE7ELNS1_3repE0EEENS1_30default_config_static_selectorELNS0_4arch9wavefront6targetE1EEEvT1_
	.p2align	8
	.type	_ZN7rocprim17ROCPRIM_400000_NS6detail17trampoline_kernelINS0_14default_configENS1_29reduce_by_key_config_selectorIttN6thrust23THRUST_200600_302600_NS4plusItEEEEZZNS1_33reduce_by_key_impl_wrapped_configILNS1_25lookback_scan_determinismE0ES3_S9_NS6_6detail15normal_iteratorINS6_10device_ptrItEEEESG_SG_SG_PmS8_NS6_8equal_toItEEEE10hipError_tPvRmT2_T3_mT4_T5_T6_T7_T8_P12ihipStream_tbENKUlT_T0_E_clISt17integral_constantIbLb1EES11_EEDaSW_SX_EUlSW_E_NS1_11comp_targetILNS1_3genE3ELNS1_11target_archE908ELNS1_3gpuE7ELNS1_3repE0EEENS1_30default_config_static_selectorELNS0_4arch9wavefront6targetE1EEEvT1_,@function
_ZN7rocprim17ROCPRIM_400000_NS6detail17trampoline_kernelINS0_14default_configENS1_29reduce_by_key_config_selectorIttN6thrust23THRUST_200600_302600_NS4plusItEEEEZZNS1_33reduce_by_key_impl_wrapped_configILNS1_25lookback_scan_determinismE0ES3_S9_NS6_6detail15normal_iteratorINS6_10device_ptrItEEEESG_SG_SG_PmS8_NS6_8equal_toItEEEE10hipError_tPvRmT2_T3_mT4_T5_T6_T7_T8_P12ihipStream_tbENKUlT_T0_E_clISt17integral_constantIbLb1EES11_EEDaSW_SX_EUlSW_E_NS1_11comp_targetILNS1_3genE3ELNS1_11target_archE908ELNS1_3gpuE7ELNS1_3repE0EEENS1_30default_config_static_selectorELNS0_4arch9wavefront6targetE1EEEvT1_: ; @_ZN7rocprim17ROCPRIM_400000_NS6detail17trampoline_kernelINS0_14default_configENS1_29reduce_by_key_config_selectorIttN6thrust23THRUST_200600_302600_NS4plusItEEEEZZNS1_33reduce_by_key_impl_wrapped_configILNS1_25lookback_scan_determinismE0ES3_S9_NS6_6detail15normal_iteratorINS6_10device_ptrItEEEESG_SG_SG_PmS8_NS6_8equal_toItEEEE10hipError_tPvRmT2_T3_mT4_T5_T6_T7_T8_P12ihipStream_tbENKUlT_T0_E_clISt17integral_constantIbLb1EES11_EEDaSW_SX_EUlSW_E_NS1_11comp_targetILNS1_3genE3ELNS1_11target_archE908ELNS1_3gpuE7ELNS1_3repE0EEENS1_30default_config_static_selectorELNS0_4arch9wavefront6targetE1EEEvT1_
; %bb.0:
	.section	.rodata,"a",@progbits
	.p2align	6, 0x0
	.amdhsa_kernel _ZN7rocprim17ROCPRIM_400000_NS6detail17trampoline_kernelINS0_14default_configENS1_29reduce_by_key_config_selectorIttN6thrust23THRUST_200600_302600_NS4plusItEEEEZZNS1_33reduce_by_key_impl_wrapped_configILNS1_25lookback_scan_determinismE0ES3_S9_NS6_6detail15normal_iteratorINS6_10device_ptrItEEEESG_SG_SG_PmS8_NS6_8equal_toItEEEE10hipError_tPvRmT2_T3_mT4_T5_T6_T7_T8_P12ihipStream_tbENKUlT_T0_E_clISt17integral_constantIbLb1EES11_EEDaSW_SX_EUlSW_E_NS1_11comp_targetILNS1_3genE3ELNS1_11target_archE908ELNS1_3gpuE7ELNS1_3repE0EEENS1_30default_config_static_selectorELNS0_4arch9wavefront6targetE1EEEvT1_
		.amdhsa_group_segment_fixed_size 0
		.amdhsa_private_segment_fixed_size 0
		.amdhsa_kernarg_size 120
		.amdhsa_user_sgpr_count 6
		.amdhsa_user_sgpr_private_segment_buffer 1
		.amdhsa_user_sgpr_dispatch_ptr 0
		.amdhsa_user_sgpr_queue_ptr 0
		.amdhsa_user_sgpr_kernarg_segment_ptr 1
		.amdhsa_user_sgpr_dispatch_id 0
		.amdhsa_user_sgpr_flat_scratch_init 0
		.amdhsa_user_sgpr_kernarg_preload_length 0
		.amdhsa_user_sgpr_kernarg_preload_offset 0
		.amdhsa_user_sgpr_private_segment_size 0
		.amdhsa_uses_dynamic_stack 0
		.amdhsa_system_sgpr_private_segment_wavefront_offset 0
		.amdhsa_system_sgpr_workgroup_id_x 1
		.amdhsa_system_sgpr_workgroup_id_y 0
		.amdhsa_system_sgpr_workgroup_id_z 0
		.amdhsa_system_sgpr_workgroup_info 0
		.amdhsa_system_vgpr_workitem_id 0
		.amdhsa_next_free_vgpr 1
		.amdhsa_next_free_sgpr 0
		.amdhsa_accum_offset 4
		.amdhsa_reserve_vcc 0
		.amdhsa_reserve_flat_scratch 0
		.amdhsa_float_round_mode_32 0
		.amdhsa_float_round_mode_16_64 0
		.amdhsa_float_denorm_mode_32 3
		.amdhsa_float_denorm_mode_16_64 3
		.amdhsa_dx10_clamp 1
		.amdhsa_ieee_mode 1
		.amdhsa_fp16_overflow 0
		.amdhsa_tg_split 0
		.amdhsa_exception_fp_ieee_invalid_op 0
		.amdhsa_exception_fp_denorm_src 0
		.amdhsa_exception_fp_ieee_div_zero 0
		.amdhsa_exception_fp_ieee_overflow 0
		.amdhsa_exception_fp_ieee_underflow 0
		.amdhsa_exception_fp_ieee_inexact 0
		.amdhsa_exception_int_div_zero 0
	.end_amdhsa_kernel
	.section	.text._ZN7rocprim17ROCPRIM_400000_NS6detail17trampoline_kernelINS0_14default_configENS1_29reduce_by_key_config_selectorIttN6thrust23THRUST_200600_302600_NS4plusItEEEEZZNS1_33reduce_by_key_impl_wrapped_configILNS1_25lookback_scan_determinismE0ES3_S9_NS6_6detail15normal_iteratorINS6_10device_ptrItEEEESG_SG_SG_PmS8_NS6_8equal_toItEEEE10hipError_tPvRmT2_T3_mT4_T5_T6_T7_T8_P12ihipStream_tbENKUlT_T0_E_clISt17integral_constantIbLb1EES11_EEDaSW_SX_EUlSW_E_NS1_11comp_targetILNS1_3genE3ELNS1_11target_archE908ELNS1_3gpuE7ELNS1_3repE0EEENS1_30default_config_static_selectorELNS0_4arch9wavefront6targetE1EEEvT1_,"axG",@progbits,_ZN7rocprim17ROCPRIM_400000_NS6detail17trampoline_kernelINS0_14default_configENS1_29reduce_by_key_config_selectorIttN6thrust23THRUST_200600_302600_NS4plusItEEEEZZNS1_33reduce_by_key_impl_wrapped_configILNS1_25lookback_scan_determinismE0ES3_S9_NS6_6detail15normal_iteratorINS6_10device_ptrItEEEESG_SG_SG_PmS8_NS6_8equal_toItEEEE10hipError_tPvRmT2_T3_mT4_T5_T6_T7_T8_P12ihipStream_tbENKUlT_T0_E_clISt17integral_constantIbLb1EES11_EEDaSW_SX_EUlSW_E_NS1_11comp_targetILNS1_3genE3ELNS1_11target_archE908ELNS1_3gpuE7ELNS1_3repE0EEENS1_30default_config_static_selectorELNS0_4arch9wavefront6targetE1EEEvT1_,comdat
.Lfunc_end405:
	.size	_ZN7rocprim17ROCPRIM_400000_NS6detail17trampoline_kernelINS0_14default_configENS1_29reduce_by_key_config_selectorIttN6thrust23THRUST_200600_302600_NS4plusItEEEEZZNS1_33reduce_by_key_impl_wrapped_configILNS1_25lookback_scan_determinismE0ES3_S9_NS6_6detail15normal_iteratorINS6_10device_ptrItEEEESG_SG_SG_PmS8_NS6_8equal_toItEEEE10hipError_tPvRmT2_T3_mT4_T5_T6_T7_T8_P12ihipStream_tbENKUlT_T0_E_clISt17integral_constantIbLb1EES11_EEDaSW_SX_EUlSW_E_NS1_11comp_targetILNS1_3genE3ELNS1_11target_archE908ELNS1_3gpuE7ELNS1_3repE0EEENS1_30default_config_static_selectorELNS0_4arch9wavefront6targetE1EEEvT1_, .Lfunc_end405-_ZN7rocprim17ROCPRIM_400000_NS6detail17trampoline_kernelINS0_14default_configENS1_29reduce_by_key_config_selectorIttN6thrust23THRUST_200600_302600_NS4plusItEEEEZZNS1_33reduce_by_key_impl_wrapped_configILNS1_25lookback_scan_determinismE0ES3_S9_NS6_6detail15normal_iteratorINS6_10device_ptrItEEEESG_SG_SG_PmS8_NS6_8equal_toItEEEE10hipError_tPvRmT2_T3_mT4_T5_T6_T7_T8_P12ihipStream_tbENKUlT_T0_E_clISt17integral_constantIbLb1EES11_EEDaSW_SX_EUlSW_E_NS1_11comp_targetILNS1_3genE3ELNS1_11target_archE908ELNS1_3gpuE7ELNS1_3repE0EEENS1_30default_config_static_selectorELNS0_4arch9wavefront6targetE1EEEvT1_
                                        ; -- End function
	.section	.AMDGPU.csdata,"",@progbits
; Kernel info:
; codeLenInByte = 0
; NumSgprs: 4
; NumVgprs: 0
; NumAgprs: 0
; TotalNumVgprs: 0
; ScratchSize: 0
; MemoryBound: 0
; FloatMode: 240
; IeeeMode: 1
; LDSByteSize: 0 bytes/workgroup (compile time only)
; SGPRBlocks: 0
; VGPRBlocks: 0
; NumSGPRsForWavesPerEU: 4
; NumVGPRsForWavesPerEU: 1
; AccumOffset: 4
; Occupancy: 8
; WaveLimiterHint : 0
; COMPUTE_PGM_RSRC2:SCRATCH_EN: 0
; COMPUTE_PGM_RSRC2:USER_SGPR: 6
; COMPUTE_PGM_RSRC2:TRAP_HANDLER: 0
; COMPUTE_PGM_RSRC2:TGID_X_EN: 1
; COMPUTE_PGM_RSRC2:TGID_Y_EN: 0
; COMPUTE_PGM_RSRC2:TGID_Z_EN: 0
; COMPUTE_PGM_RSRC2:TIDIG_COMP_CNT: 0
; COMPUTE_PGM_RSRC3_GFX90A:ACCUM_OFFSET: 0
; COMPUTE_PGM_RSRC3_GFX90A:TG_SPLIT: 0
	.section	.text._ZN7rocprim17ROCPRIM_400000_NS6detail17trampoline_kernelINS0_14default_configENS1_29reduce_by_key_config_selectorIttN6thrust23THRUST_200600_302600_NS4plusItEEEEZZNS1_33reduce_by_key_impl_wrapped_configILNS1_25lookback_scan_determinismE0ES3_S9_NS6_6detail15normal_iteratorINS6_10device_ptrItEEEESG_SG_SG_PmS8_NS6_8equal_toItEEEE10hipError_tPvRmT2_T3_mT4_T5_T6_T7_T8_P12ihipStream_tbENKUlT_T0_E_clISt17integral_constantIbLb1EES11_EEDaSW_SX_EUlSW_E_NS1_11comp_targetILNS1_3genE2ELNS1_11target_archE906ELNS1_3gpuE6ELNS1_3repE0EEENS1_30default_config_static_selectorELNS0_4arch9wavefront6targetE1EEEvT1_,"axG",@progbits,_ZN7rocprim17ROCPRIM_400000_NS6detail17trampoline_kernelINS0_14default_configENS1_29reduce_by_key_config_selectorIttN6thrust23THRUST_200600_302600_NS4plusItEEEEZZNS1_33reduce_by_key_impl_wrapped_configILNS1_25lookback_scan_determinismE0ES3_S9_NS6_6detail15normal_iteratorINS6_10device_ptrItEEEESG_SG_SG_PmS8_NS6_8equal_toItEEEE10hipError_tPvRmT2_T3_mT4_T5_T6_T7_T8_P12ihipStream_tbENKUlT_T0_E_clISt17integral_constantIbLb1EES11_EEDaSW_SX_EUlSW_E_NS1_11comp_targetILNS1_3genE2ELNS1_11target_archE906ELNS1_3gpuE6ELNS1_3repE0EEENS1_30default_config_static_selectorELNS0_4arch9wavefront6targetE1EEEvT1_,comdat
	.protected	_ZN7rocprim17ROCPRIM_400000_NS6detail17trampoline_kernelINS0_14default_configENS1_29reduce_by_key_config_selectorIttN6thrust23THRUST_200600_302600_NS4plusItEEEEZZNS1_33reduce_by_key_impl_wrapped_configILNS1_25lookback_scan_determinismE0ES3_S9_NS6_6detail15normal_iteratorINS6_10device_ptrItEEEESG_SG_SG_PmS8_NS6_8equal_toItEEEE10hipError_tPvRmT2_T3_mT4_T5_T6_T7_T8_P12ihipStream_tbENKUlT_T0_E_clISt17integral_constantIbLb1EES11_EEDaSW_SX_EUlSW_E_NS1_11comp_targetILNS1_3genE2ELNS1_11target_archE906ELNS1_3gpuE6ELNS1_3repE0EEENS1_30default_config_static_selectorELNS0_4arch9wavefront6targetE1EEEvT1_ ; -- Begin function _ZN7rocprim17ROCPRIM_400000_NS6detail17trampoline_kernelINS0_14default_configENS1_29reduce_by_key_config_selectorIttN6thrust23THRUST_200600_302600_NS4plusItEEEEZZNS1_33reduce_by_key_impl_wrapped_configILNS1_25lookback_scan_determinismE0ES3_S9_NS6_6detail15normal_iteratorINS6_10device_ptrItEEEESG_SG_SG_PmS8_NS6_8equal_toItEEEE10hipError_tPvRmT2_T3_mT4_T5_T6_T7_T8_P12ihipStream_tbENKUlT_T0_E_clISt17integral_constantIbLb1EES11_EEDaSW_SX_EUlSW_E_NS1_11comp_targetILNS1_3genE2ELNS1_11target_archE906ELNS1_3gpuE6ELNS1_3repE0EEENS1_30default_config_static_selectorELNS0_4arch9wavefront6targetE1EEEvT1_
	.globl	_ZN7rocprim17ROCPRIM_400000_NS6detail17trampoline_kernelINS0_14default_configENS1_29reduce_by_key_config_selectorIttN6thrust23THRUST_200600_302600_NS4plusItEEEEZZNS1_33reduce_by_key_impl_wrapped_configILNS1_25lookback_scan_determinismE0ES3_S9_NS6_6detail15normal_iteratorINS6_10device_ptrItEEEESG_SG_SG_PmS8_NS6_8equal_toItEEEE10hipError_tPvRmT2_T3_mT4_T5_T6_T7_T8_P12ihipStream_tbENKUlT_T0_E_clISt17integral_constantIbLb1EES11_EEDaSW_SX_EUlSW_E_NS1_11comp_targetILNS1_3genE2ELNS1_11target_archE906ELNS1_3gpuE6ELNS1_3repE0EEENS1_30default_config_static_selectorELNS0_4arch9wavefront6targetE1EEEvT1_
	.p2align	8
	.type	_ZN7rocprim17ROCPRIM_400000_NS6detail17trampoline_kernelINS0_14default_configENS1_29reduce_by_key_config_selectorIttN6thrust23THRUST_200600_302600_NS4plusItEEEEZZNS1_33reduce_by_key_impl_wrapped_configILNS1_25lookback_scan_determinismE0ES3_S9_NS6_6detail15normal_iteratorINS6_10device_ptrItEEEESG_SG_SG_PmS8_NS6_8equal_toItEEEE10hipError_tPvRmT2_T3_mT4_T5_T6_T7_T8_P12ihipStream_tbENKUlT_T0_E_clISt17integral_constantIbLb1EES11_EEDaSW_SX_EUlSW_E_NS1_11comp_targetILNS1_3genE2ELNS1_11target_archE906ELNS1_3gpuE6ELNS1_3repE0EEENS1_30default_config_static_selectorELNS0_4arch9wavefront6targetE1EEEvT1_,@function
_ZN7rocprim17ROCPRIM_400000_NS6detail17trampoline_kernelINS0_14default_configENS1_29reduce_by_key_config_selectorIttN6thrust23THRUST_200600_302600_NS4plusItEEEEZZNS1_33reduce_by_key_impl_wrapped_configILNS1_25lookback_scan_determinismE0ES3_S9_NS6_6detail15normal_iteratorINS6_10device_ptrItEEEESG_SG_SG_PmS8_NS6_8equal_toItEEEE10hipError_tPvRmT2_T3_mT4_T5_T6_T7_T8_P12ihipStream_tbENKUlT_T0_E_clISt17integral_constantIbLb1EES11_EEDaSW_SX_EUlSW_E_NS1_11comp_targetILNS1_3genE2ELNS1_11target_archE906ELNS1_3gpuE6ELNS1_3repE0EEENS1_30default_config_static_selectorELNS0_4arch9wavefront6targetE1EEEvT1_: ; @_ZN7rocprim17ROCPRIM_400000_NS6detail17trampoline_kernelINS0_14default_configENS1_29reduce_by_key_config_selectorIttN6thrust23THRUST_200600_302600_NS4plusItEEEEZZNS1_33reduce_by_key_impl_wrapped_configILNS1_25lookback_scan_determinismE0ES3_S9_NS6_6detail15normal_iteratorINS6_10device_ptrItEEEESG_SG_SG_PmS8_NS6_8equal_toItEEEE10hipError_tPvRmT2_T3_mT4_T5_T6_T7_T8_P12ihipStream_tbENKUlT_T0_E_clISt17integral_constantIbLb1EES11_EEDaSW_SX_EUlSW_E_NS1_11comp_targetILNS1_3genE2ELNS1_11target_archE906ELNS1_3gpuE6ELNS1_3repE0EEENS1_30default_config_static_selectorELNS0_4arch9wavefront6targetE1EEEvT1_
; %bb.0:
	.section	.rodata,"a",@progbits
	.p2align	6, 0x0
	.amdhsa_kernel _ZN7rocprim17ROCPRIM_400000_NS6detail17trampoline_kernelINS0_14default_configENS1_29reduce_by_key_config_selectorIttN6thrust23THRUST_200600_302600_NS4plusItEEEEZZNS1_33reduce_by_key_impl_wrapped_configILNS1_25lookback_scan_determinismE0ES3_S9_NS6_6detail15normal_iteratorINS6_10device_ptrItEEEESG_SG_SG_PmS8_NS6_8equal_toItEEEE10hipError_tPvRmT2_T3_mT4_T5_T6_T7_T8_P12ihipStream_tbENKUlT_T0_E_clISt17integral_constantIbLb1EES11_EEDaSW_SX_EUlSW_E_NS1_11comp_targetILNS1_3genE2ELNS1_11target_archE906ELNS1_3gpuE6ELNS1_3repE0EEENS1_30default_config_static_selectorELNS0_4arch9wavefront6targetE1EEEvT1_
		.amdhsa_group_segment_fixed_size 0
		.amdhsa_private_segment_fixed_size 0
		.amdhsa_kernarg_size 120
		.amdhsa_user_sgpr_count 6
		.amdhsa_user_sgpr_private_segment_buffer 1
		.amdhsa_user_sgpr_dispatch_ptr 0
		.amdhsa_user_sgpr_queue_ptr 0
		.amdhsa_user_sgpr_kernarg_segment_ptr 1
		.amdhsa_user_sgpr_dispatch_id 0
		.amdhsa_user_sgpr_flat_scratch_init 0
		.amdhsa_user_sgpr_kernarg_preload_length 0
		.amdhsa_user_sgpr_kernarg_preload_offset 0
		.amdhsa_user_sgpr_private_segment_size 0
		.amdhsa_uses_dynamic_stack 0
		.amdhsa_system_sgpr_private_segment_wavefront_offset 0
		.amdhsa_system_sgpr_workgroup_id_x 1
		.amdhsa_system_sgpr_workgroup_id_y 0
		.amdhsa_system_sgpr_workgroup_id_z 0
		.amdhsa_system_sgpr_workgroup_info 0
		.amdhsa_system_vgpr_workitem_id 0
		.amdhsa_next_free_vgpr 1
		.amdhsa_next_free_sgpr 0
		.amdhsa_accum_offset 4
		.amdhsa_reserve_vcc 0
		.amdhsa_reserve_flat_scratch 0
		.amdhsa_float_round_mode_32 0
		.amdhsa_float_round_mode_16_64 0
		.amdhsa_float_denorm_mode_32 3
		.amdhsa_float_denorm_mode_16_64 3
		.amdhsa_dx10_clamp 1
		.amdhsa_ieee_mode 1
		.amdhsa_fp16_overflow 0
		.amdhsa_tg_split 0
		.amdhsa_exception_fp_ieee_invalid_op 0
		.amdhsa_exception_fp_denorm_src 0
		.amdhsa_exception_fp_ieee_div_zero 0
		.amdhsa_exception_fp_ieee_overflow 0
		.amdhsa_exception_fp_ieee_underflow 0
		.amdhsa_exception_fp_ieee_inexact 0
		.amdhsa_exception_int_div_zero 0
	.end_amdhsa_kernel
	.section	.text._ZN7rocprim17ROCPRIM_400000_NS6detail17trampoline_kernelINS0_14default_configENS1_29reduce_by_key_config_selectorIttN6thrust23THRUST_200600_302600_NS4plusItEEEEZZNS1_33reduce_by_key_impl_wrapped_configILNS1_25lookback_scan_determinismE0ES3_S9_NS6_6detail15normal_iteratorINS6_10device_ptrItEEEESG_SG_SG_PmS8_NS6_8equal_toItEEEE10hipError_tPvRmT2_T3_mT4_T5_T6_T7_T8_P12ihipStream_tbENKUlT_T0_E_clISt17integral_constantIbLb1EES11_EEDaSW_SX_EUlSW_E_NS1_11comp_targetILNS1_3genE2ELNS1_11target_archE906ELNS1_3gpuE6ELNS1_3repE0EEENS1_30default_config_static_selectorELNS0_4arch9wavefront6targetE1EEEvT1_,"axG",@progbits,_ZN7rocprim17ROCPRIM_400000_NS6detail17trampoline_kernelINS0_14default_configENS1_29reduce_by_key_config_selectorIttN6thrust23THRUST_200600_302600_NS4plusItEEEEZZNS1_33reduce_by_key_impl_wrapped_configILNS1_25lookback_scan_determinismE0ES3_S9_NS6_6detail15normal_iteratorINS6_10device_ptrItEEEESG_SG_SG_PmS8_NS6_8equal_toItEEEE10hipError_tPvRmT2_T3_mT4_T5_T6_T7_T8_P12ihipStream_tbENKUlT_T0_E_clISt17integral_constantIbLb1EES11_EEDaSW_SX_EUlSW_E_NS1_11comp_targetILNS1_3genE2ELNS1_11target_archE906ELNS1_3gpuE6ELNS1_3repE0EEENS1_30default_config_static_selectorELNS0_4arch9wavefront6targetE1EEEvT1_,comdat
.Lfunc_end406:
	.size	_ZN7rocprim17ROCPRIM_400000_NS6detail17trampoline_kernelINS0_14default_configENS1_29reduce_by_key_config_selectorIttN6thrust23THRUST_200600_302600_NS4plusItEEEEZZNS1_33reduce_by_key_impl_wrapped_configILNS1_25lookback_scan_determinismE0ES3_S9_NS6_6detail15normal_iteratorINS6_10device_ptrItEEEESG_SG_SG_PmS8_NS6_8equal_toItEEEE10hipError_tPvRmT2_T3_mT4_T5_T6_T7_T8_P12ihipStream_tbENKUlT_T0_E_clISt17integral_constantIbLb1EES11_EEDaSW_SX_EUlSW_E_NS1_11comp_targetILNS1_3genE2ELNS1_11target_archE906ELNS1_3gpuE6ELNS1_3repE0EEENS1_30default_config_static_selectorELNS0_4arch9wavefront6targetE1EEEvT1_, .Lfunc_end406-_ZN7rocprim17ROCPRIM_400000_NS6detail17trampoline_kernelINS0_14default_configENS1_29reduce_by_key_config_selectorIttN6thrust23THRUST_200600_302600_NS4plusItEEEEZZNS1_33reduce_by_key_impl_wrapped_configILNS1_25lookback_scan_determinismE0ES3_S9_NS6_6detail15normal_iteratorINS6_10device_ptrItEEEESG_SG_SG_PmS8_NS6_8equal_toItEEEE10hipError_tPvRmT2_T3_mT4_T5_T6_T7_T8_P12ihipStream_tbENKUlT_T0_E_clISt17integral_constantIbLb1EES11_EEDaSW_SX_EUlSW_E_NS1_11comp_targetILNS1_3genE2ELNS1_11target_archE906ELNS1_3gpuE6ELNS1_3repE0EEENS1_30default_config_static_selectorELNS0_4arch9wavefront6targetE1EEEvT1_
                                        ; -- End function
	.section	.AMDGPU.csdata,"",@progbits
; Kernel info:
; codeLenInByte = 0
; NumSgprs: 4
; NumVgprs: 0
; NumAgprs: 0
; TotalNumVgprs: 0
; ScratchSize: 0
; MemoryBound: 0
; FloatMode: 240
; IeeeMode: 1
; LDSByteSize: 0 bytes/workgroup (compile time only)
; SGPRBlocks: 0
; VGPRBlocks: 0
; NumSGPRsForWavesPerEU: 4
; NumVGPRsForWavesPerEU: 1
; AccumOffset: 4
; Occupancy: 8
; WaveLimiterHint : 0
; COMPUTE_PGM_RSRC2:SCRATCH_EN: 0
; COMPUTE_PGM_RSRC2:USER_SGPR: 6
; COMPUTE_PGM_RSRC2:TRAP_HANDLER: 0
; COMPUTE_PGM_RSRC2:TGID_X_EN: 1
; COMPUTE_PGM_RSRC2:TGID_Y_EN: 0
; COMPUTE_PGM_RSRC2:TGID_Z_EN: 0
; COMPUTE_PGM_RSRC2:TIDIG_COMP_CNT: 0
; COMPUTE_PGM_RSRC3_GFX90A:ACCUM_OFFSET: 0
; COMPUTE_PGM_RSRC3_GFX90A:TG_SPLIT: 0
	.section	.text._ZN7rocprim17ROCPRIM_400000_NS6detail17trampoline_kernelINS0_14default_configENS1_29reduce_by_key_config_selectorIttN6thrust23THRUST_200600_302600_NS4plusItEEEEZZNS1_33reduce_by_key_impl_wrapped_configILNS1_25lookback_scan_determinismE0ES3_S9_NS6_6detail15normal_iteratorINS6_10device_ptrItEEEESG_SG_SG_PmS8_NS6_8equal_toItEEEE10hipError_tPvRmT2_T3_mT4_T5_T6_T7_T8_P12ihipStream_tbENKUlT_T0_E_clISt17integral_constantIbLb1EES11_EEDaSW_SX_EUlSW_E_NS1_11comp_targetILNS1_3genE10ELNS1_11target_archE1201ELNS1_3gpuE5ELNS1_3repE0EEENS1_30default_config_static_selectorELNS0_4arch9wavefront6targetE1EEEvT1_,"axG",@progbits,_ZN7rocprim17ROCPRIM_400000_NS6detail17trampoline_kernelINS0_14default_configENS1_29reduce_by_key_config_selectorIttN6thrust23THRUST_200600_302600_NS4plusItEEEEZZNS1_33reduce_by_key_impl_wrapped_configILNS1_25lookback_scan_determinismE0ES3_S9_NS6_6detail15normal_iteratorINS6_10device_ptrItEEEESG_SG_SG_PmS8_NS6_8equal_toItEEEE10hipError_tPvRmT2_T3_mT4_T5_T6_T7_T8_P12ihipStream_tbENKUlT_T0_E_clISt17integral_constantIbLb1EES11_EEDaSW_SX_EUlSW_E_NS1_11comp_targetILNS1_3genE10ELNS1_11target_archE1201ELNS1_3gpuE5ELNS1_3repE0EEENS1_30default_config_static_selectorELNS0_4arch9wavefront6targetE1EEEvT1_,comdat
	.protected	_ZN7rocprim17ROCPRIM_400000_NS6detail17trampoline_kernelINS0_14default_configENS1_29reduce_by_key_config_selectorIttN6thrust23THRUST_200600_302600_NS4plusItEEEEZZNS1_33reduce_by_key_impl_wrapped_configILNS1_25lookback_scan_determinismE0ES3_S9_NS6_6detail15normal_iteratorINS6_10device_ptrItEEEESG_SG_SG_PmS8_NS6_8equal_toItEEEE10hipError_tPvRmT2_T3_mT4_T5_T6_T7_T8_P12ihipStream_tbENKUlT_T0_E_clISt17integral_constantIbLb1EES11_EEDaSW_SX_EUlSW_E_NS1_11comp_targetILNS1_3genE10ELNS1_11target_archE1201ELNS1_3gpuE5ELNS1_3repE0EEENS1_30default_config_static_selectorELNS0_4arch9wavefront6targetE1EEEvT1_ ; -- Begin function _ZN7rocprim17ROCPRIM_400000_NS6detail17trampoline_kernelINS0_14default_configENS1_29reduce_by_key_config_selectorIttN6thrust23THRUST_200600_302600_NS4plusItEEEEZZNS1_33reduce_by_key_impl_wrapped_configILNS1_25lookback_scan_determinismE0ES3_S9_NS6_6detail15normal_iteratorINS6_10device_ptrItEEEESG_SG_SG_PmS8_NS6_8equal_toItEEEE10hipError_tPvRmT2_T3_mT4_T5_T6_T7_T8_P12ihipStream_tbENKUlT_T0_E_clISt17integral_constantIbLb1EES11_EEDaSW_SX_EUlSW_E_NS1_11comp_targetILNS1_3genE10ELNS1_11target_archE1201ELNS1_3gpuE5ELNS1_3repE0EEENS1_30default_config_static_selectorELNS0_4arch9wavefront6targetE1EEEvT1_
	.globl	_ZN7rocprim17ROCPRIM_400000_NS6detail17trampoline_kernelINS0_14default_configENS1_29reduce_by_key_config_selectorIttN6thrust23THRUST_200600_302600_NS4plusItEEEEZZNS1_33reduce_by_key_impl_wrapped_configILNS1_25lookback_scan_determinismE0ES3_S9_NS6_6detail15normal_iteratorINS6_10device_ptrItEEEESG_SG_SG_PmS8_NS6_8equal_toItEEEE10hipError_tPvRmT2_T3_mT4_T5_T6_T7_T8_P12ihipStream_tbENKUlT_T0_E_clISt17integral_constantIbLb1EES11_EEDaSW_SX_EUlSW_E_NS1_11comp_targetILNS1_3genE10ELNS1_11target_archE1201ELNS1_3gpuE5ELNS1_3repE0EEENS1_30default_config_static_selectorELNS0_4arch9wavefront6targetE1EEEvT1_
	.p2align	8
	.type	_ZN7rocprim17ROCPRIM_400000_NS6detail17trampoline_kernelINS0_14default_configENS1_29reduce_by_key_config_selectorIttN6thrust23THRUST_200600_302600_NS4plusItEEEEZZNS1_33reduce_by_key_impl_wrapped_configILNS1_25lookback_scan_determinismE0ES3_S9_NS6_6detail15normal_iteratorINS6_10device_ptrItEEEESG_SG_SG_PmS8_NS6_8equal_toItEEEE10hipError_tPvRmT2_T3_mT4_T5_T6_T7_T8_P12ihipStream_tbENKUlT_T0_E_clISt17integral_constantIbLb1EES11_EEDaSW_SX_EUlSW_E_NS1_11comp_targetILNS1_3genE10ELNS1_11target_archE1201ELNS1_3gpuE5ELNS1_3repE0EEENS1_30default_config_static_selectorELNS0_4arch9wavefront6targetE1EEEvT1_,@function
_ZN7rocprim17ROCPRIM_400000_NS6detail17trampoline_kernelINS0_14default_configENS1_29reduce_by_key_config_selectorIttN6thrust23THRUST_200600_302600_NS4plusItEEEEZZNS1_33reduce_by_key_impl_wrapped_configILNS1_25lookback_scan_determinismE0ES3_S9_NS6_6detail15normal_iteratorINS6_10device_ptrItEEEESG_SG_SG_PmS8_NS6_8equal_toItEEEE10hipError_tPvRmT2_T3_mT4_T5_T6_T7_T8_P12ihipStream_tbENKUlT_T0_E_clISt17integral_constantIbLb1EES11_EEDaSW_SX_EUlSW_E_NS1_11comp_targetILNS1_3genE10ELNS1_11target_archE1201ELNS1_3gpuE5ELNS1_3repE0EEENS1_30default_config_static_selectorELNS0_4arch9wavefront6targetE1EEEvT1_: ; @_ZN7rocprim17ROCPRIM_400000_NS6detail17trampoline_kernelINS0_14default_configENS1_29reduce_by_key_config_selectorIttN6thrust23THRUST_200600_302600_NS4plusItEEEEZZNS1_33reduce_by_key_impl_wrapped_configILNS1_25lookback_scan_determinismE0ES3_S9_NS6_6detail15normal_iteratorINS6_10device_ptrItEEEESG_SG_SG_PmS8_NS6_8equal_toItEEEE10hipError_tPvRmT2_T3_mT4_T5_T6_T7_T8_P12ihipStream_tbENKUlT_T0_E_clISt17integral_constantIbLb1EES11_EEDaSW_SX_EUlSW_E_NS1_11comp_targetILNS1_3genE10ELNS1_11target_archE1201ELNS1_3gpuE5ELNS1_3repE0EEENS1_30default_config_static_selectorELNS0_4arch9wavefront6targetE1EEEvT1_
; %bb.0:
	.section	.rodata,"a",@progbits
	.p2align	6, 0x0
	.amdhsa_kernel _ZN7rocprim17ROCPRIM_400000_NS6detail17trampoline_kernelINS0_14default_configENS1_29reduce_by_key_config_selectorIttN6thrust23THRUST_200600_302600_NS4plusItEEEEZZNS1_33reduce_by_key_impl_wrapped_configILNS1_25lookback_scan_determinismE0ES3_S9_NS6_6detail15normal_iteratorINS6_10device_ptrItEEEESG_SG_SG_PmS8_NS6_8equal_toItEEEE10hipError_tPvRmT2_T3_mT4_T5_T6_T7_T8_P12ihipStream_tbENKUlT_T0_E_clISt17integral_constantIbLb1EES11_EEDaSW_SX_EUlSW_E_NS1_11comp_targetILNS1_3genE10ELNS1_11target_archE1201ELNS1_3gpuE5ELNS1_3repE0EEENS1_30default_config_static_selectorELNS0_4arch9wavefront6targetE1EEEvT1_
		.amdhsa_group_segment_fixed_size 0
		.amdhsa_private_segment_fixed_size 0
		.amdhsa_kernarg_size 120
		.amdhsa_user_sgpr_count 6
		.amdhsa_user_sgpr_private_segment_buffer 1
		.amdhsa_user_sgpr_dispatch_ptr 0
		.amdhsa_user_sgpr_queue_ptr 0
		.amdhsa_user_sgpr_kernarg_segment_ptr 1
		.amdhsa_user_sgpr_dispatch_id 0
		.amdhsa_user_sgpr_flat_scratch_init 0
		.amdhsa_user_sgpr_kernarg_preload_length 0
		.amdhsa_user_sgpr_kernarg_preload_offset 0
		.amdhsa_user_sgpr_private_segment_size 0
		.amdhsa_uses_dynamic_stack 0
		.amdhsa_system_sgpr_private_segment_wavefront_offset 0
		.amdhsa_system_sgpr_workgroup_id_x 1
		.amdhsa_system_sgpr_workgroup_id_y 0
		.amdhsa_system_sgpr_workgroup_id_z 0
		.amdhsa_system_sgpr_workgroup_info 0
		.amdhsa_system_vgpr_workitem_id 0
		.amdhsa_next_free_vgpr 1
		.amdhsa_next_free_sgpr 0
		.amdhsa_accum_offset 4
		.amdhsa_reserve_vcc 0
		.amdhsa_reserve_flat_scratch 0
		.amdhsa_float_round_mode_32 0
		.amdhsa_float_round_mode_16_64 0
		.amdhsa_float_denorm_mode_32 3
		.amdhsa_float_denorm_mode_16_64 3
		.amdhsa_dx10_clamp 1
		.amdhsa_ieee_mode 1
		.amdhsa_fp16_overflow 0
		.amdhsa_tg_split 0
		.amdhsa_exception_fp_ieee_invalid_op 0
		.amdhsa_exception_fp_denorm_src 0
		.amdhsa_exception_fp_ieee_div_zero 0
		.amdhsa_exception_fp_ieee_overflow 0
		.amdhsa_exception_fp_ieee_underflow 0
		.amdhsa_exception_fp_ieee_inexact 0
		.amdhsa_exception_int_div_zero 0
	.end_amdhsa_kernel
	.section	.text._ZN7rocprim17ROCPRIM_400000_NS6detail17trampoline_kernelINS0_14default_configENS1_29reduce_by_key_config_selectorIttN6thrust23THRUST_200600_302600_NS4plusItEEEEZZNS1_33reduce_by_key_impl_wrapped_configILNS1_25lookback_scan_determinismE0ES3_S9_NS6_6detail15normal_iteratorINS6_10device_ptrItEEEESG_SG_SG_PmS8_NS6_8equal_toItEEEE10hipError_tPvRmT2_T3_mT4_T5_T6_T7_T8_P12ihipStream_tbENKUlT_T0_E_clISt17integral_constantIbLb1EES11_EEDaSW_SX_EUlSW_E_NS1_11comp_targetILNS1_3genE10ELNS1_11target_archE1201ELNS1_3gpuE5ELNS1_3repE0EEENS1_30default_config_static_selectorELNS0_4arch9wavefront6targetE1EEEvT1_,"axG",@progbits,_ZN7rocprim17ROCPRIM_400000_NS6detail17trampoline_kernelINS0_14default_configENS1_29reduce_by_key_config_selectorIttN6thrust23THRUST_200600_302600_NS4plusItEEEEZZNS1_33reduce_by_key_impl_wrapped_configILNS1_25lookback_scan_determinismE0ES3_S9_NS6_6detail15normal_iteratorINS6_10device_ptrItEEEESG_SG_SG_PmS8_NS6_8equal_toItEEEE10hipError_tPvRmT2_T3_mT4_T5_T6_T7_T8_P12ihipStream_tbENKUlT_T0_E_clISt17integral_constantIbLb1EES11_EEDaSW_SX_EUlSW_E_NS1_11comp_targetILNS1_3genE10ELNS1_11target_archE1201ELNS1_3gpuE5ELNS1_3repE0EEENS1_30default_config_static_selectorELNS0_4arch9wavefront6targetE1EEEvT1_,comdat
.Lfunc_end407:
	.size	_ZN7rocprim17ROCPRIM_400000_NS6detail17trampoline_kernelINS0_14default_configENS1_29reduce_by_key_config_selectorIttN6thrust23THRUST_200600_302600_NS4plusItEEEEZZNS1_33reduce_by_key_impl_wrapped_configILNS1_25lookback_scan_determinismE0ES3_S9_NS6_6detail15normal_iteratorINS6_10device_ptrItEEEESG_SG_SG_PmS8_NS6_8equal_toItEEEE10hipError_tPvRmT2_T3_mT4_T5_T6_T7_T8_P12ihipStream_tbENKUlT_T0_E_clISt17integral_constantIbLb1EES11_EEDaSW_SX_EUlSW_E_NS1_11comp_targetILNS1_3genE10ELNS1_11target_archE1201ELNS1_3gpuE5ELNS1_3repE0EEENS1_30default_config_static_selectorELNS0_4arch9wavefront6targetE1EEEvT1_, .Lfunc_end407-_ZN7rocprim17ROCPRIM_400000_NS6detail17trampoline_kernelINS0_14default_configENS1_29reduce_by_key_config_selectorIttN6thrust23THRUST_200600_302600_NS4plusItEEEEZZNS1_33reduce_by_key_impl_wrapped_configILNS1_25lookback_scan_determinismE0ES3_S9_NS6_6detail15normal_iteratorINS6_10device_ptrItEEEESG_SG_SG_PmS8_NS6_8equal_toItEEEE10hipError_tPvRmT2_T3_mT4_T5_T6_T7_T8_P12ihipStream_tbENKUlT_T0_E_clISt17integral_constantIbLb1EES11_EEDaSW_SX_EUlSW_E_NS1_11comp_targetILNS1_3genE10ELNS1_11target_archE1201ELNS1_3gpuE5ELNS1_3repE0EEENS1_30default_config_static_selectorELNS0_4arch9wavefront6targetE1EEEvT1_
                                        ; -- End function
	.section	.AMDGPU.csdata,"",@progbits
; Kernel info:
; codeLenInByte = 0
; NumSgprs: 4
; NumVgprs: 0
; NumAgprs: 0
; TotalNumVgprs: 0
; ScratchSize: 0
; MemoryBound: 0
; FloatMode: 240
; IeeeMode: 1
; LDSByteSize: 0 bytes/workgroup (compile time only)
; SGPRBlocks: 0
; VGPRBlocks: 0
; NumSGPRsForWavesPerEU: 4
; NumVGPRsForWavesPerEU: 1
; AccumOffset: 4
; Occupancy: 8
; WaveLimiterHint : 0
; COMPUTE_PGM_RSRC2:SCRATCH_EN: 0
; COMPUTE_PGM_RSRC2:USER_SGPR: 6
; COMPUTE_PGM_RSRC2:TRAP_HANDLER: 0
; COMPUTE_PGM_RSRC2:TGID_X_EN: 1
; COMPUTE_PGM_RSRC2:TGID_Y_EN: 0
; COMPUTE_PGM_RSRC2:TGID_Z_EN: 0
; COMPUTE_PGM_RSRC2:TIDIG_COMP_CNT: 0
; COMPUTE_PGM_RSRC3_GFX90A:ACCUM_OFFSET: 0
; COMPUTE_PGM_RSRC3_GFX90A:TG_SPLIT: 0
	.section	.text._ZN7rocprim17ROCPRIM_400000_NS6detail17trampoline_kernelINS0_14default_configENS1_29reduce_by_key_config_selectorIttN6thrust23THRUST_200600_302600_NS4plusItEEEEZZNS1_33reduce_by_key_impl_wrapped_configILNS1_25lookback_scan_determinismE0ES3_S9_NS6_6detail15normal_iteratorINS6_10device_ptrItEEEESG_SG_SG_PmS8_NS6_8equal_toItEEEE10hipError_tPvRmT2_T3_mT4_T5_T6_T7_T8_P12ihipStream_tbENKUlT_T0_E_clISt17integral_constantIbLb1EES11_EEDaSW_SX_EUlSW_E_NS1_11comp_targetILNS1_3genE10ELNS1_11target_archE1200ELNS1_3gpuE4ELNS1_3repE0EEENS1_30default_config_static_selectorELNS0_4arch9wavefront6targetE1EEEvT1_,"axG",@progbits,_ZN7rocprim17ROCPRIM_400000_NS6detail17trampoline_kernelINS0_14default_configENS1_29reduce_by_key_config_selectorIttN6thrust23THRUST_200600_302600_NS4plusItEEEEZZNS1_33reduce_by_key_impl_wrapped_configILNS1_25lookback_scan_determinismE0ES3_S9_NS6_6detail15normal_iteratorINS6_10device_ptrItEEEESG_SG_SG_PmS8_NS6_8equal_toItEEEE10hipError_tPvRmT2_T3_mT4_T5_T6_T7_T8_P12ihipStream_tbENKUlT_T0_E_clISt17integral_constantIbLb1EES11_EEDaSW_SX_EUlSW_E_NS1_11comp_targetILNS1_3genE10ELNS1_11target_archE1200ELNS1_3gpuE4ELNS1_3repE0EEENS1_30default_config_static_selectorELNS0_4arch9wavefront6targetE1EEEvT1_,comdat
	.protected	_ZN7rocprim17ROCPRIM_400000_NS6detail17trampoline_kernelINS0_14default_configENS1_29reduce_by_key_config_selectorIttN6thrust23THRUST_200600_302600_NS4plusItEEEEZZNS1_33reduce_by_key_impl_wrapped_configILNS1_25lookback_scan_determinismE0ES3_S9_NS6_6detail15normal_iteratorINS6_10device_ptrItEEEESG_SG_SG_PmS8_NS6_8equal_toItEEEE10hipError_tPvRmT2_T3_mT4_T5_T6_T7_T8_P12ihipStream_tbENKUlT_T0_E_clISt17integral_constantIbLb1EES11_EEDaSW_SX_EUlSW_E_NS1_11comp_targetILNS1_3genE10ELNS1_11target_archE1200ELNS1_3gpuE4ELNS1_3repE0EEENS1_30default_config_static_selectorELNS0_4arch9wavefront6targetE1EEEvT1_ ; -- Begin function _ZN7rocprim17ROCPRIM_400000_NS6detail17trampoline_kernelINS0_14default_configENS1_29reduce_by_key_config_selectorIttN6thrust23THRUST_200600_302600_NS4plusItEEEEZZNS1_33reduce_by_key_impl_wrapped_configILNS1_25lookback_scan_determinismE0ES3_S9_NS6_6detail15normal_iteratorINS6_10device_ptrItEEEESG_SG_SG_PmS8_NS6_8equal_toItEEEE10hipError_tPvRmT2_T3_mT4_T5_T6_T7_T8_P12ihipStream_tbENKUlT_T0_E_clISt17integral_constantIbLb1EES11_EEDaSW_SX_EUlSW_E_NS1_11comp_targetILNS1_3genE10ELNS1_11target_archE1200ELNS1_3gpuE4ELNS1_3repE0EEENS1_30default_config_static_selectorELNS0_4arch9wavefront6targetE1EEEvT1_
	.globl	_ZN7rocprim17ROCPRIM_400000_NS6detail17trampoline_kernelINS0_14default_configENS1_29reduce_by_key_config_selectorIttN6thrust23THRUST_200600_302600_NS4plusItEEEEZZNS1_33reduce_by_key_impl_wrapped_configILNS1_25lookback_scan_determinismE0ES3_S9_NS6_6detail15normal_iteratorINS6_10device_ptrItEEEESG_SG_SG_PmS8_NS6_8equal_toItEEEE10hipError_tPvRmT2_T3_mT4_T5_T6_T7_T8_P12ihipStream_tbENKUlT_T0_E_clISt17integral_constantIbLb1EES11_EEDaSW_SX_EUlSW_E_NS1_11comp_targetILNS1_3genE10ELNS1_11target_archE1200ELNS1_3gpuE4ELNS1_3repE0EEENS1_30default_config_static_selectorELNS0_4arch9wavefront6targetE1EEEvT1_
	.p2align	8
	.type	_ZN7rocprim17ROCPRIM_400000_NS6detail17trampoline_kernelINS0_14default_configENS1_29reduce_by_key_config_selectorIttN6thrust23THRUST_200600_302600_NS4plusItEEEEZZNS1_33reduce_by_key_impl_wrapped_configILNS1_25lookback_scan_determinismE0ES3_S9_NS6_6detail15normal_iteratorINS6_10device_ptrItEEEESG_SG_SG_PmS8_NS6_8equal_toItEEEE10hipError_tPvRmT2_T3_mT4_T5_T6_T7_T8_P12ihipStream_tbENKUlT_T0_E_clISt17integral_constantIbLb1EES11_EEDaSW_SX_EUlSW_E_NS1_11comp_targetILNS1_3genE10ELNS1_11target_archE1200ELNS1_3gpuE4ELNS1_3repE0EEENS1_30default_config_static_selectorELNS0_4arch9wavefront6targetE1EEEvT1_,@function
_ZN7rocprim17ROCPRIM_400000_NS6detail17trampoline_kernelINS0_14default_configENS1_29reduce_by_key_config_selectorIttN6thrust23THRUST_200600_302600_NS4plusItEEEEZZNS1_33reduce_by_key_impl_wrapped_configILNS1_25lookback_scan_determinismE0ES3_S9_NS6_6detail15normal_iteratorINS6_10device_ptrItEEEESG_SG_SG_PmS8_NS6_8equal_toItEEEE10hipError_tPvRmT2_T3_mT4_T5_T6_T7_T8_P12ihipStream_tbENKUlT_T0_E_clISt17integral_constantIbLb1EES11_EEDaSW_SX_EUlSW_E_NS1_11comp_targetILNS1_3genE10ELNS1_11target_archE1200ELNS1_3gpuE4ELNS1_3repE0EEENS1_30default_config_static_selectorELNS0_4arch9wavefront6targetE1EEEvT1_: ; @_ZN7rocprim17ROCPRIM_400000_NS6detail17trampoline_kernelINS0_14default_configENS1_29reduce_by_key_config_selectorIttN6thrust23THRUST_200600_302600_NS4plusItEEEEZZNS1_33reduce_by_key_impl_wrapped_configILNS1_25lookback_scan_determinismE0ES3_S9_NS6_6detail15normal_iteratorINS6_10device_ptrItEEEESG_SG_SG_PmS8_NS6_8equal_toItEEEE10hipError_tPvRmT2_T3_mT4_T5_T6_T7_T8_P12ihipStream_tbENKUlT_T0_E_clISt17integral_constantIbLb1EES11_EEDaSW_SX_EUlSW_E_NS1_11comp_targetILNS1_3genE10ELNS1_11target_archE1200ELNS1_3gpuE4ELNS1_3repE0EEENS1_30default_config_static_selectorELNS0_4arch9wavefront6targetE1EEEvT1_
; %bb.0:
	.section	.rodata,"a",@progbits
	.p2align	6, 0x0
	.amdhsa_kernel _ZN7rocprim17ROCPRIM_400000_NS6detail17trampoline_kernelINS0_14default_configENS1_29reduce_by_key_config_selectorIttN6thrust23THRUST_200600_302600_NS4plusItEEEEZZNS1_33reduce_by_key_impl_wrapped_configILNS1_25lookback_scan_determinismE0ES3_S9_NS6_6detail15normal_iteratorINS6_10device_ptrItEEEESG_SG_SG_PmS8_NS6_8equal_toItEEEE10hipError_tPvRmT2_T3_mT4_T5_T6_T7_T8_P12ihipStream_tbENKUlT_T0_E_clISt17integral_constantIbLb1EES11_EEDaSW_SX_EUlSW_E_NS1_11comp_targetILNS1_3genE10ELNS1_11target_archE1200ELNS1_3gpuE4ELNS1_3repE0EEENS1_30default_config_static_selectorELNS0_4arch9wavefront6targetE1EEEvT1_
		.amdhsa_group_segment_fixed_size 0
		.amdhsa_private_segment_fixed_size 0
		.amdhsa_kernarg_size 120
		.amdhsa_user_sgpr_count 6
		.amdhsa_user_sgpr_private_segment_buffer 1
		.amdhsa_user_sgpr_dispatch_ptr 0
		.amdhsa_user_sgpr_queue_ptr 0
		.amdhsa_user_sgpr_kernarg_segment_ptr 1
		.amdhsa_user_sgpr_dispatch_id 0
		.amdhsa_user_sgpr_flat_scratch_init 0
		.amdhsa_user_sgpr_kernarg_preload_length 0
		.amdhsa_user_sgpr_kernarg_preload_offset 0
		.amdhsa_user_sgpr_private_segment_size 0
		.amdhsa_uses_dynamic_stack 0
		.amdhsa_system_sgpr_private_segment_wavefront_offset 0
		.amdhsa_system_sgpr_workgroup_id_x 1
		.amdhsa_system_sgpr_workgroup_id_y 0
		.amdhsa_system_sgpr_workgroup_id_z 0
		.amdhsa_system_sgpr_workgroup_info 0
		.amdhsa_system_vgpr_workitem_id 0
		.amdhsa_next_free_vgpr 1
		.amdhsa_next_free_sgpr 0
		.amdhsa_accum_offset 4
		.amdhsa_reserve_vcc 0
		.amdhsa_reserve_flat_scratch 0
		.amdhsa_float_round_mode_32 0
		.amdhsa_float_round_mode_16_64 0
		.amdhsa_float_denorm_mode_32 3
		.amdhsa_float_denorm_mode_16_64 3
		.amdhsa_dx10_clamp 1
		.amdhsa_ieee_mode 1
		.amdhsa_fp16_overflow 0
		.amdhsa_tg_split 0
		.amdhsa_exception_fp_ieee_invalid_op 0
		.amdhsa_exception_fp_denorm_src 0
		.amdhsa_exception_fp_ieee_div_zero 0
		.amdhsa_exception_fp_ieee_overflow 0
		.amdhsa_exception_fp_ieee_underflow 0
		.amdhsa_exception_fp_ieee_inexact 0
		.amdhsa_exception_int_div_zero 0
	.end_amdhsa_kernel
	.section	.text._ZN7rocprim17ROCPRIM_400000_NS6detail17trampoline_kernelINS0_14default_configENS1_29reduce_by_key_config_selectorIttN6thrust23THRUST_200600_302600_NS4plusItEEEEZZNS1_33reduce_by_key_impl_wrapped_configILNS1_25lookback_scan_determinismE0ES3_S9_NS6_6detail15normal_iteratorINS6_10device_ptrItEEEESG_SG_SG_PmS8_NS6_8equal_toItEEEE10hipError_tPvRmT2_T3_mT4_T5_T6_T7_T8_P12ihipStream_tbENKUlT_T0_E_clISt17integral_constantIbLb1EES11_EEDaSW_SX_EUlSW_E_NS1_11comp_targetILNS1_3genE10ELNS1_11target_archE1200ELNS1_3gpuE4ELNS1_3repE0EEENS1_30default_config_static_selectorELNS0_4arch9wavefront6targetE1EEEvT1_,"axG",@progbits,_ZN7rocprim17ROCPRIM_400000_NS6detail17trampoline_kernelINS0_14default_configENS1_29reduce_by_key_config_selectorIttN6thrust23THRUST_200600_302600_NS4plusItEEEEZZNS1_33reduce_by_key_impl_wrapped_configILNS1_25lookback_scan_determinismE0ES3_S9_NS6_6detail15normal_iteratorINS6_10device_ptrItEEEESG_SG_SG_PmS8_NS6_8equal_toItEEEE10hipError_tPvRmT2_T3_mT4_T5_T6_T7_T8_P12ihipStream_tbENKUlT_T0_E_clISt17integral_constantIbLb1EES11_EEDaSW_SX_EUlSW_E_NS1_11comp_targetILNS1_3genE10ELNS1_11target_archE1200ELNS1_3gpuE4ELNS1_3repE0EEENS1_30default_config_static_selectorELNS0_4arch9wavefront6targetE1EEEvT1_,comdat
.Lfunc_end408:
	.size	_ZN7rocprim17ROCPRIM_400000_NS6detail17trampoline_kernelINS0_14default_configENS1_29reduce_by_key_config_selectorIttN6thrust23THRUST_200600_302600_NS4plusItEEEEZZNS1_33reduce_by_key_impl_wrapped_configILNS1_25lookback_scan_determinismE0ES3_S9_NS6_6detail15normal_iteratorINS6_10device_ptrItEEEESG_SG_SG_PmS8_NS6_8equal_toItEEEE10hipError_tPvRmT2_T3_mT4_T5_T6_T7_T8_P12ihipStream_tbENKUlT_T0_E_clISt17integral_constantIbLb1EES11_EEDaSW_SX_EUlSW_E_NS1_11comp_targetILNS1_3genE10ELNS1_11target_archE1200ELNS1_3gpuE4ELNS1_3repE0EEENS1_30default_config_static_selectorELNS0_4arch9wavefront6targetE1EEEvT1_, .Lfunc_end408-_ZN7rocprim17ROCPRIM_400000_NS6detail17trampoline_kernelINS0_14default_configENS1_29reduce_by_key_config_selectorIttN6thrust23THRUST_200600_302600_NS4plusItEEEEZZNS1_33reduce_by_key_impl_wrapped_configILNS1_25lookback_scan_determinismE0ES3_S9_NS6_6detail15normal_iteratorINS6_10device_ptrItEEEESG_SG_SG_PmS8_NS6_8equal_toItEEEE10hipError_tPvRmT2_T3_mT4_T5_T6_T7_T8_P12ihipStream_tbENKUlT_T0_E_clISt17integral_constantIbLb1EES11_EEDaSW_SX_EUlSW_E_NS1_11comp_targetILNS1_3genE10ELNS1_11target_archE1200ELNS1_3gpuE4ELNS1_3repE0EEENS1_30default_config_static_selectorELNS0_4arch9wavefront6targetE1EEEvT1_
                                        ; -- End function
	.section	.AMDGPU.csdata,"",@progbits
; Kernel info:
; codeLenInByte = 0
; NumSgprs: 4
; NumVgprs: 0
; NumAgprs: 0
; TotalNumVgprs: 0
; ScratchSize: 0
; MemoryBound: 0
; FloatMode: 240
; IeeeMode: 1
; LDSByteSize: 0 bytes/workgroup (compile time only)
; SGPRBlocks: 0
; VGPRBlocks: 0
; NumSGPRsForWavesPerEU: 4
; NumVGPRsForWavesPerEU: 1
; AccumOffset: 4
; Occupancy: 8
; WaveLimiterHint : 0
; COMPUTE_PGM_RSRC2:SCRATCH_EN: 0
; COMPUTE_PGM_RSRC2:USER_SGPR: 6
; COMPUTE_PGM_RSRC2:TRAP_HANDLER: 0
; COMPUTE_PGM_RSRC2:TGID_X_EN: 1
; COMPUTE_PGM_RSRC2:TGID_Y_EN: 0
; COMPUTE_PGM_RSRC2:TGID_Z_EN: 0
; COMPUTE_PGM_RSRC2:TIDIG_COMP_CNT: 0
; COMPUTE_PGM_RSRC3_GFX90A:ACCUM_OFFSET: 0
; COMPUTE_PGM_RSRC3_GFX90A:TG_SPLIT: 0
	.section	.text._ZN7rocprim17ROCPRIM_400000_NS6detail17trampoline_kernelINS0_14default_configENS1_29reduce_by_key_config_selectorIttN6thrust23THRUST_200600_302600_NS4plusItEEEEZZNS1_33reduce_by_key_impl_wrapped_configILNS1_25lookback_scan_determinismE0ES3_S9_NS6_6detail15normal_iteratorINS6_10device_ptrItEEEESG_SG_SG_PmS8_NS6_8equal_toItEEEE10hipError_tPvRmT2_T3_mT4_T5_T6_T7_T8_P12ihipStream_tbENKUlT_T0_E_clISt17integral_constantIbLb1EES11_EEDaSW_SX_EUlSW_E_NS1_11comp_targetILNS1_3genE9ELNS1_11target_archE1100ELNS1_3gpuE3ELNS1_3repE0EEENS1_30default_config_static_selectorELNS0_4arch9wavefront6targetE1EEEvT1_,"axG",@progbits,_ZN7rocprim17ROCPRIM_400000_NS6detail17trampoline_kernelINS0_14default_configENS1_29reduce_by_key_config_selectorIttN6thrust23THRUST_200600_302600_NS4plusItEEEEZZNS1_33reduce_by_key_impl_wrapped_configILNS1_25lookback_scan_determinismE0ES3_S9_NS6_6detail15normal_iteratorINS6_10device_ptrItEEEESG_SG_SG_PmS8_NS6_8equal_toItEEEE10hipError_tPvRmT2_T3_mT4_T5_T6_T7_T8_P12ihipStream_tbENKUlT_T0_E_clISt17integral_constantIbLb1EES11_EEDaSW_SX_EUlSW_E_NS1_11comp_targetILNS1_3genE9ELNS1_11target_archE1100ELNS1_3gpuE3ELNS1_3repE0EEENS1_30default_config_static_selectorELNS0_4arch9wavefront6targetE1EEEvT1_,comdat
	.protected	_ZN7rocprim17ROCPRIM_400000_NS6detail17trampoline_kernelINS0_14default_configENS1_29reduce_by_key_config_selectorIttN6thrust23THRUST_200600_302600_NS4plusItEEEEZZNS1_33reduce_by_key_impl_wrapped_configILNS1_25lookback_scan_determinismE0ES3_S9_NS6_6detail15normal_iteratorINS6_10device_ptrItEEEESG_SG_SG_PmS8_NS6_8equal_toItEEEE10hipError_tPvRmT2_T3_mT4_T5_T6_T7_T8_P12ihipStream_tbENKUlT_T0_E_clISt17integral_constantIbLb1EES11_EEDaSW_SX_EUlSW_E_NS1_11comp_targetILNS1_3genE9ELNS1_11target_archE1100ELNS1_3gpuE3ELNS1_3repE0EEENS1_30default_config_static_selectorELNS0_4arch9wavefront6targetE1EEEvT1_ ; -- Begin function _ZN7rocprim17ROCPRIM_400000_NS6detail17trampoline_kernelINS0_14default_configENS1_29reduce_by_key_config_selectorIttN6thrust23THRUST_200600_302600_NS4plusItEEEEZZNS1_33reduce_by_key_impl_wrapped_configILNS1_25lookback_scan_determinismE0ES3_S9_NS6_6detail15normal_iteratorINS6_10device_ptrItEEEESG_SG_SG_PmS8_NS6_8equal_toItEEEE10hipError_tPvRmT2_T3_mT4_T5_T6_T7_T8_P12ihipStream_tbENKUlT_T0_E_clISt17integral_constantIbLb1EES11_EEDaSW_SX_EUlSW_E_NS1_11comp_targetILNS1_3genE9ELNS1_11target_archE1100ELNS1_3gpuE3ELNS1_3repE0EEENS1_30default_config_static_selectorELNS0_4arch9wavefront6targetE1EEEvT1_
	.globl	_ZN7rocprim17ROCPRIM_400000_NS6detail17trampoline_kernelINS0_14default_configENS1_29reduce_by_key_config_selectorIttN6thrust23THRUST_200600_302600_NS4plusItEEEEZZNS1_33reduce_by_key_impl_wrapped_configILNS1_25lookback_scan_determinismE0ES3_S9_NS6_6detail15normal_iteratorINS6_10device_ptrItEEEESG_SG_SG_PmS8_NS6_8equal_toItEEEE10hipError_tPvRmT2_T3_mT4_T5_T6_T7_T8_P12ihipStream_tbENKUlT_T0_E_clISt17integral_constantIbLb1EES11_EEDaSW_SX_EUlSW_E_NS1_11comp_targetILNS1_3genE9ELNS1_11target_archE1100ELNS1_3gpuE3ELNS1_3repE0EEENS1_30default_config_static_selectorELNS0_4arch9wavefront6targetE1EEEvT1_
	.p2align	8
	.type	_ZN7rocprim17ROCPRIM_400000_NS6detail17trampoline_kernelINS0_14default_configENS1_29reduce_by_key_config_selectorIttN6thrust23THRUST_200600_302600_NS4plusItEEEEZZNS1_33reduce_by_key_impl_wrapped_configILNS1_25lookback_scan_determinismE0ES3_S9_NS6_6detail15normal_iteratorINS6_10device_ptrItEEEESG_SG_SG_PmS8_NS6_8equal_toItEEEE10hipError_tPvRmT2_T3_mT4_T5_T6_T7_T8_P12ihipStream_tbENKUlT_T0_E_clISt17integral_constantIbLb1EES11_EEDaSW_SX_EUlSW_E_NS1_11comp_targetILNS1_3genE9ELNS1_11target_archE1100ELNS1_3gpuE3ELNS1_3repE0EEENS1_30default_config_static_selectorELNS0_4arch9wavefront6targetE1EEEvT1_,@function
_ZN7rocprim17ROCPRIM_400000_NS6detail17trampoline_kernelINS0_14default_configENS1_29reduce_by_key_config_selectorIttN6thrust23THRUST_200600_302600_NS4plusItEEEEZZNS1_33reduce_by_key_impl_wrapped_configILNS1_25lookback_scan_determinismE0ES3_S9_NS6_6detail15normal_iteratorINS6_10device_ptrItEEEESG_SG_SG_PmS8_NS6_8equal_toItEEEE10hipError_tPvRmT2_T3_mT4_T5_T6_T7_T8_P12ihipStream_tbENKUlT_T0_E_clISt17integral_constantIbLb1EES11_EEDaSW_SX_EUlSW_E_NS1_11comp_targetILNS1_3genE9ELNS1_11target_archE1100ELNS1_3gpuE3ELNS1_3repE0EEENS1_30default_config_static_selectorELNS0_4arch9wavefront6targetE1EEEvT1_: ; @_ZN7rocprim17ROCPRIM_400000_NS6detail17trampoline_kernelINS0_14default_configENS1_29reduce_by_key_config_selectorIttN6thrust23THRUST_200600_302600_NS4plusItEEEEZZNS1_33reduce_by_key_impl_wrapped_configILNS1_25lookback_scan_determinismE0ES3_S9_NS6_6detail15normal_iteratorINS6_10device_ptrItEEEESG_SG_SG_PmS8_NS6_8equal_toItEEEE10hipError_tPvRmT2_T3_mT4_T5_T6_T7_T8_P12ihipStream_tbENKUlT_T0_E_clISt17integral_constantIbLb1EES11_EEDaSW_SX_EUlSW_E_NS1_11comp_targetILNS1_3genE9ELNS1_11target_archE1100ELNS1_3gpuE3ELNS1_3repE0EEENS1_30default_config_static_selectorELNS0_4arch9wavefront6targetE1EEEvT1_
; %bb.0:
	.section	.rodata,"a",@progbits
	.p2align	6, 0x0
	.amdhsa_kernel _ZN7rocprim17ROCPRIM_400000_NS6detail17trampoline_kernelINS0_14default_configENS1_29reduce_by_key_config_selectorIttN6thrust23THRUST_200600_302600_NS4plusItEEEEZZNS1_33reduce_by_key_impl_wrapped_configILNS1_25lookback_scan_determinismE0ES3_S9_NS6_6detail15normal_iteratorINS6_10device_ptrItEEEESG_SG_SG_PmS8_NS6_8equal_toItEEEE10hipError_tPvRmT2_T3_mT4_T5_T6_T7_T8_P12ihipStream_tbENKUlT_T0_E_clISt17integral_constantIbLb1EES11_EEDaSW_SX_EUlSW_E_NS1_11comp_targetILNS1_3genE9ELNS1_11target_archE1100ELNS1_3gpuE3ELNS1_3repE0EEENS1_30default_config_static_selectorELNS0_4arch9wavefront6targetE1EEEvT1_
		.amdhsa_group_segment_fixed_size 0
		.amdhsa_private_segment_fixed_size 0
		.amdhsa_kernarg_size 120
		.amdhsa_user_sgpr_count 6
		.amdhsa_user_sgpr_private_segment_buffer 1
		.amdhsa_user_sgpr_dispatch_ptr 0
		.amdhsa_user_sgpr_queue_ptr 0
		.amdhsa_user_sgpr_kernarg_segment_ptr 1
		.amdhsa_user_sgpr_dispatch_id 0
		.amdhsa_user_sgpr_flat_scratch_init 0
		.amdhsa_user_sgpr_kernarg_preload_length 0
		.amdhsa_user_sgpr_kernarg_preload_offset 0
		.amdhsa_user_sgpr_private_segment_size 0
		.amdhsa_uses_dynamic_stack 0
		.amdhsa_system_sgpr_private_segment_wavefront_offset 0
		.amdhsa_system_sgpr_workgroup_id_x 1
		.amdhsa_system_sgpr_workgroup_id_y 0
		.amdhsa_system_sgpr_workgroup_id_z 0
		.amdhsa_system_sgpr_workgroup_info 0
		.amdhsa_system_vgpr_workitem_id 0
		.amdhsa_next_free_vgpr 1
		.amdhsa_next_free_sgpr 0
		.amdhsa_accum_offset 4
		.amdhsa_reserve_vcc 0
		.amdhsa_reserve_flat_scratch 0
		.amdhsa_float_round_mode_32 0
		.amdhsa_float_round_mode_16_64 0
		.amdhsa_float_denorm_mode_32 3
		.amdhsa_float_denorm_mode_16_64 3
		.amdhsa_dx10_clamp 1
		.amdhsa_ieee_mode 1
		.amdhsa_fp16_overflow 0
		.amdhsa_tg_split 0
		.amdhsa_exception_fp_ieee_invalid_op 0
		.amdhsa_exception_fp_denorm_src 0
		.amdhsa_exception_fp_ieee_div_zero 0
		.amdhsa_exception_fp_ieee_overflow 0
		.amdhsa_exception_fp_ieee_underflow 0
		.amdhsa_exception_fp_ieee_inexact 0
		.amdhsa_exception_int_div_zero 0
	.end_amdhsa_kernel
	.section	.text._ZN7rocprim17ROCPRIM_400000_NS6detail17trampoline_kernelINS0_14default_configENS1_29reduce_by_key_config_selectorIttN6thrust23THRUST_200600_302600_NS4plusItEEEEZZNS1_33reduce_by_key_impl_wrapped_configILNS1_25lookback_scan_determinismE0ES3_S9_NS6_6detail15normal_iteratorINS6_10device_ptrItEEEESG_SG_SG_PmS8_NS6_8equal_toItEEEE10hipError_tPvRmT2_T3_mT4_T5_T6_T7_T8_P12ihipStream_tbENKUlT_T0_E_clISt17integral_constantIbLb1EES11_EEDaSW_SX_EUlSW_E_NS1_11comp_targetILNS1_3genE9ELNS1_11target_archE1100ELNS1_3gpuE3ELNS1_3repE0EEENS1_30default_config_static_selectorELNS0_4arch9wavefront6targetE1EEEvT1_,"axG",@progbits,_ZN7rocprim17ROCPRIM_400000_NS6detail17trampoline_kernelINS0_14default_configENS1_29reduce_by_key_config_selectorIttN6thrust23THRUST_200600_302600_NS4plusItEEEEZZNS1_33reduce_by_key_impl_wrapped_configILNS1_25lookback_scan_determinismE0ES3_S9_NS6_6detail15normal_iteratorINS6_10device_ptrItEEEESG_SG_SG_PmS8_NS6_8equal_toItEEEE10hipError_tPvRmT2_T3_mT4_T5_T6_T7_T8_P12ihipStream_tbENKUlT_T0_E_clISt17integral_constantIbLb1EES11_EEDaSW_SX_EUlSW_E_NS1_11comp_targetILNS1_3genE9ELNS1_11target_archE1100ELNS1_3gpuE3ELNS1_3repE0EEENS1_30default_config_static_selectorELNS0_4arch9wavefront6targetE1EEEvT1_,comdat
.Lfunc_end409:
	.size	_ZN7rocprim17ROCPRIM_400000_NS6detail17trampoline_kernelINS0_14default_configENS1_29reduce_by_key_config_selectorIttN6thrust23THRUST_200600_302600_NS4plusItEEEEZZNS1_33reduce_by_key_impl_wrapped_configILNS1_25lookback_scan_determinismE0ES3_S9_NS6_6detail15normal_iteratorINS6_10device_ptrItEEEESG_SG_SG_PmS8_NS6_8equal_toItEEEE10hipError_tPvRmT2_T3_mT4_T5_T6_T7_T8_P12ihipStream_tbENKUlT_T0_E_clISt17integral_constantIbLb1EES11_EEDaSW_SX_EUlSW_E_NS1_11comp_targetILNS1_3genE9ELNS1_11target_archE1100ELNS1_3gpuE3ELNS1_3repE0EEENS1_30default_config_static_selectorELNS0_4arch9wavefront6targetE1EEEvT1_, .Lfunc_end409-_ZN7rocprim17ROCPRIM_400000_NS6detail17trampoline_kernelINS0_14default_configENS1_29reduce_by_key_config_selectorIttN6thrust23THRUST_200600_302600_NS4plusItEEEEZZNS1_33reduce_by_key_impl_wrapped_configILNS1_25lookback_scan_determinismE0ES3_S9_NS6_6detail15normal_iteratorINS6_10device_ptrItEEEESG_SG_SG_PmS8_NS6_8equal_toItEEEE10hipError_tPvRmT2_T3_mT4_T5_T6_T7_T8_P12ihipStream_tbENKUlT_T0_E_clISt17integral_constantIbLb1EES11_EEDaSW_SX_EUlSW_E_NS1_11comp_targetILNS1_3genE9ELNS1_11target_archE1100ELNS1_3gpuE3ELNS1_3repE0EEENS1_30default_config_static_selectorELNS0_4arch9wavefront6targetE1EEEvT1_
                                        ; -- End function
	.section	.AMDGPU.csdata,"",@progbits
; Kernel info:
; codeLenInByte = 0
; NumSgprs: 4
; NumVgprs: 0
; NumAgprs: 0
; TotalNumVgprs: 0
; ScratchSize: 0
; MemoryBound: 0
; FloatMode: 240
; IeeeMode: 1
; LDSByteSize: 0 bytes/workgroup (compile time only)
; SGPRBlocks: 0
; VGPRBlocks: 0
; NumSGPRsForWavesPerEU: 4
; NumVGPRsForWavesPerEU: 1
; AccumOffset: 4
; Occupancy: 8
; WaveLimiterHint : 0
; COMPUTE_PGM_RSRC2:SCRATCH_EN: 0
; COMPUTE_PGM_RSRC2:USER_SGPR: 6
; COMPUTE_PGM_RSRC2:TRAP_HANDLER: 0
; COMPUTE_PGM_RSRC2:TGID_X_EN: 1
; COMPUTE_PGM_RSRC2:TGID_Y_EN: 0
; COMPUTE_PGM_RSRC2:TGID_Z_EN: 0
; COMPUTE_PGM_RSRC2:TIDIG_COMP_CNT: 0
; COMPUTE_PGM_RSRC3_GFX90A:ACCUM_OFFSET: 0
; COMPUTE_PGM_RSRC3_GFX90A:TG_SPLIT: 0
	.section	.text._ZN7rocprim17ROCPRIM_400000_NS6detail17trampoline_kernelINS0_14default_configENS1_29reduce_by_key_config_selectorIttN6thrust23THRUST_200600_302600_NS4plusItEEEEZZNS1_33reduce_by_key_impl_wrapped_configILNS1_25lookback_scan_determinismE0ES3_S9_NS6_6detail15normal_iteratorINS6_10device_ptrItEEEESG_SG_SG_PmS8_NS6_8equal_toItEEEE10hipError_tPvRmT2_T3_mT4_T5_T6_T7_T8_P12ihipStream_tbENKUlT_T0_E_clISt17integral_constantIbLb1EES11_EEDaSW_SX_EUlSW_E_NS1_11comp_targetILNS1_3genE8ELNS1_11target_archE1030ELNS1_3gpuE2ELNS1_3repE0EEENS1_30default_config_static_selectorELNS0_4arch9wavefront6targetE1EEEvT1_,"axG",@progbits,_ZN7rocprim17ROCPRIM_400000_NS6detail17trampoline_kernelINS0_14default_configENS1_29reduce_by_key_config_selectorIttN6thrust23THRUST_200600_302600_NS4plusItEEEEZZNS1_33reduce_by_key_impl_wrapped_configILNS1_25lookback_scan_determinismE0ES3_S9_NS6_6detail15normal_iteratorINS6_10device_ptrItEEEESG_SG_SG_PmS8_NS6_8equal_toItEEEE10hipError_tPvRmT2_T3_mT4_T5_T6_T7_T8_P12ihipStream_tbENKUlT_T0_E_clISt17integral_constantIbLb1EES11_EEDaSW_SX_EUlSW_E_NS1_11comp_targetILNS1_3genE8ELNS1_11target_archE1030ELNS1_3gpuE2ELNS1_3repE0EEENS1_30default_config_static_selectorELNS0_4arch9wavefront6targetE1EEEvT1_,comdat
	.protected	_ZN7rocprim17ROCPRIM_400000_NS6detail17trampoline_kernelINS0_14default_configENS1_29reduce_by_key_config_selectorIttN6thrust23THRUST_200600_302600_NS4plusItEEEEZZNS1_33reduce_by_key_impl_wrapped_configILNS1_25lookback_scan_determinismE0ES3_S9_NS6_6detail15normal_iteratorINS6_10device_ptrItEEEESG_SG_SG_PmS8_NS6_8equal_toItEEEE10hipError_tPvRmT2_T3_mT4_T5_T6_T7_T8_P12ihipStream_tbENKUlT_T0_E_clISt17integral_constantIbLb1EES11_EEDaSW_SX_EUlSW_E_NS1_11comp_targetILNS1_3genE8ELNS1_11target_archE1030ELNS1_3gpuE2ELNS1_3repE0EEENS1_30default_config_static_selectorELNS0_4arch9wavefront6targetE1EEEvT1_ ; -- Begin function _ZN7rocprim17ROCPRIM_400000_NS6detail17trampoline_kernelINS0_14default_configENS1_29reduce_by_key_config_selectorIttN6thrust23THRUST_200600_302600_NS4plusItEEEEZZNS1_33reduce_by_key_impl_wrapped_configILNS1_25lookback_scan_determinismE0ES3_S9_NS6_6detail15normal_iteratorINS6_10device_ptrItEEEESG_SG_SG_PmS8_NS6_8equal_toItEEEE10hipError_tPvRmT2_T3_mT4_T5_T6_T7_T8_P12ihipStream_tbENKUlT_T0_E_clISt17integral_constantIbLb1EES11_EEDaSW_SX_EUlSW_E_NS1_11comp_targetILNS1_3genE8ELNS1_11target_archE1030ELNS1_3gpuE2ELNS1_3repE0EEENS1_30default_config_static_selectorELNS0_4arch9wavefront6targetE1EEEvT1_
	.globl	_ZN7rocprim17ROCPRIM_400000_NS6detail17trampoline_kernelINS0_14default_configENS1_29reduce_by_key_config_selectorIttN6thrust23THRUST_200600_302600_NS4plusItEEEEZZNS1_33reduce_by_key_impl_wrapped_configILNS1_25lookback_scan_determinismE0ES3_S9_NS6_6detail15normal_iteratorINS6_10device_ptrItEEEESG_SG_SG_PmS8_NS6_8equal_toItEEEE10hipError_tPvRmT2_T3_mT4_T5_T6_T7_T8_P12ihipStream_tbENKUlT_T0_E_clISt17integral_constantIbLb1EES11_EEDaSW_SX_EUlSW_E_NS1_11comp_targetILNS1_3genE8ELNS1_11target_archE1030ELNS1_3gpuE2ELNS1_3repE0EEENS1_30default_config_static_selectorELNS0_4arch9wavefront6targetE1EEEvT1_
	.p2align	8
	.type	_ZN7rocprim17ROCPRIM_400000_NS6detail17trampoline_kernelINS0_14default_configENS1_29reduce_by_key_config_selectorIttN6thrust23THRUST_200600_302600_NS4plusItEEEEZZNS1_33reduce_by_key_impl_wrapped_configILNS1_25lookback_scan_determinismE0ES3_S9_NS6_6detail15normal_iteratorINS6_10device_ptrItEEEESG_SG_SG_PmS8_NS6_8equal_toItEEEE10hipError_tPvRmT2_T3_mT4_T5_T6_T7_T8_P12ihipStream_tbENKUlT_T0_E_clISt17integral_constantIbLb1EES11_EEDaSW_SX_EUlSW_E_NS1_11comp_targetILNS1_3genE8ELNS1_11target_archE1030ELNS1_3gpuE2ELNS1_3repE0EEENS1_30default_config_static_selectorELNS0_4arch9wavefront6targetE1EEEvT1_,@function
_ZN7rocprim17ROCPRIM_400000_NS6detail17trampoline_kernelINS0_14default_configENS1_29reduce_by_key_config_selectorIttN6thrust23THRUST_200600_302600_NS4plusItEEEEZZNS1_33reduce_by_key_impl_wrapped_configILNS1_25lookback_scan_determinismE0ES3_S9_NS6_6detail15normal_iteratorINS6_10device_ptrItEEEESG_SG_SG_PmS8_NS6_8equal_toItEEEE10hipError_tPvRmT2_T3_mT4_T5_T6_T7_T8_P12ihipStream_tbENKUlT_T0_E_clISt17integral_constantIbLb1EES11_EEDaSW_SX_EUlSW_E_NS1_11comp_targetILNS1_3genE8ELNS1_11target_archE1030ELNS1_3gpuE2ELNS1_3repE0EEENS1_30default_config_static_selectorELNS0_4arch9wavefront6targetE1EEEvT1_: ; @_ZN7rocprim17ROCPRIM_400000_NS6detail17trampoline_kernelINS0_14default_configENS1_29reduce_by_key_config_selectorIttN6thrust23THRUST_200600_302600_NS4plusItEEEEZZNS1_33reduce_by_key_impl_wrapped_configILNS1_25lookback_scan_determinismE0ES3_S9_NS6_6detail15normal_iteratorINS6_10device_ptrItEEEESG_SG_SG_PmS8_NS6_8equal_toItEEEE10hipError_tPvRmT2_T3_mT4_T5_T6_T7_T8_P12ihipStream_tbENKUlT_T0_E_clISt17integral_constantIbLb1EES11_EEDaSW_SX_EUlSW_E_NS1_11comp_targetILNS1_3genE8ELNS1_11target_archE1030ELNS1_3gpuE2ELNS1_3repE0EEENS1_30default_config_static_selectorELNS0_4arch9wavefront6targetE1EEEvT1_
; %bb.0:
	.section	.rodata,"a",@progbits
	.p2align	6, 0x0
	.amdhsa_kernel _ZN7rocprim17ROCPRIM_400000_NS6detail17trampoline_kernelINS0_14default_configENS1_29reduce_by_key_config_selectorIttN6thrust23THRUST_200600_302600_NS4plusItEEEEZZNS1_33reduce_by_key_impl_wrapped_configILNS1_25lookback_scan_determinismE0ES3_S9_NS6_6detail15normal_iteratorINS6_10device_ptrItEEEESG_SG_SG_PmS8_NS6_8equal_toItEEEE10hipError_tPvRmT2_T3_mT4_T5_T6_T7_T8_P12ihipStream_tbENKUlT_T0_E_clISt17integral_constantIbLb1EES11_EEDaSW_SX_EUlSW_E_NS1_11comp_targetILNS1_3genE8ELNS1_11target_archE1030ELNS1_3gpuE2ELNS1_3repE0EEENS1_30default_config_static_selectorELNS0_4arch9wavefront6targetE1EEEvT1_
		.amdhsa_group_segment_fixed_size 0
		.amdhsa_private_segment_fixed_size 0
		.amdhsa_kernarg_size 120
		.amdhsa_user_sgpr_count 6
		.amdhsa_user_sgpr_private_segment_buffer 1
		.amdhsa_user_sgpr_dispatch_ptr 0
		.amdhsa_user_sgpr_queue_ptr 0
		.amdhsa_user_sgpr_kernarg_segment_ptr 1
		.amdhsa_user_sgpr_dispatch_id 0
		.amdhsa_user_sgpr_flat_scratch_init 0
		.amdhsa_user_sgpr_kernarg_preload_length 0
		.amdhsa_user_sgpr_kernarg_preload_offset 0
		.amdhsa_user_sgpr_private_segment_size 0
		.amdhsa_uses_dynamic_stack 0
		.amdhsa_system_sgpr_private_segment_wavefront_offset 0
		.amdhsa_system_sgpr_workgroup_id_x 1
		.amdhsa_system_sgpr_workgroup_id_y 0
		.amdhsa_system_sgpr_workgroup_id_z 0
		.amdhsa_system_sgpr_workgroup_info 0
		.amdhsa_system_vgpr_workitem_id 0
		.amdhsa_next_free_vgpr 1
		.amdhsa_next_free_sgpr 0
		.amdhsa_accum_offset 4
		.amdhsa_reserve_vcc 0
		.amdhsa_reserve_flat_scratch 0
		.amdhsa_float_round_mode_32 0
		.amdhsa_float_round_mode_16_64 0
		.amdhsa_float_denorm_mode_32 3
		.amdhsa_float_denorm_mode_16_64 3
		.amdhsa_dx10_clamp 1
		.amdhsa_ieee_mode 1
		.amdhsa_fp16_overflow 0
		.amdhsa_tg_split 0
		.amdhsa_exception_fp_ieee_invalid_op 0
		.amdhsa_exception_fp_denorm_src 0
		.amdhsa_exception_fp_ieee_div_zero 0
		.amdhsa_exception_fp_ieee_overflow 0
		.amdhsa_exception_fp_ieee_underflow 0
		.amdhsa_exception_fp_ieee_inexact 0
		.amdhsa_exception_int_div_zero 0
	.end_amdhsa_kernel
	.section	.text._ZN7rocprim17ROCPRIM_400000_NS6detail17trampoline_kernelINS0_14default_configENS1_29reduce_by_key_config_selectorIttN6thrust23THRUST_200600_302600_NS4plusItEEEEZZNS1_33reduce_by_key_impl_wrapped_configILNS1_25lookback_scan_determinismE0ES3_S9_NS6_6detail15normal_iteratorINS6_10device_ptrItEEEESG_SG_SG_PmS8_NS6_8equal_toItEEEE10hipError_tPvRmT2_T3_mT4_T5_T6_T7_T8_P12ihipStream_tbENKUlT_T0_E_clISt17integral_constantIbLb1EES11_EEDaSW_SX_EUlSW_E_NS1_11comp_targetILNS1_3genE8ELNS1_11target_archE1030ELNS1_3gpuE2ELNS1_3repE0EEENS1_30default_config_static_selectorELNS0_4arch9wavefront6targetE1EEEvT1_,"axG",@progbits,_ZN7rocprim17ROCPRIM_400000_NS6detail17trampoline_kernelINS0_14default_configENS1_29reduce_by_key_config_selectorIttN6thrust23THRUST_200600_302600_NS4plusItEEEEZZNS1_33reduce_by_key_impl_wrapped_configILNS1_25lookback_scan_determinismE0ES3_S9_NS6_6detail15normal_iteratorINS6_10device_ptrItEEEESG_SG_SG_PmS8_NS6_8equal_toItEEEE10hipError_tPvRmT2_T3_mT4_T5_T6_T7_T8_P12ihipStream_tbENKUlT_T0_E_clISt17integral_constantIbLb1EES11_EEDaSW_SX_EUlSW_E_NS1_11comp_targetILNS1_3genE8ELNS1_11target_archE1030ELNS1_3gpuE2ELNS1_3repE0EEENS1_30default_config_static_selectorELNS0_4arch9wavefront6targetE1EEEvT1_,comdat
.Lfunc_end410:
	.size	_ZN7rocprim17ROCPRIM_400000_NS6detail17trampoline_kernelINS0_14default_configENS1_29reduce_by_key_config_selectorIttN6thrust23THRUST_200600_302600_NS4plusItEEEEZZNS1_33reduce_by_key_impl_wrapped_configILNS1_25lookback_scan_determinismE0ES3_S9_NS6_6detail15normal_iteratorINS6_10device_ptrItEEEESG_SG_SG_PmS8_NS6_8equal_toItEEEE10hipError_tPvRmT2_T3_mT4_T5_T6_T7_T8_P12ihipStream_tbENKUlT_T0_E_clISt17integral_constantIbLb1EES11_EEDaSW_SX_EUlSW_E_NS1_11comp_targetILNS1_3genE8ELNS1_11target_archE1030ELNS1_3gpuE2ELNS1_3repE0EEENS1_30default_config_static_selectorELNS0_4arch9wavefront6targetE1EEEvT1_, .Lfunc_end410-_ZN7rocprim17ROCPRIM_400000_NS6detail17trampoline_kernelINS0_14default_configENS1_29reduce_by_key_config_selectorIttN6thrust23THRUST_200600_302600_NS4plusItEEEEZZNS1_33reduce_by_key_impl_wrapped_configILNS1_25lookback_scan_determinismE0ES3_S9_NS6_6detail15normal_iteratorINS6_10device_ptrItEEEESG_SG_SG_PmS8_NS6_8equal_toItEEEE10hipError_tPvRmT2_T3_mT4_T5_T6_T7_T8_P12ihipStream_tbENKUlT_T0_E_clISt17integral_constantIbLb1EES11_EEDaSW_SX_EUlSW_E_NS1_11comp_targetILNS1_3genE8ELNS1_11target_archE1030ELNS1_3gpuE2ELNS1_3repE0EEENS1_30default_config_static_selectorELNS0_4arch9wavefront6targetE1EEEvT1_
                                        ; -- End function
	.section	.AMDGPU.csdata,"",@progbits
; Kernel info:
; codeLenInByte = 0
; NumSgprs: 4
; NumVgprs: 0
; NumAgprs: 0
; TotalNumVgprs: 0
; ScratchSize: 0
; MemoryBound: 0
; FloatMode: 240
; IeeeMode: 1
; LDSByteSize: 0 bytes/workgroup (compile time only)
; SGPRBlocks: 0
; VGPRBlocks: 0
; NumSGPRsForWavesPerEU: 4
; NumVGPRsForWavesPerEU: 1
; AccumOffset: 4
; Occupancy: 8
; WaveLimiterHint : 0
; COMPUTE_PGM_RSRC2:SCRATCH_EN: 0
; COMPUTE_PGM_RSRC2:USER_SGPR: 6
; COMPUTE_PGM_RSRC2:TRAP_HANDLER: 0
; COMPUTE_PGM_RSRC2:TGID_X_EN: 1
; COMPUTE_PGM_RSRC2:TGID_Y_EN: 0
; COMPUTE_PGM_RSRC2:TGID_Z_EN: 0
; COMPUTE_PGM_RSRC2:TIDIG_COMP_CNT: 0
; COMPUTE_PGM_RSRC3_GFX90A:ACCUM_OFFSET: 0
; COMPUTE_PGM_RSRC3_GFX90A:TG_SPLIT: 0
	.section	.text._ZN7rocprim17ROCPRIM_400000_NS6detail25reduce_by_key_init_kernelINS1_19lookback_scan_stateINS0_5tupleIJjtEEELb1ELb1EEEtNS1_16block_id_wrapperIjLb0EEEEEvT_jbjPmPT0_T1_,"axG",@progbits,_ZN7rocprim17ROCPRIM_400000_NS6detail25reduce_by_key_init_kernelINS1_19lookback_scan_stateINS0_5tupleIJjtEEELb1ELb1EEEtNS1_16block_id_wrapperIjLb0EEEEEvT_jbjPmPT0_T1_,comdat
	.protected	_ZN7rocprim17ROCPRIM_400000_NS6detail25reduce_by_key_init_kernelINS1_19lookback_scan_stateINS0_5tupleIJjtEEELb1ELb1EEEtNS1_16block_id_wrapperIjLb0EEEEEvT_jbjPmPT0_T1_ ; -- Begin function _ZN7rocprim17ROCPRIM_400000_NS6detail25reduce_by_key_init_kernelINS1_19lookback_scan_stateINS0_5tupleIJjtEEELb1ELb1EEEtNS1_16block_id_wrapperIjLb0EEEEEvT_jbjPmPT0_T1_
	.globl	_ZN7rocprim17ROCPRIM_400000_NS6detail25reduce_by_key_init_kernelINS1_19lookback_scan_stateINS0_5tupleIJjtEEELb1ELb1EEEtNS1_16block_id_wrapperIjLb0EEEEEvT_jbjPmPT0_T1_
	.p2align	8
	.type	_ZN7rocprim17ROCPRIM_400000_NS6detail25reduce_by_key_init_kernelINS1_19lookback_scan_stateINS0_5tupleIJjtEEELb1ELb1EEEtNS1_16block_id_wrapperIjLb0EEEEEvT_jbjPmPT0_T1_,@function
_ZN7rocprim17ROCPRIM_400000_NS6detail25reduce_by_key_init_kernelINS1_19lookback_scan_stateINS0_5tupleIJjtEEELb1ELb1EEEtNS1_16block_id_wrapperIjLb0EEEEEvT_jbjPmPT0_T1_: ; @_ZN7rocprim17ROCPRIM_400000_NS6detail25reduce_by_key_init_kernelINS1_19lookback_scan_stateINS0_5tupleIJjtEEELb1ELb1EEEtNS1_16block_id_wrapperIjLb0EEEEEvT_jbjPmPT0_T1_
; %bb.0:
	s_load_dwordx8 s[8:15], s[4:5], 0x8
	s_load_dword s2, s[4:5], 0x3c
	s_load_dwordx2 s[0:1], s[4:5], 0x0
	s_waitcnt lgkmcnt(0)
	s_and_b32 s3, s9, 1
	s_and_b32 s2, s2, 0xffff
	s_mul_i32 s6, s6, s2
	s_cmp_eq_u32 s3, 0
	v_add_u32_e32 v0, s6, v0
	s_mov_b64 s[2:3], -1
	s_cbranch_scc1 .LBB411_5
; %bb.1:
	s_andn2_b64 vcc, exec, s[2:3]
	s_cbranch_vccz .LBB411_14
.LBB411_2:
	v_cmp_gt_u32_e32 vcc, s8, v0
	s_and_saveexec_b64 s[2:3], vcc
	s_cbranch_execnz .LBB411_17
.LBB411_3:
	s_or_b64 exec, exec, s[2:3]
	v_cmp_gt_u32_e32 vcc, 64, v0
	s_and_saveexec_b64 s[2:3], vcc
	s_cbranch_execnz .LBB411_18
.LBB411_4:
	s_endpgm
.LBB411_5:
	s_cmp_lt_u32 s10, s8
	s_cselect_b32 s2, s10, 0
	v_cmp_eq_u32_e32 vcc, s2, v0
	s_and_saveexec_b64 s[2:3], vcc
	s_cbranch_execz .LBB411_13
; %bb.6:
	s_add_i32 s4, s10, 64
	s_mov_b32 s5, 0
	s_lshl_b64 s[4:5], s[4:5], 4
	s_add_u32 s10, s0, s4
	s_addc_u32 s11, s1, s5
	v_pk_mov_b32 v[2:3], s[10:11], s[10:11] op_sel:[0,1]
	;;#ASMSTART
	global_load_dwordx4 v[2:5], v[2:3] off glc	
s_waitcnt vmcnt(0)
	;;#ASMEND
	v_mov_b32_e32 v7, 0
	v_and_b32_e32 v6, 0xff, v4
	s_mov_b64 s[6:7], 0
	v_cmp_eq_u64_e32 vcc, 0, v[6:7]
	s_and_saveexec_b64 s[4:5], vcc
	s_cbranch_execz .LBB411_12
; %bb.7:
	s_mov_b32 s9, 1
	v_pk_mov_b32 v[8:9], s[10:11], s[10:11] op_sel:[0,1]
.LBB411_8:                              ; =>This Loop Header: Depth=1
                                        ;     Child Loop BB411_9 Depth 2
	s_max_u32 s10, s9, 1
.LBB411_9:                              ;   Parent Loop BB411_8 Depth=1
                                        ; =>  This Inner Loop Header: Depth=2
	s_add_i32 s10, s10, -1
	s_cmp_eq_u32 s10, 0
	s_sleep 1
	s_cbranch_scc0 .LBB411_9
; %bb.10:                               ;   in Loop: Header=BB411_8 Depth=1
	s_cmp_lt_u32 s9, 32
	s_cselect_b64 s[10:11], -1, 0
	s_cmp_lg_u64 s[10:11], 0
	;;#ASMSTART
	global_load_dwordx4 v[2:5], v[8:9] off glc	
s_waitcnt vmcnt(0)
	;;#ASMEND
	v_and_b32_e32 v6, 0xff, v4
	s_addc_u32 s9, s9, 0
	v_cmp_ne_u64_e32 vcc, 0, v[6:7]
	s_or_b64 s[6:7], vcc, s[6:7]
	s_andn2_b64 exec, exec, s[6:7]
	s_cbranch_execnz .LBB411_8
; %bb.11:
	s_or_b64 exec, exec, s[6:7]
.LBB411_12:
	s_or_b64 exec, exec, s[4:5]
	v_mov_b32_e32 v1, 0
	global_load_dwordx2 v[4:5], v1, s[12:13]
	s_waitcnt vmcnt(0)
	v_add_co_u32_e32 v4, vcc, v4, v2
	v_addc_co_u32_e32 v5, vcc, 0, v5, vcc
	global_store_dwordx2 v1, v[4:5], s[12:13]
	global_store_short v1, v3, s[14:15]
.LBB411_13:
	s_or_b64 exec, exec, s[2:3]
	s_cbranch_execnz .LBB411_2
.LBB411_14:
	s_cmp_lg_u64 s[12:13], 0
	s_cselect_b64 s[2:3], -1, 0
	v_cmp_eq_u32_e32 vcc, 0, v0
	s_and_b64 s[4:5], s[2:3], vcc
	s_and_saveexec_b64 s[2:3], s[4:5]
	s_cbranch_execz .LBB411_16
; %bb.15:
	v_mov_b32_e32 v2, 0
	v_mov_b32_e32 v3, v2
	global_store_dwordx2 v2, v[2:3], s[12:13]
.LBB411_16:
	s_or_b64 exec, exec, s[2:3]
	v_cmp_gt_u32_e32 vcc, s8, v0
	s_and_saveexec_b64 s[2:3], vcc
	s_cbranch_execz .LBB411_3
.LBB411_17:
	v_add_u32_e32 v2, 64, v0
	v_mov_b32_e32 v3, 0
	v_lshlrev_b64 v[4:5], 4, v[2:3]
	v_mov_b32_e32 v1, s1
	v_add_co_u32_e32 v6, vcc, s0, v4
	v_addc_co_u32_e32 v7, vcc, v1, v5, vcc
	v_mov_b32_e32 v2, v3
	v_mov_b32_e32 v4, v3
	v_mov_b32_e32 v5, v3
	global_store_dwordx4 v[6:7], v[2:5], off
	s_or_b64 exec, exec, s[2:3]
	v_cmp_gt_u32_e32 vcc, 64, v0
	s_and_saveexec_b64 s[2:3], vcc
	s_cbranch_execz .LBB411_4
.LBB411_18:
	v_mov_b32_e32 v1, 0
	v_lshlrev_b64 v[2:3], 4, v[0:1]
	v_mov_b32_e32 v0, s1
	v_add_co_u32_e32 v4, vcc, s0, v2
	v_addc_co_u32_e32 v5, vcc, v0, v3, vcc
	v_mov_b32_e32 v2, 0xff
	v_mov_b32_e32 v0, v1
	;; [unrolled: 1-line block ×3, first 2 shown]
	global_store_dwordx4 v[4:5], v[0:3], off
	s_endpgm
	.section	.rodata,"a",@progbits
	.p2align	6, 0x0
	.amdhsa_kernel _ZN7rocprim17ROCPRIM_400000_NS6detail25reduce_by_key_init_kernelINS1_19lookback_scan_stateINS0_5tupleIJjtEEELb1ELb1EEEtNS1_16block_id_wrapperIjLb0EEEEEvT_jbjPmPT0_T1_
		.amdhsa_group_segment_fixed_size 0
		.amdhsa_private_segment_fixed_size 0
		.amdhsa_kernarg_size 304
		.amdhsa_user_sgpr_count 6
		.amdhsa_user_sgpr_private_segment_buffer 1
		.amdhsa_user_sgpr_dispatch_ptr 0
		.amdhsa_user_sgpr_queue_ptr 0
		.amdhsa_user_sgpr_kernarg_segment_ptr 1
		.amdhsa_user_sgpr_dispatch_id 0
		.amdhsa_user_sgpr_flat_scratch_init 0
		.amdhsa_user_sgpr_kernarg_preload_length 0
		.amdhsa_user_sgpr_kernarg_preload_offset 0
		.amdhsa_user_sgpr_private_segment_size 0
		.amdhsa_uses_dynamic_stack 0
		.amdhsa_system_sgpr_private_segment_wavefront_offset 0
		.amdhsa_system_sgpr_workgroup_id_x 1
		.amdhsa_system_sgpr_workgroup_id_y 0
		.amdhsa_system_sgpr_workgroup_id_z 0
		.amdhsa_system_sgpr_workgroup_info 0
		.amdhsa_system_vgpr_workitem_id 0
		.amdhsa_next_free_vgpr 10
		.amdhsa_next_free_sgpr 16
		.amdhsa_accum_offset 12
		.amdhsa_reserve_vcc 1
		.amdhsa_reserve_flat_scratch 0
		.amdhsa_float_round_mode_32 0
		.amdhsa_float_round_mode_16_64 0
		.amdhsa_float_denorm_mode_32 3
		.amdhsa_float_denorm_mode_16_64 3
		.amdhsa_dx10_clamp 1
		.amdhsa_ieee_mode 1
		.amdhsa_fp16_overflow 0
		.amdhsa_tg_split 0
		.amdhsa_exception_fp_ieee_invalid_op 0
		.amdhsa_exception_fp_denorm_src 0
		.amdhsa_exception_fp_ieee_div_zero 0
		.amdhsa_exception_fp_ieee_overflow 0
		.amdhsa_exception_fp_ieee_underflow 0
		.amdhsa_exception_fp_ieee_inexact 0
		.amdhsa_exception_int_div_zero 0
	.end_amdhsa_kernel
	.section	.text._ZN7rocprim17ROCPRIM_400000_NS6detail25reduce_by_key_init_kernelINS1_19lookback_scan_stateINS0_5tupleIJjtEEELb1ELb1EEEtNS1_16block_id_wrapperIjLb0EEEEEvT_jbjPmPT0_T1_,"axG",@progbits,_ZN7rocprim17ROCPRIM_400000_NS6detail25reduce_by_key_init_kernelINS1_19lookback_scan_stateINS0_5tupleIJjtEEELb1ELb1EEEtNS1_16block_id_wrapperIjLb0EEEEEvT_jbjPmPT0_T1_,comdat
.Lfunc_end411:
	.size	_ZN7rocprim17ROCPRIM_400000_NS6detail25reduce_by_key_init_kernelINS1_19lookback_scan_stateINS0_5tupleIJjtEEELb1ELb1EEEtNS1_16block_id_wrapperIjLb0EEEEEvT_jbjPmPT0_T1_, .Lfunc_end411-_ZN7rocprim17ROCPRIM_400000_NS6detail25reduce_by_key_init_kernelINS1_19lookback_scan_stateINS0_5tupleIJjtEEELb1ELb1EEEtNS1_16block_id_wrapperIjLb0EEEEEvT_jbjPmPT0_T1_
                                        ; -- End function
	.section	.AMDGPU.csdata,"",@progbits
; Kernel info:
; codeLenInByte = 508
; NumSgprs: 20
; NumVgprs: 10
; NumAgprs: 0
; TotalNumVgprs: 10
; ScratchSize: 0
; MemoryBound: 0
; FloatMode: 240
; IeeeMode: 1
; LDSByteSize: 0 bytes/workgroup (compile time only)
; SGPRBlocks: 2
; VGPRBlocks: 1
; NumSGPRsForWavesPerEU: 20
; NumVGPRsForWavesPerEU: 10
; AccumOffset: 12
; Occupancy: 8
; WaveLimiterHint : 0
; COMPUTE_PGM_RSRC2:SCRATCH_EN: 0
; COMPUTE_PGM_RSRC2:USER_SGPR: 6
; COMPUTE_PGM_RSRC2:TRAP_HANDLER: 0
; COMPUTE_PGM_RSRC2:TGID_X_EN: 1
; COMPUTE_PGM_RSRC2:TGID_Y_EN: 0
; COMPUTE_PGM_RSRC2:TGID_Z_EN: 0
; COMPUTE_PGM_RSRC2:TIDIG_COMP_CNT: 0
; COMPUTE_PGM_RSRC3_GFX90A:ACCUM_OFFSET: 2
; COMPUTE_PGM_RSRC3_GFX90A:TG_SPLIT: 0
	.section	.text._ZN7rocprim17ROCPRIM_400000_NS6detail17trampoline_kernelINS0_14default_configENS1_29reduce_by_key_config_selectorIttN6thrust23THRUST_200600_302600_NS4plusItEEEEZZNS1_33reduce_by_key_impl_wrapped_configILNS1_25lookback_scan_determinismE0ES3_S9_NS6_6detail15normal_iteratorINS6_10device_ptrItEEEESG_SG_SG_PmS8_NS6_8equal_toItEEEE10hipError_tPvRmT2_T3_mT4_T5_T6_T7_T8_P12ihipStream_tbENKUlT_T0_E_clISt17integral_constantIbLb1EES10_IbLb0EEEEDaSW_SX_EUlSW_E_NS1_11comp_targetILNS1_3genE0ELNS1_11target_archE4294967295ELNS1_3gpuE0ELNS1_3repE0EEENS1_30default_config_static_selectorELNS0_4arch9wavefront6targetE1EEEvT1_,"axG",@progbits,_ZN7rocprim17ROCPRIM_400000_NS6detail17trampoline_kernelINS0_14default_configENS1_29reduce_by_key_config_selectorIttN6thrust23THRUST_200600_302600_NS4plusItEEEEZZNS1_33reduce_by_key_impl_wrapped_configILNS1_25lookback_scan_determinismE0ES3_S9_NS6_6detail15normal_iteratorINS6_10device_ptrItEEEESG_SG_SG_PmS8_NS6_8equal_toItEEEE10hipError_tPvRmT2_T3_mT4_T5_T6_T7_T8_P12ihipStream_tbENKUlT_T0_E_clISt17integral_constantIbLb1EES10_IbLb0EEEEDaSW_SX_EUlSW_E_NS1_11comp_targetILNS1_3genE0ELNS1_11target_archE4294967295ELNS1_3gpuE0ELNS1_3repE0EEENS1_30default_config_static_selectorELNS0_4arch9wavefront6targetE1EEEvT1_,comdat
	.protected	_ZN7rocprim17ROCPRIM_400000_NS6detail17trampoline_kernelINS0_14default_configENS1_29reduce_by_key_config_selectorIttN6thrust23THRUST_200600_302600_NS4plusItEEEEZZNS1_33reduce_by_key_impl_wrapped_configILNS1_25lookback_scan_determinismE0ES3_S9_NS6_6detail15normal_iteratorINS6_10device_ptrItEEEESG_SG_SG_PmS8_NS6_8equal_toItEEEE10hipError_tPvRmT2_T3_mT4_T5_T6_T7_T8_P12ihipStream_tbENKUlT_T0_E_clISt17integral_constantIbLb1EES10_IbLb0EEEEDaSW_SX_EUlSW_E_NS1_11comp_targetILNS1_3genE0ELNS1_11target_archE4294967295ELNS1_3gpuE0ELNS1_3repE0EEENS1_30default_config_static_selectorELNS0_4arch9wavefront6targetE1EEEvT1_ ; -- Begin function _ZN7rocprim17ROCPRIM_400000_NS6detail17trampoline_kernelINS0_14default_configENS1_29reduce_by_key_config_selectorIttN6thrust23THRUST_200600_302600_NS4plusItEEEEZZNS1_33reduce_by_key_impl_wrapped_configILNS1_25lookback_scan_determinismE0ES3_S9_NS6_6detail15normal_iteratorINS6_10device_ptrItEEEESG_SG_SG_PmS8_NS6_8equal_toItEEEE10hipError_tPvRmT2_T3_mT4_T5_T6_T7_T8_P12ihipStream_tbENKUlT_T0_E_clISt17integral_constantIbLb1EES10_IbLb0EEEEDaSW_SX_EUlSW_E_NS1_11comp_targetILNS1_3genE0ELNS1_11target_archE4294967295ELNS1_3gpuE0ELNS1_3repE0EEENS1_30default_config_static_selectorELNS0_4arch9wavefront6targetE1EEEvT1_
	.globl	_ZN7rocprim17ROCPRIM_400000_NS6detail17trampoline_kernelINS0_14default_configENS1_29reduce_by_key_config_selectorIttN6thrust23THRUST_200600_302600_NS4plusItEEEEZZNS1_33reduce_by_key_impl_wrapped_configILNS1_25lookback_scan_determinismE0ES3_S9_NS6_6detail15normal_iteratorINS6_10device_ptrItEEEESG_SG_SG_PmS8_NS6_8equal_toItEEEE10hipError_tPvRmT2_T3_mT4_T5_T6_T7_T8_P12ihipStream_tbENKUlT_T0_E_clISt17integral_constantIbLb1EES10_IbLb0EEEEDaSW_SX_EUlSW_E_NS1_11comp_targetILNS1_3genE0ELNS1_11target_archE4294967295ELNS1_3gpuE0ELNS1_3repE0EEENS1_30default_config_static_selectorELNS0_4arch9wavefront6targetE1EEEvT1_
	.p2align	8
	.type	_ZN7rocprim17ROCPRIM_400000_NS6detail17trampoline_kernelINS0_14default_configENS1_29reduce_by_key_config_selectorIttN6thrust23THRUST_200600_302600_NS4plusItEEEEZZNS1_33reduce_by_key_impl_wrapped_configILNS1_25lookback_scan_determinismE0ES3_S9_NS6_6detail15normal_iteratorINS6_10device_ptrItEEEESG_SG_SG_PmS8_NS6_8equal_toItEEEE10hipError_tPvRmT2_T3_mT4_T5_T6_T7_T8_P12ihipStream_tbENKUlT_T0_E_clISt17integral_constantIbLb1EES10_IbLb0EEEEDaSW_SX_EUlSW_E_NS1_11comp_targetILNS1_3genE0ELNS1_11target_archE4294967295ELNS1_3gpuE0ELNS1_3repE0EEENS1_30default_config_static_selectorELNS0_4arch9wavefront6targetE1EEEvT1_,@function
_ZN7rocprim17ROCPRIM_400000_NS6detail17trampoline_kernelINS0_14default_configENS1_29reduce_by_key_config_selectorIttN6thrust23THRUST_200600_302600_NS4plusItEEEEZZNS1_33reduce_by_key_impl_wrapped_configILNS1_25lookback_scan_determinismE0ES3_S9_NS6_6detail15normal_iteratorINS6_10device_ptrItEEEESG_SG_SG_PmS8_NS6_8equal_toItEEEE10hipError_tPvRmT2_T3_mT4_T5_T6_T7_T8_P12ihipStream_tbENKUlT_T0_E_clISt17integral_constantIbLb1EES10_IbLb0EEEEDaSW_SX_EUlSW_E_NS1_11comp_targetILNS1_3genE0ELNS1_11target_archE4294967295ELNS1_3gpuE0ELNS1_3repE0EEENS1_30default_config_static_selectorELNS0_4arch9wavefront6targetE1EEEvT1_: ; @_ZN7rocprim17ROCPRIM_400000_NS6detail17trampoline_kernelINS0_14default_configENS1_29reduce_by_key_config_selectorIttN6thrust23THRUST_200600_302600_NS4plusItEEEEZZNS1_33reduce_by_key_impl_wrapped_configILNS1_25lookback_scan_determinismE0ES3_S9_NS6_6detail15normal_iteratorINS6_10device_ptrItEEEESG_SG_SG_PmS8_NS6_8equal_toItEEEE10hipError_tPvRmT2_T3_mT4_T5_T6_T7_T8_P12ihipStream_tbENKUlT_T0_E_clISt17integral_constantIbLb1EES10_IbLb0EEEEDaSW_SX_EUlSW_E_NS1_11comp_targetILNS1_3genE0ELNS1_11target_archE4294967295ELNS1_3gpuE0ELNS1_3repE0EEENS1_30default_config_static_selectorELNS0_4arch9wavefront6targetE1EEEvT1_
; %bb.0:
	.section	.rodata,"a",@progbits
	.p2align	6, 0x0
	.amdhsa_kernel _ZN7rocprim17ROCPRIM_400000_NS6detail17trampoline_kernelINS0_14default_configENS1_29reduce_by_key_config_selectorIttN6thrust23THRUST_200600_302600_NS4plusItEEEEZZNS1_33reduce_by_key_impl_wrapped_configILNS1_25lookback_scan_determinismE0ES3_S9_NS6_6detail15normal_iteratorINS6_10device_ptrItEEEESG_SG_SG_PmS8_NS6_8equal_toItEEEE10hipError_tPvRmT2_T3_mT4_T5_T6_T7_T8_P12ihipStream_tbENKUlT_T0_E_clISt17integral_constantIbLb1EES10_IbLb0EEEEDaSW_SX_EUlSW_E_NS1_11comp_targetILNS1_3genE0ELNS1_11target_archE4294967295ELNS1_3gpuE0ELNS1_3repE0EEENS1_30default_config_static_selectorELNS0_4arch9wavefront6targetE1EEEvT1_
		.amdhsa_group_segment_fixed_size 0
		.amdhsa_private_segment_fixed_size 0
		.amdhsa_kernarg_size 120
		.amdhsa_user_sgpr_count 6
		.amdhsa_user_sgpr_private_segment_buffer 1
		.amdhsa_user_sgpr_dispatch_ptr 0
		.amdhsa_user_sgpr_queue_ptr 0
		.amdhsa_user_sgpr_kernarg_segment_ptr 1
		.amdhsa_user_sgpr_dispatch_id 0
		.amdhsa_user_sgpr_flat_scratch_init 0
		.amdhsa_user_sgpr_kernarg_preload_length 0
		.amdhsa_user_sgpr_kernarg_preload_offset 0
		.amdhsa_user_sgpr_private_segment_size 0
		.amdhsa_uses_dynamic_stack 0
		.amdhsa_system_sgpr_private_segment_wavefront_offset 0
		.amdhsa_system_sgpr_workgroup_id_x 1
		.amdhsa_system_sgpr_workgroup_id_y 0
		.amdhsa_system_sgpr_workgroup_id_z 0
		.amdhsa_system_sgpr_workgroup_info 0
		.amdhsa_system_vgpr_workitem_id 0
		.amdhsa_next_free_vgpr 1
		.amdhsa_next_free_sgpr 0
		.amdhsa_accum_offset 4
		.amdhsa_reserve_vcc 0
		.amdhsa_reserve_flat_scratch 0
		.amdhsa_float_round_mode_32 0
		.amdhsa_float_round_mode_16_64 0
		.amdhsa_float_denorm_mode_32 3
		.amdhsa_float_denorm_mode_16_64 3
		.amdhsa_dx10_clamp 1
		.amdhsa_ieee_mode 1
		.amdhsa_fp16_overflow 0
		.amdhsa_tg_split 0
		.amdhsa_exception_fp_ieee_invalid_op 0
		.amdhsa_exception_fp_denorm_src 0
		.amdhsa_exception_fp_ieee_div_zero 0
		.amdhsa_exception_fp_ieee_overflow 0
		.amdhsa_exception_fp_ieee_underflow 0
		.amdhsa_exception_fp_ieee_inexact 0
		.amdhsa_exception_int_div_zero 0
	.end_amdhsa_kernel
	.section	.text._ZN7rocprim17ROCPRIM_400000_NS6detail17trampoline_kernelINS0_14default_configENS1_29reduce_by_key_config_selectorIttN6thrust23THRUST_200600_302600_NS4plusItEEEEZZNS1_33reduce_by_key_impl_wrapped_configILNS1_25lookback_scan_determinismE0ES3_S9_NS6_6detail15normal_iteratorINS6_10device_ptrItEEEESG_SG_SG_PmS8_NS6_8equal_toItEEEE10hipError_tPvRmT2_T3_mT4_T5_T6_T7_T8_P12ihipStream_tbENKUlT_T0_E_clISt17integral_constantIbLb1EES10_IbLb0EEEEDaSW_SX_EUlSW_E_NS1_11comp_targetILNS1_3genE0ELNS1_11target_archE4294967295ELNS1_3gpuE0ELNS1_3repE0EEENS1_30default_config_static_selectorELNS0_4arch9wavefront6targetE1EEEvT1_,"axG",@progbits,_ZN7rocprim17ROCPRIM_400000_NS6detail17trampoline_kernelINS0_14default_configENS1_29reduce_by_key_config_selectorIttN6thrust23THRUST_200600_302600_NS4plusItEEEEZZNS1_33reduce_by_key_impl_wrapped_configILNS1_25lookback_scan_determinismE0ES3_S9_NS6_6detail15normal_iteratorINS6_10device_ptrItEEEESG_SG_SG_PmS8_NS6_8equal_toItEEEE10hipError_tPvRmT2_T3_mT4_T5_T6_T7_T8_P12ihipStream_tbENKUlT_T0_E_clISt17integral_constantIbLb1EES10_IbLb0EEEEDaSW_SX_EUlSW_E_NS1_11comp_targetILNS1_3genE0ELNS1_11target_archE4294967295ELNS1_3gpuE0ELNS1_3repE0EEENS1_30default_config_static_selectorELNS0_4arch9wavefront6targetE1EEEvT1_,comdat
.Lfunc_end412:
	.size	_ZN7rocprim17ROCPRIM_400000_NS6detail17trampoline_kernelINS0_14default_configENS1_29reduce_by_key_config_selectorIttN6thrust23THRUST_200600_302600_NS4plusItEEEEZZNS1_33reduce_by_key_impl_wrapped_configILNS1_25lookback_scan_determinismE0ES3_S9_NS6_6detail15normal_iteratorINS6_10device_ptrItEEEESG_SG_SG_PmS8_NS6_8equal_toItEEEE10hipError_tPvRmT2_T3_mT4_T5_T6_T7_T8_P12ihipStream_tbENKUlT_T0_E_clISt17integral_constantIbLb1EES10_IbLb0EEEEDaSW_SX_EUlSW_E_NS1_11comp_targetILNS1_3genE0ELNS1_11target_archE4294967295ELNS1_3gpuE0ELNS1_3repE0EEENS1_30default_config_static_selectorELNS0_4arch9wavefront6targetE1EEEvT1_, .Lfunc_end412-_ZN7rocprim17ROCPRIM_400000_NS6detail17trampoline_kernelINS0_14default_configENS1_29reduce_by_key_config_selectorIttN6thrust23THRUST_200600_302600_NS4plusItEEEEZZNS1_33reduce_by_key_impl_wrapped_configILNS1_25lookback_scan_determinismE0ES3_S9_NS6_6detail15normal_iteratorINS6_10device_ptrItEEEESG_SG_SG_PmS8_NS6_8equal_toItEEEE10hipError_tPvRmT2_T3_mT4_T5_T6_T7_T8_P12ihipStream_tbENKUlT_T0_E_clISt17integral_constantIbLb1EES10_IbLb0EEEEDaSW_SX_EUlSW_E_NS1_11comp_targetILNS1_3genE0ELNS1_11target_archE4294967295ELNS1_3gpuE0ELNS1_3repE0EEENS1_30default_config_static_selectorELNS0_4arch9wavefront6targetE1EEEvT1_
                                        ; -- End function
	.section	.AMDGPU.csdata,"",@progbits
; Kernel info:
; codeLenInByte = 0
; NumSgprs: 4
; NumVgprs: 0
; NumAgprs: 0
; TotalNumVgprs: 0
; ScratchSize: 0
; MemoryBound: 0
; FloatMode: 240
; IeeeMode: 1
; LDSByteSize: 0 bytes/workgroup (compile time only)
; SGPRBlocks: 0
; VGPRBlocks: 0
; NumSGPRsForWavesPerEU: 4
; NumVGPRsForWavesPerEU: 1
; AccumOffset: 4
; Occupancy: 8
; WaveLimiterHint : 0
; COMPUTE_PGM_RSRC2:SCRATCH_EN: 0
; COMPUTE_PGM_RSRC2:USER_SGPR: 6
; COMPUTE_PGM_RSRC2:TRAP_HANDLER: 0
; COMPUTE_PGM_RSRC2:TGID_X_EN: 1
; COMPUTE_PGM_RSRC2:TGID_Y_EN: 0
; COMPUTE_PGM_RSRC2:TGID_Z_EN: 0
; COMPUTE_PGM_RSRC2:TIDIG_COMP_CNT: 0
; COMPUTE_PGM_RSRC3_GFX90A:ACCUM_OFFSET: 0
; COMPUTE_PGM_RSRC3_GFX90A:TG_SPLIT: 0
	.section	.text._ZN7rocprim17ROCPRIM_400000_NS6detail17trampoline_kernelINS0_14default_configENS1_29reduce_by_key_config_selectorIttN6thrust23THRUST_200600_302600_NS4plusItEEEEZZNS1_33reduce_by_key_impl_wrapped_configILNS1_25lookback_scan_determinismE0ES3_S9_NS6_6detail15normal_iteratorINS6_10device_ptrItEEEESG_SG_SG_PmS8_NS6_8equal_toItEEEE10hipError_tPvRmT2_T3_mT4_T5_T6_T7_T8_P12ihipStream_tbENKUlT_T0_E_clISt17integral_constantIbLb1EES10_IbLb0EEEEDaSW_SX_EUlSW_E_NS1_11comp_targetILNS1_3genE5ELNS1_11target_archE942ELNS1_3gpuE9ELNS1_3repE0EEENS1_30default_config_static_selectorELNS0_4arch9wavefront6targetE1EEEvT1_,"axG",@progbits,_ZN7rocprim17ROCPRIM_400000_NS6detail17trampoline_kernelINS0_14default_configENS1_29reduce_by_key_config_selectorIttN6thrust23THRUST_200600_302600_NS4plusItEEEEZZNS1_33reduce_by_key_impl_wrapped_configILNS1_25lookback_scan_determinismE0ES3_S9_NS6_6detail15normal_iteratorINS6_10device_ptrItEEEESG_SG_SG_PmS8_NS6_8equal_toItEEEE10hipError_tPvRmT2_T3_mT4_T5_T6_T7_T8_P12ihipStream_tbENKUlT_T0_E_clISt17integral_constantIbLb1EES10_IbLb0EEEEDaSW_SX_EUlSW_E_NS1_11comp_targetILNS1_3genE5ELNS1_11target_archE942ELNS1_3gpuE9ELNS1_3repE0EEENS1_30default_config_static_selectorELNS0_4arch9wavefront6targetE1EEEvT1_,comdat
	.protected	_ZN7rocprim17ROCPRIM_400000_NS6detail17trampoline_kernelINS0_14default_configENS1_29reduce_by_key_config_selectorIttN6thrust23THRUST_200600_302600_NS4plusItEEEEZZNS1_33reduce_by_key_impl_wrapped_configILNS1_25lookback_scan_determinismE0ES3_S9_NS6_6detail15normal_iteratorINS6_10device_ptrItEEEESG_SG_SG_PmS8_NS6_8equal_toItEEEE10hipError_tPvRmT2_T3_mT4_T5_T6_T7_T8_P12ihipStream_tbENKUlT_T0_E_clISt17integral_constantIbLb1EES10_IbLb0EEEEDaSW_SX_EUlSW_E_NS1_11comp_targetILNS1_3genE5ELNS1_11target_archE942ELNS1_3gpuE9ELNS1_3repE0EEENS1_30default_config_static_selectorELNS0_4arch9wavefront6targetE1EEEvT1_ ; -- Begin function _ZN7rocprim17ROCPRIM_400000_NS6detail17trampoline_kernelINS0_14default_configENS1_29reduce_by_key_config_selectorIttN6thrust23THRUST_200600_302600_NS4plusItEEEEZZNS1_33reduce_by_key_impl_wrapped_configILNS1_25lookback_scan_determinismE0ES3_S9_NS6_6detail15normal_iteratorINS6_10device_ptrItEEEESG_SG_SG_PmS8_NS6_8equal_toItEEEE10hipError_tPvRmT2_T3_mT4_T5_T6_T7_T8_P12ihipStream_tbENKUlT_T0_E_clISt17integral_constantIbLb1EES10_IbLb0EEEEDaSW_SX_EUlSW_E_NS1_11comp_targetILNS1_3genE5ELNS1_11target_archE942ELNS1_3gpuE9ELNS1_3repE0EEENS1_30default_config_static_selectorELNS0_4arch9wavefront6targetE1EEEvT1_
	.globl	_ZN7rocprim17ROCPRIM_400000_NS6detail17trampoline_kernelINS0_14default_configENS1_29reduce_by_key_config_selectorIttN6thrust23THRUST_200600_302600_NS4plusItEEEEZZNS1_33reduce_by_key_impl_wrapped_configILNS1_25lookback_scan_determinismE0ES3_S9_NS6_6detail15normal_iteratorINS6_10device_ptrItEEEESG_SG_SG_PmS8_NS6_8equal_toItEEEE10hipError_tPvRmT2_T3_mT4_T5_T6_T7_T8_P12ihipStream_tbENKUlT_T0_E_clISt17integral_constantIbLb1EES10_IbLb0EEEEDaSW_SX_EUlSW_E_NS1_11comp_targetILNS1_3genE5ELNS1_11target_archE942ELNS1_3gpuE9ELNS1_3repE0EEENS1_30default_config_static_selectorELNS0_4arch9wavefront6targetE1EEEvT1_
	.p2align	8
	.type	_ZN7rocprim17ROCPRIM_400000_NS6detail17trampoline_kernelINS0_14default_configENS1_29reduce_by_key_config_selectorIttN6thrust23THRUST_200600_302600_NS4plusItEEEEZZNS1_33reduce_by_key_impl_wrapped_configILNS1_25lookback_scan_determinismE0ES3_S9_NS6_6detail15normal_iteratorINS6_10device_ptrItEEEESG_SG_SG_PmS8_NS6_8equal_toItEEEE10hipError_tPvRmT2_T3_mT4_T5_T6_T7_T8_P12ihipStream_tbENKUlT_T0_E_clISt17integral_constantIbLb1EES10_IbLb0EEEEDaSW_SX_EUlSW_E_NS1_11comp_targetILNS1_3genE5ELNS1_11target_archE942ELNS1_3gpuE9ELNS1_3repE0EEENS1_30default_config_static_selectorELNS0_4arch9wavefront6targetE1EEEvT1_,@function
_ZN7rocprim17ROCPRIM_400000_NS6detail17trampoline_kernelINS0_14default_configENS1_29reduce_by_key_config_selectorIttN6thrust23THRUST_200600_302600_NS4plusItEEEEZZNS1_33reduce_by_key_impl_wrapped_configILNS1_25lookback_scan_determinismE0ES3_S9_NS6_6detail15normal_iteratorINS6_10device_ptrItEEEESG_SG_SG_PmS8_NS6_8equal_toItEEEE10hipError_tPvRmT2_T3_mT4_T5_T6_T7_T8_P12ihipStream_tbENKUlT_T0_E_clISt17integral_constantIbLb1EES10_IbLb0EEEEDaSW_SX_EUlSW_E_NS1_11comp_targetILNS1_3genE5ELNS1_11target_archE942ELNS1_3gpuE9ELNS1_3repE0EEENS1_30default_config_static_selectorELNS0_4arch9wavefront6targetE1EEEvT1_: ; @_ZN7rocprim17ROCPRIM_400000_NS6detail17trampoline_kernelINS0_14default_configENS1_29reduce_by_key_config_selectorIttN6thrust23THRUST_200600_302600_NS4plusItEEEEZZNS1_33reduce_by_key_impl_wrapped_configILNS1_25lookback_scan_determinismE0ES3_S9_NS6_6detail15normal_iteratorINS6_10device_ptrItEEEESG_SG_SG_PmS8_NS6_8equal_toItEEEE10hipError_tPvRmT2_T3_mT4_T5_T6_T7_T8_P12ihipStream_tbENKUlT_T0_E_clISt17integral_constantIbLb1EES10_IbLb0EEEEDaSW_SX_EUlSW_E_NS1_11comp_targetILNS1_3genE5ELNS1_11target_archE942ELNS1_3gpuE9ELNS1_3repE0EEENS1_30default_config_static_selectorELNS0_4arch9wavefront6targetE1EEEvT1_
; %bb.0:
	.section	.rodata,"a",@progbits
	.p2align	6, 0x0
	.amdhsa_kernel _ZN7rocprim17ROCPRIM_400000_NS6detail17trampoline_kernelINS0_14default_configENS1_29reduce_by_key_config_selectorIttN6thrust23THRUST_200600_302600_NS4plusItEEEEZZNS1_33reduce_by_key_impl_wrapped_configILNS1_25lookback_scan_determinismE0ES3_S9_NS6_6detail15normal_iteratorINS6_10device_ptrItEEEESG_SG_SG_PmS8_NS6_8equal_toItEEEE10hipError_tPvRmT2_T3_mT4_T5_T6_T7_T8_P12ihipStream_tbENKUlT_T0_E_clISt17integral_constantIbLb1EES10_IbLb0EEEEDaSW_SX_EUlSW_E_NS1_11comp_targetILNS1_3genE5ELNS1_11target_archE942ELNS1_3gpuE9ELNS1_3repE0EEENS1_30default_config_static_selectorELNS0_4arch9wavefront6targetE1EEEvT1_
		.amdhsa_group_segment_fixed_size 0
		.amdhsa_private_segment_fixed_size 0
		.amdhsa_kernarg_size 120
		.amdhsa_user_sgpr_count 6
		.amdhsa_user_sgpr_private_segment_buffer 1
		.amdhsa_user_sgpr_dispatch_ptr 0
		.amdhsa_user_sgpr_queue_ptr 0
		.amdhsa_user_sgpr_kernarg_segment_ptr 1
		.amdhsa_user_sgpr_dispatch_id 0
		.amdhsa_user_sgpr_flat_scratch_init 0
		.amdhsa_user_sgpr_kernarg_preload_length 0
		.amdhsa_user_sgpr_kernarg_preload_offset 0
		.amdhsa_user_sgpr_private_segment_size 0
		.amdhsa_uses_dynamic_stack 0
		.amdhsa_system_sgpr_private_segment_wavefront_offset 0
		.amdhsa_system_sgpr_workgroup_id_x 1
		.amdhsa_system_sgpr_workgroup_id_y 0
		.amdhsa_system_sgpr_workgroup_id_z 0
		.amdhsa_system_sgpr_workgroup_info 0
		.amdhsa_system_vgpr_workitem_id 0
		.amdhsa_next_free_vgpr 1
		.amdhsa_next_free_sgpr 0
		.amdhsa_accum_offset 4
		.amdhsa_reserve_vcc 0
		.amdhsa_reserve_flat_scratch 0
		.amdhsa_float_round_mode_32 0
		.amdhsa_float_round_mode_16_64 0
		.amdhsa_float_denorm_mode_32 3
		.amdhsa_float_denorm_mode_16_64 3
		.amdhsa_dx10_clamp 1
		.amdhsa_ieee_mode 1
		.amdhsa_fp16_overflow 0
		.amdhsa_tg_split 0
		.amdhsa_exception_fp_ieee_invalid_op 0
		.amdhsa_exception_fp_denorm_src 0
		.amdhsa_exception_fp_ieee_div_zero 0
		.amdhsa_exception_fp_ieee_overflow 0
		.amdhsa_exception_fp_ieee_underflow 0
		.amdhsa_exception_fp_ieee_inexact 0
		.amdhsa_exception_int_div_zero 0
	.end_amdhsa_kernel
	.section	.text._ZN7rocprim17ROCPRIM_400000_NS6detail17trampoline_kernelINS0_14default_configENS1_29reduce_by_key_config_selectorIttN6thrust23THRUST_200600_302600_NS4plusItEEEEZZNS1_33reduce_by_key_impl_wrapped_configILNS1_25lookback_scan_determinismE0ES3_S9_NS6_6detail15normal_iteratorINS6_10device_ptrItEEEESG_SG_SG_PmS8_NS6_8equal_toItEEEE10hipError_tPvRmT2_T3_mT4_T5_T6_T7_T8_P12ihipStream_tbENKUlT_T0_E_clISt17integral_constantIbLb1EES10_IbLb0EEEEDaSW_SX_EUlSW_E_NS1_11comp_targetILNS1_3genE5ELNS1_11target_archE942ELNS1_3gpuE9ELNS1_3repE0EEENS1_30default_config_static_selectorELNS0_4arch9wavefront6targetE1EEEvT1_,"axG",@progbits,_ZN7rocprim17ROCPRIM_400000_NS6detail17trampoline_kernelINS0_14default_configENS1_29reduce_by_key_config_selectorIttN6thrust23THRUST_200600_302600_NS4plusItEEEEZZNS1_33reduce_by_key_impl_wrapped_configILNS1_25lookback_scan_determinismE0ES3_S9_NS6_6detail15normal_iteratorINS6_10device_ptrItEEEESG_SG_SG_PmS8_NS6_8equal_toItEEEE10hipError_tPvRmT2_T3_mT4_T5_T6_T7_T8_P12ihipStream_tbENKUlT_T0_E_clISt17integral_constantIbLb1EES10_IbLb0EEEEDaSW_SX_EUlSW_E_NS1_11comp_targetILNS1_3genE5ELNS1_11target_archE942ELNS1_3gpuE9ELNS1_3repE0EEENS1_30default_config_static_selectorELNS0_4arch9wavefront6targetE1EEEvT1_,comdat
.Lfunc_end413:
	.size	_ZN7rocprim17ROCPRIM_400000_NS6detail17trampoline_kernelINS0_14default_configENS1_29reduce_by_key_config_selectorIttN6thrust23THRUST_200600_302600_NS4plusItEEEEZZNS1_33reduce_by_key_impl_wrapped_configILNS1_25lookback_scan_determinismE0ES3_S9_NS6_6detail15normal_iteratorINS6_10device_ptrItEEEESG_SG_SG_PmS8_NS6_8equal_toItEEEE10hipError_tPvRmT2_T3_mT4_T5_T6_T7_T8_P12ihipStream_tbENKUlT_T0_E_clISt17integral_constantIbLb1EES10_IbLb0EEEEDaSW_SX_EUlSW_E_NS1_11comp_targetILNS1_3genE5ELNS1_11target_archE942ELNS1_3gpuE9ELNS1_3repE0EEENS1_30default_config_static_selectorELNS0_4arch9wavefront6targetE1EEEvT1_, .Lfunc_end413-_ZN7rocprim17ROCPRIM_400000_NS6detail17trampoline_kernelINS0_14default_configENS1_29reduce_by_key_config_selectorIttN6thrust23THRUST_200600_302600_NS4plusItEEEEZZNS1_33reduce_by_key_impl_wrapped_configILNS1_25lookback_scan_determinismE0ES3_S9_NS6_6detail15normal_iteratorINS6_10device_ptrItEEEESG_SG_SG_PmS8_NS6_8equal_toItEEEE10hipError_tPvRmT2_T3_mT4_T5_T6_T7_T8_P12ihipStream_tbENKUlT_T0_E_clISt17integral_constantIbLb1EES10_IbLb0EEEEDaSW_SX_EUlSW_E_NS1_11comp_targetILNS1_3genE5ELNS1_11target_archE942ELNS1_3gpuE9ELNS1_3repE0EEENS1_30default_config_static_selectorELNS0_4arch9wavefront6targetE1EEEvT1_
                                        ; -- End function
	.section	.AMDGPU.csdata,"",@progbits
; Kernel info:
; codeLenInByte = 0
; NumSgprs: 4
; NumVgprs: 0
; NumAgprs: 0
; TotalNumVgprs: 0
; ScratchSize: 0
; MemoryBound: 0
; FloatMode: 240
; IeeeMode: 1
; LDSByteSize: 0 bytes/workgroup (compile time only)
; SGPRBlocks: 0
; VGPRBlocks: 0
; NumSGPRsForWavesPerEU: 4
; NumVGPRsForWavesPerEU: 1
; AccumOffset: 4
; Occupancy: 8
; WaveLimiterHint : 0
; COMPUTE_PGM_RSRC2:SCRATCH_EN: 0
; COMPUTE_PGM_RSRC2:USER_SGPR: 6
; COMPUTE_PGM_RSRC2:TRAP_HANDLER: 0
; COMPUTE_PGM_RSRC2:TGID_X_EN: 1
; COMPUTE_PGM_RSRC2:TGID_Y_EN: 0
; COMPUTE_PGM_RSRC2:TGID_Z_EN: 0
; COMPUTE_PGM_RSRC2:TIDIG_COMP_CNT: 0
; COMPUTE_PGM_RSRC3_GFX90A:ACCUM_OFFSET: 0
; COMPUTE_PGM_RSRC3_GFX90A:TG_SPLIT: 0
	.section	.text._ZN7rocprim17ROCPRIM_400000_NS6detail17trampoline_kernelINS0_14default_configENS1_29reduce_by_key_config_selectorIttN6thrust23THRUST_200600_302600_NS4plusItEEEEZZNS1_33reduce_by_key_impl_wrapped_configILNS1_25lookback_scan_determinismE0ES3_S9_NS6_6detail15normal_iteratorINS6_10device_ptrItEEEESG_SG_SG_PmS8_NS6_8equal_toItEEEE10hipError_tPvRmT2_T3_mT4_T5_T6_T7_T8_P12ihipStream_tbENKUlT_T0_E_clISt17integral_constantIbLb1EES10_IbLb0EEEEDaSW_SX_EUlSW_E_NS1_11comp_targetILNS1_3genE4ELNS1_11target_archE910ELNS1_3gpuE8ELNS1_3repE0EEENS1_30default_config_static_selectorELNS0_4arch9wavefront6targetE1EEEvT1_,"axG",@progbits,_ZN7rocprim17ROCPRIM_400000_NS6detail17trampoline_kernelINS0_14default_configENS1_29reduce_by_key_config_selectorIttN6thrust23THRUST_200600_302600_NS4plusItEEEEZZNS1_33reduce_by_key_impl_wrapped_configILNS1_25lookback_scan_determinismE0ES3_S9_NS6_6detail15normal_iteratorINS6_10device_ptrItEEEESG_SG_SG_PmS8_NS6_8equal_toItEEEE10hipError_tPvRmT2_T3_mT4_T5_T6_T7_T8_P12ihipStream_tbENKUlT_T0_E_clISt17integral_constantIbLb1EES10_IbLb0EEEEDaSW_SX_EUlSW_E_NS1_11comp_targetILNS1_3genE4ELNS1_11target_archE910ELNS1_3gpuE8ELNS1_3repE0EEENS1_30default_config_static_selectorELNS0_4arch9wavefront6targetE1EEEvT1_,comdat
	.protected	_ZN7rocprim17ROCPRIM_400000_NS6detail17trampoline_kernelINS0_14default_configENS1_29reduce_by_key_config_selectorIttN6thrust23THRUST_200600_302600_NS4plusItEEEEZZNS1_33reduce_by_key_impl_wrapped_configILNS1_25lookback_scan_determinismE0ES3_S9_NS6_6detail15normal_iteratorINS6_10device_ptrItEEEESG_SG_SG_PmS8_NS6_8equal_toItEEEE10hipError_tPvRmT2_T3_mT4_T5_T6_T7_T8_P12ihipStream_tbENKUlT_T0_E_clISt17integral_constantIbLb1EES10_IbLb0EEEEDaSW_SX_EUlSW_E_NS1_11comp_targetILNS1_3genE4ELNS1_11target_archE910ELNS1_3gpuE8ELNS1_3repE0EEENS1_30default_config_static_selectorELNS0_4arch9wavefront6targetE1EEEvT1_ ; -- Begin function _ZN7rocprim17ROCPRIM_400000_NS6detail17trampoline_kernelINS0_14default_configENS1_29reduce_by_key_config_selectorIttN6thrust23THRUST_200600_302600_NS4plusItEEEEZZNS1_33reduce_by_key_impl_wrapped_configILNS1_25lookback_scan_determinismE0ES3_S9_NS6_6detail15normal_iteratorINS6_10device_ptrItEEEESG_SG_SG_PmS8_NS6_8equal_toItEEEE10hipError_tPvRmT2_T3_mT4_T5_T6_T7_T8_P12ihipStream_tbENKUlT_T0_E_clISt17integral_constantIbLb1EES10_IbLb0EEEEDaSW_SX_EUlSW_E_NS1_11comp_targetILNS1_3genE4ELNS1_11target_archE910ELNS1_3gpuE8ELNS1_3repE0EEENS1_30default_config_static_selectorELNS0_4arch9wavefront6targetE1EEEvT1_
	.globl	_ZN7rocprim17ROCPRIM_400000_NS6detail17trampoline_kernelINS0_14default_configENS1_29reduce_by_key_config_selectorIttN6thrust23THRUST_200600_302600_NS4plusItEEEEZZNS1_33reduce_by_key_impl_wrapped_configILNS1_25lookback_scan_determinismE0ES3_S9_NS6_6detail15normal_iteratorINS6_10device_ptrItEEEESG_SG_SG_PmS8_NS6_8equal_toItEEEE10hipError_tPvRmT2_T3_mT4_T5_T6_T7_T8_P12ihipStream_tbENKUlT_T0_E_clISt17integral_constantIbLb1EES10_IbLb0EEEEDaSW_SX_EUlSW_E_NS1_11comp_targetILNS1_3genE4ELNS1_11target_archE910ELNS1_3gpuE8ELNS1_3repE0EEENS1_30default_config_static_selectorELNS0_4arch9wavefront6targetE1EEEvT1_
	.p2align	8
	.type	_ZN7rocprim17ROCPRIM_400000_NS6detail17trampoline_kernelINS0_14default_configENS1_29reduce_by_key_config_selectorIttN6thrust23THRUST_200600_302600_NS4plusItEEEEZZNS1_33reduce_by_key_impl_wrapped_configILNS1_25lookback_scan_determinismE0ES3_S9_NS6_6detail15normal_iteratorINS6_10device_ptrItEEEESG_SG_SG_PmS8_NS6_8equal_toItEEEE10hipError_tPvRmT2_T3_mT4_T5_T6_T7_T8_P12ihipStream_tbENKUlT_T0_E_clISt17integral_constantIbLb1EES10_IbLb0EEEEDaSW_SX_EUlSW_E_NS1_11comp_targetILNS1_3genE4ELNS1_11target_archE910ELNS1_3gpuE8ELNS1_3repE0EEENS1_30default_config_static_selectorELNS0_4arch9wavefront6targetE1EEEvT1_,@function
_ZN7rocprim17ROCPRIM_400000_NS6detail17trampoline_kernelINS0_14default_configENS1_29reduce_by_key_config_selectorIttN6thrust23THRUST_200600_302600_NS4plusItEEEEZZNS1_33reduce_by_key_impl_wrapped_configILNS1_25lookback_scan_determinismE0ES3_S9_NS6_6detail15normal_iteratorINS6_10device_ptrItEEEESG_SG_SG_PmS8_NS6_8equal_toItEEEE10hipError_tPvRmT2_T3_mT4_T5_T6_T7_T8_P12ihipStream_tbENKUlT_T0_E_clISt17integral_constantIbLb1EES10_IbLb0EEEEDaSW_SX_EUlSW_E_NS1_11comp_targetILNS1_3genE4ELNS1_11target_archE910ELNS1_3gpuE8ELNS1_3repE0EEENS1_30default_config_static_selectorELNS0_4arch9wavefront6targetE1EEEvT1_: ; @_ZN7rocprim17ROCPRIM_400000_NS6detail17trampoline_kernelINS0_14default_configENS1_29reduce_by_key_config_selectorIttN6thrust23THRUST_200600_302600_NS4plusItEEEEZZNS1_33reduce_by_key_impl_wrapped_configILNS1_25lookback_scan_determinismE0ES3_S9_NS6_6detail15normal_iteratorINS6_10device_ptrItEEEESG_SG_SG_PmS8_NS6_8equal_toItEEEE10hipError_tPvRmT2_T3_mT4_T5_T6_T7_T8_P12ihipStream_tbENKUlT_T0_E_clISt17integral_constantIbLb1EES10_IbLb0EEEEDaSW_SX_EUlSW_E_NS1_11comp_targetILNS1_3genE4ELNS1_11target_archE910ELNS1_3gpuE8ELNS1_3repE0EEENS1_30default_config_static_selectorELNS0_4arch9wavefront6targetE1EEEvT1_
; %bb.0:
	s_load_dwordx8 s[36:43], s[4:5], 0x0
	s_load_dwordx4 s[52:55], s[4:5], 0x20
	s_load_dwordx8 s[44:51], s[4:5], 0x38
	s_load_dwordx2 s[60:61], s[4:5], 0x68
	s_load_dwordx4 s[56:59], s[4:5], 0x58
	s_waitcnt lgkmcnt(0)
	s_lshl_b64 s[0:1], s[38:39], 1
	s_add_u32 s2, s36, s0
	s_addc_u32 s3, s37, s1
	s_add_u32 s4, s40, s0
	s_addc_u32 s5, s41, s1
	s_mul_i32 s0, s48, s47
	s_mul_hi_u32 s1, s48, s46
	s_add_i32 s0, s1, s0
	s_mul_i32 s1, s49, s46
	s_add_i32 s8, s0, s1
	s_mul_i32 s0, s6, 0xf00
	s_mov_b32 s1, 0
	s_lshl_b64 s[0:1], s[0:1], 1
	s_add_u32 s7, s2, s0
	s_mul_i32 s9, s48, s46
	s_addc_u32 s48, s3, s1
	s_add_u32 s49, s4, s0
	s_addc_u32 s62, s5, s1
	s_add_u32 s38, s9, s6
	s_addc_u32 s39, s8, 0
	s_add_u32 s2, s50, -1
	s_addc_u32 s3, s51, -1
	s_cmp_eq_u64 s[38:39], s[2:3]
	s_cselect_b64 s[34:35], -1, 0
	s_cmp_lg_u64 s[38:39], s[2:3]
	s_mov_b64 s[0:1], -1
	s_cselect_b64 s[40:41], -1, 0
	s_mul_i32 s33, s2, 0xfffff100
	s_and_b64 vcc, exec, s[34:35]
	s_cbranch_vccnz .LBB414_2
; %bb.1:
	v_lshlrev_b32_e32 v7, 1, v0
	v_mov_b32_e32 v1, s48
	v_add_co_u32_e32 v2, vcc, s7, v7
	v_addc_co_u32_e32 v3, vcc, 0, v1, vcc
	flat_load_ushort v1, v[2:3]
	flat_load_ushort v4, v[2:3] offset:512
	flat_load_ushort v5, v[2:3] offset:1024
	;; [unrolled: 1-line block ×7, first 2 shown]
	v_add_co_u32_e32 v2, vcc, 0x1000, v2
	v_addc_co_u32_e32 v3, vcc, 0, v3, vcc
	flat_load_ushort v17, v[2:3]
	flat_load_ushort v18, v[2:3] offset:512
	flat_load_ushort v19, v[2:3] offset:1024
	;; [unrolled: 1-line block ×6, first 2 shown]
	v_mov_b32_e32 v2, s62
	v_add_co_u32_e32 v8, vcc, s49, v7
	s_movk_i32 s0, 0x1000
	v_addc_co_u32_e32 v9, vcc, 0, v2, vcc
	v_mad_u32_u24 v6, v0, 28, v7
	v_add_co_u32_e32 v10, vcc, s0, v8
	v_addc_co_u32_e32 v11, vcc, 0, v9, vcc
	s_waitcnt vmcnt(0) lgkmcnt(0)
	ds_write_b16 v7, v1
	ds_write_b16 v7, v4 offset:512
	ds_write_b16 v7, v5 offset:1024
	;; [unrolled: 1-line block ×14, first 2 shown]
	s_waitcnt lgkmcnt(0)
	s_barrier
	ds_read_u16 v1, v6
	ds_read_b128 v[2:5], v6 offset:2
	ds_read_b96 v[14:16], v6 offset:18
	s_waitcnt lgkmcnt(0)
	s_barrier
	flat_load_ushort v12, v[8:9]
	flat_load_ushort v13, v[8:9] offset:512
	flat_load_ushort v17, v[8:9] offset:1024
	;; [unrolled: 1-line block ×7, first 2 shown]
	flat_load_ushort v23, v[10:11]
	flat_load_ushort v24, v[10:11] offset:512
	flat_load_ushort v25, v[10:11] offset:1024
	;; [unrolled: 1-line block ×6, first 2 shown]
	v_mul_u32_u24_e32 v9, 15, v0
	s_waitcnt vmcnt(0) lgkmcnt(0)
	ds_write_b16 v7, v12
	ds_write_b16 v7, v13 offset:512
	ds_write_b16 v7, v17 offset:1024
	;; [unrolled: 1-line block ×14, first 2 shown]
	s_waitcnt lgkmcnt(0)
	s_barrier
	s_add_i32 s33, s33, s56
	s_cbranch_execz .LBB414_3
	s_branch .LBB414_50
.LBB414_2:
                                        ; implicit-def: $vgpr2
                                        ; implicit-def: $vgpr14
                                        ; implicit-def: $vgpr9
                                        ; implicit-def: $vgpr6
                                        ; implicit-def: $vgpr1
	s_andn2_b64 vcc, exec, s[0:1]
	s_add_i32 s33, s33, s56
	s_cbranch_vccnz .LBB414_50
.LBB414_3:
	v_cmp_gt_u32_e32 vcc, s33, v0
                                        ; implicit-def: $vgpr1
	s_and_saveexec_b64 s[2:3], vcc
	s_cbranch_execz .LBB414_5
; %bb.4:
	v_lshlrev_b32_e32 v1, 1, v0
	v_mov_b32_e32 v3, s48
	v_add_co_u32_e64 v2, s[0:1], s7, v1
	v_addc_co_u32_e64 v3, s[0:1], 0, v3, s[0:1]
	flat_load_ushort v1, v[2:3]
.LBB414_5:
	s_or_b64 exec, exec, s[2:3]
	v_or_b32_e32 v2, 0x100, v0
	v_cmp_gt_u32_e64 s[0:1], s33, v2
                                        ; implicit-def: $vgpr2
	s_and_saveexec_b64 s[4:5], s[0:1]
	s_cbranch_execz .LBB414_7
; %bb.6:
	v_lshlrev_b32_e32 v2, 1, v0
	v_mov_b32_e32 v3, s48
	v_add_co_u32_e64 v2, s[2:3], s7, v2
	v_addc_co_u32_e64 v3, s[2:3], 0, v3, s[2:3]
	flat_load_ushort v2, v[2:3] offset:512
.LBB414_7:
	s_or_b64 exec, exec, s[4:5]
	v_or_b32_e32 v3, 0x200, v0
	v_cmp_gt_u32_e64 s[2:3], s33, v3
                                        ; implicit-def: $vgpr3
	s_and_saveexec_b64 s[8:9], s[2:3]
	s_cbranch_execz .LBB414_9
; %bb.8:
	v_lshlrev_b32_e32 v3, 1, v0
	v_mov_b32_e32 v5, s48
	v_add_co_u32_e64 v4, s[4:5], s7, v3
	v_addc_co_u32_e64 v5, s[4:5], 0, v5, s[4:5]
	flat_load_ushort v3, v[4:5] offset:1024
.LBB414_9:
	s_or_b64 exec, exec, s[8:9]
	v_or_b32_e32 v4, 0x300, v0
	v_cmp_gt_u32_e64 s[4:5], s33, v4
                                        ; implicit-def: $vgpr4
	s_and_saveexec_b64 s[10:11], s[4:5]
	s_cbranch_execz .LBB414_11
; %bb.10:
	v_lshlrev_b32_e32 v4, 1, v0
	v_mov_b32_e32 v5, s48
	v_add_co_u32_e64 v4, s[8:9], s7, v4
	v_addc_co_u32_e64 v5, s[8:9], 0, v5, s[8:9]
	flat_load_ushort v4, v[4:5] offset:1536
.LBB414_11:
	s_or_b64 exec, exec, s[10:11]
	v_or_b32_e32 v5, 0x400, v0
	v_cmp_gt_u32_e64 s[28:29], s33, v5
                                        ; implicit-def: $vgpr5
	s_and_saveexec_b64 s[10:11], s[28:29]
	s_cbranch_execz .LBB414_13
; %bb.12:
	v_lshlrev_b32_e32 v5, 1, v0
	v_mov_b32_e32 v7, s48
	v_add_co_u32_e64 v6, s[8:9], s7, v5
	v_addc_co_u32_e64 v7, s[8:9], 0, v7, s[8:9]
	flat_load_ushort v5, v[6:7] offset:2048
.LBB414_13:
	s_or_b64 exec, exec, s[10:11]
	v_or_b32_e32 v6, 0x500, v0
	v_cmp_gt_u32_e64 s[8:9], s33, v6
                                        ; implicit-def: $vgpr6
	s_and_saveexec_b64 s[12:13], s[8:9]
	s_cbranch_execz .LBB414_15
; %bb.14:
	v_lshlrev_b32_e32 v6, 1, v0
	v_mov_b32_e32 v7, s48
	v_add_co_u32_e64 v6, s[10:11], s7, v6
	v_addc_co_u32_e64 v7, s[10:11], 0, v7, s[10:11]
	flat_load_ushort v6, v[6:7] offset:2560
.LBB414_15:
	s_or_b64 exec, exec, s[12:13]
	v_or_b32_e32 v7, 0x600, v0
	v_cmp_gt_u32_e64 s[10:11], s33, v7
                                        ; implicit-def: $vgpr14
	s_and_saveexec_b64 s[14:15], s[10:11]
	s_cbranch_execz .LBB414_17
; %bb.16:
	v_lshlrev_b32_e32 v7, 1, v0
	v_mov_b32_e32 v9, s48
	v_add_co_u32_e64 v8, s[12:13], s7, v7
	v_addc_co_u32_e64 v9, s[12:13], 0, v9, s[12:13]
	flat_load_ushort v14, v[8:9] offset:3072
.LBB414_17:
	s_or_b64 exec, exec, s[14:15]
	v_or_b32_e32 v7, 0x700, v0
	v_cmp_gt_u32_e64 s[12:13], s33, v7
                                        ; implicit-def: $vgpr15
	s_and_saveexec_b64 s[16:17], s[12:13]
	s_cbranch_execz .LBB414_19
; %bb.18:
	v_lshlrev_b32_e32 v7, 1, v0
	v_mov_b32_e32 v9, s48
	v_add_co_u32_e64 v8, s[14:15], s7, v7
	v_addc_co_u32_e64 v9, s[14:15], 0, v9, s[14:15]
	flat_load_ushort v15, v[8:9] offset:3584
.LBB414_19:
	s_or_b64 exec, exec, s[16:17]
	v_or_b32_e32 v8, 0x800, v0
	v_cmp_gt_u32_e64 s[14:15], s33, v8
                                        ; implicit-def: $vgpr16
	s_and_saveexec_b64 s[18:19], s[14:15]
	s_cbranch_execz .LBB414_21
; %bb.20:
	v_lshlrev_b32_e32 v7, 1, v8
	v_mov_b32_e32 v9, s48
	v_add_co_u32_e64 v10, s[16:17], s7, v7
	v_addc_co_u32_e64 v11, s[16:17], 0, v9, s[16:17]
	flat_load_ushort v16, v[10:11]
.LBB414_21:
	s_or_b64 exec, exec, s[18:19]
	v_or_b32_e32 v9, 0x900, v0
	v_cmp_gt_u32_e64 s[16:17], s33, v9
                                        ; implicit-def: $vgpr18
	s_and_saveexec_b64 s[20:21], s[16:17]
	s_cbranch_execz .LBB414_23
; %bb.22:
	v_lshlrev_b32_e32 v7, 1, v9
	v_mov_b32_e32 v11, s48
	v_add_co_u32_e64 v10, s[18:19], s7, v7
	v_addc_co_u32_e64 v11, s[18:19], 0, v11, s[18:19]
	flat_load_ushort v18, v[10:11]
.LBB414_23:
	s_or_b64 exec, exec, s[20:21]
	v_or_b32_e32 v10, 0xa00, v0
	v_cmp_gt_u32_e64 s[18:19], s33, v10
                                        ; implicit-def: $vgpr19
	s_and_saveexec_b64 s[22:23], s[18:19]
	s_cbranch_execz .LBB414_25
; %bb.24:
	v_lshlrev_b32_e32 v7, 1, v10
	v_mov_b32_e32 v11, s48
	v_add_co_u32_e64 v12, s[20:21], s7, v7
	v_addc_co_u32_e64 v13, s[20:21], 0, v11, s[20:21]
	flat_load_ushort v19, v[12:13]
.LBB414_25:
	s_or_b64 exec, exec, s[22:23]
	v_or_b32_e32 v11, 0xb00, v0
	v_cmp_gt_u32_e64 s[20:21], s33, v11
                                        ; implicit-def: $vgpr20
	s_and_saveexec_b64 s[24:25], s[20:21]
	s_cbranch_execz .LBB414_27
; %bb.26:
	v_lshlrev_b32_e32 v7, 1, v11
	v_mov_b32_e32 v13, s48
	v_add_co_u32_e64 v12, s[22:23], s7, v7
	v_addc_co_u32_e64 v13, s[22:23], 0, v13, s[22:23]
	flat_load_ushort v20, v[12:13]
.LBB414_27:
	s_or_b64 exec, exec, s[24:25]
	v_or_b32_e32 v12, 0xc00, v0
	v_cmp_gt_u32_e64 s[22:23], s33, v12
                                        ; implicit-def: $vgpr21
	s_and_saveexec_b64 s[26:27], s[22:23]
	s_cbranch_execz .LBB414_29
; %bb.28:
	v_lshlrev_b32_e32 v7, 1, v12
	v_mov_b32_e32 v13, s48
	v_add_co_u32_e64 v22, s[24:25], s7, v7
	v_addc_co_u32_e64 v23, s[24:25], 0, v13, s[24:25]
	flat_load_ushort v21, v[22:23]
.LBB414_29:
	s_or_b64 exec, exec, s[26:27]
	v_or_b32_e32 v13, 0xd00, v0
	v_cmp_gt_u32_e64 s[24:25], s33, v13
                                        ; implicit-def: $vgpr22
	s_and_saveexec_b64 s[30:31], s[24:25]
	s_cbranch_execz .LBB414_31
; %bb.30:
	v_lshlrev_b32_e32 v7, 1, v13
	v_mov_b32_e32 v17, s48
	v_add_co_u32_e64 v22, s[26:27], s7, v7
	v_addc_co_u32_e64 v23, s[26:27], 0, v17, s[26:27]
	flat_load_ushort v22, v[22:23]
.LBB414_31:
	s_or_b64 exec, exec, s[30:31]
	v_or_b32_e32 v17, 0xe00, v0
	v_cmp_gt_u32_e64 s[26:27], s33, v17
                                        ; implicit-def: $vgpr23
	s_and_saveexec_b64 s[36:37], s[26:27]
	s_cbranch_execz .LBB414_33
; %bb.32:
	v_lshlrev_b32_e32 v7, 1, v17
	v_mov_b32_e32 v23, s48
	v_add_co_u32_e64 v24, s[30:31], s7, v7
	v_addc_co_u32_e64 v25, s[30:31], 0, v23, s[30:31]
	flat_load_ushort v23, v[24:25]
.LBB414_33:
	s_or_b64 exec, exec, s[36:37]
	v_lshlrev_b32_e32 v7, 1, v0
	s_waitcnt vmcnt(0) lgkmcnt(0)
	ds_write_b16 v7, v1
	ds_write_b16 v7, v2 offset:512
	ds_write_b16 v7, v3 offset:1024
	;; [unrolled: 1-line block ×14, first 2 shown]
	v_mad_u32_u24 v6, v0, 28, v7
	s_waitcnt lgkmcnt(0)
	s_barrier
	ds_read_u16 v1, v6
	ds_read_b128 v[2:5], v6 offset:2
	ds_read_b96 v[14:16], v6 offset:18
	s_waitcnt lgkmcnt(0)
	s_barrier
	s_waitcnt lgkmcnt(0)
                                        ; implicit-def: $vgpr18
	s_and_saveexec_b64 s[30:31], vcc
	s_cbranch_execnz .LBB414_57
; %bb.34:
	s_or_b64 exec, exec, s[30:31]
                                        ; implicit-def: $vgpr19
	s_and_saveexec_b64 s[30:31], s[0:1]
	s_cbranch_execnz .LBB414_58
.LBB414_35:
	s_or_b64 exec, exec, s[30:31]
                                        ; implicit-def: $vgpr20
	s_and_saveexec_b64 s[0:1], s[2:3]
	s_cbranch_execnz .LBB414_59
.LBB414_36:
	s_or_b64 exec, exec, s[0:1]
                                        ; implicit-def: $vgpr21
	s_and_saveexec_b64 s[0:1], s[4:5]
	s_cbranch_execnz .LBB414_60
.LBB414_37:
	s_or_b64 exec, exec, s[0:1]
                                        ; implicit-def: $vgpr22
	s_and_saveexec_b64 s[0:1], s[28:29]
	s_cbranch_execnz .LBB414_61
.LBB414_38:
	s_or_b64 exec, exec, s[0:1]
                                        ; implicit-def: $vgpr23
	s_and_saveexec_b64 s[0:1], s[8:9]
	s_cbranch_execnz .LBB414_62
.LBB414_39:
	s_or_b64 exec, exec, s[0:1]
                                        ; implicit-def: $vgpr24
	s_and_saveexec_b64 s[0:1], s[10:11]
	s_cbranch_execnz .LBB414_63
.LBB414_40:
	s_or_b64 exec, exec, s[0:1]
                                        ; implicit-def: $vgpr25
	s_and_saveexec_b64 s[0:1], s[12:13]
	s_cbranch_execnz .LBB414_64
.LBB414_41:
	s_or_b64 exec, exec, s[0:1]
                                        ; implicit-def: $vgpr26
	s_and_saveexec_b64 s[0:1], s[14:15]
	s_cbranch_execnz .LBB414_65
.LBB414_42:
	s_or_b64 exec, exec, s[0:1]
                                        ; implicit-def: $vgpr8
	s_and_saveexec_b64 s[0:1], s[16:17]
	s_cbranch_execnz .LBB414_66
.LBB414_43:
	s_or_b64 exec, exec, s[0:1]
                                        ; implicit-def: $vgpr27
	s_and_saveexec_b64 s[0:1], s[18:19]
	s_cbranch_execnz .LBB414_67
.LBB414_44:
	s_or_b64 exec, exec, s[0:1]
                                        ; implicit-def: $vgpr10
	s_and_saveexec_b64 s[0:1], s[20:21]
	s_cbranch_execnz .LBB414_68
.LBB414_45:
	s_or_b64 exec, exec, s[0:1]
                                        ; implicit-def: $vgpr11
	s_and_saveexec_b64 s[0:1], s[22:23]
	s_cbranch_execnz .LBB414_69
.LBB414_46:
	s_or_b64 exec, exec, s[0:1]
                                        ; implicit-def: $vgpr12
	s_and_saveexec_b64 s[0:1], s[24:25]
	s_cbranch_execnz .LBB414_70
.LBB414_47:
	s_or_b64 exec, exec, s[0:1]
                                        ; implicit-def: $vgpr13
	s_and_saveexec_b64 s[0:1], s[26:27]
	s_cbranch_execz .LBB414_49
.LBB414_48:
	v_lshlrev_b32_e32 v9, 1, v17
	v_mov_b32_e32 v13, s62
	v_add_co_u32_e32 v28, vcc, s49, v9
	v_addc_co_u32_e32 v29, vcc, 0, v13, vcc
	flat_load_ushort v13, v[28:29]
.LBB414_49:
	s_or_b64 exec, exec, s[0:1]
	v_mul_u32_u24_e32 v9, 15, v0
	s_waitcnt vmcnt(0) lgkmcnt(0)
	ds_write_b16 v7, v18
	ds_write_b16 v7, v19 offset:512
	ds_write_b16 v7, v20 offset:1024
	ds_write_b16 v7, v21 offset:1536
	ds_write_b16 v7, v22 offset:2048
	ds_write_b16 v7, v23 offset:2560
	ds_write_b16 v7, v24 offset:3072
	ds_write_b16 v7, v25 offset:3584
	ds_write_b16 v7, v26 offset:4096
	ds_write_b16 v7, v8 offset:4608
	ds_write_b16 v7, v27 offset:5120
	ds_write_b16 v7, v10 offset:5632
	ds_write_b16 v7, v11 offset:6144
	ds_write_b16 v7, v12 offset:6656
	ds_write_b16 v7, v13 offset:7168
	s_waitcnt lgkmcnt(0)
	s_barrier
.LBB414_50:
	v_lshlrev_b32_e32 v7, 1, v9
	ds_read_u16 v77, v6
	ds_read_u16 v76, v6 offset:2
	ds_read_u16 v74, v6 offset:6
	;; [unrolled: 1-line block ×14, first 2 shown]
	s_cmp_eq_u64 s[38:39], 0
	s_cselect_b64 s[36:37], -1, 0
	s_cmp_lg_u64 s[38:39], 0
	s_mov_b64 s[2:3], 0
	s_cselect_b64 s[4:5], -1, 0
	s_and_b64 vcc, exec, s[40:41]
	s_waitcnt lgkmcnt(0)
	s_barrier
	s_cbranch_vccz .LBB414_56
; %bb.51:
	s_and_b64 vcc, exec, s[4:5]
	s_cbranch_vccz .LBB414_71
; %bb.52:
	v_mov_b32_e32 v7, s48
	v_add_co_u32_e64 v6, vcc, -2, s7
	v_addc_co_u32_e32 v7, vcc, -1, v7, vcc
	flat_load_ushort v6, v[6:7]
	v_lshrrev_b32_e32 v8, 16, v16
	v_lshlrev_b32_e32 v7, 1, v0
	v_cmp_ne_u16_e32 vcc, v16, v8
	v_cmp_ne_u16_sdwa s[8:9], v15, v16 src0_sel:WORD_1 src1_sel:DWORD
	v_cmp_ne_u16_sdwa s[10:11], v15, v15 src0_sel:DWORD src1_sel:WORD_1
	v_cmp_ne_u16_sdwa s[12:13], v14, v15 src0_sel:WORD_1 src1_sel:DWORD
	v_cmp_ne_u16_sdwa s[14:15], v14, v14 src0_sel:DWORD src1_sel:WORD_1
	;; [unrolled: 2-line block ×6, first 2 shown]
	v_cmp_ne_u16_e64 s[0:1], v1, v2
	v_cmp_ne_u32_e64 s[2:3], 0, v0
	ds_write_b16 v7, v8
	s_waitcnt lgkmcnt(0)
	s_barrier
	s_and_saveexec_b64 s[40:41], s[2:3]
	s_cbranch_execz .LBB414_54
; %bb.53:
	s_waitcnt vmcnt(0)
	v_add_u32_e32 v6, -2, v7
	ds_read_u16 v6, v6
.LBB414_54:
	s_or_b64 exec, exec, s[40:41]
	v_cndmask_b32_e64 v17, 0, 1, vcc
	v_cndmask_b32_e64 v54, 0, 1, s[8:9]
	v_cndmask_b32_e64 v55, 0, 1, s[10:11]
	v_cndmask_b32_e64 v56, 0, 1, s[12:13]
	v_cndmask_b32_e64 v57, 0, 1, s[14:15]
	v_cndmask_b32_e64 v58, 0, 1, s[16:17]
	v_cndmask_b32_e64 v59, 0, 1, s[18:19]
	v_cndmask_b32_e64 v60, 0, 1, s[20:21]
	v_cndmask_b32_e64 v61, 0, 1, s[22:23]
	v_cndmask_b32_e64 v62, 0, 1, s[24:25]
	v_cndmask_b32_e64 v63, 0, 1, s[26:27]
	v_cndmask_b32_e64 v64, 0, 1, s[28:29]
	v_cndmask_b32_e64 v65, 0, 1, s[30:31]
	v_cndmask_b32_e64 v66, 0, 1, s[0:1]
	s_waitcnt vmcnt(0) lgkmcnt(0)
	v_cmp_ne_u16_e64 s[0:1], v6, v1
	s_mov_b64 s[2:3], -1
.LBB414_55:
                                        ; implicit-def: $sgpr10
	s_branch .LBB414_83
.LBB414_56:
                                        ; implicit-def: $sgpr0_sgpr1
                                        ; implicit-def: $vgpr17
                                        ; implicit-def: $vgpr54
                                        ; implicit-def: $vgpr55
                                        ; implicit-def: $vgpr56
                                        ; implicit-def: $vgpr57
                                        ; implicit-def: $vgpr58
                                        ; implicit-def: $vgpr59
                                        ; implicit-def: $vgpr60
                                        ; implicit-def: $vgpr61
                                        ; implicit-def: $vgpr62
                                        ; implicit-def: $vgpr63
                                        ; implicit-def: $vgpr64
                                        ; implicit-def: $vgpr65
                                        ; implicit-def: $vgpr66
                                        ; implicit-def: $sgpr10
	s_cbranch_execnz .LBB414_75
	s_branch .LBB414_83
.LBB414_57:
	v_mov_b32_e32 v19, s62
	v_add_co_u32_e32 v18, vcc, s49, v7
	v_addc_co_u32_e32 v19, vcc, 0, v19, vcc
	flat_load_ushort v18, v[18:19]
	s_or_b64 exec, exec, s[30:31]
                                        ; implicit-def: $vgpr19
	s_and_saveexec_b64 s[30:31], s[0:1]
	s_cbranch_execz .LBB414_35
.LBB414_58:
	v_mov_b32_e32 v19, s62
	v_add_co_u32_e32 v20, vcc, s49, v7
	v_addc_co_u32_e32 v21, vcc, 0, v19, vcc
	flat_load_ushort v19, v[20:21] offset:512
	s_or_b64 exec, exec, s[30:31]
                                        ; implicit-def: $vgpr20
	s_and_saveexec_b64 s[0:1], s[2:3]
	s_cbranch_execz .LBB414_36
.LBB414_59:
	v_mov_b32_e32 v21, s62
	v_add_co_u32_e32 v20, vcc, s49, v7
	v_addc_co_u32_e32 v21, vcc, 0, v21, vcc
	flat_load_ushort v20, v[20:21] offset:1024
	s_or_b64 exec, exec, s[0:1]
                                        ; implicit-def: $vgpr21
	s_and_saveexec_b64 s[0:1], s[4:5]
	s_cbranch_execz .LBB414_37
.LBB414_60:
	v_mov_b32_e32 v21, s62
	v_add_co_u32_e32 v22, vcc, s49, v7
	v_addc_co_u32_e32 v23, vcc, 0, v21, vcc
	flat_load_ushort v21, v[22:23] offset:1536
	s_or_b64 exec, exec, s[0:1]
                                        ; implicit-def: $vgpr22
	s_and_saveexec_b64 s[0:1], s[28:29]
	s_cbranch_execz .LBB414_38
.LBB414_61:
	v_mov_b32_e32 v23, s62
	v_add_co_u32_e32 v22, vcc, s49, v7
	v_addc_co_u32_e32 v23, vcc, 0, v23, vcc
	flat_load_ushort v22, v[22:23] offset:2048
	s_or_b64 exec, exec, s[0:1]
                                        ; implicit-def: $vgpr23
	s_and_saveexec_b64 s[0:1], s[8:9]
	s_cbranch_execz .LBB414_39
.LBB414_62:
	v_mov_b32_e32 v23, s62
	v_add_co_u32_e32 v24, vcc, s49, v7
	v_addc_co_u32_e32 v25, vcc, 0, v23, vcc
	flat_load_ushort v23, v[24:25] offset:2560
	s_or_b64 exec, exec, s[0:1]
                                        ; implicit-def: $vgpr24
	s_and_saveexec_b64 s[0:1], s[10:11]
	s_cbranch_execz .LBB414_40
.LBB414_63:
	v_mov_b32_e32 v25, s62
	v_add_co_u32_e32 v24, vcc, s49, v7
	v_addc_co_u32_e32 v25, vcc, 0, v25, vcc
	flat_load_ushort v24, v[24:25] offset:3072
	s_or_b64 exec, exec, s[0:1]
                                        ; implicit-def: $vgpr25
	s_and_saveexec_b64 s[0:1], s[12:13]
	s_cbranch_execz .LBB414_41
.LBB414_64:
	v_mov_b32_e32 v25, s62
	v_add_co_u32_e32 v26, vcc, s49, v7
	v_addc_co_u32_e32 v27, vcc, 0, v25, vcc
	flat_load_ushort v25, v[26:27] offset:3584
	s_or_b64 exec, exec, s[0:1]
                                        ; implicit-def: $vgpr26
	s_and_saveexec_b64 s[0:1], s[14:15]
	s_cbranch_execz .LBB414_42
.LBB414_65:
	v_lshlrev_b32_e32 v8, 1, v8
	v_mov_b32_e32 v27, s62
	v_add_co_u32_e32 v26, vcc, s49, v8
	v_addc_co_u32_e32 v27, vcc, 0, v27, vcc
	flat_load_ushort v26, v[26:27]
	s_or_b64 exec, exec, s[0:1]
                                        ; implicit-def: $vgpr8
	s_and_saveexec_b64 s[0:1], s[16:17]
	s_cbranch_execz .LBB414_43
.LBB414_66:
	v_lshlrev_b32_e32 v8, 1, v9
	v_mov_b32_e32 v9, s62
	v_add_co_u32_e32 v8, vcc, s49, v8
	v_addc_co_u32_e32 v9, vcc, 0, v9, vcc
	flat_load_ushort v8, v[8:9]
	s_or_b64 exec, exec, s[0:1]
                                        ; implicit-def: $vgpr27
	s_and_saveexec_b64 s[0:1], s[18:19]
	s_cbranch_execz .LBB414_44
.LBB414_67:
	v_lshlrev_b32_e32 v9, 1, v10
	v_mov_b32_e32 v10, s62
	v_add_co_u32_e32 v28, vcc, s49, v9
	v_addc_co_u32_e32 v29, vcc, 0, v10, vcc
	flat_load_ushort v27, v[28:29]
	s_or_b64 exec, exec, s[0:1]
                                        ; implicit-def: $vgpr10
	s_and_saveexec_b64 s[0:1], s[20:21]
	s_cbranch_execz .LBB414_45
.LBB414_68:
	v_lshlrev_b32_e32 v9, 1, v11
	v_mov_b32_e32 v11, s62
	v_add_co_u32_e32 v10, vcc, s49, v9
	v_addc_co_u32_e32 v11, vcc, 0, v11, vcc
	flat_load_ushort v10, v[10:11]
	s_or_b64 exec, exec, s[0:1]
                                        ; implicit-def: $vgpr11
	s_and_saveexec_b64 s[0:1], s[22:23]
	s_cbranch_execz .LBB414_46
.LBB414_69:
	v_lshlrev_b32_e32 v9, 1, v12
	v_mov_b32_e32 v11, s62
	v_add_co_u32_e32 v28, vcc, s49, v9
	v_addc_co_u32_e32 v29, vcc, 0, v11, vcc
	flat_load_ushort v11, v[28:29]
	s_or_b64 exec, exec, s[0:1]
                                        ; implicit-def: $vgpr12
	s_and_saveexec_b64 s[0:1], s[24:25]
	s_cbranch_execz .LBB414_47
.LBB414_70:
	v_lshlrev_b32_e32 v9, 1, v13
	v_mov_b32_e32 v13, s62
	v_add_co_u32_e32 v12, vcc, s49, v9
	v_addc_co_u32_e32 v13, vcc, 0, v13, vcc
	flat_load_ushort v12, v[12:13]
	s_or_b64 exec, exec, s[0:1]
                                        ; implicit-def: $vgpr13
	s_and_saveexec_b64 s[0:1], s[26:27]
	s_cbranch_execnz .LBB414_48
	s_branch .LBB414_49
.LBB414_71:
                                        ; implicit-def: $sgpr0_sgpr1
                                        ; implicit-def: $vgpr17
                                        ; implicit-def: $vgpr54
                                        ; implicit-def: $vgpr55
                                        ; implicit-def: $vgpr56
                                        ; implicit-def: $vgpr57
                                        ; implicit-def: $vgpr58
                                        ; implicit-def: $vgpr59
                                        ; implicit-def: $vgpr60
                                        ; implicit-def: $vgpr61
                                        ; implicit-def: $vgpr62
                                        ; implicit-def: $vgpr63
                                        ; implicit-def: $vgpr64
                                        ; implicit-def: $vgpr65
                                        ; implicit-def: $vgpr66
	s_cbranch_execz .LBB414_55
; %bb.72:
	v_cmp_ne_u16_sdwa s[0:1], v15, v16 src0_sel:WORD_1 src1_sel:DWORD
	v_cndmask_b32_e64 v54, 0, 1, s[0:1]
	v_cmp_ne_u16_sdwa s[0:1], v15, v15 src0_sel:DWORD src1_sel:WORD_1
	v_cndmask_b32_e64 v55, 0, 1, s[0:1]
	v_cmp_ne_u16_sdwa s[0:1], v14, v15 src0_sel:WORD_1 src1_sel:DWORD
	v_cndmask_b32_e64 v56, 0, 1, s[0:1]
	v_cmp_ne_u16_sdwa s[0:1], v14, v14 src0_sel:DWORD src1_sel:WORD_1
	v_cndmask_b32_e64 v57, 0, 1, s[0:1]
	;; [unrolled: 4-line block ×4, first 2 shown]
	v_cmp_ne_u16_sdwa s[0:1], v3, v4 src0_sel:WORD_1 src1_sel:DWORD
	v_lshrrev_b32_e32 v7, 16, v16
	v_cndmask_b32_e64 v62, 0, 1, s[0:1]
	v_cmp_ne_u16_sdwa s[0:1], v3, v3 src0_sel:DWORD src1_sel:WORD_1
	v_cmp_ne_u16_e32 vcc, v16, v7
	v_cndmask_b32_e64 v63, 0, 1, s[0:1]
	v_cmp_ne_u16_sdwa s[0:1], v2, v3 src0_sel:WORD_1 src1_sel:DWORD
	v_cndmask_b32_e64 v17, 0, 1, vcc
	v_cndmask_b32_e64 v64, 0, 1, s[0:1]
	v_cmp_ne_u16_sdwa s[0:1], v2, v2 src0_sel:DWORD src1_sel:WORD_1
	v_cmp_ne_u16_e32 vcc, v1, v2
	s_mov_b32 s10, 1
	v_lshlrev_b32_e32 v6, 1, v0
	v_cndmask_b32_e64 v65, 0, 1, s[0:1]
	v_cndmask_b32_e64 v66, 0, 1, vcc
	v_cmp_ne_u32_e32 vcc, 0, v0
	ds_write_b16 v6, v7
	s_waitcnt lgkmcnt(0)
	s_barrier
	s_waitcnt lgkmcnt(0)
                                        ; implicit-def: $sgpr0_sgpr1
	s_and_saveexec_b64 s[8:9], vcc
	s_xor_b64 s[8:9], exec, s[8:9]
	s_cbranch_execz .LBB414_74
; %bb.73:
	v_add_u32_e32 v6, -2, v6
	ds_read_u16 v6, v6
	s_or_b64 s[2:3], s[2:3], exec
	s_waitcnt lgkmcnt(0)
	v_cmp_ne_u16_e32 vcc, v6, v1
	s_and_b64 s[0:1], vcc, exec
.LBB414_74:
	s_or_b64 exec, exec, s[8:9]
	s_branch .LBB414_83
.LBB414_75:
	s_mul_hi_u32 s1, s38, 0xfffff100
	s_mul_i32 s0, s39, 0xfffff100
	s_sub_i32 s1, s1, s38
	s_add_i32 s1, s1, s0
	s_mul_i32 s0, s38, 0xfffff100
	s_add_u32 s8, s0, s56
	s_addc_u32 s9, s1, s57
	s_and_b64 vcc, exec, s[4:5]
	s_cbranch_vccz .LBB414_80
; %bb.76:
	v_mov_b32_e32 v7, s48
	v_add_co_u32_e64 v6, vcc, -2, s7
	v_addc_co_u32_e32 v7, vcc, -1, v7, vcc
	flat_load_ushort v10, v[6:7]
	v_lshrrev_b32_e32 v11, 16, v16
	v_mad_u32_u24 v8, v0, 15, 14
	v_mov_b32_e32 v9, 0
	v_cmp_gt_u64_e32 vcc, s[8:9], v[8:9]
	v_cmp_ne_u16_e64 s[0:1], v16, v11
	v_mad_u32_u24 v8, v0, 15, 13
	s_and_b64 s[2:3], vcc, s[0:1]
	v_cmp_gt_u64_e32 vcc, s[8:9], v[8:9]
	v_cmp_ne_u16_sdwa s[0:1], v15, v16 src0_sel:WORD_1 src1_sel:DWORD
	v_mad_u32_u24 v8, v0, 15, 12
	s_and_b64 s[4:5], vcc, s[0:1]
	v_cmp_gt_u64_e32 vcc, s[8:9], v[8:9]
	v_cmp_ne_u16_sdwa s[0:1], v15, v15 src0_sel:DWORD src1_sel:WORD_1
	v_mad_u32_u24 v8, v0, 15, 11
	s_and_b64 s[10:11], vcc, s[0:1]
	v_cmp_gt_u64_e32 vcc, s[8:9], v[8:9]
	v_cmp_ne_u16_sdwa s[0:1], v14, v15 src0_sel:WORD_1 src1_sel:DWORD
	v_mad_u32_u24 v8, v0, 15, 10
	s_and_b64 s[12:13], vcc, s[0:1]
	v_cmp_gt_u64_e32 vcc, s[8:9], v[8:9]
	v_cmp_ne_u16_sdwa s[0:1], v14, v14 src0_sel:DWORD src1_sel:WORD_1
	;; [unrolled: 8-line block ×6, first 2 shown]
	v_mad_u32_u24 v8, v0, 15, 1
	s_and_b64 s[30:31], vcc, s[0:1]
	v_cmp_gt_u64_e32 vcc, s[8:9], v[8:9]
	v_cmp_ne_u16_e64 s[0:1], v1, v2
	v_lshlrev_b32_e32 v7, 1, v0
	v_mul_u32_u24_e32 v6, 15, v0
	s_and_b64 s[0:1], vcc, s[0:1]
	v_cmp_ne_u32_e32 vcc, 0, v0
	ds_write_b16 v7, v11
	s_waitcnt lgkmcnt(0)
	s_barrier
	s_and_saveexec_b64 s[38:39], vcc
	s_cbranch_execz .LBB414_78
; %bb.77:
	v_add_u32_e32 v7, -2, v7
	s_waitcnt vmcnt(0)
	ds_read_u16 v10, v7
.LBB414_78:
	s_or_b64 exec, exec, s[38:39]
	v_mov_b32_e32 v7, v9
	v_cndmask_b32_e64 v66, 0, 1, s[0:1]
	v_cmp_gt_u64_e32 vcc, s[8:9], v[6:7]
	s_waitcnt vmcnt(0) lgkmcnt(0)
	v_cmp_ne_u16_e64 s[0:1], v10, v1
	v_cndmask_b32_e64 v17, 0, 1, s[2:3]
	v_cndmask_b32_e64 v54, 0, 1, s[4:5]
	;; [unrolled: 1-line block ×13, first 2 shown]
	s_and_b64 s[0:1], vcc, s[0:1]
	s_mov_b64 s[2:3], -1
.LBB414_79:
                                        ; implicit-def: $sgpr10
	v_mov_b32_e32 v68, s10
	s_and_saveexec_b64 s[4:5], s[2:3]
	s_cbranch_execnz .LBB414_84
	s_branch .LBB414_85
.LBB414_80:
                                        ; implicit-def: $sgpr0_sgpr1
                                        ; implicit-def: $vgpr17
                                        ; implicit-def: $vgpr54
                                        ; implicit-def: $vgpr55
                                        ; implicit-def: $vgpr56
                                        ; implicit-def: $vgpr57
                                        ; implicit-def: $vgpr58
                                        ; implicit-def: $vgpr59
                                        ; implicit-def: $vgpr60
                                        ; implicit-def: $vgpr61
                                        ; implicit-def: $vgpr62
                                        ; implicit-def: $vgpr63
                                        ; implicit-def: $vgpr64
                                        ; implicit-def: $vgpr65
                                        ; implicit-def: $vgpr66
	s_cbranch_execz .LBB414_79
; %bb.81:
	v_lshrrev_b32_e32 v9, 16, v16
	v_mad_u32_u24 v6, v0, 15, 14
	v_mov_b32_e32 v7, 0
	v_cmp_gt_u64_e32 vcc, s[8:9], v[6:7]
	v_cmp_ne_u16_e64 s[0:1], v16, v9
	s_and_b64 s[0:1], vcc, s[0:1]
	v_mad_u32_u24 v6, v0, 15, 13
	v_cndmask_b32_e64 v17, 0, 1, s[0:1]
	v_cmp_gt_u64_e32 vcc, s[8:9], v[6:7]
	v_cmp_ne_u16_sdwa s[0:1], v15, v16 src0_sel:WORD_1 src1_sel:DWORD
	s_and_b64 s[0:1], vcc, s[0:1]
	v_mad_u32_u24 v6, v0, 15, 12
	v_cndmask_b32_e64 v54, 0, 1, s[0:1]
	v_cmp_gt_u64_e32 vcc, s[8:9], v[6:7]
	v_cmp_ne_u16_sdwa s[0:1], v15, v15 src0_sel:DWORD src1_sel:WORD_1
	s_and_b64 s[0:1], vcc, s[0:1]
	v_mad_u32_u24 v6, v0, 15, 11
	v_cndmask_b32_e64 v55, 0, 1, s[0:1]
	v_cmp_gt_u64_e32 vcc, s[8:9], v[6:7]
	v_cmp_ne_u16_sdwa s[0:1], v14, v15 src0_sel:WORD_1 src1_sel:DWORD
	s_and_b64 s[0:1], vcc, s[0:1]
	v_mad_u32_u24 v6, v0, 15, 10
	v_cndmask_b32_e64 v56, 0, 1, s[0:1]
	v_cmp_gt_u64_e32 vcc, s[8:9], v[6:7]
	v_cmp_ne_u16_sdwa s[0:1], v14, v14 src0_sel:DWORD src1_sel:WORD_1
	;; [unrolled: 10-line block ×6, first 2 shown]
	s_and_b64 s[0:1], vcc, s[0:1]
	v_mad_u32_u24 v6, v0, 15, 1
	v_cndmask_b32_e64 v65, 0, 1, s[0:1]
	v_cmp_gt_u64_e32 vcc, s[8:9], v[6:7]
	v_cmp_ne_u16_e64 s[0:1], v1, v2
	s_and_b64 s[0:1], vcc, s[0:1]
	s_mov_b32 s10, 1
	v_lshlrev_b32_e32 v8, 1, v0
	v_cndmask_b32_e64 v66, 0, 1, s[0:1]
	v_cmp_ne_u32_e32 vcc, 0, v0
	ds_write_b16 v8, v9
	s_waitcnt lgkmcnt(0)
	s_barrier
	s_waitcnt lgkmcnt(0)
                                        ; implicit-def: $sgpr0_sgpr1
	s_and_saveexec_b64 s[4:5], vcc
	s_cbranch_execz .LBB414_192
; %bb.82:
	v_add_u32_e32 v6, -2, v8
	ds_read_u16 v8, v6
	v_mul_u32_u24_e32 v6, 15, v0
	v_cmp_gt_u64_e32 vcc, s[8:9], v[6:7]
	s_or_b64 s[2:3], s[2:3], exec
	s_waitcnt lgkmcnt(0)
	v_cmp_ne_u16_e64 s[0:1], v8, v1
	s_and_b64 s[0:1], vcc, s[0:1]
	s_and_b64 s[0:1], s[0:1], exec
	s_or_b64 exec, exec, s[4:5]
.LBB414_83:
	v_mov_b32_e32 v68, s10
	s_and_saveexec_b64 s[4:5], s[2:3]
.LBB414_84:
	v_cndmask_b32_e64 v68, 0, 1, s[0:1]
.LBB414_85:
	s_or_b64 exec, exec, s[4:5]
	s_cmp_eq_u64 s[46:47], 0
	v_add3_u32 v6, v66, v68, v65
	s_cselect_b64 s[30:31], -1, 0
	s_cmp_lg_u32 s6, 0
	v_cmp_eq_u32_e64 s[24:25], 0, v66
	v_cmp_eq_u32_e64 s[22:23], 0, v65
	;; [unrolled: 1-line block ×3, first 2 shown]
	v_add3_u32 v83, v6, v64, v63
	v_cmp_eq_u32_e64 s[18:19], 0, v63
	v_cmp_eq_u32_e64 s[16:17], 0, v62
	;; [unrolled: 1-line block ×10, first 2 shown]
	v_cmp_eq_u32_e32 vcc, 0, v17
	v_mbcnt_lo_u32_b32 v82, -1, 0
	v_lshrrev_b32_e32 v80, 6, v0
	v_or_b32_e32 v81, 63, v0
	s_cbranch_scc0 .LBB414_116
; %bb.86:
	v_cndmask_b32_e64 v6, 0, v77, s[24:25]
	v_add_u16_e32 v6, v6, v76
	v_cndmask_b32_e64 v6, 0, v6, s[22:23]
	v_add_u16_e32 v6, v6, v78
	;; [unrolled: 2-line block ×11, first 2 shown]
	v_cndmask_b32_e64 v6, 0, v6, s[2:3]
	v_add3_u32 v7, v83, v62, v61
	v_add_u16_e32 v6, v6, v52
	v_add3_u32 v7, v7, v60, v59
	v_cndmask_b32_e64 v6, 0, v6, s[0:1]
	v_add3_u32 v7, v7, v58, v57
	v_add_u16_e32 v6, v6, v50
	v_add3_u32 v7, v7, v56, v55
	v_cndmask_b32_e32 v6, 0, v6, vcc
	v_add3_u32 v7, v7, v54, v17
	v_add_u16_e32 v6, v6, v79
	v_mbcnt_hi_u32_b32 v19, -1, v82
	v_and_b32_e32 v8, 15, v19
	v_mov_b32_dpp v10, v6 row_shr:1 row_mask:0xf bank_mask:0xf
	v_cmp_eq_u32_e32 vcc, 0, v7
	v_mov_b32_dpp v9, v7 row_shr:1 row_mask:0xf bank_mask:0xf
	v_cndmask_b32_e32 v10, 0, v10, vcc
	v_cmp_eq_u32_e32 vcc, 0, v8
	v_add_u16_e32 v10, v10, v6
	v_cndmask_b32_e64 v9, v9, 0, vcc
	v_add_u32_e32 v7, v9, v7
	v_cndmask_b32_e32 v6, v10, v6, vcc
	v_cmp_eq_u32_e32 vcc, 0, v7
	v_mov_b32_dpp v9, v7 row_shr:2 row_mask:0xf bank_mask:0xf
	v_mov_b32_dpp v10, v6 row_shr:2 row_mask:0xf bank_mask:0xf
	v_cndmask_b32_e32 v10, 0, v10, vcc
	v_cmp_lt_u32_e32 vcc, 1, v8
	v_add_u16_e32 v10, v10, v6
	v_cndmask_b32_e32 v9, 0, v9, vcc
	v_cndmask_b32_e32 v6, v6, v10, vcc
	v_add_u32_e32 v7, v7, v9
	v_cmp_eq_u32_e32 vcc, 0, v7
	v_mov_b32_dpp v10, v6 row_shr:4 row_mask:0xf bank_mask:0xf
	v_mov_b32_dpp v9, v7 row_shr:4 row_mask:0xf bank_mask:0xf
	v_cndmask_b32_e32 v10, 0, v10, vcc
	v_cmp_lt_u32_e32 vcc, 3, v8
	v_add_u16_e32 v10, v10, v6
	v_cndmask_b32_e32 v9, 0, v9, vcc
	v_cndmask_b32_e32 v6, v6, v10, vcc
	v_add_u32_e32 v7, v9, v7
	;; [unrolled: 9-line block ×3, first 2 shown]
	v_bfe_i32 v10, v19, 4, 1
	v_mov_b32_dpp v9, v6 row_bcast:15 row_mask:0xf bank_mask:0xf
	v_mov_b32_dpp v8, v7 row_bcast:15 row_mask:0xf bank_mask:0xf
	v_cmp_eq_u32_e32 vcc, 0, v7
	v_and_b32_e32 v11, 16, v19
	v_cndmask_b32_e32 v9, 0, v9, vcc
	v_and_b32_e32 v8, v10, v8
	v_add_u16_e32 v9, v9, v6
	v_add_u32_e32 v7, v8, v7
	v_cmp_eq_u32_e32 vcc, 0, v11
	v_cndmask_b32_e32 v8, v9, v6, vcc
	v_mov_b32_dpp v6, v7 row_bcast:31 row_mask:0xf bank_mask:0xf
	v_cmp_eq_u32_e32 vcc, 0, v7
	v_cmp_lt_u32_e64 s[26:27], 31, v19
	v_mov_b32_dpp v9, v8 row_bcast:31 row_mask:0xf bank_mask:0xf
	v_cndmask_b32_e64 v6, 0, v6, s[26:27]
	s_and_b64 vcc, s[26:27], vcc
	v_add_u32_e32 v6, v6, v7
	v_cndmask_b32_e32 v7, 0, v9, vcc
	v_add_u16_e32 v7, v7, v8
	v_cmp_eq_u32_e32 vcc, v81, v0
	v_lshlrev_b32_e32 v8, 3, v80
	s_and_saveexec_b64 s[26:27], vcc
	s_cbranch_execz .LBB414_88
; %bb.87:
	ds_write_b32 v8, v6 offset:1040
	ds_write_b16 v8, v7 offset:1044
.LBB414_88:
	s_or_b64 exec, exec, s[26:27]
	v_cmp_gt_u32_e32 vcc, 4, v0
	s_waitcnt lgkmcnt(0)
	s_barrier
	s_and_saveexec_b64 s[38:39], vcc
	s_cbranch_execz .LBB414_90
; %bb.89:
	v_lshlrev_b32_e32 v9, 3, v0
	ds_read_b64 v[10:11], v9 offset:1040
	v_and_b32_e32 v12, 3, v19
	s_mov_b32 s7, 0xffff0000
	v_cmp_lt_u32_e64 s[26:27], 1, v12
	s_waitcnt lgkmcnt(0)
	v_mov_b32_dpp v18, v11 row_shr:1 row_mask:0xf bank_mask:0xf
	v_cmp_eq_u32_e32 vcc, 0, v10
	v_mov_b32_dpp v13, v10 row_shr:1 row_mask:0xf bank_mask:0xf
	v_cndmask_b32_e32 v18, 0, v18, vcc
	v_cmp_eq_u32_e32 vcc, 0, v12
	v_add_u16_e32 v18, v18, v11
	v_cndmask_b32_e64 v13, v13, 0, vcc
	v_and_or_b32 v20, v11, s7, v18
	v_add_u32_e32 v10, v13, v10
	v_cndmask_b32_e32 v13, v18, v11, vcc
	v_cndmask_b32_e32 v11, v20, v11, vcc
	v_mov_b32_dpp v18, v10 row_shr:2 row_mask:0xf bank_mask:0xf
	v_cmp_eq_u32_e32 vcc, 0, v10
	v_mov_b32_dpp v11, v11 row_shr:2 row_mask:0xf bank_mask:0xf
	v_cndmask_b32_e64 v12, 0, v18, s[26:27]
	s_and_b64 vcc, s[26:27], vcc
	v_add_u32_e32 v10, v12, v10
	v_cndmask_b32_e32 v11, 0, v11, vcc
	v_add_u16_e32 v11, v13, v11
	ds_write_b32 v9, v10 offset:1040
	ds_write_b16 v9, v11 offset:1044
.LBB414_90:
	s_or_b64 exec, exec, s[38:39]
	v_cmp_gt_u32_e32 vcc, 64, v0
	v_cmp_lt_u32_e64 s[26:27], 63, v0
	v_mov_b32_e32 v22, 0
	v_mov_b32_e32 v23, 0
	s_waitcnt lgkmcnt(0)
	s_barrier
	s_and_saveexec_b64 s[38:39], s[26:27]
	s_cbranch_execz .LBB414_92
; %bb.91:
	ds_read_b32 v22, v8 offset:1032
	ds_read_u16 v23, v8 offset:1036
	v_cmp_eq_u32_e64 s[26:27], 0, v6
	s_waitcnt lgkmcnt(1)
	v_add_u32_e32 v8, v22, v6
	s_waitcnt lgkmcnt(0)
	v_cndmask_b32_e64 v6, 0, v23, s[26:27]
	v_add_u16_e32 v7, v6, v7
	v_mov_b32_e32 v6, v8
.LBB414_92:
	s_or_b64 exec, exec, s[38:39]
	v_add_u32_e32 v8, -1, v19
	v_and_b32_e32 v9, 64, v19
	v_cmp_lt_i32_e64 s[26:27], v8, v9
	v_cndmask_b32_e64 v8, v8, v19, s[26:27]
	v_and_b32_e32 v7, 0xffff, v7
	v_lshlrev_b32_e32 v8, 2, v8
	ds_bpermute_b32 v24, v8, v6
	ds_bpermute_b32 v25, v8, v7
	v_cmp_eq_u32_e64 s[26:27], 0, v19
	s_and_saveexec_b64 s[38:39], vcc
	s_cbranch_execz .LBB414_115
; %bb.93:
	v_mov_b32_e32 v9, 0
	ds_read_b64 v[6:7], v9 offset:1064
	s_waitcnt lgkmcnt(0)
	v_readfirstlane_b32 s7, v7
	s_and_saveexec_b64 s[40:41], s[26:27]
	s_cbranch_execz .LBB414_95
; %bb.94:
	s_add_i32 s46, s6, 64
	s_mov_b32 s47, 0
	s_lshl_b64 s[48:49], s[46:47], 4
	s_add_u32 s48, s44, s48
	s_addc_u32 s49, s45, s49
	s_and_b32 s51, s7, 0xff000000
	s_mov_b32 s50, s47
	s_and_b32 s57, s7, 0xff0000
	s_mov_b32 s56, s47
	s_or_b64 s[50:51], s[56:57], s[50:51]
	s_and_b32 s57, s7, 0xff00
	s_or_b64 s[50:51], s[50:51], s[56:57]
	s_and_b32 s57, s7, 0xff
	s_or_b64 s[46:47], s[50:51], s[56:57]
	v_mov_b32_e32 v7, s47
	v_mov_b32_e32 v8, 1
	v_pk_mov_b32 v[10:11], s[48:49], s[48:49] op_sel:[0,1]
	;;#ASMSTART
	global_store_dwordx4 v[10:11], v[6:9] off	
s_waitcnt vmcnt(0)
	;;#ASMEND
.LBB414_95:
	s_or_b64 exec, exec, s[40:41]
	v_xad_u32 v18, v19, -1, s6
	v_add_u32_e32 v8, 64, v18
	v_lshlrev_b64 v[10:11], 4, v[8:9]
	v_mov_b32_e32 v7, s45
	v_add_co_u32_e32 v20, vcc, s44, v10
	v_addc_co_u32_e32 v21, vcc, v7, v11, vcc
	;;#ASMSTART
	global_load_dwordx4 v[10:13], v[20:21] off glc	
s_waitcnt vmcnt(0)
	;;#ASMEND
	v_and_b32_e32 v7, 0xffffff, v10
	v_and_b32_e32 v8, 0xff000000, v10
	v_or_b32_e32 v7, v7, v8
	v_and_b32_e32 v8, 0xff, v11
	v_and_b32_e32 v10, 0xff00, v11
	v_or3_b32 v11, 0, v8, v10
	v_or3_b32 v10, v7, 0, 0
	v_cmp_eq_u16_sdwa s[46:47], v12, v9 src0_sel:BYTE_0 src1_sel:DWORD
	s_and_saveexec_b64 s[40:41], s[46:47]
	s_cbranch_execz .LBB414_101
; %bb.96:
	s_mov_b32 s48, 1
	s_mov_b64 s[46:47], 0
	v_mov_b32_e32 v7, 0
.LBB414_97:                             ; =>This Loop Header: Depth=1
                                        ;     Child Loop BB414_98 Depth 2
	s_max_u32 s49, s48, 1
.LBB414_98:                             ;   Parent Loop BB414_97 Depth=1
                                        ; =>  This Inner Loop Header: Depth=2
	s_add_i32 s49, s49, -1
	s_cmp_eq_u32 s49, 0
	s_sleep 1
	s_cbranch_scc0 .LBB414_98
; %bb.99:                               ;   in Loop: Header=BB414_97 Depth=1
	s_cmp_lt_u32 s48, 32
	s_cselect_b64 s[50:51], -1, 0
	s_cmp_lg_u64 s[50:51], 0
	s_addc_u32 s48, s48, 0
	;;#ASMSTART
	global_load_dwordx4 v[10:13], v[20:21] off glc	
s_waitcnt vmcnt(0)
	;;#ASMEND
	v_cmp_ne_u16_sdwa s[50:51], v12, v7 src0_sel:BYTE_0 src1_sel:DWORD
	s_or_b64 s[46:47], s[50:51], s[46:47]
	s_andn2_b64 exec, exec, s[46:47]
	s_cbranch_execnz .LBB414_97
; %bb.100:
	s_or_b64 exec, exec, s[46:47]
	v_and_b32_e32 v11, 0xffff, v11
.LBB414_101:
	s_or_b64 exec, exec, s[40:41]
	v_mov_b32_e32 v7, 2
	v_and_b32_e32 v26, 63, v19
	v_cmp_eq_u16_sdwa s[40:41], v12, v7 src0_sel:BYTE_0 src1_sel:DWORD
	v_lshlrev_b64 v[8:9], v19, -1
	v_cmp_ne_u32_e32 vcc, 63, v26
	v_and_b32_e32 v13, s41, v9
	v_addc_co_u32_e32 v21, vcc, 0, v19, vcc
	v_or_b32_e32 v13, 0x80000000, v13
	v_lshlrev_b32_e32 v27, 2, v21
	v_and_b32_e32 v20, s40, v8
	v_ffbl_b32_e32 v13, v13
	ds_bpermute_b32 v21, v27, v11
	v_add_u32_e32 v13, 32, v13
	v_ffbl_b32_e32 v20, v20
	v_min_u32_e32 v13, v20, v13
	ds_bpermute_b32 v20, v27, v10
	v_cmp_eq_u32_e32 vcc, 0, v10
	s_waitcnt lgkmcnt(1)
	v_cndmask_b32_e32 v21, 0, v21, vcc
	v_add_u16_e32 v21, v21, v11
	v_cmp_lt_u32_e32 vcc, v26, v13
	v_cndmask_b32_e32 v11, v11, v21, vcc
	s_waitcnt lgkmcnt(0)
	v_cndmask_b32_e32 v20, 0, v20, vcc
	v_cmp_gt_u32_e32 vcc, 62, v26
	v_cndmask_b32_e64 v21, 0, 1, vcc
	v_lshlrev_b32_e32 v21, 1, v21
	v_add_lshl_u32 v28, v21, v19, 2
	ds_bpermute_b32 v21, v28, v11
	v_add_u32_e32 v10, v20, v10
	ds_bpermute_b32 v20, v28, v10
	v_cmp_eq_u32_e32 vcc, 0, v10
	v_add_u32_e32 v29, 2, v26
	s_waitcnt lgkmcnt(1)
	v_cndmask_b32_e32 v21, 0, v21, vcc
	v_add_u16_e32 v21, v21, v11
	v_cmp_gt_u32_e32 vcc, v29, v13
	v_cndmask_b32_e32 v11, v21, v11, vcc
	s_waitcnt lgkmcnt(0)
	v_cndmask_b32_e64 v20, v20, 0, vcc
	v_cmp_gt_u32_e32 vcc, 60, v26
	v_cndmask_b32_e64 v21, 0, 1, vcc
	v_lshlrev_b32_e32 v21, 2, v21
	v_add_lshl_u32 v30, v21, v19, 2
	ds_bpermute_b32 v21, v30, v11
	v_add_u32_e32 v10, v10, v20
	ds_bpermute_b32 v20, v30, v10
	v_cmp_eq_u32_e32 vcc, 0, v10
	v_add_u32_e32 v31, 4, v26
	s_waitcnt lgkmcnt(1)
	v_cndmask_b32_e32 v21, 0, v21, vcc
	v_add_u16_e32 v21, v11, v21
	v_cmp_gt_u32_e32 vcc, v31, v13
	v_cndmask_b32_e32 v11, v21, v11, vcc
	s_waitcnt lgkmcnt(0)
	v_cndmask_b32_e64 v20, v20, 0, vcc
	;; [unrolled: 16-line block ×4, first 2 shown]
	v_cmp_gt_u32_e32 vcc, 32, v26
	v_cndmask_b32_e64 v21, 0, 1, vcc
	v_lshlrev_b32_e32 v21, 5, v21
	v_add_lshl_u32 v38, v21, v19, 2
	ds_bpermute_b32 v19, v38, v11
	v_add_u32_e32 v10, v10, v20
	ds_bpermute_b32 v20, v38, v10
	v_add_u32_e32 v39, 32, v26
	v_cmp_eq_u32_e32 vcc, 0, v10
	s_waitcnt lgkmcnt(1)
	v_cndmask_b32_e32 v19, 0, v19, vcc
	v_cmp_gt_u32_e32 vcc, v39, v13
	v_cndmask_b32_e64 v13, v19, 0, vcc
	v_add_u16_e32 v11, v11, v13
	s_waitcnt lgkmcnt(0)
	v_cndmask_b32_e64 v13, v20, 0, vcc
	v_add_u32_e32 v10, v13, v10
	v_mov_b32_e32 v19, 0
	s_branch .LBB414_103
.LBB414_102:                            ;   in Loop: Header=BB414_103 Depth=1
	s_or_b64 exec, exec, s[40:41]
	v_cmp_eq_u16_sdwa s[40:41], v12, v7 src0_sel:BYTE_0 src1_sel:DWORD
	ds_bpermute_b32 v21, v27, v11
	v_and_b32_e32 v13, s41, v9
	v_or_b32_e32 v13, 0x80000000, v13
	v_and_b32_e32 v20, s40, v8
	v_ffbl_b32_e32 v13, v13
	v_add_u32_e32 v13, 32, v13
	v_ffbl_b32_e32 v20, v20
	v_cmp_eq_u32_e32 vcc, 0, v10
	v_min_u32_e32 v13, v20, v13
	ds_bpermute_b32 v20, v27, v10
	s_waitcnt lgkmcnt(1)
	v_cndmask_b32_e32 v21, 0, v21, vcc
	v_add_u16_e32 v21, v21, v11
	v_cmp_lt_u32_e32 vcc, v26, v13
	v_cndmask_b32_e32 v11, v11, v21, vcc
	ds_bpermute_b32 v21, v28, v11
	s_waitcnt lgkmcnt(1)
	v_cndmask_b32_e32 v20, 0, v20, vcc
	v_add_u32_e32 v10, v20, v10
	v_cmp_eq_u32_e32 vcc, 0, v10
	ds_bpermute_b32 v20, v28, v10
	s_waitcnt lgkmcnt(1)
	v_cndmask_b32_e32 v21, 0, v21, vcc
	v_add_u16_e32 v21, v21, v11
	v_cmp_gt_u32_e32 vcc, v29, v13
	v_cndmask_b32_e32 v11, v21, v11, vcc
	ds_bpermute_b32 v21, v30, v11
	s_waitcnt lgkmcnt(1)
	v_cndmask_b32_e64 v20, v20, 0, vcc
	v_add_u32_e32 v10, v10, v20
	v_cmp_eq_u32_e32 vcc, 0, v10
	ds_bpermute_b32 v20, v30, v10
	s_waitcnt lgkmcnt(1)
	v_cndmask_b32_e32 v21, 0, v21, vcc
	v_add_u16_e32 v21, v11, v21
	v_cmp_gt_u32_e32 vcc, v31, v13
	v_cndmask_b32_e32 v11, v21, v11, vcc
	ds_bpermute_b32 v21, v32, v11
	s_waitcnt lgkmcnt(1)
	v_cndmask_b32_e64 v20, v20, 0, vcc
	v_add_u32_e32 v10, v10, v20
	ds_bpermute_b32 v20, v32, v10
	v_cmp_eq_u32_e32 vcc, 0, v10
	s_waitcnt lgkmcnt(1)
	v_cndmask_b32_e32 v21, 0, v21, vcc
	v_add_u16_e32 v21, v11, v21
	v_cmp_gt_u32_e32 vcc, v33, v13
	v_cndmask_b32_e32 v11, v21, v11, vcc
	ds_bpermute_b32 v21, v35, v11
	s_waitcnt lgkmcnt(1)
	v_cndmask_b32_e64 v20, v20, 0, vcc
	v_add_u32_e32 v10, v10, v20
	ds_bpermute_b32 v20, v35, v10
	v_cmp_eq_u32_e32 vcc, 0, v10
	;; [unrolled: 11-line block ×3, first 2 shown]
	s_waitcnt lgkmcnt(1)
	v_cndmask_b32_e32 v21, 0, v21, vcc
	v_cmp_gt_u32_e32 vcc, v39, v13
	v_cndmask_b32_e64 v13, v21, 0, vcc
	v_add_u16_e32 v11, v11, v13
	s_waitcnt lgkmcnt(0)
	v_cndmask_b32_e64 v13, v20, 0, vcc
	v_cmp_eq_u32_e32 vcc, 0, v36
	v_cndmask_b32_e32 v11, 0, v11, vcc
	v_subrev_u32_e32 v18, 64, v18
	v_add3_u32 v10, v10, v36, v13
	v_add_u16_e32 v11, v11, v34
.LBB414_103:                            ; =>This Loop Header: Depth=1
                                        ;     Child Loop BB414_106 Depth 2
                                        ;       Child Loop BB414_107 Depth 3
	v_cmp_ne_u16_sdwa s[40:41], v12, v7 src0_sel:BYTE_0 src1_sel:DWORD
	v_mov_b32_e32 v34, v11
	v_cndmask_b32_e64 v11, 0, 1, s[40:41]
	;;#ASMSTART
	;;#ASMEND
	v_cmp_ne_u32_e32 vcc, 0, v11
	s_cmp_lg_u64 vcc, exec
	v_mov_b32_e32 v36, v10
	s_cbranch_scc1 .LBB414_110
; %bb.104:                              ;   in Loop: Header=BB414_103 Depth=1
	v_lshlrev_b64 v[10:11], 4, v[18:19]
	v_mov_b32_e32 v12, s45
	v_add_co_u32_e32 v20, vcc, s44, v10
	v_addc_co_u32_e32 v21, vcc, v12, v11, vcc
	;;#ASMSTART
	global_load_dwordx4 v[10:13], v[20:21] off glc	
s_waitcnt vmcnt(0)
	;;#ASMEND
	v_and_b32_e32 v13, 0xffffff, v10
	v_and_b32_e32 v10, 0xff000000, v10
	v_or_b32_e32 v10, v13, v10
	v_and_b32_e32 v13, 0xff, v11
	v_and_b32_e32 v11, 0xff00, v11
	v_or3_b32 v11, 0, v13, v11
	v_or3_b32 v10, v10, 0, 0
	v_cmp_eq_u16_sdwa s[46:47], v12, v19 src0_sel:BYTE_0 src1_sel:DWORD
	s_and_saveexec_b64 s[40:41], s[46:47]
	s_cbranch_execz .LBB414_102
; %bb.105:                              ;   in Loop: Header=BB414_103 Depth=1
	s_mov_b32 s48, 1
	s_mov_b64 s[46:47], 0
.LBB414_106:                            ;   Parent Loop BB414_103 Depth=1
                                        ; =>  This Loop Header: Depth=2
                                        ;       Child Loop BB414_107 Depth 3
	s_max_u32 s49, s48, 1
.LBB414_107:                            ;   Parent Loop BB414_103 Depth=1
                                        ;     Parent Loop BB414_106 Depth=2
                                        ; =>    This Inner Loop Header: Depth=3
	s_add_i32 s49, s49, -1
	s_cmp_eq_u32 s49, 0
	s_sleep 1
	s_cbranch_scc0 .LBB414_107
; %bb.108:                              ;   in Loop: Header=BB414_106 Depth=2
	s_cmp_lt_u32 s48, 32
	s_cselect_b64 s[50:51], -1, 0
	s_cmp_lg_u64 s[50:51], 0
	s_addc_u32 s48, s48, 0
	;;#ASMSTART
	global_load_dwordx4 v[10:13], v[20:21] off glc	
s_waitcnt vmcnt(0)
	;;#ASMEND
	v_cmp_ne_u16_sdwa s[50:51], v12, v19 src0_sel:BYTE_0 src1_sel:DWORD
	s_or_b64 s[46:47], s[50:51], s[46:47]
	s_andn2_b64 exec, exec, s[46:47]
	s_cbranch_execnz .LBB414_106
; %bb.109:                              ;   in Loop: Header=BB414_103 Depth=1
	s_or_b64 exec, exec, s[46:47]
	v_and_b32_e32 v11, 0xffff, v11
	s_branch .LBB414_102
.LBB414_110:                            ;   in Loop: Header=BB414_103 Depth=1
                                        ; implicit-def: $vgpr11
                                        ; implicit-def: $vgpr10
                                        ; implicit-def: $vgpr12
	s_cbranch_execz .LBB414_103
; %bb.111:
	s_and_saveexec_b64 s[40:41], s[26:27]
	s_cbranch_execz .LBB414_113
; %bb.112:
	s_mov_b32 s47, 0
	v_cmp_eq_u32_e32 vcc, 0, v6
	s_add_i32 s46, s6, 64
	v_cndmask_b32_e32 v7, 0, v34, vcc
	s_lshl_b64 s[46:47], s[46:47], 4
	v_add_u16_e32 v7, s7, v7
	s_add_u32 s46, s44, s46
	s_addc_u32 s47, s45, s47
	v_and_b32_e32 v9, 0xff00, v7
	v_add_u32_e32 v8, v36, v6
	v_mov_b32_e32 v11, 0
	v_or_b32_sdwa v9, v9, v7 dst_sel:DWORD dst_unused:UNUSED_PAD src0_sel:DWORD src1_sel:BYTE_0
	v_mov_b32_e32 v10, 2
	v_pk_mov_b32 v[12:13], s[46:47], s[46:47] op_sel:[0,1]
	;;#ASMSTART
	global_store_dwordx4 v[12:13], v[8:11] off	
s_waitcnt vmcnt(0)
	;;#ASMEND
	v_mov_b32_e32 v7, s7
	s_movk_i32 s6, 0x400
	ds_write_b16 v11, v7 offset:1028
	v_add_u32_e64 v7, s6, 0
	ds_write2_b32 v7, v6, v36 offset1:2
	ds_write_b16 v11, v34 offset:1036
.LBB414_113:
	s_or_b64 exec, exec, s[40:41]
	v_cmp_eq_u32_e32 vcc, 0, v0
	s_and_b64 exec, exec, vcc
	s_cbranch_execz .LBB414_115
; %bb.114:
	v_mov_b32_e32 v6, 0
	ds_write_b32 v6, v36 offset:1064
	ds_write_b16 v6, v34 offset:1068
.LBB414_115:
	s_or_b64 exec, exec, s[38:39]
	v_mov_b32_e32 v8, 0
	s_waitcnt lgkmcnt(0)
	s_barrier
	ds_read_b64 v[6:7], v8 offset:1064
	v_cndmask_b32_e64 v10, v24, v22, s[26:27]
	v_cmp_eq_u32_e32 vcc, 0, v10
	v_cndmask_b32_e64 v9, v25, v23, s[26:27]
	s_waitcnt lgkmcnt(0)
	v_cndmask_b32_e32 v11, 0, v7, vcc
	v_add_u16_e32 v9, v11, v9
	v_cmp_eq_u32_e32 vcc, 0, v0
	v_cndmask_b32_e32 v7, v9, v7, vcc
	v_cndmask_b32_e64 v9, v10, 0, vcc
	v_cmp_eq_u32_e32 vcc, 0, v68
	v_add_u32_e32 v48, v6, v9
	v_cndmask_b32_e32 v6, 0, v7, vcc
	v_add_u16_e32 v47, v6, v77
	v_cndmask_b32_e64 v6, 0, v47, s[24:25]
	v_add_u16_e32 v45, v6, v76
	v_cndmask_b32_e64 v6, 0, v45, s[22:23]
	;; [unrolled: 2-line block ×8, first 2 shown]
	v_add_u32_e32 v46, v48, v68
	v_add_u16_e32 v31, v6, v71
	v_add_u32_e32 v44, v46, v66
	v_cndmask_b32_e64 v6, 0, v31, s[8:9]
	v_add_u32_e32 v42, v44, v65
	v_add_u16_e32 v29, v6, v53
	v_add_u32_e32 v40, v42, v64
	v_cndmask_b32_e64 v6, 0, v29, s[28:29]
	;; [unrolled: 4-line block ×3, first 2 shown]
	v_and_b32_e32 v49, 0xffff, v7
	v_add_u32_e32 v34, v36, v61
	v_add_u16_e32 v25, v6, v51
	s_barrier
	ds_read_b128 v[6:9], v8 offset:1024
	v_add_u32_e32 v32, v34, v60
	v_add_u32_e32 v30, v32, v59
	;; [unrolled: 1-line block ×4, first 2 shown]
	v_cndmask_b32_e64 v10, 0, v25, s[2:3]
	v_add_u32_e32 v24, v26, v56
	v_add_u16_e32 v23, v10, v52
	s_waitcnt lgkmcnt(0)
	v_cmp_eq_u32_e32 vcc, 0, v6
	v_add_u32_e32 v22, v24, v55
	v_cndmask_b32_e64 v10, 0, v23, s[0:1]
	v_cndmask_b32_e32 v9, 0, v9, vcc
	v_add_u32_e32 v20, v22, v54
	v_add_u16_e32 v21, v10, v50
	v_add_u32_e32 v67, v9, v7
	s_branch .LBB414_128
.LBB414_116:
                                        ; implicit-def: $vgpr6
                                        ; implicit-def: $vgpr67
                                        ; implicit-def: $vgpr48_vgpr49
                                        ; implicit-def: $vgpr46_vgpr47
                                        ; implicit-def: $vgpr44_vgpr45
                                        ; implicit-def: $vgpr42_vgpr43
                                        ; implicit-def: $vgpr40_vgpr41
                                        ; implicit-def: $vgpr38_vgpr39
                                        ; implicit-def: $vgpr36_vgpr37
                                        ; implicit-def: $vgpr34_vgpr35
                                        ; implicit-def: $vgpr32_vgpr33
                                        ; implicit-def: $vgpr30_vgpr31
                                        ; implicit-def: $vgpr28_vgpr29
                                        ; implicit-def: $vgpr26_vgpr27
                                        ; implicit-def: $vgpr24_vgpr25
                                        ; implicit-def: $vgpr22_vgpr23
                                        ; implicit-def: $vgpr20_vgpr21
	s_cbranch_execz .LBB414_128
; %bb.117:
	s_and_b64 s[0:1], s[30:31], exec
	s_cselect_b32 s1, 0, s61
	s_cselect_b32 s0, 0, s60
	s_cmp_eq_u64 s[0:1], 0
	v_mov_b32_e32 v7, v77
	s_cbranch_scc1 .LBB414_119
; %bb.118:
	v_mov_b32_e32 v6, 0
	global_load_ushort v7, v6, s[0:1]
.LBB414_119:
	v_cmp_eq_u32_e64 s[0:1], 0, v66
	v_cndmask_b32_e64 v6, 0, v77, s[0:1]
	v_add_u16_e32 v6, v6, v76
	v_cmp_eq_u32_e64 s[2:3], 0, v65
	v_cndmask_b32_e64 v6, 0, v6, s[2:3]
	v_add_u16_e32 v6, v6, v78
	;; [unrolled: 3-line block ×11, first 2 shown]
	v_cmp_eq_u32_e64 s[22:23], 0, v55
	v_cndmask_b32_e64 v6, 0, v6, s[22:23]
	v_add3_u32 v8, v83, v62, v61
	v_add_u16_e32 v6, v6, v52
	v_cmp_eq_u32_e32 vcc, 0, v54
	v_add3_u32 v8, v8, v60, v59
	v_cndmask_b32_e32 v6, 0, v6, vcc
	v_add3_u32 v8, v8, v58, v57
	v_add_u16_e32 v6, v6, v50
	v_cmp_eq_u32_e64 s[24:25], 0, v17
	v_add3_u32 v8, v8, v56, v55
	v_cndmask_b32_e64 v6, 0, v6, s[24:25]
	v_add3_u32 v8, v8, v54, v17
	v_add_u16_e32 v9, v6, v79
	v_mbcnt_hi_u32_b32 v6, -1, v82
	v_and_b32_e32 v10, 15, v6
	v_mov_b32_dpp v12, v9 row_shr:1 row_mask:0xf bank_mask:0xf
	v_cmp_eq_u32_e64 s[24:25], 0, v8
	v_mov_b32_dpp v11, v8 row_shr:1 row_mask:0xf bank_mask:0xf
	v_cndmask_b32_e64 v12, 0, v12, s[24:25]
	v_cmp_eq_u32_e64 s[24:25], 0, v10
	v_add_u16_e32 v12, v12, v9
	v_cndmask_b32_e64 v11, v11, 0, s[24:25]
	v_add_u32_e32 v8, v11, v8
	v_cndmask_b32_e64 v9, v12, v9, s[24:25]
	v_cmp_eq_u32_e64 s[24:25], 0, v8
	v_mov_b32_dpp v11, v8 row_shr:2 row_mask:0xf bank_mask:0xf
	v_mov_b32_dpp v12, v9 row_shr:2 row_mask:0xf bank_mask:0xf
	v_cndmask_b32_e64 v12, 0, v12, s[24:25]
	v_cmp_lt_u32_e64 s[24:25], 1, v10
	v_add_u16_e32 v12, v12, v9
	v_cndmask_b32_e64 v11, 0, v11, s[24:25]
	v_cndmask_b32_e64 v9, v9, v12, s[24:25]
	v_add_u32_e32 v8, v8, v11
	v_cmp_eq_u32_e64 s[24:25], 0, v8
	v_mov_b32_dpp v12, v9 row_shr:4 row_mask:0xf bank_mask:0xf
	v_mov_b32_dpp v11, v8 row_shr:4 row_mask:0xf bank_mask:0xf
	v_cndmask_b32_e64 v12, 0, v12, s[24:25]
	v_cmp_lt_u32_e64 s[24:25], 3, v10
	v_add_u16_e32 v12, v12, v9
	v_cndmask_b32_e64 v11, 0, v11, s[24:25]
	v_cndmask_b32_e64 v9, v9, v12, s[24:25]
	v_add_u32_e32 v8, v11, v8
	;; [unrolled: 9-line block ×3, first 2 shown]
	v_bfe_i32 v12, v6, 4, 1
	v_mov_b32_dpp v11, v9 row_bcast:15 row_mask:0xf bank_mask:0xf
	v_mov_b32_dpp v10, v8 row_bcast:15 row_mask:0xf bank_mask:0xf
	v_cmp_eq_u32_e64 s[24:25], 0, v8
	v_and_b32_e32 v13, 16, v6
	v_cndmask_b32_e64 v11, 0, v11, s[24:25]
	v_and_b32_e32 v10, v12, v10
	v_add_u16_e32 v11, v11, v9
	v_add_u32_e32 v8, v10, v8
	v_cmp_eq_u32_e64 s[24:25], 0, v13
	v_cndmask_b32_e64 v9, v11, v9, s[24:25]
	v_mov_b32_dpp v10, v8 row_bcast:31 row_mask:0xf bank_mask:0xf
	v_cmp_eq_u32_e64 s[24:25], 0, v8
	v_cmp_lt_u32_e64 s[26:27], 31, v6
	v_mov_b32_dpp v11, v9 row_bcast:31 row_mask:0xf bank_mask:0xf
	v_cndmask_b32_e64 v10, 0, v10, s[26:27]
	s_and_b64 s[24:25], s[26:27], s[24:25]
	v_add_u32_e32 v8, v10, v8
	v_cndmask_b32_e64 v10, 0, v11, s[24:25]
	v_add_u16_e32 v9, v10, v9
	v_cmp_eq_u32_e64 s[24:25], v81, v0
	s_and_saveexec_b64 s[26:27], s[24:25]
	s_cbranch_execz .LBB414_121
; %bb.120:
	v_lshlrev_b32_e32 v10, 3, v80
	ds_write_b32 v10, v8 offset:1040
	ds_write_b16 v10, v9 offset:1044
.LBB414_121:
	s_or_b64 exec, exec, s[26:27]
	v_cmp_gt_u32_e64 s[24:25], 4, v0
	s_waitcnt lgkmcnt(0)
	s_barrier
	s_and_saveexec_b64 s[28:29], s[24:25]
	s_cbranch_execz .LBB414_123
; %bb.122:
	v_lshlrev_b32_e32 v12, 3, v0
	ds_read_b64 v[10:11], v12 offset:1040
	v_and_b32_e32 v13, 3, v6
	s_mov_b32 s26, 0xffff0000
	s_waitcnt lgkmcnt(0)
	v_mov_b32_dpp v19, v11 row_shr:1 row_mask:0xf bank_mask:0xf
	v_cmp_eq_u32_e64 s[24:25], 0, v10
	v_mov_b32_dpp v18, v10 row_shr:1 row_mask:0xf bank_mask:0xf
	v_cndmask_b32_e64 v19, 0, v19, s[24:25]
	v_cmp_eq_u32_e64 s[24:25], 0, v13
	v_add_u16_e32 v19, v19, v11
	v_cndmask_b32_e64 v18, v18, 0, s[24:25]
	v_and_or_b32 v20, v11, s26, v19
	v_add_u32_e32 v10, v18, v10
	v_cndmask_b32_e64 v18, v19, v11, s[24:25]
	v_cndmask_b32_e64 v11, v20, v11, s[24:25]
	v_mov_b32_dpp v19, v10 row_shr:2 row_mask:0xf bank_mask:0xf
	v_cmp_eq_u32_e64 s[24:25], 0, v10
	v_cmp_lt_u32_e64 s[26:27], 1, v13
	v_mov_b32_dpp v11, v11 row_shr:2 row_mask:0xf bank_mask:0xf
	v_cndmask_b32_e64 v13, 0, v19, s[26:27]
	s_and_b64 s[24:25], s[26:27], s[24:25]
	v_add_u32_e32 v10, v13, v10
	v_cndmask_b32_e64 v11, 0, v11, s[24:25]
	v_add_u16_e32 v11, v18, v11
	ds_write_b32 v12, v10 offset:1040
	ds_write_b16 v12, v11 offset:1044
.LBB414_123:
	s_or_b64 exec, exec, s[28:29]
	v_cmp_lt_u32_e64 s[24:25], 63, v0
	v_mov_b32_e32 v10, 0
	v_mov_b32_e32 v11, 0
	s_waitcnt vmcnt(0)
	v_mov_b32_e32 v12, v7
	s_waitcnt lgkmcnt(0)
	s_barrier
	s_and_saveexec_b64 s[26:27], s[24:25]
	s_cbranch_execz .LBB414_125
; %bb.124:
	v_lshlrev_b32_e32 v12, 3, v80
	ds_read_b32 v11, v12 offset:1032
	ds_read_u16 v12, v12 offset:1036
	s_waitcnt lgkmcnt(1)
	v_cmp_eq_u32_e64 s[24:25], 0, v11
	v_cndmask_b32_e64 v13, 0, v7, s[24:25]
	s_waitcnt lgkmcnt(0)
	v_add_u16_e32 v12, v13, v12
.LBB414_125:
	s_or_b64 exec, exec, s[26:27]
	v_cmp_eq_u32_e64 s[24:25], 0, v8
	v_add_u32_e32 v13, v11, v8
	v_cndmask_b32_e64 v8, 0, v12, s[24:25]
	v_add_u16_e32 v8, v8, v9
	v_add_u32_e32 v9, -1, v6
	v_and_b32_e32 v18, 64, v6
	v_cmp_lt_i32_e64 s[24:25], v9, v18
	v_cndmask_b32_e64 v9, v9, v6, s[24:25]
	v_lshlrev_b32_e32 v9, 2, v9
	ds_bpermute_b32 v13, v9, v13
	ds_bpermute_b32 v8, v9, v8
	v_cmp_eq_u32_e64 s[24:25], 0, v6
	v_cmp_eq_u32_e64 s[26:27], 0, v68
	s_waitcnt lgkmcnt(1)
	v_cndmask_b32_e64 v6, v13, v11, s[24:25]
	s_waitcnt lgkmcnt(0)
	v_cndmask_b32_e64 v8, v8, v12, s[24:25]
	v_cmp_eq_u32_e64 s[24:25], 0, v0
	v_cndmask_b32_e64 v8, v8, v7, s[24:25]
	v_cndmask_b32_e64 v48, v6, 0, s[24:25]
	;; [unrolled: 1-line block ×3, first 2 shown]
	v_add_u16_e32 v47, v6, v77
	v_cndmask_b32_e64 v6, 0, v47, s[0:1]
	v_add_u16_e32 v45, v6, v76
	v_cndmask_b32_e64 v6, 0, v45, s[2:3]
	;; [unrolled: 2-line block ×9, first 2 shown]
	v_add_u32_e32 v46, v48, v68
	v_add_u16_e32 v29, v6, v53
	v_add_u32_e32 v44, v46, v66
	v_cndmask_b32_e64 v6, 0, v29, s[18:19]
	v_add_u32_e32 v42, v44, v65
	v_add_u16_e32 v27, v6, v69
	v_add_u32_e32 v40, v42, v64
	v_cndmask_b32_e64 v6, 0, v27, s[20:21]
	;; [unrolled: 4-line block ×3, first 2 shown]
	v_add_u32_e32 v34, v36, v61
	v_add_u16_e32 v23, v6, v52
	ds_read_b32 v6, v10 offset:1064
	v_add_u32_e32 v32, v34, v60
	v_and_b32_e32 v49, 0xffff, v8
	ds_read_u16 v8, v10 offset:1068
	v_add_u32_e32 v30, v32, v59
	v_add_u32_e32 v28, v30, v58
	;; [unrolled: 1-line block ×4, first 2 shown]
	v_cndmask_b32_e32 v9, 0, v23, vcc
	s_waitcnt lgkmcnt(1)
	v_cmp_eq_u32_e32 vcc, 0, v6
	v_add_u32_e32 v22, v24, v55
	v_cndmask_b32_e32 v7, 0, v7, vcc
	v_add_u32_e32 v20, v22, v54
	v_add_u16_e32 v21, v9, v50
	s_waitcnt lgkmcnt(0)
	v_add_u16_e32 v67, v7, v8
	s_and_saveexec_b64 s[0:1], s[24:25]
	s_cbranch_execz .LBB414_127
; %bb.126:
	s_add_u32 s2, s44, 0x400
	s_addc_u32 s3, s45, 0
	v_and_b32_e32 v7, 0xff00, v67
	v_mov_b32_e32 v9, 0
	v_or_b32_sdwa v7, v7, v67 dst_sel:DWORD dst_unused:UNUSED_PAD src0_sel:DWORD src1_sel:BYTE_0
	v_mov_b32_e32 v8, 2
	v_pk_mov_b32 v[10:11], s[2:3], s[2:3] op_sel:[0,1]
	;;#ASMSTART
	global_store_dwordx4 v[10:11], v[6:9] off	
s_waitcnt vmcnt(0)
	;;#ASMEND
.LBB414_127:
	s_or_b64 exec, exec, s[0:1]
	v_mov_b32_e32 v8, 0
.LBB414_128:
	s_and_b64 s[0:1], s[30:31], exec
	s_cselect_b32 s1, 0, s59
	s_cselect_b32 s0, 0, s58
	s_cmp_eq_u64 s[0:1], 0
	v_pk_mov_b32 v[18:19], 0, 0
	s_barrier
	s_cbranch_scc1 .LBB414_130
; %bb.129:
	v_mov_b32_e32 v7, 0
	global_load_dwordx2 v[18:19], v7, s[0:1]
.LBB414_130:
	s_waitcnt vmcnt(0)
	v_lshlrev_b64 v[50:51], 1, v[18:19]
	v_mov_b32_e32 v7, s43
	v_add_co_u32_e32 v10, vcc, s42, v50
	v_mov_b32_e32 v9, 0
	v_addc_co_u32_e32 v11, vcc, v7, v51, vcc
	v_lshlrev_b64 v[52:53], 1, v[8:9]
	v_add_co_u32_e32 v7, vcc, v10, v52
	v_addc_co_u32_e32 v9, vcc, v11, v53, vcc
	v_cmp_eq_u32_e32 vcc, 0, v68
	v_cndmask_b32_e64 v10, 1, 2, vcc
	v_cmp_eq_u32_e32 vcc, 0, v66
	v_cndmask_b32_e64 v11, 1, 2, vcc
	v_cmp_eq_u32_e32 vcc, 0, v65
	v_and_b32_e32 v10, v11, v10
	v_cndmask_b32_e64 v11, 1, 2, vcc
	v_cmp_eq_u32_e32 vcc, 0, v64
	v_and_b32_e32 v10, v10, v11
	;; [unrolled: 3-line block ×13, first 2 shown]
	v_cndmask_b32_e64 v11, 1, 2, vcc
	s_movk_i32 s30, 0x100
	v_and_b32_e32 v10, v10, v11
	v_cmp_gt_u32_e32 vcc, s30, v6
	v_cmp_ne_u32_e64 s[28:29], 0, v68
	v_cmp_ne_u32_e64 s[26:27], 0, v66
	;; [unrolled: 1-line block ×15, first 2 shown]
	s_mov_b64 s[38:39], -1
	v_cmp_gt_i16_e64 s[30:31], 2, v10
	s_cbranch_vccz .LBB414_137
; %bb.131:
	s_and_saveexec_b64 s[38:39], s[30:31]
	s_cbranch_execz .LBB414_136
; %bb.132:
	v_cmp_ne_u16_e32 vcc, 1, v10
	s_mov_b64 s[40:41], 0
	s_and_saveexec_b64 s[30:31], vcc
	s_xor_b64 s[30:31], exec, s[30:31]
	s_cbranch_execnz .LBB414_193
; %bb.133:
	s_andn2_saveexec_b64 s[30:31], s[30:31]
	s_cbranch_execnz .LBB414_209
.LBB414_134:
	s_or_b64 exec, exec, s[30:31]
	s_and_b64 exec, exec, s[40:41]
	s_cbranch_execz .LBB414_136
.LBB414_135:
	v_sub_u32_e32 v12, v20, v8
	v_mov_b32_e32 v13, 0
	v_lshlrev_b64 v[12:13], 1, v[12:13]
	v_add_co_u32_e32 v12, vcc, v7, v12
	v_addc_co_u32_e32 v13, vcc, v9, v13, vcc
	global_store_short_d16_hi v[12:13], v16, off
.LBB414_136:
	s_or_b64 exec, exec, s[38:39]
	s_mov_b64 s[38:39], 0
.LBB414_137:
	s_and_b64 vcc, exec, s[38:39]
	s_cbranch_vccz .LBB414_159
; %bb.138:
	v_cmp_gt_i16_e32 vcc, 2, v10
	s_and_saveexec_b64 s[30:31], vcc
	s_cbranch_execz .LBB414_143
; %bb.139:
	v_cmp_ne_u16_e32 vcc, 1, v10
	s_mov_b64 s[40:41], 0
	s_and_saveexec_b64 s[38:39], vcc
	s_xor_b64 s[38:39], exec, s[38:39]
	s_cbranch_execnz .LBB414_210
; %bb.140:
	s_andn2_saveexec_b64 s[0:1], s[38:39]
	s_cbranch_execnz .LBB414_226
.LBB414_141:
	s_or_b64 exec, exec, s[0:1]
	s_and_b64 exec, exec, s[40:41]
	s_cbranch_execz .LBB414_143
.LBB414_142:
	v_sub_u32_e32 v1, v20, v8
	v_lshlrev_b32_e32 v1, 1, v1
	ds_write_b16_d16_hi v1, v16
.LBB414_143:
	s_or_b64 exec, exec, s[30:31]
	v_cmp_lt_u32_e32 vcc, v0, v6
	s_waitcnt lgkmcnt(0)
	s_barrier
	s_and_saveexec_b64 s[2:3], vcc
	s_cbranch_execz .LBB414_158
; %bb.144:
	v_xad_u32 v1, v0, -1, v6
	s_movk_i32 s0, 0x1700
	v_cmp_gt_u32_e64 s[4:5], s0, v1
	s_movk_i32 s0, 0x16ff
	v_cmp_lt_u32_e32 vcc, s0, v1
	v_mov_b32_e32 v2, v0
	s_and_saveexec_b64 s[6:7], vcc
	s_cbranch_execz .LBB414_155
; %bb.145:
	v_sub_u32_e32 v2, v0, v6
	v_or_b32_e32 v2, 0xff, v2
	v_cmp_ge_u32_e32 vcc, v2, v0
	s_mov_b64 s[0:1], -1
	v_mov_b32_e32 v2, v0
	s_and_saveexec_b64 s[8:9], vcc
	s_cbranch_execz .LBB414_154
; %bb.146:
	v_lshrrev_b32_e32 v14, 8, v1
	v_or_b32_e32 v3, 0x300, v0
	v_or_b32_e32 v2, 0x200, v0
	v_add_u32_e32 v4, -3, v14
	v_or_b32_e32 v1, 0x100, v0
	v_lshrrev_b32_e32 v5, 2, v4
	v_pk_mov_b32 v[12:13], v[2:3], v[2:3] op_sel:[0,1]
	v_add_u32_e32 v15, 1, v5
	v_cmp_lt_u32_e32 vcc, 11, v4
	v_mov_b32_e32 v70, 0
	v_pk_mov_b32 v[10:11], v[0:1], v[0:1] op_sel:[0,1]
	s_and_saveexec_b64 s[10:11], vcc
	s_cbranch_execz .LBB414_150
; %bb.147:
	v_pk_mov_b32 v[12:13], v[2:3], v[2:3] op_sel:[0,1]
	v_and_b32_e32 v16, 0x7ffffffc, v15
	v_lshlrev_b32_e32 v69, 1, v0
	s_mov_b32 s14, 0
	s_mov_b64 s[12:13], 0
	v_mov_b32_e32 v5, 0
	v_pk_mov_b32 v[10:11], v[0:1], v[0:1] op_sel:[0,1]
.LBB414_148:                            ; =>This Inner Loop Header: Depth=1
	v_mov_b32_e32 v4, v10
	v_lshlrev_b64 v[86:87], 1, v[4:5]
	v_add_u32_e32 v72, 0x400, v11
	v_mov_b32_e32 v73, v5
	v_add_co_u32_e64 v86, s[0:1], v7, v86
	v_lshlrev_b64 v[72:73], 1, v[72:73]
	v_addc_co_u32_e64 v87, s[0:1], v9, v87, s[0:1]
	v_add_u32_e32 v70, 0x400, v12
	v_mov_b32_e32 v71, v5
	v_add_co_u32_e64 v72, s[0:1], v7, v72
	v_lshlrev_b64 v[88:89], 1, v[70:71]
	v_addc_co_u32_e64 v73, s[0:1], v9, v73, s[0:1]
	v_add_u32_e32 v2, 0x400, v13
	v_mov_b32_e32 v3, v5
	v_add_co_u32_e64 v88, s[0:1], v7, v88
	v_add_u32_e32 v16, -4, v16
	v_mov_b32_e32 v4, v11
	v_lshlrev_b64 v[2:3], 1, v[2:3]
	v_addc_co_u32_e64 v89, s[0:1], v9, v89, s[0:1]
	v_add_u32_e32 v78, 0x800, v11
	v_mov_b32_e32 v79, v5
	s_add_i32 s14, s14, 16
	v_cmp_eq_u32_e32 vcc, 0, v16
	v_lshlrev_b64 v[90:91], 1, v[4:5]
	v_add_co_u32_e64 v2, s[0:1], v7, v2
	v_lshlrev_b64 v[78:79], 1, v[78:79]
	v_mov_b32_e32 v4, v12
	v_addc_co_u32_e64 v3, s[0:1], v9, v3, s[0:1]
	s_or_b64 s[12:13], vcc, s[12:13]
	v_add_co_u32_e32 v90, vcc, v7, v90
	v_add_u32_e32 v76, 0x800, v12
	v_mov_b32_e32 v77, v5
	v_add_co_u32_e64 v78, s[0:1], v7, v78
	v_addc_co_u32_e32 v91, vcc, v9, v91, vcc
	v_lshlrev_b64 v[92:93], 1, v[4:5]
	v_lshlrev_b64 v[76:77], 1, v[76:77]
	v_addc_co_u32_e64 v79, s[0:1], v9, v79, s[0:1]
	v_mov_b32_e32 v4, v13
	v_add_co_u32_e32 v92, vcc, v7, v92
	ds_read_u16 v1, v69
	ds_read_u16 v96, v69 offset:512
	ds_read_u16 v97, v69 offset:1024
	;; [unrolled: 1-line block ×7, first 2 shown]
	v_add_u32_e32 v74, 0x800, v13
	v_mov_b32_e32 v75, v5
	v_add_co_u32_e64 v76, s[0:1], v7, v76
	v_addc_co_u32_e32 v93, vcc, v9, v93, vcc
	v_lshlrev_b64 v[94:95], 1, v[4:5]
	v_lshlrev_b64 v[74:75], 1, v[74:75]
	v_addc_co_u32_e64 v77, s[0:1], v9, v77, s[0:1]
	v_add_u32_e32 v4, 0x400, v10
	v_add_co_u32_e32 v94, vcc, v7, v94
	v_add_u32_e32 v84, 0xc00, v11
	v_mov_b32_e32 v85, v5
	ds_read_u16 v103, v69 offset:4096
	ds_read_u16 v104, v69 offset:4608
	;; [unrolled: 1-line block ×8, first 2 shown]
	v_add_co_u32_e64 v74, s[0:1], v7, v74
	v_addc_co_u32_e32 v95, vcc, v9, v95, vcc
	s_waitcnt lgkmcnt(14)
	global_store_short v[86:87], v1, off
	global_store_short v[90:91], v96, off
	s_waitcnt lgkmcnt(13)
	global_store_short v[92:93], v97, off
	v_lshlrev_b64 v[86:87], 1, v[4:5]
	v_lshlrev_b64 v[84:85], 1, v[84:85]
	v_addc_co_u32_e64 v75, s[0:1], v9, v75, s[0:1]
	v_add_u32_e32 v4, 0x800, v10
	v_add_co_u32_e32 v86, vcc, v7, v86
	v_add_u32_e32 v82, 0xc00, v12
	v_mov_b32_e32 v83, v5
	v_add_co_u32_e64 v84, s[0:1], v7, v84
	v_addc_co_u32_e32 v87, vcc, v9, v87, vcc
	v_lshlrev_b64 v[90:91], 1, v[4:5]
	v_lshlrev_b64 v[82:83], 1, v[82:83]
	v_addc_co_u32_e64 v85, s[0:1], v9, v85, s[0:1]
	s_waitcnt lgkmcnt(12)
	global_store_short v[94:95], v98, off
	v_add_u32_e32 v4, 0xc00, v10
	s_waitcnt lgkmcnt(11)
	global_store_short v[86:87], v99, off
	s_waitcnt lgkmcnt(10)
	global_store_short v[72:73], v100, off
	;; [unrolled: 2-line block ×4, first 2 shown]
	v_add_co_u32_e32 v2, vcc, v7, v90
	v_add_u32_e32 v80, 0xc00, v13
	v_mov_b32_e32 v81, v5
	v_add_co_u32_e64 v82, s[0:1], v7, v82
	v_addc_co_u32_e32 v3, vcc, v9, v91, vcc
	v_lshlrev_b64 v[72:73], 1, v[4:5]
	v_lshlrev_b64 v[80:81], 1, v[80:81]
	v_addc_co_u32_e64 v83, s[0:1], v9, v83, s[0:1]
	s_waitcnt lgkmcnt(7)
	global_store_short v[2:3], v103, off
	s_waitcnt lgkmcnt(6)
	global_store_short v[78:79], v104, off
	;; [unrolled: 2-line block ×4, first 2 shown]
	v_add_co_u32_e32 v2, vcc, v7, v72
	v_add_u32_e32 v69, 0x2000, v69
	v_add_u32_e32 v11, 0x1000, v11
	v_mov_b32_e32 v70, s14
	v_add_co_u32_e64 v80, s[0:1], v7, v80
	v_add_u32_e32 v12, 0x1000, v12
	v_add_u32_e32 v13, 0x1000, v13
	;; [unrolled: 1-line block ×3, first 2 shown]
	v_addc_co_u32_e32 v3, vcc, v9, v73, vcc
	v_addc_co_u32_e64 v81, s[0:1], v9, v81, s[0:1]
	s_waitcnt lgkmcnt(3)
	global_store_short v[2:3], v107, off
	s_waitcnt lgkmcnt(2)
	global_store_short v[84:85], v108, off
	;; [unrolled: 2-line block ×4, first 2 shown]
	s_andn2_b64 exec, exec, s[12:13]
	s_cbranch_execnz .LBB414_148
; %bb.149:
	s_or_b64 exec, exec, s[12:13]
.LBB414_150:
	s_or_b64 exec, exec, s[10:11]
	v_and_b32_e32 v1, 3, v15
	v_cmp_ne_u32_e32 vcc, 0, v1
	s_and_saveexec_b64 s[10:11], vcc
	s_cbranch_execz .LBB414_153
; %bb.151:
	v_lshlrev_b32_e32 v2, 1, v0
	v_lshl_or_b32 v4, v70, 9, v2
	s_mov_b64 s[12:13], 0
	v_mov_b32_e32 v3, 0
.LBB414_152:                            ; =>This Inner Loop Header: Depth=1
	v_mov_b32_e32 v2, v10
	v_add_u32_e32 v1, -1, v1
	v_lshlrev_b64 v[70:71], 1, v[2:3]
	v_mov_b32_e32 v2, v11
	v_cmp_eq_u32_e32 vcc, 0, v1
	v_lshlrev_b64 v[72:73], 1, v[2:3]
	ds_read_u16 v5, v4
	ds_read_u16 v15, v4 offset:512
	ds_read_u16 v16, v4 offset:1024
	;; [unrolled: 1-line block ×3, first 2 shown]
	v_mov_b32_e32 v2, v12
	s_or_b64 s[12:13], vcc, s[12:13]
	v_add_co_u32_e32 v72, vcc, v7, v72
	v_addc_co_u32_e32 v73, vcc, v9, v73, vcc
	v_lshlrev_b64 v[74:75], 1, v[2:3]
	v_mov_b32_e32 v2, v13
	v_add_co_u32_e32 v74, vcc, v7, v74
	v_add_co_u32_e64 v70, s[0:1], v7, v70
	v_addc_co_u32_e32 v75, vcc, v9, v75, vcc
	v_lshlrev_b64 v[76:77], 1, v[2:3]
	v_add_u32_e32 v10, 0x400, v10
	v_add_u32_e32 v4, 0x800, v4
	;; [unrolled: 1-line block ×3, first 2 shown]
	v_addc_co_u32_e64 v71, s[0:1], v9, v71, s[0:1]
	v_add_u32_e32 v12, 0x400, v12
	v_add_u32_e32 v13, 0x400, v13
	v_add_co_u32_e32 v76, vcc, v7, v76
	v_addc_co_u32_e32 v77, vcc, v9, v77, vcc
	s_waitcnt lgkmcnt(3)
	global_store_short v[70:71], v5, off
	s_waitcnt lgkmcnt(2)
	global_store_short v[72:73], v15, off
	;; [unrolled: 2-line block ×4, first 2 shown]
	s_andn2_b64 exec, exec, s[12:13]
	s_cbranch_execnz .LBB414_152
.LBB414_153:
	s_or_b64 exec, exec, s[10:11]
	v_add_u32_e32 v1, 1, v14
	v_and_b32_e32 v3, 0x1fffffc, v1
	v_cmp_ne_u32_e32 vcc, v1, v3
	v_lshl_or_b32 v2, v3, 8, v0
	s_orn2_b64 s[0:1], vcc, exec
.LBB414_154:
	s_or_b64 exec, exec, s[8:9]
	s_andn2_b64 s[4:5], s[4:5], exec
	s_and_b64 s[0:1], s[0:1], exec
	s_or_b64 s[4:5], s[4:5], s[0:1]
.LBB414_155:
	s_or_b64 exec, exec, s[6:7]
	s_and_b64 exec, exec, s[4:5]
	s_cbranch_execz .LBB414_158
; %bb.156:
	v_lshlrev_b32_e32 v1, 1, v2
	s_mov_b64 s[0:1], 0
	v_mov_b32_e32 v3, 0
.LBB414_157:                            ; =>This Inner Loop Header: Depth=1
	v_lshlrev_b64 v[4:5], 1, v[2:3]
	ds_read_u16 v10, v1
	v_add_co_u32_e32 v4, vcc, v7, v4
	v_add_u32_e32 v2, 0x100, v2
	v_addc_co_u32_e32 v5, vcc, v9, v5, vcc
	v_cmp_ge_u32_e32 vcc, v2, v6
	v_add_u32_e32 v1, 0x200, v1
	s_or_b64 s[0:1], vcc, s[0:1]
	s_waitcnt lgkmcnt(0)
	global_store_short v[4:5], v10, off
	s_andn2_b64 exec, exec, s[0:1]
	s_cbranch_execnz .LBB414_157
.LBB414_158:
	s_or_b64 exec, exec, s[2:3]
.LBB414_159:
	s_cmpk_lg_i32 s33, 0xf00
	s_cselect_b64 s[0:1], -1, 0
	v_cndmask_b32_e64 v1, 0, 1, s[36:37]
	s_and_b64 s[0:1], s[34:35], s[0:1]
	v_cmp_eq_u32_e32 vcc, 0, v0
	v_sub_u32_e32 v3, v6, v1
	v_cndmask_b32_e64 v2, 0, 1, s[0:1]
	s_and_b64 s[0:1], vcc, s[36:37]
	v_add_u32_e32 v7, v3, v2
	v_cndmask_b32_e64 v3, v68, 0, s[0:1]
	s_mul_hi_u32 s0, s33, 0x88888889
	s_lshr_b32 s0, s0, 3
	v_mad_i32_i24 v4, v0, -15, s33
	v_cmp_eq_u32_e32 vcc, s0, v0
	v_cmp_ne_u32_e64 s[0:1], 0, v4
	v_cndmask_b32_e64 v5, 1, v3, s[0:1]
	v_cmp_ne_u32_e64 s[0:1], 1, v4
	v_cndmask_b32_e64 v9, 1, v66, s[0:1]
	;; [unrolled: 2-line block ×15, first 2 shown]
	s_and_b64 vcc, s[34:35], vcc
	v_cndmask_b32_e32 v4, v17, v4, vcc
	v_cndmask_b32_e32 v17, v54, v72, vcc
	;; [unrolled: 1-line block ×15, first 2 shown]
	v_mov_b32_e32 v3, s53
	v_add_co_u32_e32 v9, vcc, s52, v50
	v_addc_co_u32_e32 v3, vcc, v3, v51, vcc
	v_add_co_u32_e32 v9, vcc, v9, v52
	v_addc_co_u32_e32 v14, vcc, v3, v53, vcc
	v_lshlrev_b32_e32 v3, 1, v1
	v_add_co_u32_e32 v3, vcc, v3, v9
	v_addc_co_u32_e32 v16, vcc, 0, v14, vcc
	v_add_co_u32_e32 v15, vcc, -2, v3
	v_addc_co_u32_e32 v16, vcc, -1, v16, vcc
	v_cmp_eq_u32_e32 vcc, 0, v5
	v_cmp_ne_u32_e64 s[28:29], 0, v5
	v_cndmask_b32_e64 v5, 1, 2, vcc
	v_cmp_eq_u32_e32 vcc, 0, v61
	v_cndmask_b32_e64 v50, 1, 2, vcc
	v_cmp_eq_u32_e32 vcc, 0, v10
	v_and_b32_e32 v5, v50, v5
	v_cmp_ne_u32_e64 s[24:25], 0, v10
	v_cndmask_b32_e64 v10, 1, 2, vcc
	v_cmp_eq_u32_e32 vcc, 0, v11
	v_and_b32_e32 v5, v5, v10
	v_cndmask_b32_e64 v10, 1, 2, vcc
	v_cmp_eq_u32_e32 vcc, 0, v12
	v_and_b32_e32 v5, v5, v10
	v_cndmask_b32_e64 v10, 1, 2, vcc
	v_cmp_eq_u32_e32 vcc, 0, v13
	v_and_b32_e32 v5, v5, v10
	v_cndmask_b32_e64 v10, 1, 2, vcc
	v_cmp_eq_u32_e32 vcc, 0, v60
	v_and_b32_e32 v5, v5, v10
	v_cndmask_b32_e64 v10, 1, 2, vcc
	v_cmp_eq_u32_e32 vcc, 0, v59
	v_and_b32_e32 v5, v5, v10
	v_cndmask_b32_e64 v10, 1, 2, vcc
	v_cmp_eq_u32_e32 vcc, 0, v58
	v_and_b32_e32 v5, v5, v10
	v_cndmask_b32_e64 v10, 1, 2, vcc
	v_cmp_eq_u32_e32 vcc, 0, v57
	v_and_b32_e32 v5, v5, v10
	v_cndmask_b32_e64 v10, 1, 2, vcc
	v_cmp_eq_u32_e32 vcc, 0, v56
	v_and_b32_e32 v5, v5, v10
	v_cndmask_b32_e64 v10, 1, 2, vcc
	v_cmp_eq_u32_e32 vcc, 0, v55
	v_and_b32_e32 v5, v5, v10
	v_cndmask_b32_e64 v10, 1, 2, vcc
	v_cmp_eq_u32_e32 vcc, 0, v54
	v_and_b32_e32 v5, v5, v10
	v_cndmask_b32_e64 v10, 1, 2, vcc
	v_cmp_eq_u32_e32 vcc, 0, v17
	v_and_b32_e32 v5, v5, v10
	v_cndmask_b32_e64 v10, 1, 2, vcc
	v_cmp_eq_u32_e32 vcc, 0, v4
	v_and_b32_e32 v5, v5, v10
	v_cmp_ne_u32_e64 s[0:1], 0, v4
	v_cndmask_b32_e64 v4, 1, 2, vcc
	s_movk_i32 s30, 0x100
	v_and_b32_e32 v4, v5, v4
	v_cmp_gt_u32_e32 vcc, s30, v7
	v_add_u32_e32 v3, v8, v1
	v_cmp_ne_u32_e64 s[26:27], 0, v61
	v_cmp_ne_u32_e64 s[22:23], 0, v11
	;; [unrolled: 1-line block ×12, first 2 shown]
	s_mov_b64 s[36:37], -1
	v_cmp_gt_i16_e64 s[30:31], 2, v4
	s_barrier
	s_cbranch_vccz .LBB414_166
; %bb.160:
	s_and_saveexec_b64 s[36:37], s[30:31]
	s_cbranch_execz .LBB414_165
; %bb.161:
	v_cmp_ne_u16_e32 vcc, 1, v4
	s_mov_b64 s[38:39], 0
	s_and_saveexec_b64 s[30:31], vcc
	s_xor_b64 s[30:31], exec, s[30:31]
	s_cbranch_execnz .LBB414_227
; %bb.162:
	s_andn2_saveexec_b64 s[30:31], s[30:31]
	s_cbranch_execnz .LBB414_243
.LBB414_163:
	s_or_b64 exec, exec, s[30:31]
	s_and_b64 exec, exec, s[38:39]
	s_cbranch_execz .LBB414_165
.LBB414_164:
	v_sub_u32_e32 v10, v20, v3
	v_mov_b32_e32 v11, 0
	v_lshlrev_b64 v[10:11], 1, v[10:11]
	v_add_co_u32_e32 v10, vcc, v15, v10
	v_addc_co_u32_e32 v11, vcc, v16, v11, vcc
	global_store_short v[10:11], v21, off
.LBB414_165:
	s_or_b64 exec, exec, s[36:37]
	s_mov_b64 s[36:37], 0
.LBB414_166:
	s_and_b64 vcc, exec, s[36:37]
	s_cbranch_vccz .LBB414_188
; %bb.167:
	v_cmp_gt_i16_e32 vcc, 2, v4
	s_and_saveexec_b64 s[30:31], vcc
	s_cbranch_execz .LBB414_172
; %bb.168:
	v_cmp_ne_u16_e32 vcc, 1, v4
	s_mov_b64 s[38:39], 0
	s_and_saveexec_b64 s[36:37], vcc
	s_xor_b64 s[36:37], exec, s[36:37]
	s_cbranch_execnz .LBB414_244
; %bb.169:
	s_andn2_saveexec_b64 s[0:1], s[36:37]
	s_cbranch_execnz .LBB414_260
.LBB414_170:
	s_or_b64 exec, exec, s[0:1]
	s_and_b64 exec, exec, s[38:39]
	s_cbranch_execz .LBB414_172
.LBB414_171:
	v_sub_u32_e32 v3, v20, v3
	v_lshlrev_b32_e32 v3, 1, v3
	ds_write_b16 v3, v21
.LBB414_172:
	s_or_b64 exec, exec, s[30:31]
	v_cmp_lt_u32_e32 vcc, v0, v7
	s_waitcnt lgkmcnt(0)
	s_barrier
	s_and_saveexec_b64 s[2:3], vcc
	s_cbranch_execz .LBB414_187
; %bb.173:
	v_add_u32_e32 v4, v6, v2
	v_xad_u32 v2, v0, -1, v4
	v_sub_u32_e32 v3, v2, v1
	s_movk_i32 s0, 0x1b00
	v_cmp_gt_u32_e64 s[4:5], s0, v3
	s_movk_i32 s0, 0x1aff
	v_cmp_lt_u32_e32 vcc, s0, v3
	v_mov_b32_e32 v2, v0
	s_and_saveexec_b64 s[6:7], vcc
	s_cbranch_execz .LBB414_184
; %bb.174:
	v_sub_u32_e32 v2, v0, v4
	v_add_u32_e32 v1, v2, v1
	v_or_b32_e32 v1, 0xff, v1
	v_cmp_ge_u32_e32 vcc, v1, v0
	s_mov_b64 s[0:1], -1
	v_mov_b32_e32 v2, v0
	s_and_saveexec_b64 s[8:9], vcc
	s_cbranch_execz .LBB414_183
; %bb.175:
	v_lshrrev_b32_e32 v17, 8, v3
	v_or_b32_e32 v3, 0x300, v0
	v_or_b32_e32 v2, 0x200, v0
	v_add_u32_e32 v4, -3, v17
	v_or_b32_e32 v1, 0x100, v0
	v_lshrrev_b32_e32 v5, 2, v4
	v_pk_mov_b32 v[12:13], v[2:3], v[2:3] op_sel:[0,1]
	v_add_u32_e32 v21, 1, v5
	v_cmp_lt_u32_e32 vcc, 11, v4
	v_mov_b32_e32 v24, 0
	v_lshlrev_b32_e32 v20, 1, v0
	v_pk_mov_b32 v[10:11], v[0:1], v[0:1] op_sel:[0,1]
	s_and_saveexec_b64 s[10:11], vcc
	s_cbranch_execz .LBB414_179
; %bb.176:
	v_pk_mov_b32 v[12:13], v[2:3], v[2:3] op_sel:[0,1]
	v_and_b32_e32 v22, 0x7ffffffc, v21
	s_mov_b32 s14, 0
	s_mov_b64 s[12:13], 0
	v_mov_b32_e32 v5, 0
	v_mov_b32_e32 v23, v20
	v_pk_mov_b32 v[10:11], v[0:1], v[0:1] op_sel:[0,1]
.LBB414_177:                            ; =>This Inner Loop Header: Depth=1
	v_mov_b32_e32 v4, v10
	v_lshlrev_b64 v[40:41], 1, v[4:5]
	v_add_u32_e32 v26, 0x400, v11
	v_mov_b32_e32 v27, v5
	v_add_co_u32_e64 v40, s[0:1], v15, v40
	v_lshlrev_b64 v[26:27], 1, v[26:27]
	v_addc_co_u32_e64 v41, s[0:1], v16, v41, s[0:1]
	v_add_u32_e32 v24, 0x400, v12
	v_mov_b32_e32 v25, v5
	v_add_co_u32_e64 v26, s[0:1], v15, v26
	v_lshlrev_b64 v[42:43], 1, v[24:25]
	v_addc_co_u32_e64 v27, s[0:1], v16, v27, s[0:1]
	v_add_u32_e32 v2, 0x400, v13
	v_mov_b32_e32 v3, v5
	v_add_co_u32_e64 v42, s[0:1], v15, v42
	v_add_u32_e32 v22, -4, v22
	v_mov_b32_e32 v4, v11
	v_lshlrev_b64 v[2:3], 1, v[2:3]
	v_addc_co_u32_e64 v43, s[0:1], v16, v43, s[0:1]
	v_add_u32_e32 v32, 0x800, v11
	v_mov_b32_e32 v33, v5
	s_add_i32 s14, s14, 16
	v_cmp_eq_u32_e32 vcc, 0, v22
	v_lshlrev_b64 v[44:45], 1, v[4:5]
	v_add_co_u32_e64 v2, s[0:1], v15, v2
	v_lshlrev_b64 v[32:33], 1, v[32:33]
	v_mov_b32_e32 v4, v12
	v_addc_co_u32_e64 v3, s[0:1], v16, v3, s[0:1]
	s_or_b64 s[12:13], vcc, s[12:13]
	v_add_co_u32_e32 v44, vcc, v15, v44
	v_add_u32_e32 v30, 0x800, v12
	v_mov_b32_e32 v31, v5
	v_add_co_u32_e64 v32, s[0:1], v15, v32
	v_addc_co_u32_e32 v45, vcc, v16, v45, vcc
	v_lshlrev_b64 v[46:47], 1, v[4:5]
	v_lshlrev_b64 v[30:31], 1, v[30:31]
	v_addc_co_u32_e64 v33, s[0:1], v16, v33, s[0:1]
	v_mov_b32_e32 v4, v13
	v_add_co_u32_e32 v46, vcc, v15, v46
	ds_read_u16 v1, v23
	ds_read_u16 v50, v23 offset:512
	ds_read_u16 v51, v23 offset:1024
	;; [unrolled: 1-line block ×7, first 2 shown]
	v_add_u32_e32 v28, 0x800, v13
	v_mov_b32_e32 v29, v5
	v_add_co_u32_e64 v30, s[0:1], v15, v30
	v_addc_co_u32_e32 v47, vcc, v16, v47, vcc
	v_lshlrev_b64 v[48:49], 1, v[4:5]
	v_lshlrev_b64 v[28:29], 1, v[28:29]
	v_addc_co_u32_e64 v31, s[0:1], v16, v31, s[0:1]
	v_add_u32_e32 v4, 0x400, v10
	v_add_co_u32_e32 v48, vcc, v15, v48
	v_add_u32_e32 v38, 0xc00, v11
	v_mov_b32_e32 v39, v5
	ds_read_u16 v57, v23 offset:4096
	ds_read_u16 v58, v23 offset:4608
	;; [unrolled: 1-line block ×8, first 2 shown]
	v_add_co_u32_e64 v28, s[0:1], v15, v28
	v_addc_co_u32_e32 v49, vcc, v16, v49, vcc
	s_waitcnt lgkmcnt(14)
	global_store_short v[40:41], v1, off
	global_store_short v[44:45], v50, off
	s_waitcnt lgkmcnt(13)
	global_store_short v[46:47], v51, off
	v_lshlrev_b64 v[40:41], 1, v[4:5]
	v_lshlrev_b64 v[38:39], 1, v[38:39]
	v_addc_co_u32_e64 v29, s[0:1], v16, v29, s[0:1]
	v_add_u32_e32 v4, 0x800, v10
	v_add_co_u32_e32 v40, vcc, v15, v40
	v_add_u32_e32 v36, 0xc00, v12
	v_mov_b32_e32 v37, v5
	v_add_co_u32_e64 v38, s[0:1], v15, v38
	v_addc_co_u32_e32 v41, vcc, v16, v41, vcc
	v_lshlrev_b64 v[44:45], 1, v[4:5]
	v_lshlrev_b64 v[36:37], 1, v[36:37]
	v_addc_co_u32_e64 v39, s[0:1], v16, v39, s[0:1]
	s_waitcnt lgkmcnt(12)
	global_store_short v[48:49], v52, off
	v_add_u32_e32 v4, 0xc00, v10
	s_waitcnt lgkmcnt(11)
	global_store_short v[40:41], v53, off
	s_waitcnt lgkmcnt(10)
	global_store_short v[26:27], v54, off
	;; [unrolled: 2-line block ×4, first 2 shown]
	v_add_co_u32_e32 v2, vcc, v15, v44
	v_add_u32_e32 v34, 0xc00, v13
	v_mov_b32_e32 v35, v5
	v_add_co_u32_e64 v36, s[0:1], v15, v36
	v_addc_co_u32_e32 v3, vcc, v16, v45, vcc
	v_lshlrev_b64 v[26:27], 1, v[4:5]
	v_lshlrev_b64 v[34:35], 1, v[34:35]
	v_addc_co_u32_e64 v37, s[0:1], v16, v37, s[0:1]
	s_waitcnt lgkmcnt(7)
	global_store_short v[2:3], v57, off
	s_waitcnt lgkmcnt(6)
	global_store_short v[32:33], v58, off
	;; [unrolled: 2-line block ×4, first 2 shown]
	v_add_co_u32_e32 v2, vcc, v15, v26
	v_add_u32_e32 v23, 0x2000, v23
	v_add_u32_e32 v11, 0x1000, v11
	v_mov_b32_e32 v24, s14
	v_add_co_u32_e64 v34, s[0:1], v15, v34
	v_add_u32_e32 v12, 0x1000, v12
	v_add_u32_e32 v13, 0x1000, v13
	;; [unrolled: 1-line block ×3, first 2 shown]
	v_addc_co_u32_e32 v3, vcc, v16, v27, vcc
	v_addc_co_u32_e64 v35, s[0:1], v16, v35, s[0:1]
	s_waitcnt lgkmcnt(3)
	global_store_short v[2:3], v61, off
	s_waitcnt lgkmcnt(2)
	global_store_short v[38:39], v62, off
	;; [unrolled: 2-line block ×4, first 2 shown]
	s_andn2_b64 exec, exec, s[12:13]
	s_cbranch_execnz .LBB414_177
; %bb.178:
	s_or_b64 exec, exec, s[12:13]
.LBB414_179:
	s_or_b64 exec, exec, s[10:11]
	v_and_b32_e32 v1, 3, v21
	v_cmp_ne_u32_e32 vcc, 0, v1
	s_and_saveexec_b64 s[10:11], vcc
	s_cbranch_execz .LBB414_182
; %bb.180:
	v_lshl_or_b32 v4, v24, 9, v20
	s_mov_b64 s[12:13], 0
	v_mov_b32_e32 v3, 0
.LBB414_181:                            ; =>This Inner Loop Header: Depth=1
	v_mov_b32_e32 v2, v10
	v_add_u32_e32 v1, -1, v1
	v_lshlrev_b64 v[20:21], 1, v[2:3]
	v_mov_b32_e32 v2, v11
	v_cmp_eq_u32_e32 vcc, 0, v1
	v_lshlrev_b64 v[22:23], 1, v[2:3]
	ds_read_u16 v5, v4
	ds_read_u16 v28, v4 offset:512
	ds_read_u16 v29, v4 offset:1024
	;; [unrolled: 1-line block ×3, first 2 shown]
	v_mov_b32_e32 v2, v12
	s_or_b64 s[12:13], vcc, s[12:13]
	v_add_co_u32_e32 v22, vcc, v15, v22
	v_addc_co_u32_e32 v23, vcc, v16, v23, vcc
	v_lshlrev_b64 v[24:25], 1, v[2:3]
	v_mov_b32_e32 v2, v13
	v_add_co_u32_e32 v24, vcc, v15, v24
	v_add_co_u32_e64 v20, s[0:1], v15, v20
	v_addc_co_u32_e32 v25, vcc, v16, v25, vcc
	v_lshlrev_b64 v[26:27], 1, v[2:3]
	v_add_u32_e32 v10, 0x400, v10
	v_add_u32_e32 v4, 0x800, v4
	v_add_u32_e32 v11, 0x400, v11
	v_addc_co_u32_e64 v21, s[0:1], v16, v21, s[0:1]
	v_add_u32_e32 v12, 0x400, v12
	v_add_u32_e32 v13, 0x400, v13
	v_add_co_u32_e32 v26, vcc, v15, v26
	v_addc_co_u32_e32 v27, vcc, v16, v27, vcc
	s_waitcnt lgkmcnt(3)
	global_store_short v[20:21], v5, off
	s_waitcnt lgkmcnt(2)
	global_store_short v[22:23], v28, off
	s_waitcnt lgkmcnt(1)
	global_store_short v[24:25], v29, off
	s_waitcnt lgkmcnt(0)
	global_store_short v[26:27], v30, off
	s_andn2_b64 exec, exec, s[12:13]
	s_cbranch_execnz .LBB414_181
.LBB414_182:
	s_or_b64 exec, exec, s[10:11]
	v_add_u32_e32 v1, 1, v17
	v_and_b32_e32 v3, 0x1fffffc, v1
	v_cmp_ne_u32_e32 vcc, v1, v3
	v_lshl_or_b32 v2, v3, 8, v0
	s_orn2_b64 s[0:1], vcc, exec
.LBB414_183:
	s_or_b64 exec, exec, s[8:9]
	s_andn2_b64 s[4:5], s[4:5], exec
	s_and_b64 s[0:1], s[0:1], exec
	s_or_b64 s[4:5], s[4:5], s[0:1]
.LBB414_184:
	s_or_b64 exec, exec, s[6:7]
	s_and_b64 exec, exec, s[4:5]
	s_cbranch_execz .LBB414_187
; %bb.185:
	v_lshlrev_b32_e32 v1, 1, v2
	s_mov_b64 s[0:1], 0
	v_mov_b32_e32 v3, 0
.LBB414_186:                            ; =>This Inner Loop Header: Depth=1
	v_lshlrev_b64 v[4:5], 1, v[2:3]
	ds_read_u16 v10, v1
	v_add_co_u32_e32 v4, vcc, v15, v4
	v_add_u32_e32 v2, 0x100, v2
	v_addc_co_u32_e32 v5, vcc, v16, v5, vcc
	v_cmp_ge_u32_e32 vcc, v2, v7
	v_add_u32_e32 v1, 0x200, v1
	s_or_b64 s[0:1], vcc, s[0:1]
	s_waitcnt lgkmcnt(0)
	global_store_short v[4:5], v10, off
	s_andn2_b64 exec, exec, s[0:1]
	s_cbranch_execnz .LBB414_186
.LBB414_187:
	s_or_b64 exec, exec, s[2:3]
.LBB414_188:
	s_movk_i32 s0, 0xff
	v_cmp_eq_u32_e32 vcc, s0, v0
	s_and_b64 s[0:1], vcc, s[34:35]
	s_and_saveexec_b64 s[2:3], s[0:1]
	s_cbranch_execz .LBB414_191
; %bb.189:
	v_add_co_u32_e32 v0, vcc, v6, v8
	v_addc_co_u32_e64 v1, s[0:1], 0, 0, vcc
	v_add_co_u32_e32 v0, vcc, v0, v18
	v_mov_b32_e32 v7, 0
	v_addc_co_u32_e32 v1, vcc, v1, v19, vcc
	s_cmpk_lg_i32 s33, 0xf00
	global_store_dwordx2 v7, v[0:1], s[54:55]
	s_cbranch_scc1 .LBB414_191
; %bb.190:
	v_lshlrev_b64 v[0:1], 1, v[6:7]
	v_add_co_u32_e32 v0, vcc, v9, v0
	v_addc_co_u32_e32 v1, vcc, v14, v1, vcc
	global_store_short v[0:1], v67, off offset:-2
.LBB414_191:
	s_endpgm
.LBB414_192:
	s_or_b64 exec, exec, s[4:5]
	v_mov_b32_e32 v68, s10
	s_and_saveexec_b64 s[4:5], s[2:3]
	s_cbranch_execnz .LBB414_84
	s_branch .LBB414_85
.LBB414_193:
	s_and_saveexec_b64 s[40:41], s[28:29]
	s_cbranch_execnz .LBB414_261
; %bb.194:
	s_or_b64 exec, exec, s[40:41]
	s_and_saveexec_b64 s[40:41], s[26:27]
	s_cbranch_execnz .LBB414_262
.LBB414_195:
	s_or_b64 exec, exec, s[40:41]
	s_and_saveexec_b64 s[40:41], s[24:25]
	s_cbranch_execnz .LBB414_263
.LBB414_196:
	s_or_b64 exec, exec, s[40:41]
	s_and_saveexec_b64 s[40:41], s[22:23]
	s_cbranch_execnz .LBB414_264
.LBB414_197:
	s_or_b64 exec, exec, s[40:41]
	s_and_saveexec_b64 s[40:41], s[20:21]
	s_cbranch_execnz .LBB414_265
.LBB414_198:
	s_or_b64 exec, exec, s[40:41]
	s_and_saveexec_b64 s[40:41], s[18:19]
	s_cbranch_execnz .LBB414_266
.LBB414_199:
	s_or_b64 exec, exec, s[40:41]
	s_and_saveexec_b64 s[40:41], s[16:17]
	s_cbranch_execnz .LBB414_267
.LBB414_200:
	s_or_b64 exec, exec, s[40:41]
	s_and_saveexec_b64 s[40:41], s[14:15]
	s_cbranch_execnz .LBB414_268
.LBB414_201:
	s_or_b64 exec, exec, s[40:41]
	s_and_saveexec_b64 s[40:41], s[12:13]
	s_cbranch_execnz .LBB414_269
.LBB414_202:
	s_or_b64 exec, exec, s[40:41]
	s_and_saveexec_b64 s[40:41], s[10:11]
	s_cbranch_execnz .LBB414_270
.LBB414_203:
	s_or_b64 exec, exec, s[40:41]
	s_and_saveexec_b64 s[40:41], s[8:9]
	s_cbranch_execnz .LBB414_271
.LBB414_204:
	s_or_b64 exec, exec, s[40:41]
	s_and_saveexec_b64 s[40:41], s[6:7]
	s_cbranch_execnz .LBB414_272
.LBB414_205:
	s_or_b64 exec, exec, s[40:41]
	s_and_saveexec_b64 s[40:41], s[4:5]
	s_cbranch_execnz .LBB414_273
.LBB414_206:
	s_or_b64 exec, exec, s[40:41]
	s_and_saveexec_b64 s[40:41], s[2:3]
	s_cbranch_execz .LBB414_208
.LBB414_207:
	v_sub_u32_e32 v12, v22, v8
	v_mov_b32_e32 v13, 0
	v_lshlrev_b64 v[12:13], 1, v[12:13]
	v_add_co_u32_e32 v12, vcc, v7, v12
	v_addc_co_u32_e32 v13, vcc, v9, v13, vcc
	global_store_short v[12:13], v16, off
.LBB414_208:
	s_or_b64 exec, exec, s[40:41]
	s_and_b64 s[40:41], s[0:1], exec
	s_andn2_saveexec_b64 s[30:31], s[30:31]
	s_cbranch_execz .LBB414_134
.LBB414_209:
	v_sub_u32_e32 v12, v48, v8
	v_mov_b32_e32 v13, 0
	v_lshlrev_b64 v[70:71], 1, v[12:13]
	v_add_co_u32_e32 v70, vcc, v7, v70
	v_addc_co_u32_e32 v71, vcc, v9, v71, vcc
	v_sub_u32_e32 v12, v46, v8
	global_store_short v[70:71], v1, off
	v_lshlrev_b64 v[70:71], 1, v[12:13]
	v_add_co_u32_e32 v70, vcc, v7, v70
	v_addc_co_u32_e32 v71, vcc, v9, v71, vcc
	v_sub_u32_e32 v12, v44, v8
	global_store_short v[70:71], v2, off
	v_lshlrev_b64 v[70:71], 1, v[12:13]
	v_add_co_u32_e32 v70, vcc, v7, v70
	v_addc_co_u32_e32 v71, vcc, v9, v71, vcc
	v_sub_u32_e32 v12, v42, v8
	global_store_short_d16_hi v[70:71], v2, off
	v_lshlrev_b64 v[70:71], 1, v[12:13]
	v_add_co_u32_e32 v70, vcc, v7, v70
	v_addc_co_u32_e32 v71, vcc, v9, v71, vcc
	v_sub_u32_e32 v12, v40, v8
	global_store_short v[70:71], v3, off
	v_lshlrev_b64 v[70:71], 1, v[12:13]
	v_add_co_u32_e32 v70, vcc, v7, v70
	v_addc_co_u32_e32 v71, vcc, v9, v71, vcc
	v_sub_u32_e32 v12, v38, v8
	global_store_short_d16_hi v[70:71], v3, off
	;; [unrolled: 10-line block ×5, first 2 shown]
	v_lshlrev_b64 v[70:71], 1, v[12:13]
	v_add_co_u32_e32 v70, vcc, v7, v70
	v_addc_co_u32_e32 v71, vcc, v9, v71, vcc
	v_sub_u32_e32 v12, v24, v8
	global_store_short v[70:71], v15, off
	v_lshlrev_b64 v[70:71], 1, v[12:13]
	v_add_co_u32_e32 v70, vcc, v7, v70
	v_sub_u32_e32 v12, v22, v8
	v_addc_co_u32_e32 v71, vcc, v9, v71, vcc
	v_lshlrev_b64 v[12:13], 1, v[12:13]
	v_add_co_u32_e32 v12, vcc, v7, v12
	v_addc_co_u32_e32 v13, vcc, v9, v13, vcc
	s_or_b64 s[40:41], s[40:41], exec
	global_store_short_d16_hi v[70:71], v15, off
	global_store_short v[12:13], v16, off
	s_or_b64 exec, exec, s[30:31]
	s_and_b64 exec, exec, s[40:41]
	s_cbranch_execnz .LBB414_135
	s_branch .LBB414_136
.LBB414_210:
	s_and_saveexec_b64 s[40:41], s[28:29]
	s_cbranch_execnz .LBB414_274
; %bb.211:
	s_or_b64 exec, exec, s[40:41]
	s_and_saveexec_b64 s[28:29], s[26:27]
	s_cbranch_execnz .LBB414_275
.LBB414_212:
	s_or_b64 exec, exec, s[28:29]
	s_and_saveexec_b64 s[26:27], s[24:25]
	s_cbranch_execnz .LBB414_276
.LBB414_213:
	s_or_b64 exec, exec, s[26:27]
	s_and_saveexec_b64 s[24:25], s[22:23]
	s_cbranch_execnz .LBB414_277
.LBB414_214:
	s_or_b64 exec, exec, s[24:25]
	s_and_saveexec_b64 s[22:23], s[20:21]
	s_cbranch_execnz .LBB414_278
.LBB414_215:
	s_or_b64 exec, exec, s[22:23]
	s_and_saveexec_b64 s[20:21], s[18:19]
	s_cbranch_execnz .LBB414_279
.LBB414_216:
	s_or_b64 exec, exec, s[20:21]
	s_and_saveexec_b64 s[18:19], s[16:17]
	s_cbranch_execnz .LBB414_280
.LBB414_217:
	s_or_b64 exec, exec, s[18:19]
	s_and_saveexec_b64 s[16:17], s[14:15]
	s_cbranch_execnz .LBB414_281
.LBB414_218:
	s_or_b64 exec, exec, s[16:17]
	s_and_saveexec_b64 s[14:15], s[12:13]
	s_cbranch_execnz .LBB414_282
.LBB414_219:
	s_or_b64 exec, exec, s[14:15]
	s_and_saveexec_b64 s[12:13], s[10:11]
	s_cbranch_execnz .LBB414_283
.LBB414_220:
	s_or_b64 exec, exec, s[12:13]
	s_and_saveexec_b64 s[10:11], s[8:9]
	s_cbranch_execnz .LBB414_284
.LBB414_221:
	s_or_b64 exec, exec, s[10:11]
	s_and_saveexec_b64 s[8:9], s[6:7]
	s_cbranch_execnz .LBB414_285
.LBB414_222:
	s_or_b64 exec, exec, s[8:9]
	s_and_saveexec_b64 s[6:7], s[4:5]
	s_cbranch_execnz .LBB414_286
.LBB414_223:
	s_or_b64 exec, exec, s[6:7]
	s_and_saveexec_b64 s[4:5], s[2:3]
	s_cbranch_execz .LBB414_225
.LBB414_224:
	v_sub_u32_e32 v1, v22, v8
	v_lshlrev_b32_e32 v1, 1, v1
	ds_write_b16 v1, v16
.LBB414_225:
	s_or_b64 exec, exec, s[4:5]
	s_and_b64 s[40:41], s[0:1], exec
                                        ; implicit-def: $vgpr1
                                        ; implicit-def: $vgpr2
	s_andn2_saveexec_b64 s[0:1], s[38:39]
	s_cbranch_execz .LBB414_141
.LBB414_226:
	v_sub_u32_e32 v10, v48, v8
	v_lshlrev_b32_e32 v10, 1, v10
	ds_write_b16 v10, v1
	v_sub_u32_e32 v1, v46, v8
	v_lshlrev_b32_e32 v1, 1, v1
	ds_write_b16 v1, v2
	v_sub_u32_e32 v1, v44, v8
	v_lshlrev_b32_e32 v1, 1, v1
	ds_write_b16_d16_hi v1, v2
	v_sub_u32_e32 v1, v42, v8
	v_lshlrev_b32_e32 v1, 1, v1
	ds_write_b16 v1, v3
	v_sub_u32_e32 v1, v40, v8
	v_lshlrev_b32_e32 v1, 1, v1
	ds_write_b16_d16_hi v1, v3
	;; [unrolled: 6-line block ×6, first 2 shown]
	v_sub_u32_e32 v1, v22, v8
	v_lshlrev_b32_e32 v1, 1, v1
	s_or_b64 s[40:41], s[40:41], exec
	ds_write_b16 v1, v16
	s_or_b64 exec, exec, s[0:1]
	s_and_b64 exec, exec, s[40:41]
	s_cbranch_execnz .LBB414_142
	s_branch .LBB414_143
.LBB414_227:
	s_and_saveexec_b64 s[38:39], s[28:29]
	s_cbranch_execnz .LBB414_287
; %bb.228:
	s_or_b64 exec, exec, s[38:39]
	s_and_saveexec_b64 s[38:39], s[26:27]
	s_cbranch_execnz .LBB414_288
.LBB414_229:
	s_or_b64 exec, exec, s[38:39]
	s_and_saveexec_b64 s[38:39], s[24:25]
	s_cbranch_execnz .LBB414_289
.LBB414_230:
	s_or_b64 exec, exec, s[38:39]
	s_and_saveexec_b64 s[38:39], s[22:23]
	s_cbranch_execnz .LBB414_290
.LBB414_231:
	s_or_b64 exec, exec, s[38:39]
	s_and_saveexec_b64 s[38:39], s[20:21]
	s_cbranch_execnz .LBB414_291
.LBB414_232:
	s_or_b64 exec, exec, s[38:39]
	s_and_saveexec_b64 s[38:39], s[18:19]
	s_cbranch_execnz .LBB414_292
.LBB414_233:
	s_or_b64 exec, exec, s[38:39]
	s_and_saveexec_b64 s[38:39], s[16:17]
	s_cbranch_execnz .LBB414_293
.LBB414_234:
	s_or_b64 exec, exec, s[38:39]
	s_and_saveexec_b64 s[38:39], s[14:15]
	s_cbranch_execnz .LBB414_294
.LBB414_235:
	s_or_b64 exec, exec, s[38:39]
	s_and_saveexec_b64 s[38:39], s[12:13]
	s_cbranch_execnz .LBB414_295
.LBB414_236:
	s_or_b64 exec, exec, s[38:39]
	s_and_saveexec_b64 s[38:39], s[10:11]
	s_cbranch_execnz .LBB414_296
.LBB414_237:
	s_or_b64 exec, exec, s[38:39]
	s_and_saveexec_b64 s[38:39], s[8:9]
	s_cbranch_execnz .LBB414_297
.LBB414_238:
	s_or_b64 exec, exec, s[38:39]
	s_and_saveexec_b64 s[38:39], s[6:7]
	s_cbranch_execnz .LBB414_298
.LBB414_239:
	s_or_b64 exec, exec, s[38:39]
	s_and_saveexec_b64 s[38:39], s[4:5]
	s_cbranch_execnz .LBB414_299
.LBB414_240:
	s_or_b64 exec, exec, s[38:39]
	s_and_saveexec_b64 s[38:39], s[2:3]
	s_cbranch_execz .LBB414_242
.LBB414_241:
	v_sub_u32_e32 v10, v22, v3
	v_mov_b32_e32 v11, 0
	v_lshlrev_b64 v[10:11], 1, v[10:11]
	v_add_co_u32_e32 v10, vcc, v15, v10
	v_addc_co_u32_e32 v11, vcc, v16, v11, vcc
	global_store_short v[10:11], v23, off
.LBB414_242:
	s_or_b64 exec, exec, s[38:39]
	s_and_b64 s[38:39], s[0:1], exec
	s_andn2_saveexec_b64 s[30:31], s[30:31]
	s_cbranch_execz .LBB414_163
.LBB414_243:
	v_sub_u32_e32 v10, v48, v3
	v_mov_b32_e32 v11, 0
	v_lshlrev_b64 v[12:13], 1, v[10:11]
	v_add_co_u32_e32 v12, vcc, v15, v12
	v_addc_co_u32_e32 v13, vcc, v16, v13, vcc
	v_sub_u32_e32 v10, v46, v3
	global_store_short v[12:13], v49, off
	v_lshlrev_b64 v[12:13], 1, v[10:11]
	v_add_co_u32_e32 v12, vcc, v15, v12
	v_addc_co_u32_e32 v13, vcc, v16, v13, vcc
	v_sub_u32_e32 v10, v44, v3
	global_store_short v[12:13], v47, off
	v_lshlrev_b64 v[12:13], 1, v[10:11]
	v_add_co_u32_e32 v12, vcc, v15, v12
	v_addc_co_u32_e32 v13, vcc, v16, v13, vcc
	v_sub_u32_e32 v10, v42, v3
	global_store_short v[12:13], v45, off
	v_lshlrev_b64 v[12:13], 1, v[10:11]
	v_add_co_u32_e32 v12, vcc, v15, v12
	v_addc_co_u32_e32 v13, vcc, v16, v13, vcc
	v_sub_u32_e32 v10, v40, v3
	global_store_short v[12:13], v43, off
	v_lshlrev_b64 v[12:13], 1, v[10:11]
	v_add_co_u32_e32 v12, vcc, v15, v12
	v_addc_co_u32_e32 v13, vcc, v16, v13, vcc
	v_sub_u32_e32 v10, v38, v3
	global_store_short v[12:13], v41, off
	v_lshlrev_b64 v[12:13], 1, v[10:11]
	v_add_co_u32_e32 v12, vcc, v15, v12
	v_addc_co_u32_e32 v13, vcc, v16, v13, vcc
	v_sub_u32_e32 v10, v36, v3
	global_store_short v[12:13], v39, off
	v_lshlrev_b64 v[12:13], 1, v[10:11]
	v_add_co_u32_e32 v12, vcc, v15, v12
	v_addc_co_u32_e32 v13, vcc, v16, v13, vcc
	v_sub_u32_e32 v10, v34, v3
	global_store_short v[12:13], v37, off
	v_lshlrev_b64 v[12:13], 1, v[10:11]
	v_add_co_u32_e32 v12, vcc, v15, v12
	v_addc_co_u32_e32 v13, vcc, v16, v13, vcc
	v_sub_u32_e32 v10, v32, v3
	global_store_short v[12:13], v35, off
	v_lshlrev_b64 v[12:13], 1, v[10:11]
	v_add_co_u32_e32 v12, vcc, v15, v12
	v_addc_co_u32_e32 v13, vcc, v16, v13, vcc
	v_sub_u32_e32 v10, v30, v3
	global_store_short v[12:13], v33, off
	v_lshlrev_b64 v[12:13], 1, v[10:11]
	v_add_co_u32_e32 v12, vcc, v15, v12
	v_addc_co_u32_e32 v13, vcc, v16, v13, vcc
	v_sub_u32_e32 v10, v28, v3
	global_store_short v[12:13], v31, off
	v_lshlrev_b64 v[12:13], 1, v[10:11]
	v_add_co_u32_e32 v12, vcc, v15, v12
	v_addc_co_u32_e32 v13, vcc, v16, v13, vcc
	v_sub_u32_e32 v10, v26, v3
	global_store_short v[12:13], v29, off
	v_lshlrev_b64 v[12:13], 1, v[10:11]
	v_add_co_u32_e32 v12, vcc, v15, v12
	v_addc_co_u32_e32 v13, vcc, v16, v13, vcc
	v_sub_u32_e32 v10, v24, v3
	global_store_short v[12:13], v27, off
	v_lshlrev_b64 v[12:13], 1, v[10:11]
	v_add_co_u32_e32 v12, vcc, v15, v12
	v_sub_u32_e32 v10, v22, v3
	v_addc_co_u32_e32 v13, vcc, v16, v13, vcc
	v_lshlrev_b64 v[10:11], 1, v[10:11]
	v_add_co_u32_e32 v10, vcc, v15, v10
	v_addc_co_u32_e32 v11, vcc, v16, v11, vcc
	s_or_b64 s[38:39], s[38:39], exec
	global_store_short v[12:13], v25, off
	global_store_short v[10:11], v23, off
	s_or_b64 exec, exec, s[30:31]
	s_and_b64 exec, exec, s[38:39]
	s_cbranch_execnz .LBB414_164
	s_branch .LBB414_165
.LBB414_244:
	s_and_saveexec_b64 s[38:39], s[28:29]
	s_cbranch_execnz .LBB414_300
; %bb.245:
	s_or_b64 exec, exec, s[38:39]
	s_and_saveexec_b64 s[28:29], s[26:27]
	s_cbranch_execnz .LBB414_301
.LBB414_246:
	s_or_b64 exec, exec, s[28:29]
	s_and_saveexec_b64 s[26:27], s[24:25]
	s_cbranch_execnz .LBB414_302
.LBB414_247:
	s_or_b64 exec, exec, s[26:27]
	s_and_saveexec_b64 s[24:25], s[22:23]
	s_cbranch_execnz .LBB414_303
.LBB414_248:
	s_or_b64 exec, exec, s[24:25]
	s_and_saveexec_b64 s[22:23], s[20:21]
	s_cbranch_execnz .LBB414_304
.LBB414_249:
	s_or_b64 exec, exec, s[22:23]
	s_and_saveexec_b64 s[20:21], s[18:19]
	s_cbranch_execnz .LBB414_305
.LBB414_250:
	s_or_b64 exec, exec, s[20:21]
	s_and_saveexec_b64 s[18:19], s[16:17]
	s_cbranch_execnz .LBB414_306
.LBB414_251:
	s_or_b64 exec, exec, s[18:19]
	s_and_saveexec_b64 s[16:17], s[14:15]
	s_cbranch_execnz .LBB414_307
.LBB414_252:
	s_or_b64 exec, exec, s[16:17]
	s_and_saveexec_b64 s[14:15], s[12:13]
	s_cbranch_execnz .LBB414_308
.LBB414_253:
	s_or_b64 exec, exec, s[14:15]
	s_and_saveexec_b64 s[12:13], s[10:11]
	s_cbranch_execnz .LBB414_309
.LBB414_254:
	s_or_b64 exec, exec, s[12:13]
	s_and_saveexec_b64 s[10:11], s[8:9]
	s_cbranch_execnz .LBB414_310
.LBB414_255:
	s_or_b64 exec, exec, s[10:11]
	s_and_saveexec_b64 s[8:9], s[6:7]
	s_cbranch_execnz .LBB414_311
.LBB414_256:
	s_or_b64 exec, exec, s[8:9]
	s_and_saveexec_b64 s[6:7], s[4:5]
	s_cbranch_execnz .LBB414_312
.LBB414_257:
	s_or_b64 exec, exec, s[6:7]
	s_and_saveexec_b64 s[4:5], s[2:3]
	s_cbranch_execz .LBB414_259
.LBB414_258:
	v_sub_u32_e32 v4, v22, v3
	v_lshlrev_b32_e32 v4, 1, v4
	ds_write_b16 v4, v23
.LBB414_259:
	s_or_b64 exec, exec, s[4:5]
	s_and_b64 s[38:39], s[0:1], exec
                                        ; implicit-def: $vgpr48_vgpr49
                                        ; implicit-def: $vgpr46_vgpr47
                                        ; implicit-def: $vgpr44_vgpr45
                                        ; implicit-def: $vgpr42_vgpr43
                                        ; implicit-def: $vgpr40_vgpr41
                                        ; implicit-def: $vgpr38_vgpr39
                                        ; implicit-def: $vgpr36_vgpr37
                                        ; implicit-def: $vgpr34_vgpr35
                                        ; implicit-def: $vgpr32_vgpr33
                                        ; implicit-def: $vgpr30_vgpr31
                                        ; implicit-def: $vgpr28_vgpr29
                                        ; implicit-def: $vgpr26_vgpr27
                                        ; implicit-def: $vgpr24_vgpr25
                                        ; implicit-def: $vgpr22_vgpr23
	s_andn2_saveexec_b64 s[0:1], s[36:37]
	s_cbranch_execz .LBB414_170
.LBB414_260:
	v_sub_u32_e32 v4, v48, v3
	v_lshlrev_b32_e32 v4, 1, v4
	ds_write_b16 v4, v49
	v_sub_u32_e32 v4, v46, v3
	v_lshlrev_b32_e32 v4, 1, v4
	ds_write_b16 v4, v47
	;; [unrolled: 3-line block ×13, first 2 shown]
	v_sub_u32_e32 v4, v22, v3
	v_lshlrev_b32_e32 v4, 1, v4
	s_or_b64 s[38:39], s[38:39], exec
	ds_write_b16 v4, v23
	s_or_b64 exec, exec, s[0:1]
	s_and_b64 exec, exec, s[38:39]
	s_cbranch_execnz .LBB414_171
	s_branch .LBB414_172
.LBB414_261:
	v_sub_u32_e32 v12, v48, v8
	v_mov_b32_e32 v13, 0
	v_lshlrev_b64 v[12:13], 1, v[12:13]
	v_add_co_u32_e32 v12, vcc, v7, v12
	v_addc_co_u32_e32 v13, vcc, v9, v13, vcc
	global_store_short v[12:13], v1, off
	s_or_b64 exec, exec, s[40:41]
	s_and_saveexec_b64 s[40:41], s[26:27]
	s_cbranch_execz .LBB414_195
.LBB414_262:
	v_sub_u32_e32 v12, v46, v8
	v_mov_b32_e32 v13, 0
	v_lshlrev_b64 v[12:13], 1, v[12:13]
	v_add_co_u32_e32 v12, vcc, v7, v12
	v_addc_co_u32_e32 v13, vcc, v9, v13, vcc
	global_store_short v[12:13], v2, off
	s_or_b64 exec, exec, s[40:41]
	s_and_saveexec_b64 s[40:41], s[24:25]
	s_cbranch_execz .LBB414_196
.LBB414_263:
	v_sub_u32_e32 v12, v44, v8
	v_mov_b32_e32 v13, 0
	v_lshlrev_b64 v[12:13], 1, v[12:13]
	v_add_co_u32_e32 v12, vcc, v7, v12
	v_addc_co_u32_e32 v13, vcc, v9, v13, vcc
	global_store_short_d16_hi v[12:13], v2, off
	s_or_b64 exec, exec, s[40:41]
	s_and_saveexec_b64 s[40:41], s[22:23]
	s_cbranch_execz .LBB414_197
.LBB414_264:
	v_sub_u32_e32 v12, v42, v8
	v_mov_b32_e32 v13, 0
	v_lshlrev_b64 v[12:13], 1, v[12:13]
	v_add_co_u32_e32 v12, vcc, v7, v12
	v_addc_co_u32_e32 v13, vcc, v9, v13, vcc
	global_store_short v[12:13], v3, off
	s_or_b64 exec, exec, s[40:41]
	s_and_saveexec_b64 s[40:41], s[20:21]
	s_cbranch_execz .LBB414_198
.LBB414_265:
	v_sub_u32_e32 v12, v40, v8
	v_mov_b32_e32 v13, 0
	v_lshlrev_b64 v[12:13], 1, v[12:13]
	v_add_co_u32_e32 v12, vcc, v7, v12
	v_addc_co_u32_e32 v13, vcc, v9, v13, vcc
	global_store_short_d16_hi v[12:13], v3, off
	s_or_b64 exec, exec, s[40:41]
	s_and_saveexec_b64 s[40:41], s[18:19]
	s_cbranch_execz .LBB414_199
.LBB414_266:
	v_sub_u32_e32 v12, v38, v8
	v_mov_b32_e32 v13, 0
	v_lshlrev_b64 v[12:13], 1, v[12:13]
	v_add_co_u32_e32 v12, vcc, v7, v12
	v_addc_co_u32_e32 v13, vcc, v9, v13, vcc
	global_store_short v[12:13], v4, off
	s_or_b64 exec, exec, s[40:41]
	s_and_saveexec_b64 s[40:41], s[16:17]
	s_cbranch_execz .LBB414_200
.LBB414_267:
	v_sub_u32_e32 v12, v36, v8
	v_mov_b32_e32 v13, 0
	v_lshlrev_b64 v[12:13], 1, v[12:13]
	v_add_co_u32_e32 v12, vcc, v7, v12
	v_addc_co_u32_e32 v13, vcc, v9, v13, vcc
	global_store_short_d16_hi v[12:13], v4, off
	s_or_b64 exec, exec, s[40:41]
	s_and_saveexec_b64 s[40:41], s[14:15]
	s_cbranch_execz .LBB414_201
.LBB414_268:
	v_sub_u32_e32 v12, v34, v8
	v_mov_b32_e32 v13, 0
	v_lshlrev_b64 v[12:13], 1, v[12:13]
	v_add_co_u32_e32 v12, vcc, v7, v12
	v_addc_co_u32_e32 v13, vcc, v9, v13, vcc
	global_store_short v[12:13], v5, off
	s_or_b64 exec, exec, s[40:41]
	s_and_saveexec_b64 s[40:41], s[12:13]
	s_cbranch_execz .LBB414_202
.LBB414_269:
	v_sub_u32_e32 v12, v32, v8
	v_mov_b32_e32 v13, 0
	v_lshlrev_b64 v[12:13], 1, v[12:13]
	v_add_co_u32_e32 v12, vcc, v7, v12
	v_addc_co_u32_e32 v13, vcc, v9, v13, vcc
	global_store_short_d16_hi v[12:13], v5, off
	s_or_b64 exec, exec, s[40:41]
	s_and_saveexec_b64 s[40:41], s[10:11]
	s_cbranch_execz .LBB414_203
.LBB414_270:
	v_sub_u32_e32 v12, v30, v8
	v_mov_b32_e32 v13, 0
	v_lshlrev_b64 v[12:13], 1, v[12:13]
	v_add_co_u32_e32 v12, vcc, v7, v12
	v_addc_co_u32_e32 v13, vcc, v9, v13, vcc
	global_store_short v[12:13], v14, off
	s_or_b64 exec, exec, s[40:41]
	s_and_saveexec_b64 s[40:41], s[8:9]
	s_cbranch_execz .LBB414_204
.LBB414_271:
	v_sub_u32_e32 v12, v28, v8
	v_mov_b32_e32 v13, 0
	v_lshlrev_b64 v[12:13], 1, v[12:13]
	v_add_co_u32_e32 v12, vcc, v7, v12
	v_addc_co_u32_e32 v13, vcc, v9, v13, vcc
	global_store_short_d16_hi v[12:13], v14, off
	s_or_b64 exec, exec, s[40:41]
	s_and_saveexec_b64 s[40:41], s[6:7]
	s_cbranch_execz .LBB414_205
.LBB414_272:
	v_sub_u32_e32 v12, v26, v8
	v_mov_b32_e32 v13, 0
	v_lshlrev_b64 v[12:13], 1, v[12:13]
	v_add_co_u32_e32 v12, vcc, v7, v12
	v_addc_co_u32_e32 v13, vcc, v9, v13, vcc
	global_store_short v[12:13], v15, off
	s_or_b64 exec, exec, s[40:41]
	s_and_saveexec_b64 s[40:41], s[4:5]
	s_cbranch_execz .LBB414_206
.LBB414_273:
	v_sub_u32_e32 v12, v24, v8
	v_mov_b32_e32 v13, 0
	v_lshlrev_b64 v[12:13], 1, v[12:13]
	v_add_co_u32_e32 v12, vcc, v7, v12
	v_addc_co_u32_e32 v13, vcc, v9, v13, vcc
	global_store_short_d16_hi v[12:13], v15, off
	s_or_b64 exec, exec, s[40:41]
	s_and_saveexec_b64 s[40:41], s[2:3]
	s_cbranch_execnz .LBB414_207
	s_branch .LBB414_208
.LBB414_274:
	v_sub_u32_e32 v10, v48, v8
	v_lshlrev_b32_e32 v10, 1, v10
	ds_write_b16 v10, v1
	s_or_b64 exec, exec, s[40:41]
	s_and_saveexec_b64 s[28:29], s[26:27]
	s_cbranch_execz .LBB414_212
.LBB414_275:
	v_sub_u32_e32 v1, v46, v8
	v_lshlrev_b32_e32 v1, 1, v1
	ds_write_b16 v1, v2
	s_or_b64 exec, exec, s[28:29]
	s_and_saveexec_b64 s[26:27], s[24:25]
	s_cbranch_execz .LBB414_213
.LBB414_276:
	v_sub_u32_e32 v1, v44, v8
	v_lshlrev_b32_e32 v1, 1, v1
	ds_write_b16_d16_hi v1, v2
	s_or_b64 exec, exec, s[26:27]
	s_and_saveexec_b64 s[24:25], s[22:23]
	s_cbranch_execz .LBB414_214
.LBB414_277:
	v_sub_u32_e32 v1, v42, v8
	v_lshlrev_b32_e32 v1, 1, v1
	ds_write_b16 v1, v3
	s_or_b64 exec, exec, s[24:25]
	s_and_saveexec_b64 s[22:23], s[20:21]
	s_cbranch_execz .LBB414_215
.LBB414_278:
	v_sub_u32_e32 v1, v40, v8
	v_lshlrev_b32_e32 v1, 1, v1
	ds_write_b16_d16_hi v1, v3
	s_or_b64 exec, exec, s[22:23]
	s_and_saveexec_b64 s[20:21], s[18:19]
	s_cbranch_execz .LBB414_216
.LBB414_279:
	v_sub_u32_e32 v1, v38, v8
	v_lshlrev_b32_e32 v1, 1, v1
	ds_write_b16 v1, v4
	s_or_b64 exec, exec, s[20:21]
	s_and_saveexec_b64 s[18:19], s[16:17]
	s_cbranch_execz .LBB414_217
.LBB414_280:
	v_sub_u32_e32 v1, v36, v8
	v_lshlrev_b32_e32 v1, 1, v1
	ds_write_b16_d16_hi v1, v4
	s_or_b64 exec, exec, s[18:19]
	s_and_saveexec_b64 s[16:17], s[14:15]
	s_cbranch_execz .LBB414_218
.LBB414_281:
	v_sub_u32_e32 v1, v34, v8
	v_lshlrev_b32_e32 v1, 1, v1
	ds_write_b16 v1, v5
	s_or_b64 exec, exec, s[16:17]
	s_and_saveexec_b64 s[14:15], s[12:13]
	s_cbranch_execz .LBB414_219
.LBB414_282:
	v_sub_u32_e32 v1, v32, v8
	v_lshlrev_b32_e32 v1, 1, v1
	ds_write_b16_d16_hi v1, v5
	s_or_b64 exec, exec, s[14:15]
	s_and_saveexec_b64 s[12:13], s[10:11]
	s_cbranch_execz .LBB414_220
.LBB414_283:
	v_sub_u32_e32 v1, v30, v8
	v_lshlrev_b32_e32 v1, 1, v1
	ds_write_b16 v1, v14
	s_or_b64 exec, exec, s[12:13]
	s_and_saveexec_b64 s[10:11], s[8:9]
	s_cbranch_execz .LBB414_221
.LBB414_284:
	v_sub_u32_e32 v1, v28, v8
	v_lshlrev_b32_e32 v1, 1, v1
	ds_write_b16_d16_hi v1, v14
	s_or_b64 exec, exec, s[10:11]
	s_and_saveexec_b64 s[8:9], s[6:7]
	s_cbranch_execz .LBB414_222
.LBB414_285:
	v_sub_u32_e32 v1, v26, v8
	v_lshlrev_b32_e32 v1, 1, v1
	ds_write_b16 v1, v15
	s_or_b64 exec, exec, s[8:9]
	s_and_saveexec_b64 s[6:7], s[4:5]
	s_cbranch_execz .LBB414_223
.LBB414_286:
	v_sub_u32_e32 v1, v24, v8
	v_lshlrev_b32_e32 v1, 1, v1
	ds_write_b16_d16_hi v1, v15
	s_or_b64 exec, exec, s[6:7]
	s_and_saveexec_b64 s[4:5], s[2:3]
	s_cbranch_execnz .LBB414_224
	s_branch .LBB414_225
.LBB414_287:
	v_sub_u32_e32 v10, v48, v3
	v_mov_b32_e32 v11, 0
	v_lshlrev_b64 v[10:11], 1, v[10:11]
	v_add_co_u32_e32 v10, vcc, v15, v10
	v_addc_co_u32_e32 v11, vcc, v16, v11, vcc
	global_store_short v[10:11], v49, off
	s_or_b64 exec, exec, s[38:39]
	s_and_saveexec_b64 s[38:39], s[26:27]
	s_cbranch_execz .LBB414_229
.LBB414_288:
	v_sub_u32_e32 v10, v46, v3
	v_mov_b32_e32 v11, 0
	v_lshlrev_b64 v[10:11], 1, v[10:11]
	v_add_co_u32_e32 v10, vcc, v15, v10
	v_addc_co_u32_e32 v11, vcc, v16, v11, vcc
	global_store_short v[10:11], v47, off
	s_or_b64 exec, exec, s[38:39]
	s_and_saveexec_b64 s[38:39], s[24:25]
	s_cbranch_execz .LBB414_230
.LBB414_289:
	v_sub_u32_e32 v10, v44, v3
	v_mov_b32_e32 v11, 0
	v_lshlrev_b64 v[10:11], 1, v[10:11]
	v_add_co_u32_e32 v10, vcc, v15, v10
	v_addc_co_u32_e32 v11, vcc, v16, v11, vcc
	global_store_short v[10:11], v45, off
	s_or_b64 exec, exec, s[38:39]
	s_and_saveexec_b64 s[38:39], s[22:23]
	s_cbranch_execz .LBB414_231
.LBB414_290:
	v_sub_u32_e32 v10, v42, v3
	v_mov_b32_e32 v11, 0
	v_lshlrev_b64 v[10:11], 1, v[10:11]
	v_add_co_u32_e32 v10, vcc, v15, v10
	v_addc_co_u32_e32 v11, vcc, v16, v11, vcc
	global_store_short v[10:11], v43, off
	s_or_b64 exec, exec, s[38:39]
	s_and_saveexec_b64 s[38:39], s[20:21]
	s_cbranch_execz .LBB414_232
.LBB414_291:
	v_sub_u32_e32 v10, v40, v3
	v_mov_b32_e32 v11, 0
	v_lshlrev_b64 v[10:11], 1, v[10:11]
	v_add_co_u32_e32 v10, vcc, v15, v10
	v_addc_co_u32_e32 v11, vcc, v16, v11, vcc
	global_store_short v[10:11], v41, off
	s_or_b64 exec, exec, s[38:39]
	s_and_saveexec_b64 s[38:39], s[18:19]
	s_cbranch_execz .LBB414_233
.LBB414_292:
	v_sub_u32_e32 v10, v38, v3
	v_mov_b32_e32 v11, 0
	v_lshlrev_b64 v[10:11], 1, v[10:11]
	v_add_co_u32_e32 v10, vcc, v15, v10
	v_addc_co_u32_e32 v11, vcc, v16, v11, vcc
	global_store_short v[10:11], v39, off
	s_or_b64 exec, exec, s[38:39]
	s_and_saveexec_b64 s[38:39], s[16:17]
	s_cbranch_execz .LBB414_234
.LBB414_293:
	v_sub_u32_e32 v10, v36, v3
	v_mov_b32_e32 v11, 0
	v_lshlrev_b64 v[10:11], 1, v[10:11]
	v_add_co_u32_e32 v10, vcc, v15, v10
	v_addc_co_u32_e32 v11, vcc, v16, v11, vcc
	global_store_short v[10:11], v37, off
	s_or_b64 exec, exec, s[38:39]
	s_and_saveexec_b64 s[38:39], s[14:15]
	s_cbranch_execz .LBB414_235
.LBB414_294:
	v_sub_u32_e32 v10, v34, v3
	v_mov_b32_e32 v11, 0
	v_lshlrev_b64 v[10:11], 1, v[10:11]
	v_add_co_u32_e32 v10, vcc, v15, v10
	v_addc_co_u32_e32 v11, vcc, v16, v11, vcc
	global_store_short v[10:11], v35, off
	s_or_b64 exec, exec, s[38:39]
	s_and_saveexec_b64 s[38:39], s[12:13]
	s_cbranch_execz .LBB414_236
.LBB414_295:
	v_sub_u32_e32 v10, v32, v3
	v_mov_b32_e32 v11, 0
	v_lshlrev_b64 v[10:11], 1, v[10:11]
	v_add_co_u32_e32 v10, vcc, v15, v10
	v_addc_co_u32_e32 v11, vcc, v16, v11, vcc
	global_store_short v[10:11], v33, off
	s_or_b64 exec, exec, s[38:39]
	s_and_saveexec_b64 s[38:39], s[10:11]
	s_cbranch_execz .LBB414_237
.LBB414_296:
	v_sub_u32_e32 v10, v30, v3
	v_mov_b32_e32 v11, 0
	v_lshlrev_b64 v[10:11], 1, v[10:11]
	v_add_co_u32_e32 v10, vcc, v15, v10
	v_addc_co_u32_e32 v11, vcc, v16, v11, vcc
	global_store_short v[10:11], v31, off
	s_or_b64 exec, exec, s[38:39]
	s_and_saveexec_b64 s[38:39], s[8:9]
	s_cbranch_execz .LBB414_238
.LBB414_297:
	v_sub_u32_e32 v10, v28, v3
	v_mov_b32_e32 v11, 0
	v_lshlrev_b64 v[10:11], 1, v[10:11]
	v_add_co_u32_e32 v10, vcc, v15, v10
	v_addc_co_u32_e32 v11, vcc, v16, v11, vcc
	global_store_short v[10:11], v29, off
	s_or_b64 exec, exec, s[38:39]
	s_and_saveexec_b64 s[38:39], s[6:7]
	s_cbranch_execz .LBB414_239
.LBB414_298:
	v_sub_u32_e32 v10, v26, v3
	v_mov_b32_e32 v11, 0
	v_lshlrev_b64 v[10:11], 1, v[10:11]
	v_add_co_u32_e32 v10, vcc, v15, v10
	v_addc_co_u32_e32 v11, vcc, v16, v11, vcc
	global_store_short v[10:11], v27, off
	s_or_b64 exec, exec, s[38:39]
	s_and_saveexec_b64 s[38:39], s[4:5]
	s_cbranch_execz .LBB414_240
.LBB414_299:
	v_sub_u32_e32 v10, v24, v3
	v_mov_b32_e32 v11, 0
	v_lshlrev_b64 v[10:11], 1, v[10:11]
	v_add_co_u32_e32 v10, vcc, v15, v10
	v_addc_co_u32_e32 v11, vcc, v16, v11, vcc
	global_store_short v[10:11], v25, off
	s_or_b64 exec, exec, s[38:39]
	s_and_saveexec_b64 s[38:39], s[2:3]
	s_cbranch_execnz .LBB414_241
	s_branch .LBB414_242
.LBB414_300:
	v_sub_u32_e32 v4, v48, v3
	v_lshlrev_b32_e32 v4, 1, v4
	ds_write_b16 v4, v49
	s_or_b64 exec, exec, s[38:39]
	s_and_saveexec_b64 s[28:29], s[26:27]
	s_cbranch_execz .LBB414_246
.LBB414_301:
	v_sub_u32_e32 v4, v46, v3
	v_lshlrev_b32_e32 v4, 1, v4
	ds_write_b16 v4, v47
	s_or_b64 exec, exec, s[28:29]
	s_and_saveexec_b64 s[26:27], s[24:25]
	s_cbranch_execz .LBB414_247
.LBB414_302:
	v_sub_u32_e32 v4, v44, v3
	v_lshlrev_b32_e32 v4, 1, v4
	ds_write_b16 v4, v45
	s_or_b64 exec, exec, s[26:27]
	s_and_saveexec_b64 s[24:25], s[22:23]
	s_cbranch_execz .LBB414_248
.LBB414_303:
	v_sub_u32_e32 v4, v42, v3
	v_lshlrev_b32_e32 v4, 1, v4
	ds_write_b16 v4, v43
	s_or_b64 exec, exec, s[24:25]
	s_and_saveexec_b64 s[22:23], s[20:21]
	s_cbranch_execz .LBB414_249
.LBB414_304:
	v_sub_u32_e32 v4, v40, v3
	v_lshlrev_b32_e32 v4, 1, v4
	ds_write_b16 v4, v41
	s_or_b64 exec, exec, s[22:23]
	s_and_saveexec_b64 s[20:21], s[18:19]
	s_cbranch_execz .LBB414_250
.LBB414_305:
	v_sub_u32_e32 v4, v38, v3
	v_lshlrev_b32_e32 v4, 1, v4
	ds_write_b16 v4, v39
	s_or_b64 exec, exec, s[20:21]
	s_and_saveexec_b64 s[18:19], s[16:17]
	s_cbranch_execz .LBB414_251
.LBB414_306:
	v_sub_u32_e32 v4, v36, v3
	v_lshlrev_b32_e32 v4, 1, v4
	ds_write_b16 v4, v37
	s_or_b64 exec, exec, s[18:19]
	s_and_saveexec_b64 s[16:17], s[14:15]
	s_cbranch_execz .LBB414_252
.LBB414_307:
	v_sub_u32_e32 v4, v34, v3
	v_lshlrev_b32_e32 v4, 1, v4
	ds_write_b16 v4, v35
	s_or_b64 exec, exec, s[16:17]
	s_and_saveexec_b64 s[14:15], s[12:13]
	s_cbranch_execz .LBB414_253
.LBB414_308:
	v_sub_u32_e32 v4, v32, v3
	v_lshlrev_b32_e32 v4, 1, v4
	ds_write_b16 v4, v33
	s_or_b64 exec, exec, s[14:15]
	s_and_saveexec_b64 s[12:13], s[10:11]
	s_cbranch_execz .LBB414_254
.LBB414_309:
	v_sub_u32_e32 v4, v30, v3
	v_lshlrev_b32_e32 v4, 1, v4
	ds_write_b16 v4, v31
	s_or_b64 exec, exec, s[12:13]
	s_and_saveexec_b64 s[10:11], s[8:9]
	s_cbranch_execz .LBB414_255
.LBB414_310:
	v_sub_u32_e32 v4, v28, v3
	v_lshlrev_b32_e32 v4, 1, v4
	ds_write_b16 v4, v29
	s_or_b64 exec, exec, s[10:11]
	s_and_saveexec_b64 s[8:9], s[6:7]
	s_cbranch_execz .LBB414_256
.LBB414_311:
	v_sub_u32_e32 v4, v26, v3
	v_lshlrev_b32_e32 v4, 1, v4
	ds_write_b16 v4, v27
	s_or_b64 exec, exec, s[8:9]
	s_and_saveexec_b64 s[6:7], s[4:5]
	s_cbranch_execz .LBB414_257
.LBB414_312:
	v_sub_u32_e32 v4, v24, v3
	v_lshlrev_b32_e32 v4, 1, v4
	ds_write_b16 v4, v25
	s_or_b64 exec, exec, s[6:7]
	s_and_saveexec_b64 s[4:5], s[2:3]
	s_cbranch_execnz .LBB414_258
	s_branch .LBB414_259
	.section	.rodata,"a",@progbits
	.p2align	6, 0x0
	.amdhsa_kernel _ZN7rocprim17ROCPRIM_400000_NS6detail17trampoline_kernelINS0_14default_configENS1_29reduce_by_key_config_selectorIttN6thrust23THRUST_200600_302600_NS4plusItEEEEZZNS1_33reduce_by_key_impl_wrapped_configILNS1_25lookback_scan_determinismE0ES3_S9_NS6_6detail15normal_iteratorINS6_10device_ptrItEEEESG_SG_SG_PmS8_NS6_8equal_toItEEEE10hipError_tPvRmT2_T3_mT4_T5_T6_T7_T8_P12ihipStream_tbENKUlT_T0_E_clISt17integral_constantIbLb1EES10_IbLb0EEEEDaSW_SX_EUlSW_E_NS1_11comp_targetILNS1_3genE4ELNS1_11target_archE910ELNS1_3gpuE8ELNS1_3repE0EEENS1_30default_config_static_selectorELNS0_4arch9wavefront6targetE1EEEvT1_
		.amdhsa_group_segment_fixed_size 7680
		.amdhsa_private_segment_fixed_size 0
		.amdhsa_kernarg_size 120
		.amdhsa_user_sgpr_count 6
		.amdhsa_user_sgpr_private_segment_buffer 1
		.amdhsa_user_sgpr_dispatch_ptr 0
		.amdhsa_user_sgpr_queue_ptr 0
		.amdhsa_user_sgpr_kernarg_segment_ptr 1
		.amdhsa_user_sgpr_dispatch_id 0
		.amdhsa_user_sgpr_flat_scratch_init 0
		.amdhsa_user_sgpr_kernarg_preload_length 0
		.amdhsa_user_sgpr_kernarg_preload_offset 0
		.amdhsa_user_sgpr_private_segment_size 0
		.amdhsa_uses_dynamic_stack 0
		.amdhsa_system_sgpr_private_segment_wavefront_offset 0
		.amdhsa_system_sgpr_workgroup_id_x 1
		.amdhsa_system_sgpr_workgroup_id_y 0
		.amdhsa_system_sgpr_workgroup_id_z 0
		.amdhsa_system_sgpr_workgroup_info 0
		.amdhsa_system_vgpr_workitem_id 0
		.amdhsa_next_free_vgpr 111
		.amdhsa_next_free_sgpr 63
		.amdhsa_accum_offset 112
		.amdhsa_reserve_vcc 1
		.amdhsa_reserve_flat_scratch 0
		.amdhsa_float_round_mode_32 0
		.amdhsa_float_round_mode_16_64 0
		.amdhsa_float_denorm_mode_32 3
		.amdhsa_float_denorm_mode_16_64 3
		.amdhsa_dx10_clamp 1
		.amdhsa_ieee_mode 1
		.amdhsa_fp16_overflow 0
		.amdhsa_tg_split 0
		.amdhsa_exception_fp_ieee_invalid_op 0
		.amdhsa_exception_fp_denorm_src 0
		.amdhsa_exception_fp_ieee_div_zero 0
		.amdhsa_exception_fp_ieee_overflow 0
		.amdhsa_exception_fp_ieee_underflow 0
		.amdhsa_exception_fp_ieee_inexact 0
		.amdhsa_exception_int_div_zero 0
	.end_amdhsa_kernel
	.section	.text._ZN7rocprim17ROCPRIM_400000_NS6detail17trampoline_kernelINS0_14default_configENS1_29reduce_by_key_config_selectorIttN6thrust23THRUST_200600_302600_NS4plusItEEEEZZNS1_33reduce_by_key_impl_wrapped_configILNS1_25lookback_scan_determinismE0ES3_S9_NS6_6detail15normal_iteratorINS6_10device_ptrItEEEESG_SG_SG_PmS8_NS6_8equal_toItEEEE10hipError_tPvRmT2_T3_mT4_T5_T6_T7_T8_P12ihipStream_tbENKUlT_T0_E_clISt17integral_constantIbLb1EES10_IbLb0EEEEDaSW_SX_EUlSW_E_NS1_11comp_targetILNS1_3genE4ELNS1_11target_archE910ELNS1_3gpuE8ELNS1_3repE0EEENS1_30default_config_static_selectorELNS0_4arch9wavefront6targetE1EEEvT1_,"axG",@progbits,_ZN7rocprim17ROCPRIM_400000_NS6detail17trampoline_kernelINS0_14default_configENS1_29reduce_by_key_config_selectorIttN6thrust23THRUST_200600_302600_NS4plusItEEEEZZNS1_33reduce_by_key_impl_wrapped_configILNS1_25lookback_scan_determinismE0ES3_S9_NS6_6detail15normal_iteratorINS6_10device_ptrItEEEESG_SG_SG_PmS8_NS6_8equal_toItEEEE10hipError_tPvRmT2_T3_mT4_T5_T6_T7_T8_P12ihipStream_tbENKUlT_T0_E_clISt17integral_constantIbLb1EES10_IbLb0EEEEDaSW_SX_EUlSW_E_NS1_11comp_targetILNS1_3genE4ELNS1_11target_archE910ELNS1_3gpuE8ELNS1_3repE0EEENS1_30default_config_static_selectorELNS0_4arch9wavefront6targetE1EEEvT1_,comdat
.Lfunc_end414:
	.size	_ZN7rocprim17ROCPRIM_400000_NS6detail17trampoline_kernelINS0_14default_configENS1_29reduce_by_key_config_selectorIttN6thrust23THRUST_200600_302600_NS4plusItEEEEZZNS1_33reduce_by_key_impl_wrapped_configILNS1_25lookback_scan_determinismE0ES3_S9_NS6_6detail15normal_iteratorINS6_10device_ptrItEEEESG_SG_SG_PmS8_NS6_8equal_toItEEEE10hipError_tPvRmT2_T3_mT4_T5_T6_T7_T8_P12ihipStream_tbENKUlT_T0_E_clISt17integral_constantIbLb1EES10_IbLb0EEEEDaSW_SX_EUlSW_E_NS1_11comp_targetILNS1_3genE4ELNS1_11target_archE910ELNS1_3gpuE8ELNS1_3repE0EEENS1_30default_config_static_selectorELNS0_4arch9wavefront6targetE1EEEvT1_, .Lfunc_end414-_ZN7rocprim17ROCPRIM_400000_NS6detail17trampoline_kernelINS0_14default_configENS1_29reduce_by_key_config_selectorIttN6thrust23THRUST_200600_302600_NS4plusItEEEEZZNS1_33reduce_by_key_impl_wrapped_configILNS1_25lookback_scan_determinismE0ES3_S9_NS6_6detail15normal_iteratorINS6_10device_ptrItEEEESG_SG_SG_PmS8_NS6_8equal_toItEEEE10hipError_tPvRmT2_T3_mT4_T5_T6_T7_T8_P12ihipStream_tbENKUlT_T0_E_clISt17integral_constantIbLb1EES10_IbLb0EEEEDaSW_SX_EUlSW_E_NS1_11comp_targetILNS1_3genE4ELNS1_11target_archE910ELNS1_3gpuE8ELNS1_3repE0EEENS1_30default_config_static_selectorELNS0_4arch9wavefront6targetE1EEEvT1_
                                        ; -- End function
	.section	.AMDGPU.csdata,"",@progbits
; Kernel info:
; codeLenInByte = 18068
; NumSgprs: 67
; NumVgprs: 111
; NumAgprs: 0
; TotalNumVgprs: 111
; ScratchSize: 0
; MemoryBound: 0
; FloatMode: 240
; IeeeMode: 1
; LDSByteSize: 7680 bytes/workgroup (compile time only)
; SGPRBlocks: 8
; VGPRBlocks: 13
; NumSGPRsForWavesPerEU: 67
; NumVGPRsForWavesPerEU: 111
; AccumOffset: 112
; Occupancy: 4
; WaveLimiterHint : 1
; COMPUTE_PGM_RSRC2:SCRATCH_EN: 0
; COMPUTE_PGM_RSRC2:USER_SGPR: 6
; COMPUTE_PGM_RSRC2:TRAP_HANDLER: 0
; COMPUTE_PGM_RSRC2:TGID_X_EN: 1
; COMPUTE_PGM_RSRC2:TGID_Y_EN: 0
; COMPUTE_PGM_RSRC2:TGID_Z_EN: 0
; COMPUTE_PGM_RSRC2:TIDIG_COMP_CNT: 0
; COMPUTE_PGM_RSRC3_GFX90A:ACCUM_OFFSET: 27
; COMPUTE_PGM_RSRC3_GFX90A:TG_SPLIT: 0
	.section	.text._ZN7rocprim17ROCPRIM_400000_NS6detail17trampoline_kernelINS0_14default_configENS1_29reduce_by_key_config_selectorIttN6thrust23THRUST_200600_302600_NS4plusItEEEEZZNS1_33reduce_by_key_impl_wrapped_configILNS1_25lookback_scan_determinismE0ES3_S9_NS6_6detail15normal_iteratorINS6_10device_ptrItEEEESG_SG_SG_PmS8_NS6_8equal_toItEEEE10hipError_tPvRmT2_T3_mT4_T5_T6_T7_T8_P12ihipStream_tbENKUlT_T0_E_clISt17integral_constantIbLb1EES10_IbLb0EEEEDaSW_SX_EUlSW_E_NS1_11comp_targetILNS1_3genE3ELNS1_11target_archE908ELNS1_3gpuE7ELNS1_3repE0EEENS1_30default_config_static_selectorELNS0_4arch9wavefront6targetE1EEEvT1_,"axG",@progbits,_ZN7rocprim17ROCPRIM_400000_NS6detail17trampoline_kernelINS0_14default_configENS1_29reduce_by_key_config_selectorIttN6thrust23THRUST_200600_302600_NS4plusItEEEEZZNS1_33reduce_by_key_impl_wrapped_configILNS1_25lookback_scan_determinismE0ES3_S9_NS6_6detail15normal_iteratorINS6_10device_ptrItEEEESG_SG_SG_PmS8_NS6_8equal_toItEEEE10hipError_tPvRmT2_T3_mT4_T5_T6_T7_T8_P12ihipStream_tbENKUlT_T0_E_clISt17integral_constantIbLb1EES10_IbLb0EEEEDaSW_SX_EUlSW_E_NS1_11comp_targetILNS1_3genE3ELNS1_11target_archE908ELNS1_3gpuE7ELNS1_3repE0EEENS1_30default_config_static_selectorELNS0_4arch9wavefront6targetE1EEEvT1_,comdat
	.protected	_ZN7rocprim17ROCPRIM_400000_NS6detail17trampoline_kernelINS0_14default_configENS1_29reduce_by_key_config_selectorIttN6thrust23THRUST_200600_302600_NS4plusItEEEEZZNS1_33reduce_by_key_impl_wrapped_configILNS1_25lookback_scan_determinismE0ES3_S9_NS6_6detail15normal_iteratorINS6_10device_ptrItEEEESG_SG_SG_PmS8_NS6_8equal_toItEEEE10hipError_tPvRmT2_T3_mT4_T5_T6_T7_T8_P12ihipStream_tbENKUlT_T0_E_clISt17integral_constantIbLb1EES10_IbLb0EEEEDaSW_SX_EUlSW_E_NS1_11comp_targetILNS1_3genE3ELNS1_11target_archE908ELNS1_3gpuE7ELNS1_3repE0EEENS1_30default_config_static_selectorELNS0_4arch9wavefront6targetE1EEEvT1_ ; -- Begin function _ZN7rocprim17ROCPRIM_400000_NS6detail17trampoline_kernelINS0_14default_configENS1_29reduce_by_key_config_selectorIttN6thrust23THRUST_200600_302600_NS4plusItEEEEZZNS1_33reduce_by_key_impl_wrapped_configILNS1_25lookback_scan_determinismE0ES3_S9_NS6_6detail15normal_iteratorINS6_10device_ptrItEEEESG_SG_SG_PmS8_NS6_8equal_toItEEEE10hipError_tPvRmT2_T3_mT4_T5_T6_T7_T8_P12ihipStream_tbENKUlT_T0_E_clISt17integral_constantIbLb1EES10_IbLb0EEEEDaSW_SX_EUlSW_E_NS1_11comp_targetILNS1_3genE3ELNS1_11target_archE908ELNS1_3gpuE7ELNS1_3repE0EEENS1_30default_config_static_selectorELNS0_4arch9wavefront6targetE1EEEvT1_
	.globl	_ZN7rocprim17ROCPRIM_400000_NS6detail17trampoline_kernelINS0_14default_configENS1_29reduce_by_key_config_selectorIttN6thrust23THRUST_200600_302600_NS4plusItEEEEZZNS1_33reduce_by_key_impl_wrapped_configILNS1_25lookback_scan_determinismE0ES3_S9_NS6_6detail15normal_iteratorINS6_10device_ptrItEEEESG_SG_SG_PmS8_NS6_8equal_toItEEEE10hipError_tPvRmT2_T3_mT4_T5_T6_T7_T8_P12ihipStream_tbENKUlT_T0_E_clISt17integral_constantIbLb1EES10_IbLb0EEEEDaSW_SX_EUlSW_E_NS1_11comp_targetILNS1_3genE3ELNS1_11target_archE908ELNS1_3gpuE7ELNS1_3repE0EEENS1_30default_config_static_selectorELNS0_4arch9wavefront6targetE1EEEvT1_
	.p2align	8
	.type	_ZN7rocprim17ROCPRIM_400000_NS6detail17trampoline_kernelINS0_14default_configENS1_29reduce_by_key_config_selectorIttN6thrust23THRUST_200600_302600_NS4plusItEEEEZZNS1_33reduce_by_key_impl_wrapped_configILNS1_25lookback_scan_determinismE0ES3_S9_NS6_6detail15normal_iteratorINS6_10device_ptrItEEEESG_SG_SG_PmS8_NS6_8equal_toItEEEE10hipError_tPvRmT2_T3_mT4_T5_T6_T7_T8_P12ihipStream_tbENKUlT_T0_E_clISt17integral_constantIbLb1EES10_IbLb0EEEEDaSW_SX_EUlSW_E_NS1_11comp_targetILNS1_3genE3ELNS1_11target_archE908ELNS1_3gpuE7ELNS1_3repE0EEENS1_30default_config_static_selectorELNS0_4arch9wavefront6targetE1EEEvT1_,@function
_ZN7rocprim17ROCPRIM_400000_NS6detail17trampoline_kernelINS0_14default_configENS1_29reduce_by_key_config_selectorIttN6thrust23THRUST_200600_302600_NS4plusItEEEEZZNS1_33reduce_by_key_impl_wrapped_configILNS1_25lookback_scan_determinismE0ES3_S9_NS6_6detail15normal_iteratorINS6_10device_ptrItEEEESG_SG_SG_PmS8_NS6_8equal_toItEEEE10hipError_tPvRmT2_T3_mT4_T5_T6_T7_T8_P12ihipStream_tbENKUlT_T0_E_clISt17integral_constantIbLb1EES10_IbLb0EEEEDaSW_SX_EUlSW_E_NS1_11comp_targetILNS1_3genE3ELNS1_11target_archE908ELNS1_3gpuE7ELNS1_3repE0EEENS1_30default_config_static_selectorELNS0_4arch9wavefront6targetE1EEEvT1_: ; @_ZN7rocprim17ROCPRIM_400000_NS6detail17trampoline_kernelINS0_14default_configENS1_29reduce_by_key_config_selectorIttN6thrust23THRUST_200600_302600_NS4plusItEEEEZZNS1_33reduce_by_key_impl_wrapped_configILNS1_25lookback_scan_determinismE0ES3_S9_NS6_6detail15normal_iteratorINS6_10device_ptrItEEEESG_SG_SG_PmS8_NS6_8equal_toItEEEE10hipError_tPvRmT2_T3_mT4_T5_T6_T7_T8_P12ihipStream_tbENKUlT_T0_E_clISt17integral_constantIbLb1EES10_IbLb0EEEEDaSW_SX_EUlSW_E_NS1_11comp_targetILNS1_3genE3ELNS1_11target_archE908ELNS1_3gpuE7ELNS1_3repE0EEENS1_30default_config_static_selectorELNS0_4arch9wavefront6targetE1EEEvT1_
; %bb.0:
	.section	.rodata,"a",@progbits
	.p2align	6, 0x0
	.amdhsa_kernel _ZN7rocprim17ROCPRIM_400000_NS6detail17trampoline_kernelINS0_14default_configENS1_29reduce_by_key_config_selectorIttN6thrust23THRUST_200600_302600_NS4plusItEEEEZZNS1_33reduce_by_key_impl_wrapped_configILNS1_25lookback_scan_determinismE0ES3_S9_NS6_6detail15normal_iteratorINS6_10device_ptrItEEEESG_SG_SG_PmS8_NS6_8equal_toItEEEE10hipError_tPvRmT2_T3_mT4_T5_T6_T7_T8_P12ihipStream_tbENKUlT_T0_E_clISt17integral_constantIbLb1EES10_IbLb0EEEEDaSW_SX_EUlSW_E_NS1_11comp_targetILNS1_3genE3ELNS1_11target_archE908ELNS1_3gpuE7ELNS1_3repE0EEENS1_30default_config_static_selectorELNS0_4arch9wavefront6targetE1EEEvT1_
		.amdhsa_group_segment_fixed_size 0
		.amdhsa_private_segment_fixed_size 0
		.amdhsa_kernarg_size 120
		.amdhsa_user_sgpr_count 6
		.amdhsa_user_sgpr_private_segment_buffer 1
		.amdhsa_user_sgpr_dispatch_ptr 0
		.amdhsa_user_sgpr_queue_ptr 0
		.amdhsa_user_sgpr_kernarg_segment_ptr 1
		.amdhsa_user_sgpr_dispatch_id 0
		.amdhsa_user_sgpr_flat_scratch_init 0
		.amdhsa_user_sgpr_kernarg_preload_length 0
		.amdhsa_user_sgpr_kernarg_preload_offset 0
		.amdhsa_user_sgpr_private_segment_size 0
		.amdhsa_uses_dynamic_stack 0
		.amdhsa_system_sgpr_private_segment_wavefront_offset 0
		.amdhsa_system_sgpr_workgroup_id_x 1
		.amdhsa_system_sgpr_workgroup_id_y 0
		.amdhsa_system_sgpr_workgroup_id_z 0
		.amdhsa_system_sgpr_workgroup_info 0
		.amdhsa_system_vgpr_workitem_id 0
		.amdhsa_next_free_vgpr 1
		.amdhsa_next_free_sgpr 0
		.amdhsa_accum_offset 4
		.amdhsa_reserve_vcc 0
		.amdhsa_reserve_flat_scratch 0
		.amdhsa_float_round_mode_32 0
		.amdhsa_float_round_mode_16_64 0
		.amdhsa_float_denorm_mode_32 3
		.amdhsa_float_denorm_mode_16_64 3
		.amdhsa_dx10_clamp 1
		.amdhsa_ieee_mode 1
		.amdhsa_fp16_overflow 0
		.amdhsa_tg_split 0
		.amdhsa_exception_fp_ieee_invalid_op 0
		.amdhsa_exception_fp_denorm_src 0
		.amdhsa_exception_fp_ieee_div_zero 0
		.amdhsa_exception_fp_ieee_overflow 0
		.amdhsa_exception_fp_ieee_underflow 0
		.amdhsa_exception_fp_ieee_inexact 0
		.amdhsa_exception_int_div_zero 0
	.end_amdhsa_kernel
	.section	.text._ZN7rocprim17ROCPRIM_400000_NS6detail17trampoline_kernelINS0_14default_configENS1_29reduce_by_key_config_selectorIttN6thrust23THRUST_200600_302600_NS4plusItEEEEZZNS1_33reduce_by_key_impl_wrapped_configILNS1_25lookback_scan_determinismE0ES3_S9_NS6_6detail15normal_iteratorINS6_10device_ptrItEEEESG_SG_SG_PmS8_NS6_8equal_toItEEEE10hipError_tPvRmT2_T3_mT4_T5_T6_T7_T8_P12ihipStream_tbENKUlT_T0_E_clISt17integral_constantIbLb1EES10_IbLb0EEEEDaSW_SX_EUlSW_E_NS1_11comp_targetILNS1_3genE3ELNS1_11target_archE908ELNS1_3gpuE7ELNS1_3repE0EEENS1_30default_config_static_selectorELNS0_4arch9wavefront6targetE1EEEvT1_,"axG",@progbits,_ZN7rocprim17ROCPRIM_400000_NS6detail17trampoline_kernelINS0_14default_configENS1_29reduce_by_key_config_selectorIttN6thrust23THRUST_200600_302600_NS4plusItEEEEZZNS1_33reduce_by_key_impl_wrapped_configILNS1_25lookback_scan_determinismE0ES3_S9_NS6_6detail15normal_iteratorINS6_10device_ptrItEEEESG_SG_SG_PmS8_NS6_8equal_toItEEEE10hipError_tPvRmT2_T3_mT4_T5_T6_T7_T8_P12ihipStream_tbENKUlT_T0_E_clISt17integral_constantIbLb1EES10_IbLb0EEEEDaSW_SX_EUlSW_E_NS1_11comp_targetILNS1_3genE3ELNS1_11target_archE908ELNS1_3gpuE7ELNS1_3repE0EEENS1_30default_config_static_selectorELNS0_4arch9wavefront6targetE1EEEvT1_,comdat
.Lfunc_end415:
	.size	_ZN7rocprim17ROCPRIM_400000_NS6detail17trampoline_kernelINS0_14default_configENS1_29reduce_by_key_config_selectorIttN6thrust23THRUST_200600_302600_NS4plusItEEEEZZNS1_33reduce_by_key_impl_wrapped_configILNS1_25lookback_scan_determinismE0ES3_S9_NS6_6detail15normal_iteratorINS6_10device_ptrItEEEESG_SG_SG_PmS8_NS6_8equal_toItEEEE10hipError_tPvRmT2_T3_mT4_T5_T6_T7_T8_P12ihipStream_tbENKUlT_T0_E_clISt17integral_constantIbLb1EES10_IbLb0EEEEDaSW_SX_EUlSW_E_NS1_11comp_targetILNS1_3genE3ELNS1_11target_archE908ELNS1_3gpuE7ELNS1_3repE0EEENS1_30default_config_static_selectorELNS0_4arch9wavefront6targetE1EEEvT1_, .Lfunc_end415-_ZN7rocprim17ROCPRIM_400000_NS6detail17trampoline_kernelINS0_14default_configENS1_29reduce_by_key_config_selectorIttN6thrust23THRUST_200600_302600_NS4plusItEEEEZZNS1_33reduce_by_key_impl_wrapped_configILNS1_25lookback_scan_determinismE0ES3_S9_NS6_6detail15normal_iteratorINS6_10device_ptrItEEEESG_SG_SG_PmS8_NS6_8equal_toItEEEE10hipError_tPvRmT2_T3_mT4_T5_T6_T7_T8_P12ihipStream_tbENKUlT_T0_E_clISt17integral_constantIbLb1EES10_IbLb0EEEEDaSW_SX_EUlSW_E_NS1_11comp_targetILNS1_3genE3ELNS1_11target_archE908ELNS1_3gpuE7ELNS1_3repE0EEENS1_30default_config_static_selectorELNS0_4arch9wavefront6targetE1EEEvT1_
                                        ; -- End function
	.section	.AMDGPU.csdata,"",@progbits
; Kernel info:
; codeLenInByte = 0
; NumSgprs: 4
; NumVgprs: 0
; NumAgprs: 0
; TotalNumVgprs: 0
; ScratchSize: 0
; MemoryBound: 0
; FloatMode: 240
; IeeeMode: 1
; LDSByteSize: 0 bytes/workgroup (compile time only)
; SGPRBlocks: 0
; VGPRBlocks: 0
; NumSGPRsForWavesPerEU: 4
; NumVGPRsForWavesPerEU: 1
; AccumOffset: 4
; Occupancy: 8
; WaveLimiterHint : 0
; COMPUTE_PGM_RSRC2:SCRATCH_EN: 0
; COMPUTE_PGM_RSRC2:USER_SGPR: 6
; COMPUTE_PGM_RSRC2:TRAP_HANDLER: 0
; COMPUTE_PGM_RSRC2:TGID_X_EN: 1
; COMPUTE_PGM_RSRC2:TGID_Y_EN: 0
; COMPUTE_PGM_RSRC2:TGID_Z_EN: 0
; COMPUTE_PGM_RSRC2:TIDIG_COMP_CNT: 0
; COMPUTE_PGM_RSRC3_GFX90A:ACCUM_OFFSET: 0
; COMPUTE_PGM_RSRC3_GFX90A:TG_SPLIT: 0
	.section	.text._ZN7rocprim17ROCPRIM_400000_NS6detail17trampoline_kernelINS0_14default_configENS1_29reduce_by_key_config_selectorIttN6thrust23THRUST_200600_302600_NS4plusItEEEEZZNS1_33reduce_by_key_impl_wrapped_configILNS1_25lookback_scan_determinismE0ES3_S9_NS6_6detail15normal_iteratorINS6_10device_ptrItEEEESG_SG_SG_PmS8_NS6_8equal_toItEEEE10hipError_tPvRmT2_T3_mT4_T5_T6_T7_T8_P12ihipStream_tbENKUlT_T0_E_clISt17integral_constantIbLb1EES10_IbLb0EEEEDaSW_SX_EUlSW_E_NS1_11comp_targetILNS1_3genE2ELNS1_11target_archE906ELNS1_3gpuE6ELNS1_3repE0EEENS1_30default_config_static_selectorELNS0_4arch9wavefront6targetE1EEEvT1_,"axG",@progbits,_ZN7rocprim17ROCPRIM_400000_NS6detail17trampoline_kernelINS0_14default_configENS1_29reduce_by_key_config_selectorIttN6thrust23THRUST_200600_302600_NS4plusItEEEEZZNS1_33reduce_by_key_impl_wrapped_configILNS1_25lookback_scan_determinismE0ES3_S9_NS6_6detail15normal_iteratorINS6_10device_ptrItEEEESG_SG_SG_PmS8_NS6_8equal_toItEEEE10hipError_tPvRmT2_T3_mT4_T5_T6_T7_T8_P12ihipStream_tbENKUlT_T0_E_clISt17integral_constantIbLb1EES10_IbLb0EEEEDaSW_SX_EUlSW_E_NS1_11comp_targetILNS1_3genE2ELNS1_11target_archE906ELNS1_3gpuE6ELNS1_3repE0EEENS1_30default_config_static_selectorELNS0_4arch9wavefront6targetE1EEEvT1_,comdat
	.protected	_ZN7rocprim17ROCPRIM_400000_NS6detail17trampoline_kernelINS0_14default_configENS1_29reduce_by_key_config_selectorIttN6thrust23THRUST_200600_302600_NS4plusItEEEEZZNS1_33reduce_by_key_impl_wrapped_configILNS1_25lookback_scan_determinismE0ES3_S9_NS6_6detail15normal_iteratorINS6_10device_ptrItEEEESG_SG_SG_PmS8_NS6_8equal_toItEEEE10hipError_tPvRmT2_T3_mT4_T5_T6_T7_T8_P12ihipStream_tbENKUlT_T0_E_clISt17integral_constantIbLb1EES10_IbLb0EEEEDaSW_SX_EUlSW_E_NS1_11comp_targetILNS1_3genE2ELNS1_11target_archE906ELNS1_3gpuE6ELNS1_3repE0EEENS1_30default_config_static_selectorELNS0_4arch9wavefront6targetE1EEEvT1_ ; -- Begin function _ZN7rocprim17ROCPRIM_400000_NS6detail17trampoline_kernelINS0_14default_configENS1_29reduce_by_key_config_selectorIttN6thrust23THRUST_200600_302600_NS4plusItEEEEZZNS1_33reduce_by_key_impl_wrapped_configILNS1_25lookback_scan_determinismE0ES3_S9_NS6_6detail15normal_iteratorINS6_10device_ptrItEEEESG_SG_SG_PmS8_NS6_8equal_toItEEEE10hipError_tPvRmT2_T3_mT4_T5_T6_T7_T8_P12ihipStream_tbENKUlT_T0_E_clISt17integral_constantIbLb1EES10_IbLb0EEEEDaSW_SX_EUlSW_E_NS1_11comp_targetILNS1_3genE2ELNS1_11target_archE906ELNS1_3gpuE6ELNS1_3repE0EEENS1_30default_config_static_selectorELNS0_4arch9wavefront6targetE1EEEvT1_
	.globl	_ZN7rocprim17ROCPRIM_400000_NS6detail17trampoline_kernelINS0_14default_configENS1_29reduce_by_key_config_selectorIttN6thrust23THRUST_200600_302600_NS4plusItEEEEZZNS1_33reduce_by_key_impl_wrapped_configILNS1_25lookback_scan_determinismE0ES3_S9_NS6_6detail15normal_iteratorINS6_10device_ptrItEEEESG_SG_SG_PmS8_NS6_8equal_toItEEEE10hipError_tPvRmT2_T3_mT4_T5_T6_T7_T8_P12ihipStream_tbENKUlT_T0_E_clISt17integral_constantIbLb1EES10_IbLb0EEEEDaSW_SX_EUlSW_E_NS1_11comp_targetILNS1_3genE2ELNS1_11target_archE906ELNS1_3gpuE6ELNS1_3repE0EEENS1_30default_config_static_selectorELNS0_4arch9wavefront6targetE1EEEvT1_
	.p2align	8
	.type	_ZN7rocprim17ROCPRIM_400000_NS6detail17trampoline_kernelINS0_14default_configENS1_29reduce_by_key_config_selectorIttN6thrust23THRUST_200600_302600_NS4plusItEEEEZZNS1_33reduce_by_key_impl_wrapped_configILNS1_25lookback_scan_determinismE0ES3_S9_NS6_6detail15normal_iteratorINS6_10device_ptrItEEEESG_SG_SG_PmS8_NS6_8equal_toItEEEE10hipError_tPvRmT2_T3_mT4_T5_T6_T7_T8_P12ihipStream_tbENKUlT_T0_E_clISt17integral_constantIbLb1EES10_IbLb0EEEEDaSW_SX_EUlSW_E_NS1_11comp_targetILNS1_3genE2ELNS1_11target_archE906ELNS1_3gpuE6ELNS1_3repE0EEENS1_30default_config_static_selectorELNS0_4arch9wavefront6targetE1EEEvT1_,@function
_ZN7rocprim17ROCPRIM_400000_NS6detail17trampoline_kernelINS0_14default_configENS1_29reduce_by_key_config_selectorIttN6thrust23THRUST_200600_302600_NS4plusItEEEEZZNS1_33reduce_by_key_impl_wrapped_configILNS1_25lookback_scan_determinismE0ES3_S9_NS6_6detail15normal_iteratorINS6_10device_ptrItEEEESG_SG_SG_PmS8_NS6_8equal_toItEEEE10hipError_tPvRmT2_T3_mT4_T5_T6_T7_T8_P12ihipStream_tbENKUlT_T0_E_clISt17integral_constantIbLb1EES10_IbLb0EEEEDaSW_SX_EUlSW_E_NS1_11comp_targetILNS1_3genE2ELNS1_11target_archE906ELNS1_3gpuE6ELNS1_3repE0EEENS1_30default_config_static_selectorELNS0_4arch9wavefront6targetE1EEEvT1_: ; @_ZN7rocprim17ROCPRIM_400000_NS6detail17trampoline_kernelINS0_14default_configENS1_29reduce_by_key_config_selectorIttN6thrust23THRUST_200600_302600_NS4plusItEEEEZZNS1_33reduce_by_key_impl_wrapped_configILNS1_25lookback_scan_determinismE0ES3_S9_NS6_6detail15normal_iteratorINS6_10device_ptrItEEEESG_SG_SG_PmS8_NS6_8equal_toItEEEE10hipError_tPvRmT2_T3_mT4_T5_T6_T7_T8_P12ihipStream_tbENKUlT_T0_E_clISt17integral_constantIbLb1EES10_IbLb0EEEEDaSW_SX_EUlSW_E_NS1_11comp_targetILNS1_3genE2ELNS1_11target_archE906ELNS1_3gpuE6ELNS1_3repE0EEENS1_30default_config_static_selectorELNS0_4arch9wavefront6targetE1EEEvT1_
; %bb.0:
	.section	.rodata,"a",@progbits
	.p2align	6, 0x0
	.amdhsa_kernel _ZN7rocprim17ROCPRIM_400000_NS6detail17trampoline_kernelINS0_14default_configENS1_29reduce_by_key_config_selectorIttN6thrust23THRUST_200600_302600_NS4plusItEEEEZZNS1_33reduce_by_key_impl_wrapped_configILNS1_25lookback_scan_determinismE0ES3_S9_NS6_6detail15normal_iteratorINS6_10device_ptrItEEEESG_SG_SG_PmS8_NS6_8equal_toItEEEE10hipError_tPvRmT2_T3_mT4_T5_T6_T7_T8_P12ihipStream_tbENKUlT_T0_E_clISt17integral_constantIbLb1EES10_IbLb0EEEEDaSW_SX_EUlSW_E_NS1_11comp_targetILNS1_3genE2ELNS1_11target_archE906ELNS1_3gpuE6ELNS1_3repE0EEENS1_30default_config_static_selectorELNS0_4arch9wavefront6targetE1EEEvT1_
		.amdhsa_group_segment_fixed_size 0
		.amdhsa_private_segment_fixed_size 0
		.amdhsa_kernarg_size 120
		.amdhsa_user_sgpr_count 6
		.amdhsa_user_sgpr_private_segment_buffer 1
		.amdhsa_user_sgpr_dispatch_ptr 0
		.amdhsa_user_sgpr_queue_ptr 0
		.amdhsa_user_sgpr_kernarg_segment_ptr 1
		.amdhsa_user_sgpr_dispatch_id 0
		.amdhsa_user_sgpr_flat_scratch_init 0
		.amdhsa_user_sgpr_kernarg_preload_length 0
		.amdhsa_user_sgpr_kernarg_preload_offset 0
		.amdhsa_user_sgpr_private_segment_size 0
		.amdhsa_uses_dynamic_stack 0
		.amdhsa_system_sgpr_private_segment_wavefront_offset 0
		.amdhsa_system_sgpr_workgroup_id_x 1
		.amdhsa_system_sgpr_workgroup_id_y 0
		.amdhsa_system_sgpr_workgroup_id_z 0
		.amdhsa_system_sgpr_workgroup_info 0
		.amdhsa_system_vgpr_workitem_id 0
		.amdhsa_next_free_vgpr 1
		.amdhsa_next_free_sgpr 0
		.amdhsa_accum_offset 4
		.amdhsa_reserve_vcc 0
		.amdhsa_reserve_flat_scratch 0
		.amdhsa_float_round_mode_32 0
		.amdhsa_float_round_mode_16_64 0
		.amdhsa_float_denorm_mode_32 3
		.amdhsa_float_denorm_mode_16_64 3
		.amdhsa_dx10_clamp 1
		.amdhsa_ieee_mode 1
		.amdhsa_fp16_overflow 0
		.amdhsa_tg_split 0
		.amdhsa_exception_fp_ieee_invalid_op 0
		.amdhsa_exception_fp_denorm_src 0
		.amdhsa_exception_fp_ieee_div_zero 0
		.amdhsa_exception_fp_ieee_overflow 0
		.amdhsa_exception_fp_ieee_underflow 0
		.amdhsa_exception_fp_ieee_inexact 0
		.amdhsa_exception_int_div_zero 0
	.end_amdhsa_kernel
	.section	.text._ZN7rocprim17ROCPRIM_400000_NS6detail17trampoline_kernelINS0_14default_configENS1_29reduce_by_key_config_selectorIttN6thrust23THRUST_200600_302600_NS4plusItEEEEZZNS1_33reduce_by_key_impl_wrapped_configILNS1_25lookback_scan_determinismE0ES3_S9_NS6_6detail15normal_iteratorINS6_10device_ptrItEEEESG_SG_SG_PmS8_NS6_8equal_toItEEEE10hipError_tPvRmT2_T3_mT4_T5_T6_T7_T8_P12ihipStream_tbENKUlT_T0_E_clISt17integral_constantIbLb1EES10_IbLb0EEEEDaSW_SX_EUlSW_E_NS1_11comp_targetILNS1_3genE2ELNS1_11target_archE906ELNS1_3gpuE6ELNS1_3repE0EEENS1_30default_config_static_selectorELNS0_4arch9wavefront6targetE1EEEvT1_,"axG",@progbits,_ZN7rocprim17ROCPRIM_400000_NS6detail17trampoline_kernelINS0_14default_configENS1_29reduce_by_key_config_selectorIttN6thrust23THRUST_200600_302600_NS4plusItEEEEZZNS1_33reduce_by_key_impl_wrapped_configILNS1_25lookback_scan_determinismE0ES3_S9_NS6_6detail15normal_iteratorINS6_10device_ptrItEEEESG_SG_SG_PmS8_NS6_8equal_toItEEEE10hipError_tPvRmT2_T3_mT4_T5_T6_T7_T8_P12ihipStream_tbENKUlT_T0_E_clISt17integral_constantIbLb1EES10_IbLb0EEEEDaSW_SX_EUlSW_E_NS1_11comp_targetILNS1_3genE2ELNS1_11target_archE906ELNS1_3gpuE6ELNS1_3repE0EEENS1_30default_config_static_selectorELNS0_4arch9wavefront6targetE1EEEvT1_,comdat
.Lfunc_end416:
	.size	_ZN7rocprim17ROCPRIM_400000_NS6detail17trampoline_kernelINS0_14default_configENS1_29reduce_by_key_config_selectorIttN6thrust23THRUST_200600_302600_NS4plusItEEEEZZNS1_33reduce_by_key_impl_wrapped_configILNS1_25lookback_scan_determinismE0ES3_S9_NS6_6detail15normal_iteratorINS6_10device_ptrItEEEESG_SG_SG_PmS8_NS6_8equal_toItEEEE10hipError_tPvRmT2_T3_mT4_T5_T6_T7_T8_P12ihipStream_tbENKUlT_T0_E_clISt17integral_constantIbLb1EES10_IbLb0EEEEDaSW_SX_EUlSW_E_NS1_11comp_targetILNS1_3genE2ELNS1_11target_archE906ELNS1_3gpuE6ELNS1_3repE0EEENS1_30default_config_static_selectorELNS0_4arch9wavefront6targetE1EEEvT1_, .Lfunc_end416-_ZN7rocprim17ROCPRIM_400000_NS6detail17trampoline_kernelINS0_14default_configENS1_29reduce_by_key_config_selectorIttN6thrust23THRUST_200600_302600_NS4plusItEEEEZZNS1_33reduce_by_key_impl_wrapped_configILNS1_25lookback_scan_determinismE0ES3_S9_NS6_6detail15normal_iteratorINS6_10device_ptrItEEEESG_SG_SG_PmS8_NS6_8equal_toItEEEE10hipError_tPvRmT2_T3_mT4_T5_T6_T7_T8_P12ihipStream_tbENKUlT_T0_E_clISt17integral_constantIbLb1EES10_IbLb0EEEEDaSW_SX_EUlSW_E_NS1_11comp_targetILNS1_3genE2ELNS1_11target_archE906ELNS1_3gpuE6ELNS1_3repE0EEENS1_30default_config_static_selectorELNS0_4arch9wavefront6targetE1EEEvT1_
                                        ; -- End function
	.section	.AMDGPU.csdata,"",@progbits
; Kernel info:
; codeLenInByte = 0
; NumSgprs: 4
; NumVgprs: 0
; NumAgprs: 0
; TotalNumVgprs: 0
; ScratchSize: 0
; MemoryBound: 0
; FloatMode: 240
; IeeeMode: 1
; LDSByteSize: 0 bytes/workgroup (compile time only)
; SGPRBlocks: 0
; VGPRBlocks: 0
; NumSGPRsForWavesPerEU: 4
; NumVGPRsForWavesPerEU: 1
; AccumOffset: 4
; Occupancy: 8
; WaveLimiterHint : 0
; COMPUTE_PGM_RSRC2:SCRATCH_EN: 0
; COMPUTE_PGM_RSRC2:USER_SGPR: 6
; COMPUTE_PGM_RSRC2:TRAP_HANDLER: 0
; COMPUTE_PGM_RSRC2:TGID_X_EN: 1
; COMPUTE_PGM_RSRC2:TGID_Y_EN: 0
; COMPUTE_PGM_RSRC2:TGID_Z_EN: 0
; COMPUTE_PGM_RSRC2:TIDIG_COMP_CNT: 0
; COMPUTE_PGM_RSRC3_GFX90A:ACCUM_OFFSET: 0
; COMPUTE_PGM_RSRC3_GFX90A:TG_SPLIT: 0
	.section	.text._ZN7rocprim17ROCPRIM_400000_NS6detail17trampoline_kernelINS0_14default_configENS1_29reduce_by_key_config_selectorIttN6thrust23THRUST_200600_302600_NS4plusItEEEEZZNS1_33reduce_by_key_impl_wrapped_configILNS1_25lookback_scan_determinismE0ES3_S9_NS6_6detail15normal_iteratorINS6_10device_ptrItEEEESG_SG_SG_PmS8_NS6_8equal_toItEEEE10hipError_tPvRmT2_T3_mT4_T5_T6_T7_T8_P12ihipStream_tbENKUlT_T0_E_clISt17integral_constantIbLb1EES10_IbLb0EEEEDaSW_SX_EUlSW_E_NS1_11comp_targetILNS1_3genE10ELNS1_11target_archE1201ELNS1_3gpuE5ELNS1_3repE0EEENS1_30default_config_static_selectorELNS0_4arch9wavefront6targetE1EEEvT1_,"axG",@progbits,_ZN7rocprim17ROCPRIM_400000_NS6detail17trampoline_kernelINS0_14default_configENS1_29reduce_by_key_config_selectorIttN6thrust23THRUST_200600_302600_NS4plusItEEEEZZNS1_33reduce_by_key_impl_wrapped_configILNS1_25lookback_scan_determinismE0ES3_S9_NS6_6detail15normal_iteratorINS6_10device_ptrItEEEESG_SG_SG_PmS8_NS6_8equal_toItEEEE10hipError_tPvRmT2_T3_mT4_T5_T6_T7_T8_P12ihipStream_tbENKUlT_T0_E_clISt17integral_constantIbLb1EES10_IbLb0EEEEDaSW_SX_EUlSW_E_NS1_11comp_targetILNS1_3genE10ELNS1_11target_archE1201ELNS1_3gpuE5ELNS1_3repE0EEENS1_30default_config_static_selectorELNS0_4arch9wavefront6targetE1EEEvT1_,comdat
	.protected	_ZN7rocprim17ROCPRIM_400000_NS6detail17trampoline_kernelINS0_14default_configENS1_29reduce_by_key_config_selectorIttN6thrust23THRUST_200600_302600_NS4plusItEEEEZZNS1_33reduce_by_key_impl_wrapped_configILNS1_25lookback_scan_determinismE0ES3_S9_NS6_6detail15normal_iteratorINS6_10device_ptrItEEEESG_SG_SG_PmS8_NS6_8equal_toItEEEE10hipError_tPvRmT2_T3_mT4_T5_T6_T7_T8_P12ihipStream_tbENKUlT_T0_E_clISt17integral_constantIbLb1EES10_IbLb0EEEEDaSW_SX_EUlSW_E_NS1_11comp_targetILNS1_3genE10ELNS1_11target_archE1201ELNS1_3gpuE5ELNS1_3repE0EEENS1_30default_config_static_selectorELNS0_4arch9wavefront6targetE1EEEvT1_ ; -- Begin function _ZN7rocprim17ROCPRIM_400000_NS6detail17trampoline_kernelINS0_14default_configENS1_29reduce_by_key_config_selectorIttN6thrust23THRUST_200600_302600_NS4plusItEEEEZZNS1_33reduce_by_key_impl_wrapped_configILNS1_25lookback_scan_determinismE0ES3_S9_NS6_6detail15normal_iteratorINS6_10device_ptrItEEEESG_SG_SG_PmS8_NS6_8equal_toItEEEE10hipError_tPvRmT2_T3_mT4_T5_T6_T7_T8_P12ihipStream_tbENKUlT_T0_E_clISt17integral_constantIbLb1EES10_IbLb0EEEEDaSW_SX_EUlSW_E_NS1_11comp_targetILNS1_3genE10ELNS1_11target_archE1201ELNS1_3gpuE5ELNS1_3repE0EEENS1_30default_config_static_selectorELNS0_4arch9wavefront6targetE1EEEvT1_
	.globl	_ZN7rocprim17ROCPRIM_400000_NS6detail17trampoline_kernelINS0_14default_configENS1_29reduce_by_key_config_selectorIttN6thrust23THRUST_200600_302600_NS4plusItEEEEZZNS1_33reduce_by_key_impl_wrapped_configILNS1_25lookback_scan_determinismE0ES3_S9_NS6_6detail15normal_iteratorINS6_10device_ptrItEEEESG_SG_SG_PmS8_NS6_8equal_toItEEEE10hipError_tPvRmT2_T3_mT4_T5_T6_T7_T8_P12ihipStream_tbENKUlT_T0_E_clISt17integral_constantIbLb1EES10_IbLb0EEEEDaSW_SX_EUlSW_E_NS1_11comp_targetILNS1_3genE10ELNS1_11target_archE1201ELNS1_3gpuE5ELNS1_3repE0EEENS1_30default_config_static_selectorELNS0_4arch9wavefront6targetE1EEEvT1_
	.p2align	8
	.type	_ZN7rocprim17ROCPRIM_400000_NS6detail17trampoline_kernelINS0_14default_configENS1_29reduce_by_key_config_selectorIttN6thrust23THRUST_200600_302600_NS4plusItEEEEZZNS1_33reduce_by_key_impl_wrapped_configILNS1_25lookback_scan_determinismE0ES3_S9_NS6_6detail15normal_iteratorINS6_10device_ptrItEEEESG_SG_SG_PmS8_NS6_8equal_toItEEEE10hipError_tPvRmT2_T3_mT4_T5_T6_T7_T8_P12ihipStream_tbENKUlT_T0_E_clISt17integral_constantIbLb1EES10_IbLb0EEEEDaSW_SX_EUlSW_E_NS1_11comp_targetILNS1_3genE10ELNS1_11target_archE1201ELNS1_3gpuE5ELNS1_3repE0EEENS1_30default_config_static_selectorELNS0_4arch9wavefront6targetE1EEEvT1_,@function
_ZN7rocprim17ROCPRIM_400000_NS6detail17trampoline_kernelINS0_14default_configENS1_29reduce_by_key_config_selectorIttN6thrust23THRUST_200600_302600_NS4plusItEEEEZZNS1_33reduce_by_key_impl_wrapped_configILNS1_25lookback_scan_determinismE0ES3_S9_NS6_6detail15normal_iteratorINS6_10device_ptrItEEEESG_SG_SG_PmS8_NS6_8equal_toItEEEE10hipError_tPvRmT2_T3_mT4_T5_T6_T7_T8_P12ihipStream_tbENKUlT_T0_E_clISt17integral_constantIbLb1EES10_IbLb0EEEEDaSW_SX_EUlSW_E_NS1_11comp_targetILNS1_3genE10ELNS1_11target_archE1201ELNS1_3gpuE5ELNS1_3repE0EEENS1_30default_config_static_selectorELNS0_4arch9wavefront6targetE1EEEvT1_: ; @_ZN7rocprim17ROCPRIM_400000_NS6detail17trampoline_kernelINS0_14default_configENS1_29reduce_by_key_config_selectorIttN6thrust23THRUST_200600_302600_NS4plusItEEEEZZNS1_33reduce_by_key_impl_wrapped_configILNS1_25lookback_scan_determinismE0ES3_S9_NS6_6detail15normal_iteratorINS6_10device_ptrItEEEESG_SG_SG_PmS8_NS6_8equal_toItEEEE10hipError_tPvRmT2_T3_mT4_T5_T6_T7_T8_P12ihipStream_tbENKUlT_T0_E_clISt17integral_constantIbLb1EES10_IbLb0EEEEDaSW_SX_EUlSW_E_NS1_11comp_targetILNS1_3genE10ELNS1_11target_archE1201ELNS1_3gpuE5ELNS1_3repE0EEENS1_30default_config_static_selectorELNS0_4arch9wavefront6targetE1EEEvT1_
; %bb.0:
	.section	.rodata,"a",@progbits
	.p2align	6, 0x0
	.amdhsa_kernel _ZN7rocprim17ROCPRIM_400000_NS6detail17trampoline_kernelINS0_14default_configENS1_29reduce_by_key_config_selectorIttN6thrust23THRUST_200600_302600_NS4plusItEEEEZZNS1_33reduce_by_key_impl_wrapped_configILNS1_25lookback_scan_determinismE0ES3_S9_NS6_6detail15normal_iteratorINS6_10device_ptrItEEEESG_SG_SG_PmS8_NS6_8equal_toItEEEE10hipError_tPvRmT2_T3_mT4_T5_T6_T7_T8_P12ihipStream_tbENKUlT_T0_E_clISt17integral_constantIbLb1EES10_IbLb0EEEEDaSW_SX_EUlSW_E_NS1_11comp_targetILNS1_3genE10ELNS1_11target_archE1201ELNS1_3gpuE5ELNS1_3repE0EEENS1_30default_config_static_selectorELNS0_4arch9wavefront6targetE1EEEvT1_
		.amdhsa_group_segment_fixed_size 0
		.amdhsa_private_segment_fixed_size 0
		.amdhsa_kernarg_size 120
		.amdhsa_user_sgpr_count 6
		.amdhsa_user_sgpr_private_segment_buffer 1
		.amdhsa_user_sgpr_dispatch_ptr 0
		.amdhsa_user_sgpr_queue_ptr 0
		.amdhsa_user_sgpr_kernarg_segment_ptr 1
		.amdhsa_user_sgpr_dispatch_id 0
		.amdhsa_user_sgpr_flat_scratch_init 0
		.amdhsa_user_sgpr_kernarg_preload_length 0
		.amdhsa_user_sgpr_kernarg_preload_offset 0
		.amdhsa_user_sgpr_private_segment_size 0
		.amdhsa_uses_dynamic_stack 0
		.amdhsa_system_sgpr_private_segment_wavefront_offset 0
		.amdhsa_system_sgpr_workgroup_id_x 1
		.amdhsa_system_sgpr_workgroup_id_y 0
		.amdhsa_system_sgpr_workgroup_id_z 0
		.amdhsa_system_sgpr_workgroup_info 0
		.amdhsa_system_vgpr_workitem_id 0
		.amdhsa_next_free_vgpr 1
		.amdhsa_next_free_sgpr 0
		.amdhsa_accum_offset 4
		.amdhsa_reserve_vcc 0
		.amdhsa_reserve_flat_scratch 0
		.amdhsa_float_round_mode_32 0
		.amdhsa_float_round_mode_16_64 0
		.amdhsa_float_denorm_mode_32 3
		.amdhsa_float_denorm_mode_16_64 3
		.amdhsa_dx10_clamp 1
		.amdhsa_ieee_mode 1
		.amdhsa_fp16_overflow 0
		.amdhsa_tg_split 0
		.amdhsa_exception_fp_ieee_invalid_op 0
		.amdhsa_exception_fp_denorm_src 0
		.amdhsa_exception_fp_ieee_div_zero 0
		.amdhsa_exception_fp_ieee_overflow 0
		.amdhsa_exception_fp_ieee_underflow 0
		.amdhsa_exception_fp_ieee_inexact 0
		.amdhsa_exception_int_div_zero 0
	.end_amdhsa_kernel
	.section	.text._ZN7rocprim17ROCPRIM_400000_NS6detail17trampoline_kernelINS0_14default_configENS1_29reduce_by_key_config_selectorIttN6thrust23THRUST_200600_302600_NS4plusItEEEEZZNS1_33reduce_by_key_impl_wrapped_configILNS1_25lookback_scan_determinismE0ES3_S9_NS6_6detail15normal_iteratorINS6_10device_ptrItEEEESG_SG_SG_PmS8_NS6_8equal_toItEEEE10hipError_tPvRmT2_T3_mT4_T5_T6_T7_T8_P12ihipStream_tbENKUlT_T0_E_clISt17integral_constantIbLb1EES10_IbLb0EEEEDaSW_SX_EUlSW_E_NS1_11comp_targetILNS1_3genE10ELNS1_11target_archE1201ELNS1_3gpuE5ELNS1_3repE0EEENS1_30default_config_static_selectorELNS0_4arch9wavefront6targetE1EEEvT1_,"axG",@progbits,_ZN7rocprim17ROCPRIM_400000_NS6detail17trampoline_kernelINS0_14default_configENS1_29reduce_by_key_config_selectorIttN6thrust23THRUST_200600_302600_NS4plusItEEEEZZNS1_33reduce_by_key_impl_wrapped_configILNS1_25lookback_scan_determinismE0ES3_S9_NS6_6detail15normal_iteratorINS6_10device_ptrItEEEESG_SG_SG_PmS8_NS6_8equal_toItEEEE10hipError_tPvRmT2_T3_mT4_T5_T6_T7_T8_P12ihipStream_tbENKUlT_T0_E_clISt17integral_constantIbLb1EES10_IbLb0EEEEDaSW_SX_EUlSW_E_NS1_11comp_targetILNS1_3genE10ELNS1_11target_archE1201ELNS1_3gpuE5ELNS1_3repE0EEENS1_30default_config_static_selectorELNS0_4arch9wavefront6targetE1EEEvT1_,comdat
.Lfunc_end417:
	.size	_ZN7rocprim17ROCPRIM_400000_NS6detail17trampoline_kernelINS0_14default_configENS1_29reduce_by_key_config_selectorIttN6thrust23THRUST_200600_302600_NS4plusItEEEEZZNS1_33reduce_by_key_impl_wrapped_configILNS1_25lookback_scan_determinismE0ES3_S9_NS6_6detail15normal_iteratorINS6_10device_ptrItEEEESG_SG_SG_PmS8_NS6_8equal_toItEEEE10hipError_tPvRmT2_T3_mT4_T5_T6_T7_T8_P12ihipStream_tbENKUlT_T0_E_clISt17integral_constantIbLb1EES10_IbLb0EEEEDaSW_SX_EUlSW_E_NS1_11comp_targetILNS1_3genE10ELNS1_11target_archE1201ELNS1_3gpuE5ELNS1_3repE0EEENS1_30default_config_static_selectorELNS0_4arch9wavefront6targetE1EEEvT1_, .Lfunc_end417-_ZN7rocprim17ROCPRIM_400000_NS6detail17trampoline_kernelINS0_14default_configENS1_29reduce_by_key_config_selectorIttN6thrust23THRUST_200600_302600_NS4plusItEEEEZZNS1_33reduce_by_key_impl_wrapped_configILNS1_25lookback_scan_determinismE0ES3_S9_NS6_6detail15normal_iteratorINS6_10device_ptrItEEEESG_SG_SG_PmS8_NS6_8equal_toItEEEE10hipError_tPvRmT2_T3_mT4_T5_T6_T7_T8_P12ihipStream_tbENKUlT_T0_E_clISt17integral_constantIbLb1EES10_IbLb0EEEEDaSW_SX_EUlSW_E_NS1_11comp_targetILNS1_3genE10ELNS1_11target_archE1201ELNS1_3gpuE5ELNS1_3repE0EEENS1_30default_config_static_selectorELNS0_4arch9wavefront6targetE1EEEvT1_
                                        ; -- End function
	.section	.AMDGPU.csdata,"",@progbits
; Kernel info:
; codeLenInByte = 0
; NumSgprs: 4
; NumVgprs: 0
; NumAgprs: 0
; TotalNumVgprs: 0
; ScratchSize: 0
; MemoryBound: 0
; FloatMode: 240
; IeeeMode: 1
; LDSByteSize: 0 bytes/workgroup (compile time only)
; SGPRBlocks: 0
; VGPRBlocks: 0
; NumSGPRsForWavesPerEU: 4
; NumVGPRsForWavesPerEU: 1
; AccumOffset: 4
; Occupancy: 8
; WaveLimiterHint : 0
; COMPUTE_PGM_RSRC2:SCRATCH_EN: 0
; COMPUTE_PGM_RSRC2:USER_SGPR: 6
; COMPUTE_PGM_RSRC2:TRAP_HANDLER: 0
; COMPUTE_PGM_RSRC2:TGID_X_EN: 1
; COMPUTE_PGM_RSRC2:TGID_Y_EN: 0
; COMPUTE_PGM_RSRC2:TGID_Z_EN: 0
; COMPUTE_PGM_RSRC2:TIDIG_COMP_CNT: 0
; COMPUTE_PGM_RSRC3_GFX90A:ACCUM_OFFSET: 0
; COMPUTE_PGM_RSRC3_GFX90A:TG_SPLIT: 0
	.section	.text._ZN7rocprim17ROCPRIM_400000_NS6detail17trampoline_kernelINS0_14default_configENS1_29reduce_by_key_config_selectorIttN6thrust23THRUST_200600_302600_NS4plusItEEEEZZNS1_33reduce_by_key_impl_wrapped_configILNS1_25lookback_scan_determinismE0ES3_S9_NS6_6detail15normal_iteratorINS6_10device_ptrItEEEESG_SG_SG_PmS8_NS6_8equal_toItEEEE10hipError_tPvRmT2_T3_mT4_T5_T6_T7_T8_P12ihipStream_tbENKUlT_T0_E_clISt17integral_constantIbLb1EES10_IbLb0EEEEDaSW_SX_EUlSW_E_NS1_11comp_targetILNS1_3genE10ELNS1_11target_archE1200ELNS1_3gpuE4ELNS1_3repE0EEENS1_30default_config_static_selectorELNS0_4arch9wavefront6targetE1EEEvT1_,"axG",@progbits,_ZN7rocprim17ROCPRIM_400000_NS6detail17trampoline_kernelINS0_14default_configENS1_29reduce_by_key_config_selectorIttN6thrust23THRUST_200600_302600_NS4plusItEEEEZZNS1_33reduce_by_key_impl_wrapped_configILNS1_25lookback_scan_determinismE0ES3_S9_NS6_6detail15normal_iteratorINS6_10device_ptrItEEEESG_SG_SG_PmS8_NS6_8equal_toItEEEE10hipError_tPvRmT2_T3_mT4_T5_T6_T7_T8_P12ihipStream_tbENKUlT_T0_E_clISt17integral_constantIbLb1EES10_IbLb0EEEEDaSW_SX_EUlSW_E_NS1_11comp_targetILNS1_3genE10ELNS1_11target_archE1200ELNS1_3gpuE4ELNS1_3repE0EEENS1_30default_config_static_selectorELNS0_4arch9wavefront6targetE1EEEvT1_,comdat
	.protected	_ZN7rocprim17ROCPRIM_400000_NS6detail17trampoline_kernelINS0_14default_configENS1_29reduce_by_key_config_selectorIttN6thrust23THRUST_200600_302600_NS4plusItEEEEZZNS1_33reduce_by_key_impl_wrapped_configILNS1_25lookback_scan_determinismE0ES3_S9_NS6_6detail15normal_iteratorINS6_10device_ptrItEEEESG_SG_SG_PmS8_NS6_8equal_toItEEEE10hipError_tPvRmT2_T3_mT4_T5_T6_T7_T8_P12ihipStream_tbENKUlT_T0_E_clISt17integral_constantIbLb1EES10_IbLb0EEEEDaSW_SX_EUlSW_E_NS1_11comp_targetILNS1_3genE10ELNS1_11target_archE1200ELNS1_3gpuE4ELNS1_3repE0EEENS1_30default_config_static_selectorELNS0_4arch9wavefront6targetE1EEEvT1_ ; -- Begin function _ZN7rocprim17ROCPRIM_400000_NS6detail17trampoline_kernelINS0_14default_configENS1_29reduce_by_key_config_selectorIttN6thrust23THRUST_200600_302600_NS4plusItEEEEZZNS1_33reduce_by_key_impl_wrapped_configILNS1_25lookback_scan_determinismE0ES3_S9_NS6_6detail15normal_iteratorINS6_10device_ptrItEEEESG_SG_SG_PmS8_NS6_8equal_toItEEEE10hipError_tPvRmT2_T3_mT4_T5_T6_T7_T8_P12ihipStream_tbENKUlT_T0_E_clISt17integral_constantIbLb1EES10_IbLb0EEEEDaSW_SX_EUlSW_E_NS1_11comp_targetILNS1_3genE10ELNS1_11target_archE1200ELNS1_3gpuE4ELNS1_3repE0EEENS1_30default_config_static_selectorELNS0_4arch9wavefront6targetE1EEEvT1_
	.globl	_ZN7rocprim17ROCPRIM_400000_NS6detail17trampoline_kernelINS0_14default_configENS1_29reduce_by_key_config_selectorIttN6thrust23THRUST_200600_302600_NS4plusItEEEEZZNS1_33reduce_by_key_impl_wrapped_configILNS1_25lookback_scan_determinismE0ES3_S9_NS6_6detail15normal_iteratorINS6_10device_ptrItEEEESG_SG_SG_PmS8_NS6_8equal_toItEEEE10hipError_tPvRmT2_T3_mT4_T5_T6_T7_T8_P12ihipStream_tbENKUlT_T0_E_clISt17integral_constantIbLb1EES10_IbLb0EEEEDaSW_SX_EUlSW_E_NS1_11comp_targetILNS1_3genE10ELNS1_11target_archE1200ELNS1_3gpuE4ELNS1_3repE0EEENS1_30default_config_static_selectorELNS0_4arch9wavefront6targetE1EEEvT1_
	.p2align	8
	.type	_ZN7rocprim17ROCPRIM_400000_NS6detail17trampoline_kernelINS0_14default_configENS1_29reduce_by_key_config_selectorIttN6thrust23THRUST_200600_302600_NS4plusItEEEEZZNS1_33reduce_by_key_impl_wrapped_configILNS1_25lookback_scan_determinismE0ES3_S9_NS6_6detail15normal_iteratorINS6_10device_ptrItEEEESG_SG_SG_PmS8_NS6_8equal_toItEEEE10hipError_tPvRmT2_T3_mT4_T5_T6_T7_T8_P12ihipStream_tbENKUlT_T0_E_clISt17integral_constantIbLb1EES10_IbLb0EEEEDaSW_SX_EUlSW_E_NS1_11comp_targetILNS1_3genE10ELNS1_11target_archE1200ELNS1_3gpuE4ELNS1_3repE0EEENS1_30default_config_static_selectorELNS0_4arch9wavefront6targetE1EEEvT1_,@function
_ZN7rocprim17ROCPRIM_400000_NS6detail17trampoline_kernelINS0_14default_configENS1_29reduce_by_key_config_selectorIttN6thrust23THRUST_200600_302600_NS4plusItEEEEZZNS1_33reduce_by_key_impl_wrapped_configILNS1_25lookback_scan_determinismE0ES3_S9_NS6_6detail15normal_iteratorINS6_10device_ptrItEEEESG_SG_SG_PmS8_NS6_8equal_toItEEEE10hipError_tPvRmT2_T3_mT4_T5_T6_T7_T8_P12ihipStream_tbENKUlT_T0_E_clISt17integral_constantIbLb1EES10_IbLb0EEEEDaSW_SX_EUlSW_E_NS1_11comp_targetILNS1_3genE10ELNS1_11target_archE1200ELNS1_3gpuE4ELNS1_3repE0EEENS1_30default_config_static_selectorELNS0_4arch9wavefront6targetE1EEEvT1_: ; @_ZN7rocprim17ROCPRIM_400000_NS6detail17trampoline_kernelINS0_14default_configENS1_29reduce_by_key_config_selectorIttN6thrust23THRUST_200600_302600_NS4plusItEEEEZZNS1_33reduce_by_key_impl_wrapped_configILNS1_25lookback_scan_determinismE0ES3_S9_NS6_6detail15normal_iteratorINS6_10device_ptrItEEEESG_SG_SG_PmS8_NS6_8equal_toItEEEE10hipError_tPvRmT2_T3_mT4_T5_T6_T7_T8_P12ihipStream_tbENKUlT_T0_E_clISt17integral_constantIbLb1EES10_IbLb0EEEEDaSW_SX_EUlSW_E_NS1_11comp_targetILNS1_3genE10ELNS1_11target_archE1200ELNS1_3gpuE4ELNS1_3repE0EEENS1_30default_config_static_selectorELNS0_4arch9wavefront6targetE1EEEvT1_
; %bb.0:
	.section	.rodata,"a",@progbits
	.p2align	6, 0x0
	.amdhsa_kernel _ZN7rocprim17ROCPRIM_400000_NS6detail17trampoline_kernelINS0_14default_configENS1_29reduce_by_key_config_selectorIttN6thrust23THRUST_200600_302600_NS4plusItEEEEZZNS1_33reduce_by_key_impl_wrapped_configILNS1_25lookback_scan_determinismE0ES3_S9_NS6_6detail15normal_iteratorINS6_10device_ptrItEEEESG_SG_SG_PmS8_NS6_8equal_toItEEEE10hipError_tPvRmT2_T3_mT4_T5_T6_T7_T8_P12ihipStream_tbENKUlT_T0_E_clISt17integral_constantIbLb1EES10_IbLb0EEEEDaSW_SX_EUlSW_E_NS1_11comp_targetILNS1_3genE10ELNS1_11target_archE1200ELNS1_3gpuE4ELNS1_3repE0EEENS1_30default_config_static_selectorELNS0_4arch9wavefront6targetE1EEEvT1_
		.amdhsa_group_segment_fixed_size 0
		.amdhsa_private_segment_fixed_size 0
		.amdhsa_kernarg_size 120
		.amdhsa_user_sgpr_count 6
		.amdhsa_user_sgpr_private_segment_buffer 1
		.amdhsa_user_sgpr_dispatch_ptr 0
		.amdhsa_user_sgpr_queue_ptr 0
		.amdhsa_user_sgpr_kernarg_segment_ptr 1
		.amdhsa_user_sgpr_dispatch_id 0
		.amdhsa_user_sgpr_flat_scratch_init 0
		.amdhsa_user_sgpr_kernarg_preload_length 0
		.amdhsa_user_sgpr_kernarg_preload_offset 0
		.amdhsa_user_sgpr_private_segment_size 0
		.amdhsa_uses_dynamic_stack 0
		.amdhsa_system_sgpr_private_segment_wavefront_offset 0
		.amdhsa_system_sgpr_workgroup_id_x 1
		.amdhsa_system_sgpr_workgroup_id_y 0
		.amdhsa_system_sgpr_workgroup_id_z 0
		.amdhsa_system_sgpr_workgroup_info 0
		.amdhsa_system_vgpr_workitem_id 0
		.amdhsa_next_free_vgpr 1
		.amdhsa_next_free_sgpr 0
		.amdhsa_accum_offset 4
		.amdhsa_reserve_vcc 0
		.amdhsa_reserve_flat_scratch 0
		.amdhsa_float_round_mode_32 0
		.amdhsa_float_round_mode_16_64 0
		.amdhsa_float_denorm_mode_32 3
		.amdhsa_float_denorm_mode_16_64 3
		.amdhsa_dx10_clamp 1
		.amdhsa_ieee_mode 1
		.amdhsa_fp16_overflow 0
		.amdhsa_tg_split 0
		.amdhsa_exception_fp_ieee_invalid_op 0
		.amdhsa_exception_fp_denorm_src 0
		.amdhsa_exception_fp_ieee_div_zero 0
		.amdhsa_exception_fp_ieee_overflow 0
		.amdhsa_exception_fp_ieee_underflow 0
		.amdhsa_exception_fp_ieee_inexact 0
		.amdhsa_exception_int_div_zero 0
	.end_amdhsa_kernel
	.section	.text._ZN7rocprim17ROCPRIM_400000_NS6detail17trampoline_kernelINS0_14default_configENS1_29reduce_by_key_config_selectorIttN6thrust23THRUST_200600_302600_NS4plusItEEEEZZNS1_33reduce_by_key_impl_wrapped_configILNS1_25lookback_scan_determinismE0ES3_S9_NS6_6detail15normal_iteratorINS6_10device_ptrItEEEESG_SG_SG_PmS8_NS6_8equal_toItEEEE10hipError_tPvRmT2_T3_mT4_T5_T6_T7_T8_P12ihipStream_tbENKUlT_T0_E_clISt17integral_constantIbLb1EES10_IbLb0EEEEDaSW_SX_EUlSW_E_NS1_11comp_targetILNS1_3genE10ELNS1_11target_archE1200ELNS1_3gpuE4ELNS1_3repE0EEENS1_30default_config_static_selectorELNS0_4arch9wavefront6targetE1EEEvT1_,"axG",@progbits,_ZN7rocprim17ROCPRIM_400000_NS6detail17trampoline_kernelINS0_14default_configENS1_29reduce_by_key_config_selectorIttN6thrust23THRUST_200600_302600_NS4plusItEEEEZZNS1_33reduce_by_key_impl_wrapped_configILNS1_25lookback_scan_determinismE0ES3_S9_NS6_6detail15normal_iteratorINS6_10device_ptrItEEEESG_SG_SG_PmS8_NS6_8equal_toItEEEE10hipError_tPvRmT2_T3_mT4_T5_T6_T7_T8_P12ihipStream_tbENKUlT_T0_E_clISt17integral_constantIbLb1EES10_IbLb0EEEEDaSW_SX_EUlSW_E_NS1_11comp_targetILNS1_3genE10ELNS1_11target_archE1200ELNS1_3gpuE4ELNS1_3repE0EEENS1_30default_config_static_selectorELNS0_4arch9wavefront6targetE1EEEvT1_,comdat
.Lfunc_end418:
	.size	_ZN7rocprim17ROCPRIM_400000_NS6detail17trampoline_kernelINS0_14default_configENS1_29reduce_by_key_config_selectorIttN6thrust23THRUST_200600_302600_NS4plusItEEEEZZNS1_33reduce_by_key_impl_wrapped_configILNS1_25lookback_scan_determinismE0ES3_S9_NS6_6detail15normal_iteratorINS6_10device_ptrItEEEESG_SG_SG_PmS8_NS6_8equal_toItEEEE10hipError_tPvRmT2_T3_mT4_T5_T6_T7_T8_P12ihipStream_tbENKUlT_T0_E_clISt17integral_constantIbLb1EES10_IbLb0EEEEDaSW_SX_EUlSW_E_NS1_11comp_targetILNS1_3genE10ELNS1_11target_archE1200ELNS1_3gpuE4ELNS1_3repE0EEENS1_30default_config_static_selectorELNS0_4arch9wavefront6targetE1EEEvT1_, .Lfunc_end418-_ZN7rocprim17ROCPRIM_400000_NS6detail17trampoline_kernelINS0_14default_configENS1_29reduce_by_key_config_selectorIttN6thrust23THRUST_200600_302600_NS4plusItEEEEZZNS1_33reduce_by_key_impl_wrapped_configILNS1_25lookback_scan_determinismE0ES3_S9_NS6_6detail15normal_iteratorINS6_10device_ptrItEEEESG_SG_SG_PmS8_NS6_8equal_toItEEEE10hipError_tPvRmT2_T3_mT4_T5_T6_T7_T8_P12ihipStream_tbENKUlT_T0_E_clISt17integral_constantIbLb1EES10_IbLb0EEEEDaSW_SX_EUlSW_E_NS1_11comp_targetILNS1_3genE10ELNS1_11target_archE1200ELNS1_3gpuE4ELNS1_3repE0EEENS1_30default_config_static_selectorELNS0_4arch9wavefront6targetE1EEEvT1_
                                        ; -- End function
	.section	.AMDGPU.csdata,"",@progbits
; Kernel info:
; codeLenInByte = 0
; NumSgprs: 4
; NumVgprs: 0
; NumAgprs: 0
; TotalNumVgprs: 0
; ScratchSize: 0
; MemoryBound: 0
; FloatMode: 240
; IeeeMode: 1
; LDSByteSize: 0 bytes/workgroup (compile time only)
; SGPRBlocks: 0
; VGPRBlocks: 0
; NumSGPRsForWavesPerEU: 4
; NumVGPRsForWavesPerEU: 1
; AccumOffset: 4
; Occupancy: 8
; WaveLimiterHint : 0
; COMPUTE_PGM_RSRC2:SCRATCH_EN: 0
; COMPUTE_PGM_RSRC2:USER_SGPR: 6
; COMPUTE_PGM_RSRC2:TRAP_HANDLER: 0
; COMPUTE_PGM_RSRC2:TGID_X_EN: 1
; COMPUTE_PGM_RSRC2:TGID_Y_EN: 0
; COMPUTE_PGM_RSRC2:TGID_Z_EN: 0
; COMPUTE_PGM_RSRC2:TIDIG_COMP_CNT: 0
; COMPUTE_PGM_RSRC3_GFX90A:ACCUM_OFFSET: 0
; COMPUTE_PGM_RSRC3_GFX90A:TG_SPLIT: 0
	.section	.text._ZN7rocprim17ROCPRIM_400000_NS6detail17trampoline_kernelINS0_14default_configENS1_29reduce_by_key_config_selectorIttN6thrust23THRUST_200600_302600_NS4plusItEEEEZZNS1_33reduce_by_key_impl_wrapped_configILNS1_25lookback_scan_determinismE0ES3_S9_NS6_6detail15normal_iteratorINS6_10device_ptrItEEEESG_SG_SG_PmS8_NS6_8equal_toItEEEE10hipError_tPvRmT2_T3_mT4_T5_T6_T7_T8_P12ihipStream_tbENKUlT_T0_E_clISt17integral_constantIbLb1EES10_IbLb0EEEEDaSW_SX_EUlSW_E_NS1_11comp_targetILNS1_3genE9ELNS1_11target_archE1100ELNS1_3gpuE3ELNS1_3repE0EEENS1_30default_config_static_selectorELNS0_4arch9wavefront6targetE1EEEvT1_,"axG",@progbits,_ZN7rocprim17ROCPRIM_400000_NS6detail17trampoline_kernelINS0_14default_configENS1_29reduce_by_key_config_selectorIttN6thrust23THRUST_200600_302600_NS4plusItEEEEZZNS1_33reduce_by_key_impl_wrapped_configILNS1_25lookback_scan_determinismE0ES3_S9_NS6_6detail15normal_iteratorINS6_10device_ptrItEEEESG_SG_SG_PmS8_NS6_8equal_toItEEEE10hipError_tPvRmT2_T3_mT4_T5_T6_T7_T8_P12ihipStream_tbENKUlT_T0_E_clISt17integral_constantIbLb1EES10_IbLb0EEEEDaSW_SX_EUlSW_E_NS1_11comp_targetILNS1_3genE9ELNS1_11target_archE1100ELNS1_3gpuE3ELNS1_3repE0EEENS1_30default_config_static_selectorELNS0_4arch9wavefront6targetE1EEEvT1_,comdat
	.protected	_ZN7rocprim17ROCPRIM_400000_NS6detail17trampoline_kernelINS0_14default_configENS1_29reduce_by_key_config_selectorIttN6thrust23THRUST_200600_302600_NS4plusItEEEEZZNS1_33reduce_by_key_impl_wrapped_configILNS1_25lookback_scan_determinismE0ES3_S9_NS6_6detail15normal_iteratorINS6_10device_ptrItEEEESG_SG_SG_PmS8_NS6_8equal_toItEEEE10hipError_tPvRmT2_T3_mT4_T5_T6_T7_T8_P12ihipStream_tbENKUlT_T0_E_clISt17integral_constantIbLb1EES10_IbLb0EEEEDaSW_SX_EUlSW_E_NS1_11comp_targetILNS1_3genE9ELNS1_11target_archE1100ELNS1_3gpuE3ELNS1_3repE0EEENS1_30default_config_static_selectorELNS0_4arch9wavefront6targetE1EEEvT1_ ; -- Begin function _ZN7rocprim17ROCPRIM_400000_NS6detail17trampoline_kernelINS0_14default_configENS1_29reduce_by_key_config_selectorIttN6thrust23THRUST_200600_302600_NS4plusItEEEEZZNS1_33reduce_by_key_impl_wrapped_configILNS1_25lookback_scan_determinismE0ES3_S9_NS6_6detail15normal_iteratorINS6_10device_ptrItEEEESG_SG_SG_PmS8_NS6_8equal_toItEEEE10hipError_tPvRmT2_T3_mT4_T5_T6_T7_T8_P12ihipStream_tbENKUlT_T0_E_clISt17integral_constantIbLb1EES10_IbLb0EEEEDaSW_SX_EUlSW_E_NS1_11comp_targetILNS1_3genE9ELNS1_11target_archE1100ELNS1_3gpuE3ELNS1_3repE0EEENS1_30default_config_static_selectorELNS0_4arch9wavefront6targetE1EEEvT1_
	.globl	_ZN7rocprim17ROCPRIM_400000_NS6detail17trampoline_kernelINS0_14default_configENS1_29reduce_by_key_config_selectorIttN6thrust23THRUST_200600_302600_NS4plusItEEEEZZNS1_33reduce_by_key_impl_wrapped_configILNS1_25lookback_scan_determinismE0ES3_S9_NS6_6detail15normal_iteratorINS6_10device_ptrItEEEESG_SG_SG_PmS8_NS6_8equal_toItEEEE10hipError_tPvRmT2_T3_mT4_T5_T6_T7_T8_P12ihipStream_tbENKUlT_T0_E_clISt17integral_constantIbLb1EES10_IbLb0EEEEDaSW_SX_EUlSW_E_NS1_11comp_targetILNS1_3genE9ELNS1_11target_archE1100ELNS1_3gpuE3ELNS1_3repE0EEENS1_30default_config_static_selectorELNS0_4arch9wavefront6targetE1EEEvT1_
	.p2align	8
	.type	_ZN7rocprim17ROCPRIM_400000_NS6detail17trampoline_kernelINS0_14default_configENS1_29reduce_by_key_config_selectorIttN6thrust23THRUST_200600_302600_NS4plusItEEEEZZNS1_33reduce_by_key_impl_wrapped_configILNS1_25lookback_scan_determinismE0ES3_S9_NS6_6detail15normal_iteratorINS6_10device_ptrItEEEESG_SG_SG_PmS8_NS6_8equal_toItEEEE10hipError_tPvRmT2_T3_mT4_T5_T6_T7_T8_P12ihipStream_tbENKUlT_T0_E_clISt17integral_constantIbLb1EES10_IbLb0EEEEDaSW_SX_EUlSW_E_NS1_11comp_targetILNS1_3genE9ELNS1_11target_archE1100ELNS1_3gpuE3ELNS1_3repE0EEENS1_30default_config_static_selectorELNS0_4arch9wavefront6targetE1EEEvT1_,@function
_ZN7rocprim17ROCPRIM_400000_NS6detail17trampoline_kernelINS0_14default_configENS1_29reduce_by_key_config_selectorIttN6thrust23THRUST_200600_302600_NS4plusItEEEEZZNS1_33reduce_by_key_impl_wrapped_configILNS1_25lookback_scan_determinismE0ES3_S9_NS6_6detail15normal_iteratorINS6_10device_ptrItEEEESG_SG_SG_PmS8_NS6_8equal_toItEEEE10hipError_tPvRmT2_T3_mT4_T5_T6_T7_T8_P12ihipStream_tbENKUlT_T0_E_clISt17integral_constantIbLb1EES10_IbLb0EEEEDaSW_SX_EUlSW_E_NS1_11comp_targetILNS1_3genE9ELNS1_11target_archE1100ELNS1_3gpuE3ELNS1_3repE0EEENS1_30default_config_static_selectorELNS0_4arch9wavefront6targetE1EEEvT1_: ; @_ZN7rocprim17ROCPRIM_400000_NS6detail17trampoline_kernelINS0_14default_configENS1_29reduce_by_key_config_selectorIttN6thrust23THRUST_200600_302600_NS4plusItEEEEZZNS1_33reduce_by_key_impl_wrapped_configILNS1_25lookback_scan_determinismE0ES3_S9_NS6_6detail15normal_iteratorINS6_10device_ptrItEEEESG_SG_SG_PmS8_NS6_8equal_toItEEEE10hipError_tPvRmT2_T3_mT4_T5_T6_T7_T8_P12ihipStream_tbENKUlT_T0_E_clISt17integral_constantIbLb1EES10_IbLb0EEEEDaSW_SX_EUlSW_E_NS1_11comp_targetILNS1_3genE9ELNS1_11target_archE1100ELNS1_3gpuE3ELNS1_3repE0EEENS1_30default_config_static_selectorELNS0_4arch9wavefront6targetE1EEEvT1_
; %bb.0:
	.section	.rodata,"a",@progbits
	.p2align	6, 0x0
	.amdhsa_kernel _ZN7rocprim17ROCPRIM_400000_NS6detail17trampoline_kernelINS0_14default_configENS1_29reduce_by_key_config_selectorIttN6thrust23THRUST_200600_302600_NS4plusItEEEEZZNS1_33reduce_by_key_impl_wrapped_configILNS1_25lookback_scan_determinismE0ES3_S9_NS6_6detail15normal_iteratorINS6_10device_ptrItEEEESG_SG_SG_PmS8_NS6_8equal_toItEEEE10hipError_tPvRmT2_T3_mT4_T5_T6_T7_T8_P12ihipStream_tbENKUlT_T0_E_clISt17integral_constantIbLb1EES10_IbLb0EEEEDaSW_SX_EUlSW_E_NS1_11comp_targetILNS1_3genE9ELNS1_11target_archE1100ELNS1_3gpuE3ELNS1_3repE0EEENS1_30default_config_static_selectorELNS0_4arch9wavefront6targetE1EEEvT1_
		.amdhsa_group_segment_fixed_size 0
		.amdhsa_private_segment_fixed_size 0
		.amdhsa_kernarg_size 120
		.amdhsa_user_sgpr_count 6
		.amdhsa_user_sgpr_private_segment_buffer 1
		.amdhsa_user_sgpr_dispatch_ptr 0
		.amdhsa_user_sgpr_queue_ptr 0
		.amdhsa_user_sgpr_kernarg_segment_ptr 1
		.amdhsa_user_sgpr_dispatch_id 0
		.amdhsa_user_sgpr_flat_scratch_init 0
		.amdhsa_user_sgpr_kernarg_preload_length 0
		.amdhsa_user_sgpr_kernarg_preload_offset 0
		.amdhsa_user_sgpr_private_segment_size 0
		.amdhsa_uses_dynamic_stack 0
		.amdhsa_system_sgpr_private_segment_wavefront_offset 0
		.amdhsa_system_sgpr_workgroup_id_x 1
		.amdhsa_system_sgpr_workgroup_id_y 0
		.amdhsa_system_sgpr_workgroup_id_z 0
		.amdhsa_system_sgpr_workgroup_info 0
		.amdhsa_system_vgpr_workitem_id 0
		.amdhsa_next_free_vgpr 1
		.amdhsa_next_free_sgpr 0
		.amdhsa_accum_offset 4
		.amdhsa_reserve_vcc 0
		.amdhsa_reserve_flat_scratch 0
		.amdhsa_float_round_mode_32 0
		.amdhsa_float_round_mode_16_64 0
		.amdhsa_float_denorm_mode_32 3
		.amdhsa_float_denorm_mode_16_64 3
		.amdhsa_dx10_clamp 1
		.amdhsa_ieee_mode 1
		.amdhsa_fp16_overflow 0
		.amdhsa_tg_split 0
		.amdhsa_exception_fp_ieee_invalid_op 0
		.amdhsa_exception_fp_denorm_src 0
		.amdhsa_exception_fp_ieee_div_zero 0
		.amdhsa_exception_fp_ieee_overflow 0
		.amdhsa_exception_fp_ieee_underflow 0
		.amdhsa_exception_fp_ieee_inexact 0
		.amdhsa_exception_int_div_zero 0
	.end_amdhsa_kernel
	.section	.text._ZN7rocprim17ROCPRIM_400000_NS6detail17trampoline_kernelINS0_14default_configENS1_29reduce_by_key_config_selectorIttN6thrust23THRUST_200600_302600_NS4plusItEEEEZZNS1_33reduce_by_key_impl_wrapped_configILNS1_25lookback_scan_determinismE0ES3_S9_NS6_6detail15normal_iteratorINS6_10device_ptrItEEEESG_SG_SG_PmS8_NS6_8equal_toItEEEE10hipError_tPvRmT2_T3_mT4_T5_T6_T7_T8_P12ihipStream_tbENKUlT_T0_E_clISt17integral_constantIbLb1EES10_IbLb0EEEEDaSW_SX_EUlSW_E_NS1_11comp_targetILNS1_3genE9ELNS1_11target_archE1100ELNS1_3gpuE3ELNS1_3repE0EEENS1_30default_config_static_selectorELNS0_4arch9wavefront6targetE1EEEvT1_,"axG",@progbits,_ZN7rocprim17ROCPRIM_400000_NS6detail17trampoline_kernelINS0_14default_configENS1_29reduce_by_key_config_selectorIttN6thrust23THRUST_200600_302600_NS4plusItEEEEZZNS1_33reduce_by_key_impl_wrapped_configILNS1_25lookback_scan_determinismE0ES3_S9_NS6_6detail15normal_iteratorINS6_10device_ptrItEEEESG_SG_SG_PmS8_NS6_8equal_toItEEEE10hipError_tPvRmT2_T3_mT4_T5_T6_T7_T8_P12ihipStream_tbENKUlT_T0_E_clISt17integral_constantIbLb1EES10_IbLb0EEEEDaSW_SX_EUlSW_E_NS1_11comp_targetILNS1_3genE9ELNS1_11target_archE1100ELNS1_3gpuE3ELNS1_3repE0EEENS1_30default_config_static_selectorELNS0_4arch9wavefront6targetE1EEEvT1_,comdat
.Lfunc_end419:
	.size	_ZN7rocprim17ROCPRIM_400000_NS6detail17trampoline_kernelINS0_14default_configENS1_29reduce_by_key_config_selectorIttN6thrust23THRUST_200600_302600_NS4plusItEEEEZZNS1_33reduce_by_key_impl_wrapped_configILNS1_25lookback_scan_determinismE0ES3_S9_NS6_6detail15normal_iteratorINS6_10device_ptrItEEEESG_SG_SG_PmS8_NS6_8equal_toItEEEE10hipError_tPvRmT2_T3_mT4_T5_T6_T7_T8_P12ihipStream_tbENKUlT_T0_E_clISt17integral_constantIbLb1EES10_IbLb0EEEEDaSW_SX_EUlSW_E_NS1_11comp_targetILNS1_3genE9ELNS1_11target_archE1100ELNS1_3gpuE3ELNS1_3repE0EEENS1_30default_config_static_selectorELNS0_4arch9wavefront6targetE1EEEvT1_, .Lfunc_end419-_ZN7rocprim17ROCPRIM_400000_NS6detail17trampoline_kernelINS0_14default_configENS1_29reduce_by_key_config_selectorIttN6thrust23THRUST_200600_302600_NS4plusItEEEEZZNS1_33reduce_by_key_impl_wrapped_configILNS1_25lookback_scan_determinismE0ES3_S9_NS6_6detail15normal_iteratorINS6_10device_ptrItEEEESG_SG_SG_PmS8_NS6_8equal_toItEEEE10hipError_tPvRmT2_T3_mT4_T5_T6_T7_T8_P12ihipStream_tbENKUlT_T0_E_clISt17integral_constantIbLb1EES10_IbLb0EEEEDaSW_SX_EUlSW_E_NS1_11comp_targetILNS1_3genE9ELNS1_11target_archE1100ELNS1_3gpuE3ELNS1_3repE0EEENS1_30default_config_static_selectorELNS0_4arch9wavefront6targetE1EEEvT1_
                                        ; -- End function
	.section	.AMDGPU.csdata,"",@progbits
; Kernel info:
; codeLenInByte = 0
; NumSgprs: 4
; NumVgprs: 0
; NumAgprs: 0
; TotalNumVgprs: 0
; ScratchSize: 0
; MemoryBound: 0
; FloatMode: 240
; IeeeMode: 1
; LDSByteSize: 0 bytes/workgroup (compile time only)
; SGPRBlocks: 0
; VGPRBlocks: 0
; NumSGPRsForWavesPerEU: 4
; NumVGPRsForWavesPerEU: 1
; AccumOffset: 4
; Occupancy: 8
; WaveLimiterHint : 0
; COMPUTE_PGM_RSRC2:SCRATCH_EN: 0
; COMPUTE_PGM_RSRC2:USER_SGPR: 6
; COMPUTE_PGM_RSRC2:TRAP_HANDLER: 0
; COMPUTE_PGM_RSRC2:TGID_X_EN: 1
; COMPUTE_PGM_RSRC2:TGID_Y_EN: 0
; COMPUTE_PGM_RSRC2:TGID_Z_EN: 0
; COMPUTE_PGM_RSRC2:TIDIG_COMP_CNT: 0
; COMPUTE_PGM_RSRC3_GFX90A:ACCUM_OFFSET: 0
; COMPUTE_PGM_RSRC3_GFX90A:TG_SPLIT: 0
	.section	.text._ZN7rocprim17ROCPRIM_400000_NS6detail17trampoline_kernelINS0_14default_configENS1_29reduce_by_key_config_selectorIttN6thrust23THRUST_200600_302600_NS4plusItEEEEZZNS1_33reduce_by_key_impl_wrapped_configILNS1_25lookback_scan_determinismE0ES3_S9_NS6_6detail15normal_iteratorINS6_10device_ptrItEEEESG_SG_SG_PmS8_NS6_8equal_toItEEEE10hipError_tPvRmT2_T3_mT4_T5_T6_T7_T8_P12ihipStream_tbENKUlT_T0_E_clISt17integral_constantIbLb1EES10_IbLb0EEEEDaSW_SX_EUlSW_E_NS1_11comp_targetILNS1_3genE8ELNS1_11target_archE1030ELNS1_3gpuE2ELNS1_3repE0EEENS1_30default_config_static_selectorELNS0_4arch9wavefront6targetE1EEEvT1_,"axG",@progbits,_ZN7rocprim17ROCPRIM_400000_NS6detail17trampoline_kernelINS0_14default_configENS1_29reduce_by_key_config_selectorIttN6thrust23THRUST_200600_302600_NS4plusItEEEEZZNS1_33reduce_by_key_impl_wrapped_configILNS1_25lookback_scan_determinismE0ES3_S9_NS6_6detail15normal_iteratorINS6_10device_ptrItEEEESG_SG_SG_PmS8_NS6_8equal_toItEEEE10hipError_tPvRmT2_T3_mT4_T5_T6_T7_T8_P12ihipStream_tbENKUlT_T0_E_clISt17integral_constantIbLb1EES10_IbLb0EEEEDaSW_SX_EUlSW_E_NS1_11comp_targetILNS1_3genE8ELNS1_11target_archE1030ELNS1_3gpuE2ELNS1_3repE0EEENS1_30default_config_static_selectorELNS0_4arch9wavefront6targetE1EEEvT1_,comdat
	.protected	_ZN7rocprim17ROCPRIM_400000_NS6detail17trampoline_kernelINS0_14default_configENS1_29reduce_by_key_config_selectorIttN6thrust23THRUST_200600_302600_NS4plusItEEEEZZNS1_33reduce_by_key_impl_wrapped_configILNS1_25lookback_scan_determinismE0ES3_S9_NS6_6detail15normal_iteratorINS6_10device_ptrItEEEESG_SG_SG_PmS8_NS6_8equal_toItEEEE10hipError_tPvRmT2_T3_mT4_T5_T6_T7_T8_P12ihipStream_tbENKUlT_T0_E_clISt17integral_constantIbLb1EES10_IbLb0EEEEDaSW_SX_EUlSW_E_NS1_11comp_targetILNS1_3genE8ELNS1_11target_archE1030ELNS1_3gpuE2ELNS1_3repE0EEENS1_30default_config_static_selectorELNS0_4arch9wavefront6targetE1EEEvT1_ ; -- Begin function _ZN7rocprim17ROCPRIM_400000_NS6detail17trampoline_kernelINS0_14default_configENS1_29reduce_by_key_config_selectorIttN6thrust23THRUST_200600_302600_NS4plusItEEEEZZNS1_33reduce_by_key_impl_wrapped_configILNS1_25lookback_scan_determinismE0ES3_S9_NS6_6detail15normal_iteratorINS6_10device_ptrItEEEESG_SG_SG_PmS8_NS6_8equal_toItEEEE10hipError_tPvRmT2_T3_mT4_T5_T6_T7_T8_P12ihipStream_tbENKUlT_T0_E_clISt17integral_constantIbLb1EES10_IbLb0EEEEDaSW_SX_EUlSW_E_NS1_11comp_targetILNS1_3genE8ELNS1_11target_archE1030ELNS1_3gpuE2ELNS1_3repE0EEENS1_30default_config_static_selectorELNS0_4arch9wavefront6targetE1EEEvT1_
	.globl	_ZN7rocprim17ROCPRIM_400000_NS6detail17trampoline_kernelINS0_14default_configENS1_29reduce_by_key_config_selectorIttN6thrust23THRUST_200600_302600_NS4plusItEEEEZZNS1_33reduce_by_key_impl_wrapped_configILNS1_25lookback_scan_determinismE0ES3_S9_NS6_6detail15normal_iteratorINS6_10device_ptrItEEEESG_SG_SG_PmS8_NS6_8equal_toItEEEE10hipError_tPvRmT2_T3_mT4_T5_T6_T7_T8_P12ihipStream_tbENKUlT_T0_E_clISt17integral_constantIbLb1EES10_IbLb0EEEEDaSW_SX_EUlSW_E_NS1_11comp_targetILNS1_3genE8ELNS1_11target_archE1030ELNS1_3gpuE2ELNS1_3repE0EEENS1_30default_config_static_selectorELNS0_4arch9wavefront6targetE1EEEvT1_
	.p2align	8
	.type	_ZN7rocprim17ROCPRIM_400000_NS6detail17trampoline_kernelINS0_14default_configENS1_29reduce_by_key_config_selectorIttN6thrust23THRUST_200600_302600_NS4plusItEEEEZZNS1_33reduce_by_key_impl_wrapped_configILNS1_25lookback_scan_determinismE0ES3_S9_NS6_6detail15normal_iteratorINS6_10device_ptrItEEEESG_SG_SG_PmS8_NS6_8equal_toItEEEE10hipError_tPvRmT2_T3_mT4_T5_T6_T7_T8_P12ihipStream_tbENKUlT_T0_E_clISt17integral_constantIbLb1EES10_IbLb0EEEEDaSW_SX_EUlSW_E_NS1_11comp_targetILNS1_3genE8ELNS1_11target_archE1030ELNS1_3gpuE2ELNS1_3repE0EEENS1_30default_config_static_selectorELNS0_4arch9wavefront6targetE1EEEvT1_,@function
_ZN7rocprim17ROCPRIM_400000_NS6detail17trampoline_kernelINS0_14default_configENS1_29reduce_by_key_config_selectorIttN6thrust23THRUST_200600_302600_NS4plusItEEEEZZNS1_33reduce_by_key_impl_wrapped_configILNS1_25lookback_scan_determinismE0ES3_S9_NS6_6detail15normal_iteratorINS6_10device_ptrItEEEESG_SG_SG_PmS8_NS6_8equal_toItEEEE10hipError_tPvRmT2_T3_mT4_T5_T6_T7_T8_P12ihipStream_tbENKUlT_T0_E_clISt17integral_constantIbLb1EES10_IbLb0EEEEDaSW_SX_EUlSW_E_NS1_11comp_targetILNS1_3genE8ELNS1_11target_archE1030ELNS1_3gpuE2ELNS1_3repE0EEENS1_30default_config_static_selectorELNS0_4arch9wavefront6targetE1EEEvT1_: ; @_ZN7rocprim17ROCPRIM_400000_NS6detail17trampoline_kernelINS0_14default_configENS1_29reduce_by_key_config_selectorIttN6thrust23THRUST_200600_302600_NS4plusItEEEEZZNS1_33reduce_by_key_impl_wrapped_configILNS1_25lookback_scan_determinismE0ES3_S9_NS6_6detail15normal_iteratorINS6_10device_ptrItEEEESG_SG_SG_PmS8_NS6_8equal_toItEEEE10hipError_tPvRmT2_T3_mT4_T5_T6_T7_T8_P12ihipStream_tbENKUlT_T0_E_clISt17integral_constantIbLb1EES10_IbLb0EEEEDaSW_SX_EUlSW_E_NS1_11comp_targetILNS1_3genE8ELNS1_11target_archE1030ELNS1_3gpuE2ELNS1_3repE0EEENS1_30default_config_static_selectorELNS0_4arch9wavefront6targetE1EEEvT1_
; %bb.0:
	.section	.rodata,"a",@progbits
	.p2align	6, 0x0
	.amdhsa_kernel _ZN7rocprim17ROCPRIM_400000_NS6detail17trampoline_kernelINS0_14default_configENS1_29reduce_by_key_config_selectorIttN6thrust23THRUST_200600_302600_NS4plusItEEEEZZNS1_33reduce_by_key_impl_wrapped_configILNS1_25lookback_scan_determinismE0ES3_S9_NS6_6detail15normal_iteratorINS6_10device_ptrItEEEESG_SG_SG_PmS8_NS6_8equal_toItEEEE10hipError_tPvRmT2_T3_mT4_T5_T6_T7_T8_P12ihipStream_tbENKUlT_T0_E_clISt17integral_constantIbLb1EES10_IbLb0EEEEDaSW_SX_EUlSW_E_NS1_11comp_targetILNS1_3genE8ELNS1_11target_archE1030ELNS1_3gpuE2ELNS1_3repE0EEENS1_30default_config_static_selectorELNS0_4arch9wavefront6targetE1EEEvT1_
		.amdhsa_group_segment_fixed_size 0
		.amdhsa_private_segment_fixed_size 0
		.amdhsa_kernarg_size 120
		.amdhsa_user_sgpr_count 6
		.amdhsa_user_sgpr_private_segment_buffer 1
		.amdhsa_user_sgpr_dispatch_ptr 0
		.amdhsa_user_sgpr_queue_ptr 0
		.amdhsa_user_sgpr_kernarg_segment_ptr 1
		.amdhsa_user_sgpr_dispatch_id 0
		.amdhsa_user_sgpr_flat_scratch_init 0
		.amdhsa_user_sgpr_kernarg_preload_length 0
		.amdhsa_user_sgpr_kernarg_preload_offset 0
		.amdhsa_user_sgpr_private_segment_size 0
		.amdhsa_uses_dynamic_stack 0
		.amdhsa_system_sgpr_private_segment_wavefront_offset 0
		.amdhsa_system_sgpr_workgroup_id_x 1
		.amdhsa_system_sgpr_workgroup_id_y 0
		.amdhsa_system_sgpr_workgroup_id_z 0
		.amdhsa_system_sgpr_workgroup_info 0
		.amdhsa_system_vgpr_workitem_id 0
		.amdhsa_next_free_vgpr 1
		.amdhsa_next_free_sgpr 0
		.amdhsa_accum_offset 4
		.amdhsa_reserve_vcc 0
		.amdhsa_reserve_flat_scratch 0
		.amdhsa_float_round_mode_32 0
		.amdhsa_float_round_mode_16_64 0
		.amdhsa_float_denorm_mode_32 3
		.amdhsa_float_denorm_mode_16_64 3
		.amdhsa_dx10_clamp 1
		.amdhsa_ieee_mode 1
		.amdhsa_fp16_overflow 0
		.amdhsa_tg_split 0
		.amdhsa_exception_fp_ieee_invalid_op 0
		.amdhsa_exception_fp_denorm_src 0
		.amdhsa_exception_fp_ieee_div_zero 0
		.amdhsa_exception_fp_ieee_overflow 0
		.amdhsa_exception_fp_ieee_underflow 0
		.amdhsa_exception_fp_ieee_inexact 0
		.amdhsa_exception_int_div_zero 0
	.end_amdhsa_kernel
	.section	.text._ZN7rocprim17ROCPRIM_400000_NS6detail17trampoline_kernelINS0_14default_configENS1_29reduce_by_key_config_selectorIttN6thrust23THRUST_200600_302600_NS4plusItEEEEZZNS1_33reduce_by_key_impl_wrapped_configILNS1_25lookback_scan_determinismE0ES3_S9_NS6_6detail15normal_iteratorINS6_10device_ptrItEEEESG_SG_SG_PmS8_NS6_8equal_toItEEEE10hipError_tPvRmT2_T3_mT4_T5_T6_T7_T8_P12ihipStream_tbENKUlT_T0_E_clISt17integral_constantIbLb1EES10_IbLb0EEEEDaSW_SX_EUlSW_E_NS1_11comp_targetILNS1_3genE8ELNS1_11target_archE1030ELNS1_3gpuE2ELNS1_3repE0EEENS1_30default_config_static_selectorELNS0_4arch9wavefront6targetE1EEEvT1_,"axG",@progbits,_ZN7rocprim17ROCPRIM_400000_NS6detail17trampoline_kernelINS0_14default_configENS1_29reduce_by_key_config_selectorIttN6thrust23THRUST_200600_302600_NS4plusItEEEEZZNS1_33reduce_by_key_impl_wrapped_configILNS1_25lookback_scan_determinismE0ES3_S9_NS6_6detail15normal_iteratorINS6_10device_ptrItEEEESG_SG_SG_PmS8_NS6_8equal_toItEEEE10hipError_tPvRmT2_T3_mT4_T5_T6_T7_T8_P12ihipStream_tbENKUlT_T0_E_clISt17integral_constantIbLb1EES10_IbLb0EEEEDaSW_SX_EUlSW_E_NS1_11comp_targetILNS1_3genE8ELNS1_11target_archE1030ELNS1_3gpuE2ELNS1_3repE0EEENS1_30default_config_static_selectorELNS0_4arch9wavefront6targetE1EEEvT1_,comdat
.Lfunc_end420:
	.size	_ZN7rocprim17ROCPRIM_400000_NS6detail17trampoline_kernelINS0_14default_configENS1_29reduce_by_key_config_selectorIttN6thrust23THRUST_200600_302600_NS4plusItEEEEZZNS1_33reduce_by_key_impl_wrapped_configILNS1_25lookback_scan_determinismE0ES3_S9_NS6_6detail15normal_iteratorINS6_10device_ptrItEEEESG_SG_SG_PmS8_NS6_8equal_toItEEEE10hipError_tPvRmT2_T3_mT4_T5_T6_T7_T8_P12ihipStream_tbENKUlT_T0_E_clISt17integral_constantIbLb1EES10_IbLb0EEEEDaSW_SX_EUlSW_E_NS1_11comp_targetILNS1_3genE8ELNS1_11target_archE1030ELNS1_3gpuE2ELNS1_3repE0EEENS1_30default_config_static_selectorELNS0_4arch9wavefront6targetE1EEEvT1_, .Lfunc_end420-_ZN7rocprim17ROCPRIM_400000_NS6detail17trampoline_kernelINS0_14default_configENS1_29reduce_by_key_config_selectorIttN6thrust23THRUST_200600_302600_NS4plusItEEEEZZNS1_33reduce_by_key_impl_wrapped_configILNS1_25lookback_scan_determinismE0ES3_S9_NS6_6detail15normal_iteratorINS6_10device_ptrItEEEESG_SG_SG_PmS8_NS6_8equal_toItEEEE10hipError_tPvRmT2_T3_mT4_T5_T6_T7_T8_P12ihipStream_tbENKUlT_T0_E_clISt17integral_constantIbLb1EES10_IbLb0EEEEDaSW_SX_EUlSW_E_NS1_11comp_targetILNS1_3genE8ELNS1_11target_archE1030ELNS1_3gpuE2ELNS1_3repE0EEENS1_30default_config_static_selectorELNS0_4arch9wavefront6targetE1EEEvT1_
                                        ; -- End function
	.section	.AMDGPU.csdata,"",@progbits
; Kernel info:
; codeLenInByte = 0
; NumSgprs: 4
; NumVgprs: 0
; NumAgprs: 0
; TotalNumVgprs: 0
; ScratchSize: 0
; MemoryBound: 0
; FloatMode: 240
; IeeeMode: 1
; LDSByteSize: 0 bytes/workgroup (compile time only)
; SGPRBlocks: 0
; VGPRBlocks: 0
; NumSGPRsForWavesPerEU: 4
; NumVGPRsForWavesPerEU: 1
; AccumOffset: 4
; Occupancy: 8
; WaveLimiterHint : 0
; COMPUTE_PGM_RSRC2:SCRATCH_EN: 0
; COMPUTE_PGM_RSRC2:USER_SGPR: 6
; COMPUTE_PGM_RSRC2:TRAP_HANDLER: 0
; COMPUTE_PGM_RSRC2:TGID_X_EN: 1
; COMPUTE_PGM_RSRC2:TGID_Y_EN: 0
; COMPUTE_PGM_RSRC2:TGID_Z_EN: 0
; COMPUTE_PGM_RSRC2:TIDIG_COMP_CNT: 0
; COMPUTE_PGM_RSRC3_GFX90A:ACCUM_OFFSET: 0
; COMPUTE_PGM_RSRC3_GFX90A:TG_SPLIT: 0
	.section	.text._ZN7rocprim17ROCPRIM_400000_NS6detail25reduce_by_key_init_kernelINS1_19lookback_scan_stateINS0_5tupleIJjtEEELb0ELb1EEEtNS1_16block_id_wrapperIjLb1EEEEEvT_jbjPmPT0_T1_,"axG",@progbits,_ZN7rocprim17ROCPRIM_400000_NS6detail25reduce_by_key_init_kernelINS1_19lookback_scan_stateINS0_5tupleIJjtEEELb0ELb1EEEtNS1_16block_id_wrapperIjLb1EEEEEvT_jbjPmPT0_T1_,comdat
	.protected	_ZN7rocprim17ROCPRIM_400000_NS6detail25reduce_by_key_init_kernelINS1_19lookback_scan_stateINS0_5tupleIJjtEEELb0ELb1EEEtNS1_16block_id_wrapperIjLb1EEEEEvT_jbjPmPT0_T1_ ; -- Begin function _ZN7rocprim17ROCPRIM_400000_NS6detail25reduce_by_key_init_kernelINS1_19lookback_scan_stateINS0_5tupleIJjtEEELb0ELb1EEEtNS1_16block_id_wrapperIjLb1EEEEEvT_jbjPmPT0_T1_
	.globl	_ZN7rocprim17ROCPRIM_400000_NS6detail25reduce_by_key_init_kernelINS1_19lookback_scan_stateINS0_5tupleIJjtEEELb0ELb1EEEtNS1_16block_id_wrapperIjLb1EEEEEvT_jbjPmPT0_T1_
	.p2align	8
	.type	_ZN7rocprim17ROCPRIM_400000_NS6detail25reduce_by_key_init_kernelINS1_19lookback_scan_stateINS0_5tupleIJjtEEELb0ELb1EEEtNS1_16block_id_wrapperIjLb1EEEEEvT_jbjPmPT0_T1_,@function
_ZN7rocprim17ROCPRIM_400000_NS6detail25reduce_by_key_init_kernelINS1_19lookback_scan_stateINS0_5tupleIJjtEEELb0ELb1EEEtNS1_16block_id_wrapperIjLb1EEEEEvT_jbjPmPT0_T1_: ; @_ZN7rocprim17ROCPRIM_400000_NS6detail25reduce_by_key_init_kernelINS1_19lookback_scan_stateINS0_5tupleIJjtEEELb0ELb1EEEtNS1_16block_id_wrapperIjLb1EEEEEvT_jbjPmPT0_T1_
; %bb.0:
	s_load_dwordx8 s[8:15], s[4:5], 0x8
	s_load_dword s0, s[4:5], 0x3c
	s_load_dwordx2 s[16:17], s[4:5], 0x28
	s_load_dwordx2 s[2:3], s[4:5], 0x0
	s_waitcnt lgkmcnt(0)
	s_and_b32 s1, s9, 1
	s_and_b32 s0, s0, 0xffff
	s_mul_i32 s6, s6, s0
	s_cmp_eq_u32 s1, 0
	v_add_u32_e32 v0, s6, v0
	s_mov_b64 s[0:1], -1
	s_cbranch_scc1 .LBB421_6
; %bb.1:
	s_andn2_b64 vcc, exec, s[0:1]
	v_cmp_eq_u32_e64 s[0:1], 0, v0
	s_cbranch_vccz .LBB421_13
.LBB421_2:
	v_cmp_eq_u32_e32 vcc, 0, v0
	s_and_saveexec_b64 s[0:1], vcc
	s_cbranch_execnz .LBB421_16
.LBB421_3:
	s_or_b64 exec, exec, s[0:1]
	v_cmp_gt_u32_e32 vcc, s8, v0
	s_and_saveexec_b64 s[0:1], vcc
	s_cbranch_execnz .LBB421_17
.LBB421_4:
	s_or_b64 exec, exec, s[0:1]
	v_cmp_gt_u32_e32 vcc, 64, v0
	s_and_saveexec_b64 s[0:1], vcc
	s_cbranch_execnz .LBB421_18
.LBB421_5:
	s_endpgm
.LBB421_6:
	s_cmp_lt_u32 s10, s8
	s_cselect_b32 s0, s10, 0
	v_cmp_eq_u32_e32 vcc, s0, v0
	s_and_saveexec_b64 s[0:1], vcc
	s_cbranch_execz .LBB421_12
; %bb.7:
	s_add_i32 s4, s10, 64
	s_mov_b32 s5, 0
	s_lshl_b64 s[4:5], s[4:5], 4
	s_add_u32 s10, s2, s4
	s_addc_u32 s11, s3, s5
	v_pk_mov_b32 v[2:3], s[10:11], s[10:11] op_sel:[0,1]
	;;#ASMSTART
	global_load_dwordx4 v[2:5], v[2:3] off glc	
s_waitcnt vmcnt(0)
	;;#ASMEND
	v_mov_b32_e32 v7, 0
	v_and_b32_e32 v6, 0xff, v4
	s_mov_b64 s[6:7], 0
	v_cmp_eq_u64_e32 vcc, 0, v[6:7]
	s_and_saveexec_b64 s[4:5], vcc
	s_cbranch_execz .LBB421_11
; %bb.8:
	v_pk_mov_b32 v[8:9], s[10:11], s[10:11] op_sel:[0,1]
.LBB421_9:                              ; =>This Inner Loop Header: Depth=1
	;;#ASMSTART
	global_load_dwordx4 v[2:5], v[8:9] off glc	
s_waitcnt vmcnt(0)
	;;#ASMEND
	v_and_b32_e32 v6, 0xff, v4
	v_cmp_ne_u64_e32 vcc, 0, v[6:7]
	s_or_b64 s[6:7], vcc, s[6:7]
	s_andn2_b64 exec, exec, s[6:7]
	s_cbranch_execnz .LBB421_9
; %bb.10:
	s_or_b64 exec, exec, s[6:7]
.LBB421_11:
	s_or_b64 exec, exec, s[4:5]
	v_mov_b32_e32 v1, 0
	global_load_dwordx2 v[4:5], v1, s[12:13]
	s_waitcnt vmcnt(0)
	v_add_co_u32_e32 v4, vcc, v4, v2
	v_addc_co_u32_e32 v5, vcc, 0, v5, vcc
	global_store_dwordx2 v1, v[4:5], s[12:13]
	global_store_short v1, v3, s[14:15]
.LBB421_12:
	s_or_b64 exec, exec, s[0:1]
	v_cmp_eq_u32_e64 s[0:1], 0, v0
	s_cbranch_execnz .LBB421_2
.LBB421_13:
	s_cmp_lg_u64 s[12:13], 0
	s_cselect_b64 s[4:5], -1, 0
	s_and_b64 s[4:5], s[4:5], s[0:1]
	s_and_saveexec_b64 s[0:1], s[4:5]
	s_cbranch_execz .LBB421_15
; %bb.14:
	v_mov_b32_e32 v2, 0
	v_mov_b32_e32 v3, v2
	global_store_dwordx2 v2, v[2:3], s[12:13]
.LBB421_15:
	s_or_b64 exec, exec, s[0:1]
	v_cmp_eq_u32_e32 vcc, 0, v0
	s_and_saveexec_b64 s[0:1], vcc
	s_cbranch_execz .LBB421_3
.LBB421_16:
	v_mov_b32_e32 v1, 0
	global_store_dword v1, v1, s[16:17]
	s_or_b64 exec, exec, s[0:1]
	v_cmp_gt_u32_e32 vcc, s8, v0
	s_and_saveexec_b64 s[0:1], vcc
	s_cbranch_execz .LBB421_4
.LBB421_17:
	v_add_u32_e32 v2, 64, v0
	v_mov_b32_e32 v3, 0
	v_lshlrev_b64 v[4:5], 4, v[2:3]
	v_mov_b32_e32 v1, s3
	v_add_co_u32_e32 v6, vcc, s2, v4
	v_addc_co_u32_e32 v7, vcc, v1, v5, vcc
	v_mov_b32_e32 v2, v3
	v_mov_b32_e32 v4, v3
	;; [unrolled: 1-line block ×3, first 2 shown]
	global_store_dwordx4 v[6:7], v[2:5], off
	s_or_b64 exec, exec, s[0:1]
	v_cmp_gt_u32_e32 vcc, 64, v0
	s_and_saveexec_b64 s[0:1], vcc
	s_cbranch_execz .LBB421_5
.LBB421_18:
	v_mov_b32_e32 v1, 0
	v_lshlrev_b64 v[2:3], 4, v[0:1]
	v_mov_b32_e32 v0, s3
	v_add_co_u32_e32 v4, vcc, s2, v2
	v_addc_co_u32_e32 v5, vcc, v0, v3, vcc
	v_mov_b32_e32 v2, 0xff
	v_mov_b32_e32 v0, v1
	;; [unrolled: 1-line block ×3, first 2 shown]
	global_store_dwordx4 v[4:5], v[0:3], off
	s_endpgm
	.section	.rodata,"a",@progbits
	.p2align	6, 0x0
	.amdhsa_kernel _ZN7rocprim17ROCPRIM_400000_NS6detail25reduce_by_key_init_kernelINS1_19lookback_scan_stateINS0_5tupleIJjtEEELb0ELb1EEEtNS1_16block_id_wrapperIjLb1EEEEEvT_jbjPmPT0_T1_
		.amdhsa_group_segment_fixed_size 0
		.amdhsa_private_segment_fixed_size 0
		.amdhsa_kernarg_size 304
		.amdhsa_user_sgpr_count 6
		.amdhsa_user_sgpr_private_segment_buffer 1
		.amdhsa_user_sgpr_dispatch_ptr 0
		.amdhsa_user_sgpr_queue_ptr 0
		.amdhsa_user_sgpr_kernarg_segment_ptr 1
		.amdhsa_user_sgpr_dispatch_id 0
		.amdhsa_user_sgpr_flat_scratch_init 0
		.amdhsa_user_sgpr_kernarg_preload_length 0
		.amdhsa_user_sgpr_kernarg_preload_offset 0
		.amdhsa_user_sgpr_private_segment_size 0
		.amdhsa_uses_dynamic_stack 0
		.amdhsa_system_sgpr_private_segment_wavefront_offset 0
		.amdhsa_system_sgpr_workgroup_id_x 1
		.amdhsa_system_sgpr_workgroup_id_y 0
		.amdhsa_system_sgpr_workgroup_id_z 0
		.amdhsa_system_sgpr_workgroup_info 0
		.amdhsa_system_vgpr_workitem_id 0
		.amdhsa_next_free_vgpr 10
		.amdhsa_next_free_sgpr 18
		.amdhsa_accum_offset 12
		.amdhsa_reserve_vcc 1
		.amdhsa_reserve_flat_scratch 0
		.amdhsa_float_round_mode_32 0
		.amdhsa_float_round_mode_16_64 0
		.amdhsa_float_denorm_mode_32 3
		.amdhsa_float_denorm_mode_16_64 3
		.amdhsa_dx10_clamp 1
		.amdhsa_ieee_mode 1
		.amdhsa_fp16_overflow 0
		.amdhsa_tg_split 0
		.amdhsa_exception_fp_ieee_invalid_op 0
		.amdhsa_exception_fp_denorm_src 0
		.amdhsa_exception_fp_ieee_div_zero 0
		.amdhsa_exception_fp_ieee_overflow 0
		.amdhsa_exception_fp_ieee_underflow 0
		.amdhsa_exception_fp_ieee_inexact 0
		.amdhsa_exception_int_div_zero 0
	.end_amdhsa_kernel
	.section	.text._ZN7rocprim17ROCPRIM_400000_NS6detail25reduce_by_key_init_kernelINS1_19lookback_scan_stateINS0_5tupleIJjtEEELb0ELb1EEEtNS1_16block_id_wrapperIjLb1EEEEEvT_jbjPmPT0_T1_,"axG",@progbits,_ZN7rocprim17ROCPRIM_400000_NS6detail25reduce_by_key_init_kernelINS1_19lookback_scan_stateINS0_5tupleIJjtEEELb0ELb1EEEtNS1_16block_id_wrapperIjLb1EEEEEvT_jbjPmPT0_T1_,comdat
.Lfunc_end421:
	.size	_ZN7rocprim17ROCPRIM_400000_NS6detail25reduce_by_key_init_kernelINS1_19lookback_scan_stateINS0_5tupleIJjtEEELb0ELb1EEEtNS1_16block_id_wrapperIjLb1EEEEEvT_jbjPmPT0_T1_, .Lfunc_end421-_ZN7rocprim17ROCPRIM_400000_NS6detail25reduce_by_key_init_kernelINS1_19lookback_scan_stateINS0_5tupleIJjtEEELb0ELb1EEEtNS1_16block_id_wrapperIjLb1EEEEEvT_jbjPmPT0_T1_
                                        ; -- End function
	.section	.AMDGPU.csdata,"",@progbits
; Kernel info:
; codeLenInByte = 532
; NumSgprs: 22
; NumVgprs: 10
; NumAgprs: 0
; TotalNumVgprs: 10
; ScratchSize: 0
; MemoryBound: 0
; FloatMode: 240
; IeeeMode: 1
; LDSByteSize: 0 bytes/workgroup (compile time only)
; SGPRBlocks: 2
; VGPRBlocks: 1
; NumSGPRsForWavesPerEU: 22
; NumVGPRsForWavesPerEU: 10
; AccumOffset: 12
; Occupancy: 8
; WaveLimiterHint : 0
; COMPUTE_PGM_RSRC2:SCRATCH_EN: 0
; COMPUTE_PGM_RSRC2:USER_SGPR: 6
; COMPUTE_PGM_RSRC2:TRAP_HANDLER: 0
; COMPUTE_PGM_RSRC2:TGID_X_EN: 1
; COMPUTE_PGM_RSRC2:TGID_Y_EN: 0
; COMPUTE_PGM_RSRC2:TGID_Z_EN: 0
; COMPUTE_PGM_RSRC2:TIDIG_COMP_CNT: 0
; COMPUTE_PGM_RSRC3_GFX90A:ACCUM_OFFSET: 2
; COMPUTE_PGM_RSRC3_GFX90A:TG_SPLIT: 0
	.section	.text._ZN7rocprim17ROCPRIM_400000_NS6detail17trampoline_kernelINS0_14default_configENS1_29reduce_by_key_config_selectorIttN6thrust23THRUST_200600_302600_NS4plusItEEEEZZNS1_33reduce_by_key_impl_wrapped_configILNS1_25lookback_scan_determinismE0ES3_S9_NS6_6detail15normal_iteratorINS6_10device_ptrItEEEESG_SG_SG_PmS8_NS6_8equal_toItEEEE10hipError_tPvRmT2_T3_mT4_T5_T6_T7_T8_P12ihipStream_tbENKUlT_T0_E_clISt17integral_constantIbLb0EES10_IbLb1EEEEDaSW_SX_EUlSW_E_NS1_11comp_targetILNS1_3genE0ELNS1_11target_archE4294967295ELNS1_3gpuE0ELNS1_3repE0EEENS1_30default_config_static_selectorELNS0_4arch9wavefront6targetE1EEEvT1_,"axG",@progbits,_ZN7rocprim17ROCPRIM_400000_NS6detail17trampoline_kernelINS0_14default_configENS1_29reduce_by_key_config_selectorIttN6thrust23THRUST_200600_302600_NS4plusItEEEEZZNS1_33reduce_by_key_impl_wrapped_configILNS1_25lookback_scan_determinismE0ES3_S9_NS6_6detail15normal_iteratorINS6_10device_ptrItEEEESG_SG_SG_PmS8_NS6_8equal_toItEEEE10hipError_tPvRmT2_T3_mT4_T5_T6_T7_T8_P12ihipStream_tbENKUlT_T0_E_clISt17integral_constantIbLb0EES10_IbLb1EEEEDaSW_SX_EUlSW_E_NS1_11comp_targetILNS1_3genE0ELNS1_11target_archE4294967295ELNS1_3gpuE0ELNS1_3repE0EEENS1_30default_config_static_selectorELNS0_4arch9wavefront6targetE1EEEvT1_,comdat
	.protected	_ZN7rocprim17ROCPRIM_400000_NS6detail17trampoline_kernelINS0_14default_configENS1_29reduce_by_key_config_selectorIttN6thrust23THRUST_200600_302600_NS4plusItEEEEZZNS1_33reduce_by_key_impl_wrapped_configILNS1_25lookback_scan_determinismE0ES3_S9_NS6_6detail15normal_iteratorINS6_10device_ptrItEEEESG_SG_SG_PmS8_NS6_8equal_toItEEEE10hipError_tPvRmT2_T3_mT4_T5_T6_T7_T8_P12ihipStream_tbENKUlT_T0_E_clISt17integral_constantIbLb0EES10_IbLb1EEEEDaSW_SX_EUlSW_E_NS1_11comp_targetILNS1_3genE0ELNS1_11target_archE4294967295ELNS1_3gpuE0ELNS1_3repE0EEENS1_30default_config_static_selectorELNS0_4arch9wavefront6targetE1EEEvT1_ ; -- Begin function _ZN7rocprim17ROCPRIM_400000_NS6detail17trampoline_kernelINS0_14default_configENS1_29reduce_by_key_config_selectorIttN6thrust23THRUST_200600_302600_NS4plusItEEEEZZNS1_33reduce_by_key_impl_wrapped_configILNS1_25lookback_scan_determinismE0ES3_S9_NS6_6detail15normal_iteratorINS6_10device_ptrItEEEESG_SG_SG_PmS8_NS6_8equal_toItEEEE10hipError_tPvRmT2_T3_mT4_T5_T6_T7_T8_P12ihipStream_tbENKUlT_T0_E_clISt17integral_constantIbLb0EES10_IbLb1EEEEDaSW_SX_EUlSW_E_NS1_11comp_targetILNS1_3genE0ELNS1_11target_archE4294967295ELNS1_3gpuE0ELNS1_3repE0EEENS1_30default_config_static_selectorELNS0_4arch9wavefront6targetE1EEEvT1_
	.globl	_ZN7rocprim17ROCPRIM_400000_NS6detail17trampoline_kernelINS0_14default_configENS1_29reduce_by_key_config_selectorIttN6thrust23THRUST_200600_302600_NS4plusItEEEEZZNS1_33reduce_by_key_impl_wrapped_configILNS1_25lookback_scan_determinismE0ES3_S9_NS6_6detail15normal_iteratorINS6_10device_ptrItEEEESG_SG_SG_PmS8_NS6_8equal_toItEEEE10hipError_tPvRmT2_T3_mT4_T5_T6_T7_T8_P12ihipStream_tbENKUlT_T0_E_clISt17integral_constantIbLb0EES10_IbLb1EEEEDaSW_SX_EUlSW_E_NS1_11comp_targetILNS1_3genE0ELNS1_11target_archE4294967295ELNS1_3gpuE0ELNS1_3repE0EEENS1_30default_config_static_selectorELNS0_4arch9wavefront6targetE1EEEvT1_
	.p2align	8
	.type	_ZN7rocprim17ROCPRIM_400000_NS6detail17trampoline_kernelINS0_14default_configENS1_29reduce_by_key_config_selectorIttN6thrust23THRUST_200600_302600_NS4plusItEEEEZZNS1_33reduce_by_key_impl_wrapped_configILNS1_25lookback_scan_determinismE0ES3_S9_NS6_6detail15normal_iteratorINS6_10device_ptrItEEEESG_SG_SG_PmS8_NS6_8equal_toItEEEE10hipError_tPvRmT2_T3_mT4_T5_T6_T7_T8_P12ihipStream_tbENKUlT_T0_E_clISt17integral_constantIbLb0EES10_IbLb1EEEEDaSW_SX_EUlSW_E_NS1_11comp_targetILNS1_3genE0ELNS1_11target_archE4294967295ELNS1_3gpuE0ELNS1_3repE0EEENS1_30default_config_static_selectorELNS0_4arch9wavefront6targetE1EEEvT1_,@function
_ZN7rocprim17ROCPRIM_400000_NS6detail17trampoline_kernelINS0_14default_configENS1_29reduce_by_key_config_selectorIttN6thrust23THRUST_200600_302600_NS4plusItEEEEZZNS1_33reduce_by_key_impl_wrapped_configILNS1_25lookback_scan_determinismE0ES3_S9_NS6_6detail15normal_iteratorINS6_10device_ptrItEEEESG_SG_SG_PmS8_NS6_8equal_toItEEEE10hipError_tPvRmT2_T3_mT4_T5_T6_T7_T8_P12ihipStream_tbENKUlT_T0_E_clISt17integral_constantIbLb0EES10_IbLb1EEEEDaSW_SX_EUlSW_E_NS1_11comp_targetILNS1_3genE0ELNS1_11target_archE4294967295ELNS1_3gpuE0ELNS1_3repE0EEENS1_30default_config_static_selectorELNS0_4arch9wavefront6targetE1EEEvT1_: ; @_ZN7rocprim17ROCPRIM_400000_NS6detail17trampoline_kernelINS0_14default_configENS1_29reduce_by_key_config_selectorIttN6thrust23THRUST_200600_302600_NS4plusItEEEEZZNS1_33reduce_by_key_impl_wrapped_configILNS1_25lookback_scan_determinismE0ES3_S9_NS6_6detail15normal_iteratorINS6_10device_ptrItEEEESG_SG_SG_PmS8_NS6_8equal_toItEEEE10hipError_tPvRmT2_T3_mT4_T5_T6_T7_T8_P12ihipStream_tbENKUlT_T0_E_clISt17integral_constantIbLb0EES10_IbLb1EEEEDaSW_SX_EUlSW_E_NS1_11comp_targetILNS1_3genE0ELNS1_11target_archE4294967295ELNS1_3gpuE0ELNS1_3repE0EEENS1_30default_config_static_selectorELNS0_4arch9wavefront6targetE1EEEvT1_
; %bb.0:
	.section	.rodata,"a",@progbits
	.p2align	6, 0x0
	.amdhsa_kernel _ZN7rocprim17ROCPRIM_400000_NS6detail17trampoline_kernelINS0_14default_configENS1_29reduce_by_key_config_selectorIttN6thrust23THRUST_200600_302600_NS4plusItEEEEZZNS1_33reduce_by_key_impl_wrapped_configILNS1_25lookback_scan_determinismE0ES3_S9_NS6_6detail15normal_iteratorINS6_10device_ptrItEEEESG_SG_SG_PmS8_NS6_8equal_toItEEEE10hipError_tPvRmT2_T3_mT4_T5_T6_T7_T8_P12ihipStream_tbENKUlT_T0_E_clISt17integral_constantIbLb0EES10_IbLb1EEEEDaSW_SX_EUlSW_E_NS1_11comp_targetILNS1_3genE0ELNS1_11target_archE4294967295ELNS1_3gpuE0ELNS1_3repE0EEENS1_30default_config_static_selectorELNS0_4arch9wavefront6targetE1EEEvT1_
		.amdhsa_group_segment_fixed_size 0
		.amdhsa_private_segment_fixed_size 0
		.amdhsa_kernarg_size 120
		.amdhsa_user_sgpr_count 6
		.amdhsa_user_sgpr_private_segment_buffer 1
		.amdhsa_user_sgpr_dispatch_ptr 0
		.amdhsa_user_sgpr_queue_ptr 0
		.amdhsa_user_sgpr_kernarg_segment_ptr 1
		.amdhsa_user_sgpr_dispatch_id 0
		.amdhsa_user_sgpr_flat_scratch_init 0
		.amdhsa_user_sgpr_kernarg_preload_length 0
		.amdhsa_user_sgpr_kernarg_preload_offset 0
		.amdhsa_user_sgpr_private_segment_size 0
		.amdhsa_uses_dynamic_stack 0
		.amdhsa_system_sgpr_private_segment_wavefront_offset 0
		.amdhsa_system_sgpr_workgroup_id_x 1
		.amdhsa_system_sgpr_workgroup_id_y 0
		.amdhsa_system_sgpr_workgroup_id_z 0
		.amdhsa_system_sgpr_workgroup_info 0
		.amdhsa_system_vgpr_workitem_id 0
		.amdhsa_next_free_vgpr 1
		.amdhsa_next_free_sgpr 0
		.amdhsa_accum_offset 4
		.amdhsa_reserve_vcc 0
		.amdhsa_reserve_flat_scratch 0
		.amdhsa_float_round_mode_32 0
		.amdhsa_float_round_mode_16_64 0
		.amdhsa_float_denorm_mode_32 3
		.amdhsa_float_denorm_mode_16_64 3
		.amdhsa_dx10_clamp 1
		.amdhsa_ieee_mode 1
		.amdhsa_fp16_overflow 0
		.amdhsa_tg_split 0
		.amdhsa_exception_fp_ieee_invalid_op 0
		.amdhsa_exception_fp_denorm_src 0
		.amdhsa_exception_fp_ieee_div_zero 0
		.amdhsa_exception_fp_ieee_overflow 0
		.amdhsa_exception_fp_ieee_underflow 0
		.amdhsa_exception_fp_ieee_inexact 0
		.amdhsa_exception_int_div_zero 0
	.end_amdhsa_kernel
	.section	.text._ZN7rocprim17ROCPRIM_400000_NS6detail17trampoline_kernelINS0_14default_configENS1_29reduce_by_key_config_selectorIttN6thrust23THRUST_200600_302600_NS4plusItEEEEZZNS1_33reduce_by_key_impl_wrapped_configILNS1_25lookback_scan_determinismE0ES3_S9_NS6_6detail15normal_iteratorINS6_10device_ptrItEEEESG_SG_SG_PmS8_NS6_8equal_toItEEEE10hipError_tPvRmT2_T3_mT4_T5_T6_T7_T8_P12ihipStream_tbENKUlT_T0_E_clISt17integral_constantIbLb0EES10_IbLb1EEEEDaSW_SX_EUlSW_E_NS1_11comp_targetILNS1_3genE0ELNS1_11target_archE4294967295ELNS1_3gpuE0ELNS1_3repE0EEENS1_30default_config_static_selectorELNS0_4arch9wavefront6targetE1EEEvT1_,"axG",@progbits,_ZN7rocprim17ROCPRIM_400000_NS6detail17trampoline_kernelINS0_14default_configENS1_29reduce_by_key_config_selectorIttN6thrust23THRUST_200600_302600_NS4plusItEEEEZZNS1_33reduce_by_key_impl_wrapped_configILNS1_25lookback_scan_determinismE0ES3_S9_NS6_6detail15normal_iteratorINS6_10device_ptrItEEEESG_SG_SG_PmS8_NS6_8equal_toItEEEE10hipError_tPvRmT2_T3_mT4_T5_T6_T7_T8_P12ihipStream_tbENKUlT_T0_E_clISt17integral_constantIbLb0EES10_IbLb1EEEEDaSW_SX_EUlSW_E_NS1_11comp_targetILNS1_3genE0ELNS1_11target_archE4294967295ELNS1_3gpuE0ELNS1_3repE0EEENS1_30default_config_static_selectorELNS0_4arch9wavefront6targetE1EEEvT1_,comdat
.Lfunc_end422:
	.size	_ZN7rocprim17ROCPRIM_400000_NS6detail17trampoline_kernelINS0_14default_configENS1_29reduce_by_key_config_selectorIttN6thrust23THRUST_200600_302600_NS4plusItEEEEZZNS1_33reduce_by_key_impl_wrapped_configILNS1_25lookback_scan_determinismE0ES3_S9_NS6_6detail15normal_iteratorINS6_10device_ptrItEEEESG_SG_SG_PmS8_NS6_8equal_toItEEEE10hipError_tPvRmT2_T3_mT4_T5_T6_T7_T8_P12ihipStream_tbENKUlT_T0_E_clISt17integral_constantIbLb0EES10_IbLb1EEEEDaSW_SX_EUlSW_E_NS1_11comp_targetILNS1_3genE0ELNS1_11target_archE4294967295ELNS1_3gpuE0ELNS1_3repE0EEENS1_30default_config_static_selectorELNS0_4arch9wavefront6targetE1EEEvT1_, .Lfunc_end422-_ZN7rocprim17ROCPRIM_400000_NS6detail17trampoline_kernelINS0_14default_configENS1_29reduce_by_key_config_selectorIttN6thrust23THRUST_200600_302600_NS4plusItEEEEZZNS1_33reduce_by_key_impl_wrapped_configILNS1_25lookback_scan_determinismE0ES3_S9_NS6_6detail15normal_iteratorINS6_10device_ptrItEEEESG_SG_SG_PmS8_NS6_8equal_toItEEEE10hipError_tPvRmT2_T3_mT4_T5_T6_T7_T8_P12ihipStream_tbENKUlT_T0_E_clISt17integral_constantIbLb0EES10_IbLb1EEEEDaSW_SX_EUlSW_E_NS1_11comp_targetILNS1_3genE0ELNS1_11target_archE4294967295ELNS1_3gpuE0ELNS1_3repE0EEENS1_30default_config_static_selectorELNS0_4arch9wavefront6targetE1EEEvT1_
                                        ; -- End function
	.section	.AMDGPU.csdata,"",@progbits
; Kernel info:
; codeLenInByte = 0
; NumSgprs: 4
; NumVgprs: 0
; NumAgprs: 0
; TotalNumVgprs: 0
; ScratchSize: 0
; MemoryBound: 0
; FloatMode: 240
; IeeeMode: 1
; LDSByteSize: 0 bytes/workgroup (compile time only)
; SGPRBlocks: 0
; VGPRBlocks: 0
; NumSGPRsForWavesPerEU: 4
; NumVGPRsForWavesPerEU: 1
; AccumOffset: 4
; Occupancy: 8
; WaveLimiterHint : 0
; COMPUTE_PGM_RSRC2:SCRATCH_EN: 0
; COMPUTE_PGM_RSRC2:USER_SGPR: 6
; COMPUTE_PGM_RSRC2:TRAP_HANDLER: 0
; COMPUTE_PGM_RSRC2:TGID_X_EN: 1
; COMPUTE_PGM_RSRC2:TGID_Y_EN: 0
; COMPUTE_PGM_RSRC2:TGID_Z_EN: 0
; COMPUTE_PGM_RSRC2:TIDIG_COMP_CNT: 0
; COMPUTE_PGM_RSRC3_GFX90A:ACCUM_OFFSET: 0
; COMPUTE_PGM_RSRC3_GFX90A:TG_SPLIT: 0
	.section	.text._ZN7rocprim17ROCPRIM_400000_NS6detail17trampoline_kernelINS0_14default_configENS1_29reduce_by_key_config_selectorIttN6thrust23THRUST_200600_302600_NS4plusItEEEEZZNS1_33reduce_by_key_impl_wrapped_configILNS1_25lookback_scan_determinismE0ES3_S9_NS6_6detail15normal_iteratorINS6_10device_ptrItEEEESG_SG_SG_PmS8_NS6_8equal_toItEEEE10hipError_tPvRmT2_T3_mT4_T5_T6_T7_T8_P12ihipStream_tbENKUlT_T0_E_clISt17integral_constantIbLb0EES10_IbLb1EEEEDaSW_SX_EUlSW_E_NS1_11comp_targetILNS1_3genE5ELNS1_11target_archE942ELNS1_3gpuE9ELNS1_3repE0EEENS1_30default_config_static_selectorELNS0_4arch9wavefront6targetE1EEEvT1_,"axG",@progbits,_ZN7rocprim17ROCPRIM_400000_NS6detail17trampoline_kernelINS0_14default_configENS1_29reduce_by_key_config_selectorIttN6thrust23THRUST_200600_302600_NS4plusItEEEEZZNS1_33reduce_by_key_impl_wrapped_configILNS1_25lookback_scan_determinismE0ES3_S9_NS6_6detail15normal_iteratorINS6_10device_ptrItEEEESG_SG_SG_PmS8_NS6_8equal_toItEEEE10hipError_tPvRmT2_T3_mT4_T5_T6_T7_T8_P12ihipStream_tbENKUlT_T0_E_clISt17integral_constantIbLb0EES10_IbLb1EEEEDaSW_SX_EUlSW_E_NS1_11comp_targetILNS1_3genE5ELNS1_11target_archE942ELNS1_3gpuE9ELNS1_3repE0EEENS1_30default_config_static_selectorELNS0_4arch9wavefront6targetE1EEEvT1_,comdat
	.protected	_ZN7rocprim17ROCPRIM_400000_NS6detail17trampoline_kernelINS0_14default_configENS1_29reduce_by_key_config_selectorIttN6thrust23THRUST_200600_302600_NS4plusItEEEEZZNS1_33reduce_by_key_impl_wrapped_configILNS1_25lookback_scan_determinismE0ES3_S9_NS6_6detail15normal_iteratorINS6_10device_ptrItEEEESG_SG_SG_PmS8_NS6_8equal_toItEEEE10hipError_tPvRmT2_T3_mT4_T5_T6_T7_T8_P12ihipStream_tbENKUlT_T0_E_clISt17integral_constantIbLb0EES10_IbLb1EEEEDaSW_SX_EUlSW_E_NS1_11comp_targetILNS1_3genE5ELNS1_11target_archE942ELNS1_3gpuE9ELNS1_3repE0EEENS1_30default_config_static_selectorELNS0_4arch9wavefront6targetE1EEEvT1_ ; -- Begin function _ZN7rocprim17ROCPRIM_400000_NS6detail17trampoline_kernelINS0_14default_configENS1_29reduce_by_key_config_selectorIttN6thrust23THRUST_200600_302600_NS4plusItEEEEZZNS1_33reduce_by_key_impl_wrapped_configILNS1_25lookback_scan_determinismE0ES3_S9_NS6_6detail15normal_iteratorINS6_10device_ptrItEEEESG_SG_SG_PmS8_NS6_8equal_toItEEEE10hipError_tPvRmT2_T3_mT4_T5_T6_T7_T8_P12ihipStream_tbENKUlT_T0_E_clISt17integral_constantIbLb0EES10_IbLb1EEEEDaSW_SX_EUlSW_E_NS1_11comp_targetILNS1_3genE5ELNS1_11target_archE942ELNS1_3gpuE9ELNS1_3repE0EEENS1_30default_config_static_selectorELNS0_4arch9wavefront6targetE1EEEvT1_
	.globl	_ZN7rocprim17ROCPRIM_400000_NS6detail17trampoline_kernelINS0_14default_configENS1_29reduce_by_key_config_selectorIttN6thrust23THRUST_200600_302600_NS4plusItEEEEZZNS1_33reduce_by_key_impl_wrapped_configILNS1_25lookback_scan_determinismE0ES3_S9_NS6_6detail15normal_iteratorINS6_10device_ptrItEEEESG_SG_SG_PmS8_NS6_8equal_toItEEEE10hipError_tPvRmT2_T3_mT4_T5_T6_T7_T8_P12ihipStream_tbENKUlT_T0_E_clISt17integral_constantIbLb0EES10_IbLb1EEEEDaSW_SX_EUlSW_E_NS1_11comp_targetILNS1_3genE5ELNS1_11target_archE942ELNS1_3gpuE9ELNS1_3repE0EEENS1_30default_config_static_selectorELNS0_4arch9wavefront6targetE1EEEvT1_
	.p2align	8
	.type	_ZN7rocprim17ROCPRIM_400000_NS6detail17trampoline_kernelINS0_14default_configENS1_29reduce_by_key_config_selectorIttN6thrust23THRUST_200600_302600_NS4plusItEEEEZZNS1_33reduce_by_key_impl_wrapped_configILNS1_25lookback_scan_determinismE0ES3_S9_NS6_6detail15normal_iteratorINS6_10device_ptrItEEEESG_SG_SG_PmS8_NS6_8equal_toItEEEE10hipError_tPvRmT2_T3_mT4_T5_T6_T7_T8_P12ihipStream_tbENKUlT_T0_E_clISt17integral_constantIbLb0EES10_IbLb1EEEEDaSW_SX_EUlSW_E_NS1_11comp_targetILNS1_3genE5ELNS1_11target_archE942ELNS1_3gpuE9ELNS1_3repE0EEENS1_30default_config_static_selectorELNS0_4arch9wavefront6targetE1EEEvT1_,@function
_ZN7rocprim17ROCPRIM_400000_NS6detail17trampoline_kernelINS0_14default_configENS1_29reduce_by_key_config_selectorIttN6thrust23THRUST_200600_302600_NS4plusItEEEEZZNS1_33reduce_by_key_impl_wrapped_configILNS1_25lookback_scan_determinismE0ES3_S9_NS6_6detail15normal_iteratorINS6_10device_ptrItEEEESG_SG_SG_PmS8_NS6_8equal_toItEEEE10hipError_tPvRmT2_T3_mT4_T5_T6_T7_T8_P12ihipStream_tbENKUlT_T0_E_clISt17integral_constantIbLb0EES10_IbLb1EEEEDaSW_SX_EUlSW_E_NS1_11comp_targetILNS1_3genE5ELNS1_11target_archE942ELNS1_3gpuE9ELNS1_3repE0EEENS1_30default_config_static_selectorELNS0_4arch9wavefront6targetE1EEEvT1_: ; @_ZN7rocprim17ROCPRIM_400000_NS6detail17trampoline_kernelINS0_14default_configENS1_29reduce_by_key_config_selectorIttN6thrust23THRUST_200600_302600_NS4plusItEEEEZZNS1_33reduce_by_key_impl_wrapped_configILNS1_25lookback_scan_determinismE0ES3_S9_NS6_6detail15normal_iteratorINS6_10device_ptrItEEEESG_SG_SG_PmS8_NS6_8equal_toItEEEE10hipError_tPvRmT2_T3_mT4_T5_T6_T7_T8_P12ihipStream_tbENKUlT_T0_E_clISt17integral_constantIbLb0EES10_IbLb1EEEEDaSW_SX_EUlSW_E_NS1_11comp_targetILNS1_3genE5ELNS1_11target_archE942ELNS1_3gpuE9ELNS1_3repE0EEENS1_30default_config_static_selectorELNS0_4arch9wavefront6targetE1EEEvT1_
; %bb.0:
	.section	.rodata,"a",@progbits
	.p2align	6, 0x0
	.amdhsa_kernel _ZN7rocprim17ROCPRIM_400000_NS6detail17trampoline_kernelINS0_14default_configENS1_29reduce_by_key_config_selectorIttN6thrust23THRUST_200600_302600_NS4plusItEEEEZZNS1_33reduce_by_key_impl_wrapped_configILNS1_25lookback_scan_determinismE0ES3_S9_NS6_6detail15normal_iteratorINS6_10device_ptrItEEEESG_SG_SG_PmS8_NS6_8equal_toItEEEE10hipError_tPvRmT2_T3_mT4_T5_T6_T7_T8_P12ihipStream_tbENKUlT_T0_E_clISt17integral_constantIbLb0EES10_IbLb1EEEEDaSW_SX_EUlSW_E_NS1_11comp_targetILNS1_3genE5ELNS1_11target_archE942ELNS1_3gpuE9ELNS1_3repE0EEENS1_30default_config_static_selectorELNS0_4arch9wavefront6targetE1EEEvT1_
		.amdhsa_group_segment_fixed_size 0
		.amdhsa_private_segment_fixed_size 0
		.amdhsa_kernarg_size 120
		.amdhsa_user_sgpr_count 6
		.amdhsa_user_sgpr_private_segment_buffer 1
		.amdhsa_user_sgpr_dispatch_ptr 0
		.amdhsa_user_sgpr_queue_ptr 0
		.amdhsa_user_sgpr_kernarg_segment_ptr 1
		.amdhsa_user_sgpr_dispatch_id 0
		.amdhsa_user_sgpr_flat_scratch_init 0
		.amdhsa_user_sgpr_kernarg_preload_length 0
		.amdhsa_user_sgpr_kernarg_preload_offset 0
		.amdhsa_user_sgpr_private_segment_size 0
		.amdhsa_uses_dynamic_stack 0
		.amdhsa_system_sgpr_private_segment_wavefront_offset 0
		.amdhsa_system_sgpr_workgroup_id_x 1
		.amdhsa_system_sgpr_workgroup_id_y 0
		.amdhsa_system_sgpr_workgroup_id_z 0
		.amdhsa_system_sgpr_workgroup_info 0
		.amdhsa_system_vgpr_workitem_id 0
		.amdhsa_next_free_vgpr 1
		.amdhsa_next_free_sgpr 0
		.amdhsa_accum_offset 4
		.amdhsa_reserve_vcc 0
		.amdhsa_reserve_flat_scratch 0
		.amdhsa_float_round_mode_32 0
		.amdhsa_float_round_mode_16_64 0
		.amdhsa_float_denorm_mode_32 3
		.amdhsa_float_denorm_mode_16_64 3
		.amdhsa_dx10_clamp 1
		.amdhsa_ieee_mode 1
		.amdhsa_fp16_overflow 0
		.amdhsa_tg_split 0
		.amdhsa_exception_fp_ieee_invalid_op 0
		.amdhsa_exception_fp_denorm_src 0
		.amdhsa_exception_fp_ieee_div_zero 0
		.amdhsa_exception_fp_ieee_overflow 0
		.amdhsa_exception_fp_ieee_underflow 0
		.amdhsa_exception_fp_ieee_inexact 0
		.amdhsa_exception_int_div_zero 0
	.end_amdhsa_kernel
	.section	.text._ZN7rocprim17ROCPRIM_400000_NS6detail17trampoline_kernelINS0_14default_configENS1_29reduce_by_key_config_selectorIttN6thrust23THRUST_200600_302600_NS4plusItEEEEZZNS1_33reduce_by_key_impl_wrapped_configILNS1_25lookback_scan_determinismE0ES3_S9_NS6_6detail15normal_iteratorINS6_10device_ptrItEEEESG_SG_SG_PmS8_NS6_8equal_toItEEEE10hipError_tPvRmT2_T3_mT4_T5_T6_T7_T8_P12ihipStream_tbENKUlT_T0_E_clISt17integral_constantIbLb0EES10_IbLb1EEEEDaSW_SX_EUlSW_E_NS1_11comp_targetILNS1_3genE5ELNS1_11target_archE942ELNS1_3gpuE9ELNS1_3repE0EEENS1_30default_config_static_selectorELNS0_4arch9wavefront6targetE1EEEvT1_,"axG",@progbits,_ZN7rocprim17ROCPRIM_400000_NS6detail17trampoline_kernelINS0_14default_configENS1_29reduce_by_key_config_selectorIttN6thrust23THRUST_200600_302600_NS4plusItEEEEZZNS1_33reduce_by_key_impl_wrapped_configILNS1_25lookback_scan_determinismE0ES3_S9_NS6_6detail15normal_iteratorINS6_10device_ptrItEEEESG_SG_SG_PmS8_NS6_8equal_toItEEEE10hipError_tPvRmT2_T3_mT4_T5_T6_T7_T8_P12ihipStream_tbENKUlT_T0_E_clISt17integral_constantIbLb0EES10_IbLb1EEEEDaSW_SX_EUlSW_E_NS1_11comp_targetILNS1_3genE5ELNS1_11target_archE942ELNS1_3gpuE9ELNS1_3repE0EEENS1_30default_config_static_selectorELNS0_4arch9wavefront6targetE1EEEvT1_,comdat
.Lfunc_end423:
	.size	_ZN7rocprim17ROCPRIM_400000_NS6detail17trampoline_kernelINS0_14default_configENS1_29reduce_by_key_config_selectorIttN6thrust23THRUST_200600_302600_NS4plusItEEEEZZNS1_33reduce_by_key_impl_wrapped_configILNS1_25lookback_scan_determinismE0ES3_S9_NS6_6detail15normal_iteratorINS6_10device_ptrItEEEESG_SG_SG_PmS8_NS6_8equal_toItEEEE10hipError_tPvRmT2_T3_mT4_T5_T6_T7_T8_P12ihipStream_tbENKUlT_T0_E_clISt17integral_constantIbLb0EES10_IbLb1EEEEDaSW_SX_EUlSW_E_NS1_11comp_targetILNS1_3genE5ELNS1_11target_archE942ELNS1_3gpuE9ELNS1_3repE0EEENS1_30default_config_static_selectorELNS0_4arch9wavefront6targetE1EEEvT1_, .Lfunc_end423-_ZN7rocprim17ROCPRIM_400000_NS6detail17trampoline_kernelINS0_14default_configENS1_29reduce_by_key_config_selectorIttN6thrust23THRUST_200600_302600_NS4plusItEEEEZZNS1_33reduce_by_key_impl_wrapped_configILNS1_25lookback_scan_determinismE0ES3_S9_NS6_6detail15normal_iteratorINS6_10device_ptrItEEEESG_SG_SG_PmS8_NS6_8equal_toItEEEE10hipError_tPvRmT2_T3_mT4_T5_T6_T7_T8_P12ihipStream_tbENKUlT_T0_E_clISt17integral_constantIbLb0EES10_IbLb1EEEEDaSW_SX_EUlSW_E_NS1_11comp_targetILNS1_3genE5ELNS1_11target_archE942ELNS1_3gpuE9ELNS1_3repE0EEENS1_30default_config_static_selectorELNS0_4arch9wavefront6targetE1EEEvT1_
                                        ; -- End function
	.section	.AMDGPU.csdata,"",@progbits
; Kernel info:
; codeLenInByte = 0
; NumSgprs: 4
; NumVgprs: 0
; NumAgprs: 0
; TotalNumVgprs: 0
; ScratchSize: 0
; MemoryBound: 0
; FloatMode: 240
; IeeeMode: 1
; LDSByteSize: 0 bytes/workgroup (compile time only)
; SGPRBlocks: 0
; VGPRBlocks: 0
; NumSGPRsForWavesPerEU: 4
; NumVGPRsForWavesPerEU: 1
; AccumOffset: 4
; Occupancy: 8
; WaveLimiterHint : 0
; COMPUTE_PGM_RSRC2:SCRATCH_EN: 0
; COMPUTE_PGM_RSRC2:USER_SGPR: 6
; COMPUTE_PGM_RSRC2:TRAP_HANDLER: 0
; COMPUTE_PGM_RSRC2:TGID_X_EN: 1
; COMPUTE_PGM_RSRC2:TGID_Y_EN: 0
; COMPUTE_PGM_RSRC2:TGID_Z_EN: 0
; COMPUTE_PGM_RSRC2:TIDIG_COMP_CNT: 0
; COMPUTE_PGM_RSRC3_GFX90A:ACCUM_OFFSET: 0
; COMPUTE_PGM_RSRC3_GFX90A:TG_SPLIT: 0
	.section	.text._ZN7rocprim17ROCPRIM_400000_NS6detail17trampoline_kernelINS0_14default_configENS1_29reduce_by_key_config_selectorIttN6thrust23THRUST_200600_302600_NS4plusItEEEEZZNS1_33reduce_by_key_impl_wrapped_configILNS1_25lookback_scan_determinismE0ES3_S9_NS6_6detail15normal_iteratorINS6_10device_ptrItEEEESG_SG_SG_PmS8_NS6_8equal_toItEEEE10hipError_tPvRmT2_T3_mT4_T5_T6_T7_T8_P12ihipStream_tbENKUlT_T0_E_clISt17integral_constantIbLb0EES10_IbLb1EEEEDaSW_SX_EUlSW_E_NS1_11comp_targetILNS1_3genE4ELNS1_11target_archE910ELNS1_3gpuE8ELNS1_3repE0EEENS1_30default_config_static_selectorELNS0_4arch9wavefront6targetE1EEEvT1_,"axG",@progbits,_ZN7rocprim17ROCPRIM_400000_NS6detail17trampoline_kernelINS0_14default_configENS1_29reduce_by_key_config_selectorIttN6thrust23THRUST_200600_302600_NS4plusItEEEEZZNS1_33reduce_by_key_impl_wrapped_configILNS1_25lookback_scan_determinismE0ES3_S9_NS6_6detail15normal_iteratorINS6_10device_ptrItEEEESG_SG_SG_PmS8_NS6_8equal_toItEEEE10hipError_tPvRmT2_T3_mT4_T5_T6_T7_T8_P12ihipStream_tbENKUlT_T0_E_clISt17integral_constantIbLb0EES10_IbLb1EEEEDaSW_SX_EUlSW_E_NS1_11comp_targetILNS1_3genE4ELNS1_11target_archE910ELNS1_3gpuE8ELNS1_3repE0EEENS1_30default_config_static_selectorELNS0_4arch9wavefront6targetE1EEEvT1_,comdat
	.protected	_ZN7rocprim17ROCPRIM_400000_NS6detail17trampoline_kernelINS0_14default_configENS1_29reduce_by_key_config_selectorIttN6thrust23THRUST_200600_302600_NS4plusItEEEEZZNS1_33reduce_by_key_impl_wrapped_configILNS1_25lookback_scan_determinismE0ES3_S9_NS6_6detail15normal_iteratorINS6_10device_ptrItEEEESG_SG_SG_PmS8_NS6_8equal_toItEEEE10hipError_tPvRmT2_T3_mT4_T5_T6_T7_T8_P12ihipStream_tbENKUlT_T0_E_clISt17integral_constantIbLb0EES10_IbLb1EEEEDaSW_SX_EUlSW_E_NS1_11comp_targetILNS1_3genE4ELNS1_11target_archE910ELNS1_3gpuE8ELNS1_3repE0EEENS1_30default_config_static_selectorELNS0_4arch9wavefront6targetE1EEEvT1_ ; -- Begin function _ZN7rocprim17ROCPRIM_400000_NS6detail17trampoline_kernelINS0_14default_configENS1_29reduce_by_key_config_selectorIttN6thrust23THRUST_200600_302600_NS4plusItEEEEZZNS1_33reduce_by_key_impl_wrapped_configILNS1_25lookback_scan_determinismE0ES3_S9_NS6_6detail15normal_iteratorINS6_10device_ptrItEEEESG_SG_SG_PmS8_NS6_8equal_toItEEEE10hipError_tPvRmT2_T3_mT4_T5_T6_T7_T8_P12ihipStream_tbENKUlT_T0_E_clISt17integral_constantIbLb0EES10_IbLb1EEEEDaSW_SX_EUlSW_E_NS1_11comp_targetILNS1_3genE4ELNS1_11target_archE910ELNS1_3gpuE8ELNS1_3repE0EEENS1_30default_config_static_selectorELNS0_4arch9wavefront6targetE1EEEvT1_
	.globl	_ZN7rocprim17ROCPRIM_400000_NS6detail17trampoline_kernelINS0_14default_configENS1_29reduce_by_key_config_selectorIttN6thrust23THRUST_200600_302600_NS4plusItEEEEZZNS1_33reduce_by_key_impl_wrapped_configILNS1_25lookback_scan_determinismE0ES3_S9_NS6_6detail15normal_iteratorINS6_10device_ptrItEEEESG_SG_SG_PmS8_NS6_8equal_toItEEEE10hipError_tPvRmT2_T3_mT4_T5_T6_T7_T8_P12ihipStream_tbENKUlT_T0_E_clISt17integral_constantIbLb0EES10_IbLb1EEEEDaSW_SX_EUlSW_E_NS1_11comp_targetILNS1_3genE4ELNS1_11target_archE910ELNS1_3gpuE8ELNS1_3repE0EEENS1_30default_config_static_selectorELNS0_4arch9wavefront6targetE1EEEvT1_
	.p2align	8
	.type	_ZN7rocprim17ROCPRIM_400000_NS6detail17trampoline_kernelINS0_14default_configENS1_29reduce_by_key_config_selectorIttN6thrust23THRUST_200600_302600_NS4plusItEEEEZZNS1_33reduce_by_key_impl_wrapped_configILNS1_25lookback_scan_determinismE0ES3_S9_NS6_6detail15normal_iteratorINS6_10device_ptrItEEEESG_SG_SG_PmS8_NS6_8equal_toItEEEE10hipError_tPvRmT2_T3_mT4_T5_T6_T7_T8_P12ihipStream_tbENKUlT_T0_E_clISt17integral_constantIbLb0EES10_IbLb1EEEEDaSW_SX_EUlSW_E_NS1_11comp_targetILNS1_3genE4ELNS1_11target_archE910ELNS1_3gpuE8ELNS1_3repE0EEENS1_30default_config_static_selectorELNS0_4arch9wavefront6targetE1EEEvT1_,@function
_ZN7rocprim17ROCPRIM_400000_NS6detail17trampoline_kernelINS0_14default_configENS1_29reduce_by_key_config_selectorIttN6thrust23THRUST_200600_302600_NS4plusItEEEEZZNS1_33reduce_by_key_impl_wrapped_configILNS1_25lookback_scan_determinismE0ES3_S9_NS6_6detail15normal_iteratorINS6_10device_ptrItEEEESG_SG_SG_PmS8_NS6_8equal_toItEEEE10hipError_tPvRmT2_T3_mT4_T5_T6_T7_T8_P12ihipStream_tbENKUlT_T0_E_clISt17integral_constantIbLb0EES10_IbLb1EEEEDaSW_SX_EUlSW_E_NS1_11comp_targetILNS1_3genE4ELNS1_11target_archE910ELNS1_3gpuE8ELNS1_3repE0EEENS1_30default_config_static_selectorELNS0_4arch9wavefront6targetE1EEEvT1_: ; @_ZN7rocprim17ROCPRIM_400000_NS6detail17trampoline_kernelINS0_14default_configENS1_29reduce_by_key_config_selectorIttN6thrust23THRUST_200600_302600_NS4plusItEEEEZZNS1_33reduce_by_key_impl_wrapped_configILNS1_25lookback_scan_determinismE0ES3_S9_NS6_6detail15normal_iteratorINS6_10device_ptrItEEEESG_SG_SG_PmS8_NS6_8equal_toItEEEE10hipError_tPvRmT2_T3_mT4_T5_T6_T7_T8_P12ihipStream_tbENKUlT_T0_E_clISt17integral_constantIbLb0EES10_IbLb1EEEEDaSW_SX_EUlSW_E_NS1_11comp_targetILNS1_3genE4ELNS1_11target_archE910ELNS1_3gpuE8ELNS1_3repE0EEENS1_30default_config_static_selectorELNS0_4arch9wavefront6targetE1EEEvT1_
; %bb.0:
	s_load_dwordx8 s[36:43], s[4:5], 0x0
	s_load_dwordx4 s[52:55], s[4:5], 0x20
	s_load_dwordx8 s[44:51], s[4:5], 0x38
	s_load_dwordx2 s[60:61], s[4:5], 0x68
	s_load_dwordx4 s[56:59], s[4:5], 0x58
	v_cmp_ne_u32_e64 s[2:3], 0, v0
	v_cmp_eq_u32_e64 s[0:1], 0, v0
	s_and_saveexec_b64 s[6:7], s[0:1]
	s_cbranch_execz .LBB424_4
; %bb.1:
	s_mov_b64 s[10:11], exec
	v_mbcnt_lo_u32_b32 v1, s10, 0
	v_mbcnt_hi_u32_b32 v1, s11, v1
	v_cmp_eq_u32_e32 vcc, 0, v1
                                        ; implicit-def: $vgpr2
	s_and_saveexec_b64 s[8:9], vcc
	s_cbranch_execz .LBB424_3
; %bb.2:
	s_load_dwordx2 s[4:5], s[4:5], 0x70
	s_bcnt1_i32_b64 s10, s[10:11]
	v_mov_b32_e32 v2, 0
	v_mov_b32_e32 v3, s10
	s_waitcnt lgkmcnt(0)
	global_atomic_add v2, v2, v3, s[4:5] glc
.LBB424_3:
	s_or_b64 exec, exec, s[8:9]
	s_waitcnt vmcnt(0)
	v_readfirstlane_b32 s4, v2
	v_add_u32_e32 v1, s4, v1
	v_mov_b32_e32 v2, 0
	ds_write_b32 v2, v1
.LBB424_4:
	s_or_b64 exec, exec, s[6:7]
	v_mov_b32_e32 v3, 0
	s_waitcnt lgkmcnt(0)
	s_lshl_b64 s[4:5], s[38:39], 1
	s_barrier
	ds_read_b32 v1, v3
	s_add_u32 s6, s36, s4
	s_addc_u32 s7, s37, s5
	s_add_u32 s4, s40, s4
	s_mul_i32 s8, s48, s47
	s_mul_hi_u32 s9, s48, s46
	s_addc_u32 s5, s41, s5
	s_add_i32 s8, s9, s8
	s_mul_i32 s9, s49, s46
	s_add_i32 s8, s8, s9
	s_mul_i32 s9, s48, s46
	s_waitcnt lgkmcnt(0)
	v_readfirstlane_b32 s62, v1
	s_movk_i32 s10, 0xf00
	v_mul_lo_u32 v2, v1, s10
	s_add_u32 s40, s9, s62
	v_lshlrev_b64 v[2:3], 1, v[2:3]
	s_addc_u32 s41, s8, 0
	v_mov_b32_e32 v1, s7
	v_add_co_u32_e32 v7, vcc, s6, v2
	s_add_u32 s6, s50, -1
	v_addc_co_u32_e32 v9, vcc, v1, v3, vcc
	s_addc_u32 s7, s51, -1
	v_mov_b32_e32 v1, s5
	v_add_co_u32_e32 v6, vcc, s4, v2
	s_cmp_eq_u64 s[40:41], s[6:7]
	v_addc_co_u32_e32 v8, vcc, v1, v3, vcc
	s_cselect_b64 s[36:37], -1, 0
	s_cmp_lg_u64 s[40:41], s[6:7]
	s_mov_b64 s[4:5], -1
	s_cselect_b64 s[48:49], -1, 0
	s_mul_i32 s33, s6, 0xfffff100
	s_and_b64 vcc, exec, s[36:37]
	s_barrier
	s_cbranch_vccnz .LBB424_6
; %bb.5:
	v_lshlrev_b32_e32 v17, 1, v0
	v_add_co_u32_e32 v2, vcc, v7, v17
	v_addc_co_u32_e32 v3, vcc, 0, v9, vcc
	flat_load_ushort v1, v[2:3]
	flat_load_ushort v4, v[2:3] offset:512
	flat_load_ushort v5, v[2:3] offset:1024
	;; [unrolled: 1-line block ×7, first 2 shown]
	v_add_co_u32_e32 v2, vcc, 0x1000, v2
	v_addc_co_u32_e32 v3, vcc, 0, v3, vcc
	flat_load_ushort v21, v[2:3]
	flat_load_ushort v22, v[2:3] offset:512
	flat_load_ushort v23, v[2:3] offset:1024
	;; [unrolled: 1-line block ×6, first 2 shown]
	v_add_co_u32_e32 v12, vcc, v6, v17
	s_movk_i32 s4, 0x1000
	v_addc_co_u32_e32 v13, vcc, 0, v8, vcc
	v_mad_u32_u24 v10, v0, 28, v17
	v_add_co_u32_e32 v18, vcc, s4, v12
	v_addc_co_u32_e32 v19, vcc, 0, v13, vcc
	s_waitcnt vmcnt(0) lgkmcnt(0)
	ds_write_b16 v17, v1
	ds_write_b16 v17, v4 offset:512
	ds_write_b16 v17, v5 offset:1024
	;; [unrolled: 1-line block ×14, first 2 shown]
	s_waitcnt lgkmcnt(0)
	s_barrier
	ds_read_u16 v1, v10
	ds_read_b128 v[2:5], v10 offset:2
	ds_read_b96 v[14:16], v10 offset:18
	s_waitcnt lgkmcnt(0)
	s_barrier
	flat_load_ushort v20, v[12:13]
	flat_load_ushort v21, v[12:13] offset:512
	flat_load_ushort v22, v[12:13] offset:1024
	;; [unrolled: 1-line block ×7, first 2 shown]
	flat_load_ushort v28, v[18:19]
	flat_load_ushort v29, v[18:19] offset:512
	flat_load_ushort v30, v[18:19] offset:1024
	;; [unrolled: 1-line block ×6, first 2 shown]
	v_mul_u32_u24_e32 v11, 15, v0
	s_waitcnt vmcnt(0) lgkmcnt(0)
	ds_write_b16 v17, v20
	ds_write_b16 v17, v21 offset:512
	ds_write_b16 v17, v22 offset:1024
	;; [unrolled: 1-line block ×14, first 2 shown]
	s_waitcnt lgkmcnt(0)
	s_barrier
	s_add_i32 s33, s33, s56
	s_cbranch_execz .LBB424_7
	s_branch .LBB424_54
.LBB424_6:
                                        ; implicit-def: $vgpr2
                                        ; implicit-def: $vgpr14
                                        ; implicit-def: $vgpr11
                                        ; implicit-def: $vgpr10
                                        ; implicit-def: $vgpr1
	s_andn2_b64 vcc, exec, s[4:5]
	s_add_i32 s33, s33, s56
	s_cbranch_vccnz .LBB424_54
.LBB424_7:
	v_cmp_gt_u32_e32 vcc, s33, v0
                                        ; implicit-def: $vgpr1
	s_and_saveexec_b64 s[6:7], vcc
	s_cbranch_execz .LBB424_9
; %bb.8:
	v_lshlrev_b32_e32 v1, 1, v0
	v_add_co_u32_e64 v2, s[4:5], v7, v1
	v_addc_co_u32_e64 v3, s[4:5], 0, v9, s[4:5]
	flat_load_ushort v1, v[2:3]
.LBB424_9:
	s_or_b64 exec, exec, s[6:7]
	v_or_b32_e32 v2, 0x100, v0
	v_cmp_gt_u32_e64 s[4:5], s33, v2
                                        ; implicit-def: $vgpr2
	s_and_saveexec_b64 s[8:9], s[4:5]
	s_cbranch_execz .LBB424_11
; %bb.10:
	v_lshlrev_b32_e32 v2, 1, v0
	v_add_co_u32_e64 v2, s[6:7], v7, v2
	v_addc_co_u32_e64 v3, s[6:7], 0, v9, s[6:7]
	flat_load_ushort v2, v[2:3] offset:512
.LBB424_11:
	s_or_b64 exec, exec, s[8:9]
	v_or_b32_e32 v3, 0x200, v0
	v_cmp_gt_u32_e64 s[6:7], s33, v3
                                        ; implicit-def: $vgpr3
	s_and_saveexec_b64 s[10:11], s[6:7]
	s_cbranch_execz .LBB424_13
; %bb.12:
	v_lshlrev_b32_e32 v3, 1, v0
	v_add_co_u32_e64 v4, s[8:9], v7, v3
	v_addc_co_u32_e64 v5, s[8:9], 0, v9, s[8:9]
	flat_load_ushort v3, v[4:5] offset:1024
.LBB424_13:
	s_or_b64 exec, exec, s[10:11]
	v_or_b32_e32 v4, 0x300, v0
	v_cmp_gt_u32_e64 s[8:9], s33, v4
                                        ; implicit-def: $vgpr4
	s_and_saveexec_b64 s[12:13], s[8:9]
	s_cbranch_execz .LBB424_15
; %bb.14:
	v_lshlrev_b32_e32 v4, 1, v0
	v_add_co_u32_e64 v4, s[10:11], v7, v4
	v_addc_co_u32_e64 v5, s[10:11], 0, v9, s[10:11]
	flat_load_ushort v4, v[4:5] offset:1536
.LBB424_15:
	s_or_b64 exec, exec, s[12:13]
	v_or_b32_e32 v5, 0x400, v0
	v_cmp_gt_u32_e64 s[10:11], s33, v5
                                        ; implicit-def: $vgpr5
	s_and_saveexec_b64 s[14:15], s[10:11]
	s_cbranch_execz .LBB424_17
; %bb.16:
	v_lshlrev_b32_e32 v5, 1, v0
	v_add_co_u32_e64 v10, s[12:13], v7, v5
	v_addc_co_u32_e64 v11, s[12:13], 0, v9, s[12:13]
	flat_load_ushort v5, v[10:11] offset:2048
.LBB424_17:
	s_or_b64 exec, exec, s[14:15]
	v_or_b32_e32 v10, 0x500, v0
	v_cmp_gt_u32_e64 s[12:13], s33, v10
                                        ; implicit-def: $vgpr10
	s_and_saveexec_b64 s[16:17], s[12:13]
	s_cbranch_execz .LBB424_19
; %bb.18:
	v_lshlrev_b32_e32 v10, 1, v0
	v_add_co_u32_e64 v10, s[14:15], v7, v10
	v_addc_co_u32_e64 v11, s[14:15], 0, v9, s[14:15]
	flat_load_ushort v10, v[10:11] offset:2560
.LBB424_19:
	s_or_b64 exec, exec, s[16:17]
	v_or_b32_e32 v11, 0x600, v0
	v_cmp_gt_u32_e64 s[14:15], s33, v11
                                        ; implicit-def: $vgpr14
	s_and_saveexec_b64 s[18:19], s[14:15]
	s_cbranch_execz .LBB424_21
; %bb.20:
	v_lshlrev_b32_e32 v11, 1, v0
	v_add_co_u32_e64 v12, s[16:17], v7, v11
	v_addc_co_u32_e64 v13, s[16:17], 0, v9, s[16:17]
	flat_load_ushort v14, v[12:13] offset:3072
.LBB424_21:
	s_or_b64 exec, exec, s[18:19]
	v_or_b32_e32 v11, 0x700, v0
	v_cmp_gt_u32_e64 s[16:17], s33, v11
                                        ; implicit-def: $vgpr15
	s_and_saveexec_b64 s[20:21], s[16:17]
	s_cbranch_execz .LBB424_23
; %bb.22:
	v_lshlrev_b32_e32 v11, 1, v0
	v_add_co_u32_e64 v12, s[18:19], v7, v11
	v_addc_co_u32_e64 v13, s[18:19], 0, v9, s[18:19]
	flat_load_ushort v15, v[12:13] offset:3584
.LBB424_23:
	s_or_b64 exec, exec, s[20:21]
	v_or_b32_e32 v11, 0x800, v0
	v_cmp_gt_u32_e64 s[18:19], s33, v11
	v_lshlrev_b32_e32 v11, 1, v11
                                        ; implicit-def: $vgpr16
	s_and_saveexec_b64 s[22:23], s[18:19]
	s_cbranch_execz .LBB424_25
; %bb.24:
	v_add_co_u32_e64 v12, s[20:21], v7, v11
	v_addc_co_u32_e64 v13, s[20:21], 0, v9, s[20:21]
	flat_load_ushort v16, v[12:13]
.LBB424_25:
	s_or_b64 exec, exec, s[22:23]
	v_or_b32_e32 v12, 0x900, v0
	v_cmp_gt_u32_e64 s[20:21], s33, v12
	v_lshlrev_b32_e32 v12, 1, v12
                                        ; implicit-def: $vgpr22
	s_and_saveexec_b64 s[24:25], s[20:21]
	s_cbranch_execz .LBB424_27
; %bb.26:
	v_add_co_u32_e64 v18, s[22:23], v7, v12
	v_addc_co_u32_e64 v19, s[22:23], 0, v9, s[22:23]
	flat_load_ushort v22, v[18:19]
.LBB424_27:
	s_or_b64 exec, exec, s[24:25]
	v_or_b32_e32 v13, 0xa00, v0
	v_cmp_gt_u32_e64 s[22:23], s33, v13
	v_lshlrev_b32_e32 v17, 1, v13
                                        ; implicit-def: $vgpr23
	s_and_saveexec_b64 s[26:27], s[22:23]
	s_cbranch_execz .LBB424_29
; %bb.28:
	v_add_co_u32_e64 v18, s[24:25], v7, v17
	v_addc_co_u32_e64 v19, s[24:25], 0, v9, s[24:25]
	flat_load_ushort v23, v[18:19]
.LBB424_29:
	s_or_b64 exec, exec, s[26:27]
	v_or_b32_e32 v13, 0xb00, v0
	v_cmp_gt_u32_e64 s[24:25], s33, v13
	v_lshlrev_b32_e32 v18, 1, v13
                                        ; implicit-def: $vgpr24
	s_and_saveexec_b64 s[28:29], s[24:25]
	s_cbranch_execz .LBB424_31
; %bb.30:
	v_add_co_u32_e64 v20, s[26:27], v7, v18
	v_addc_co_u32_e64 v21, s[26:27], 0, v9, s[26:27]
	flat_load_ushort v24, v[20:21]
.LBB424_31:
	s_or_b64 exec, exec, s[28:29]
	v_or_b32_e32 v13, 0xc00, v0
	v_cmp_gt_u32_e64 s[26:27], s33, v13
	v_lshlrev_b32_e32 v19, 1, v13
                                        ; implicit-def: $vgpr25
	s_and_saveexec_b64 s[30:31], s[26:27]
	s_cbranch_execz .LBB424_33
; %bb.32:
	v_add_co_u32_e64 v20, s[28:29], v7, v19
	v_addc_co_u32_e64 v21, s[28:29], 0, v9, s[28:29]
	flat_load_ushort v25, v[20:21]
.LBB424_33:
	s_or_b64 exec, exec, s[30:31]
	v_or_b32_e32 v13, 0xd00, v0
	v_cmp_gt_u32_e64 s[28:29], s33, v13
	v_lshlrev_b32_e32 v20, 1, v13
                                        ; implicit-def: $vgpr26
	s_and_saveexec_b64 s[34:35], s[28:29]
	s_cbranch_execz .LBB424_35
; %bb.34:
	v_add_co_u32_e64 v26, s[30:31], v7, v20
	v_addc_co_u32_e64 v27, s[30:31], 0, v9, s[30:31]
	flat_load_ushort v26, v[26:27]
.LBB424_35:
	s_or_b64 exec, exec, s[34:35]
	v_or_b32_e32 v13, 0xe00, v0
	v_cmp_gt_u32_e64 s[30:31], s33, v13
	v_lshlrev_b32_e32 v21, 1, v13
                                        ; implicit-def: $vgpr27
	s_and_saveexec_b64 s[38:39], s[30:31]
	s_cbranch_execz .LBB424_37
; %bb.36:
	v_add_co_u32_e64 v28, s[34:35], v7, v21
	v_addc_co_u32_e64 v29, s[34:35], 0, v9, s[34:35]
	flat_load_ushort v27, v[28:29]
.LBB424_37:
	s_or_b64 exec, exec, s[38:39]
	v_lshlrev_b32_e32 v13, 1, v0
	s_waitcnt vmcnt(0) lgkmcnt(0)
	ds_write_b16 v13, v1
	ds_write_b16 v13, v2 offset:512
	ds_write_b16 v13, v3 offset:1024
	;; [unrolled: 1-line block ×14, first 2 shown]
	v_mad_u32_u24 v10, v0, 28, v13
	s_waitcnt lgkmcnt(0)
	s_barrier
	ds_read_u16 v1, v10
	ds_read_b128 v[2:5], v10 offset:2
	ds_read_b96 v[14:16], v10 offset:18
	s_waitcnt lgkmcnt(0)
	s_barrier
	s_waitcnt lgkmcnt(0)
                                        ; implicit-def: $vgpr22
	s_and_saveexec_b64 s[34:35], vcc
	s_cbranch_execnz .LBB424_61
; %bb.38:
	s_or_b64 exec, exec, s[34:35]
                                        ; implicit-def: $vgpr23
	s_and_saveexec_b64 s[34:35], s[4:5]
	s_cbranch_execnz .LBB424_62
.LBB424_39:
	s_or_b64 exec, exec, s[34:35]
                                        ; implicit-def: $vgpr24
	s_and_saveexec_b64 s[4:5], s[6:7]
	s_cbranch_execnz .LBB424_63
.LBB424_40:
	s_or_b64 exec, exec, s[4:5]
                                        ; implicit-def: $vgpr25
	s_and_saveexec_b64 s[4:5], s[8:9]
	s_cbranch_execnz .LBB424_64
.LBB424_41:
	s_or_b64 exec, exec, s[4:5]
                                        ; implicit-def: $vgpr26
	s_and_saveexec_b64 s[4:5], s[10:11]
	s_cbranch_execnz .LBB424_65
.LBB424_42:
	s_or_b64 exec, exec, s[4:5]
                                        ; implicit-def: $vgpr27
	s_and_saveexec_b64 s[4:5], s[12:13]
	s_cbranch_execnz .LBB424_66
.LBB424_43:
	s_or_b64 exec, exec, s[4:5]
                                        ; implicit-def: $vgpr28
	s_and_saveexec_b64 s[4:5], s[14:15]
	s_cbranch_execnz .LBB424_67
.LBB424_44:
	s_or_b64 exec, exec, s[4:5]
                                        ; implicit-def: $vgpr29
	s_and_saveexec_b64 s[4:5], s[16:17]
	s_cbranch_execnz .LBB424_68
.LBB424_45:
	s_or_b64 exec, exec, s[4:5]
                                        ; implicit-def: $vgpr30
	s_and_saveexec_b64 s[4:5], s[18:19]
	s_cbranch_execnz .LBB424_69
.LBB424_46:
	s_or_b64 exec, exec, s[4:5]
                                        ; implicit-def: $vgpr31
	s_and_saveexec_b64 s[4:5], s[20:21]
	s_cbranch_execnz .LBB424_70
.LBB424_47:
	s_or_b64 exec, exec, s[4:5]
                                        ; implicit-def: $vgpr12
	s_and_saveexec_b64 s[4:5], s[22:23]
	s_cbranch_execnz .LBB424_71
.LBB424_48:
	s_or_b64 exec, exec, s[4:5]
                                        ; implicit-def: $vgpr17
	s_and_saveexec_b64 s[4:5], s[24:25]
	s_cbranch_execnz .LBB424_72
.LBB424_49:
	s_or_b64 exec, exec, s[4:5]
                                        ; implicit-def: $vgpr18
	s_and_saveexec_b64 s[4:5], s[26:27]
	s_cbranch_execnz .LBB424_73
.LBB424_50:
	s_or_b64 exec, exec, s[4:5]
                                        ; implicit-def: $vgpr19
	s_and_saveexec_b64 s[4:5], s[28:29]
	s_cbranch_execnz .LBB424_74
.LBB424_51:
	s_or_b64 exec, exec, s[4:5]
                                        ; implicit-def: $vgpr20
	s_and_saveexec_b64 s[4:5], s[30:31]
	s_cbranch_execz .LBB424_53
.LBB424_52:
	v_add_co_u32_e32 v20, vcc, v6, v21
	v_addc_co_u32_e32 v21, vcc, 0, v8, vcc
	flat_load_ushort v20, v[20:21]
.LBB424_53:
	s_or_b64 exec, exec, s[4:5]
	v_mul_u32_u24_e32 v11, 15, v0
	s_waitcnt vmcnt(0) lgkmcnt(0)
	ds_write_b16 v13, v22
	ds_write_b16 v13, v23 offset:512
	ds_write_b16 v13, v24 offset:1024
	;; [unrolled: 1-line block ×14, first 2 shown]
	s_waitcnt lgkmcnt(0)
	s_barrier
.LBB424_54:
	v_lshlrev_b32_e32 v6, 1, v11
	ds_read_u16 v77, v10
	ds_read_u16 v76, v10 offset:2
	ds_read_u16 v74, v10 offset:6
	;; [unrolled: 1-line block ×14, first 2 shown]
	s_cmp_eq_u64 s[40:41], 0
	s_cselect_b64 s[38:39], -1, 0
	s_cmp_lg_u64 s[40:41], 0
	s_mov_b64 s[6:7], 0
	s_cselect_b64 s[8:9], -1, 0
	s_and_b64 vcc, exec, s[48:49]
	s_waitcnt lgkmcnt(0)
	s_barrier
	s_cbranch_vccz .LBB424_60
; %bb.55:
	s_and_b64 vcc, exec, s[8:9]
	s_cbranch_vccz .LBB424_75
; %bb.56:
	v_add_co_u32_e32 v10, vcc, -2, v7
	v_addc_co_u32_e32 v11, vcc, -1, v9, vcc
	flat_load_ushort v6, v[10:11]
	v_lshrrev_b32_e32 v10, 16, v16
	v_lshlrev_b32_e32 v8, 1, v0
	v_cmp_ne_u16_e32 vcc, v16, v10
	v_cmp_ne_u16_sdwa s[6:7], v15, v16 src0_sel:WORD_1 src1_sel:DWORD
	v_cmp_ne_u16_sdwa s[10:11], v15, v15 src0_sel:DWORD src1_sel:WORD_1
	v_cmp_ne_u16_sdwa s[12:13], v14, v15 src0_sel:WORD_1 src1_sel:DWORD
	v_cmp_ne_u16_sdwa s[14:15], v14, v14 src0_sel:DWORD src1_sel:WORD_1
	;; [unrolled: 2-line block ×6, first 2 shown]
	v_cmp_ne_u16_e64 s[4:5], v1, v2
	ds_write_b16 v8, v10
	s_waitcnt lgkmcnt(0)
	s_barrier
	s_and_saveexec_b64 s[34:35], s[2:3]
	s_cbranch_execz .LBB424_58
; %bb.57:
	s_waitcnt vmcnt(0)
	v_add_u32_e32 v6, -2, v8
	ds_read_u16 v6, v6
.LBB424_58:
	s_or_b64 exec, exec, s[34:35]
	v_cndmask_b32_e64 v17, 0, 1, vcc
	v_cndmask_b32_e64 v54, 0, 1, s[6:7]
	v_cndmask_b32_e64 v55, 0, 1, s[10:11]
	;; [unrolled: 1-line block ×13, first 2 shown]
	s_waitcnt vmcnt(0) lgkmcnt(0)
	v_cmp_ne_u16_e64 s[4:5], v6, v1
	s_mov_b64 s[6:7], -1
.LBB424_59:
                                        ; implicit-def: $sgpr12
	s_branch .LBB424_87
.LBB424_60:
                                        ; implicit-def: $sgpr4_sgpr5
                                        ; implicit-def: $vgpr17
                                        ; implicit-def: $vgpr54
                                        ; implicit-def: $vgpr55
                                        ; implicit-def: $vgpr56
                                        ; implicit-def: $vgpr57
                                        ; implicit-def: $vgpr58
                                        ; implicit-def: $vgpr59
                                        ; implicit-def: $vgpr60
                                        ; implicit-def: $vgpr61
                                        ; implicit-def: $vgpr62
                                        ; implicit-def: $vgpr63
                                        ; implicit-def: $vgpr64
                                        ; implicit-def: $vgpr65
                                        ; implicit-def: $vgpr66
                                        ; implicit-def: $sgpr12
	s_cbranch_execnz .LBB424_79
	s_branch .LBB424_87
.LBB424_61:
	v_add_co_u32_e32 v22, vcc, v6, v13
	v_addc_co_u32_e32 v23, vcc, 0, v8, vcc
	flat_load_ushort v22, v[22:23]
	s_or_b64 exec, exec, s[34:35]
                                        ; implicit-def: $vgpr23
	s_and_saveexec_b64 s[34:35], s[4:5]
	s_cbranch_execz .LBB424_39
.LBB424_62:
	v_add_co_u32_e32 v24, vcc, v6, v13
	v_addc_co_u32_e32 v25, vcc, 0, v8, vcc
	flat_load_ushort v23, v[24:25] offset:512
	s_or_b64 exec, exec, s[34:35]
                                        ; implicit-def: $vgpr24
	s_and_saveexec_b64 s[4:5], s[6:7]
	s_cbranch_execz .LBB424_40
.LBB424_63:
	v_add_co_u32_e32 v24, vcc, v6, v13
	v_addc_co_u32_e32 v25, vcc, 0, v8, vcc
	flat_load_ushort v24, v[24:25] offset:1024
	s_or_b64 exec, exec, s[4:5]
                                        ; implicit-def: $vgpr25
	s_and_saveexec_b64 s[4:5], s[8:9]
	s_cbranch_execz .LBB424_41
.LBB424_64:
	v_add_co_u32_e32 v26, vcc, v6, v13
	v_addc_co_u32_e32 v27, vcc, 0, v8, vcc
	flat_load_ushort v25, v[26:27] offset:1536
	s_or_b64 exec, exec, s[4:5]
                                        ; implicit-def: $vgpr26
	s_and_saveexec_b64 s[4:5], s[10:11]
	s_cbranch_execz .LBB424_42
.LBB424_65:
	v_add_co_u32_e32 v26, vcc, v6, v13
	v_addc_co_u32_e32 v27, vcc, 0, v8, vcc
	flat_load_ushort v26, v[26:27] offset:2048
	s_or_b64 exec, exec, s[4:5]
                                        ; implicit-def: $vgpr27
	s_and_saveexec_b64 s[4:5], s[12:13]
	s_cbranch_execz .LBB424_43
.LBB424_66:
	v_add_co_u32_e32 v28, vcc, v6, v13
	v_addc_co_u32_e32 v29, vcc, 0, v8, vcc
	flat_load_ushort v27, v[28:29] offset:2560
	s_or_b64 exec, exec, s[4:5]
                                        ; implicit-def: $vgpr28
	s_and_saveexec_b64 s[4:5], s[14:15]
	s_cbranch_execz .LBB424_44
.LBB424_67:
	v_add_co_u32_e32 v28, vcc, v6, v13
	v_addc_co_u32_e32 v29, vcc, 0, v8, vcc
	flat_load_ushort v28, v[28:29] offset:3072
	s_or_b64 exec, exec, s[4:5]
                                        ; implicit-def: $vgpr29
	s_and_saveexec_b64 s[4:5], s[16:17]
	s_cbranch_execz .LBB424_45
.LBB424_68:
	v_add_co_u32_e32 v30, vcc, v6, v13
	v_addc_co_u32_e32 v31, vcc, 0, v8, vcc
	flat_load_ushort v29, v[30:31] offset:3584
	s_or_b64 exec, exec, s[4:5]
                                        ; implicit-def: $vgpr30
	s_and_saveexec_b64 s[4:5], s[18:19]
	s_cbranch_execz .LBB424_46
.LBB424_69:
	v_add_co_u32_e32 v30, vcc, v6, v11
	v_addc_co_u32_e32 v31, vcc, 0, v8, vcc
	flat_load_ushort v30, v[30:31]
	s_or_b64 exec, exec, s[4:5]
                                        ; implicit-def: $vgpr31
	s_and_saveexec_b64 s[4:5], s[20:21]
	s_cbranch_execz .LBB424_47
.LBB424_70:
	v_add_co_u32_e32 v32, vcc, v6, v12
	v_addc_co_u32_e32 v33, vcc, 0, v8, vcc
	flat_load_ushort v31, v[32:33]
	s_or_b64 exec, exec, s[4:5]
                                        ; implicit-def: $vgpr12
	s_and_saveexec_b64 s[4:5], s[22:23]
	s_cbranch_execz .LBB424_48
.LBB424_71:
	v_add_co_u32_e32 v32, vcc, v6, v17
	v_addc_co_u32_e32 v33, vcc, 0, v8, vcc
	flat_load_ushort v12, v[32:33]
	s_or_b64 exec, exec, s[4:5]
                                        ; implicit-def: $vgpr17
	s_and_saveexec_b64 s[4:5], s[24:25]
	s_cbranch_execz .LBB424_49
.LBB424_72:
	v_add_co_u32_e32 v32, vcc, v6, v18
	v_addc_co_u32_e32 v33, vcc, 0, v8, vcc
	flat_load_ushort v17, v[32:33]
	s_or_b64 exec, exec, s[4:5]
                                        ; implicit-def: $vgpr18
	s_and_saveexec_b64 s[4:5], s[26:27]
	s_cbranch_execz .LBB424_50
.LBB424_73:
	v_add_co_u32_e32 v18, vcc, v6, v19
	v_addc_co_u32_e32 v19, vcc, 0, v8, vcc
	flat_load_ushort v18, v[18:19]
	s_or_b64 exec, exec, s[4:5]
                                        ; implicit-def: $vgpr19
	s_and_saveexec_b64 s[4:5], s[28:29]
	s_cbranch_execz .LBB424_51
.LBB424_74:
	v_add_co_u32_e32 v32, vcc, v6, v20
	v_addc_co_u32_e32 v33, vcc, 0, v8, vcc
	flat_load_ushort v19, v[32:33]
	s_or_b64 exec, exec, s[4:5]
                                        ; implicit-def: $vgpr20
	s_and_saveexec_b64 s[4:5], s[30:31]
	s_cbranch_execnz .LBB424_52
	s_branch .LBB424_53
.LBB424_75:
                                        ; implicit-def: $sgpr4_sgpr5
                                        ; implicit-def: $vgpr17
                                        ; implicit-def: $vgpr54
                                        ; implicit-def: $vgpr55
                                        ; implicit-def: $vgpr56
                                        ; implicit-def: $vgpr57
                                        ; implicit-def: $vgpr58
                                        ; implicit-def: $vgpr59
                                        ; implicit-def: $vgpr60
                                        ; implicit-def: $vgpr61
                                        ; implicit-def: $vgpr62
                                        ; implicit-def: $vgpr63
                                        ; implicit-def: $vgpr64
                                        ; implicit-def: $vgpr65
                                        ; implicit-def: $vgpr66
	s_cbranch_execz .LBB424_59
; %bb.76:
	v_cmp_ne_u16_sdwa s[4:5], v15, v16 src0_sel:WORD_1 src1_sel:DWORD
	v_cndmask_b32_e64 v54, 0, 1, s[4:5]
	v_cmp_ne_u16_sdwa s[4:5], v15, v15 src0_sel:DWORD src1_sel:WORD_1
	v_cndmask_b32_e64 v55, 0, 1, s[4:5]
	v_cmp_ne_u16_sdwa s[4:5], v14, v15 src0_sel:WORD_1 src1_sel:DWORD
	v_cndmask_b32_e64 v56, 0, 1, s[4:5]
	v_cmp_ne_u16_sdwa s[4:5], v14, v14 src0_sel:DWORD src1_sel:WORD_1
	v_cndmask_b32_e64 v57, 0, 1, s[4:5]
	;; [unrolled: 4-line block ×4, first 2 shown]
	v_cmp_ne_u16_sdwa s[4:5], v3, v4 src0_sel:WORD_1 src1_sel:DWORD
	v_lshrrev_b32_e32 v8, 16, v16
	v_cndmask_b32_e64 v62, 0, 1, s[4:5]
	v_cmp_ne_u16_sdwa s[4:5], v3, v3 src0_sel:DWORD src1_sel:WORD_1
	v_cmp_ne_u16_e32 vcc, v16, v8
	v_cndmask_b32_e64 v63, 0, 1, s[4:5]
	v_cmp_ne_u16_sdwa s[4:5], v2, v3 src0_sel:WORD_1 src1_sel:DWORD
	v_cndmask_b32_e64 v17, 0, 1, vcc
	v_cndmask_b32_e64 v64, 0, 1, s[4:5]
	v_cmp_ne_u16_sdwa s[4:5], v2, v2 src0_sel:DWORD src1_sel:WORD_1
	v_cmp_ne_u16_e32 vcc, v1, v2
	s_mov_b32 s12, 1
	v_lshlrev_b32_e32 v6, 1, v0
	v_cndmask_b32_e64 v65, 0, 1, s[4:5]
	v_cndmask_b32_e64 v66, 0, 1, vcc
	ds_write_b16 v6, v8
	s_waitcnt lgkmcnt(0)
	s_barrier
	s_waitcnt lgkmcnt(0)
                                        ; implicit-def: $sgpr4_sgpr5
	s_and_saveexec_b64 s[10:11], s[2:3]
	s_xor_b64 s[10:11], exec, s[10:11]
	s_cbranch_execz .LBB424_78
; %bb.77:
	v_add_u32_e32 v6, -2, v6
	ds_read_u16 v6, v6
	s_or_b64 s[6:7], s[6:7], exec
	s_waitcnt lgkmcnt(0)
	v_cmp_ne_u16_e32 vcc, v6, v1
	s_and_b64 s[4:5], vcc, exec
.LBB424_78:
	s_or_b64 exec, exec, s[10:11]
	s_branch .LBB424_87
.LBB424_79:
	s_mul_hi_u32 s5, s40, 0xfffff100
	s_mul_i32 s4, s41, 0xfffff100
	s_sub_i32 s5, s5, s40
	s_add_i32 s5, s5, s4
	s_mul_i32 s4, s40, 0xfffff100
	s_add_u32 s10, s4, s56
	s_addc_u32 s11, s5, s57
	s_and_b64 vcc, exec, s[8:9]
	v_lshrrev_b32_e32 v40, 16, v16
	v_mad_u32_u24 v6, v0, 15, 14
	v_mad_u32_u24 v36, v0, 15, 13
	v_cmp_ne_u16_sdwa s[8:9], v15, v16 src0_sel:WORD_1 src1_sel:DWORD
	v_mad_u32_u24 v34, v0, 15, 12
	v_cmp_ne_u16_sdwa s[16:17], v15, v15 src0_sel:DWORD src1_sel:WORD_1
	v_mad_u32_u24 v32, v0, 15, 11
	v_cmp_ne_u16_sdwa s[20:21], v14, v15 src0_sel:WORD_1 src1_sel:DWORD
	v_mad_u32_u24 v30, v0, 15, 10
	v_cmp_ne_u16_sdwa s[26:27], v14, v14 src0_sel:DWORD src1_sel:WORD_1
	;; [unrolled: 4-line block ×6, first 2 shown]
	v_mad_u32_u24 v8, v0, 15, 1
	v_cmp_ne_u16_e64 s[4:5], v1, v2
	s_cbranch_vccz .LBB424_84
; %bb.80:
	v_add_co_u32_e32 v38, vcc, -2, v7
	v_addc_co_u32_e32 v39, vcc, -1, v9, vcc
	flat_load_ushort v41, v[38:39]
	v_mov_b32_e32 v7, 0
	v_cmp_gt_u64_e32 vcc, s[10:11], v[6:7]
	v_cmp_ne_u16_e64 s[6:7], v16, v40
	v_mov_b32_e32 v37, v7
	s_and_b64 s[6:7], vcc, s[6:7]
	v_cmp_gt_u64_e32 vcc, s[10:11], v[36:37]
	v_mov_b32_e32 v35, v7
	s_and_b64 s[8:9], vcc, s[8:9]
	v_cmp_gt_u64_e32 vcc, s[10:11], v[34:35]
	v_mov_b32_e32 v33, v7
	s_and_b64 s[16:17], vcc, s[16:17]
	v_cmp_gt_u64_e32 vcc, s[10:11], v[32:33]
	v_mov_b32_e32 v31, v7
	s_and_b64 s[20:21], vcc, s[20:21]
	v_cmp_gt_u64_e32 vcc, s[10:11], v[30:31]
	v_mov_b32_e32 v29, v7
	s_and_b64 s[26:27], vcc, s[26:27]
	v_cmp_gt_u64_e32 vcc, s[10:11], v[28:29]
	v_mov_b32_e32 v27, v7
	s_and_b64 s[30:31], vcc, s[30:31]
	v_cmp_gt_u64_e32 vcc, s[10:11], v[26:27]
	v_mov_b32_e32 v25, v7
	s_and_b64 s[34:35], vcc, s[34:35]
	v_cmp_gt_u64_e32 vcc, s[10:11], v[24:25]
	v_mov_b32_e32 v23, v7
	s_and_b64 s[28:29], vcc, s[28:29]
	v_cmp_gt_u64_e32 vcc, s[10:11], v[22:23]
	v_mov_b32_e32 v21, v7
	s_and_b64 s[24:25], vcc, s[24:25]
	v_cmp_gt_u64_e32 vcc, s[10:11], v[20:21]
	v_mov_b32_e32 v19, v7
	s_and_b64 s[22:23], vcc, s[22:23]
	v_cmp_gt_u64_e32 vcc, s[10:11], v[18:19]
	v_mov_b32_e32 v13, v7
	s_and_b64 s[18:19], vcc, s[18:19]
	v_cmp_gt_u64_e32 vcc, s[10:11], v[12:13]
	v_mov_b32_e32 v11, v7
	s_and_b64 s[14:15], vcc, s[14:15]
	v_cmp_gt_u64_e32 vcc, s[10:11], v[10:11]
	v_mov_b32_e32 v9, v7
	s_and_b64 s[12:13], vcc, s[12:13]
	v_cmp_gt_u64_e32 vcc, s[10:11], v[8:9]
	v_lshlrev_b32_e32 v17, 1, v0
	v_mul_u32_u24_e32 v38, 15, v0
	s_and_b64 s[4:5], vcc, s[4:5]
	ds_write_b16 v17, v40
	s_waitcnt lgkmcnt(0)
	s_barrier
	s_and_saveexec_b64 s[40:41], s[2:3]
	s_cbranch_execz .LBB424_82
; %bb.81:
	v_add_u32_e32 v9, -2, v17
	s_waitcnt vmcnt(0)
	ds_read_u16 v41, v9
.LBB424_82:
	s_or_b64 exec, exec, s[40:41]
	v_mov_b32_e32 v39, v7
	v_cndmask_b32_e64 v66, 0, 1, s[4:5]
	v_cmp_gt_u64_e32 vcc, s[10:11], v[38:39]
	s_waitcnt vmcnt(0) lgkmcnt(0)
	v_cmp_ne_u16_e64 s[4:5], v41, v1
	v_cndmask_b32_e64 v17, 0, 1, s[6:7]
	v_cndmask_b32_e64 v54, 0, 1, s[8:9]
	;; [unrolled: 1-line block ×13, first 2 shown]
	s_and_b64 s[4:5], vcc, s[4:5]
	s_mov_b64 s[6:7], -1
.LBB424_83:
                                        ; implicit-def: $sgpr12
	v_mov_b32_e32 v68, s12
	s_and_saveexec_b64 s[2:3], s[6:7]
	s_cbranch_execnz .LBB424_88
	s_branch .LBB424_89
.LBB424_84:
                                        ; implicit-def: $sgpr4_sgpr5
                                        ; implicit-def: $vgpr17
                                        ; implicit-def: $vgpr54
                                        ; implicit-def: $vgpr55
                                        ; implicit-def: $vgpr56
                                        ; implicit-def: $vgpr57
                                        ; implicit-def: $vgpr58
                                        ; implicit-def: $vgpr59
                                        ; implicit-def: $vgpr60
                                        ; implicit-def: $vgpr61
                                        ; implicit-def: $vgpr62
                                        ; implicit-def: $vgpr63
                                        ; implicit-def: $vgpr64
                                        ; implicit-def: $vgpr65
                                        ; implicit-def: $vgpr66
	s_cbranch_execz .LBB424_83
; %bb.85:
	v_mov_b32_e32 v7, 0
	v_cmp_gt_u64_e32 vcc, s[10:11], v[6:7]
	v_cmp_ne_u16_e64 s[4:5], v16, v40
	s_and_b64 s[4:5], vcc, s[4:5]
	v_mov_b32_e32 v37, v7
	v_cndmask_b32_e64 v17, 0, 1, s[4:5]
	v_cmp_gt_u64_e32 vcc, s[10:11], v[36:37]
	v_cmp_ne_u16_sdwa s[4:5], v15, v16 src0_sel:WORD_1 src1_sel:DWORD
	s_and_b64 s[4:5], vcc, s[4:5]
	v_mov_b32_e32 v35, v7
	v_cndmask_b32_e64 v54, 0, 1, s[4:5]
	v_cmp_gt_u64_e32 vcc, s[10:11], v[34:35]
	v_cmp_ne_u16_sdwa s[4:5], v15, v15 src0_sel:DWORD src1_sel:WORD_1
	s_and_b64 s[4:5], vcc, s[4:5]
	v_mov_b32_e32 v33, v7
	v_cndmask_b32_e64 v55, 0, 1, s[4:5]
	v_cmp_gt_u64_e32 vcc, s[10:11], v[32:33]
	v_cmp_ne_u16_sdwa s[4:5], v14, v15 src0_sel:WORD_1 src1_sel:DWORD
	s_and_b64 s[4:5], vcc, s[4:5]
	v_mov_b32_e32 v31, v7
	v_cndmask_b32_e64 v56, 0, 1, s[4:5]
	v_cmp_gt_u64_e32 vcc, s[10:11], v[30:31]
	v_cmp_ne_u16_sdwa s[4:5], v14, v14 src0_sel:DWORD src1_sel:WORD_1
	;; [unrolled: 10-line block ×6, first 2 shown]
	s_and_b64 s[4:5], vcc, s[4:5]
	v_mov_b32_e32 v9, v7
	v_cndmask_b32_e64 v65, 0, 1, s[4:5]
	v_cmp_gt_u64_e32 vcc, s[10:11], v[8:9]
	v_cmp_ne_u16_e64 s[4:5], v1, v2
	s_and_b64 s[4:5], vcc, s[4:5]
	s_mov_b32 s12, 1
	v_lshlrev_b32_e32 v38, 1, v0
	v_cndmask_b32_e64 v66, 0, 1, s[4:5]
	ds_write_b16 v38, v40
	s_waitcnt lgkmcnt(0)
	s_barrier
	s_waitcnt lgkmcnt(0)
                                        ; implicit-def: $sgpr4_sgpr5
	s_and_saveexec_b64 s[8:9], s[2:3]
	s_cbranch_execz .LBB424_192
; %bb.86:
	v_add_u32_e32 v6, -2, v38
	ds_read_u16 v8, v6
	v_mul_u32_u24_e32 v6, 15, v0
	v_cmp_gt_u64_e32 vcc, s[10:11], v[6:7]
	s_or_b64 s[6:7], s[6:7], exec
	s_waitcnt lgkmcnt(0)
	v_cmp_ne_u16_e64 s[2:3], v8, v1
	s_and_b64 s[2:3], vcc, s[2:3]
	s_and_b64 s[4:5], s[2:3], exec
	s_or_b64 exec, exec, s[8:9]
.LBB424_87:
	v_mov_b32_e32 v68, s12
	s_and_saveexec_b64 s[2:3], s[6:7]
.LBB424_88:
	v_cndmask_b32_e64 v68, 0, 1, s[4:5]
.LBB424_89:
	s_or_b64 exec, exec, s[2:3]
	s_cmp_eq_u64 s[46:47], 0
	v_add3_u32 v6, v66, v68, v65
	s_cselect_b64 s[30:31], -1, 0
	s_cmp_lg_u32 s62, 0
	v_cmp_eq_u32_e64 s[26:27], 0, v66
	v_cmp_eq_u32_e64 s[24:25], 0, v65
	;; [unrolled: 1-line block ×3, first 2 shown]
	v_add3_u32 v83, v6, v64, v63
	v_cmp_eq_u32_e64 s[20:21], 0, v63
	v_cmp_eq_u32_e64 s[18:19], 0, v62
	;; [unrolled: 1-line block ×10, first 2 shown]
	v_cmp_eq_u32_e32 vcc, 0, v17
	v_mbcnt_lo_u32_b32 v82, -1, 0
	v_lshrrev_b32_e32 v80, 6, v0
	v_or_b32_e32 v81, 63, v0
	s_cbranch_scc0 .LBB424_116
; %bb.90:
	v_cndmask_b32_e64 v6, 0, v77, s[26:27]
	v_add_u16_e32 v6, v6, v76
	v_cndmask_b32_e64 v6, 0, v6, s[24:25]
	v_add_u16_e32 v6, v6, v78
	;; [unrolled: 2-line block ×11, first 2 shown]
	v_cndmask_b32_e64 v6, 0, v6, s[4:5]
	v_add3_u32 v7, v83, v62, v61
	v_add_u16_e32 v6, v6, v52
	v_add3_u32 v7, v7, v60, v59
	v_cndmask_b32_e64 v6, 0, v6, s[2:3]
	v_add3_u32 v7, v7, v58, v57
	v_add_u16_e32 v6, v6, v50
	v_add3_u32 v7, v7, v56, v55
	v_cndmask_b32_e32 v6, 0, v6, vcc
	v_add3_u32 v7, v7, v54, v17
	v_add_u16_e32 v6, v6, v79
	v_mbcnt_hi_u32_b32 v19, -1, v82
	v_and_b32_e32 v8, 15, v19
	v_mov_b32_dpp v10, v6 row_shr:1 row_mask:0xf bank_mask:0xf
	v_cmp_eq_u32_e32 vcc, 0, v7
	v_mov_b32_dpp v9, v7 row_shr:1 row_mask:0xf bank_mask:0xf
	v_cndmask_b32_e32 v10, 0, v10, vcc
	v_cmp_eq_u32_e32 vcc, 0, v8
	v_add_u16_e32 v10, v10, v6
	v_cndmask_b32_e64 v9, v9, 0, vcc
	v_add_u32_e32 v7, v9, v7
	v_cndmask_b32_e32 v6, v10, v6, vcc
	v_cmp_eq_u32_e32 vcc, 0, v7
	v_mov_b32_dpp v9, v7 row_shr:2 row_mask:0xf bank_mask:0xf
	v_mov_b32_dpp v10, v6 row_shr:2 row_mask:0xf bank_mask:0xf
	v_cndmask_b32_e32 v10, 0, v10, vcc
	v_cmp_lt_u32_e32 vcc, 1, v8
	v_add_u16_e32 v10, v10, v6
	v_cndmask_b32_e32 v9, 0, v9, vcc
	v_cndmask_b32_e32 v6, v6, v10, vcc
	v_add_u32_e32 v7, v7, v9
	v_cmp_eq_u32_e32 vcc, 0, v7
	v_mov_b32_dpp v10, v6 row_shr:4 row_mask:0xf bank_mask:0xf
	v_mov_b32_dpp v9, v7 row_shr:4 row_mask:0xf bank_mask:0xf
	v_cndmask_b32_e32 v10, 0, v10, vcc
	v_cmp_lt_u32_e32 vcc, 3, v8
	v_add_u16_e32 v10, v10, v6
	v_cndmask_b32_e32 v9, 0, v9, vcc
	v_cndmask_b32_e32 v6, v6, v10, vcc
	v_add_u32_e32 v7, v9, v7
	;; [unrolled: 9-line block ×3, first 2 shown]
	v_bfe_i32 v10, v19, 4, 1
	v_mov_b32_dpp v9, v6 row_bcast:15 row_mask:0xf bank_mask:0xf
	v_mov_b32_dpp v8, v7 row_bcast:15 row_mask:0xf bank_mask:0xf
	v_cmp_eq_u32_e32 vcc, 0, v7
	v_and_b32_e32 v11, 16, v19
	v_cndmask_b32_e32 v9, 0, v9, vcc
	v_and_b32_e32 v8, v10, v8
	v_add_u16_e32 v9, v9, v6
	v_add_u32_e32 v7, v8, v7
	v_cmp_eq_u32_e32 vcc, 0, v11
	v_cndmask_b32_e32 v8, v9, v6, vcc
	v_mov_b32_dpp v6, v7 row_bcast:31 row_mask:0xf bank_mask:0xf
	v_cmp_eq_u32_e32 vcc, 0, v7
	v_cmp_lt_u32_e64 s[28:29], 31, v19
	v_mov_b32_dpp v9, v8 row_bcast:31 row_mask:0xf bank_mask:0xf
	v_cndmask_b32_e64 v6, 0, v6, s[28:29]
	s_and_b64 vcc, s[28:29], vcc
	v_add_u32_e32 v6, v6, v7
	v_cndmask_b32_e32 v7, 0, v9, vcc
	v_add_u16_e32 v7, v7, v8
	v_cmp_eq_u32_e32 vcc, v81, v0
	v_lshlrev_b32_e32 v8, 3, v80
	s_and_saveexec_b64 s[28:29], vcc
	s_cbranch_execz .LBB424_92
; %bb.91:
	ds_write_b32 v8, v6 offset:1040
	ds_write_b16 v8, v7 offset:1044
.LBB424_92:
	s_or_b64 exec, exec, s[28:29]
	v_cmp_gt_u32_e32 vcc, 4, v0
	s_waitcnt lgkmcnt(0)
	s_barrier
	s_and_saveexec_b64 s[34:35], vcc
	s_cbranch_execz .LBB424_94
; %bb.93:
	v_lshlrev_b32_e32 v9, 3, v0
	ds_read_b64 v[10:11], v9 offset:1040
	v_and_b32_e32 v12, 3, v19
	s_mov_b32 s28, 0xffff0000
	s_waitcnt lgkmcnt(0)
	v_mov_b32_dpp v18, v11 row_shr:1 row_mask:0xf bank_mask:0xf
	v_cmp_eq_u32_e32 vcc, 0, v10
	v_mov_b32_dpp v13, v10 row_shr:1 row_mask:0xf bank_mask:0xf
	v_cndmask_b32_e32 v18, 0, v18, vcc
	v_cmp_eq_u32_e32 vcc, 0, v12
	v_add_u16_e32 v18, v18, v11
	v_cndmask_b32_e64 v13, v13, 0, vcc
	v_and_or_b32 v20, v11, s28, v18
	v_add_u32_e32 v10, v13, v10
	v_cndmask_b32_e32 v13, v18, v11, vcc
	v_cndmask_b32_e32 v11, v20, v11, vcc
	v_mov_b32_dpp v18, v10 row_shr:2 row_mask:0xf bank_mask:0xf
	v_cmp_eq_u32_e32 vcc, 0, v10
	v_cmp_lt_u32_e64 s[28:29], 1, v12
	v_mov_b32_dpp v11, v11 row_shr:2 row_mask:0xf bank_mask:0xf
	v_cndmask_b32_e64 v12, 0, v18, s[28:29]
	s_and_b64 vcc, s[28:29], vcc
	v_add_u32_e32 v10, v12, v10
	v_cndmask_b32_e32 v11, 0, v11, vcc
	v_add_u16_e32 v11, v13, v11
	ds_write_b32 v9, v10 offset:1040
	ds_write_b16 v9, v11 offset:1044
.LBB424_94:
	s_or_b64 exec, exec, s[34:35]
	v_cmp_gt_u32_e32 vcc, 64, v0
	v_cmp_lt_u32_e64 s[28:29], 63, v0
	v_mov_b32_e32 v22, 0
	v_mov_b32_e32 v23, 0
	s_waitcnt lgkmcnt(0)
	s_barrier
	s_and_saveexec_b64 s[34:35], s[28:29]
	s_cbranch_execz .LBB424_96
; %bb.95:
	ds_read_b32 v22, v8 offset:1032
	ds_read_u16 v23, v8 offset:1036
	v_cmp_eq_u32_e64 s[28:29], 0, v6
	s_waitcnt lgkmcnt(1)
	v_add_u32_e32 v8, v22, v6
	s_waitcnt lgkmcnt(0)
	v_cndmask_b32_e64 v6, 0, v23, s[28:29]
	v_add_u16_e32 v7, v6, v7
	v_mov_b32_e32 v6, v8
.LBB424_96:
	s_or_b64 exec, exec, s[34:35]
	v_add_u32_e32 v8, -1, v19
	v_and_b32_e32 v9, 64, v19
	v_cmp_lt_i32_e64 s[28:29], v8, v9
	v_cndmask_b32_e64 v8, v8, v19, s[28:29]
	v_and_b32_e32 v7, 0xffff, v7
	v_lshlrev_b32_e32 v8, 2, v8
	ds_bpermute_b32 v24, v8, v6
	ds_bpermute_b32 v25, v8, v7
	v_cmp_eq_u32_e64 s[28:29], 0, v19
	s_and_saveexec_b64 s[34:35], vcc
	s_cbranch_execz .LBB424_115
; %bb.97:
	v_mov_b32_e32 v9, 0
	ds_read_b64 v[6:7], v9 offset:1064
	s_waitcnt lgkmcnt(0)
	v_readfirstlane_b32 s48, v7
	s_and_saveexec_b64 s[40:41], s[28:29]
	s_cbranch_execz .LBB424_99
; %bb.98:
	s_add_i32 s46, s62, 64
	s_mov_b32 s47, 0
	s_lshl_b64 s[50:51], s[46:47], 4
	s_add_u32 s50, s44, s50
	s_addc_u32 s51, s45, s51
	s_and_b32 s57, s48, 0xff000000
	s_mov_b32 s56, s47
	s_and_b32 s65, s48, 0xff0000
	s_mov_b32 s64, s47
	s_or_b64 s[56:57], s[64:65], s[56:57]
	s_and_b32 s65, s48, 0xff00
	s_or_b64 s[56:57], s[56:57], s[64:65]
	s_and_b32 s65, s48, 0xff
	s_or_b64 s[46:47], s[56:57], s[64:65]
	v_mov_b32_e32 v7, s47
	v_mov_b32_e32 v8, 1
	v_pk_mov_b32 v[10:11], s[50:51], s[50:51] op_sel:[0,1]
	;;#ASMSTART
	global_store_dwordx4 v[10:11], v[6:9] off	
s_waitcnt vmcnt(0)
	;;#ASMEND
.LBB424_99:
	s_or_b64 exec, exec, s[40:41]
	v_xad_u32 v18, v19, -1, s62
	v_add_u32_e32 v8, 64, v18
	v_lshlrev_b64 v[10:11], 4, v[8:9]
	v_mov_b32_e32 v7, s45
	v_add_co_u32_e32 v20, vcc, s44, v10
	v_addc_co_u32_e32 v21, vcc, v7, v11, vcc
	;;#ASMSTART
	global_load_dwordx4 v[10:13], v[20:21] off glc	
s_waitcnt vmcnt(0)
	;;#ASMEND
	v_and_b32_e32 v7, 0xffffff, v10
	v_and_b32_e32 v8, 0xff000000, v10
	v_or_b32_e32 v7, v7, v8
	v_and_b32_e32 v8, 0xff, v11
	v_and_b32_e32 v10, 0xff00, v11
	v_or3_b32 v11, 0, v8, v10
	v_or3_b32 v10, v7, 0, 0
	v_cmp_eq_u16_sdwa s[46:47], v12, v9 src0_sel:BYTE_0 src1_sel:DWORD
	s_and_saveexec_b64 s[40:41], s[46:47]
	s_cbranch_execz .LBB424_103
; %bb.100:
	s_mov_b64 s[46:47], 0
	v_mov_b32_e32 v7, 0
.LBB424_101:                            ; =>This Inner Loop Header: Depth=1
	;;#ASMSTART
	global_load_dwordx4 v[10:13], v[20:21] off glc	
s_waitcnt vmcnt(0)
	;;#ASMEND
	v_cmp_ne_u16_sdwa s[50:51], v12, v7 src0_sel:BYTE_0 src1_sel:DWORD
	s_or_b64 s[46:47], s[50:51], s[46:47]
	s_andn2_b64 exec, exec, s[46:47]
	s_cbranch_execnz .LBB424_101
; %bb.102:
	s_or_b64 exec, exec, s[46:47]
	v_and_b32_e32 v11, 0xffff, v11
.LBB424_103:
	s_or_b64 exec, exec, s[40:41]
	v_mov_b32_e32 v7, 2
	v_and_b32_e32 v26, 63, v19
	v_cmp_eq_u16_sdwa s[40:41], v12, v7 src0_sel:BYTE_0 src1_sel:DWORD
	v_lshlrev_b64 v[8:9], v19, -1
	v_cmp_ne_u32_e32 vcc, 63, v26
	v_and_b32_e32 v13, s41, v9
	v_addc_co_u32_e32 v21, vcc, 0, v19, vcc
	v_or_b32_e32 v13, 0x80000000, v13
	v_lshlrev_b32_e32 v27, 2, v21
	v_and_b32_e32 v20, s40, v8
	v_ffbl_b32_e32 v13, v13
	ds_bpermute_b32 v21, v27, v11
	v_add_u32_e32 v13, 32, v13
	v_ffbl_b32_e32 v20, v20
	v_min_u32_e32 v13, v20, v13
	ds_bpermute_b32 v20, v27, v10
	v_cmp_eq_u32_e32 vcc, 0, v10
	s_waitcnt lgkmcnt(1)
	v_cndmask_b32_e32 v21, 0, v21, vcc
	v_add_u16_e32 v21, v21, v11
	v_cmp_lt_u32_e32 vcc, v26, v13
	v_cndmask_b32_e32 v11, v11, v21, vcc
	s_waitcnt lgkmcnt(0)
	v_cndmask_b32_e32 v20, 0, v20, vcc
	v_cmp_gt_u32_e32 vcc, 62, v26
	v_cndmask_b32_e64 v21, 0, 1, vcc
	v_lshlrev_b32_e32 v21, 1, v21
	v_add_lshl_u32 v28, v21, v19, 2
	ds_bpermute_b32 v21, v28, v11
	v_add_u32_e32 v10, v20, v10
	ds_bpermute_b32 v20, v28, v10
	v_cmp_eq_u32_e32 vcc, 0, v10
	v_add_u32_e32 v29, 2, v26
	s_waitcnt lgkmcnt(1)
	v_cndmask_b32_e32 v21, 0, v21, vcc
	v_add_u16_e32 v21, v21, v11
	v_cmp_gt_u32_e32 vcc, v29, v13
	v_cndmask_b32_e32 v11, v21, v11, vcc
	s_waitcnt lgkmcnt(0)
	v_cndmask_b32_e64 v20, v20, 0, vcc
	v_cmp_gt_u32_e32 vcc, 60, v26
	v_cndmask_b32_e64 v21, 0, 1, vcc
	v_lshlrev_b32_e32 v21, 2, v21
	v_add_lshl_u32 v30, v21, v19, 2
	ds_bpermute_b32 v21, v30, v11
	v_add_u32_e32 v10, v10, v20
	ds_bpermute_b32 v20, v30, v10
	v_cmp_eq_u32_e32 vcc, 0, v10
	v_add_u32_e32 v31, 4, v26
	s_waitcnt lgkmcnt(1)
	v_cndmask_b32_e32 v21, 0, v21, vcc
	v_add_u16_e32 v21, v11, v21
	v_cmp_gt_u32_e32 vcc, v31, v13
	v_cndmask_b32_e32 v11, v21, v11, vcc
	s_waitcnt lgkmcnt(0)
	v_cndmask_b32_e64 v20, v20, 0, vcc
	v_cmp_gt_u32_e32 vcc, 56, v26
	v_cndmask_b32_e64 v21, 0, 1, vcc
	v_lshlrev_b32_e32 v21, 3, v21
	v_add_lshl_u32 v32, v21, v19, 2
	ds_bpermute_b32 v21, v32, v11
	v_add_u32_e32 v10, v10, v20
	ds_bpermute_b32 v20, v32, v10
	v_cmp_eq_u32_e32 vcc, 0, v10
	v_add_u32_e32 v33, 8, v26
	s_waitcnt lgkmcnt(1)
	v_cndmask_b32_e32 v21, 0, v21, vcc
	v_add_u16_e32 v21, v11, v21
	v_cmp_gt_u32_e32 vcc, v33, v13
	v_cndmask_b32_e32 v11, v21, v11, vcc
	s_waitcnt lgkmcnt(0)
	v_cndmask_b32_e64 v20, v20, 0, vcc
	v_cmp_gt_u32_e32 vcc, 48, v26
	v_cndmask_b32_e64 v21, 0, 1, vcc
	v_lshlrev_b32_e32 v21, 4, v21
	v_add_lshl_u32 v35, v21, v19, 2
	ds_bpermute_b32 v21, v35, v11
	v_add_u32_e32 v10, v10, v20
	ds_bpermute_b32 v20, v35, v10
	v_cmp_eq_u32_e32 vcc, 0, v10
	v_add_u32_e32 v37, 16, v26
	s_waitcnt lgkmcnt(1)
	v_cndmask_b32_e32 v21, 0, v21, vcc
	v_add_u16_e32 v21, v11, v21
	v_cmp_gt_u32_e32 vcc, v37, v13
	v_cndmask_b32_e32 v11, v21, v11, vcc
	s_waitcnt lgkmcnt(0)
	v_cndmask_b32_e64 v20, v20, 0, vcc
	v_cmp_gt_u32_e32 vcc, 32, v26
	v_cndmask_b32_e64 v21, 0, 1, vcc
	v_lshlrev_b32_e32 v21, 5, v21
	v_add_lshl_u32 v38, v21, v19, 2
	ds_bpermute_b32 v19, v38, v11
	v_add_u32_e32 v10, v10, v20
	ds_bpermute_b32 v20, v38, v10
	v_add_u32_e32 v39, 32, v26
	v_cmp_eq_u32_e32 vcc, 0, v10
	s_waitcnt lgkmcnt(1)
	v_cndmask_b32_e32 v19, 0, v19, vcc
	v_cmp_gt_u32_e32 vcc, v39, v13
	v_cndmask_b32_e64 v13, v19, 0, vcc
	v_add_u16_e32 v11, v11, v13
	s_waitcnt lgkmcnt(0)
	v_cndmask_b32_e64 v13, v20, 0, vcc
	v_add_u32_e32 v10, v13, v10
	v_mov_b32_e32 v19, 0
	s_branch .LBB424_105
.LBB424_104:                            ;   in Loop: Header=BB424_105 Depth=1
	s_or_b64 exec, exec, s[40:41]
	v_cmp_eq_u16_sdwa s[40:41], v12, v7 src0_sel:BYTE_0 src1_sel:DWORD
	ds_bpermute_b32 v21, v27, v11
	v_and_b32_e32 v13, s41, v9
	v_or_b32_e32 v13, 0x80000000, v13
	v_and_b32_e32 v20, s40, v8
	v_ffbl_b32_e32 v13, v13
	v_add_u32_e32 v13, 32, v13
	v_ffbl_b32_e32 v20, v20
	v_cmp_eq_u32_e32 vcc, 0, v10
	v_min_u32_e32 v13, v20, v13
	ds_bpermute_b32 v20, v27, v10
	s_waitcnt lgkmcnt(1)
	v_cndmask_b32_e32 v21, 0, v21, vcc
	v_add_u16_e32 v21, v21, v11
	v_cmp_lt_u32_e32 vcc, v26, v13
	v_cndmask_b32_e32 v11, v11, v21, vcc
	ds_bpermute_b32 v21, v28, v11
	s_waitcnt lgkmcnt(1)
	v_cndmask_b32_e32 v20, 0, v20, vcc
	v_add_u32_e32 v10, v20, v10
	v_cmp_eq_u32_e32 vcc, 0, v10
	ds_bpermute_b32 v20, v28, v10
	s_waitcnt lgkmcnt(1)
	v_cndmask_b32_e32 v21, 0, v21, vcc
	v_add_u16_e32 v21, v21, v11
	v_cmp_gt_u32_e32 vcc, v29, v13
	v_cndmask_b32_e32 v11, v21, v11, vcc
	ds_bpermute_b32 v21, v30, v11
	s_waitcnt lgkmcnt(1)
	v_cndmask_b32_e64 v20, v20, 0, vcc
	v_add_u32_e32 v10, v10, v20
	v_cmp_eq_u32_e32 vcc, 0, v10
	ds_bpermute_b32 v20, v30, v10
	s_waitcnt lgkmcnt(1)
	v_cndmask_b32_e32 v21, 0, v21, vcc
	v_add_u16_e32 v21, v11, v21
	v_cmp_gt_u32_e32 vcc, v31, v13
	v_cndmask_b32_e32 v11, v21, v11, vcc
	ds_bpermute_b32 v21, v32, v11
	s_waitcnt lgkmcnt(1)
	v_cndmask_b32_e64 v20, v20, 0, vcc
	v_add_u32_e32 v10, v10, v20
	ds_bpermute_b32 v20, v32, v10
	v_cmp_eq_u32_e32 vcc, 0, v10
	s_waitcnt lgkmcnt(1)
	v_cndmask_b32_e32 v21, 0, v21, vcc
	v_add_u16_e32 v21, v11, v21
	v_cmp_gt_u32_e32 vcc, v33, v13
	v_cndmask_b32_e32 v11, v21, v11, vcc
	ds_bpermute_b32 v21, v35, v11
	s_waitcnt lgkmcnt(1)
	v_cndmask_b32_e64 v20, v20, 0, vcc
	v_add_u32_e32 v10, v10, v20
	ds_bpermute_b32 v20, v35, v10
	v_cmp_eq_u32_e32 vcc, 0, v10
	;; [unrolled: 11-line block ×3, first 2 shown]
	s_waitcnt lgkmcnt(1)
	v_cndmask_b32_e32 v21, 0, v21, vcc
	v_cmp_gt_u32_e32 vcc, v39, v13
	v_cndmask_b32_e64 v13, v21, 0, vcc
	v_add_u16_e32 v11, v11, v13
	s_waitcnt lgkmcnt(0)
	v_cndmask_b32_e64 v13, v20, 0, vcc
	v_cmp_eq_u32_e32 vcc, 0, v36
	v_cndmask_b32_e32 v11, 0, v11, vcc
	v_subrev_u32_e32 v18, 64, v18
	v_add3_u32 v10, v10, v36, v13
	v_add_u16_e32 v11, v11, v34
.LBB424_105:                            ; =>This Loop Header: Depth=1
                                        ;     Child Loop BB424_108 Depth 2
	v_cmp_ne_u16_sdwa s[40:41], v12, v7 src0_sel:BYTE_0 src1_sel:DWORD
	v_mov_b32_e32 v34, v11
	v_cndmask_b32_e64 v11, 0, 1, s[40:41]
	;;#ASMSTART
	;;#ASMEND
	v_cmp_ne_u32_e32 vcc, 0, v11
	s_cmp_lg_u64 vcc, exec
	v_mov_b32_e32 v36, v10
	s_cbranch_scc1 .LBB424_110
; %bb.106:                              ;   in Loop: Header=BB424_105 Depth=1
	v_lshlrev_b64 v[10:11], 4, v[18:19]
	v_mov_b32_e32 v12, s45
	v_add_co_u32_e32 v20, vcc, s44, v10
	v_addc_co_u32_e32 v21, vcc, v12, v11, vcc
	;;#ASMSTART
	global_load_dwordx4 v[10:13], v[20:21] off glc	
s_waitcnt vmcnt(0)
	;;#ASMEND
	v_and_b32_e32 v13, 0xffffff, v10
	v_and_b32_e32 v10, 0xff000000, v10
	v_or_b32_e32 v10, v13, v10
	v_and_b32_e32 v13, 0xff, v11
	v_and_b32_e32 v11, 0xff00, v11
	v_or3_b32 v11, 0, v13, v11
	v_or3_b32 v10, v10, 0, 0
	v_cmp_eq_u16_sdwa s[46:47], v12, v19 src0_sel:BYTE_0 src1_sel:DWORD
	s_and_saveexec_b64 s[40:41], s[46:47]
	s_cbranch_execz .LBB424_104
; %bb.107:                              ;   in Loop: Header=BB424_105 Depth=1
	s_mov_b64 s[46:47], 0
.LBB424_108:                            ;   Parent Loop BB424_105 Depth=1
                                        ; =>  This Inner Loop Header: Depth=2
	;;#ASMSTART
	global_load_dwordx4 v[10:13], v[20:21] off glc	
s_waitcnt vmcnt(0)
	;;#ASMEND
	v_cmp_ne_u16_sdwa s[50:51], v12, v19 src0_sel:BYTE_0 src1_sel:DWORD
	s_or_b64 s[46:47], s[50:51], s[46:47]
	s_andn2_b64 exec, exec, s[46:47]
	s_cbranch_execnz .LBB424_108
; %bb.109:                              ;   in Loop: Header=BB424_105 Depth=1
	s_or_b64 exec, exec, s[46:47]
	v_and_b32_e32 v11, 0xffff, v11
	s_branch .LBB424_104
.LBB424_110:                            ;   in Loop: Header=BB424_105 Depth=1
                                        ; implicit-def: $vgpr11
                                        ; implicit-def: $vgpr10
                                        ; implicit-def: $vgpr12
	s_cbranch_execz .LBB424_105
; %bb.111:
	s_and_saveexec_b64 s[40:41], s[28:29]
	s_cbranch_execz .LBB424_113
; %bb.112:
	s_mov_b32 s47, 0
	v_cmp_eq_u32_e32 vcc, 0, v6
	s_add_i32 s46, s62, 64
	v_cndmask_b32_e32 v7, 0, v34, vcc
	s_lshl_b64 s[46:47], s[46:47], 4
	v_add_u16_e32 v7, s48, v7
	s_add_u32 s46, s44, s46
	s_addc_u32 s47, s45, s47
	v_and_b32_e32 v9, 0xff00, v7
	v_add_u32_e32 v8, v36, v6
	v_mov_b32_e32 v11, 0
	v_or_b32_sdwa v9, v9, v7 dst_sel:DWORD dst_unused:UNUSED_PAD src0_sel:DWORD src1_sel:BYTE_0
	v_mov_b32_e32 v10, 2
	v_pk_mov_b32 v[12:13], s[46:47], s[46:47] op_sel:[0,1]
	;;#ASMSTART
	global_store_dwordx4 v[12:13], v[8:11] off	
s_waitcnt vmcnt(0)
	;;#ASMEND
	v_mov_b32_e32 v7, s48
	s_movk_i32 s46, 0x400
	ds_write_b16 v11, v7 offset:1028
	v_add_u32_e64 v7, s46, 0
	ds_write2_b32 v7, v6, v36 offset1:2
	ds_write_b16 v11, v34 offset:1036
.LBB424_113:
	s_or_b64 exec, exec, s[40:41]
	s_and_b64 exec, exec, s[0:1]
	s_cbranch_execz .LBB424_115
; %bb.114:
	v_mov_b32_e32 v6, 0
	ds_write_b32 v6, v36 offset:1064
	ds_write_b16 v6, v34 offset:1068
.LBB424_115:
	s_or_b64 exec, exec, s[34:35]
	v_mov_b32_e32 v8, 0
	s_waitcnt lgkmcnt(0)
	s_barrier
	ds_read_b64 v[6:7], v8 offset:1064
	v_cndmask_b32_e64 v10, v24, v22, s[28:29]
	v_cmp_eq_u32_e32 vcc, 0, v10
	v_cndmask_b32_e64 v9, v25, v23, s[28:29]
	s_waitcnt lgkmcnt(0)
	v_cndmask_b32_e32 v11, 0, v7, vcc
	v_add_u16_e32 v9, v11, v9
	v_cndmask_b32_e64 v7, v9, v7, s[0:1]
	v_cndmask_b32_e64 v9, v10, 0, s[0:1]
	v_cmp_eq_u32_e32 vcc, 0, v68
	v_add_u32_e32 v48, v6, v9
	v_cndmask_b32_e32 v6, 0, v7, vcc
	v_add_u16_e32 v47, v6, v77
	v_cndmask_b32_e64 v6, 0, v47, s[26:27]
	v_add_u16_e32 v45, v6, v76
	v_cndmask_b32_e64 v6, 0, v45, s[24:25]
	;; [unrolled: 2-line block ×8, first 2 shown]
	v_add_u32_e32 v46, v48, v68
	v_add_u16_e32 v31, v6, v71
	v_add_u32_e32 v44, v46, v66
	v_cndmask_b32_e64 v6, 0, v31, s[10:11]
	v_add_u32_e32 v42, v44, v65
	v_add_u16_e32 v29, v6, v53
	v_add_u32_e32 v40, v42, v64
	v_cndmask_b32_e64 v6, 0, v29, s[8:9]
	;; [unrolled: 4-line block ×3, first 2 shown]
	v_and_b32_e32 v49, 0xffff, v7
	v_add_u32_e32 v34, v36, v61
	v_add_u16_e32 v25, v6, v51
	s_barrier
	ds_read_b128 v[6:9], v8 offset:1024
	v_add_u32_e32 v32, v34, v60
	v_add_u32_e32 v30, v32, v59
	;; [unrolled: 1-line block ×4, first 2 shown]
	v_cndmask_b32_e64 v10, 0, v25, s[4:5]
	v_add_u32_e32 v24, v26, v56
	v_add_u16_e32 v23, v10, v52
	s_waitcnt lgkmcnt(0)
	v_cmp_eq_u32_e32 vcc, 0, v6
	v_add_u32_e32 v22, v24, v55
	v_cndmask_b32_e64 v10, 0, v23, s[2:3]
	v_cndmask_b32_e32 v9, 0, v9, vcc
	v_add_u32_e32 v20, v22, v54
	v_add_u16_e32 v21, v10, v50
	v_add_u32_e32 v67, v9, v7
	s_branch .LBB424_128
.LBB424_116:
                                        ; implicit-def: $vgpr6
                                        ; implicit-def: $vgpr67
                                        ; implicit-def: $vgpr48_vgpr49
                                        ; implicit-def: $vgpr46_vgpr47
                                        ; implicit-def: $vgpr44_vgpr45
                                        ; implicit-def: $vgpr42_vgpr43
                                        ; implicit-def: $vgpr40_vgpr41
                                        ; implicit-def: $vgpr38_vgpr39
                                        ; implicit-def: $vgpr36_vgpr37
                                        ; implicit-def: $vgpr34_vgpr35
                                        ; implicit-def: $vgpr32_vgpr33
                                        ; implicit-def: $vgpr30_vgpr31
                                        ; implicit-def: $vgpr28_vgpr29
                                        ; implicit-def: $vgpr26_vgpr27
                                        ; implicit-def: $vgpr24_vgpr25
                                        ; implicit-def: $vgpr22_vgpr23
                                        ; implicit-def: $vgpr20_vgpr21
	s_cbranch_execz .LBB424_128
; %bb.117:
	s_and_b64 s[2:3], s[30:31], exec
	s_cselect_b32 s3, 0, s61
	s_cselect_b32 s2, 0, s60
	s_cmp_eq_u64 s[2:3], 0
	v_mov_b32_e32 v7, v77
	s_cbranch_scc1 .LBB424_119
; %bb.118:
	v_mov_b32_e32 v6, 0
	global_load_ushort v7, v6, s[2:3]
.LBB424_119:
	v_cmp_eq_u32_e64 s[2:3], 0, v66
	v_cndmask_b32_e64 v6, 0, v77, s[2:3]
	v_add_u16_e32 v6, v6, v76
	v_cmp_eq_u32_e64 s[4:5], 0, v65
	v_cndmask_b32_e64 v6, 0, v6, s[4:5]
	v_add_u16_e32 v6, v6, v78
	;; [unrolled: 3-line block ×11, first 2 shown]
	v_cmp_eq_u32_e64 s[24:25], 0, v55
	v_cndmask_b32_e64 v6, 0, v6, s[24:25]
	v_add3_u32 v8, v83, v62, v61
	v_add_u16_e32 v6, v6, v52
	v_cmp_eq_u32_e32 vcc, 0, v54
	v_add3_u32 v8, v8, v60, v59
	v_cndmask_b32_e32 v6, 0, v6, vcc
	v_add3_u32 v8, v8, v58, v57
	v_add_u16_e32 v6, v6, v50
	v_cmp_eq_u32_e64 s[26:27], 0, v17
	v_add3_u32 v8, v8, v56, v55
	v_cndmask_b32_e64 v6, 0, v6, s[26:27]
	v_add3_u32 v8, v8, v54, v17
	v_add_u16_e32 v9, v6, v79
	v_mbcnt_hi_u32_b32 v6, -1, v82
	v_and_b32_e32 v10, 15, v6
	v_mov_b32_dpp v12, v9 row_shr:1 row_mask:0xf bank_mask:0xf
	v_cmp_eq_u32_e64 s[26:27], 0, v8
	v_mov_b32_dpp v11, v8 row_shr:1 row_mask:0xf bank_mask:0xf
	v_cndmask_b32_e64 v12, 0, v12, s[26:27]
	v_cmp_eq_u32_e64 s[26:27], 0, v10
	v_add_u16_e32 v12, v12, v9
	v_cndmask_b32_e64 v11, v11, 0, s[26:27]
	v_add_u32_e32 v8, v11, v8
	v_cndmask_b32_e64 v9, v12, v9, s[26:27]
	v_cmp_eq_u32_e64 s[26:27], 0, v8
	v_mov_b32_dpp v11, v8 row_shr:2 row_mask:0xf bank_mask:0xf
	v_mov_b32_dpp v12, v9 row_shr:2 row_mask:0xf bank_mask:0xf
	v_cndmask_b32_e64 v12, 0, v12, s[26:27]
	v_cmp_lt_u32_e64 s[26:27], 1, v10
	v_add_u16_e32 v12, v12, v9
	v_cndmask_b32_e64 v11, 0, v11, s[26:27]
	v_cndmask_b32_e64 v9, v9, v12, s[26:27]
	v_add_u32_e32 v8, v8, v11
	v_cmp_eq_u32_e64 s[26:27], 0, v8
	v_mov_b32_dpp v12, v9 row_shr:4 row_mask:0xf bank_mask:0xf
	v_mov_b32_dpp v11, v8 row_shr:4 row_mask:0xf bank_mask:0xf
	v_cndmask_b32_e64 v12, 0, v12, s[26:27]
	v_cmp_lt_u32_e64 s[26:27], 3, v10
	v_add_u16_e32 v12, v12, v9
	v_cndmask_b32_e64 v11, 0, v11, s[26:27]
	v_cndmask_b32_e64 v9, v9, v12, s[26:27]
	v_add_u32_e32 v8, v11, v8
	;; [unrolled: 9-line block ×3, first 2 shown]
	v_bfe_i32 v12, v6, 4, 1
	v_mov_b32_dpp v11, v9 row_bcast:15 row_mask:0xf bank_mask:0xf
	v_mov_b32_dpp v10, v8 row_bcast:15 row_mask:0xf bank_mask:0xf
	v_cmp_eq_u32_e64 s[26:27], 0, v8
	v_and_b32_e32 v13, 16, v6
	v_cndmask_b32_e64 v11, 0, v11, s[26:27]
	v_and_b32_e32 v10, v12, v10
	v_add_u16_e32 v11, v11, v9
	v_add_u32_e32 v8, v10, v8
	v_cmp_eq_u32_e64 s[26:27], 0, v13
	v_cndmask_b32_e64 v9, v11, v9, s[26:27]
	v_mov_b32_dpp v10, v8 row_bcast:31 row_mask:0xf bank_mask:0xf
	v_cmp_eq_u32_e64 s[26:27], 0, v8
	v_cmp_lt_u32_e64 s[28:29], 31, v6
	v_mov_b32_dpp v11, v9 row_bcast:31 row_mask:0xf bank_mask:0xf
	v_cndmask_b32_e64 v10, 0, v10, s[28:29]
	s_and_b64 s[26:27], s[28:29], s[26:27]
	v_add_u32_e32 v8, v10, v8
	v_cndmask_b32_e64 v10, 0, v11, s[26:27]
	v_add_u16_e32 v9, v10, v9
	v_cmp_eq_u32_e64 s[26:27], v81, v0
	v_lshlrev_b32_e32 v11, 3, v80
	s_and_saveexec_b64 s[28:29], s[26:27]
	s_cbranch_execz .LBB424_121
; %bb.120:
	ds_write_b32 v11, v8 offset:1040
	ds_write_b16 v11, v9 offset:1044
.LBB424_121:
	s_or_b64 exec, exec, s[28:29]
	v_cmp_gt_u32_e64 s[26:27], 4, v0
	s_waitcnt lgkmcnt(0)
	s_barrier
	s_and_saveexec_b64 s[34:35], s[26:27]
	s_cbranch_execz .LBB424_123
; %bb.122:
	v_lshlrev_b32_e32 v10, 3, v0
	ds_read_b64 v[12:13], v10 offset:1040
	v_and_b32_e32 v18, 3, v6
	s_mov_b32 s28, 0xffff0000
	s_waitcnt lgkmcnt(0)
	v_mov_b32_dpp v20, v13 row_shr:1 row_mask:0xf bank_mask:0xf
	v_cmp_eq_u32_e64 s[26:27], 0, v12
	v_mov_b32_dpp v19, v12 row_shr:1 row_mask:0xf bank_mask:0xf
	v_cndmask_b32_e64 v20, 0, v20, s[26:27]
	v_cmp_eq_u32_e64 s[26:27], 0, v18
	v_add_u16_e32 v20, v20, v13
	v_cndmask_b32_e64 v19, v19, 0, s[26:27]
	v_and_or_b32 v21, v13, s28, v20
	v_add_u32_e32 v12, v19, v12
	v_cndmask_b32_e64 v19, v20, v13, s[26:27]
	v_cndmask_b32_e64 v13, v21, v13, s[26:27]
	v_mov_b32_dpp v20, v12 row_shr:2 row_mask:0xf bank_mask:0xf
	v_cmp_eq_u32_e64 s[26:27], 0, v12
	v_cmp_lt_u32_e64 s[28:29], 1, v18
	v_mov_b32_dpp v13, v13 row_shr:2 row_mask:0xf bank_mask:0xf
	v_cndmask_b32_e64 v18, 0, v20, s[28:29]
	s_and_b64 s[26:27], s[28:29], s[26:27]
	v_add_u32_e32 v12, v18, v12
	v_cndmask_b32_e64 v13, 0, v13, s[26:27]
	v_add_u16_e32 v13, v19, v13
	ds_write_b32 v10, v12 offset:1040
	ds_write_b16 v10, v13 offset:1044
.LBB424_123:
	s_or_b64 exec, exec, s[34:35]
	v_cmp_lt_u32_e64 s[26:27], 63, v0
	v_mov_b32_e32 v10, 0
	v_mov_b32_e32 v12, 0
	s_waitcnt vmcnt(0)
	v_mov_b32_e32 v13, v7
	s_waitcnt lgkmcnt(0)
	s_barrier
	s_and_saveexec_b64 s[28:29], s[26:27]
	s_cbranch_execz .LBB424_125
; %bb.124:
	ds_read_b32 v12, v11 offset:1032
	ds_read_u16 v11, v11 offset:1036
	s_waitcnt lgkmcnt(1)
	v_cmp_eq_u32_e64 s[26:27], 0, v12
	v_cndmask_b32_e64 v13, 0, v7, s[26:27]
	s_waitcnt lgkmcnt(0)
	v_add_u16_e32 v13, v13, v11
.LBB424_125:
	s_or_b64 exec, exec, s[28:29]
	v_cmp_eq_u32_e64 s[26:27], 0, v8
	v_add_u32_e32 v11, v12, v8
	v_cndmask_b32_e64 v8, 0, v13, s[26:27]
	v_add_u16_e32 v8, v8, v9
	v_add_u32_e32 v9, -1, v6
	v_and_b32_e32 v18, 64, v6
	v_cmp_lt_i32_e64 s[26:27], v9, v18
	v_cndmask_b32_e64 v9, v9, v6, s[26:27]
	v_lshlrev_b32_e32 v9, 2, v9
	ds_bpermute_b32 v8, v9, v8
	ds_bpermute_b32 v11, v9, v11
	v_cmp_eq_u32_e64 s[26:27], 0, v6
	s_waitcnt lgkmcnt(1)
	v_cndmask_b32_e64 v8, v8, v13, s[26:27]
	s_waitcnt lgkmcnt(0)
	v_cndmask_b32_e64 v6, v11, v12, s[26:27]
	v_cndmask_b32_e64 v8, v8, v7, s[0:1]
	v_cmp_eq_u32_e64 s[26:27], 0, v68
	v_cndmask_b32_e64 v48, v6, 0, s[0:1]
	v_cndmask_b32_e64 v6, 0, v8, s[26:27]
	v_add_u16_e32 v47, v6, v77
	v_cndmask_b32_e64 v6, 0, v47, s[2:3]
	v_add_u16_e32 v45, v6, v76
	;; [unrolled: 2-line block ×9, first 2 shown]
	v_cndmask_b32_e64 v6, 0, v31, s[18:19]
	v_add_u32_e32 v46, v48, v68
	v_add_u16_e32 v29, v6, v53
	v_add_u32_e32 v44, v46, v66
	v_cndmask_b32_e64 v6, 0, v29, s[20:21]
	v_add_u32_e32 v42, v44, v65
	v_add_u16_e32 v27, v6, v69
	v_add_u32_e32 v40, v42, v64
	v_cndmask_b32_e64 v6, 0, v27, s[22:23]
	v_add_u32_e32 v38, v40, v63
	v_add_u16_e32 v25, v6, v51
	v_add_u32_e32 v36, v38, v62
	v_cndmask_b32_e64 v6, 0, v25, s[24:25]
	v_add_u32_e32 v34, v36, v61
	v_add_u16_e32 v23, v6, v52
	ds_read_b32 v6, v10 offset:1064
	v_add_u32_e32 v32, v34, v60
	v_and_b32_e32 v49, 0xffff, v8
	ds_read_u16 v8, v10 offset:1068
	v_add_u32_e32 v30, v32, v59
	v_add_u32_e32 v28, v30, v58
	;; [unrolled: 1-line block ×4, first 2 shown]
	v_cndmask_b32_e32 v9, 0, v23, vcc
	s_waitcnt lgkmcnt(1)
	v_cmp_eq_u32_e32 vcc, 0, v6
	v_add_u32_e32 v22, v24, v55
	v_cndmask_b32_e32 v7, 0, v7, vcc
	v_add_u32_e32 v20, v22, v54
	v_add_u16_e32 v21, v9, v50
	s_waitcnt lgkmcnt(0)
	v_add_u16_e32 v67, v7, v8
	s_and_saveexec_b64 s[2:3], s[0:1]
	s_cbranch_execz .LBB424_127
; %bb.126:
	s_add_u32 s4, s44, 0x400
	s_addc_u32 s5, s45, 0
	v_and_b32_e32 v7, 0xff00, v67
	v_mov_b32_e32 v9, 0
	v_or_b32_sdwa v7, v7, v67 dst_sel:DWORD dst_unused:UNUSED_PAD src0_sel:DWORD src1_sel:BYTE_0
	v_mov_b32_e32 v8, 2
	v_pk_mov_b32 v[10:11], s[4:5], s[4:5] op_sel:[0,1]
	;;#ASMSTART
	global_store_dwordx4 v[10:11], v[6:9] off	
s_waitcnt vmcnt(0)
	;;#ASMEND
.LBB424_127:
	s_or_b64 exec, exec, s[2:3]
	v_mov_b32_e32 v8, 0
.LBB424_128:
	s_and_b64 s[2:3], s[30:31], exec
	s_cselect_b32 s3, 0, s59
	s_cselect_b32 s2, 0, s58
	s_cmp_eq_u64 s[2:3], 0
	v_pk_mov_b32 v[18:19], 0, 0
	s_barrier
	s_cbranch_scc1 .LBB424_130
; %bb.129:
	v_mov_b32_e32 v7, 0
	global_load_dwordx2 v[18:19], v7, s[2:3]
.LBB424_130:
	s_waitcnt vmcnt(0)
	v_lshlrev_b64 v[50:51], 1, v[18:19]
	v_mov_b32_e32 v7, s43
	v_add_co_u32_e32 v10, vcc, s42, v50
	v_mov_b32_e32 v9, 0
	v_addc_co_u32_e32 v11, vcc, v7, v51, vcc
	v_lshlrev_b64 v[52:53], 1, v[8:9]
	v_add_co_u32_e32 v7, vcc, v10, v52
	v_addc_co_u32_e32 v9, vcc, v11, v53, vcc
	v_cmp_eq_u32_e32 vcc, 0, v68
	v_cndmask_b32_e64 v10, 1, 2, vcc
	v_cmp_eq_u32_e32 vcc, 0, v66
	v_cndmask_b32_e64 v11, 1, 2, vcc
	v_cmp_eq_u32_e32 vcc, 0, v65
	v_and_b32_e32 v10, v11, v10
	v_cndmask_b32_e64 v11, 1, 2, vcc
	v_cmp_eq_u32_e32 vcc, 0, v64
	v_and_b32_e32 v10, v10, v11
	;; [unrolled: 3-line block ×13, first 2 shown]
	v_cndmask_b32_e64 v11, 1, 2, vcc
	s_movk_i32 s34, 0x100
	v_and_b32_e32 v10, v10, v11
	v_cmp_gt_u32_e32 vcc, s34, v6
	v_cmp_ne_u32_e64 s[30:31], 0, v68
	v_cmp_ne_u32_e64 s[28:29], 0, v66
	;; [unrolled: 1-line block ×15, first 2 shown]
	s_mov_b64 s[40:41], -1
	v_cmp_gt_i16_e64 s[34:35], 2, v10
	s_cbranch_vccz .LBB424_137
; %bb.131:
	s_and_saveexec_b64 s[40:41], s[34:35]
	s_cbranch_execz .LBB424_136
; %bb.132:
	v_cmp_ne_u16_e32 vcc, 1, v10
	s_mov_b64 s[42:43], 0
	s_and_saveexec_b64 s[34:35], vcc
	s_xor_b64 s[34:35], exec, s[34:35]
	s_cbranch_execnz .LBB424_193
; %bb.133:
	s_andn2_saveexec_b64 s[34:35], s[34:35]
	s_cbranch_execnz .LBB424_209
.LBB424_134:
	s_or_b64 exec, exec, s[34:35]
	s_and_b64 exec, exec, s[42:43]
	s_cbranch_execz .LBB424_136
.LBB424_135:
	v_sub_u32_e32 v12, v20, v8
	v_mov_b32_e32 v13, 0
	v_lshlrev_b64 v[12:13], 1, v[12:13]
	v_add_co_u32_e32 v12, vcc, v7, v12
	v_addc_co_u32_e32 v13, vcc, v9, v13, vcc
	global_store_short_d16_hi v[12:13], v16, off
.LBB424_136:
	s_or_b64 exec, exec, s[40:41]
	s_mov_b64 s[40:41], 0
.LBB424_137:
	s_and_b64 vcc, exec, s[40:41]
	s_cbranch_vccz .LBB424_159
; %bb.138:
	v_cmp_gt_i16_e32 vcc, 2, v10
	s_and_saveexec_b64 s[34:35], vcc
	s_cbranch_execz .LBB424_143
; %bb.139:
	v_cmp_ne_u16_e32 vcc, 1, v10
	s_mov_b64 s[42:43], 0
	s_and_saveexec_b64 s[40:41], vcc
	s_xor_b64 s[40:41], exec, s[40:41]
	s_cbranch_execnz .LBB424_210
; %bb.140:
	s_andn2_saveexec_b64 s[2:3], s[40:41]
	s_cbranch_execnz .LBB424_226
.LBB424_141:
	s_or_b64 exec, exec, s[2:3]
	s_and_b64 exec, exec, s[42:43]
	s_cbranch_execz .LBB424_143
.LBB424_142:
	v_sub_u32_e32 v1, v20, v8
	v_lshlrev_b32_e32 v1, 1, v1
	ds_write_b16_d16_hi v1, v16
.LBB424_143:
	s_or_b64 exec, exec, s[34:35]
	v_cmp_lt_u32_e32 vcc, v0, v6
	s_waitcnt lgkmcnt(0)
	s_barrier
	s_and_saveexec_b64 s[4:5], vcc
	s_cbranch_execz .LBB424_158
; %bb.144:
	v_xad_u32 v1, v0, -1, v6
	s_movk_i32 s2, 0x1700
	v_cmp_gt_u32_e64 s[6:7], s2, v1
	s_movk_i32 s2, 0x16ff
	v_cmp_lt_u32_e32 vcc, s2, v1
	v_mov_b32_e32 v2, v0
	s_and_saveexec_b64 s[8:9], vcc
	s_cbranch_execz .LBB424_155
; %bb.145:
	v_sub_u32_e32 v2, v0, v6
	v_or_b32_e32 v2, 0xff, v2
	v_cmp_ge_u32_e32 vcc, v2, v0
	s_mov_b64 s[2:3], -1
	v_mov_b32_e32 v2, v0
	s_and_saveexec_b64 s[10:11], vcc
	s_cbranch_execz .LBB424_154
; %bb.146:
	v_lshrrev_b32_e32 v14, 8, v1
	v_or_b32_e32 v3, 0x300, v0
	v_or_b32_e32 v2, 0x200, v0
	v_add_u32_e32 v4, -3, v14
	v_or_b32_e32 v1, 0x100, v0
	v_lshrrev_b32_e32 v5, 2, v4
	v_pk_mov_b32 v[12:13], v[2:3], v[2:3] op_sel:[0,1]
	v_add_u32_e32 v15, 1, v5
	v_cmp_lt_u32_e32 vcc, 11, v4
	v_mov_b32_e32 v70, 0
	v_pk_mov_b32 v[10:11], v[0:1], v[0:1] op_sel:[0,1]
	s_and_saveexec_b64 s[12:13], vcc
	s_cbranch_execz .LBB424_150
; %bb.147:
	v_pk_mov_b32 v[12:13], v[2:3], v[2:3] op_sel:[0,1]
	v_and_b32_e32 v16, 0x7ffffffc, v15
	v_lshlrev_b32_e32 v69, 1, v0
	s_mov_b32 s16, 0
	s_mov_b64 s[14:15], 0
	v_mov_b32_e32 v5, 0
	v_pk_mov_b32 v[10:11], v[0:1], v[0:1] op_sel:[0,1]
.LBB424_148:                            ; =>This Inner Loop Header: Depth=1
	v_mov_b32_e32 v4, v10
	v_lshlrev_b64 v[86:87], 1, v[4:5]
	v_add_u32_e32 v72, 0x400, v11
	v_mov_b32_e32 v73, v5
	v_add_co_u32_e64 v86, s[2:3], v7, v86
	v_lshlrev_b64 v[72:73], 1, v[72:73]
	v_addc_co_u32_e64 v87, s[2:3], v9, v87, s[2:3]
	v_add_u32_e32 v70, 0x400, v12
	v_mov_b32_e32 v71, v5
	v_add_co_u32_e64 v72, s[2:3], v7, v72
	v_lshlrev_b64 v[88:89], 1, v[70:71]
	v_addc_co_u32_e64 v73, s[2:3], v9, v73, s[2:3]
	v_add_u32_e32 v2, 0x400, v13
	v_mov_b32_e32 v3, v5
	v_add_co_u32_e64 v88, s[2:3], v7, v88
	v_add_u32_e32 v16, -4, v16
	v_mov_b32_e32 v4, v11
	v_lshlrev_b64 v[2:3], 1, v[2:3]
	v_addc_co_u32_e64 v89, s[2:3], v9, v89, s[2:3]
	v_add_u32_e32 v78, 0x800, v11
	v_mov_b32_e32 v79, v5
	s_add_i32 s16, s16, 16
	v_cmp_eq_u32_e32 vcc, 0, v16
	v_lshlrev_b64 v[90:91], 1, v[4:5]
	v_add_co_u32_e64 v2, s[2:3], v7, v2
	v_lshlrev_b64 v[78:79], 1, v[78:79]
	v_mov_b32_e32 v4, v12
	v_addc_co_u32_e64 v3, s[2:3], v9, v3, s[2:3]
	s_or_b64 s[14:15], vcc, s[14:15]
	v_add_co_u32_e32 v90, vcc, v7, v90
	v_add_u32_e32 v76, 0x800, v12
	v_mov_b32_e32 v77, v5
	v_add_co_u32_e64 v78, s[2:3], v7, v78
	v_addc_co_u32_e32 v91, vcc, v9, v91, vcc
	v_lshlrev_b64 v[92:93], 1, v[4:5]
	v_lshlrev_b64 v[76:77], 1, v[76:77]
	v_addc_co_u32_e64 v79, s[2:3], v9, v79, s[2:3]
	v_mov_b32_e32 v4, v13
	v_add_co_u32_e32 v92, vcc, v7, v92
	ds_read_u16 v1, v69
	ds_read_u16 v96, v69 offset:512
	ds_read_u16 v97, v69 offset:1024
	;; [unrolled: 1-line block ×7, first 2 shown]
	v_add_u32_e32 v74, 0x800, v13
	v_mov_b32_e32 v75, v5
	v_add_co_u32_e64 v76, s[2:3], v7, v76
	v_addc_co_u32_e32 v93, vcc, v9, v93, vcc
	v_lshlrev_b64 v[94:95], 1, v[4:5]
	v_lshlrev_b64 v[74:75], 1, v[74:75]
	v_addc_co_u32_e64 v77, s[2:3], v9, v77, s[2:3]
	v_add_u32_e32 v4, 0x400, v10
	v_add_co_u32_e32 v94, vcc, v7, v94
	v_add_u32_e32 v84, 0xc00, v11
	v_mov_b32_e32 v85, v5
	ds_read_u16 v103, v69 offset:4096
	ds_read_u16 v104, v69 offset:4608
	;; [unrolled: 1-line block ×8, first 2 shown]
	v_add_co_u32_e64 v74, s[2:3], v7, v74
	v_addc_co_u32_e32 v95, vcc, v9, v95, vcc
	s_waitcnt lgkmcnt(14)
	global_store_short v[86:87], v1, off
	global_store_short v[90:91], v96, off
	s_waitcnt lgkmcnt(13)
	global_store_short v[92:93], v97, off
	v_lshlrev_b64 v[86:87], 1, v[4:5]
	v_lshlrev_b64 v[84:85], 1, v[84:85]
	v_addc_co_u32_e64 v75, s[2:3], v9, v75, s[2:3]
	v_add_u32_e32 v4, 0x800, v10
	v_add_co_u32_e32 v86, vcc, v7, v86
	v_add_u32_e32 v82, 0xc00, v12
	v_mov_b32_e32 v83, v5
	v_add_co_u32_e64 v84, s[2:3], v7, v84
	v_addc_co_u32_e32 v87, vcc, v9, v87, vcc
	v_lshlrev_b64 v[90:91], 1, v[4:5]
	v_lshlrev_b64 v[82:83], 1, v[82:83]
	v_addc_co_u32_e64 v85, s[2:3], v9, v85, s[2:3]
	s_waitcnt lgkmcnt(12)
	global_store_short v[94:95], v98, off
	v_add_u32_e32 v4, 0xc00, v10
	s_waitcnt lgkmcnt(11)
	global_store_short v[86:87], v99, off
	s_waitcnt lgkmcnt(10)
	global_store_short v[72:73], v100, off
	;; [unrolled: 2-line block ×4, first 2 shown]
	v_add_co_u32_e32 v2, vcc, v7, v90
	v_add_u32_e32 v80, 0xc00, v13
	v_mov_b32_e32 v81, v5
	v_add_co_u32_e64 v82, s[2:3], v7, v82
	v_addc_co_u32_e32 v3, vcc, v9, v91, vcc
	v_lshlrev_b64 v[72:73], 1, v[4:5]
	v_lshlrev_b64 v[80:81], 1, v[80:81]
	v_addc_co_u32_e64 v83, s[2:3], v9, v83, s[2:3]
	s_waitcnt lgkmcnt(7)
	global_store_short v[2:3], v103, off
	s_waitcnt lgkmcnt(6)
	global_store_short v[78:79], v104, off
	;; [unrolled: 2-line block ×4, first 2 shown]
	v_add_co_u32_e32 v2, vcc, v7, v72
	v_add_u32_e32 v69, 0x2000, v69
	v_add_u32_e32 v11, 0x1000, v11
	v_mov_b32_e32 v70, s16
	v_add_co_u32_e64 v80, s[2:3], v7, v80
	v_add_u32_e32 v12, 0x1000, v12
	v_add_u32_e32 v13, 0x1000, v13
	;; [unrolled: 1-line block ×3, first 2 shown]
	v_addc_co_u32_e32 v3, vcc, v9, v73, vcc
	v_addc_co_u32_e64 v81, s[2:3], v9, v81, s[2:3]
	s_waitcnt lgkmcnt(3)
	global_store_short v[2:3], v107, off
	s_waitcnt lgkmcnt(2)
	global_store_short v[84:85], v108, off
	;; [unrolled: 2-line block ×4, first 2 shown]
	s_andn2_b64 exec, exec, s[14:15]
	s_cbranch_execnz .LBB424_148
; %bb.149:
	s_or_b64 exec, exec, s[14:15]
.LBB424_150:
	s_or_b64 exec, exec, s[12:13]
	v_and_b32_e32 v1, 3, v15
	v_cmp_ne_u32_e32 vcc, 0, v1
	s_and_saveexec_b64 s[12:13], vcc
	s_cbranch_execz .LBB424_153
; %bb.151:
	v_lshlrev_b32_e32 v2, 1, v0
	v_lshl_or_b32 v4, v70, 9, v2
	s_mov_b64 s[14:15], 0
	v_mov_b32_e32 v3, 0
.LBB424_152:                            ; =>This Inner Loop Header: Depth=1
	v_mov_b32_e32 v2, v10
	v_add_u32_e32 v1, -1, v1
	v_lshlrev_b64 v[70:71], 1, v[2:3]
	v_mov_b32_e32 v2, v11
	v_cmp_eq_u32_e32 vcc, 0, v1
	v_lshlrev_b64 v[72:73], 1, v[2:3]
	ds_read_u16 v5, v4
	ds_read_u16 v15, v4 offset:512
	ds_read_u16 v16, v4 offset:1024
	;; [unrolled: 1-line block ×3, first 2 shown]
	v_mov_b32_e32 v2, v12
	s_or_b64 s[14:15], vcc, s[14:15]
	v_add_co_u32_e32 v72, vcc, v7, v72
	v_addc_co_u32_e32 v73, vcc, v9, v73, vcc
	v_lshlrev_b64 v[74:75], 1, v[2:3]
	v_mov_b32_e32 v2, v13
	v_add_co_u32_e32 v74, vcc, v7, v74
	v_add_co_u32_e64 v70, s[2:3], v7, v70
	v_addc_co_u32_e32 v75, vcc, v9, v75, vcc
	v_lshlrev_b64 v[76:77], 1, v[2:3]
	v_add_u32_e32 v10, 0x400, v10
	v_add_u32_e32 v4, 0x800, v4
	;; [unrolled: 1-line block ×3, first 2 shown]
	v_addc_co_u32_e64 v71, s[2:3], v9, v71, s[2:3]
	v_add_u32_e32 v12, 0x400, v12
	v_add_u32_e32 v13, 0x400, v13
	v_add_co_u32_e32 v76, vcc, v7, v76
	v_addc_co_u32_e32 v77, vcc, v9, v77, vcc
	s_waitcnt lgkmcnt(3)
	global_store_short v[70:71], v5, off
	s_waitcnt lgkmcnt(2)
	global_store_short v[72:73], v15, off
	;; [unrolled: 2-line block ×4, first 2 shown]
	s_andn2_b64 exec, exec, s[14:15]
	s_cbranch_execnz .LBB424_152
.LBB424_153:
	s_or_b64 exec, exec, s[12:13]
	v_add_u32_e32 v1, 1, v14
	v_and_b32_e32 v3, 0x1fffffc, v1
	v_cmp_ne_u32_e32 vcc, v1, v3
	v_lshl_or_b32 v2, v3, 8, v0
	s_orn2_b64 s[2:3], vcc, exec
.LBB424_154:
	s_or_b64 exec, exec, s[10:11]
	s_andn2_b64 s[6:7], s[6:7], exec
	s_and_b64 s[2:3], s[2:3], exec
	s_or_b64 s[6:7], s[6:7], s[2:3]
.LBB424_155:
	s_or_b64 exec, exec, s[8:9]
	s_and_b64 exec, exec, s[6:7]
	s_cbranch_execz .LBB424_158
; %bb.156:
	v_lshlrev_b32_e32 v1, 1, v2
	s_mov_b64 s[2:3], 0
	v_mov_b32_e32 v3, 0
.LBB424_157:                            ; =>This Inner Loop Header: Depth=1
	v_lshlrev_b64 v[4:5], 1, v[2:3]
	ds_read_u16 v10, v1
	v_add_co_u32_e32 v4, vcc, v7, v4
	v_add_u32_e32 v2, 0x100, v2
	v_addc_co_u32_e32 v5, vcc, v9, v5, vcc
	v_cmp_ge_u32_e32 vcc, v2, v6
	v_add_u32_e32 v1, 0x200, v1
	s_or_b64 s[2:3], vcc, s[2:3]
	s_waitcnt lgkmcnt(0)
	global_store_short v[4:5], v10, off
	s_andn2_b64 exec, exec, s[2:3]
	s_cbranch_execnz .LBB424_157
.LBB424_158:
	s_or_b64 exec, exec, s[4:5]
.LBB424_159:
	s_cmpk_lg_i32 s33, 0xf00
	s_cselect_b64 s[2:3], -1, 0
	v_cndmask_b32_e64 v1, 0, 1, s[38:39]
	s_and_b64 s[2:3], s[2:3], s[36:37]
	v_sub_u32_e32 v3, v6, v1
	v_cndmask_b32_e64 v2, 0, 1, s[2:3]
	s_and_b64 s[0:1], s[0:1], s[38:39]
	v_add_u32_e32 v7, v3, v2
	v_cndmask_b32_e64 v3, v68, 0, s[0:1]
	s_mul_hi_u32 s0, s33, 0x88888889
	s_lshr_b32 s0, s0, 3
	v_mad_i32_i24 v4, v0, -15, s33
	v_cmp_eq_u32_e32 vcc, s0, v0
	v_cmp_ne_u32_e64 s[0:1], 0, v4
	v_cndmask_b32_e64 v5, 1, v3, s[0:1]
	v_cmp_ne_u32_e64 s[0:1], 1, v4
	v_cndmask_b32_e64 v9, 1, v66, s[0:1]
	v_cmp_ne_u32_e64 s[0:1], 2, v4
	v_cndmask_b32_e64 v10, 1, v65, s[0:1]
	v_cmp_ne_u32_e64 s[0:1], 3, v4
	v_cndmask_b32_e64 v11, 1, v64, s[0:1]
	v_cmp_ne_u32_e64 s[0:1], 4, v4
	v_cndmask_b32_e64 v12, 1, v63, s[0:1]
	v_cmp_ne_u32_e64 s[0:1], 5, v4
	v_cndmask_b32_e64 v13, 1, v62, s[0:1]
	v_cmp_ne_u32_e64 s[0:1], 6, v4
	v_cndmask_b32_e64 v14, 1, v61, s[0:1]
	v_cmp_ne_u32_e64 s[0:1], 7, v4
	v_cndmask_b32_e64 v15, 1, v60, s[0:1]
	v_cmp_ne_u32_e64 s[0:1], 8, v4
	v_cndmask_b32_e64 v16, 1, v59, s[0:1]
	v_cmp_ne_u32_e64 s[0:1], 9, v4
	v_cndmask_b32_e64 v68, 1, v58, s[0:1]
	v_cmp_ne_u32_e64 s[0:1], 10, v4
	v_cndmask_b32_e64 v69, 1, v57, s[0:1]
	v_cmp_ne_u32_e64 s[0:1], 11, v4
	v_cndmask_b32_e64 v70, 1, v56, s[0:1]
	v_cmp_ne_u32_e64 s[0:1], 12, v4
	v_cndmask_b32_e64 v71, 1, v55, s[0:1]
	v_cmp_ne_u32_e64 s[0:1], 13, v4
	v_cndmask_b32_e64 v72, 1, v54, s[0:1]
	v_cmp_ne_u32_e64 s[0:1], 14, v4
	v_cndmask_b32_e64 v4, 1, v17, s[0:1]
	s_and_b64 vcc, vcc, s[36:37]
	v_cndmask_b32_e32 v4, v17, v4, vcc
	v_cndmask_b32_e32 v17, v54, v72, vcc
	;; [unrolled: 1-line block ×15, first 2 shown]
	v_mov_b32_e32 v3, s53
	v_add_co_u32_e32 v9, vcc, s52, v50
	v_addc_co_u32_e32 v3, vcc, v3, v51, vcc
	v_add_co_u32_e32 v9, vcc, v9, v52
	v_addc_co_u32_e32 v14, vcc, v3, v53, vcc
	v_lshlrev_b32_e32 v3, 1, v1
	v_add_co_u32_e32 v3, vcc, v3, v9
	v_addc_co_u32_e32 v16, vcc, 0, v14, vcc
	v_add_co_u32_e32 v15, vcc, -2, v3
	v_addc_co_u32_e32 v16, vcc, -1, v16, vcc
	v_cmp_eq_u32_e32 vcc, 0, v5
	v_cmp_ne_u32_e64 s[28:29], 0, v5
	v_cndmask_b32_e64 v5, 1, 2, vcc
	v_cmp_eq_u32_e32 vcc, 0, v61
	v_cndmask_b32_e64 v50, 1, 2, vcc
	v_cmp_eq_u32_e32 vcc, 0, v10
	v_and_b32_e32 v5, v50, v5
	v_cmp_ne_u32_e64 s[24:25], 0, v10
	v_cndmask_b32_e64 v10, 1, 2, vcc
	v_cmp_eq_u32_e32 vcc, 0, v11
	v_and_b32_e32 v5, v5, v10
	v_cndmask_b32_e64 v10, 1, 2, vcc
	v_cmp_eq_u32_e32 vcc, 0, v12
	v_and_b32_e32 v5, v5, v10
	;; [unrolled: 3-line block ×12, first 2 shown]
	v_cmp_ne_u32_e64 s[0:1], 0, v4
	v_cndmask_b32_e64 v4, 1, 2, vcc
	s_movk_i32 s30, 0x100
	v_and_b32_e32 v4, v5, v4
	v_cmp_gt_u32_e32 vcc, s30, v7
	v_add_u32_e32 v3, v8, v1
	v_cmp_ne_u32_e64 s[26:27], 0, v61
	v_cmp_ne_u32_e64 s[22:23], 0, v11
	;; [unrolled: 1-line block ×12, first 2 shown]
	s_mov_b64 s[34:35], -1
	v_cmp_gt_i16_e64 s[30:31], 2, v4
	s_barrier
	s_cbranch_vccz .LBB424_166
; %bb.160:
	s_and_saveexec_b64 s[34:35], s[30:31]
	s_cbranch_execz .LBB424_165
; %bb.161:
	v_cmp_ne_u16_e32 vcc, 1, v4
	s_mov_b64 s[38:39], 0
	s_and_saveexec_b64 s[30:31], vcc
	s_xor_b64 s[30:31], exec, s[30:31]
	s_cbranch_execnz .LBB424_227
; %bb.162:
	s_andn2_saveexec_b64 s[30:31], s[30:31]
	s_cbranch_execnz .LBB424_243
.LBB424_163:
	s_or_b64 exec, exec, s[30:31]
	s_and_b64 exec, exec, s[38:39]
	s_cbranch_execz .LBB424_165
.LBB424_164:
	v_sub_u32_e32 v10, v20, v3
	v_mov_b32_e32 v11, 0
	v_lshlrev_b64 v[10:11], 1, v[10:11]
	v_add_co_u32_e32 v10, vcc, v15, v10
	v_addc_co_u32_e32 v11, vcc, v16, v11, vcc
	global_store_short v[10:11], v21, off
.LBB424_165:
	s_or_b64 exec, exec, s[34:35]
	s_mov_b64 s[34:35], 0
.LBB424_166:
	s_and_b64 vcc, exec, s[34:35]
	s_cbranch_vccz .LBB424_188
; %bb.167:
	v_cmp_gt_i16_e32 vcc, 2, v4
	s_and_saveexec_b64 s[30:31], vcc
	s_cbranch_execz .LBB424_172
; %bb.168:
	v_cmp_ne_u16_e32 vcc, 1, v4
	s_mov_b64 s[38:39], 0
	s_and_saveexec_b64 s[34:35], vcc
	s_xor_b64 s[34:35], exec, s[34:35]
	s_cbranch_execnz .LBB424_244
; %bb.169:
	s_andn2_saveexec_b64 s[0:1], s[34:35]
	s_cbranch_execnz .LBB424_260
.LBB424_170:
	s_or_b64 exec, exec, s[0:1]
	s_and_b64 exec, exec, s[38:39]
	s_cbranch_execz .LBB424_172
.LBB424_171:
	v_sub_u32_e32 v3, v20, v3
	v_lshlrev_b32_e32 v3, 1, v3
	ds_write_b16 v3, v21
.LBB424_172:
	s_or_b64 exec, exec, s[30:31]
	v_cmp_lt_u32_e32 vcc, v0, v7
	s_waitcnt lgkmcnt(0)
	s_barrier
	s_and_saveexec_b64 s[2:3], vcc
	s_cbranch_execz .LBB424_187
; %bb.173:
	v_add_u32_e32 v4, v6, v2
	v_xad_u32 v2, v0, -1, v4
	v_sub_u32_e32 v3, v2, v1
	s_movk_i32 s0, 0x1b00
	v_cmp_gt_u32_e64 s[4:5], s0, v3
	s_movk_i32 s0, 0x1aff
	v_cmp_lt_u32_e32 vcc, s0, v3
	v_mov_b32_e32 v2, v0
	s_and_saveexec_b64 s[6:7], vcc
	s_cbranch_execz .LBB424_184
; %bb.174:
	v_sub_u32_e32 v2, v0, v4
	v_add_u32_e32 v1, v2, v1
	v_or_b32_e32 v1, 0xff, v1
	v_cmp_ge_u32_e32 vcc, v1, v0
	s_mov_b64 s[0:1], -1
	v_mov_b32_e32 v2, v0
	s_and_saveexec_b64 s[8:9], vcc
	s_cbranch_execz .LBB424_183
; %bb.175:
	v_lshrrev_b32_e32 v17, 8, v3
	v_or_b32_e32 v3, 0x300, v0
	v_or_b32_e32 v2, 0x200, v0
	v_add_u32_e32 v4, -3, v17
	v_or_b32_e32 v1, 0x100, v0
	v_lshrrev_b32_e32 v5, 2, v4
	v_pk_mov_b32 v[12:13], v[2:3], v[2:3] op_sel:[0,1]
	v_add_u32_e32 v21, 1, v5
	v_cmp_lt_u32_e32 vcc, 11, v4
	v_mov_b32_e32 v24, 0
	v_lshlrev_b32_e32 v20, 1, v0
	v_pk_mov_b32 v[10:11], v[0:1], v[0:1] op_sel:[0,1]
	s_and_saveexec_b64 s[10:11], vcc
	s_cbranch_execz .LBB424_179
; %bb.176:
	v_pk_mov_b32 v[12:13], v[2:3], v[2:3] op_sel:[0,1]
	v_and_b32_e32 v22, 0x7ffffffc, v21
	s_mov_b32 s14, 0
	s_mov_b64 s[12:13], 0
	v_mov_b32_e32 v5, 0
	v_mov_b32_e32 v23, v20
	v_pk_mov_b32 v[10:11], v[0:1], v[0:1] op_sel:[0,1]
.LBB424_177:                            ; =>This Inner Loop Header: Depth=1
	v_mov_b32_e32 v4, v10
	v_lshlrev_b64 v[40:41], 1, v[4:5]
	v_add_u32_e32 v26, 0x400, v11
	v_mov_b32_e32 v27, v5
	v_add_co_u32_e64 v40, s[0:1], v15, v40
	v_lshlrev_b64 v[26:27], 1, v[26:27]
	v_addc_co_u32_e64 v41, s[0:1], v16, v41, s[0:1]
	v_add_u32_e32 v24, 0x400, v12
	v_mov_b32_e32 v25, v5
	v_add_co_u32_e64 v26, s[0:1], v15, v26
	v_lshlrev_b64 v[42:43], 1, v[24:25]
	v_addc_co_u32_e64 v27, s[0:1], v16, v27, s[0:1]
	v_add_u32_e32 v2, 0x400, v13
	v_mov_b32_e32 v3, v5
	v_add_co_u32_e64 v42, s[0:1], v15, v42
	v_add_u32_e32 v22, -4, v22
	v_mov_b32_e32 v4, v11
	v_lshlrev_b64 v[2:3], 1, v[2:3]
	v_addc_co_u32_e64 v43, s[0:1], v16, v43, s[0:1]
	v_add_u32_e32 v32, 0x800, v11
	v_mov_b32_e32 v33, v5
	s_add_i32 s14, s14, 16
	v_cmp_eq_u32_e32 vcc, 0, v22
	v_lshlrev_b64 v[44:45], 1, v[4:5]
	v_add_co_u32_e64 v2, s[0:1], v15, v2
	v_lshlrev_b64 v[32:33], 1, v[32:33]
	v_mov_b32_e32 v4, v12
	v_addc_co_u32_e64 v3, s[0:1], v16, v3, s[0:1]
	s_or_b64 s[12:13], vcc, s[12:13]
	v_add_co_u32_e32 v44, vcc, v15, v44
	v_add_u32_e32 v30, 0x800, v12
	v_mov_b32_e32 v31, v5
	v_add_co_u32_e64 v32, s[0:1], v15, v32
	v_addc_co_u32_e32 v45, vcc, v16, v45, vcc
	v_lshlrev_b64 v[46:47], 1, v[4:5]
	v_lshlrev_b64 v[30:31], 1, v[30:31]
	v_addc_co_u32_e64 v33, s[0:1], v16, v33, s[0:1]
	v_mov_b32_e32 v4, v13
	v_add_co_u32_e32 v46, vcc, v15, v46
	ds_read_u16 v1, v23
	ds_read_u16 v50, v23 offset:512
	ds_read_u16 v51, v23 offset:1024
	;; [unrolled: 1-line block ×7, first 2 shown]
	v_add_u32_e32 v28, 0x800, v13
	v_mov_b32_e32 v29, v5
	v_add_co_u32_e64 v30, s[0:1], v15, v30
	v_addc_co_u32_e32 v47, vcc, v16, v47, vcc
	v_lshlrev_b64 v[48:49], 1, v[4:5]
	v_lshlrev_b64 v[28:29], 1, v[28:29]
	v_addc_co_u32_e64 v31, s[0:1], v16, v31, s[0:1]
	v_add_u32_e32 v4, 0x400, v10
	v_add_co_u32_e32 v48, vcc, v15, v48
	v_add_u32_e32 v38, 0xc00, v11
	v_mov_b32_e32 v39, v5
	ds_read_u16 v57, v23 offset:4096
	ds_read_u16 v58, v23 offset:4608
	;; [unrolled: 1-line block ×8, first 2 shown]
	v_add_co_u32_e64 v28, s[0:1], v15, v28
	v_addc_co_u32_e32 v49, vcc, v16, v49, vcc
	s_waitcnt lgkmcnt(14)
	global_store_short v[40:41], v1, off
	global_store_short v[44:45], v50, off
	s_waitcnt lgkmcnt(13)
	global_store_short v[46:47], v51, off
	v_lshlrev_b64 v[40:41], 1, v[4:5]
	v_lshlrev_b64 v[38:39], 1, v[38:39]
	v_addc_co_u32_e64 v29, s[0:1], v16, v29, s[0:1]
	v_add_u32_e32 v4, 0x800, v10
	v_add_co_u32_e32 v40, vcc, v15, v40
	v_add_u32_e32 v36, 0xc00, v12
	v_mov_b32_e32 v37, v5
	v_add_co_u32_e64 v38, s[0:1], v15, v38
	v_addc_co_u32_e32 v41, vcc, v16, v41, vcc
	v_lshlrev_b64 v[44:45], 1, v[4:5]
	v_lshlrev_b64 v[36:37], 1, v[36:37]
	v_addc_co_u32_e64 v39, s[0:1], v16, v39, s[0:1]
	s_waitcnt lgkmcnt(12)
	global_store_short v[48:49], v52, off
	v_add_u32_e32 v4, 0xc00, v10
	s_waitcnt lgkmcnt(11)
	global_store_short v[40:41], v53, off
	s_waitcnt lgkmcnt(10)
	global_store_short v[26:27], v54, off
	;; [unrolled: 2-line block ×4, first 2 shown]
	v_add_co_u32_e32 v2, vcc, v15, v44
	v_add_u32_e32 v34, 0xc00, v13
	v_mov_b32_e32 v35, v5
	v_add_co_u32_e64 v36, s[0:1], v15, v36
	v_addc_co_u32_e32 v3, vcc, v16, v45, vcc
	v_lshlrev_b64 v[26:27], 1, v[4:5]
	v_lshlrev_b64 v[34:35], 1, v[34:35]
	v_addc_co_u32_e64 v37, s[0:1], v16, v37, s[0:1]
	s_waitcnt lgkmcnt(7)
	global_store_short v[2:3], v57, off
	s_waitcnt lgkmcnt(6)
	global_store_short v[32:33], v58, off
	;; [unrolled: 2-line block ×4, first 2 shown]
	v_add_co_u32_e32 v2, vcc, v15, v26
	v_add_u32_e32 v23, 0x2000, v23
	v_add_u32_e32 v11, 0x1000, v11
	v_mov_b32_e32 v24, s14
	v_add_co_u32_e64 v34, s[0:1], v15, v34
	v_add_u32_e32 v12, 0x1000, v12
	v_add_u32_e32 v13, 0x1000, v13
	;; [unrolled: 1-line block ×3, first 2 shown]
	v_addc_co_u32_e32 v3, vcc, v16, v27, vcc
	v_addc_co_u32_e64 v35, s[0:1], v16, v35, s[0:1]
	s_waitcnt lgkmcnt(3)
	global_store_short v[2:3], v61, off
	s_waitcnt lgkmcnt(2)
	global_store_short v[38:39], v62, off
	;; [unrolled: 2-line block ×4, first 2 shown]
	s_andn2_b64 exec, exec, s[12:13]
	s_cbranch_execnz .LBB424_177
; %bb.178:
	s_or_b64 exec, exec, s[12:13]
.LBB424_179:
	s_or_b64 exec, exec, s[10:11]
	v_and_b32_e32 v1, 3, v21
	v_cmp_ne_u32_e32 vcc, 0, v1
	s_and_saveexec_b64 s[10:11], vcc
	s_cbranch_execz .LBB424_182
; %bb.180:
	v_lshl_or_b32 v4, v24, 9, v20
	s_mov_b64 s[12:13], 0
	v_mov_b32_e32 v3, 0
.LBB424_181:                            ; =>This Inner Loop Header: Depth=1
	v_mov_b32_e32 v2, v10
	v_add_u32_e32 v1, -1, v1
	v_lshlrev_b64 v[20:21], 1, v[2:3]
	v_mov_b32_e32 v2, v11
	v_cmp_eq_u32_e32 vcc, 0, v1
	v_lshlrev_b64 v[22:23], 1, v[2:3]
	ds_read_u16 v5, v4
	ds_read_u16 v28, v4 offset:512
	ds_read_u16 v29, v4 offset:1024
	;; [unrolled: 1-line block ×3, first 2 shown]
	v_mov_b32_e32 v2, v12
	s_or_b64 s[12:13], vcc, s[12:13]
	v_add_co_u32_e32 v22, vcc, v15, v22
	v_addc_co_u32_e32 v23, vcc, v16, v23, vcc
	v_lshlrev_b64 v[24:25], 1, v[2:3]
	v_mov_b32_e32 v2, v13
	v_add_co_u32_e32 v24, vcc, v15, v24
	v_add_co_u32_e64 v20, s[0:1], v15, v20
	v_addc_co_u32_e32 v25, vcc, v16, v25, vcc
	v_lshlrev_b64 v[26:27], 1, v[2:3]
	v_add_u32_e32 v10, 0x400, v10
	v_add_u32_e32 v4, 0x800, v4
	v_add_u32_e32 v11, 0x400, v11
	v_addc_co_u32_e64 v21, s[0:1], v16, v21, s[0:1]
	v_add_u32_e32 v12, 0x400, v12
	v_add_u32_e32 v13, 0x400, v13
	v_add_co_u32_e32 v26, vcc, v15, v26
	v_addc_co_u32_e32 v27, vcc, v16, v27, vcc
	s_waitcnt lgkmcnt(3)
	global_store_short v[20:21], v5, off
	s_waitcnt lgkmcnt(2)
	global_store_short v[22:23], v28, off
	;; [unrolled: 2-line block ×4, first 2 shown]
	s_andn2_b64 exec, exec, s[12:13]
	s_cbranch_execnz .LBB424_181
.LBB424_182:
	s_or_b64 exec, exec, s[10:11]
	v_add_u32_e32 v1, 1, v17
	v_and_b32_e32 v3, 0x1fffffc, v1
	v_cmp_ne_u32_e32 vcc, v1, v3
	v_lshl_or_b32 v2, v3, 8, v0
	s_orn2_b64 s[0:1], vcc, exec
.LBB424_183:
	s_or_b64 exec, exec, s[8:9]
	s_andn2_b64 s[4:5], s[4:5], exec
	s_and_b64 s[0:1], s[0:1], exec
	s_or_b64 s[4:5], s[4:5], s[0:1]
.LBB424_184:
	s_or_b64 exec, exec, s[6:7]
	s_and_b64 exec, exec, s[4:5]
	s_cbranch_execz .LBB424_187
; %bb.185:
	v_lshlrev_b32_e32 v1, 1, v2
	s_mov_b64 s[0:1], 0
	v_mov_b32_e32 v3, 0
.LBB424_186:                            ; =>This Inner Loop Header: Depth=1
	v_lshlrev_b64 v[4:5], 1, v[2:3]
	ds_read_u16 v10, v1
	v_add_co_u32_e32 v4, vcc, v15, v4
	v_add_u32_e32 v2, 0x100, v2
	v_addc_co_u32_e32 v5, vcc, v16, v5, vcc
	v_cmp_ge_u32_e32 vcc, v2, v7
	v_add_u32_e32 v1, 0x200, v1
	s_or_b64 s[0:1], vcc, s[0:1]
	s_waitcnt lgkmcnt(0)
	global_store_short v[4:5], v10, off
	s_andn2_b64 exec, exec, s[0:1]
	s_cbranch_execnz .LBB424_186
.LBB424_187:
	s_or_b64 exec, exec, s[2:3]
.LBB424_188:
	s_movk_i32 s0, 0xff
	v_cmp_eq_u32_e32 vcc, s0, v0
	s_and_b64 s[0:1], vcc, s[36:37]
	s_and_saveexec_b64 s[2:3], s[0:1]
	s_cbranch_execz .LBB424_191
; %bb.189:
	v_add_co_u32_e32 v0, vcc, v6, v8
	v_addc_co_u32_e64 v1, s[0:1], 0, 0, vcc
	v_add_co_u32_e32 v0, vcc, v0, v18
	v_mov_b32_e32 v7, 0
	v_addc_co_u32_e32 v1, vcc, v1, v19, vcc
	s_cmpk_lg_i32 s33, 0xf00
	global_store_dwordx2 v7, v[0:1], s[54:55]
	s_cbranch_scc1 .LBB424_191
; %bb.190:
	v_lshlrev_b64 v[0:1], 1, v[6:7]
	v_add_co_u32_e32 v0, vcc, v9, v0
	v_addc_co_u32_e32 v1, vcc, v14, v1, vcc
	global_store_short v[0:1], v67, off offset:-2
.LBB424_191:
	s_endpgm
.LBB424_192:
	s_or_b64 exec, exec, s[8:9]
	v_mov_b32_e32 v68, s12
	s_and_saveexec_b64 s[2:3], s[6:7]
	s_cbranch_execnz .LBB424_88
	s_branch .LBB424_89
.LBB424_193:
	s_and_saveexec_b64 s[42:43], s[30:31]
	s_cbranch_execnz .LBB424_261
; %bb.194:
	s_or_b64 exec, exec, s[42:43]
	s_and_saveexec_b64 s[42:43], s[28:29]
	s_cbranch_execnz .LBB424_262
.LBB424_195:
	s_or_b64 exec, exec, s[42:43]
	s_and_saveexec_b64 s[42:43], s[26:27]
	s_cbranch_execnz .LBB424_263
.LBB424_196:
	s_or_b64 exec, exec, s[42:43]
	s_and_saveexec_b64 s[42:43], s[24:25]
	s_cbranch_execnz .LBB424_264
.LBB424_197:
	s_or_b64 exec, exec, s[42:43]
	s_and_saveexec_b64 s[42:43], s[22:23]
	s_cbranch_execnz .LBB424_265
.LBB424_198:
	s_or_b64 exec, exec, s[42:43]
	s_and_saveexec_b64 s[42:43], s[20:21]
	s_cbranch_execnz .LBB424_266
.LBB424_199:
	s_or_b64 exec, exec, s[42:43]
	s_and_saveexec_b64 s[42:43], s[18:19]
	s_cbranch_execnz .LBB424_267
.LBB424_200:
	s_or_b64 exec, exec, s[42:43]
	s_and_saveexec_b64 s[42:43], s[16:17]
	s_cbranch_execnz .LBB424_268
.LBB424_201:
	s_or_b64 exec, exec, s[42:43]
	s_and_saveexec_b64 s[42:43], s[14:15]
	s_cbranch_execnz .LBB424_269
.LBB424_202:
	s_or_b64 exec, exec, s[42:43]
	s_and_saveexec_b64 s[42:43], s[12:13]
	s_cbranch_execnz .LBB424_270
.LBB424_203:
	s_or_b64 exec, exec, s[42:43]
	s_and_saveexec_b64 s[42:43], s[10:11]
	s_cbranch_execnz .LBB424_271
.LBB424_204:
	s_or_b64 exec, exec, s[42:43]
	s_and_saveexec_b64 s[42:43], s[8:9]
	s_cbranch_execnz .LBB424_272
.LBB424_205:
	s_or_b64 exec, exec, s[42:43]
	s_and_saveexec_b64 s[42:43], s[6:7]
	s_cbranch_execnz .LBB424_273
.LBB424_206:
	s_or_b64 exec, exec, s[42:43]
	s_and_saveexec_b64 s[42:43], s[4:5]
	s_cbranch_execz .LBB424_208
.LBB424_207:
	v_sub_u32_e32 v12, v22, v8
	v_mov_b32_e32 v13, 0
	v_lshlrev_b64 v[12:13], 1, v[12:13]
	v_add_co_u32_e32 v12, vcc, v7, v12
	v_addc_co_u32_e32 v13, vcc, v9, v13, vcc
	global_store_short v[12:13], v16, off
.LBB424_208:
	s_or_b64 exec, exec, s[42:43]
	s_and_b64 s[42:43], s[2:3], exec
	s_andn2_saveexec_b64 s[34:35], s[34:35]
	s_cbranch_execz .LBB424_134
.LBB424_209:
	v_sub_u32_e32 v12, v48, v8
	v_mov_b32_e32 v13, 0
	v_lshlrev_b64 v[70:71], 1, v[12:13]
	v_add_co_u32_e32 v70, vcc, v7, v70
	v_addc_co_u32_e32 v71, vcc, v9, v71, vcc
	v_sub_u32_e32 v12, v46, v8
	global_store_short v[70:71], v1, off
	v_lshlrev_b64 v[70:71], 1, v[12:13]
	v_add_co_u32_e32 v70, vcc, v7, v70
	v_addc_co_u32_e32 v71, vcc, v9, v71, vcc
	v_sub_u32_e32 v12, v44, v8
	global_store_short v[70:71], v2, off
	v_lshlrev_b64 v[70:71], 1, v[12:13]
	v_add_co_u32_e32 v70, vcc, v7, v70
	v_addc_co_u32_e32 v71, vcc, v9, v71, vcc
	v_sub_u32_e32 v12, v42, v8
	global_store_short_d16_hi v[70:71], v2, off
	v_lshlrev_b64 v[70:71], 1, v[12:13]
	v_add_co_u32_e32 v70, vcc, v7, v70
	v_addc_co_u32_e32 v71, vcc, v9, v71, vcc
	v_sub_u32_e32 v12, v40, v8
	global_store_short v[70:71], v3, off
	v_lshlrev_b64 v[70:71], 1, v[12:13]
	v_add_co_u32_e32 v70, vcc, v7, v70
	v_addc_co_u32_e32 v71, vcc, v9, v71, vcc
	v_sub_u32_e32 v12, v38, v8
	global_store_short_d16_hi v[70:71], v3, off
	v_lshlrev_b64 v[70:71], 1, v[12:13]
	v_add_co_u32_e32 v70, vcc, v7, v70
	v_addc_co_u32_e32 v71, vcc, v9, v71, vcc
	v_sub_u32_e32 v12, v36, v8
	global_store_short v[70:71], v4, off
	v_lshlrev_b64 v[70:71], 1, v[12:13]
	v_add_co_u32_e32 v70, vcc, v7, v70
	v_addc_co_u32_e32 v71, vcc, v9, v71, vcc
	v_sub_u32_e32 v12, v34, v8
	global_store_short_d16_hi v[70:71], v4, off
	v_lshlrev_b64 v[70:71], 1, v[12:13]
	v_add_co_u32_e32 v70, vcc, v7, v70
	v_addc_co_u32_e32 v71, vcc, v9, v71, vcc
	v_sub_u32_e32 v12, v32, v8
	global_store_short v[70:71], v5, off
	v_lshlrev_b64 v[70:71], 1, v[12:13]
	v_add_co_u32_e32 v70, vcc, v7, v70
	v_addc_co_u32_e32 v71, vcc, v9, v71, vcc
	v_sub_u32_e32 v12, v30, v8
	global_store_short_d16_hi v[70:71], v5, off
	v_lshlrev_b64 v[70:71], 1, v[12:13]
	v_add_co_u32_e32 v70, vcc, v7, v70
	v_addc_co_u32_e32 v71, vcc, v9, v71, vcc
	v_sub_u32_e32 v12, v28, v8
	global_store_short v[70:71], v14, off
	v_lshlrev_b64 v[70:71], 1, v[12:13]
	v_add_co_u32_e32 v70, vcc, v7, v70
	v_addc_co_u32_e32 v71, vcc, v9, v71, vcc
	v_sub_u32_e32 v12, v26, v8
	global_store_short_d16_hi v[70:71], v14, off
	v_lshlrev_b64 v[70:71], 1, v[12:13]
	v_add_co_u32_e32 v70, vcc, v7, v70
	v_addc_co_u32_e32 v71, vcc, v9, v71, vcc
	v_sub_u32_e32 v12, v24, v8
	global_store_short v[70:71], v15, off
	v_lshlrev_b64 v[70:71], 1, v[12:13]
	v_add_co_u32_e32 v70, vcc, v7, v70
	v_sub_u32_e32 v12, v22, v8
	v_addc_co_u32_e32 v71, vcc, v9, v71, vcc
	v_lshlrev_b64 v[12:13], 1, v[12:13]
	v_add_co_u32_e32 v12, vcc, v7, v12
	v_addc_co_u32_e32 v13, vcc, v9, v13, vcc
	s_or_b64 s[42:43], s[42:43], exec
	global_store_short_d16_hi v[70:71], v15, off
	global_store_short v[12:13], v16, off
	s_or_b64 exec, exec, s[34:35]
	s_and_b64 exec, exec, s[42:43]
	s_cbranch_execnz .LBB424_135
	s_branch .LBB424_136
.LBB424_210:
	s_and_saveexec_b64 s[42:43], s[30:31]
	s_cbranch_execnz .LBB424_274
; %bb.211:
	s_or_b64 exec, exec, s[42:43]
	s_and_saveexec_b64 s[30:31], s[28:29]
	s_cbranch_execnz .LBB424_275
.LBB424_212:
	s_or_b64 exec, exec, s[30:31]
	s_and_saveexec_b64 s[28:29], s[26:27]
	s_cbranch_execnz .LBB424_276
.LBB424_213:
	s_or_b64 exec, exec, s[28:29]
	s_and_saveexec_b64 s[26:27], s[24:25]
	s_cbranch_execnz .LBB424_277
.LBB424_214:
	s_or_b64 exec, exec, s[26:27]
	s_and_saveexec_b64 s[24:25], s[22:23]
	s_cbranch_execnz .LBB424_278
.LBB424_215:
	s_or_b64 exec, exec, s[24:25]
	s_and_saveexec_b64 s[22:23], s[20:21]
	s_cbranch_execnz .LBB424_279
.LBB424_216:
	s_or_b64 exec, exec, s[22:23]
	s_and_saveexec_b64 s[20:21], s[18:19]
	s_cbranch_execnz .LBB424_280
.LBB424_217:
	s_or_b64 exec, exec, s[20:21]
	s_and_saveexec_b64 s[18:19], s[16:17]
	s_cbranch_execnz .LBB424_281
.LBB424_218:
	s_or_b64 exec, exec, s[18:19]
	s_and_saveexec_b64 s[16:17], s[14:15]
	s_cbranch_execnz .LBB424_282
.LBB424_219:
	s_or_b64 exec, exec, s[16:17]
	s_and_saveexec_b64 s[14:15], s[12:13]
	s_cbranch_execnz .LBB424_283
.LBB424_220:
	s_or_b64 exec, exec, s[14:15]
	s_and_saveexec_b64 s[12:13], s[10:11]
	s_cbranch_execnz .LBB424_284
.LBB424_221:
	s_or_b64 exec, exec, s[12:13]
	s_and_saveexec_b64 s[10:11], s[8:9]
	s_cbranch_execnz .LBB424_285
.LBB424_222:
	s_or_b64 exec, exec, s[10:11]
	s_and_saveexec_b64 s[8:9], s[6:7]
	s_cbranch_execnz .LBB424_286
.LBB424_223:
	s_or_b64 exec, exec, s[8:9]
	s_and_saveexec_b64 s[6:7], s[4:5]
	s_cbranch_execz .LBB424_225
.LBB424_224:
	v_sub_u32_e32 v1, v22, v8
	v_lshlrev_b32_e32 v1, 1, v1
	ds_write_b16 v1, v16
.LBB424_225:
	s_or_b64 exec, exec, s[6:7]
	s_and_b64 s[42:43], s[2:3], exec
                                        ; implicit-def: $vgpr1
                                        ; implicit-def: $vgpr2
	s_andn2_saveexec_b64 s[2:3], s[40:41]
	s_cbranch_execz .LBB424_141
.LBB424_226:
	v_sub_u32_e32 v10, v48, v8
	v_lshlrev_b32_e32 v10, 1, v10
	ds_write_b16 v10, v1
	v_sub_u32_e32 v1, v46, v8
	v_lshlrev_b32_e32 v1, 1, v1
	ds_write_b16 v1, v2
	v_sub_u32_e32 v1, v44, v8
	v_lshlrev_b32_e32 v1, 1, v1
	ds_write_b16_d16_hi v1, v2
	v_sub_u32_e32 v1, v42, v8
	v_lshlrev_b32_e32 v1, 1, v1
	ds_write_b16 v1, v3
	v_sub_u32_e32 v1, v40, v8
	v_lshlrev_b32_e32 v1, 1, v1
	ds_write_b16_d16_hi v1, v3
	;; [unrolled: 6-line block ×6, first 2 shown]
	v_sub_u32_e32 v1, v22, v8
	v_lshlrev_b32_e32 v1, 1, v1
	s_or_b64 s[42:43], s[42:43], exec
	ds_write_b16 v1, v16
	s_or_b64 exec, exec, s[2:3]
	s_and_b64 exec, exec, s[42:43]
	s_cbranch_execnz .LBB424_142
	s_branch .LBB424_143
.LBB424_227:
	s_and_saveexec_b64 s[38:39], s[28:29]
	s_cbranch_execnz .LBB424_287
; %bb.228:
	s_or_b64 exec, exec, s[38:39]
	s_and_saveexec_b64 s[38:39], s[26:27]
	s_cbranch_execnz .LBB424_288
.LBB424_229:
	s_or_b64 exec, exec, s[38:39]
	s_and_saveexec_b64 s[38:39], s[24:25]
	s_cbranch_execnz .LBB424_289
.LBB424_230:
	s_or_b64 exec, exec, s[38:39]
	s_and_saveexec_b64 s[38:39], s[22:23]
	s_cbranch_execnz .LBB424_290
.LBB424_231:
	s_or_b64 exec, exec, s[38:39]
	s_and_saveexec_b64 s[38:39], s[20:21]
	s_cbranch_execnz .LBB424_291
.LBB424_232:
	s_or_b64 exec, exec, s[38:39]
	s_and_saveexec_b64 s[38:39], s[18:19]
	s_cbranch_execnz .LBB424_292
.LBB424_233:
	s_or_b64 exec, exec, s[38:39]
	s_and_saveexec_b64 s[38:39], s[16:17]
	s_cbranch_execnz .LBB424_293
.LBB424_234:
	s_or_b64 exec, exec, s[38:39]
	s_and_saveexec_b64 s[38:39], s[14:15]
	s_cbranch_execnz .LBB424_294
.LBB424_235:
	s_or_b64 exec, exec, s[38:39]
	s_and_saveexec_b64 s[38:39], s[12:13]
	s_cbranch_execnz .LBB424_295
.LBB424_236:
	s_or_b64 exec, exec, s[38:39]
	s_and_saveexec_b64 s[38:39], s[10:11]
	s_cbranch_execnz .LBB424_296
.LBB424_237:
	s_or_b64 exec, exec, s[38:39]
	s_and_saveexec_b64 s[38:39], s[8:9]
	s_cbranch_execnz .LBB424_297
.LBB424_238:
	s_or_b64 exec, exec, s[38:39]
	s_and_saveexec_b64 s[38:39], s[6:7]
	s_cbranch_execnz .LBB424_298
.LBB424_239:
	s_or_b64 exec, exec, s[38:39]
	s_and_saveexec_b64 s[38:39], s[4:5]
	s_cbranch_execnz .LBB424_299
.LBB424_240:
	s_or_b64 exec, exec, s[38:39]
	s_and_saveexec_b64 s[38:39], s[2:3]
	s_cbranch_execz .LBB424_242
.LBB424_241:
	v_sub_u32_e32 v10, v22, v3
	v_mov_b32_e32 v11, 0
	v_lshlrev_b64 v[10:11], 1, v[10:11]
	v_add_co_u32_e32 v10, vcc, v15, v10
	v_addc_co_u32_e32 v11, vcc, v16, v11, vcc
	global_store_short v[10:11], v23, off
.LBB424_242:
	s_or_b64 exec, exec, s[38:39]
	s_and_b64 s[38:39], s[0:1], exec
	s_andn2_saveexec_b64 s[30:31], s[30:31]
	s_cbranch_execz .LBB424_163
.LBB424_243:
	v_sub_u32_e32 v10, v48, v3
	v_mov_b32_e32 v11, 0
	v_lshlrev_b64 v[12:13], 1, v[10:11]
	v_add_co_u32_e32 v12, vcc, v15, v12
	v_addc_co_u32_e32 v13, vcc, v16, v13, vcc
	v_sub_u32_e32 v10, v46, v3
	global_store_short v[12:13], v49, off
	v_lshlrev_b64 v[12:13], 1, v[10:11]
	v_add_co_u32_e32 v12, vcc, v15, v12
	v_addc_co_u32_e32 v13, vcc, v16, v13, vcc
	v_sub_u32_e32 v10, v44, v3
	global_store_short v[12:13], v47, off
	;; [unrolled: 5-line block ×12, first 2 shown]
	v_lshlrev_b64 v[12:13], 1, v[10:11]
	v_add_co_u32_e32 v12, vcc, v15, v12
	v_sub_u32_e32 v10, v22, v3
	v_addc_co_u32_e32 v13, vcc, v16, v13, vcc
	v_lshlrev_b64 v[10:11], 1, v[10:11]
	v_add_co_u32_e32 v10, vcc, v15, v10
	v_addc_co_u32_e32 v11, vcc, v16, v11, vcc
	s_or_b64 s[38:39], s[38:39], exec
	global_store_short v[12:13], v25, off
	global_store_short v[10:11], v23, off
	s_or_b64 exec, exec, s[30:31]
	s_and_b64 exec, exec, s[38:39]
	s_cbranch_execnz .LBB424_164
	s_branch .LBB424_165
.LBB424_244:
	s_and_saveexec_b64 s[38:39], s[28:29]
	s_cbranch_execnz .LBB424_300
; %bb.245:
	s_or_b64 exec, exec, s[38:39]
	s_and_saveexec_b64 s[28:29], s[26:27]
	s_cbranch_execnz .LBB424_301
.LBB424_246:
	s_or_b64 exec, exec, s[28:29]
	s_and_saveexec_b64 s[26:27], s[24:25]
	s_cbranch_execnz .LBB424_302
.LBB424_247:
	s_or_b64 exec, exec, s[26:27]
	s_and_saveexec_b64 s[24:25], s[22:23]
	s_cbranch_execnz .LBB424_303
.LBB424_248:
	s_or_b64 exec, exec, s[24:25]
	s_and_saveexec_b64 s[22:23], s[20:21]
	s_cbranch_execnz .LBB424_304
.LBB424_249:
	s_or_b64 exec, exec, s[22:23]
	s_and_saveexec_b64 s[20:21], s[18:19]
	s_cbranch_execnz .LBB424_305
.LBB424_250:
	s_or_b64 exec, exec, s[20:21]
	s_and_saveexec_b64 s[18:19], s[16:17]
	s_cbranch_execnz .LBB424_306
.LBB424_251:
	s_or_b64 exec, exec, s[18:19]
	s_and_saveexec_b64 s[16:17], s[14:15]
	s_cbranch_execnz .LBB424_307
.LBB424_252:
	s_or_b64 exec, exec, s[16:17]
	s_and_saveexec_b64 s[14:15], s[12:13]
	s_cbranch_execnz .LBB424_308
.LBB424_253:
	s_or_b64 exec, exec, s[14:15]
	s_and_saveexec_b64 s[12:13], s[10:11]
	s_cbranch_execnz .LBB424_309
.LBB424_254:
	s_or_b64 exec, exec, s[12:13]
	s_and_saveexec_b64 s[10:11], s[8:9]
	s_cbranch_execnz .LBB424_310
.LBB424_255:
	s_or_b64 exec, exec, s[10:11]
	s_and_saveexec_b64 s[8:9], s[6:7]
	s_cbranch_execnz .LBB424_311
.LBB424_256:
	s_or_b64 exec, exec, s[8:9]
	s_and_saveexec_b64 s[6:7], s[4:5]
	s_cbranch_execnz .LBB424_312
.LBB424_257:
	s_or_b64 exec, exec, s[6:7]
	s_and_saveexec_b64 s[4:5], s[2:3]
	s_cbranch_execz .LBB424_259
.LBB424_258:
	v_sub_u32_e32 v4, v22, v3
	v_lshlrev_b32_e32 v4, 1, v4
	ds_write_b16 v4, v23
.LBB424_259:
	s_or_b64 exec, exec, s[4:5]
	s_and_b64 s[38:39], s[0:1], exec
                                        ; implicit-def: $vgpr48_vgpr49
                                        ; implicit-def: $vgpr46_vgpr47
                                        ; implicit-def: $vgpr44_vgpr45
                                        ; implicit-def: $vgpr42_vgpr43
                                        ; implicit-def: $vgpr40_vgpr41
                                        ; implicit-def: $vgpr38_vgpr39
                                        ; implicit-def: $vgpr36_vgpr37
                                        ; implicit-def: $vgpr34_vgpr35
                                        ; implicit-def: $vgpr32_vgpr33
                                        ; implicit-def: $vgpr30_vgpr31
                                        ; implicit-def: $vgpr28_vgpr29
                                        ; implicit-def: $vgpr26_vgpr27
                                        ; implicit-def: $vgpr24_vgpr25
                                        ; implicit-def: $vgpr22_vgpr23
	s_andn2_saveexec_b64 s[0:1], s[34:35]
	s_cbranch_execz .LBB424_170
.LBB424_260:
	v_sub_u32_e32 v4, v48, v3
	v_lshlrev_b32_e32 v4, 1, v4
	ds_write_b16 v4, v49
	v_sub_u32_e32 v4, v46, v3
	v_lshlrev_b32_e32 v4, 1, v4
	ds_write_b16 v4, v47
	v_sub_u32_e32 v4, v44, v3
	v_lshlrev_b32_e32 v4, 1, v4
	ds_write_b16 v4, v45
	v_sub_u32_e32 v4, v42, v3
	v_lshlrev_b32_e32 v4, 1, v4
	ds_write_b16 v4, v43
	v_sub_u32_e32 v4, v40, v3
	v_lshlrev_b32_e32 v4, 1, v4
	ds_write_b16 v4, v41
	v_sub_u32_e32 v4, v38, v3
	v_lshlrev_b32_e32 v4, 1, v4
	ds_write_b16 v4, v39
	v_sub_u32_e32 v4, v36, v3
	v_lshlrev_b32_e32 v4, 1, v4
	ds_write_b16 v4, v37
	v_sub_u32_e32 v4, v34, v3
	v_lshlrev_b32_e32 v4, 1, v4
	ds_write_b16 v4, v35
	v_sub_u32_e32 v4, v32, v3
	v_lshlrev_b32_e32 v4, 1, v4
	ds_write_b16 v4, v33
	v_sub_u32_e32 v4, v30, v3
	v_lshlrev_b32_e32 v4, 1, v4
	ds_write_b16 v4, v31
	v_sub_u32_e32 v4, v28, v3
	v_lshlrev_b32_e32 v4, 1, v4
	ds_write_b16 v4, v29
	v_sub_u32_e32 v4, v26, v3
	v_lshlrev_b32_e32 v4, 1, v4
	ds_write_b16 v4, v27
	v_sub_u32_e32 v4, v24, v3
	v_lshlrev_b32_e32 v4, 1, v4
	ds_write_b16 v4, v25
	v_sub_u32_e32 v4, v22, v3
	v_lshlrev_b32_e32 v4, 1, v4
	s_or_b64 s[38:39], s[38:39], exec
	ds_write_b16 v4, v23
	s_or_b64 exec, exec, s[0:1]
	s_and_b64 exec, exec, s[38:39]
	s_cbranch_execnz .LBB424_171
	s_branch .LBB424_172
.LBB424_261:
	v_sub_u32_e32 v12, v48, v8
	v_mov_b32_e32 v13, 0
	v_lshlrev_b64 v[12:13], 1, v[12:13]
	v_add_co_u32_e32 v12, vcc, v7, v12
	v_addc_co_u32_e32 v13, vcc, v9, v13, vcc
	global_store_short v[12:13], v1, off
	s_or_b64 exec, exec, s[42:43]
	s_and_saveexec_b64 s[42:43], s[28:29]
	s_cbranch_execz .LBB424_195
.LBB424_262:
	v_sub_u32_e32 v12, v46, v8
	v_mov_b32_e32 v13, 0
	v_lshlrev_b64 v[12:13], 1, v[12:13]
	v_add_co_u32_e32 v12, vcc, v7, v12
	v_addc_co_u32_e32 v13, vcc, v9, v13, vcc
	global_store_short v[12:13], v2, off
	s_or_b64 exec, exec, s[42:43]
	s_and_saveexec_b64 s[42:43], s[26:27]
	s_cbranch_execz .LBB424_196
.LBB424_263:
	v_sub_u32_e32 v12, v44, v8
	v_mov_b32_e32 v13, 0
	v_lshlrev_b64 v[12:13], 1, v[12:13]
	v_add_co_u32_e32 v12, vcc, v7, v12
	v_addc_co_u32_e32 v13, vcc, v9, v13, vcc
	global_store_short_d16_hi v[12:13], v2, off
	s_or_b64 exec, exec, s[42:43]
	s_and_saveexec_b64 s[42:43], s[24:25]
	s_cbranch_execz .LBB424_197
.LBB424_264:
	v_sub_u32_e32 v12, v42, v8
	v_mov_b32_e32 v13, 0
	v_lshlrev_b64 v[12:13], 1, v[12:13]
	v_add_co_u32_e32 v12, vcc, v7, v12
	v_addc_co_u32_e32 v13, vcc, v9, v13, vcc
	global_store_short v[12:13], v3, off
	s_or_b64 exec, exec, s[42:43]
	s_and_saveexec_b64 s[42:43], s[22:23]
	s_cbranch_execz .LBB424_198
.LBB424_265:
	v_sub_u32_e32 v12, v40, v8
	v_mov_b32_e32 v13, 0
	v_lshlrev_b64 v[12:13], 1, v[12:13]
	v_add_co_u32_e32 v12, vcc, v7, v12
	v_addc_co_u32_e32 v13, vcc, v9, v13, vcc
	global_store_short_d16_hi v[12:13], v3, off
	s_or_b64 exec, exec, s[42:43]
	s_and_saveexec_b64 s[42:43], s[20:21]
	s_cbranch_execz .LBB424_199
.LBB424_266:
	v_sub_u32_e32 v12, v38, v8
	v_mov_b32_e32 v13, 0
	v_lshlrev_b64 v[12:13], 1, v[12:13]
	v_add_co_u32_e32 v12, vcc, v7, v12
	v_addc_co_u32_e32 v13, vcc, v9, v13, vcc
	global_store_short v[12:13], v4, off
	s_or_b64 exec, exec, s[42:43]
	s_and_saveexec_b64 s[42:43], s[18:19]
	s_cbranch_execz .LBB424_200
.LBB424_267:
	v_sub_u32_e32 v12, v36, v8
	v_mov_b32_e32 v13, 0
	v_lshlrev_b64 v[12:13], 1, v[12:13]
	v_add_co_u32_e32 v12, vcc, v7, v12
	v_addc_co_u32_e32 v13, vcc, v9, v13, vcc
	global_store_short_d16_hi v[12:13], v4, off
	s_or_b64 exec, exec, s[42:43]
	s_and_saveexec_b64 s[42:43], s[16:17]
	s_cbranch_execz .LBB424_201
.LBB424_268:
	v_sub_u32_e32 v12, v34, v8
	v_mov_b32_e32 v13, 0
	v_lshlrev_b64 v[12:13], 1, v[12:13]
	v_add_co_u32_e32 v12, vcc, v7, v12
	v_addc_co_u32_e32 v13, vcc, v9, v13, vcc
	global_store_short v[12:13], v5, off
	s_or_b64 exec, exec, s[42:43]
	s_and_saveexec_b64 s[42:43], s[14:15]
	s_cbranch_execz .LBB424_202
.LBB424_269:
	v_sub_u32_e32 v12, v32, v8
	v_mov_b32_e32 v13, 0
	v_lshlrev_b64 v[12:13], 1, v[12:13]
	v_add_co_u32_e32 v12, vcc, v7, v12
	v_addc_co_u32_e32 v13, vcc, v9, v13, vcc
	global_store_short_d16_hi v[12:13], v5, off
	s_or_b64 exec, exec, s[42:43]
	s_and_saveexec_b64 s[42:43], s[12:13]
	s_cbranch_execz .LBB424_203
.LBB424_270:
	v_sub_u32_e32 v12, v30, v8
	v_mov_b32_e32 v13, 0
	v_lshlrev_b64 v[12:13], 1, v[12:13]
	v_add_co_u32_e32 v12, vcc, v7, v12
	v_addc_co_u32_e32 v13, vcc, v9, v13, vcc
	global_store_short v[12:13], v14, off
	s_or_b64 exec, exec, s[42:43]
	s_and_saveexec_b64 s[42:43], s[10:11]
	s_cbranch_execz .LBB424_204
.LBB424_271:
	v_sub_u32_e32 v12, v28, v8
	v_mov_b32_e32 v13, 0
	v_lshlrev_b64 v[12:13], 1, v[12:13]
	v_add_co_u32_e32 v12, vcc, v7, v12
	v_addc_co_u32_e32 v13, vcc, v9, v13, vcc
	global_store_short_d16_hi v[12:13], v14, off
	s_or_b64 exec, exec, s[42:43]
	s_and_saveexec_b64 s[42:43], s[8:9]
	s_cbranch_execz .LBB424_205
.LBB424_272:
	v_sub_u32_e32 v12, v26, v8
	v_mov_b32_e32 v13, 0
	v_lshlrev_b64 v[12:13], 1, v[12:13]
	v_add_co_u32_e32 v12, vcc, v7, v12
	v_addc_co_u32_e32 v13, vcc, v9, v13, vcc
	global_store_short v[12:13], v15, off
	s_or_b64 exec, exec, s[42:43]
	s_and_saveexec_b64 s[42:43], s[6:7]
	s_cbranch_execz .LBB424_206
.LBB424_273:
	v_sub_u32_e32 v12, v24, v8
	v_mov_b32_e32 v13, 0
	v_lshlrev_b64 v[12:13], 1, v[12:13]
	v_add_co_u32_e32 v12, vcc, v7, v12
	v_addc_co_u32_e32 v13, vcc, v9, v13, vcc
	global_store_short_d16_hi v[12:13], v15, off
	s_or_b64 exec, exec, s[42:43]
	s_and_saveexec_b64 s[42:43], s[4:5]
	s_cbranch_execnz .LBB424_207
	s_branch .LBB424_208
.LBB424_274:
	v_sub_u32_e32 v10, v48, v8
	v_lshlrev_b32_e32 v10, 1, v10
	ds_write_b16 v10, v1
	s_or_b64 exec, exec, s[42:43]
	s_and_saveexec_b64 s[30:31], s[28:29]
	s_cbranch_execz .LBB424_212
.LBB424_275:
	v_sub_u32_e32 v1, v46, v8
	v_lshlrev_b32_e32 v1, 1, v1
	ds_write_b16 v1, v2
	s_or_b64 exec, exec, s[30:31]
	s_and_saveexec_b64 s[28:29], s[26:27]
	s_cbranch_execz .LBB424_213
.LBB424_276:
	v_sub_u32_e32 v1, v44, v8
	v_lshlrev_b32_e32 v1, 1, v1
	ds_write_b16_d16_hi v1, v2
	s_or_b64 exec, exec, s[28:29]
	s_and_saveexec_b64 s[26:27], s[24:25]
	s_cbranch_execz .LBB424_214
.LBB424_277:
	v_sub_u32_e32 v1, v42, v8
	v_lshlrev_b32_e32 v1, 1, v1
	ds_write_b16 v1, v3
	s_or_b64 exec, exec, s[26:27]
	s_and_saveexec_b64 s[24:25], s[22:23]
	s_cbranch_execz .LBB424_215
.LBB424_278:
	v_sub_u32_e32 v1, v40, v8
	v_lshlrev_b32_e32 v1, 1, v1
	ds_write_b16_d16_hi v1, v3
	s_or_b64 exec, exec, s[24:25]
	s_and_saveexec_b64 s[22:23], s[20:21]
	s_cbranch_execz .LBB424_216
.LBB424_279:
	v_sub_u32_e32 v1, v38, v8
	v_lshlrev_b32_e32 v1, 1, v1
	ds_write_b16 v1, v4
	s_or_b64 exec, exec, s[22:23]
	s_and_saveexec_b64 s[20:21], s[18:19]
	s_cbranch_execz .LBB424_217
.LBB424_280:
	v_sub_u32_e32 v1, v36, v8
	v_lshlrev_b32_e32 v1, 1, v1
	ds_write_b16_d16_hi v1, v4
	s_or_b64 exec, exec, s[20:21]
	s_and_saveexec_b64 s[18:19], s[16:17]
	s_cbranch_execz .LBB424_218
.LBB424_281:
	v_sub_u32_e32 v1, v34, v8
	v_lshlrev_b32_e32 v1, 1, v1
	ds_write_b16 v1, v5
	s_or_b64 exec, exec, s[18:19]
	s_and_saveexec_b64 s[16:17], s[14:15]
	s_cbranch_execz .LBB424_219
.LBB424_282:
	v_sub_u32_e32 v1, v32, v8
	v_lshlrev_b32_e32 v1, 1, v1
	ds_write_b16_d16_hi v1, v5
	s_or_b64 exec, exec, s[16:17]
	s_and_saveexec_b64 s[14:15], s[12:13]
	s_cbranch_execz .LBB424_220
.LBB424_283:
	v_sub_u32_e32 v1, v30, v8
	v_lshlrev_b32_e32 v1, 1, v1
	ds_write_b16 v1, v14
	s_or_b64 exec, exec, s[14:15]
	s_and_saveexec_b64 s[12:13], s[10:11]
	s_cbranch_execz .LBB424_221
.LBB424_284:
	v_sub_u32_e32 v1, v28, v8
	v_lshlrev_b32_e32 v1, 1, v1
	ds_write_b16_d16_hi v1, v14
	s_or_b64 exec, exec, s[12:13]
	s_and_saveexec_b64 s[10:11], s[8:9]
	s_cbranch_execz .LBB424_222
.LBB424_285:
	v_sub_u32_e32 v1, v26, v8
	v_lshlrev_b32_e32 v1, 1, v1
	ds_write_b16 v1, v15
	s_or_b64 exec, exec, s[10:11]
	s_and_saveexec_b64 s[8:9], s[6:7]
	s_cbranch_execz .LBB424_223
.LBB424_286:
	v_sub_u32_e32 v1, v24, v8
	v_lshlrev_b32_e32 v1, 1, v1
	ds_write_b16_d16_hi v1, v15
	s_or_b64 exec, exec, s[8:9]
	s_and_saveexec_b64 s[6:7], s[4:5]
	s_cbranch_execnz .LBB424_224
	s_branch .LBB424_225
.LBB424_287:
	v_sub_u32_e32 v10, v48, v3
	v_mov_b32_e32 v11, 0
	v_lshlrev_b64 v[10:11], 1, v[10:11]
	v_add_co_u32_e32 v10, vcc, v15, v10
	v_addc_co_u32_e32 v11, vcc, v16, v11, vcc
	global_store_short v[10:11], v49, off
	s_or_b64 exec, exec, s[38:39]
	s_and_saveexec_b64 s[38:39], s[26:27]
	s_cbranch_execz .LBB424_229
.LBB424_288:
	v_sub_u32_e32 v10, v46, v3
	v_mov_b32_e32 v11, 0
	v_lshlrev_b64 v[10:11], 1, v[10:11]
	v_add_co_u32_e32 v10, vcc, v15, v10
	v_addc_co_u32_e32 v11, vcc, v16, v11, vcc
	global_store_short v[10:11], v47, off
	s_or_b64 exec, exec, s[38:39]
	s_and_saveexec_b64 s[38:39], s[24:25]
	s_cbranch_execz .LBB424_230
.LBB424_289:
	v_sub_u32_e32 v10, v44, v3
	v_mov_b32_e32 v11, 0
	v_lshlrev_b64 v[10:11], 1, v[10:11]
	v_add_co_u32_e32 v10, vcc, v15, v10
	v_addc_co_u32_e32 v11, vcc, v16, v11, vcc
	global_store_short v[10:11], v45, off
	s_or_b64 exec, exec, s[38:39]
	s_and_saveexec_b64 s[38:39], s[22:23]
	s_cbranch_execz .LBB424_231
.LBB424_290:
	v_sub_u32_e32 v10, v42, v3
	v_mov_b32_e32 v11, 0
	v_lshlrev_b64 v[10:11], 1, v[10:11]
	v_add_co_u32_e32 v10, vcc, v15, v10
	v_addc_co_u32_e32 v11, vcc, v16, v11, vcc
	global_store_short v[10:11], v43, off
	s_or_b64 exec, exec, s[38:39]
	s_and_saveexec_b64 s[38:39], s[20:21]
	s_cbranch_execz .LBB424_232
.LBB424_291:
	v_sub_u32_e32 v10, v40, v3
	v_mov_b32_e32 v11, 0
	v_lshlrev_b64 v[10:11], 1, v[10:11]
	v_add_co_u32_e32 v10, vcc, v15, v10
	v_addc_co_u32_e32 v11, vcc, v16, v11, vcc
	global_store_short v[10:11], v41, off
	s_or_b64 exec, exec, s[38:39]
	s_and_saveexec_b64 s[38:39], s[18:19]
	s_cbranch_execz .LBB424_233
.LBB424_292:
	v_sub_u32_e32 v10, v38, v3
	v_mov_b32_e32 v11, 0
	v_lshlrev_b64 v[10:11], 1, v[10:11]
	v_add_co_u32_e32 v10, vcc, v15, v10
	v_addc_co_u32_e32 v11, vcc, v16, v11, vcc
	global_store_short v[10:11], v39, off
	s_or_b64 exec, exec, s[38:39]
	s_and_saveexec_b64 s[38:39], s[16:17]
	s_cbranch_execz .LBB424_234
.LBB424_293:
	v_sub_u32_e32 v10, v36, v3
	v_mov_b32_e32 v11, 0
	v_lshlrev_b64 v[10:11], 1, v[10:11]
	v_add_co_u32_e32 v10, vcc, v15, v10
	v_addc_co_u32_e32 v11, vcc, v16, v11, vcc
	global_store_short v[10:11], v37, off
	s_or_b64 exec, exec, s[38:39]
	s_and_saveexec_b64 s[38:39], s[14:15]
	s_cbranch_execz .LBB424_235
.LBB424_294:
	v_sub_u32_e32 v10, v34, v3
	v_mov_b32_e32 v11, 0
	v_lshlrev_b64 v[10:11], 1, v[10:11]
	v_add_co_u32_e32 v10, vcc, v15, v10
	v_addc_co_u32_e32 v11, vcc, v16, v11, vcc
	global_store_short v[10:11], v35, off
	s_or_b64 exec, exec, s[38:39]
	s_and_saveexec_b64 s[38:39], s[12:13]
	s_cbranch_execz .LBB424_236
.LBB424_295:
	v_sub_u32_e32 v10, v32, v3
	v_mov_b32_e32 v11, 0
	v_lshlrev_b64 v[10:11], 1, v[10:11]
	v_add_co_u32_e32 v10, vcc, v15, v10
	v_addc_co_u32_e32 v11, vcc, v16, v11, vcc
	global_store_short v[10:11], v33, off
	s_or_b64 exec, exec, s[38:39]
	s_and_saveexec_b64 s[38:39], s[10:11]
	s_cbranch_execz .LBB424_237
.LBB424_296:
	v_sub_u32_e32 v10, v30, v3
	v_mov_b32_e32 v11, 0
	v_lshlrev_b64 v[10:11], 1, v[10:11]
	v_add_co_u32_e32 v10, vcc, v15, v10
	v_addc_co_u32_e32 v11, vcc, v16, v11, vcc
	global_store_short v[10:11], v31, off
	s_or_b64 exec, exec, s[38:39]
	s_and_saveexec_b64 s[38:39], s[8:9]
	s_cbranch_execz .LBB424_238
.LBB424_297:
	v_sub_u32_e32 v10, v28, v3
	v_mov_b32_e32 v11, 0
	v_lshlrev_b64 v[10:11], 1, v[10:11]
	v_add_co_u32_e32 v10, vcc, v15, v10
	v_addc_co_u32_e32 v11, vcc, v16, v11, vcc
	global_store_short v[10:11], v29, off
	s_or_b64 exec, exec, s[38:39]
	s_and_saveexec_b64 s[38:39], s[6:7]
	s_cbranch_execz .LBB424_239
.LBB424_298:
	v_sub_u32_e32 v10, v26, v3
	v_mov_b32_e32 v11, 0
	v_lshlrev_b64 v[10:11], 1, v[10:11]
	v_add_co_u32_e32 v10, vcc, v15, v10
	v_addc_co_u32_e32 v11, vcc, v16, v11, vcc
	global_store_short v[10:11], v27, off
	s_or_b64 exec, exec, s[38:39]
	s_and_saveexec_b64 s[38:39], s[4:5]
	s_cbranch_execz .LBB424_240
.LBB424_299:
	v_sub_u32_e32 v10, v24, v3
	v_mov_b32_e32 v11, 0
	v_lshlrev_b64 v[10:11], 1, v[10:11]
	v_add_co_u32_e32 v10, vcc, v15, v10
	v_addc_co_u32_e32 v11, vcc, v16, v11, vcc
	global_store_short v[10:11], v25, off
	s_or_b64 exec, exec, s[38:39]
	s_and_saveexec_b64 s[38:39], s[2:3]
	s_cbranch_execnz .LBB424_241
	s_branch .LBB424_242
.LBB424_300:
	v_sub_u32_e32 v4, v48, v3
	v_lshlrev_b32_e32 v4, 1, v4
	ds_write_b16 v4, v49
	s_or_b64 exec, exec, s[38:39]
	s_and_saveexec_b64 s[28:29], s[26:27]
	s_cbranch_execz .LBB424_246
.LBB424_301:
	v_sub_u32_e32 v4, v46, v3
	v_lshlrev_b32_e32 v4, 1, v4
	ds_write_b16 v4, v47
	s_or_b64 exec, exec, s[28:29]
	s_and_saveexec_b64 s[26:27], s[24:25]
	s_cbranch_execz .LBB424_247
.LBB424_302:
	v_sub_u32_e32 v4, v44, v3
	v_lshlrev_b32_e32 v4, 1, v4
	ds_write_b16 v4, v45
	s_or_b64 exec, exec, s[26:27]
	s_and_saveexec_b64 s[24:25], s[22:23]
	s_cbranch_execz .LBB424_248
.LBB424_303:
	v_sub_u32_e32 v4, v42, v3
	v_lshlrev_b32_e32 v4, 1, v4
	ds_write_b16 v4, v43
	s_or_b64 exec, exec, s[24:25]
	s_and_saveexec_b64 s[22:23], s[20:21]
	s_cbranch_execz .LBB424_249
.LBB424_304:
	v_sub_u32_e32 v4, v40, v3
	v_lshlrev_b32_e32 v4, 1, v4
	ds_write_b16 v4, v41
	s_or_b64 exec, exec, s[22:23]
	s_and_saveexec_b64 s[20:21], s[18:19]
	s_cbranch_execz .LBB424_250
.LBB424_305:
	v_sub_u32_e32 v4, v38, v3
	v_lshlrev_b32_e32 v4, 1, v4
	ds_write_b16 v4, v39
	s_or_b64 exec, exec, s[20:21]
	s_and_saveexec_b64 s[18:19], s[16:17]
	s_cbranch_execz .LBB424_251
.LBB424_306:
	v_sub_u32_e32 v4, v36, v3
	v_lshlrev_b32_e32 v4, 1, v4
	ds_write_b16 v4, v37
	s_or_b64 exec, exec, s[18:19]
	s_and_saveexec_b64 s[16:17], s[14:15]
	s_cbranch_execz .LBB424_252
.LBB424_307:
	v_sub_u32_e32 v4, v34, v3
	v_lshlrev_b32_e32 v4, 1, v4
	ds_write_b16 v4, v35
	s_or_b64 exec, exec, s[16:17]
	s_and_saveexec_b64 s[14:15], s[12:13]
	s_cbranch_execz .LBB424_253
.LBB424_308:
	v_sub_u32_e32 v4, v32, v3
	v_lshlrev_b32_e32 v4, 1, v4
	ds_write_b16 v4, v33
	s_or_b64 exec, exec, s[14:15]
	s_and_saveexec_b64 s[12:13], s[10:11]
	s_cbranch_execz .LBB424_254
.LBB424_309:
	v_sub_u32_e32 v4, v30, v3
	v_lshlrev_b32_e32 v4, 1, v4
	ds_write_b16 v4, v31
	s_or_b64 exec, exec, s[12:13]
	s_and_saveexec_b64 s[10:11], s[8:9]
	s_cbranch_execz .LBB424_255
.LBB424_310:
	v_sub_u32_e32 v4, v28, v3
	v_lshlrev_b32_e32 v4, 1, v4
	ds_write_b16 v4, v29
	s_or_b64 exec, exec, s[10:11]
	s_and_saveexec_b64 s[8:9], s[6:7]
	s_cbranch_execz .LBB424_256
.LBB424_311:
	v_sub_u32_e32 v4, v26, v3
	v_lshlrev_b32_e32 v4, 1, v4
	ds_write_b16 v4, v27
	s_or_b64 exec, exec, s[8:9]
	s_and_saveexec_b64 s[6:7], s[4:5]
	s_cbranch_execz .LBB424_257
.LBB424_312:
	v_sub_u32_e32 v4, v24, v3
	v_lshlrev_b32_e32 v4, 1, v4
	ds_write_b16 v4, v25
	s_or_b64 exec, exec, s[6:7]
	s_and_saveexec_b64 s[4:5], s[2:3]
	s_cbranch_execnz .LBB424_258
	s_branch .LBB424_259
	.section	.rodata,"a",@progbits
	.p2align	6, 0x0
	.amdhsa_kernel _ZN7rocprim17ROCPRIM_400000_NS6detail17trampoline_kernelINS0_14default_configENS1_29reduce_by_key_config_selectorIttN6thrust23THRUST_200600_302600_NS4plusItEEEEZZNS1_33reduce_by_key_impl_wrapped_configILNS1_25lookback_scan_determinismE0ES3_S9_NS6_6detail15normal_iteratorINS6_10device_ptrItEEEESG_SG_SG_PmS8_NS6_8equal_toItEEEE10hipError_tPvRmT2_T3_mT4_T5_T6_T7_T8_P12ihipStream_tbENKUlT_T0_E_clISt17integral_constantIbLb0EES10_IbLb1EEEEDaSW_SX_EUlSW_E_NS1_11comp_targetILNS1_3genE4ELNS1_11target_archE910ELNS1_3gpuE8ELNS1_3repE0EEENS1_30default_config_static_selectorELNS0_4arch9wavefront6targetE1EEEvT1_
		.amdhsa_group_segment_fixed_size 7680
		.amdhsa_private_segment_fixed_size 0
		.amdhsa_kernarg_size 120
		.amdhsa_user_sgpr_count 6
		.amdhsa_user_sgpr_private_segment_buffer 1
		.amdhsa_user_sgpr_dispatch_ptr 0
		.amdhsa_user_sgpr_queue_ptr 0
		.amdhsa_user_sgpr_kernarg_segment_ptr 1
		.amdhsa_user_sgpr_dispatch_id 0
		.amdhsa_user_sgpr_flat_scratch_init 0
		.amdhsa_user_sgpr_kernarg_preload_length 0
		.amdhsa_user_sgpr_kernarg_preload_offset 0
		.amdhsa_user_sgpr_private_segment_size 0
		.amdhsa_uses_dynamic_stack 0
		.amdhsa_system_sgpr_private_segment_wavefront_offset 0
		.amdhsa_system_sgpr_workgroup_id_x 1
		.amdhsa_system_sgpr_workgroup_id_y 0
		.amdhsa_system_sgpr_workgroup_id_z 0
		.amdhsa_system_sgpr_workgroup_info 0
		.amdhsa_system_vgpr_workitem_id 0
		.amdhsa_next_free_vgpr 111
		.amdhsa_next_free_sgpr 66
		.amdhsa_accum_offset 112
		.amdhsa_reserve_vcc 1
		.amdhsa_reserve_flat_scratch 0
		.amdhsa_float_round_mode_32 0
		.amdhsa_float_round_mode_16_64 0
		.amdhsa_float_denorm_mode_32 3
		.amdhsa_float_denorm_mode_16_64 3
		.amdhsa_dx10_clamp 1
		.amdhsa_ieee_mode 1
		.amdhsa_fp16_overflow 0
		.amdhsa_tg_split 0
		.amdhsa_exception_fp_ieee_invalid_op 0
		.amdhsa_exception_fp_denorm_src 0
		.amdhsa_exception_fp_ieee_div_zero 0
		.amdhsa_exception_fp_ieee_overflow 0
		.amdhsa_exception_fp_ieee_underflow 0
		.amdhsa_exception_fp_ieee_inexact 0
		.amdhsa_exception_int_div_zero 0
	.end_amdhsa_kernel
	.section	.text._ZN7rocprim17ROCPRIM_400000_NS6detail17trampoline_kernelINS0_14default_configENS1_29reduce_by_key_config_selectorIttN6thrust23THRUST_200600_302600_NS4plusItEEEEZZNS1_33reduce_by_key_impl_wrapped_configILNS1_25lookback_scan_determinismE0ES3_S9_NS6_6detail15normal_iteratorINS6_10device_ptrItEEEESG_SG_SG_PmS8_NS6_8equal_toItEEEE10hipError_tPvRmT2_T3_mT4_T5_T6_T7_T8_P12ihipStream_tbENKUlT_T0_E_clISt17integral_constantIbLb0EES10_IbLb1EEEEDaSW_SX_EUlSW_E_NS1_11comp_targetILNS1_3genE4ELNS1_11target_archE910ELNS1_3gpuE8ELNS1_3repE0EEENS1_30default_config_static_selectorELNS0_4arch9wavefront6targetE1EEEvT1_,"axG",@progbits,_ZN7rocprim17ROCPRIM_400000_NS6detail17trampoline_kernelINS0_14default_configENS1_29reduce_by_key_config_selectorIttN6thrust23THRUST_200600_302600_NS4plusItEEEEZZNS1_33reduce_by_key_impl_wrapped_configILNS1_25lookback_scan_determinismE0ES3_S9_NS6_6detail15normal_iteratorINS6_10device_ptrItEEEESG_SG_SG_PmS8_NS6_8equal_toItEEEE10hipError_tPvRmT2_T3_mT4_T5_T6_T7_T8_P12ihipStream_tbENKUlT_T0_E_clISt17integral_constantIbLb0EES10_IbLb1EEEEDaSW_SX_EUlSW_E_NS1_11comp_targetILNS1_3genE4ELNS1_11target_archE910ELNS1_3gpuE8ELNS1_3repE0EEENS1_30default_config_static_selectorELNS0_4arch9wavefront6targetE1EEEvT1_,comdat
.Lfunc_end424:
	.size	_ZN7rocprim17ROCPRIM_400000_NS6detail17trampoline_kernelINS0_14default_configENS1_29reduce_by_key_config_selectorIttN6thrust23THRUST_200600_302600_NS4plusItEEEEZZNS1_33reduce_by_key_impl_wrapped_configILNS1_25lookback_scan_determinismE0ES3_S9_NS6_6detail15normal_iteratorINS6_10device_ptrItEEEESG_SG_SG_PmS8_NS6_8equal_toItEEEE10hipError_tPvRmT2_T3_mT4_T5_T6_T7_T8_P12ihipStream_tbENKUlT_T0_E_clISt17integral_constantIbLb0EES10_IbLb1EEEEDaSW_SX_EUlSW_E_NS1_11comp_targetILNS1_3genE4ELNS1_11target_archE910ELNS1_3gpuE8ELNS1_3repE0EEENS1_30default_config_static_selectorELNS0_4arch9wavefront6targetE1EEEvT1_, .Lfunc_end424-_ZN7rocprim17ROCPRIM_400000_NS6detail17trampoline_kernelINS0_14default_configENS1_29reduce_by_key_config_selectorIttN6thrust23THRUST_200600_302600_NS4plusItEEEEZZNS1_33reduce_by_key_impl_wrapped_configILNS1_25lookback_scan_determinismE0ES3_S9_NS6_6detail15normal_iteratorINS6_10device_ptrItEEEESG_SG_SG_PmS8_NS6_8equal_toItEEEE10hipError_tPvRmT2_T3_mT4_T5_T6_T7_T8_P12ihipStream_tbENKUlT_T0_E_clISt17integral_constantIbLb0EES10_IbLb1EEEEDaSW_SX_EUlSW_E_NS1_11comp_targetILNS1_3genE4ELNS1_11target_archE910ELNS1_3gpuE8ELNS1_3repE0EEENS1_30default_config_static_selectorELNS0_4arch9wavefront6targetE1EEEvT1_
                                        ; -- End function
	.section	.AMDGPU.csdata,"",@progbits
; Kernel info:
; codeLenInByte = 17924
; NumSgprs: 70
; NumVgprs: 111
; NumAgprs: 0
; TotalNumVgprs: 111
; ScratchSize: 0
; MemoryBound: 0
; FloatMode: 240
; IeeeMode: 1
; LDSByteSize: 7680 bytes/workgroup (compile time only)
; SGPRBlocks: 8
; VGPRBlocks: 13
; NumSGPRsForWavesPerEU: 70
; NumVGPRsForWavesPerEU: 111
; AccumOffset: 112
; Occupancy: 4
; WaveLimiterHint : 1
; COMPUTE_PGM_RSRC2:SCRATCH_EN: 0
; COMPUTE_PGM_RSRC2:USER_SGPR: 6
; COMPUTE_PGM_RSRC2:TRAP_HANDLER: 0
; COMPUTE_PGM_RSRC2:TGID_X_EN: 1
; COMPUTE_PGM_RSRC2:TGID_Y_EN: 0
; COMPUTE_PGM_RSRC2:TGID_Z_EN: 0
; COMPUTE_PGM_RSRC2:TIDIG_COMP_CNT: 0
; COMPUTE_PGM_RSRC3_GFX90A:ACCUM_OFFSET: 27
; COMPUTE_PGM_RSRC3_GFX90A:TG_SPLIT: 0
	.section	.text._ZN7rocprim17ROCPRIM_400000_NS6detail17trampoline_kernelINS0_14default_configENS1_29reduce_by_key_config_selectorIttN6thrust23THRUST_200600_302600_NS4plusItEEEEZZNS1_33reduce_by_key_impl_wrapped_configILNS1_25lookback_scan_determinismE0ES3_S9_NS6_6detail15normal_iteratorINS6_10device_ptrItEEEESG_SG_SG_PmS8_NS6_8equal_toItEEEE10hipError_tPvRmT2_T3_mT4_T5_T6_T7_T8_P12ihipStream_tbENKUlT_T0_E_clISt17integral_constantIbLb0EES10_IbLb1EEEEDaSW_SX_EUlSW_E_NS1_11comp_targetILNS1_3genE3ELNS1_11target_archE908ELNS1_3gpuE7ELNS1_3repE0EEENS1_30default_config_static_selectorELNS0_4arch9wavefront6targetE1EEEvT1_,"axG",@progbits,_ZN7rocprim17ROCPRIM_400000_NS6detail17trampoline_kernelINS0_14default_configENS1_29reduce_by_key_config_selectorIttN6thrust23THRUST_200600_302600_NS4plusItEEEEZZNS1_33reduce_by_key_impl_wrapped_configILNS1_25lookback_scan_determinismE0ES3_S9_NS6_6detail15normal_iteratorINS6_10device_ptrItEEEESG_SG_SG_PmS8_NS6_8equal_toItEEEE10hipError_tPvRmT2_T3_mT4_T5_T6_T7_T8_P12ihipStream_tbENKUlT_T0_E_clISt17integral_constantIbLb0EES10_IbLb1EEEEDaSW_SX_EUlSW_E_NS1_11comp_targetILNS1_3genE3ELNS1_11target_archE908ELNS1_3gpuE7ELNS1_3repE0EEENS1_30default_config_static_selectorELNS0_4arch9wavefront6targetE1EEEvT1_,comdat
	.protected	_ZN7rocprim17ROCPRIM_400000_NS6detail17trampoline_kernelINS0_14default_configENS1_29reduce_by_key_config_selectorIttN6thrust23THRUST_200600_302600_NS4plusItEEEEZZNS1_33reduce_by_key_impl_wrapped_configILNS1_25lookback_scan_determinismE0ES3_S9_NS6_6detail15normal_iteratorINS6_10device_ptrItEEEESG_SG_SG_PmS8_NS6_8equal_toItEEEE10hipError_tPvRmT2_T3_mT4_T5_T6_T7_T8_P12ihipStream_tbENKUlT_T0_E_clISt17integral_constantIbLb0EES10_IbLb1EEEEDaSW_SX_EUlSW_E_NS1_11comp_targetILNS1_3genE3ELNS1_11target_archE908ELNS1_3gpuE7ELNS1_3repE0EEENS1_30default_config_static_selectorELNS0_4arch9wavefront6targetE1EEEvT1_ ; -- Begin function _ZN7rocprim17ROCPRIM_400000_NS6detail17trampoline_kernelINS0_14default_configENS1_29reduce_by_key_config_selectorIttN6thrust23THRUST_200600_302600_NS4plusItEEEEZZNS1_33reduce_by_key_impl_wrapped_configILNS1_25lookback_scan_determinismE0ES3_S9_NS6_6detail15normal_iteratorINS6_10device_ptrItEEEESG_SG_SG_PmS8_NS6_8equal_toItEEEE10hipError_tPvRmT2_T3_mT4_T5_T6_T7_T8_P12ihipStream_tbENKUlT_T0_E_clISt17integral_constantIbLb0EES10_IbLb1EEEEDaSW_SX_EUlSW_E_NS1_11comp_targetILNS1_3genE3ELNS1_11target_archE908ELNS1_3gpuE7ELNS1_3repE0EEENS1_30default_config_static_selectorELNS0_4arch9wavefront6targetE1EEEvT1_
	.globl	_ZN7rocprim17ROCPRIM_400000_NS6detail17trampoline_kernelINS0_14default_configENS1_29reduce_by_key_config_selectorIttN6thrust23THRUST_200600_302600_NS4plusItEEEEZZNS1_33reduce_by_key_impl_wrapped_configILNS1_25lookback_scan_determinismE0ES3_S9_NS6_6detail15normal_iteratorINS6_10device_ptrItEEEESG_SG_SG_PmS8_NS6_8equal_toItEEEE10hipError_tPvRmT2_T3_mT4_T5_T6_T7_T8_P12ihipStream_tbENKUlT_T0_E_clISt17integral_constantIbLb0EES10_IbLb1EEEEDaSW_SX_EUlSW_E_NS1_11comp_targetILNS1_3genE3ELNS1_11target_archE908ELNS1_3gpuE7ELNS1_3repE0EEENS1_30default_config_static_selectorELNS0_4arch9wavefront6targetE1EEEvT1_
	.p2align	8
	.type	_ZN7rocprim17ROCPRIM_400000_NS6detail17trampoline_kernelINS0_14default_configENS1_29reduce_by_key_config_selectorIttN6thrust23THRUST_200600_302600_NS4plusItEEEEZZNS1_33reduce_by_key_impl_wrapped_configILNS1_25lookback_scan_determinismE0ES3_S9_NS6_6detail15normal_iteratorINS6_10device_ptrItEEEESG_SG_SG_PmS8_NS6_8equal_toItEEEE10hipError_tPvRmT2_T3_mT4_T5_T6_T7_T8_P12ihipStream_tbENKUlT_T0_E_clISt17integral_constantIbLb0EES10_IbLb1EEEEDaSW_SX_EUlSW_E_NS1_11comp_targetILNS1_3genE3ELNS1_11target_archE908ELNS1_3gpuE7ELNS1_3repE0EEENS1_30default_config_static_selectorELNS0_4arch9wavefront6targetE1EEEvT1_,@function
_ZN7rocprim17ROCPRIM_400000_NS6detail17trampoline_kernelINS0_14default_configENS1_29reduce_by_key_config_selectorIttN6thrust23THRUST_200600_302600_NS4plusItEEEEZZNS1_33reduce_by_key_impl_wrapped_configILNS1_25lookback_scan_determinismE0ES3_S9_NS6_6detail15normal_iteratorINS6_10device_ptrItEEEESG_SG_SG_PmS8_NS6_8equal_toItEEEE10hipError_tPvRmT2_T3_mT4_T5_T6_T7_T8_P12ihipStream_tbENKUlT_T0_E_clISt17integral_constantIbLb0EES10_IbLb1EEEEDaSW_SX_EUlSW_E_NS1_11comp_targetILNS1_3genE3ELNS1_11target_archE908ELNS1_3gpuE7ELNS1_3repE0EEENS1_30default_config_static_selectorELNS0_4arch9wavefront6targetE1EEEvT1_: ; @_ZN7rocprim17ROCPRIM_400000_NS6detail17trampoline_kernelINS0_14default_configENS1_29reduce_by_key_config_selectorIttN6thrust23THRUST_200600_302600_NS4plusItEEEEZZNS1_33reduce_by_key_impl_wrapped_configILNS1_25lookback_scan_determinismE0ES3_S9_NS6_6detail15normal_iteratorINS6_10device_ptrItEEEESG_SG_SG_PmS8_NS6_8equal_toItEEEE10hipError_tPvRmT2_T3_mT4_T5_T6_T7_T8_P12ihipStream_tbENKUlT_T0_E_clISt17integral_constantIbLb0EES10_IbLb1EEEEDaSW_SX_EUlSW_E_NS1_11comp_targetILNS1_3genE3ELNS1_11target_archE908ELNS1_3gpuE7ELNS1_3repE0EEENS1_30default_config_static_selectorELNS0_4arch9wavefront6targetE1EEEvT1_
; %bb.0:
	.section	.rodata,"a",@progbits
	.p2align	6, 0x0
	.amdhsa_kernel _ZN7rocprim17ROCPRIM_400000_NS6detail17trampoline_kernelINS0_14default_configENS1_29reduce_by_key_config_selectorIttN6thrust23THRUST_200600_302600_NS4plusItEEEEZZNS1_33reduce_by_key_impl_wrapped_configILNS1_25lookback_scan_determinismE0ES3_S9_NS6_6detail15normal_iteratorINS6_10device_ptrItEEEESG_SG_SG_PmS8_NS6_8equal_toItEEEE10hipError_tPvRmT2_T3_mT4_T5_T6_T7_T8_P12ihipStream_tbENKUlT_T0_E_clISt17integral_constantIbLb0EES10_IbLb1EEEEDaSW_SX_EUlSW_E_NS1_11comp_targetILNS1_3genE3ELNS1_11target_archE908ELNS1_3gpuE7ELNS1_3repE0EEENS1_30default_config_static_selectorELNS0_4arch9wavefront6targetE1EEEvT1_
		.amdhsa_group_segment_fixed_size 0
		.amdhsa_private_segment_fixed_size 0
		.amdhsa_kernarg_size 120
		.amdhsa_user_sgpr_count 6
		.amdhsa_user_sgpr_private_segment_buffer 1
		.amdhsa_user_sgpr_dispatch_ptr 0
		.amdhsa_user_sgpr_queue_ptr 0
		.amdhsa_user_sgpr_kernarg_segment_ptr 1
		.amdhsa_user_sgpr_dispatch_id 0
		.amdhsa_user_sgpr_flat_scratch_init 0
		.amdhsa_user_sgpr_kernarg_preload_length 0
		.amdhsa_user_sgpr_kernarg_preload_offset 0
		.amdhsa_user_sgpr_private_segment_size 0
		.amdhsa_uses_dynamic_stack 0
		.amdhsa_system_sgpr_private_segment_wavefront_offset 0
		.amdhsa_system_sgpr_workgroup_id_x 1
		.amdhsa_system_sgpr_workgroup_id_y 0
		.amdhsa_system_sgpr_workgroup_id_z 0
		.amdhsa_system_sgpr_workgroup_info 0
		.amdhsa_system_vgpr_workitem_id 0
		.amdhsa_next_free_vgpr 1
		.amdhsa_next_free_sgpr 0
		.amdhsa_accum_offset 4
		.amdhsa_reserve_vcc 0
		.amdhsa_reserve_flat_scratch 0
		.amdhsa_float_round_mode_32 0
		.amdhsa_float_round_mode_16_64 0
		.amdhsa_float_denorm_mode_32 3
		.amdhsa_float_denorm_mode_16_64 3
		.amdhsa_dx10_clamp 1
		.amdhsa_ieee_mode 1
		.amdhsa_fp16_overflow 0
		.amdhsa_tg_split 0
		.amdhsa_exception_fp_ieee_invalid_op 0
		.amdhsa_exception_fp_denorm_src 0
		.amdhsa_exception_fp_ieee_div_zero 0
		.amdhsa_exception_fp_ieee_overflow 0
		.amdhsa_exception_fp_ieee_underflow 0
		.amdhsa_exception_fp_ieee_inexact 0
		.amdhsa_exception_int_div_zero 0
	.end_amdhsa_kernel
	.section	.text._ZN7rocprim17ROCPRIM_400000_NS6detail17trampoline_kernelINS0_14default_configENS1_29reduce_by_key_config_selectorIttN6thrust23THRUST_200600_302600_NS4plusItEEEEZZNS1_33reduce_by_key_impl_wrapped_configILNS1_25lookback_scan_determinismE0ES3_S9_NS6_6detail15normal_iteratorINS6_10device_ptrItEEEESG_SG_SG_PmS8_NS6_8equal_toItEEEE10hipError_tPvRmT2_T3_mT4_T5_T6_T7_T8_P12ihipStream_tbENKUlT_T0_E_clISt17integral_constantIbLb0EES10_IbLb1EEEEDaSW_SX_EUlSW_E_NS1_11comp_targetILNS1_3genE3ELNS1_11target_archE908ELNS1_3gpuE7ELNS1_3repE0EEENS1_30default_config_static_selectorELNS0_4arch9wavefront6targetE1EEEvT1_,"axG",@progbits,_ZN7rocprim17ROCPRIM_400000_NS6detail17trampoline_kernelINS0_14default_configENS1_29reduce_by_key_config_selectorIttN6thrust23THRUST_200600_302600_NS4plusItEEEEZZNS1_33reduce_by_key_impl_wrapped_configILNS1_25lookback_scan_determinismE0ES3_S9_NS6_6detail15normal_iteratorINS6_10device_ptrItEEEESG_SG_SG_PmS8_NS6_8equal_toItEEEE10hipError_tPvRmT2_T3_mT4_T5_T6_T7_T8_P12ihipStream_tbENKUlT_T0_E_clISt17integral_constantIbLb0EES10_IbLb1EEEEDaSW_SX_EUlSW_E_NS1_11comp_targetILNS1_3genE3ELNS1_11target_archE908ELNS1_3gpuE7ELNS1_3repE0EEENS1_30default_config_static_selectorELNS0_4arch9wavefront6targetE1EEEvT1_,comdat
.Lfunc_end425:
	.size	_ZN7rocprim17ROCPRIM_400000_NS6detail17trampoline_kernelINS0_14default_configENS1_29reduce_by_key_config_selectorIttN6thrust23THRUST_200600_302600_NS4plusItEEEEZZNS1_33reduce_by_key_impl_wrapped_configILNS1_25lookback_scan_determinismE0ES3_S9_NS6_6detail15normal_iteratorINS6_10device_ptrItEEEESG_SG_SG_PmS8_NS6_8equal_toItEEEE10hipError_tPvRmT2_T3_mT4_T5_T6_T7_T8_P12ihipStream_tbENKUlT_T0_E_clISt17integral_constantIbLb0EES10_IbLb1EEEEDaSW_SX_EUlSW_E_NS1_11comp_targetILNS1_3genE3ELNS1_11target_archE908ELNS1_3gpuE7ELNS1_3repE0EEENS1_30default_config_static_selectorELNS0_4arch9wavefront6targetE1EEEvT1_, .Lfunc_end425-_ZN7rocprim17ROCPRIM_400000_NS6detail17trampoline_kernelINS0_14default_configENS1_29reduce_by_key_config_selectorIttN6thrust23THRUST_200600_302600_NS4plusItEEEEZZNS1_33reduce_by_key_impl_wrapped_configILNS1_25lookback_scan_determinismE0ES3_S9_NS6_6detail15normal_iteratorINS6_10device_ptrItEEEESG_SG_SG_PmS8_NS6_8equal_toItEEEE10hipError_tPvRmT2_T3_mT4_T5_T6_T7_T8_P12ihipStream_tbENKUlT_T0_E_clISt17integral_constantIbLb0EES10_IbLb1EEEEDaSW_SX_EUlSW_E_NS1_11comp_targetILNS1_3genE3ELNS1_11target_archE908ELNS1_3gpuE7ELNS1_3repE0EEENS1_30default_config_static_selectorELNS0_4arch9wavefront6targetE1EEEvT1_
                                        ; -- End function
	.section	.AMDGPU.csdata,"",@progbits
; Kernel info:
; codeLenInByte = 0
; NumSgprs: 4
; NumVgprs: 0
; NumAgprs: 0
; TotalNumVgprs: 0
; ScratchSize: 0
; MemoryBound: 0
; FloatMode: 240
; IeeeMode: 1
; LDSByteSize: 0 bytes/workgroup (compile time only)
; SGPRBlocks: 0
; VGPRBlocks: 0
; NumSGPRsForWavesPerEU: 4
; NumVGPRsForWavesPerEU: 1
; AccumOffset: 4
; Occupancy: 8
; WaveLimiterHint : 0
; COMPUTE_PGM_RSRC2:SCRATCH_EN: 0
; COMPUTE_PGM_RSRC2:USER_SGPR: 6
; COMPUTE_PGM_RSRC2:TRAP_HANDLER: 0
; COMPUTE_PGM_RSRC2:TGID_X_EN: 1
; COMPUTE_PGM_RSRC2:TGID_Y_EN: 0
; COMPUTE_PGM_RSRC2:TGID_Z_EN: 0
; COMPUTE_PGM_RSRC2:TIDIG_COMP_CNT: 0
; COMPUTE_PGM_RSRC3_GFX90A:ACCUM_OFFSET: 0
; COMPUTE_PGM_RSRC3_GFX90A:TG_SPLIT: 0
	.section	.text._ZN7rocprim17ROCPRIM_400000_NS6detail17trampoline_kernelINS0_14default_configENS1_29reduce_by_key_config_selectorIttN6thrust23THRUST_200600_302600_NS4plusItEEEEZZNS1_33reduce_by_key_impl_wrapped_configILNS1_25lookback_scan_determinismE0ES3_S9_NS6_6detail15normal_iteratorINS6_10device_ptrItEEEESG_SG_SG_PmS8_NS6_8equal_toItEEEE10hipError_tPvRmT2_T3_mT4_T5_T6_T7_T8_P12ihipStream_tbENKUlT_T0_E_clISt17integral_constantIbLb0EES10_IbLb1EEEEDaSW_SX_EUlSW_E_NS1_11comp_targetILNS1_3genE2ELNS1_11target_archE906ELNS1_3gpuE6ELNS1_3repE0EEENS1_30default_config_static_selectorELNS0_4arch9wavefront6targetE1EEEvT1_,"axG",@progbits,_ZN7rocprim17ROCPRIM_400000_NS6detail17trampoline_kernelINS0_14default_configENS1_29reduce_by_key_config_selectorIttN6thrust23THRUST_200600_302600_NS4plusItEEEEZZNS1_33reduce_by_key_impl_wrapped_configILNS1_25lookback_scan_determinismE0ES3_S9_NS6_6detail15normal_iteratorINS6_10device_ptrItEEEESG_SG_SG_PmS8_NS6_8equal_toItEEEE10hipError_tPvRmT2_T3_mT4_T5_T6_T7_T8_P12ihipStream_tbENKUlT_T0_E_clISt17integral_constantIbLb0EES10_IbLb1EEEEDaSW_SX_EUlSW_E_NS1_11comp_targetILNS1_3genE2ELNS1_11target_archE906ELNS1_3gpuE6ELNS1_3repE0EEENS1_30default_config_static_selectorELNS0_4arch9wavefront6targetE1EEEvT1_,comdat
	.protected	_ZN7rocprim17ROCPRIM_400000_NS6detail17trampoline_kernelINS0_14default_configENS1_29reduce_by_key_config_selectorIttN6thrust23THRUST_200600_302600_NS4plusItEEEEZZNS1_33reduce_by_key_impl_wrapped_configILNS1_25lookback_scan_determinismE0ES3_S9_NS6_6detail15normal_iteratorINS6_10device_ptrItEEEESG_SG_SG_PmS8_NS6_8equal_toItEEEE10hipError_tPvRmT2_T3_mT4_T5_T6_T7_T8_P12ihipStream_tbENKUlT_T0_E_clISt17integral_constantIbLb0EES10_IbLb1EEEEDaSW_SX_EUlSW_E_NS1_11comp_targetILNS1_3genE2ELNS1_11target_archE906ELNS1_3gpuE6ELNS1_3repE0EEENS1_30default_config_static_selectorELNS0_4arch9wavefront6targetE1EEEvT1_ ; -- Begin function _ZN7rocprim17ROCPRIM_400000_NS6detail17trampoline_kernelINS0_14default_configENS1_29reduce_by_key_config_selectorIttN6thrust23THRUST_200600_302600_NS4plusItEEEEZZNS1_33reduce_by_key_impl_wrapped_configILNS1_25lookback_scan_determinismE0ES3_S9_NS6_6detail15normal_iteratorINS6_10device_ptrItEEEESG_SG_SG_PmS8_NS6_8equal_toItEEEE10hipError_tPvRmT2_T3_mT4_T5_T6_T7_T8_P12ihipStream_tbENKUlT_T0_E_clISt17integral_constantIbLb0EES10_IbLb1EEEEDaSW_SX_EUlSW_E_NS1_11comp_targetILNS1_3genE2ELNS1_11target_archE906ELNS1_3gpuE6ELNS1_3repE0EEENS1_30default_config_static_selectorELNS0_4arch9wavefront6targetE1EEEvT1_
	.globl	_ZN7rocprim17ROCPRIM_400000_NS6detail17trampoline_kernelINS0_14default_configENS1_29reduce_by_key_config_selectorIttN6thrust23THRUST_200600_302600_NS4plusItEEEEZZNS1_33reduce_by_key_impl_wrapped_configILNS1_25lookback_scan_determinismE0ES3_S9_NS6_6detail15normal_iteratorINS6_10device_ptrItEEEESG_SG_SG_PmS8_NS6_8equal_toItEEEE10hipError_tPvRmT2_T3_mT4_T5_T6_T7_T8_P12ihipStream_tbENKUlT_T0_E_clISt17integral_constantIbLb0EES10_IbLb1EEEEDaSW_SX_EUlSW_E_NS1_11comp_targetILNS1_3genE2ELNS1_11target_archE906ELNS1_3gpuE6ELNS1_3repE0EEENS1_30default_config_static_selectorELNS0_4arch9wavefront6targetE1EEEvT1_
	.p2align	8
	.type	_ZN7rocprim17ROCPRIM_400000_NS6detail17trampoline_kernelINS0_14default_configENS1_29reduce_by_key_config_selectorIttN6thrust23THRUST_200600_302600_NS4plusItEEEEZZNS1_33reduce_by_key_impl_wrapped_configILNS1_25lookback_scan_determinismE0ES3_S9_NS6_6detail15normal_iteratorINS6_10device_ptrItEEEESG_SG_SG_PmS8_NS6_8equal_toItEEEE10hipError_tPvRmT2_T3_mT4_T5_T6_T7_T8_P12ihipStream_tbENKUlT_T0_E_clISt17integral_constantIbLb0EES10_IbLb1EEEEDaSW_SX_EUlSW_E_NS1_11comp_targetILNS1_3genE2ELNS1_11target_archE906ELNS1_3gpuE6ELNS1_3repE0EEENS1_30default_config_static_selectorELNS0_4arch9wavefront6targetE1EEEvT1_,@function
_ZN7rocprim17ROCPRIM_400000_NS6detail17trampoline_kernelINS0_14default_configENS1_29reduce_by_key_config_selectorIttN6thrust23THRUST_200600_302600_NS4plusItEEEEZZNS1_33reduce_by_key_impl_wrapped_configILNS1_25lookback_scan_determinismE0ES3_S9_NS6_6detail15normal_iteratorINS6_10device_ptrItEEEESG_SG_SG_PmS8_NS6_8equal_toItEEEE10hipError_tPvRmT2_T3_mT4_T5_T6_T7_T8_P12ihipStream_tbENKUlT_T0_E_clISt17integral_constantIbLb0EES10_IbLb1EEEEDaSW_SX_EUlSW_E_NS1_11comp_targetILNS1_3genE2ELNS1_11target_archE906ELNS1_3gpuE6ELNS1_3repE0EEENS1_30default_config_static_selectorELNS0_4arch9wavefront6targetE1EEEvT1_: ; @_ZN7rocprim17ROCPRIM_400000_NS6detail17trampoline_kernelINS0_14default_configENS1_29reduce_by_key_config_selectorIttN6thrust23THRUST_200600_302600_NS4plusItEEEEZZNS1_33reduce_by_key_impl_wrapped_configILNS1_25lookback_scan_determinismE0ES3_S9_NS6_6detail15normal_iteratorINS6_10device_ptrItEEEESG_SG_SG_PmS8_NS6_8equal_toItEEEE10hipError_tPvRmT2_T3_mT4_T5_T6_T7_T8_P12ihipStream_tbENKUlT_T0_E_clISt17integral_constantIbLb0EES10_IbLb1EEEEDaSW_SX_EUlSW_E_NS1_11comp_targetILNS1_3genE2ELNS1_11target_archE906ELNS1_3gpuE6ELNS1_3repE0EEENS1_30default_config_static_selectorELNS0_4arch9wavefront6targetE1EEEvT1_
; %bb.0:
	.section	.rodata,"a",@progbits
	.p2align	6, 0x0
	.amdhsa_kernel _ZN7rocprim17ROCPRIM_400000_NS6detail17trampoline_kernelINS0_14default_configENS1_29reduce_by_key_config_selectorIttN6thrust23THRUST_200600_302600_NS4plusItEEEEZZNS1_33reduce_by_key_impl_wrapped_configILNS1_25lookback_scan_determinismE0ES3_S9_NS6_6detail15normal_iteratorINS6_10device_ptrItEEEESG_SG_SG_PmS8_NS6_8equal_toItEEEE10hipError_tPvRmT2_T3_mT4_T5_T6_T7_T8_P12ihipStream_tbENKUlT_T0_E_clISt17integral_constantIbLb0EES10_IbLb1EEEEDaSW_SX_EUlSW_E_NS1_11comp_targetILNS1_3genE2ELNS1_11target_archE906ELNS1_3gpuE6ELNS1_3repE0EEENS1_30default_config_static_selectorELNS0_4arch9wavefront6targetE1EEEvT1_
		.amdhsa_group_segment_fixed_size 0
		.amdhsa_private_segment_fixed_size 0
		.amdhsa_kernarg_size 120
		.amdhsa_user_sgpr_count 6
		.amdhsa_user_sgpr_private_segment_buffer 1
		.amdhsa_user_sgpr_dispatch_ptr 0
		.amdhsa_user_sgpr_queue_ptr 0
		.amdhsa_user_sgpr_kernarg_segment_ptr 1
		.amdhsa_user_sgpr_dispatch_id 0
		.amdhsa_user_sgpr_flat_scratch_init 0
		.amdhsa_user_sgpr_kernarg_preload_length 0
		.amdhsa_user_sgpr_kernarg_preload_offset 0
		.amdhsa_user_sgpr_private_segment_size 0
		.amdhsa_uses_dynamic_stack 0
		.amdhsa_system_sgpr_private_segment_wavefront_offset 0
		.amdhsa_system_sgpr_workgroup_id_x 1
		.amdhsa_system_sgpr_workgroup_id_y 0
		.amdhsa_system_sgpr_workgroup_id_z 0
		.amdhsa_system_sgpr_workgroup_info 0
		.amdhsa_system_vgpr_workitem_id 0
		.amdhsa_next_free_vgpr 1
		.amdhsa_next_free_sgpr 0
		.amdhsa_accum_offset 4
		.amdhsa_reserve_vcc 0
		.amdhsa_reserve_flat_scratch 0
		.amdhsa_float_round_mode_32 0
		.amdhsa_float_round_mode_16_64 0
		.amdhsa_float_denorm_mode_32 3
		.amdhsa_float_denorm_mode_16_64 3
		.amdhsa_dx10_clamp 1
		.amdhsa_ieee_mode 1
		.amdhsa_fp16_overflow 0
		.amdhsa_tg_split 0
		.amdhsa_exception_fp_ieee_invalid_op 0
		.amdhsa_exception_fp_denorm_src 0
		.amdhsa_exception_fp_ieee_div_zero 0
		.amdhsa_exception_fp_ieee_overflow 0
		.amdhsa_exception_fp_ieee_underflow 0
		.amdhsa_exception_fp_ieee_inexact 0
		.amdhsa_exception_int_div_zero 0
	.end_amdhsa_kernel
	.section	.text._ZN7rocprim17ROCPRIM_400000_NS6detail17trampoline_kernelINS0_14default_configENS1_29reduce_by_key_config_selectorIttN6thrust23THRUST_200600_302600_NS4plusItEEEEZZNS1_33reduce_by_key_impl_wrapped_configILNS1_25lookback_scan_determinismE0ES3_S9_NS6_6detail15normal_iteratorINS6_10device_ptrItEEEESG_SG_SG_PmS8_NS6_8equal_toItEEEE10hipError_tPvRmT2_T3_mT4_T5_T6_T7_T8_P12ihipStream_tbENKUlT_T0_E_clISt17integral_constantIbLb0EES10_IbLb1EEEEDaSW_SX_EUlSW_E_NS1_11comp_targetILNS1_3genE2ELNS1_11target_archE906ELNS1_3gpuE6ELNS1_3repE0EEENS1_30default_config_static_selectorELNS0_4arch9wavefront6targetE1EEEvT1_,"axG",@progbits,_ZN7rocprim17ROCPRIM_400000_NS6detail17trampoline_kernelINS0_14default_configENS1_29reduce_by_key_config_selectorIttN6thrust23THRUST_200600_302600_NS4plusItEEEEZZNS1_33reduce_by_key_impl_wrapped_configILNS1_25lookback_scan_determinismE0ES3_S9_NS6_6detail15normal_iteratorINS6_10device_ptrItEEEESG_SG_SG_PmS8_NS6_8equal_toItEEEE10hipError_tPvRmT2_T3_mT4_T5_T6_T7_T8_P12ihipStream_tbENKUlT_T0_E_clISt17integral_constantIbLb0EES10_IbLb1EEEEDaSW_SX_EUlSW_E_NS1_11comp_targetILNS1_3genE2ELNS1_11target_archE906ELNS1_3gpuE6ELNS1_3repE0EEENS1_30default_config_static_selectorELNS0_4arch9wavefront6targetE1EEEvT1_,comdat
.Lfunc_end426:
	.size	_ZN7rocprim17ROCPRIM_400000_NS6detail17trampoline_kernelINS0_14default_configENS1_29reduce_by_key_config_selectorIttN6thrust23THRUST_200600_302600_NS4plusItEEEEZZNS1_33reduce_by_key_impl_wrapped_configILNS1_25lookback_scan_determinismE0ES3_S9_NS6_6detail15normal_iteratorINS6_10device_ptrItEEEESG_SG_SG_PmS8_NS6_8equal_toItEEEE10hipError_tPvRmT2_T3_mT4_T5_T6_T7_T8_P12ihipStream_tbENKUlT_T0_E_clISt17integral_constantIbLb0EES10_IbLb1EEEEDaSW_SX_EUlSW_E_NS1_11comp_targetILNS1_3genE2ELNS1_11target_archE906ELNS1_3gpuE6ELNS1_3repE0EEENS1_30default_config_static_selectorELNS0_4arch9wavefront6targetE1EEEvT1_, .Lfunc_end426-_ZN7rocprim17ROCPRIM_400000_NS6detail17trampoline_kernelINS0_14default_configENS1_29reduce_by_key_config_selectorIttN6thrust23THRUST_200600_302600_NS4plusItEEEEZZNS1_33reduce_by_key_impl_wrapped_configILNS1_25lookback_scan_determinismE0ES3_S9_NS6_6detail15normal_iteratorINS6_10device_ptrItEEEESG_SG_SG_PmS8_NS6_8equal_toItEEEE10hipError_tPvRmT2_T3_mT4_T5_T6_T7_T8_P12ihipStream_tbENKUlT_T0_E_clISt17integral_constantIbLb0EES10_IbLb1EEEEDaSW_SX_EUlSW_E_NS1_11comp_targetILNS1_3genE2ELNS1_11target_archE906ELNS1_3gpuE6ELNS1_3repE0EEENS1_30default_config_static_selectorELNS0_4arch9wavefront6targetE1EEEvT1_
                                        ; -- End function
	.section	.AMDGPU.csdata,"",@progbits
; Kernel info:
; codeLenInByte = 0
; NumSgprs: 4
; NumVgprs: 0
; NumAgprs: 0
; TotalNumVgprs: 0
; ScratchSize: 0
; MemoryBound: 0
; FloatMode: 240
; IeeeMode: 1
; LDSByteSize: 0 bytes/workgroup (compile time only)
; SGPRBlocks: 0
; VGPRBlocks: 0
; NumSGPRsForWavesPerEU: 4
; NumVGPRsForWavesPerEU: 1
; AccumOffset: 4
; Occupancy: 8
; WaveLimiterHint : 0
; COMPUTE_PGM_RSRC2:SCRATCH_EN: 0
; COMPUTE_PGM_RSRC2:USER_SGPR: 6
; COMPUTE_PGM_RSRC2:TRAP_HANDLER: 0
; COMPUTE_PGM_RSRC2:TGID_X_EN: 1
; COMPUTE_PGM_RSRC2:TGID_Y_EN: 0
; COMPUTE_PGM_RSRC2:TGID_Z_EN: 0
; COMPUTE_PGM_RSRC2:TIDIG_COMP_CNT: 0
; COMPUTE_PGM_RSRC3_GFX90A:ACCUM_OFFSET: 0
; COMPUTE_PGM_RSRC3_GFX90A:TG_SPLIT: 0
	.section	.text._ZN7rocprim17ROCPRIM_400000_NS6detail17trampoline_kernelINS0_14default_configENS1_29reduce_by_key_config_selectorIttN6thrust23THRUST_200600_302600_NS4plusItEEEEZZNS1_33reduce_by_key_impl_wrapped_configILNS1_25lookback_scan_determinismE0ES3_S9_NS6_6detail15normal_iteratorINS6_10device_ptrItEEEESG_SG_SG_PmS8_NS6_8equal_toItEEEE10hipError_tPvRmT2_T3_mT4_T5_T6_T7_T8_P12ihipStream_tbENKUlT_T0_E_clISt17integral_constantIbLb0EES10_IbLb1EEEEDaSW_SX_EUlSW_E_NS1_11comp_targetILNS1_3genE10ELNS1_11target_archE1201ELNS1_3gpuE5ELNS1_3repE0EEENS1_30default_config_static_selectorELNS0_4arch9wavefront6targetE1EEEvT1_,"axG",@progbits,_ZN7rocprim17ROCPRIM_400000_NS6detail17trampoline_kernelINS0_14default_configENS1_29reduce_by_key_config_selectorIttN6thrust23THRUST_200600_302600_NS4plusItEEEEZZNS1_33reduce_by_key_impl_wrapped_configILNS1_25lookback_scan_determinismE0ES3_S9_NS6_6detail15normal_iteratorINS6_10device_ptrItEEEESG_SG_SG_PmS8_NS6_8equal_toItEEEE10hipError_tPvRmT2_T3_mT4_T5_T6_T7_T8_P12ihipStream_tbENKUlT_T0_E_clISt17integral_constantIbLb0EES10_IbLb1EEEEDaSW_SX_EUlSW_E_NS1_11comp_targetILNS1_3genE10ELNS1_11target_archE1201ELNS1_3gpuE5ELNS1_3repE0EEENS1_30default_config_static_selectorELNS0_4arch9wavefront6targetE1EEEvT1_,comdat
	.protected	_ZN7rocprim17ROCPRIM_400000_NS6detail17trampoline_kernelINS0_14default_configENS1_29reduce_by_key_config_selectorIttN6thrust23THRUST_200600_302600_NS4plusItEEEEZZNS1_33reduce_by_key_impl_wrapped_configILNS1_25lookback_scan_determinismE0ES3_S9_NS6_6detail15normal_iteratorINS6_10device_ptrItEEEESG_SG_SG_PmS8_NS6_8equal_toItEEEE10hipError_tPvRmT2_T3_mT4_T5_T6_T7_T8_P12ihipStream_tbENKUlT_T0_E_clISt17integral_constantIbLb0EES10_IbLb1EEEEDaSW_SX_EUlSW_E_NS1_11comp_targetILNS1_3genE10ELNS1_11target_archE1201ELNS1_3gpuE5ELNS1_3repE0EEENS1_30default_config_static_selectorELNS0_4arch9wavefront6targetE1EEEvT1_ ; -- Begin function _ZN7rocprim17ROCPRIM_400000_NS6detail17trampoline_kernelINS0_14default_configENS1_29reduce_by_key_config_selectorIttN6thrust23THRUST_200600_302600_NS4plusItEEEEZZNS1_33reduce_by_key_impl_wrapped_configILNS1_25lookback_scan_determinismE0ES3_S9_NS6_6detail15normal_iteratorINS6_10device_ptrItEEEESG_SG_SG_PmS8_NS6_8equal_toItEEEE10hipError_tPvRmT2_T3_mT4_T5_T6_T7_T8_P12ihipStream_tbENKUlT_T0_E_clISt17integral_constantIbLb0EES10_IbLb1EEEEDaSW_SX_EUlSW_E_NS1_11comp_targetILNS1_3genE10ELNS1_11target_archE1201ELNS1_3gpuE5ELNS1_3repE0EEENS1_30default_config_static_selectorELNS0_4arch9wavefront6targetE1EEEvT1_
	.globl	_ZN7rocprim17ROCPRIM_400000_NS6detail17trampoline_kernelINS0_14default_configENS1_29reduce_by_key_config_selectorIttN6thrust23THRUST_200600_302600_NS4plusItEEEEZZNS1_33reduce_by_key_impl_wrapped_configILNS1_25lookback_scan_determinismE0ES3_S9_NS6_6detail15normal_iteratorINS6_10device_ptrItEEEESG_SG_SG_PmS8_NS6_8equal_toItEEEE10hipError_tPvRmT2_T3_mT4_T5_T6_T7_T8_P12ihipStream_tbENKUlT_T0_E_clISt17integral_constantIbLb0EES10_IbLb1EEEEDaSW_SX_EUlSW_E_NS1_11comp_targetILNS1_3genE10ELNS1_11target_archE1201ELNS1_3gpuE5ELNS1_3repE0EEENS1_30default_config_static_selectorELNS0_4arch9wavefront6targetE1EEEvT1_
	.p2align	8
	.type	_ZN7rocprim17ROCPRIM_400000_NS6detail17trampoline_kernelINS0_14default_configENS1_29reduce_by_key_config_selectorIttN6thrust23THRUST_200600_302600_NS4plusItEEEEZZNS1_33reduce_by_key_impl_wrapped_configILNS1_25lookback_scan_determinismE0ES3_S9_NS6_6detail15normal_iteratorINS6_10device_ptrItEEEESG_SG_SG_PmS8_NS6_8equal_toItEEEE10hipError_tPvRmT2_T3_mT4_T5_T6_T7_T8_P12ihipStream_tbENKUlT_T0_E_clISt17integral_constantIbLb0EES10_IbLb1EEEEDaSW_SX_EUlSW_E_NS1_11comp_targetILNS1_3genE10ELNS1_11target_archE1201ELNS1_3gpuE5ELNS1_3repE0EEENS1_30default_config_static_selectorELNS0_4arch9wavefront6targetE1EEEvT1_,@function
_ZN7rocprim17ROCPRIM_400000_NS6detail17trampoline_kernelINS0_14default_configENS1_29reduce_by_key_config_selectorIttN6thrust23THRUST_200600_302600_NS4plusItEEEEZZNS1_33reduce_by_key_impl_wrapped_configILNS1_25lookback_scan_determinismE0ES3_S9_NS6_6detail15normal_iteratorINS6_10device_ptrItEEEESG_SG_SG_PmS8_NS6_8equal_toItEEEE10hipError_tPvRmT2_T3_mT4_T5_T6_T7_T8_P12ihipStream_tbENKUlT_T0_E_clISt17integral_constantIbLb0EES10_IbLb1EEEEDaSW_SX_EUlSW_E_NS1_11comp_targetILNS1_3genE10ELNS1_11target_archE1201ELNS1_3gpuE5ELNS1_3repE0EEENS1_30default_config_static_selectorELNS0_4arch9wavefront6targetE1EEEvT1_: ; @_ZN7rocprim17ROCPRIM_400000_NS6detail17trampoline_kernelINS0_14default_configENS1_29reduce_by_key_config_selectorIttN6thrust23THRUST_200600_302600_NS4plusItEEEEZZNS1_33reduce_by_key_impl_wrapped_configILNS1_25lookback_scan_determinismE0ES3_S9_NS6_6detail15normal_iteratorINS6_10device_ptrItEEEESG_SG_SG_PmS8_NS6_8equal_toItEEEE10hipError_tPvRmT2_T3_mT4_T5_T6_T7_T8_P12ihipStream_tbENKUlT_T0_E_clISt17integral_constantIbLb0EES10_IbLb1EEEEDaSW_SX_EUlSW_E_NS1_11comp_targetILNS1_3genE10ELNS1_11target_archE1201ELNS1_3gpuE5ELNS1_3repE0EEENS1_30default_config_static_selectorELNS0_4arch9wavefront6targetE1EEEvT1_
; %bb.0:
	.section	.rodata,"a",@progbits
	.p2align	6, 0x0
	.amdhsa_kernel _ZN7rocprim17ROCPRIM_400000_NS6detail17trampoline_kernelINS0_14default_configENS1_29reduce_by_key_config_selectorIttN6thrust23THRUST_200600_302600_NS4plusItEEEEZZNS1_33reduce_by_key_impl_wrapped_configILNS1_25lookback_scan_determinismE0ES3_S9_NS6_6detail15normal_iteratorINS6_10device_ptrItEEEESG_SG_SG_PmS8_NS6_8equal_toItEEEE10hipError_tPvRmT2_T3_mT4_T5_T6_T7_T8_P12ihipStream_tbENKUlT_T0_E_clISt17integral_constantIbLb0EES10_IbLb1EEEEDaSW_SX_EUlSW_E_NS1_11comp_targetILNS1_3genE10ELNS1_11target_archE1201ELNS1_3gpuE5ELNS1_3repE0EEENS1_30default_config_static_selectorELNS0_4arch9wavefront6targetE1EEEvT1_
		.amdhsa_group_segment_fixed_size 0
		.amdhsa_private_segment_fixed_size 0
		.amdhsa_kernarg_size 120
		.amdhsa_user_sgpr_count 6
		.amdhsa_user_sgpr_private_segment_buffer 1
		.amdhsa_user_sgpr_dispatch_ptr 0
		.amdhsa_user_sgpr_queue_ptr 0
		.amdhsa_user_sgpr_kernarg_segment_ptr 1
		.amdhsa_user_sgpr_dispatch_id 0
		.amdhsa_user_sgpr_flat_scratch_init 0
		.amdhsa_user_sgpr_kernarg_preload_length 0
		.amdhsa_user_sgpr_kernarg_preload_offset 0
		.amdhsa_user_sgpr_private_segment_size 0
		.amdhsa_uses_dynamic_stack 0
		.amdhsa_system_sgpr_private_segment_wavefront_offset 0
		.amdhsa_system_sgpr_workgroup_id_x 1
		.amdhsa_system_sgpr_workgroup_id_y 0
		.amdhsa_system_sgpr_workgroup_id_z 0
		.amdhsa_system_sgpr_workgroup_info 0
		.amdhsa_system_vgpr_workitem_id 0
		.amdhsa_next_free_vgpr 1
		.amdhsa_next_free_sgpr 0
		.amdhsa_accum_offset 4
		.amdhsa_reserve_vcc 0
		.amdhsa_reserve_flat_scratch 0
		.amdhsa_float_round_mode_32 0
		.amdhsa_float_round_mode_16_64 0
		.amdhsa_float_denorm_mode_32 3
		.amdhsa_float_denorm_mode_16_64 3
		.amdhsa_dx10_clamp 1
		.amdhsa_ieee_mode 1
		.amdhsa_fp16_overflow 0
		.amdhsa_tg_split 0
		.amdhsa_exception_fp_ieee_invalid_op 0
		.amdhsa_exception_fp_denorm_src 0
		.amdhsa_exception_fp_ieee_div_zero 0
		.amdhsa_exception_fp_ieee_overflow 0
		.amdhsa_exception_fp_ieee_underflow 0
		.amdhsa_exception_fp_ieee_inexact 0
		.amdhsa_exception_int_div_zero 0
	.end_amdhsa_kernel
	.section	.text._ZN7rocprim17ROCPRIM_400000_NS6detail17trampoline_kernelINS0_14default_configENS1_29reduce_by_key_config_selectorIttN6thrust23THRUST_200600_302600_NS4plusItEEEEZZNS1_33reduce_by_key_impl_wrapped_configILNS1_25lookback_scan_determinismE0ES3_S9_NS6_6detail15normal_iteratorINS6_10device_ptrItEEEESG_SG_SG_PmS8_NS6_8equal_toItEEEE10hipError_tPvRmT2_T3_mT4_T5_T6_T7_T8_P12ihipStream_tbENKUlT_T0_E_clISt17integral_constantIbLb0EES10_IbLb1EEEEDaSW_SX_EUlSW_E_NS1_11comp_targetILNS1_3genE10ELNS1_11target_archE1201ELNS1_3gpuE5ELNS1_3repE0EEENS1_30default_config_static_selectorELNS0_4arch9wavefront6targetE1EEEvT1_,"axG",@progbits,_ZN7rocprim17ROCPRIM_400000_NS6detail17trampoline_kernelINS0_14default_configENS1_29reduce_by_key_config_selectorIttN6thrust23THRUST_200600_302600_NS4plusItEEEEZZNS1_33reduce_by_key_impl_wrapped_configILNS1_25lookback_scan_determinismE0ES3_S9_NS6_6detail15normal_iteratorINS6_10device_ptrItEEEESG_SG_SG_PmS8_NS6_8equal_toItEEEE10hipError_tPvRmT2_T3_mT4_T5_T6_T7_T8_P12ihipStream_tbENKUlT_T0_E_clISt17integral_constantIbLb0EES10_IbLb1EEEEDaSW_SX_EUlSW_E_NS1_11comp_targetILNS1_3genE10ELNS1_11target_archE1201ELNS1_3gpuE5ELNS1_3repE0EEENS1_30default_config_static_selectorELNS0_4arch9wavefront6targetE1EEEvT1_,comdat
.Lfunc_end427:
	.size	_ZN7rocprim17ROCPRIM_400000_NS6detail17trampoline_kernelINS0_14default_configENS1_29reduce_by_key_config_selectorIttN6thrust23THRUST_200600_302600_NS4plusItEEEEZZNS1_33reduce_by_key_impl_wrapped_configILNS1_25lookback_scan_determinismE0ES3_S9_NS6_6detail15normal_iteratorINS6_10device_ptrItEEEESG_SG_SG_PmS8_NS6_8equal_toItEEEE10hipError_tPvRmT2_T3_mT4_T5_T6_T7_T8_P12ihipStream_tbENKUlT_T0_E_clISt17integral_constantIbLb0EES10_IbLb1EEEEDaSW_SX_EUlSW_E_NS1_11comp_targetILNS1_3genE10ELNS1_11target_archE1201ELNS1_3gpuE5ELNS1_3repE0EEENS1_30default_config_static_selectorELNS0_4arch9wavefront6targetE1EEEvT1_, .Lfunc_end427-_ZN7rocprim17ROCPRIM_400000_NS6detail17trampoline_kernelINS0_14default_configENS1_29reduce_by_key_config_selectorIttN6thrust23THRUST_200600_302600_NS4plusItEEEEZZNS1_33reduce_by_key_impl_wrapped_configILNS1_25lookback_scan_determinismE0ES3_S9_NS6_6detail15normal_iteratorINS6_10device_ptrItEEEESG_SG_SG_PmS8_NS6_8equal_toItEEEE10hipError_tPvRmT2_T3_mT4_T5_T6_T7_T8_P12ihipStream_tbENKUlT_T0_E_clISt17integral_constantIbLb0EES10_IbLb1EEEEDaSW_SX_EUlSW_E_NS1_11comp_targetILNS1_3genE10ELNS1_11target_archE1201ELNS1_3gpuE5ELNS1_3repE0EEENS1_30default_config_static_selectorELNS0_4arch9wavefront6targetE1EEEvT1_
                                        ; -- End function
	.section	.AMDGPU.csdata,"",@progbits
; Kernel info:
; codeLenInByte = 0
; NumSgprs: 4
; NumVgprs: 0
; NumAgprs: 0
; TotalNumVgprs: 0
; ScratchSize: 0
; MemoryBound: 0
; FloatMode: 240
; IeeeMode: 1
; LDSByteSize: 0 bytes/workgroup (compile time only)
; SGPRBlocks: 0
; VGPRBlocks: 0
; NumSGPRsForWavesPerEU: 4
; NumVGPRsForWavesPerEU: 1
; AccumOffset: 4
; Occupancy: 8
; WaveLimiterHint : 0
; COMPUTE_PGM_RSRC2:SCRATCH_EN: 0
; COMPUTE_PGM_RSRC2:USER_SGPR: 6
; COMPUTE_PGM_RSRC2:TRAP_HANDLER: 0
; COMPUTE_PGM_RSRC2:TGID_X_EN: 1
; COMPUTE_PGM_RSRC2:TGID_Y_EN: 0
; COMPUTE_PGM_RSRC2:TGID_Z_EN: 0
; COMPUTE_PGM_RSRC2:TIDIG_COMP_CNT: 0
; COMPUTE_PGM_RSRC3_GFX90A:ACCUM_OFFSET: 0
; COMPUTE_PGM_RSRC3_GFX90A:TG_SPLIT: 0
	.section	.text._ZN7rocprim17ROCPRIM_400000_NS6detail17trampoline_kernelINS0_14default_configENS1_29reduce_by_key_config_selectorIttN6thrust23THRUST_200600_302600_NS4plusItEEEEZZNS1_33reduce_by_key_impl_wrapped_configILNS1_25lookback_scan_determinismE0ES3_S9_NS6_6detail15normal_iteratorINS6_10device_ptrItEEEESG_SG_SG_PmS8_NS6_8equal_toItEEEE10hipError_tPvRmT2_T3_mT4_T5_T6_T7_T8_P12ihipStream_tbENKUlT_T0_E_clISt17integral_constantIbLb0EES10_IbLb1EEEEDaSW_SX_EUlSW_E_NS1_11comp_targetILNS1_3genE10ELNS1_11target_archE1200ELNS1_3gpuE4ELNS1_3repE0EEENS1_30default_config_static_selectorELNS0_4arch9wavefront6targetE1EEEvT1_,"axG",@progbits,_ZN7rocprim17ROCPRIM_400000_NS6detail17trampoline_kernelINS0_14default_configENS1_29reduce_by_key_config_selectorIttN6thrust23THRUST_200600_302600_NS4plusItEEEEZZNS1_33reduce_by_key_impl_wrapped_configILNS1_25lookback_scan_determinismE0ES3_S9_NS6_6detail15normal_iteratorINS6_10device_ptrItEEEESG_SG_SG_PmS8_NS6_8equal_toItEEEE10hipError_tPvRmT2_T3_mT4_T5_T6_T7_T8_P12ihipStream_tbENKUlT_T0_E_clISt17integral_constantIbLb0EES10_IbLb1EEEEDaSW_SX_EUlSW_E_NS1_11comp_targetILNS1_3genE10ELNS1_11target_archE1200ELNS1_3gpuE4ELNS1_3repE0EEENS1_30default_config_static_selectorELNS0_4arch9wavefront6targetE1EEEvT1_,comdat
	.protected	_ZN7rocprim17ROCPRIM_400000_NS6detail17trampoline_kernelINS0_14default_configENS1_29reduce_by_key_config_selectorIttN6thrust23THRUST_200600_302600_NS4plusItEEEEZZNS1_33reduce_by_key_impl_wrapped_configILNS1_25lookback_scan_determinismE0ES3_S9_NS6_6detail15normal_iteratorINS6_10device_ptrItEEEESG_SG_SG_PmS8_NS6_8equal_toItEEEE10hipError_tPvRmT2_T3_mT4_T5_T6_T7_T8_P12ihipStream_tbENKUlT_T0_E_clISt17integral_constantIbLb0EES10_IbLb1EEEEDaSW_SX_EUlSW_E_NS1_11comp_targetILNS1_3genE10ELNS1_11target_archE1200ELNS1_3gpuE4ELNS1_3repE0EEENS1_30default_config_static_selectorELNS0_4arch9wavefront6targetE1EEEvT1_ ; -- Begin function _ZN7rocprim17ROCPRIM_400000_NS6detail17trampoline_kernelINS0_14default_configENS1_29reduce_by_key_config_selectorIttN6thrust23THRUST_200600_302600_NS4plusItEEEEZZNS1_33reduce_by_key_impl_wrapped_configILNS1_25lookback_scan_determinismE0ES3_S9_NS6_6detail15normal_iteratorINS6_10device_ptrItEEEESG_SG_SG_PmS8_NS6_8equal_toItEEEE10hipError_tPvRmT2_T3_mT4_T5_T6_T7_T8_P12ihipStream_tbENKUlT_T0_E_clISt17integral_constantIbLb0EES10_IbLb1EEEEDaSW_SX_EUlSW_E_NS1_11comp_targetILNS1_3genE10ELNS1_11target_archE1200ELNS1_3gpuE4ELNS1_3repE0EEENS1_30default_config_static_selectorELNS0_4arch9wavefront6targetE1EEEvT1_
	.globl	_ZN7rocprim17ROCPRIM_400000_NS6detail17trampoline_kernelINS0_14default_configENS1_29reduce_by_key_config_selectorIttN6thrust23THRUST_200600_302600_NS4plusItEEEEZZNS1_33reduce_by_key_impl_wrapped_configILNS1_25lookback_scan_determinismE0ES3_S9_NS6_6detail15normal_iteratorINS6_10device_ptrItEEEESG_SG_SG_PmS8_NS6_8equal_toItEEEE10hipError_tPvRmT2_T3_mT4_T5_T6_T7_T8_P12ihipStream_tbENKUlT_T0_E_clISt17integral_constantIbLb0EES10_IbLb1EEEEDaSW_SX_EUlSW_E_NS1_11comp_targetILNS1_3genE10ELNS1_11target_archE1200ELNS1_3gpuE4ELNS1_3repE0EEENS1_30default_config_static_selectorELNS0_4arch9wavefront6targetE1EEEvT1_
	.p2align	8
	.type	_ZN7rocprim17ROCPRIM_400000_NS6detail17trampoline_kernelINS0_14default_configENS1_29reduce_by_key_config_selectorIttN6thrust23THRUST_200600_302600_NS4plusItEEEEZZNS1_33reduce_by_key_impl_wrapped_configILNS1_25lookback_scan_determinismE0ES3_S9_NS6_6detail15normal_iteratorINS6_10device_ptrItEEEESG_SG_SG_PmS8_NS6_8equal_toItEEEE10hipError_tPvRmT2_T3_mT4_T5_T6_T7_T8_P12ihipStream_tbENKUlT_T0_E_clISt17integral_constantIbLb0EES10_IbLb1EEEEDaSW_SX_EUlSW_E_NS1_11comp_targetILNS1_3genE10ELNS1_11target_archE1200ELNS1_3gpuE4ELNS1_3repE0EEENS1_30default_config_static_selectorELNS0_4arch9wavefront6targetE1EEEvT1_,@function
_ZN7rocprim17ROCPRIM_400000_NS6detail17trampoline_kernelINS0_14default_configENS1_29reduce_by_key_config_selectorIttN6thrust23THRUST_200600_302600_NS4plusItEEEEZZNS1_33reduce_by_key_impl_wrapped_configILNS1_25lookback_scan_determinismE0ES3_S9_NS6_6detail15normal_iteratorINS6_10device_ptrItEEEESG_SG_SG_PmS8_NS6_8equal_toItEEEE10hipError_tPvRmT2_T3_mT4_T5_T6_T7_T8_P12ihipStream_tbENKUlT_T0_E_clISt17integral_constantIbLb0EES10_IbLb1EEEEDaSW_SX_EUlSW_E_NS1_11comp_targetILNS1_3genE10ELNS1_11target_archE1200ELNS1_3gpuE4ELNS1_3repE0EEENS1_30default_config_static_selectorELNS0_4arch9wavefront6targetE1EEEvT1_: ; @_ZN7rocprim17ROCPRIM_400000_NS6detail17trampoline_kernelINS0_14default_configENS1_29reduce_by_key_config_selectorIttN6thrust23THRUST_200600_302600_NS4plusItEEEEZZNS1_33reduce_by_key_impl_wrapped_configILNS1_25lookback_scan_determinismE0ES3_S9_NS6_6detail15normal_iteratorINS6_10device_ptrItEEEESG_SG_SG_PmS8_NS6_8equal_toItEEEE10hipError_tPvRmT2_T3_mT4_T5_T6_T7_T8_P12ihipStream_tbENKUlT_T0_E_clISt17integral_constantIbLb0EES10_IbLb1EEEEDaSW_SX_EUlSW_E_NS1_11comp_targetILNS1_3genE10ELNS1_11target_archE1200ELNS1_3gpuE4ELNS1_3repE0EEENS1_30default_config_static_selectorELNS0_4arch9wavefront6targetE1EEEvT1_
; %bb.0:
	.section	.rodata,"a",@progbits
	.p2align	6, 0x0
	.amdhsa_kernel _ZN7rocprim17ROCPRIM_400000_NS6detail17trampoline_kernelINS0_14default_configENS1_29reduce_by_key_config_selectorIttN6thrust23THRUST_200600_302600_NS4plusItEEEEZZNS1_33reduce_by_key_impl_wrapped_configILNS1_25lookback_scan_determinismE0ES3_S9_NS6_6detail15normal_iteratorINS6_10device_ptrItEEEESG_SG_SG_PmS8_NS6_8equal_toItEEEE10hipError_tPvRmT2_T3_mT4_T5_T6_T7_T8_P12ihipStream_tbENKUlT_T0_E_clISt17integral_constantIbLb0EES10_IbLb1EEEEDaSW_SX_EUlSW_E_NS1_11comp_targetILNS1_3genE10ELNS1_11target_archE1200ELNS1_3gpuE4ELNS1_3repE0EEENS1_30default_config_static_selectorELNS0_4arch9wavefront6targetE1EEEvT1_
		.amdhsa_group_segment_fixed_size 0
		.amdhsa_private_segment_fixed_size 0
		.amdhsa_kernarg_size 120
		.amdhsa_user_sgpr_count 6
		.amdhsa_user_sgpr_private_segment_buffer 1
		.amdhsa_user_sgpr_dispatch_ptr 0
		.amdhsa_user_sgpr_queue_ptr 0
		.amdhsa_user_sgpr_kernarg_segment_ptr 1
		.amdhsa_user_sgpr_dispatch_id 0
		.amdhsa_user_sgpr_flat_scratch_init 0
		.amdhsa_user_sgpr_kernarg_preload_length 0
		.amdhsa_user_sgpr_kernarg_preload_offset 0
		.amdhsa_user_sgpr_private_segment_size 0
		.amdhsa_uses_dynamic_stack 0
		.amdhsa_system_sgpr_private_segment_wavefront_offset 0
		.amdhsa_system_sgpr_workgroup_id_x 1
		.amdhsa_system_sgpr_workgroup_id_y 0
		.amdhsa_system_sgpr_workgroup_id_z 0
		.amdhsa_system_sgpr_workgroup_info 0
		.amdhsa_system_vgpr_workitem_id 0
		.amdhsa_next_free_vgpr 1
		.amdhsa_next_free_sgpr 0
		.amdhsa_accum_offset 4
		.amdhsa_reserve_vcc 0
		.amdhsa_reserve_flat_scratch 0
		.amdhsa_float_round_mode_32 0
		.amdhsa_float_round_mode_16_64 0
		.amdhsa_float_denorm_mode_32 3
		.amdhsa_float_denorm_mode_16_64 3
		.amdhsa_dx10_clamp 1
		.amdhsa_ieee_mode 1
		.amdhsa_fp16_overflow 0
		.amdhsa_tg_split 0
		.amdhsa_exception_fp_ieee_invalid_op 0
		.amdhsa_exception_fp_denorm_src 0
		.amdhsa_exception_fp_ieee_div_zero 0
		.amdhsa_exception_fp_ieee_overflow 0
		.amdhsa_exception_fp_ieee_underflow 0
		.amdhsa_exception_fp_ieee_inexact 0
		.amdhsa_exception_int_div_zero 0
	.end_amdhsa_kernel
	.section	.text._ZN7rocprim17ROCPRIM_400000_NS6detail17trampoline_kernelINS0_14default_configENS1_29reduce_by_key_config_selectorIttN6thrust23THRUST_200600_302600_NS4plusItEEEEZZNS1_33reduce_by_key_impl_wrapped_configILNS1_25lookback_scan_determinismE0ES3_S9_NS6_6detail15normal_iteratorINS6_10device_ptrItEEEESG_SG_SG_PmS8_NS6_8equal_toItEEEE10hipError_tPvRmT2_T3_mT4_T5_T6_T7_T8_P12ihipStream_tbENKUlT_T0_E_clISt17integral_constantIbLb0EES10_IbLb1EEEEDaSW_SX_EUlSW_E_NS1_11comp_targetILNS1_3genE10ELNS1_11target_archE1200ELNS1_3gpuE4ELNS1_3repE0EEENS1_30default_config_static_selectorELNS0_4arch9wavefront6targetE1EEEvT1_,"axG",@progbits,_ZN7rocprim17ROCPRIM_400000_NS6detail17trampoline_kernelINS0_14default_configENS1_29reduce_by_key_config_selectorIttN6thrust23THRUST_200600_302600_NS4plusItEEEEZZNS1_33reduce_by_key_impl_wrapped_configILNS1_25lookback_scan_determinismE0ES3_S9_NS6_6detail15normal_iteratorINS6_10device_ptrItEEEESG_SG_SG_PmS8_NS6_8equal_toItEEEE10hipError_tPvRmT2_T3_mT4_T5_T6_T7_T8_P12ihipStream_tbENKUlT_T0_E_clISt17integral_constantIbLb0EES10_IbLb1EEEEDaSW_SX_EUlSW_E_NS1_11comp_targetILNS1_3genE10ELNS1_11target_archE1200ELNS1_3gpuE4ELNS1_3repE0EEENS1_30default_config_static_selectorELNS0_4arch9wavefront6targetE1EEEvT1_,comdat
.Lfunc_end428:
	.size	_ZN7rocprim17ROCPRIM_400000_NS6detail17trampoline_kernelINS0_14default_configENS1_29reduce_by_key_config_selectorIttN6thrust23THRUST_200600_302600_NS4plusItEEEEZZNS1_33reduce_by_key_impl_wrapped_configILNS1_25lookback_scan_determinismE0ES3_S9_NS6_6detail15normal_iteratorINS6_10device_ptrItEEEESG_SG_SG_PmS8_NS6_8equal_toItEEEE10hipError_tPvRmT2_T3_mT4_T5_T6_T7_T8_P12ihipStream_tbENKUlT_T0_E_clISt17integral_constantIbLb0EES10_IbLb1EEEEDaSW_SX_EUlSW_E_NS1_11comp_targetILNS1_3genE10ELNS1_11target_archE1200ELNS1_3gpuE4ELNS1_3repE0EEENS1_30default_config_static_selectorELNS0_4arch9wavefront6targetE1EEEvT1_, .Lfunc_end428-_ZN7rocprim17ROCPRIM_400000_NS6detail17trampoline_kernelINS0_14default_configENS1_29reduce_by_key_config_selectorIttN6thrust23THRUST_200600_302600_NS4plusItEEEEZZNS1_33reduce_by_key_impl_wrapped_configILNS1_25lookback_scan_determinismE0ES3_S9_NS6_6detail15normal_iteratorINS6_10device_ptrItEEEESG_SG_SG_PmS8_NS6_8equal_toItEEEE10hipError_tPvRmT2_T3_mT4_T5_T6_T7_T8_P12ihipStream_tbENKUlT_T0_E_clISt17integral_constantIbLb0EES10_IbLb1EEEEDaSW_SX_EUlSW_E_NS1_11comp_targetILNS1_3genE10ELNS1_11target_archE1200ELNS1_3gpuE4ELNS1_3repE0EEENS1_30default_config_static_selectorELNS0_4arch9wavefront6targetE1EEEvT1_
                                        ; -- End function
	.section	.AMDGPU.csdata,"",@progbits
; Kernel info:
; codeLenInByte = 0
; NumSgprs: 4
; NumVgprs: 0
; NumAgprs: 0
; TotalNumVgprs: 0
; ScratchSize: 0
; MemoryBound: 0
; FloatMode: 240
; IeeeMode: 1
; LDSByteSize: 0 bytes/workgroup (compile time only)
; SGPRBlocks: 0
; VGPRBlocks: 0
; NumSGPRsForWavesPerEU: 4
; NumVGPRsForWavesPerEU: 1
; AccumOffset: 4
; Occupancy: 8
; WaveLimiterHint : 0
; COMPUTE_PGM_RSRC2:SCRATCH_EN: 0
; COMPUTE_PGM_RSRC2:USER_SGPR: 6
; COMPUTE_PGM_RSRC2:TRAP_HANDLER: 0
; COMPUTE_PGM_RSRC2:TGID_X_EN: 1
; COMPUTE_PGM_RSRC2:TGID_Y_EN: 0
; COMPUTE_PGM_RSRC2:TGID_Z_EN: 0
; COMPUTE_PGM_RSRC2:TIDIG_COMP_CNT: 0
; COMPUTE_PGM_RSRC3_GFX90A:ACCUM_OFFSET: 0
; COMPUTE_PGM_RSRC3_GFX90A:TG_SPLIT: 0
	.section	.text._ZN7rocprim17ROCPRIM_400000_NS6detail17trampoline_kernelINS0_14default_configENS1_29reduce_by_key_config_selectorIttN6thrust23THRUST_200600_302600_NS4plusItEEEEZZNS1_33reduce_by_key_impl_wrapped_configILNS1_25lookback_scan_determinismE0ES3_S9_NS6_6detail15normal_iteratorINS6_10device_ptrItEEEESG_SG_SG_PmS8_NS6_8equal_toItEEEE10hipError_tPvRmT2_T3_mT4_T5_T6_T7_T8_P12ihipStream_tbENKUlT_T0_E_clISt17integral_constantIbLb0EES10_IbLb1EEEEDaSW_SX_EUlSW_E_NS1_11comp_targetILNS1_3genE9ELNS1_11target_archE1100ELNS1_3gpuE3ELNS1_3repE0EEENS1_30default_config_static_selectorELNS0_4arch9wavefront6targetE1EEEvT1_,"axG",@progbits,_ZN7rocprim17ROCPRIM_400000_NS6detail17trampoline_kernelINS0_14default_configENS1_29reduce_by_key_config_selectorIttN6thrust23THRUST_200600_302600_NS4plusItEEEEZZNS1_33reduce_by_key_impl_wrapped_configILNS1_25lookback_scan_determinismE0ES3_S9_NS6_6detail15normal_iteratorINS6_10device_ptrItEEEESG_SG_SG_PmS8_NS6_8equal_toItEEEE10hipError_tPvRmT2_T3_mT4_T5_T6_T7_T8_P12ihipStream_tbENKUlT_T0_E_clISt17integral_constantIbLb0EES10_IbLb1EEEEDaSW_SX_EUlSW_E_NS1_11comp_targetILNS1_3genE9ELNS1_11target_archE1100ELNS1_3gpuE3ELNS1_3repE0EEENS1_30default_config_static_selectorELNS0_4arch9wavefront6targetE1EEEvT1_,comdat
	.protected	_ZN7rocprim17ROCPRIM_400000_NS6detail17trampoline_kernelINS0_14default_configENS1_29reduce_by_key_config_selectorIttN6thrust23THRUST_200600_302600_NS4plusItEEEEZZNS1_33reduce_by_key_impl_wrapped_configILNS1_25lookback_scan_determinismE0ES3_S9_NS6_6detail15normal_iteratorINS6_10device_ptrItEEEESG_SG_SG_PmS8_NS6_8equal_toItEEEE10hipError_tPvRmT2_T3_mT4_T5_T6_T7_T8_P12ihipStream_tbENKUlT_T0_E_clISt17integral_constantIbLb0EES10_IbLb1EEEEDaSW_SX_EUlSW_E_NS1_11comp_targetILNS1_3genE9ELNS1_11target_archE1100ELNS1_3gpuE3ELNS1_3repE0EEENS1_30default_config_static_selectorELNS0_4arch9wavefront6targetE1EEEvT1_ ; -- Begin function _ZN7rocprim17ROCPRIM_400000_NS6detail17trampoline_kernelINS0_14default_configENS1_29reduce_by_key_config_selectorIttN6thrust23THRUST_200600_302600_NS4plusItEEEEZZNS1_33reduce_by_key_impl_wrapped_configILNS1_25lookback_scan_determinismE0ES3_S9_NS6_6detail15normal_iteratorINS6_10device_ptrItEEEESG_SG_SG_PmS8_NS6_8equal_toItEEEE10hipError_tPvRmT2_T3_mT4_T5_T6_T7_T8_P12ihipStream_tbENKUlT_T0_E_clISt17integral_constantIbLb0EES10_IbLb1EEEEDaSW_SX_EUlSW_E_NS1_11comp_targetILNS1_3genE9ELNS1_11target_archE1100ELNS1_3gpuE3ELNS1_3repE0EEENS1_30default_config_static_selectorELNS0_4arch9wavefront6targetE1EEEvT1_
	.globl	_ZN7rocprim17ROCPRIM_400000_NS6detail17trampoline_kernelINS0_14default_configENS1_29reduce_by_key_config_selectorIttN6thrust23THRUST_200600_302600_NS4plusItEEEEZZNS1_33reduce_by_key_impl_wrapped_configILNS1_25lookback_scan_determinismE0ES3_S9_NS6_6detail15normal_iteratorINS6_10device_ptrItEEEESG_SG_SG_PmS8_NS6_8equal_toItEEEE10hipError_tPvRmT2_T3_mT4_T5_T6_T7_T8_P12ihipStream_tbENKUlT_T0_E_clISt17integral_constantIbLb0EES10_IbLb1EEEEDaSW_SX_EUlSW_E_NS1_11comp_targetILNS1_3genE9ELNS1_11target_archE1100ELNS1_3gpuE3ELNS1_3repE0EEENS1_30default_config_static_selectorELNS0_4arch9wavefront6targetE1EEEvT1_
	.p2align	8
	.type	_ZN7rocprim17ROCPRIM_400000_NS6detail17trampoline_kernelINS0_14default_configENS1_29reduce_by_key_config_selectorIttN6thrust23THRUST_200600_302600_NS4plusItEEEEZZNS1_33reduce_by_key_impl_wrapped_configILNS1_25lookback_scan_determinismE0ES3_S9_NS6_6detail15normal_iteratorINS6_10device_ptrItEEEESG_SG_SG_PmS8_NS6_8equal_toItEEEE10hipError_tPvRmT2_T3_mT4_T5_T6_T7_T8_P12ihipStream_tbENKUlT_T0_E_clISt17integral_constantIbLb0EES10_IbLb1EEEEDaSW_SX_EUlSW_E_NS1_11comp_targetILNS1_3genE9ELNS1_11target_archE1100ELNS1_3gpuE3ELNS1_3repE0EEENS1_30default_config_static_selectorELNS0_4arch9wavefront6targetE1EEEvT1_,@function
_ZN7rocprim17ROCPRIM_400000_NS6detail17trampoline_kernelINS0_14default_configENS1_29reduce_by_key_config_selectorIttN6thrust23THRUST_200600_302600_NS4plusItEEEEZZNS1_33reduce_by_key_impl_wrapped_configILNS1_25lookback_scan_determinismE0ES3_S9_NS6_6detail15normal_iteratorINS6_10device_ptrItEEEESG_SG_SG_PmS8_NS6_8equal_toItEEEE10hipError_tPvRmT2_T3_mT4_T5_T6_T7_T8_P12ihipStream_tbENKUlT_T0_E_clISt17integral_constantIbLb0EES10_IbLb1EEEEDaSW_SX_EUlSW_E_NS1_11comp_targetILNS1_3genE9ELNS1_11target_archE1100ELNS1_3gpuE3ELNS1_3repE0EEENS1_30default_config_static_selectorELNS0_4arch9wavefront6targetE1EEEvT1_: ; @_ZN7rocprim17ROCPRIM_400000_NS6detail17trampoline_kernelINS0_14default_configENS1_29reduce_by_key_config_selectorIttN6thrust23THRUST_200600_302600_NS4plusItEEEEZZNS1_33reduce_by_key_impl_wrapped_configILNS1_25lookback_scan_determinismE0ES3_S9_NS6_6detail15normal_iteratorINS6_10device_ptrItEEEESG_SG_SG_PmS8_NS6_8equal_toItEEEE10hipError_tPvRmT2_T3_mT4_T5_T6_T7_T8_P12ihipStream_tbENKUlT_T0_E_clISt17integral_constantIbLb0EES10_IbLb1EEEEDaSW_SX_EUlSW_E_NS1_11comp_targetILNS1_3genE9ELNS1_11target_archE1100ELNS1_3gpuE3ELNS1_3repE0EEENS1_30default_config_static_selectorELNS0_4arch9wavefront6targetE1EEEvT1_
; %bb.0:
	.section	.rodata,"a",@progbits
	.p2align	6, 0x0
	.amdhsa_kernel _ZN7rocprim17ROCPRIM_400000_NS6detail17trampoline_kernelINS0_14default_configENS1_29reduce_by_key_config_selectorIttN6thrust23THRUST_200600_302600_NS4plusItEEEEZZNS1_33reduce_by_key_impl_wrapped_configILNS1_25lookback_scan_determinismE0ES3_S9_NS6_6detail15normal_iteratorINS6_10device_ptrItEEEESG_SG_SG_PmS8_NS6_8equal_toItEEEE10hipError_tPvRmT2_T3_mT4_T5_T6_T7_T8_P12ihipStream_tbENKUlT_T0_E_clISt17integral_constantIbLb0EES10_IbLb1EEEEDaSW_SX_EUlSW_E_NS1_11comp_targetILNS1_3genE9ELNS1_11target_archE1100ELNS1_3gpuE3ELNS1_3repE0EEENS1_30default_config_static_selectorELNS0_4arch9wavefront6targetE1EEEvT1_
		.amdhsa_group_segment_fixed_size 0
		.amdhsa_private_segment_fixed_size 0
		.amdhsa_kernarg_size 120
		.amdhsa_user_sgpr_count 6
		.amdhsa_user_sgpr_private_segment_buffer 1
		.amdhsa_user_sgpr_dispatch_ptr 0
		.amdhsa_user_sgpr_queue_ptr 0
		.amdhsa_user_sgpr_kernarg_segment_ptr 1
		.amdhsa_user_sgpr_dispatch_id 0
		.amdhsa_user_sgpr_flat_scratch_init 0
		.amdhsa_user_sgpr_kernarg_preload_length 0
		.amdhsa_user_sgpr_kernarg_preload_offset 0
		.amdhsa_user_sgpr_private_segment_size 0
		.amdhsa_uses_dynamic_stack 0
		.amdhsa_system_sgpr_private_segment_wavefront_offset 0
		.amdhsa_system_sgpr_workgroup_id_x 1
		.amdhsa_system_sgpr_workgroup_id_y 0
		.amdhsa_system_sgpr_workgroup_id_z 0
		.amdhsa_system_sgpr_workgroup_info 0
		.amdhsa_system_vgpr_workitem_id 0
		.amdhsa_next_free_vgpr 1
		.amdhsa_next_free_sgpr 0
		.amdhsa_accum_offset 4
		.amdhsa_reserve_vcc 0
		.amdhsa_reserve_flat_scratch 0
		.amdhsa_float_round_mode_32 0
		.amdhsa_float_round_mode_16_64 0
		.amdhsa_float_denorm_mode_32 3
		.amdhsa_float_denorm_mode_16_64 3
		.amdhsa_dx10_clamp 1
		.amdhsa_ieee_mode 1
		.amdhsa_fp16_overflow 0
		.amdhsa_tg_split 0
		.amdhsa_exception_fp_ieee_invalid_op 0
		.amdhsa_exception_fp_denorm_src 0
		.amdhsa_exception_fp_ieee_div_zero 0
		.amdhsa_exception_fp_ieee_overflow 0
		.amdhsa_exception_fp_ieee_underflow 0
		.amdhsa_exception_fp_ieee_inexact 0
		.amdhsa_exception_int_div_zero 0
	.end_amdhsa_kernel
	.section	.text._ZN7rocprim17ROCPRIM_400000_NS6detail17trampoline_kernelINS0_14default_configENS1_29reduce_by_key_config_selectorIttN6thrust23THRUST_200600_302600_NS4plusItEEEEZZNS1_33reduce_by_key_impl_wrapped_configILNS1_25lookback_scan_determinismE0ES3_S9_NS6_6detail15normal_iteratorINS6_10device_ptrItEEEESG_SG_SG_PmS8_NS6_8equal_toItEEEE10hipError_tPvRmT2_T3_mT4_T5_T6_T7_T8_P12ihipStream_tbENKUlT_T0_E_clISt17integral_constantIbLb0EES10_IbLb1EEEEDaSW_SX_EUlSW_E_NS1_11comp_targetILNS1_3genE9ELNS1_11target_archE1100ELNS1_3gpuE3ELNS1_3repE0EEENS1_30default_config_static_selectorELNS0_4arch9wavefront6targetE1EEEvT1_,"axG",@progbits,_ZN7rocprim17ROCPRIM_400000_NS6detail17trampoline_kernelINS0_14default_configENS1_29reduce_by_key_config_selectorIttN6thrust23THRUST_200600_302600_NS4plusItEEEEZZNS1_33reduce_by_key_impl_wrapped_configILNS1_25lookback_scan_determinismE0ES3_S9_NS6_6detail15normal_iteratorINS6_10device_ptrItEEEESG_SG_SG_PmS8_NS6_8equal_toItEEEE10hipError_tPvRmT2_T3_mT4_T5_T6_T7_T8_P12ihipStream_tbENKUlT_T0_E_clISt17integral_constantIbLb0EES10_IbLb1EEEEDaSW_SX_EUlSW_E_NS1_11comp_targetILNS1_3genE9ELNS1_11target_archE1100ELNS1_3gpuE3ELNS1_3repE0EEENS1_30default_config_static_selectorELNS0_4arch9wavefront6targetE1EEEvT1_,comdat
.Lfunc_end429:
	.size	_ZN7rocprim17ROCPRIM_400000_NS6detail17trampoline_kernelINS0_14default_configENS1_29reduce_by_key_config_selectorIttN6thrust23THRUST_200600_302600_NS4plusItEEEEZZNS1_33reduce_by_key_impl_wrapped_configILNS1_25lookback_scan_determinismE0ES3_S9_NS6_6detail15normal_iteratorINS6_10device_ptrItEEEESG_SG_SG_PmS8_NS6_8equal_toItEEEE10hipError_tPvRmT2_T3_mT4_T5_T6_T7_T8_P12ihipStream_tbENKUlT_T0_E_clISt17integral_constantIbLb0EES10_IbLb1EEEEDaSW_SX_EUlSW_E_NS1_11comp_targetILNS1_3genE9ELNS1_11target_archE1100ELNS1_3gpuE3ELNS1_3repE0EEENS1_30default_config_static_selectorELNS0_4arch9wavefront6targetE1EEEvT1_, .Lfunc_end429-_ZN7rocprim17ROCPRIM_400000_NS6detail17trampoline_kernelINS0_14default_configENS1_29reduce_by_key_config_selectorIttN6thrust23THRUST_200600_302600_NS4plusItEEEEZZNS1_33reduce_by_key_impl_wrapped_configILNS1_25lookback_scan_determinismE0ES3_S9_NS6_6detail15normal_iteratorINS6_10device_ptrItEEEESG_SG_SG_PmS8_NS6_8equal_toItEEEE10hipError_tPvRmT2_T3_mT4_T5_T6_T7_T8_P12ihipStream_tbENKUlT_T0_E_clISt17integral_constantIbLb0EES10_IbLb1EEEEDaSW_SX_EUlSW_E_NS1_11comp_targetILNS1_3genE9ELNS1_11target_archE1100ELNS1_3gpuE3ELNS1_3repE0EEENS1_30default_config_static_selectorELNS0_4arch9wavefront6targetE1EEEvT1_
                                        ; -- End function
	.section	.AMDGPU.csdata,"",@progbits
; Kernel info:
; codeLenInByte = 0
; NumSgprs: 4
; NumVgprs: 0
; NumAgprs: 0
; TotalNumVgprs: 0
; ScratchSize: 0
; MemoryBound: 0
; FloatMode: 240
; IeeeMode: 1
; LDSByteSize: 0 bytes/workgroup (compile time only)
; SGPRBlocks: 0
; VGPRBlocks: 0
; NumSGPRsForWavesPerEU: 4
; NumVGPRsForWavesPerEU: 1
; AccumOffset: 4
; Occupancy: 8
; WaveLimiterHint : 0
; COMPUTE_PGM_RSRC2:SCRATCH_EN: 0
; COMPUTE_PGM_RSRC2:USER_SGPR: 6
; COMPUTE_PGM_RSRC2:TRAP_HANDLER: 0
; COMPUTE_PGM_RSRC2:TGID_X_EN: 1
; COMPUTE_PGM_RSRC2:TGID_Y_EN: 0
; COMPUTE_PGM_RSRC2:TGID_Z_EN: 0
; COMPUTE_PGM_RSRC2:TIDIG_COMP_CNT: 0
; COMPUTE_PGM_RSRC3_GFX90A:ACCUM_OFFSET: 0
; COMPUTE_PGM_RSRC3_GFX90A:TG_SPLIT: 0
	.section	.text._ZN7rocprim17ROCPRIM_400000_NS6detail17trampoline_kernelINS0_14default_configENS1_29reduce_by_key_config_selectorIttN6thrust23THRUST_200600_302600_NS4plusItEEEEZZNS1_33reduce_by_key_impl_wrapped_configILNS1_25lookback_scan_determinismE0ES3_S9_NS6_6detail15normal_iteratorINS6_10device_ptrItEEEESG_SG_SG_PmS8_NS6_8equal_toItEEEE10hipError_tPvRmT2_T3_mT4_T5_T6_T7_T8_P12ihipStream_tbENKUlT_T0_E_clISt17integral_constantIbLb0EES10_IbLb1EEEEDaSW_SX_EUlSW_E_NS1_11comp_targetILNS1_3genE8ELNS1_11target_archE1030ELNS1_3gpuE2ELNS1_3repE0EEENS1_30default_config_static_selectorELNS0_4arch9wavefront6targetE1EEEvT1_,"axG",@progbits,_ZN7rocprim17ROCPRIM_400000_NS6detail17trampoline_kernelINS0_14default_configENS1_29reduce_by_key_config_selectorIttN6thrust23THRUST_200600_302600_NS4plusItEEEEZZNS1_33reduce_by_key_impl_wrapped_configILNS1_25lookback_scan_determinismE0ES3_S9_NS6_6detail15normal_iteratorINS6_10device_ptrItEEEESG_SG_SG_PmS8_NS6_8equal_toItEEEE10hipError_tPvRmT2_T3_mT4_T5_T6_T7_T8_P12ihipStream_tbENKUlT_T0_E_clISt17integral_constantIbLb0EES10_IbLb1EEEEDaSW_SX_EUlSW_E_NS1_11comp_targetILNS1_3genE8ELNS1_11target_archE1030ELNS1_3gpuE2ELNS1_3repE0EEENS1_30default_config_static_selectorELNS0_4arch9wavefront6targetE1EEEvT1_,comdat
	.protected	_ZN7rocprim17ROCPRIM_400000_NS6detail17trampoline_kernelINS0_14default_configENS1_29reduce_by_key_config_selectorIttN6thrust23THRUST_200600_302600_NS4plusItEEEEZZNS1_33reduce_by_key_impl_wrapped_configILNS1_25lookback_scan_determinismE0ES3_S9_NS6_6detail15normal_iteratorINS6_10device_ptrItEEEESG_SG_SG_PmS8_NS6_8equal_toItEEEE10hipError_tPvRmT2_T3_mT4_T5_T6_T7_T8_P12ihipStream_tbENKUlT_T0_E_clISt17integral_constantIbLb0EES10_IbLb1EEEEDaSW_SX_EUlSW_E_NS1_11comp_targetILNS1_3genE8ELNS1_11target_archE1030ELNS1_3gpuE2ELNS1_3repE0EEENS1_30default_config_static_selectorELNS0_4arch9wavefront6targetE1EEEvT1_ ; -- Begin function _ZN7rocprim17ROCPRIM_400000_NS6detail17trampoline_kernelINS0_14default_configENS1_29reduce_by_key_config_selectorIttN6thrust23THRUST_200600_302600_NS4plusItEEEEZZNS1_33reduce_by_key_impl_wrapped_configILNS1_25lookback_scan_determinismE0ES3_S9_NS6_6detail15normal_iteratorINS6_10device_ptrItEEEESG_SG_SG_PmS8_NS6_8equal_toItEEEE10hipError_tPvRmT2_T3_mT4_T5_T6_T7_T8_P12ihipStream_tbENKUlT_T0_E_clISt17integral_constantIbLb0EES10_IbLb1EEEEDaSW_SX_EUlSW_E_NS1_11comp_targetILNS1_3genE8ELNS1_11target_archE1030ELNS1_3gpuE2ELNS1_3repE0EEENS1_30default_config_static_selectorELNS0_4arch9wavefront6targetE1EEEvT1_
	.globl	_ZN7rocprim17ROCPRIM_400000_NS6detail17trampoline_kernelINS0_14default_configENS1_29reduce_by_key_config_selectorIttN6thrust23THRUST_200600_302600_NS4plusItEEEEZZNS1_33reduce_by_key_impl_wrapped_configILNS1_25lookback_scan_determinismE0ES3_S9_NS6_6detail15normal_iteratorINS6_10device_ptrItEEEESG_SG_SG_PmS8_NS6_8equal_toItEEEE10hipError_tPvRmT2_T3_mT4_T5_T6_T7_T8_P12ihipStream_tbENKUlT_T0_E_clISt17integral_constantIbLb0EES10_IbLb1EEEEDaSW_SX_EUlSW_E_NS1_11comp_targetILNS1_3genE8ELNS1_11target_archE1030ELNS1_3gpuE2ELNS1_3repE0EEENS1_30default_config_static_selectorELNS0_4arch9wavefront6targetE1EEEvT1_
	.p2align	8
	.type	_ZN7rocprim17ROCPRIM_400000_NS6detail17trampoline_kernelINS0_14default_configENS1_29reduce_by_key_config_selectorIttN6thrust23THRUST_200600_302600_NS4plusItEEEEZZNS1_33reduce_by_key_impl_wrapped_configILNS1_25lookback_scan_determinismE0ES3_S9_NS6_6detail15normal_iteratorINS6_10device_ptrItEEEESG_SG_SG_PmS8_NS6_8equal_toItEEEE10hipError_tPvRmT2_T3_mT4_T5_T6_T7_T8_P12ihipStream_tbENKUlT_T0_E_clISt17integral_constantIbLb0EES10_IbLb1EEEEDaSW_SX_EUlSW_E_NS1_11comp_targetILNS1_3genE8ELNS1_11target_archE1030ELNS1_3gpuE2ELNS1_3repE0EEENS1_30default_config_static_selectorELNS0_4arch9wavefront6targetE1EEEvT1_,@function
_ZN7rocprim17ROCPRIM_400000_NS6detail17trampoline_kernelINS0_14default_configENS1_29reduce_by_key_config_selectorIttN6thrust23THRUST_200600_302600_NS4plusItEEEEZZNS1_33reduce_by_key_impl_wrapped_configILNS1_25lookback_scan_determinismE0ES3_S9_NS6_6detail15normal_iteratorINS6_10device_ptrItEEEESG_SG_SG_PmS8_NS6_8equal_toItEEEE10hipError_tPvRmT2_T3_mT4_T5_T6_T7_T8_P12ihipStream_tbENKUlT_T0_E_clISt17integral_constantIbLb0EES10_IbLb1EEEEDaSW_SX_EUlSW_E_NS1_11comp_targetILNS1_3genE8ELNS1_11target_archE1030ELNS1_3gpuE2ELNS1_3repE0EEENS1_30default_config_static_selectorELNS0_4arch9wavefront6targetE1EEEvT1_: ; @_ZN7rocprim17ROCPRIM_400000_NS6detail17trampoline_kernelINS0_14default_configENS1_29reduce_by_key_config_selectorIttN6thrust23THRUST_200600_302600_NS4plusItEEEEZZNS1_33reduce_by_key_impl_wrapped_configILNS1_25lookback_scan_determinismE0ES3_S9_NS6_6detail15normal_iteratorINS6_10device_ptrItEEEESG_SG_SG_PmS8_NS6_8equal_toItEEEE10hipError_tPvRmT2_T3_mT4_T5_T6_T7_T8_P12ihipStream_tbENKUlT_T0_E_clISt17integral_constantIbLb0EES10_IbLb1EEEEDaSW_SX_EUlSW_E_NS1_11comp_targetILNS1_3genE8ELNS1_11target_archE1030ELNS1_3gpuE2ELNS1_3repE0EEENS1_30default_config_static_selectorELNS0_4arch9wavefront6targetE1EEEvT1_
; %bb.0:
	.section	.rodata,"a",@progbits
	.p2align	6, 0x0
	.amdhsa_kernel _ZN7rocprim17ROCPRIM_400000_NS6detail17trampoline_kernelINS0_14default_configENS1_29reduce_by_key_config_selectorIttN6thrust23THRUST_200600_302600_NS4plusItEEEEZZNS1_33reduce_by_key_impl_wrapped_configILNS1_25lookback_scan_determinismE0ES3_S9_NS6_6detail15normal_iteratorINS6_10device_ptrItEEEESG_SG_SG_PmS8_NS6_8equal_toItEEEE10hipError_tPvRmT2_T3_mT4_T5_T6_T7_T8_P12ihipStream_tbENKUlT_T0_E_clISt17integral_constantIbLb0EES10_IbLb1EEEEDaSW_SX_EUlSW_E_NS1_11comp_targetILNS1_3genE8ELNS1_11target_archE1030ELNS1_3gpuE2ELNS1_3repE0EEENS1_30default_config_static_selectorELNS0_4arch9wavefront6targetE1EEEvT1_
		.amdhsa_group_segment_fixed_size 0
		.amdhsa_private_segment_fixed_size 0
		.amdhsa_kernarg_size 120
		.amdhsa_user_sgpr_count 6
		.amdhsa_user_sgpr_private_segment_buffer 1
		.amdhsa_user_sgpr_dispatch_ptr 0
		.amdhsa_user_sgpr_queue_ptr 0
		.amdhsa_user_sgpr_kernarg_segment_ptr 1
		.amdhsa_user_sgpr_dispatch_id 0
		.amdhsa_user_sgpr_flat_scratch_init 0
		.amdhsa_user_sgpr_kernarg_preload_length 0
		.amdhsa_user_sgpr_kernarg_preload_offset 0
		.amdhsa_user_sgpr_private_segment_size 0
		.amdhsa_uses_dynamic_stack 0
		.amdhsa_system_sgpr_private_segment_wavefront_offset 0
		.amdhsa_system_sgpr_workgroup_id_x 1
		.amdhsa_system_sgpr_workgroup_id_y 0
		.amdhsa_system_sgpr_workgroup_id_z 0
		.amdhsa_system_sgpr_workgroup_info 0
		.amdhsa_system_vgpr_workitem_id 0
		.amdhsa_next_free_vgpr 1
		.amdhsa_next_free_sgpr 0
		.amdhsa_accum_offset 4
		.amdhsa_reserve_vcc 0
		.amdhsa_reserve_flat_scratch 0
		.amdhsa_float_round_mode_32 0
		.amdhsa_float_round_mode_16_64 0
		.amdhsa_float_denorm_mode_32 3
		.amdhsa_float_denorm_mode_16_64 3
		.amdhsa_dx10_clamp 1
		.amdhsa_ieee_mode 1
		.amdhsa_fp16_overflow 0
		.amdhsa_tg_split 0
		.amdhsa_exception_fp_ieee_invalid_op 0
		.amdhsa_exception_fp_denorm_src 0
		.amdhsa_exception_fp_ieee_div_zero 0
		.amdhsa_exception_fp_ieee_overflow 0
		.amdhsa_exception_fp_ieee_underflow 0
		.amdhsa_exception_fp_ieee_inexact 0
		.amdhsa_exception_int_div_zero 0
	.end_amdhsa_kernel
	.section	.text._ZN7rocprim17ROCPRIM_400000_NS6detail17trampoline_kernelINS0_14default_configENS1_29reduce_by_key_config_selectorIttN6thrust23THRUST_200600_302600_NS4plusItEEEEZZNS1_33reduce_by_key_impl_wrapped_configILNS1_25lookback_scan_determinismE0ES3_S9_NS6_6detail15normal_iteratorINS6_10device_ptrItEEEESG_SG_SG_PmS8_NS6_8equal_toItEEEE10hipError_tPvRmT2_T3_mT4_T5_T6_T7_T8_P12ihipStream_tbENKUlT_T0_E_clISt17integral_constantIbLb0EES10_IbLb1EEEEDaSW_SX_EUlSW_E_NS1_11comp_targetILNS1_3genE8ELNS1_11target_archE1030ELNS1_3gpuE2ELNS1_3repE0EEENS1_30default_config_static_selectorELNS0_4arch9wavefront6targetE1EEEvT1_,"axG",@progbits,_ZN7rocprim17ROCPRIM_400000_NS6detail17trampoline_kernelINS0_14default_configENS1_29reduce_by_key_config_selectorIttN6thrust23THRUST_200600_302600_NS4plusItEEEEZZNS1_33reduce_by_key_impl_wrapped_configILNS1_25lookback_scan_determinismE0ES3_S9_NS6_6detail15normal_iteratorINS6_10device_ptrItEEEESG_SG_SG_PmS8_NS6_8equal_toItEEEE10hipError_tPvRmT2_T3_mT4_T5_T6_T7_T8_P12ihipStream_tbENKUlT_T0_E_clISt17integral_constantIbLb0EES10_IbLb1EEEEDaSW_SX_EUlSW_E_NS1_11comp_targetILNS1_3genE8ELNS1_11target_archE1030ELNS1_3gpuE2ELNS1_3repE0EEENS1_30default_config_static_selectorELNS0_4arch9wavefront6targetE1EEEvT1_,comdat
.Lfunc_end430:
	.size	_ZN7rocprim17ROCPRIM_400000_NS6detail17trampoline_kernelINS0_14default_configENS1_29reduce_by_key_config_selectorIttN6thrust23THRUST_200600_302600_NS4plusItEEEEZZNS1_33reduce_by_key_impl_wrapped_configILNS1_25lookback_scan_determinismE0ES3_S9_NS6_6detail15normal_iteratorINS6_10device_ptrItEEEESG_SG_SG_PmS8_NS6_8equal_toItEEEE10hipError_tPvRmT2_T3_mT4_T5_T6_T7_T8_P12ihipStream_tbENKUlT_T0_E_clISt17integral_constantIbLb0EES10_IbLb1EEEEDaSW_SX_EUlSW_E_NS1_11comp_targetILNS1_3genE8ELNS1_11target_archE1030ELNS1_3gpuE2ELNS1_3repE0EEENS1_30default_config_static_selectorELNS0_4arch9wavefront6targetE1EEEvT1_, .Lfunc_end430-_ZN7rocprim17ROCPRIM_400000_NS6detail17trampoline_kernelINS0_14default_configENS1_29reduce_by_key_config_selectorIttN6thrust23THRUST_200600_302600_NS4plusItEEEEZZNS1_33reduce_by_key_impl_wrapped_configILNS1_25lookback_scan_determinismE0ES3_S9_NS6_6detail15normal_iteratorINS6_10device_ptrItEEEESG_SG_SG_PmS8_NS6_8equal_toItEEEE10hipError_tPvRmT2_T3_mT4_T5_T6_T7_T8_P12ihipStream_tbENKUlT_T0_E_clISt17integral_constantIbLb0EES10_IbLb1EEEEDaSW_SX_EUlSW_E_NS1_11comp_targetILNS1_3genE8ELNS1_11target_archE1030ELNS1_3gpuE2ELNS1_3repE0EEENS1_30default_config_static_selectorELNS0_4arch9wavefront6targetE1EEEvT1_
                                        ; -- End function
	.section	.AMDGPU.csdata,"",@progbits
; Kernel info:
; codeLenInByte = 0
; NumSgprs: 4
; NumVgprs: 0
; NumAgprs: 0
; TotalNumVgprs: 0
; ScratchSize: 0
; MemoryBound: 0
; FloatMode: 240
; IeeeMode: 1
; LDSByteSize: 0 bytes/workgroup (compile time only)
; SGPRBlocks: 0
; VGPRBlocks: 0
; NumSGPRsForWavesPerEU: 4
; NumVGPRsForWavesPerEU: 1
; AccumOffset: 4
; Occupancy: 8
; WaveLimiterHint : 0
; COMPUTE_PGM_RSRC2:SCRATCH_EN: 0
; COMPUTE_PGM_RSRC2:USER_SGPR: 6
; COMPUTE_PGM_RSRC2:TRAP_HANDLER: 0
; COMPUTE_PGM_RSRC2:TGID_X_EN: 1
; COMPUTE_PGM_RSRC2:TGID_Y_EN: 0
; COMPUTE_PGM_RSRC2:TGID_Z_EN: 0
; COMPUTE_PGM_RSRC2:TIDIG_COMP_CNT: 0
; COMPUTE_PGM_RSRC3_GFX90A:ACCUM_OFFSET: 0
; COMPUTE_PGM_RSRC3_GFX90A:TG_SPLIT: 0
	.section	.text._ZN7rocprim17ROCPRIM_400000_NS6detail17trampoline_kernelINS0_14default_configENS1_29reduce_by_key_config_selectorIttN6thrust23THRUST_200600_302600_NS4plusItEEEEZZNS1_33reduce_by_key_impl_wrapped_configILNS1_25lookback_scan_determinismE0ES3_S9_NS6_6detail15normal_iteratorINS6_10device_ptrItEEEESG_SG_SG_PmS8_22is_equal_div_10_reduceItEEE10hipError_tPvRmT2_T3_mT4_T5_T6_T7_T8_P12ihipStream_tbENKUlT_T0_E_clISt17integral_constantIbLb0EES11_EEDaSW_SX_EUlSW_E_NS1_11comp_targetILNS1_3genE0ELNS1_11target_archE4294967295ELNS1_3gpuE0ELNS1_3repE0EEENS1_30default_config_static_selectorELNS0_4arch9wavefront6targetE1EEEvT1_,"axG",@progbits,_ZN7rocprim17ROCPRIM_400000_NS6detail17trampoline_kernelINS0_14default_configENS1_29reduce_by_key_config_selectorIttN6thrust23THRUST_200600_302600_NS4plusItEEEEZZNS1_33reduce_by_key_impl_wrapped_configILNS1_25lookback_scan_determinismE0ES3_S9_NS6_6detail15normal_iteratorINS6_10device_ptrItEEEESG_SG_SG_PmS8_22is_equal_div_10_reduceItEEE10hipError_tPvRmT2_T3_mT4_T5_T6_T7_T8_P12ihipStream_tbENKUlT_T0_E_clISt17integral_constantIbLb0EES11_EEDaSW_SX_EUlSW_E_NS1_11comp_targetILNS1_3genE0ELNS1_11target_archE4294967295ELNS1_3gpuE0ELNS1_3repE0EEENS1_30default_config_static_selectorELNS0_4arch9wavefront6targetE1EEEvT1_,comdat
	.protected	_ZN7rocprim17ROCPRIM_400000_NS6detail17trampoline_kernelINS0_14default_configENS1_29reduce_by_key_config_selectorIttN6thrust23THRUST_200600_302600_NS4plusItEEEEZZNS1_33reduce_by_key_impl_wrapped_configILNS1_25lookback_scan_determinismE0ES3_S9_NS6_6detail15normal_iteratorINS6_10device_ptrItEEEESG_SG_SG_PmS8_22is_equal_div_10_reduceItEEE10hipError_tPvRmT2_T3_mT4_T5_T6_T7_T8_P12ihipStream_tbENKUlT_T0_E_clISt17integral_constantIbLb0EES11_EEDaSW_SX_EUlSW_E_NS1_11comp_targetILNS1_3genE0ELNS1_11target_archE4294967295ELNS1_3gpuE0ELNS1_3repE0EEENS1_30default_config_static_selectorELNS0_4arch9wavefront6targetE1EEEvT1_ ; -- Begin function _ZN7rocprim17ROCPRIM_400000_NS6detail17trampoline_kernelINS0_14default_configENS1_29reduce_by_key_config_selectorIttN6thrust23THRUST_200600_302600_NS4plusItEEEEZZNS1_33reduce_by_key_impl_wrapped_configILNS1_25lookback_scan_determinismE0ES3_S9_NS6_6detail15normal_iteratorINS6_10device_ptrItEEEESG_SG_SG_PmS8_22is_equal_div_10_reduceItEEE10hipError_tPvRmT2_T3_mT4_T5_T6_T7_T8_P12ihipStream_tbENKUlT_T0_E_clISt17integral_constantIbLb0EES11_EEDaSW_SX_EUlSW_E_NS1_11comp_targetILNS1_3genE0ELNS1_11target_archE4294967295ELNS1_3gpuE0ELNS1_3repE0EEENS1_30default_config_static_selectorELNS0_4arch9wavefront6targetE1EEEvT1_
	.globl	_ZN7rocprim17ROCPRIM_400000_NS6detail17trampoline_kernelINS0_14default_configENS1_29reduce_by_key_config_selectorIttN6thrust23THRUST_200600_302600_NS4plusItEEEEZZNS1_33reduce_by_key_impl_wrapped_configILNS1_25lookback_scan_determinismE0ES3_S9_NS6_6detail15normal_iteratorINS6_10device_ptrItEEEESG_SG_SG_PmS8_22is_equal_div_10_reduceItEEE10hipError_tPvRmT2_T3_mT4_T5_T6_T7_T8_P12ihipStream_tbENKUlT_T0_E_clISt17integral_constantIbLb0EES11_EEDaSW_SX_EUlSW_E_NS1_11comp_targetILNS1_3genE0ELNS1_11target_archE4294967295ELNS1_3gpuE0ELNS1_3repE0EEENS1_30default_config_static_selectorELNS0_4arch9wavefront6targetE1EEEvT1_
	.p2align	8
	.type	_ZN7rocprim17ROCPRIM_400000_NS6detail17trampoline_kernelINS0_14default_configENS1_29reduce_by_key_config_selectorIttN6thrust23THRUST_200600_302600_NS4plusItEEEEZZNS1_33reduce_by_key_impl_wrapped_configILNS1_25lookback_scan_determinismE0ES3_S9_NS6_6detail15normal_iteratorINS6_10device_ptrItEEEESG_SG_SG_PmS8_22is_equal_div_10_reduceItEEE10hipError_tPvRmT2_T3_mT4_T5_T6_T7_T8_P12ihipStream_tbENKUlT_T0_E_clISt17integral_constantIbLb0EES11_EEDaSW_SX_EUlSW_E_NS1_11comp_targetILNS1_3genE0ELNS1_11target_archE4294967295ELNS1_3gpuE0ELNS1_3repE0EEENS1_30default_config_static_selectorELNS0_4arch9wavefront6targetE1EEEvT1_,@function
_ZN7rocprim17ROCPRIM_400000_NS6detail17trampoline_kernelINS0_14default_configENS1_29reduce_by_key_config_selectorIttN6thrust23THRUST_200600_302600_NS4plusItEEEEZZNS1_33reduce_by_key_impl_wrapped_configILNS1_25lookback_scan_determinismE0ES3_S9_NS6_6detail15normal_iteratorINS6_10device_ptrItEEEESG_SG_SG_PmS8_22is_equal_div_10_reduceItEEE10hipError_tPvRmT2_T3_mT4_T5_T6_T7_T8_P12ihipStream_tbENKUlT_T0_E_clISt17integral_constantIbLb0EES11_EEDaSW_SX_EUlSW_E_NS1_11comp_targetILNS1_3genE0ELNS1_11target_archE4294967295ELNS1_3gpuE0ELNS1_3repE0EEENS1_30default_config_static_selectorELNS0_4arch9wavefront6targetE1EEEvT1_: ; @_ZN7rocprim17ROCPRIM_400000_NS6detail17trampoline_kernelINS0_14default_configENS1_29reduce_by_key_config_selectorIttN6thrust23THRUST_200600_302600_NS4plusItEEEEZZNS1_33reduce_by_key_impl_wrapped_configILNS1_25lookback_scan_determinismE0ES3_S9_NS6_6detail15normal_iteratorINS6_10device_ptrItEEEESG_SG_SG_PmS8_22is_equal_div_10_reduceItEEE10hipError_tPvRmT2_T3_mT4_T5_T6_T7_T8_P12ihipStream_tbENKUlT_T0_E_clISt17integral_constantIbLb0EES11_EEDaSW_SX_EUlSW_E_NS1_11comp_targetILNS1_3genE0ELNS1_11target_archE4294967295ELNS1_3gpuE0ELNS1_3repE0EEENS1_30default_config_static_selectorELNS0_4arch9wavefront6targetE1EEEvT1_
; %bb.0:
	.section	.rodata,"a",@progbits
	.p2align	6, 0x0
	.amdhsa_kernel _ZN7rocprim17ROCPRIM_400000_NS6detail17trampoline_kernelINS0_14default_configENS1_29reduce_by_key_config_selectorIttN6thrust23THRUST_200600_302600_NS4plusItEEEEZZNS1_33reduce_by_key_impl_wrapped_configILNS1_25lookback_scan_determinismE0ES3_S9_NS6_6detail15normal_iteratorINS6_10device_ptrItEEEESG_SG_SG_PmS8_22is_equal_div_10_reduceItEEE10hipError_tPvRmT2_T3_mT4_T5_T6_T7_T8_P12ihipStream_tbENKUlT_T0_E_clISt17integral_constantIbLb0EES11_EEDaSW_SX_EUlSW_E_NS1_11comp_targetILNS1_3genE0ELNS1_11target_archE4294967295ELNS1_3gpuE0ELNS1_3repE0EEENS1_30default_config_static_selectorELNS0_4arch9wavefront6targetE1EEEvT1_
		.amdhsa_group_segment_fixed_size 0
		.amdhsa_private_segment_fixed_size 0
		.amdhsa_kernarg_size 120
		.amdhsa_user_sgpr_count 6
		.amdhsa_user_sgpr_private_segment_buffer 1
		.amdhsa_user_sgpr_dispatch_ptr 0
		.amdhsa_user_sgpr_queue_ptr 0
		.amdhsa_user_sgpr_kernarg_segment_ptr 1
		.amdhsa_user_sgpr_dispatch_id 0
		.amdhsa_user_sgpr_flat_scratch_init 0
		.amdhsa_user_sgpr_kernarg_preload_length 0
		.amdhsa_user_sgpr_kernarg_preload_offset 0
		.amdhsa_user_sgpr_private_segment_size 0
		.amdhsa_uses_dynamic_stack 0
		.amdhsa_system_sgpr_private_segment_wavefront_offset 0
		.amdhsa_system_sgpr_workgroup_id_x 1
		.amdhsa_system_sgpr_workgroup_id_y 0
		.amdhsa_system_sgpr_workgroup_id_z 0
		.amdhsa_system_sgpr_workgroup_info 0
		.amdhsa_system_vgpr_workitem_id 0
		.amdhsa_next_free_vgpr 1
		.amdhsa_next_free_sgpr 0
		.amdhsa_accum_offset 4
		.amdhsa_reserve_vcc 0
		.amdhsa_reserve_flat_scratch 0
		.amdhsa_float_round_mode_32 0
		.amdhsa_float_round_mode_16_64 0
		.amdhsa_float_denorm_mode_32 3
		.amdhsa_float_denorm_mode_16_64 3
		.amdhsa_dx10_clamp 1
		.amdhsa_ieee_mode 1
		.amdhsa_fp16_overflow 0
		.amdhsa_tg_split 0
		.amdhsa_exception_fp_ieee_invalid_op 0
		.amdhsa_exception_fp_denorm_src 0
		.amdhsa_exception_fp_ieee_div_zero 0
		.amdhsa_exception_fp_ieee_overflow 0
		.amdhsa_exception_fp_ieee_underflow 0
		.amdhsa_exception_fp_ieee_inexact 0
		.amdhsa_exception_int_div_zero 0
	.end_amdhsa_kernel
	.section	.text._ZN7rocprim17ROCPRIM_400000_NS6detail17trampoline_kernelINS0_14default_configENS1_29reduce_by_key_config_selectorIttN6thrust23THRUST_200600_302600_NS4plusItEEEEZZNS1_33reduce_by_key_impl_wrapped_configILNS1_25lookback_scan_determinismE0ES3_S9_NS6_6detail15normal_iteratorINS6_10device_ptrItEEEESG_SG_SG_PmS8_22is_equal_div_10_reduceItEEE10hipError_tPvRmT2_T3_mT4_T5_T6_T7_T8_P12ihipStream_tbENKUlT_T0_E_clISt17integral_constantIbLb0EES11_EEDaSW_SX_EUlSW_E_NS1_11comp_targetILNS1_3genE0ELNS1_11target_archE4294967295ELNS1_3gpuE0ELNS1_3repE0EEENS1_30default_config_static_selectorELNS0_4arch9wavefront6targetE1EEEvT1_,"axG",@progbits,_ZN7rocprim17ROCPRIM_400000_NS6detail17trampoline_kernelINS0_14default_configENS1_29reduce_by_key_config_selectorIttN6thrust23THRUST_200600_302600_NS4plusItEEEEZZNS1_33reduce_by_key_impl_wrapped_configILNS1_25lookback_scan_determinismE0ES3_S9_NS6_6detail15normal_iteratorINS6_10device_ptrItEEEESG_SG_SG_PmS8_22is_equal_div_10_reduceItEEE10hipError_tPvRmT2_T3_mT4_T5_T6_T7_T8_P12ihipStream_tbENKUlT_T0_E_clISt17integral_constantIbLb0EES11_EEDaSW_SX_EUlSW_E_NS1_11comp_targetILNS1_3genE0ELNS1_11target_archE4294967295ELNS1_3gpuE0ELNS1_3repE0EEENS1_30default_config_static_selectorELNS0_4arch9wavefront6targetE1EEEvT1_,comdat
.Lfunc_end431:
	.size	_ZN7rocprim17ROCPRIM_400000_NS6detail17trampoline_kernelINS0_14default_configENS1_29reduce_by_key_config_selectorIttN6thrust23THRUST_200600_302600_NS4plusItEEEEZZNS1_33reduce_by_key_impl_wrapped_configILNS1_25lookback_scan_determinismE0ES3_S9_NS6_6detail15normal_iteratorINS6_10device_ptrItEEEESG_SG_SG_PmS8_22is_equal_div_10_reduceItEEE10hipError_tPvRmT2_T3_mT4_T5_T6_T7_T8_P12ihipStream_tbENKUlT_T0_E_clISt17integral_constantIbLb0EES11_EEDaSW_SX_EUlSW_E_NS1_11comp_targetILNS1_3genE0ELNS1_11target_archE4294967295ELNS1_3gpuE0ELNS1_3repE0EEENS1_30default_config_static_selectorELNS0_4arch9wavefront6targetE1EEEvT1_, .Lfunc_end431-_ZN7rocprim17ROCPRIM_400000_NS6detail17trampoline_kernelINS0_14default_configENS1_29reduce_by_key_config_selectorIttN6thrust23THRUST_200600_302600_NS4plusItEEEEZZNS1_33reduce_by_key_impl_wrapped_configILNS1_25lookback_scan_determinismE0ES3_S9_NS6_6detail15normal_iteratorINS6_10device_ptrItEEEESG_SG_SG_PmS8_22is_equal_div_10_reduceItEEE10hipError_tPvRmT2_T3_mT4_T5_T6_T7_T8_P12ihipStream_tbENKUlT_T0_E_clISt17integral_constantIbLb0EES11_EEDaSW_SX_EUlSW_E_NS1_11comp_targetILNS1_3genE0ELNS1_11target_archE4294967295ELNS1_3gpuE0ELNS1_3repE0EEENS1_30default_config_static_selectorELNS0_4arch9wavefront6targetE1EEEvT1_
                                        ; -- End function
	.section	.AMDGPU.csdata,"",@progbits
; Kernel info:
; codeLenInByte = 0
; NumSgprs: 4
; NumVgprs: 0
; NumAgprs: 0
; TotalNumVgprs: 0
; ScratchSize: 0
; MemoryBound: 0
; FloatMode: 240
; IeeeMode: 1
; LDSByteSize: 0 bytes/workgroup (compile time only)
; SGPRBlocks: 0
; VGPRBlocks: 0
; NumSGPRsForWavesPerEU: 4
; NumVGPRsForWavesPerEU: 1
; AccumOffset: 4
; Occupancy: 8
; WaveLimiterHint : 0
; COMPUTE_PGM_RSRC2:SCRATCH_EN: 0
; COMPUTE_PGM_RSRC2:USER_SGPR: 6
; COMPUTE_PGM_RSRC2:TRAP_HANDLER: 0
; COMPUTE_PGM_RSRC2:TGID_X_EN: 1
; COMPUTE_PGM_RSRC2:TGID_Y_EN: 0
; COMPUTE_PGM_RSRC2:TGID_Z_EN: 0
; COMPUTE_PGM_RSRC2:TIDIG_COMP_CNT: 0
; COMPUTE_PGM_RSRC3_GFX90A:ACCUM_OFFSET: 0
; COMPUTE_PGM_RSRC3_GFX90A:TG_SPLIT: 0
	.section	.text._ZN7rocprim17ROCPRIM_400000_NS6detail17trampoline_kernelINS0_14default_configENS1_29reduce_by_key_config_selectorIttN6thrust23THRUST_200600_302600_NS4plusItEEEEZZNS1_33reduce_by_key_impl_wrapped_configILNS1_25lookback_scan_determinismE0ES3_S9_NS6_6detail15normal_iteratorINS6_10device_ptrItEEEESG_SG_SG_PmS8_22is_equal_div_10_reduceItEEE10hipError_tPvRmT2_T3_mT4_T5_T6_T7_T8_P12ihipStream_tbENKUlT_T0_E_clISt17integral_constantIbLb0EES11_EEDaSW_SX_EUlSW_E_NS1_11comp_targetILNS1_3genE5ELNS1_11target_archE942ELNS1_3gpuE9ELNS1_3repE0EEENS1_30default_config_static_selectorELNS0_4arch9wavefront6targetE1EEEvT1_,"axG",@progbits,_ZN7rocprim17ROCPRIM_400000_NS6detail17trampoline_kernelINS0_14default_configENS1_29reduce_by_key_config_selectorIttN6thrust23THRUST_200600_302600_NS4plusItEEEEZZNS1_33reduce_by_key_impl_wrapped_configILNS1_25lookback_scan_determinismE0ES3_S9_NS6_6detail15normal_iteratorINS6_10device_ptrItEEEESG_SG_SG_PmS8_22is_equal_div_10_reduceItEEE10hipError_tPvRmT2_T3_mT4_T5_T6_T7_T8_P12ihipStream_tbENKUlT_T0_E_clISt17integral_constantIbLb0EES11_EEDaSW_SX_EUlSW_E_NS1_11comp_targetILNS1_3genE5ELNS1_11target_archE942ELNS1_3gpuE9ELNS1_3repE0EEENS1_30default_config_static_selectorELNS0_4arch9wavefront6targetE1EEEvT1_,comdat
	.protected	_ZN7rocprim17ROCPRIM_400000_NS6detail17trampoline_kernelINS0_14default_configENS1_29reduce_by_key_config_selectorIttN6thrust23THRUST_200600_302600_NS4plusItEEEEZZNS1_33reduce_by_key_impl_wrapped_configILNS1_25lookback_scan_determinismE0ES3_S9_NS6_6detail15normal_iteratorINS6_10device_ptrItEEEESG_SG_SG_PmS8_22is_equal_div_10_reduceItEEE10hipError_tPvRmT2_T3_mT4_T5_T6_T7_T8_P12ihipStream_tbENKUlT_T0_E_clISt17integral_constantIbLb0EES11_EEDaSW_SX_EUlSW_E_NS1_11comp_targetILNS1_3genE5ELNS1_11target_archE942ELNS1_3gpuE9ELNS1_3repE0EEENS1_30default_config_static_selectorELNS0_4arch9wavefront6targetE1EEEvT1_ ; -- Begin function _ZN7rocprim17ROCPRIM_400000_NS6detail17trampoline_kernelINS0_14default_configENS1_29reduce_by_key_config_selectorIttN6thrust23THRUST_200600_302600_NS4plusItEEEEZZNS1_33reduce_by_key_impl_wrapped_configILNS1_25lookback_scan_determinismE0ES3_S9_NS6_6detail15normal_iteratorINS6_10device_ptrItEEEESG_SG_SG_PmS8_22is_equal_div_10_reduceItEEE10hipError_tPvRmT2_T3_mT4_T5_T6_T7_T8_P12ihipStream_tbENKUlT_T0_E_clISt17integral_constantIbLb0EES11_EEDaSW_SX_EUlSW_E_NS1_11comp_targetILNS1_3genE5ELNS1_11target_archE942ELNS1_3gpuE9ELNS1_3repE0EEENS1_30default_config_static_selectorELNS0_4arch9wavefront6targetE1EEEvT1_
	.globl	_ZN7rocprim17ROCPRIM_400000_NS6detail17trampoline_kernelINS0_14default_configENS1_29reduce_by_key_config_selectorIttN6thrust23THRUST_200600_302600_NS4plusItEEEEZZNS1_33reduce_by_key_impl_wrapped_configILNS1_25lookback_scan_determinismE0ES3_S9_NS6_6detail15normal_iteratorINS6_10device_ptrItEEEESG_SG_SG_PmS8_22is_equal_div_10_reduceItEEE10hipError_tPvRmT2_T3_mT4_T5_T6_T7_T8_P12ihipStream_tbENKUlT_T0_E_clISt17integral_constantIbLb0EES11_EEDaSW_SX_EUlSW_E_NS1_11comp_targetILNS1_3genE5ELNS1_11target_archE942ELNS1_3gpuE9ELNS1_3repE0EEENS1_30default_config_static_selectorELNS0_4arch9wavefront6targetE1EEEvT1_
	.p2align	8
	.type	_ZN7rocprim17ROCPRIM_400000_NS6detail17trampoline_kernelINS0_14default_configENS1_29reduce_by_key_config_selectorIttN6thrust23THRUST_200600_302600_NS4plusItEEEEZZNS1_33reduce_by_key_impl_wrapped_configILNS1_25lookback_scan_determinismE0ES3_S9_NS6_6detail15normal_iteratorINS6_10device_ptrItEEEESG_SG_SG_PmS8_22is_equal_div_10_reduceItEEE10hipError_tPvRmT2_T3_mT4_T5_T6_T7_T8_P12ihipStream_tbENKUlT_T0_E_clISt17integral_constantIbLb0EES11_EEDaSW_SX_EUlSW_E_NS1_11comp_targetILNS1_3genE5ELNS1_11target_archE942ELNS1_3gpuE9ELNS1_3repE0EEENS1_30default_config_static_selectorELNS0_4arch9wavefront6targetE1EEEvT1_,@function
_ZN7rocprim17ROCPRIM_400000_NS6detail17trampoline_kernelINS0_14default_configENS1_29reduce_by_key_config_selectorIttN6thrust23THRUST_200600_302600_NS4plusItEEEEZZNS1_33reduce_by_key_impl_wrapped_configILNS1_25lookback_scan_determinismE0ES3_S9_NS6_6detail15normal_iteratorINS6_10device_ptrItEEEESG_SG_SG_PmS8_22is_equal_div_10_reduceItEEE10hipError_tPvRmT2_T3_mT4_T5_T6_T7_T8_P12ihipStream_tbENKUlT_T0_E_clISt17integral_constantIbLb0EES11_EEDaSW_SX_EUlSW_E_NS1_11comp_targetILNS1_3genE5ELNS1_11target_archE942ELNS1_3gpuE9ELNS1_3repE0EEENS1_30default_config_static_selectorELNS0_4arch9wavefront6targetE1EEEvT1_: ; @_ZN7rocprim17ROCPRIM_400000_NS6detail17trampoline_kernelINS0_14default_configENS1_29reduce_by_key_config_selectorIttN6thrust23THRUST_200600_302600_NS4plusItEEEEZZNS1_33reduce_by_key_impl_wrapped_configILNS1_25lookback_scan_determinismE0ES3_S9_NS6_6detail15normal_iteratorINS6_10device_ptrItEEEESG_SG_SG_PmS8_22is_equal_div_10_reduceItEEE10hipError_tPvRmT2_T3_mT4_T5_T6_T7_T8_P12ihipStream_tbENKUlT_T0_E_clISt17integral_constantIbLb0EES11_EEDaSW_SX_EUlSW_E_NS1_11comp_targetILNS1_3genE5ELNS1_11target_archE942ELNS1_3gpuE9ELNS1_3repE0EEENS1_30default_config_static_selectorELNS0_4arch9wavefront6targetE1EEEvT1_
; %bb.0:
	.section	.rodata,"a",@progbits
	.p2align	6, 0x0
	.amdhsa_kernel _ZN7rocprim17ROCPRIM_400000_NS6detail17trampoline_kernelINS0_14default_configENS1_29reduce_by_key_config_selectorIttN6thrust23THRUST_200600_302600_NS4plusItEEEEZZNS1_33reduce_by_key_impl_wrapped_configILNS1_25lookback_scan_determinismE0ES3_S9_NS6_6detail15normal_iteratorINS6_10device_ptrItEEEESG_SG_SG_PmS8_22is_equal_div_10_reduceItEEE10hipError_tPvRmT2_T3_mT4_T5_T6_T7_T8_P12ihipStream_tbENKUlT_T0_E_clISt17integral_constantIbLb0EES11_EEDaSW_SX_EUlSW_E_NS1_11comp_targetILNS1_3genE5ELNS1_11target_archE942ELNS1_3gpuE9ELNS1_3repE0EEENS1_30default_config_static_selectorELNS0_4arch9wavefront6targetE1EEEvT1_
		.amdhsa_group_segment_fixed_size 0
		.amdhsa_private_segment_fixed_size 0
		.amdhsa_kernarg_size 120
		.amdhsa_user_sgpr_count 6
		.amdhsa_user_sgpr_private_segment_buffer 1
		.amdhsa_user_sgpr_dispatch_ptr 0
		.amdhsa_user_sgpr_queue_ptr 0
		.amdhsa_user_sgpr_kernarg_segment_ptr 1
		.amdhsa_user_sgpr_dispatch_id 0
		.amdhsa_user_sgpr_flat_scratch_init 0
		.amdhsa_user_sgpr_kernarg_preload_length 0
		.amdhsa_user_sgpr_kernarg_preload_offset 0
		.amdhsa_user_sgpr_private_segment_size 0
		.amdhsa_uses_dynamic_stack 0
		.amdhsa_system_sgpr_private_segment_wavefront_offset 0
		.amdhsa_system_sgpr_workgroup_id_x 1
		.amdhsa_system_sgpr_workgroup_id_y 0
		.amdhsa_system_sgpr_workgroup_id_z 0
		.amdhsa_system_sgpr_workgroup_info 0
		.amdhsa_system_vgpr_workitem_id 0
		.amdhsa_next_free_vgpr 1
		.amdhsa_next_free_sgpr 0
		.amdhsa_accum_offset 4
		.amdhsa_reserve_vcc 0
		.amdhsa_reserve_flat_scratch 0
		.amdhsa_float_round_mode_32 0
		.amdhsa_float_round_mode_16_64 0
		.amdhsa_float_denorm_mode_32 3
		.amdhsa_float_denorm_mode_16_64 3
		.amdhsa_dx10_clamp 1
		.amdhsa_ieee_mode 1
		.amdhsa_fp16_overflow 0
		.amdhsa_tg_split 0
		.amdhsa_exception_fp_ieee_invalid_op 0
		.amdhsa_exception_fp_denorm_src 0
		.amdhsa_exception_fp_ieee_div_zero 0
		.amdhsa_exception_fp_ieee_overflow 0
		.amdhsa_exception_fp_ieee_underflow 0
		.amdhsa_exception_fp_ieee_inexact 0
		.amdhsa_exception_int_div_zero 0
	.end_amdhsa_kernel
	.section	.text._ZN7rocprim17ROCPRIM_400000_NS6detail17trampoline_kernelINS0_14default_configENS1_29reduce_by_key_config_selectorIttN6thrust23THRUST_200600_302600_NS4plusItEEEEZZNS1_33reduce_by_key_impl_wrapped_configILNS1_25lookback_scan_determinismE0ES3_S9_NS6_6detail15normal_iteratorINS6_10device_ptrItEEEESG_SG_SG_PmS8_22is_equal_div_10_reduceItEEE10hipError_tPvRmT2_T3_mT4_T5_T6_T7_T8_P12ihipStream_tbENKUlT_T0_E_clISt17integral_constantIbLb0EES11_EEDaSW_SX_EUlSW_E_NS1_11comp_targetILNS1_3genE5ELNS1_11target_archE942ELNS1_3gpuE9ELNS1_3repE0EEENS1_30default_config_static_selectorELNS0_4arch9wavefront6targetE1EEEvT1_,"axG",@progbits,_ZN7rocprim17ROCPRIM_400000_NS6detail17trampoline_kernelINS0_14default_configENS1_29reduce_by_key_config_selectorIttN6thrust23THRUST_200600_302600_NS4plusItEEEEZZNS1_33reduce_by_key_impl_wrapped_configILNS1_25lookback_scan_determinismE0ES3_S9_NS6_6detail15normal_iteratorINS6_10device_ptrItEEEESG_SG_SG_PmS8_22is_equal_div_10_reduceItEEE10hipError_tPvRmT2_T3_mT4_T5_T6_T7_T8_P12ihipStream_tbENKUlT_T0_E_clISt17integral_constantIbLb0EES11_EEDaSW_SX_EUlSW_E_NS1_11comp_targetILNS1_3genE5ELNS1_11target_archE942ELNS1_3gpuE9ELNS1_3repE0EEENS1_30default_config_static_selectorELNS0_4arch9wavefront6targetE1EEEvT1_,comdat
.Lfunc_end432:
	.size	_ZN7rocprim17ROCPRIM_400000_NS6detail17trampoline_kernelINS0_14default_configENS1_29reduce_by_key_config_selectorIttN6thrust23THRUST_200600_302600_NS4plusItEEEEZZNS1_33reduce_by_key_impl_wrapped_configILNS1_25lookback_scan_determinismE0ES3_S9_NS6_6detail15normal_iteratorINS6_10device_ptrItEEEESG_SG_SG_PmS8_22is_equal_div_10_reduceItEEE10hipError_tPvRmT2_T3_mT4_T5_T6_T7_T8_P12ihipStream_tbENKUlT_T0_E_clISt17integral_constantIbLb0EES11_EEDaSW_SX_EUlSW_E_NS1_11comp_targetILNS1_3genE5ELNS1_11target_archE942ELNS1_3gpuE9ELNS1_3repE0EEENS1_30default_config_static_selectorELNS0_4arch9wavefront6targetE1EEEvT1_, .Lfunc_end432-_ZN7rocprim17ROCPRIM_400000_NS6detail17trampoline_kernelINS0_14default_configENS1_29reduce_by_key_config_selectorIttN6thrust23THRUST_200600_302600_NS4plusItEEEEZZNS1_33reduce_by_key_impl_wrapped_configILNS1_25lookback_scan_determinismE0ES3_S9_NS6_6detail15normal_iteratorINS6_10device_ptrItEEEESG_SG_SG_PmS8_22is_equal_div_10_reduceItEEE10hipError_tPvRmT2_T3_mT4_T5_T6_T7_T8_P12ihipStream_tbENKUlT_T0_E_clISt17integral_constantIbLb0EES11_EEDaSW_SX_EUlSW_E_NS1_11comp_targetILNS1_3genE5ELNS1_11target_archE942ELNS1_3gpuE9ELNS1_3repE0EEENS1_30default_config_static_selectorELNS0_4arch9wavefront6targetE1EEEvT1_
                                        ; -- End function
	.section	.AMDGPU.csdata,"",@progbits
; Kernel info:
; codeLenInByte = 0
; NumSgprs: 4
; NumVgprs: 0
; NumAgprs: 0
; TotalNumVgprs: 0
; ScratchSize: 0
; MemoryBound: 0
; FloatMode: 240
; IeeeMode: 1
; LDSByteSize: 0 bytes/workgroup (compile time only)
; SGPRBlocks: 0
; VGPRBlocks: 0
; NumSGPRsForWavesPerEU: 4
; NumVGPRsForWavesPerEU: 1
; AccumOffset: 4
; Occupancy: 8
; WaveLimiterHint : 0
; COMPUTE_PGM_RSRC2:SCRATCH_EN: 0
; COMPUTE_PGM_RSRC2:USER_SGPR: 6
; COMPUTE_PGM_RSRC2:TRAP_HANDLER: 0
; COMPUTE_PGM_RSRC2:TGID_X_EN: 1
; COMPUTE_PGM_RSRC2:TGID_Y_EN: 0
; COMPUTE_PGM_RSRC2:TGID_Z_EN: 0
; COMPUTE_PGM_RSRC2:TIDIG_COMP_CNT: 0
; COMPUTE_PGM_RSRC3_GFX90A:ACCUM_OFFSET: 0
; COMPUTE_PGM_RSRC3_GFX90A:TG_SPLIT: 0
	.section	.text._ZN7rocprim17ROCPRIM_400000_NS6detail17trampoline_kernelINS0_14default_configENS1_29reduce_by_key_config_selectorIttN6thrust23THRUST_200600_302600_NS4plusItEEEEZZNS1_33reduce_by_key_impl_wrapped_configILNS1_25lookback_scan_determinismE0ES3_S9_NS6_6detail15normal_iteratorINS6_10device_ptrItEEEESG_SG_SG_PmS8_22is_equal_div_10_reduceItEEE10hipError_tPvRmT2_T3_mT4_T5_T6_T7_T8_P12ihipStream_tbENKUlT_T0_E_clISt17integral_constantIbLb0EES11_EEDaSW_SX_EUlSW_E_NS1_11comp_targetILNS1_3genE4ELNS1_11target_archE910ELNS1_3gpuE8ELNS1_3repE0EEENS1_30default_config_static_selectorELNS0_4arch9wavefront6targetE1EEEvT1_,"axG",@progbits,_ZN7rocprim17ROCPRIM_400000_NS6detail17trampoline_kernelINS0_14default_configENS1_29reduce_by_key_config_selectorIttN6thrust23THRUST_200600_302600_NS4plusItEEEEZZNS1_33reduce_by_key_impl_wrapped_configILNS1_25lookback_scan_determinismE0ES3_S9_NS6_6detail15normal_iteratorINS6_10device_ptrItEEEESG_SG_SG_PmS8_22is_equal_div_10_reduceItEEE10hipError_tPvRmT2_T3_mT4_T5_T6_T7_T8_P12ihipStream_tbENKUlT_T0_E_clISt17integral_constantIbLb0EES11_EEDaSW_SX_EUlSW_E_NS1_11comp_targetILNS1_3genE4ELNS1_11target_archE910ELNS1_3gpuE8ELNS1_3repE0EEENS1_30default_config_static_selectorELNS0_4arch9wavefront6targetE1EEEvT1_,comdat
	.protected	_ZN7rocprim17ROCPRIM_400000_NS6detail17trampoline_kernelINS0_14default_configENS1_29reduce_by_key_config_selectorIttN6thrust23THRUST_200600_302600_NS4plusItEEEEZZNS1_33reduce_by_key_impl_wrapped_configILNS1_25lookback_scan_determinismE0ES3_S9_NS6_6detail15normal_iteratorINS6_10device_ptrItEEEESG_SG_SG_PmS8_22is_equal_div_10_reduceItEEE10hipError_tPvRmT2_T3_mT4_T5_T6_T7_T8_P12ihipStream_tbENKUlT_T0_E_clISt17integral_constantIbLb0EES11_EEDaSW_SX_EUlSW_E_NS1_11comp_targetILNS1_3genE4ELNS1_11target_archE910ELNS1_3gpuE8ELNS1_3repE0EEENS1_30default_config_static_selectorELNS0_4arch9wavefront6targetE1EEEvT1_ ; -- Begin function _ZN7rocprim17ROCPRIM_400000_NS6detail17trampoline_kernelINS0_14default_configENS1_29reduce_by_key_config_selectorIttN6thrust23THRUST_200600_302600_NS4plusItEEEEZZNS1_33reduce_by_key_impl_wrapped_configILNS1_25lookback_scan_determinismE0ES3_S9_NS6_6detail15normal_iteratorINS6_10device_ptrItEEEESG_SG_SG_PmS8_22is_equal_div_10_reduceItEEE10hipError_tPvRmT2_T3_mT4_T5_T6_T7_T8_P12ihipStream_tbENKUlT_T0_E_clISt17integral_constantIbLb0EES11_EEDaSW_SX_EUlSW_E_NS1_11comp_targetILNS1_3genE4ELNS1_11target_archE910ELNS1_3gpuE8ELNS1_3repE0EEENS1_30default_config_static_selectorELNS0_4arch9wavefront6targetE1EEEvT1_
	.globl	_ZN7rocprim17ROCPRIM_400000_NS6detail17trampoline_kernelINS0_14default_configENS1_29reduce_by_key_config_selectorIttN6thrust23THRUST_200600_302600_NS4plusItEEEEZZNS1_33reduce_by_key_impl_wrapped_configILNS1_25lookback_scan_determinismE0ES3_S9_NS6_6detail15normal_iteratorINS6_10device_ptrItEEEESG_SG_SG_PmS8_22is_equal_div_10_reduceItEEE10hipError_tPvRmT2_T3_mT4_T5_T6_T7_T8_P12ihipStream_tbENKUlT_T0_E_clISt17integral_constantIbLb0EES11_EEDaSW_SX_EUlSW_E_NS1_11comp_targetILNS1_3genE4ELNS1_11target_archE910ELNS1_3gpuE8ELNS1_3repE0EEENS1_30default_config_static_selectorELNS0_4arch9wavefront6targetE1EEEvT1_
	.p2align	8
	.type	_ZN7rocprim17ROCPRIM_400000_NS6detail17trampoline_kernelINS0_14default_configENS1_29reduce_by_key_config_selectorIttN6thrust23THRUST_200600_302600_NS4plusItEEEEZZNS1_33reduce_by_key_impl_wrapped_configILNS1_25lookback_scan_determinismE0ES3_S9_NS6_6detail15normal_iteratorINS6_10device_ptrItEEEESG_SG_SG_PmS8_22is_equal_div_10_reduceItEEE10hipError_tPvRmT2_T3_mT4_T5_T6_T7_T8_P12ihipStream_tbENKUlT_T0_E_clISt17integral_constantIbLb0EES11_EEDaSW_SX_EUlSW_E_NS1_11comp_targetILNS1_3genE4ELNS1_11target_archE910ELNS1_3gpuE8ELNS1_3repE0EEENS1_30default_config_static_selectorELNS0_4arch9wavefront6targetE1EEEvT1_,@function
_ZN7rocprim17ROCPRIM_400000_NS6detail17trampoline_kernelINS0_14default_configENS1_29reduce_by_key_config_selectorIttN6thrust23THRUST_200600_302600_NS4plusItEEEEZZNS1_33reduce_by_key_impl_wrapped_configILNS1_25lookback_scan_determinismE0ES3_S9_NS6_6detail15normal_iteratorINS6_10device_ptrItEEEESG_SG_SG_PmS8_22is_equal_div_10_reduceItEEE10hipError_tPvRmT2_T3_mT4_T5_T6_T7_T8_P12ihipStream_tbENKUlT_T0_E_clISt17integral_constantIbLb0EES11_EEDaSW_SX_EUlSW_E_NS1_11comp_targetILNS1_3genE4ELNS1_11target_archE910ELNS1_3gpuE8ELNS1_3repE0EEENS1_30default_config_static_selectorELNS0_4arch9wavefront6targetE1EEEvT1_: ; @_ZN7rocprim17ROCPRIM_400000_NS6detail17trampoline_kernelINS0_14default_configENS1_29reduce_by_key_config_selectorIttN6thrust23THRUST_200600_302600_NS4plusItEEEEZZNS1_33reduce_by_key_impl_wrapped_configILNS1_25lookback_scan_determinismE0ES3_S9_NS6_6detail15normal_iteratorINS6_10device_ptrItEEEESG_SG_SG_PmS8_22is_equal_div_10_reduceItEEE10hipError_tPvRmT2_T3_mT4_T5_T6_T7_T8_P12ihipStream_tbENKUlT_T0_E_clISt17integral_constantIbLb0EES11_EEDaSW_SX_EUlSW_E_NS1_11comp_targetILNS1_3genE4ELNS1_11target_archE910ELNS1_3gpuE8ELNS1_3repE0EEENS1_30default_config_static_selectorELNS0_4arch9wavefront6targetE1EEEvT1_
; %bb.0:
	s_load_dwordx8 s[36:43], s[4:5], 0x0
	s_load_dwordx4 s[52:55], s[4:5], 0x20
	s_load_dwordx8 s[44:51], s[4:5], 0x38
	s_load_dwordx2 s[60:61], s[4:5], 0x68
	s_load_dwordx4 s[56:59], s[4:5], 0x58
	s_waitcnt lgkmcnt(0)
	s_lshl_b64 s[0:1], s[38:39], 1
	s_add_u32 s2, s36, s0
	s_addc_u32 s3, s37, s1
	s_add_u32 s4, s40, s0
	s_addc_u32 s5, s41, s1
	s_mul_i32 s0, s48, s47
	s_mul_hi_u32 s1, s48, s46
	s_add_i32 s0, s1, s0
	s_mul_i32 s1, s49, s46
	s_add_i32 s8, s0, s1
	s_mul_i32 s0, s6, 0xf00
	s_mov_b32 s1, 0
	s_lshl_b64 s[0:1], s[0:1], 1
	s_add_u32 s7, s2, s0
	s_mul_i32 s9, s48, s46
	s_addc_u32 s48, s3, s1
	s_add_u32 s49, s4, s0
	s_addc_u32 s62, s5, s1
	s_add_u32 s38, s9, s6
	s_addc_u32 s39, s8, 0
	s_add_u32 s2, s50, -1
	s_addc_u32 s3, s51, -1
	s_cmp_eq_u64 s[38:39], s[2:3]
	s_cselect_b64 s[34:35], -1, 0
	s_cmp_lg_u64 s[38:39], s[2:3]
	s_mov_b64 s[0:1], -1
	s_cselect_b64 s[40:41], -1, 0
	s_mul_i32 s33, s2, 0xfffff100
	s_and_b64 vcc, exec, s[34:35]
	v_mul_u32_u24_e32 v6, 15, v0
	s_cbranch_vccnz .LBB433_2
; %bb.1:
	v_lshlrev_b32_e32 v12, 1, v0
	v_mov_b32_e32 v1, s48
	v_add_co_u32_e32 v2, vcc, s7, v12
	v_addc_co_u32_e32 v3, vcc, 0, v1, vcc
	flat_load_ushort v1, v[2:3]
	flat_load_ushort v4, v[2:3] offset:512
	flat_load_ushort v5, v[2:3] offset:1024
	;; [unrolled: 1-line block ×7, first 2 shown]
	v_add_co_u32_e32 v2, vcc, 0x1000, v2
	v_addc_co_u32_e32 v3, vcc, 0, v3, vcc
	flat_load_ushort v18, v[2:3]
	flat_load_ushort v19, v[2:3] offset:512
	flat_load_ushort v20, v[2:3] offset:1024
	;; [unrolled: 1-line block ×6, first 2 shown]
	v_mov_b32_e32 v2, s62
	v_add_co_u32_e32 v8, vcc, s49, v12
	s_movk_i32 s0, 0x1000
	v_addc_co_u32_e32 v9, vcc, 0, v2, vcc
	v_mad_u32_u24 v7, v0, 28, v12
	v_add_co_u32_e32 v10, vcc, s0, v8
	v_addc_co_u32_e32 v11, vcc, 0, v9, vcc
	s_waitcnt vmcnt(0) lgkmcnt(0)
	ds_write_b16 v12, v1
	ds_write_b16 v12, v4 offset:512
	ds_write_b16 v12, v5 offset:1024
	ds_write_b16 v12, v13 offset:1536
	ds_write_b16 v12, v14 offset:2048
	ds_write_b16 v12, v15 offset:2560
	ds_write_b16 v12, v16 offset:3072
	ds_write_b16 v12, v17 offset:3584
	ds_write_b16 v12, v18 offset:4096
	ds_write_b16 v12, v19 offset:4608
	ds_write_b16 v12, v20 offset:5120
	ds_write_b16 v12, v21 offset:5632
	ds_write_b16 v12, v22 offset:6144
	ds_write_b16 v12, v23 offset:6656
	ds_write_b16 v12, v24 offset:7168
	s_waitcnt lgkmcnt(0)
	s_barrier
	ds_read_u16 v1, v7
	ds_read_b128 v[2:5], v7 offset:2
	ds_read_b96 v[14:16], v7 offset:18
	s_waitcnt lgkmcnt(0)
	s_barrier
	flat_load_ushort v13, v[8:9]
	flat_load_ushort v17, v[8:9] offset:512
	flat_load_ushort v18, v[8:9] offset:1024
	;; [unrolled: 1-line block ×7, first 2 shown]
	flat_load_ushort v24, v[10:11]
	flat_load_ushort v25, v[10:11] offset:512
	flat_load_ushort v26, v[10:11] offset:1024
	;; [unrolled: 1-line block ×6, first 2 shown]
	v_mul_u32_u24_e32 v8, 15, v0
	s_waitcnt vmcnt(0) lgkmcnt(0)
	ds_write_b16 v12, v13
	ds_write_b16 v12, v17 offset:512
	ds_write_b16 v12, v18 offset:1024
	;; [unrolled: 1-line block ×14, first 2 shown]
	s_waitcnt lgkmcnt(0)
	s_barrier
	s_add_i32 s33, s33, s56
	s_cbranch_execz .LBB433_3
	s_branch .LBB433_50
.LBB433_2:
                                        ; implicit-def: $vgpr2
                                        ; implicit-def: $vgpr14
                                        ; implicit-def: $vgpr8
                                        ; implicit-def: $vgpr7
                                        ; implicit-def: $vgpr1
	s_andn2_b64 vcc, exec, s[0:1]
	s_add_i32 s33, s33, s56
	s_cbranch_vccnz .LBB433_50
.LBB433_3:
	v_cmp_gt_u32_e32 vcc, s33, v0
                                        ; implicit-def: $vgpr1
	s_and_saveexec_b64 s[2:3], vcc
	s_cbranch_execz .LBB433_5
; %bb.4:
	v_lshlrev_b32_e32 v1, 1, v0
	v_mov_b32_e32 v3, s48
	v_add_co_u32_e64 v2, s[0:1], s7, v1
	v_addc_co_u32_e64 v3, s[0:1], 0, v3, s[0:1]
	flat_load_ushort v1, v[2:3]
.LBB433_5:
	s_or_b64 exec, exec, s[2:3]
	v_or_b32_e32 v2, 0x100, v0
	v_cmp_gt_u32_e64 s[0:1], s33, v2
                                        ; implicit-def: $vgpr2
	s_and_saveexec_b64 s[4:5], s[0:1]
	s_cbranch_execz .LBB433_7
; %bb.6:
	v_lshlrev_b32_e32 v2, 1, v0
	v_mov_b32_e32 v3, s48
	v_add_co_u32_e64 v2, s[2:3], s7, v2
	v_addc_co_u32_e64 v3, s[2:3], 0, v3, s[2:3]
	flat_load_ushort v2, v[2:3] offset:512
.LBB433_7:
	s_or_b64 exec, exec, s[4:5]
	v_or_b32_e32 v3, 0x200, v0
	v_cmp_gt_u32_e64 s[2:3], s33, v3
                                        ; implicit-def: $vgpr3
	s_and_saveexec_b64 s[8:9], s[2:3]
	s_cbranch_execz .LBB433_9
; %bb.8:
	v_lshlrev_b32_e32 v3, 1, v0
	v_mov_b32_e32 v5, s48
	v_add_co_u32_e64 v4, s[4:5], s7, v3
	v_addc_co_u32_e64 v5, s[4:5], 0, v5, s[4:5]
	flat_load_ushort v3, v[4:5] offset:1024
.LBB433_9:
	s_or_b64 exec, exec, s[8:9]
	v_or_b32_e32 v4, 0x300, v0
	v_cmp_gt_u32_e64 s[4:5], s33, v4
                                        ; implicit-def: $vgpr4
	s_and_saveexec_b64 s[10:11], s[4:5]
	s_cbranch_execz .LBB433_11
; %bb.10:
	v_lshlrev_b32_e32 v4, 1, v0
	v_mov_b32_e32 v5, s48
	v_add_co_u32_e64 v4, s[8:9], s7, v4
	v_addc_co_u32_e64 v5, s[8:9], 0, v5, s[8:9]
	flat_load_ushort v4, v[4:5] offset:1536
.LBB433_11:
	s_or_b64 exec, exec, s[10:11]
	v_or_b32_e32 v5, 0x400, v0
	v_cmp_gt_u32_e64 s[28:29], s33, v5
                                        ; implicit-def: $vgpr5
	s_and_saveexec_b64 s[10:11], s[28:29]
	s_cbranch_execz .LBB433_13
; %bb.12:
	v_lshlrev_b32_e32 v5, 1, v0
	v_mov_b32_e32 v7, s48
	v_add_co_u32_e64 v8, s[8:9], s7, v5
	v_addc_co_u32_e64 v9, s[8:9], 0, v7, s[8:9]
	flat_load_ushort v5, v[8:9] offset:2048
.LBB433_13:
	s_or_b64 exec, exec, s[10:11]
	v_or_b32_e32 v7, 0x500, v0
	v_cmp_gt_u32_e64 s[8:9], s33, v7
                                        ; implicit-def: $vgpr7
	s_and_saveexec_b64 s[12:13], s[8:9]
	s_cbranch_execz .LBB433_15
; %bb.14:
	v_lshlrev_b32_e32 v7, 1, v0
	v_mov_b32_e32 v9, s48
	v_add_co_u32_e64 v8, s[10:11], s7, v7
	v_addc_co_u32_e64 v9, s[10:11], 0, v9, s[10:11]
	flat_load_ushort v7, v[8:9] offset:2560
.LBB433_15:
	s_or_b64 exec, exec, s[12:13]
	v_or_b32_e32 v8, 0x600, v0
	v_cmp_gt_u32_e64 s[10:11], s33, v8
                                        ; implicit-def: $vgpr14
	s_and_saveexec_b64 s[14:15], s[10:11]
	s_cbranch_execz .LBB433_17
; %bb.16:
	v_lshlrev_b32_e32 v8, 1, v0
	v_mov_b32_e32 v9, s48
	v_add_co_u32_e64 v8, s[12:13], s7, v8
	v_addc_co_u32_e64 v9, s[12:13], 0, v9, s[12:13]
	flat_load_ushort v14, v[8:9] offset:3072
.LBB433_17:
	s_or_b64 exec, exec, s[14:15]
	v_or_b32_e32 v8, 0x700, v0
	v_cmp_gt_u32_e64 s[12:13], s33, v8
                                        ; implicit-def: $vgpr15
	s_and_saveexec_b64 s[16:17], s[12:13]
	s_cbranch_execz .LBB433_19
; %bb.18:
	v_lshlrev_b32_e32 v8, 1, v0
	v_mov_b32_e32 v9, s48
	v_add_co_u32_e64 v8, s[14:15], s7, v8
	v_addc_co_u32_e64 v9, s[14:15], 0, v9, s[14:15]
	flat_load_ushort v15, v[8:9] offset:3584
.LBB433_19:
	s_or_b64 exec, exec, s[16:17]
	v_or_b32_e32 v8, 0x800, v0
	v_cmp_gt_u32_e64 s[14:15], s33, v8
	v_lshlrev_b32_e32 v8, 1, v8
                                        ; implicit-def: $vgpr16
	s_and_saveexec_b64 s[18:19], s[14:15]
	s_cbranch_execz .LBB433_21
; %bb.20:
	v_mov_b32_e32 v9, s48
	v_add_co_u32_e64 v10, s[16:17], s7, v8
	v_addc_co_u32_e64 v11, s[16:17], 0, v9, s[16:17]
	flat_load_ushort v16, v[10:11]
.LBB433_21:
	s_or_b64 exec, exec, s[18:19]
	v_or_b32_e32 v9, 0x900, v0
	v_cmp_gt_u32_e64 s[16:17], s33, v9
	v_lshlrev_b32_e32 v9, 1, v9
                                        ; implicit-def: $vgpr19
	s_and_saveexec_b64 s[20:21], s[16:17]
	s_cbranch_execz .LBB433_23
; %bb.22:
	v_mov_b32_e32 v11, s48
	v_add_co_u32_e64 v10, s[18:19], s7, v9
	v_addc_co_u32_e64 v11, s[18:19], 0, v11, s[18:19]
	flat_load_ushort v19, v[10:11]
.LBB433_23:
	s_or_b64 exec, exec, s[20:21]
	v_or_b32_e32 v10, 0xa00, v0
	v_cmp_gt_u32_e64 s[18:19], s33, v10
	v_lshlrev_b32_e32 v10, 1, v10
                                        ; implicit-def: $vgpr20
	s_and_saveexec_b64 s[22:23], s[18:19]
	s_cbranch_execz .LBB433_25
; %bb.24:
	v_mov_b32_e32 v11, s48
	v_add_co_u32_e64 v12, s[20:21], s7, v10
	v_addc_co_u32_e64 v13, s[20:21], 0, v11, s[20:21]
	flat_load_ushort v20, v[12:13]
.LBB433_25:
	s_or_b64 exec, exec, s[22:23]
	v_or_b32_e32 v11, 0xb00, v0
	v_cmp_gt_u32_e64 s[20:21], s33, v11
	v_lshlrev_b32_e32 v12, 1, v11
                                        ; implicit-def: $vgpr21
	s_and_saveexec_b64 s[24:25], s[20:21]
	s_cbranch_execz .LBB433_27
; %bb.26:
	v_mov_b32_e32 v11, s48
	v_add_co_u32_e64 v22, s[22:23], s7, v12
	v_addc_co_u32_e64 v23, s[22:23], 0, v11, s[22:23]
	flat_load_ushort v21, v[22:23]
.LBB433_27:
	s_or_b64 exec, exec, s[24:25]
	v_or_b32_e32 v11, 0xc00, v0
	v_cmp_gt_u32_e64 s[22:23], s33, v11
	v_lshlrev_b32_e32 v13, 1, v11
                                        ; implicit-def: $vgpr22
	s_and_saveexec_b64 s[26:27], s[22:23]
	s_cbranch_execz .LBB433_29
; %bb.28:
	v_mov_b32_e32 v11, s48
	v_add_co_u32_e64 v22, s[24:25], s7, v13
	v_addc_co_u32_e64 v23, s[24:25], 0, v11, s[24:25]
	flat_load_ushort v22, v[22:23]
.LBB433_29:
	s_or_b64 exec, exec, s[26:27]
	v_or_b32_e32 v11, 0xd00, v0
	v_cmp_gt_u32_e64 s[24:25], s33, v11
	v_lshlrev_b32_e32 v17, 1, v11
                                        ; implicit-def: $vgpr23
	s_and_saveexec_b64 s[30:31], s[24:25]
	s_cbranch_execz .LBB433_31
; %bb.30:
	v_mov_b32_e32 v11, s48
	v_add_co_u32_e64 v24, s[26:27], s7, v17
	v_addc_co_u32_e64 v25, s[26:27], 0, v11, s[26:27]
	flat_load_ushort v23, v[24:25]
.LBB433_31:
	s_or_b64 exec, exec, s[30:31]
	v_or_b32_e32 v11, 0xe00, v0
	v_cmp_gt_u32_e64 s[26:27], s33, v11
	v_lshlrev_b32_e32 v18, 1, v11
                                        ; implicit-def: $vgpr24
	s_and_saveexec_b64 s[36:37], s[26:27]
	s_cbranch_execz .LBB433_33
; %bb.32:
	v_mov_b32_e32 v11, s48
	v_add_co_u32_e64 v24, s[30:31], s7, v18
	v_addc_co_u32_e64 v25, s[30:31], 0, v11, s[30:31]
	flat_load_ushort v24, v[24:25]
.LBB433_33:
	s_or_b64 exec, exec, s[36:37]
	v_lshlrev_b32_e32 v11, 1, v0
	s_waitcnt vmcnt(0) lgkmcnt(0)
	ds_write_b16 v11, v1
	ds_write_b16 v11, v2 offset:512
	ds_write_b16 v11, v3 offset:1024
	;; [unrolled: 1-line block ×14, first 2 shown]
	v_mad_u32_u24 v7, v0, 28, v11
	s_waitcnt lgkmcnt(0)
	s_barrier
	ds_read_u16 v1, v7
	ds_read_b128 v[2:5], v7 offset:2
	ds_read_b96 v[14:16], v7 offset:18
	s_waitcnt lgkmcnt(0)
	s_barrier
	s_waitcnt lgkmcnt(0)
                                        ; implicit-def: $vgpr19
	s_and_saveexec_b64 s[30:31], vcc
	s_cbranch_execnz .LBB433_57
; %bb.34:
	s_or_b64 exec, exec, s[30:31]
                                        ; implicit-def: $vgpr20
	s_and_saveexec_b64 s[30:31], s[0:1]
	s_cbranch_execnz .LBB433_58
.LBB433_35:
	s_or_b64 exec, exec, s[30:31]
                                        ; implicit-def: $vgpr21
	s_and_saveexec_b64 s[0:1], s[2:3]
	s_cbranch_execnz .LBB433_59
.LBB433_36:
	s_or_b64 exec, exec, s[0:1]
                                        ; implicit-def: $vgpr22
	s_and_saveexec_b64 s[0:1], s[4:5]
	s_cbranch_execnz .LBB433_60
.LBB433_37:
	s_or_b64 exec, exec, s[0:1]
                                        ; implicit-def: $vgpr23
	s_and_saveexec_b64 s[0:1], s[28:29]
	s_cbranch_execnz .LBB433_61
.LBB433_38:
	s_or_b64 exec, exec, s[0:1]
                                        ; implicit-def: $vgpr24
	s_and_saveexec_b64 s[0:1], s[8:9]
	s_cbranch_execnz .LBB433_62
.LBB433_39:
	s_or_b64 exec, exec, s[0:1]
                                        ; implicit-def: $vgpr25
	s_and_saveexec_b64 s[0:1], s[10:11]
	s_cbranch_execnz .LBB433_63
.LBB433_40:
	s_or_b64 exec, exec, s[0:1]
                                        ; implicit-def: $vgpr26
	s_and_saveexec_b64 s[0:1], s[12:13]
	s_cbranch_execnz .LBB433_64
.LBB433_41:
	s_or_b64 exec, exec, s[0:1]
                                        ; implicit-def: $vgpr27
	s_and_saveexec_b64 s[0:1], s[14:15]
	s_cbranch_execnz .LBB433_65
.LBB433_42:
	s_or_b64 exec, exec, s[0:1]
                                        ; implicit-def: $vgpr8
	s_and_saveexec_b64 s[0:1], s[16:17]
	s_cbranch_execnz .LBB433_66
.LBB433_43:
	s_or_b64 exec, exec, s[0:1]
                                        ; implicit-def: $vgpr9
	s_and_saveexec_b64 s[0:1], s[18:19]
	s_cbranch_execnz .LBB433_67
.LBB433_44:
	s_or_b64 exec, exec, s[0:1]
                                        ; implicit-def: $vgpr10
	s_and_saveexec_b64 s[0:1], s[20:21]
	s_cbranch_execnz .LBB433_68
.LBB433_45:
	s_or_b64 exec, exec, s[0:1]
                                        ; implicit-def: $vgpr12
	s_and_saveexec_b64 s[0:1], s[22:23]
	s_cbranch_execnz .LBB433_69
.LBB433_46:
	s_or_b64 exec, exec, s[0:1]
                                        ; implicit-def: $vgpr13
	s_and_saveexec_b64 s[0:1], s[24:25]
	s_cbranch_execnz .LBB433_70
.LBB433_47:
	s_or_b64 exec, exec, s[0:1]
                                        ; implicit-def: $vgpr17
	s_and_saveexec_b64 s[0:1], s[26:27]
	s_cbranch_execz .LBB433_49
.LBB433_48:
	v_mov_b32_e32 v17, s62
	v_add_co_u32_e32 v28, vcc, s49, v18
	v_addc_co_u32_e32 v29, vcc, 0, v17, vcc
	flat_load_ushort v17, v[28:29]
.LBB433_49:
	s_or_b64 exec, exec, s[0:1]
	s_waitcnt vmcnt(0) lgkmcnt(0)
	ds_write_b16 v11, v19
	ds_write_b16 v11, v20 offset:512
	ds_write_b16 v11, v21 offset:1024
	;; [unrolled: 1-line block ×14, first 2 shown]
	v_mov_b32_e32 v8, v6
	s_waitcnt lgkmcnt(0)
	s_barrier
.LBB433_50:
	v_lshlrev_b32_e32 v8, 1, v8
	ds_read_u16 v77, v7
	ds_read_u16 v76, v7 offset:2
	ds_read_u16 v74, v7 offset:6
	;; [unrolled: 1-line block ×14, first 2 shown]
	s_cmp_eq_u64 s[38:39], 0
	s_cselect_b64 s[36:37], -1, 0
	s_cmp_lg_u64 s[38:39], 0
	s_mov_b64 s[0:1], 0
	s_cselect_b64 s[30:31], -1, 0
	s_and_b64 vcc, exec, s[40:41]
	s_waitcnt lgkmcnt(0)
	s_barrier
	s_cbranch_vccz .LBB433_56
; %bb.51:
	s_and_b64 vcc, exec, s[30:31]
	s_cbranch_vccz .LBB433_71
; %bb.52:
	v_mov_b32_e32 v7, s48
	v_add_co_u32_e64 v8, vcc, -2, s7
	v_addc_co_u32_e32 v9, vcc, -1, v7, vcc
	flat_load_ushort v7, v[8:9]
	v_lshlrev_b32_e32 v8, 1, v0
	v_lshrrev_b32_e32 v9, 16, v16
	s_mov_b32 s49, 0xcccd
	ds_write_b16 v8, v9
	v_mul_u32_u24_sdwa v10, v16, s49 dst_sel:DWORD dst_unused:UNUSED_PAD src0_sel:WORD_0 src1_sel:DWORD
	v_mul_u32_u24_e32 v9, 0xcccd, v9
	v_lshrrev_b32_e32 v10, 19, v10
	v_lshrrev_b32_e32 v9, 19, v9
	v_cmp_ne_u16_e32 vcc, v10, v9
	v_mul_u32_u24_sdwa v9, v15, s49 dst_sel:DWORD dst_unused:UNUSED_PAD src0_sel:WORD_1 src1_sel:DWORD
	v_lshrrev_b32_e32 v9, 19, v9
	v_cmp_ne_u16_e64 s[0:1], v9, v10
	v_mul_u32_u24_sdwa v10, v15, s49 dst_sel:DWORD dst_unused:UNUSED_PAD src0_sel:WORD_0 src1_sel:DWORD
	v_lshrrev_b32_e32 v10, 19, v10
	v_cmp_ne_u16_e64 s[2:3], v10, v9
	v_mul_u32_u24_sdwa v9, v14, s49 dst_sel:DWORD dst_unused:UNUSED_PAD src0_sel:WORD_1 src1_sel:DWORD
	v_lshrrev_b32_e32 v9, 19, v9
	v_cmp_ne_u16_e64 s[4:5], v9, v10
	v_mul_u32_u24_sdwa v10, v14, s49 dst_sel:DWORD dst_unused:UNUSED_PAD src0_sel:WORD_0 src1_sel:DWORD
	v_lshrrev_b32_e32 v10, 19, v10
	v_cmp_ne_u16_e64 s[26:27], v10, v9
	;; [unrolled: 6-line block ×6, first 2 shown]
	v_mul_u32_u24_sdwa v9, v1, s49 dst_sel:DWORD dst_unused:UNUSED_PAD src0_sel:WORD_0 src1_sel:DWORD
	v_lshrrev_b32_e32 v10, 19, v9
	v_cmp_ne_u16_e64 s[24:25], v10, v11
	v_cmp_ne_u32_e64 s[28:29], 0, v0
	s_waitcnt lgkmcnt(0)
	s_barrier
	s_and_saveexec_b64 s[40:41], s[28:29]
	s_cbranch_execz .LBB433_54
; %bb.53:
	s_waitcnt vmcnt(0)
	v_add_u32_e32 v7, -2, v8
	ds_read_u16 v7, v7
.LBB433_54:
	s_or_b64 exec, exec, s[40:41]
	s_waitcnt vmcnt(0) lgkmcnt(0)
	v_mul_u32_u24_sdwa v7, v7, s49 dst_sel:DWORD dst_unused:UNUSED_PAD src0_sel:WORD_0 src1_sel:DWORD
	v_lshrrev_b32_e32 v7, 19, v7
	v_cndmask_b32_e64 v17, 0, 1, vcc
	v_cndmask_b32_e64 v9, 0, 1, s[0:1]
	v_cndmask_b32_e64 v68, 0, 1, s[2:3]
	;; [unrolled: 1-line block ×13, first 2 shown]
	v_cmp_ne_u16_e64 s[4:5], v7, v10
	s_mov_b64 s[0:1], -1
.LBB433_55:
                                        ; implicit-def: $sgpr8
	s_branch .LBB433_75
.LBB433_56:
                                        ; implicit-def: $sgpr4_sgpr5
                                        ; implicit-def: $vgpr17
                                        ; implicit-def: $vgpr9
                                        ; implicit-def: $vgpr68
                                        ; implicit-def: $vgpr19
                                        ; implicit-def: $vgpr18
                                        ; implicit-def: $vgpr21
                                        ; implicit-def: $vgpr20
                                        ; implicit-def: $vgpr23
                                        ; implicit-def: $vgpr22
                                        ; implicit-def: $vgpr27
                                        ; implicit-def: $vgpr26
                                        ; implicit-def: $vgpr29
                                        ; implicit-def: $vgpr28
                                        ; implicit-def: $vgpr31
                                        ; implicit-def: $vgpr25
                                        ; implicit-def: $sgpr8
	s_cbranch_execnz .LBB433_76
	s_branch .LBB433_111
.LBB433_57:
	v_mov_b32_e32 v19, s62
	v_add_co_u32_e32 v20, vcc, s49, v11
	v_addc_co_u32_e32 v21, vcc, 0, v19, vcc
	flat_load_ushort v19, v[20:21]
	s_or_b64 exec, exec, s[30:31]
                                        ; implicit-def: $vgpr20
	s_and_saveexec_b64 s[30:31], s[0:1]
	s_cbranch_execz .LBB433_35
.LBB433_58:
	v_mov_b32_e32 v21, s62
	v_add_co_u32_e32 v20, vcc, s49, v11
	v_addc_co_u32_e32 v21, vcc, 0, v21, vcc
	flat_load_ushort v20, v[20:21] offset:512
	s_or_b64 exec, exec, s[30:31]
                                        ; implicit-def: $vgpr21
	s_and_saveexec_b64 s[0:1], s[2:3]
	s_cbranch_execz .LBB433_36
.LBB433_59:
	v_mov_b32_e32 v21, s62
	v_add_co_u32_e32 v22, vcc, s49, v11
	v_addc_co_u32_e32 v23, vcc, 0, v21, vcc
	flat_load_ushort v21, v[22:23] offset:1024
	s_or_b64 exec, exec, s[0:1]
                                        ; implicit-def: $vgpr22
	s_and_saveexec_b64 s[0:1], s[4:5]
	s_cbranch_execz .LBB433_37
.LBB433_60:
	v_mov_b32_e32 v23, s62
	v_add_co_u32_e32 v22, vcc, s49, v11
	v_addc_co_u32_e32 v23, vcc, 0, v23, vcc
	flat_load_ushort v22, v[22:23] offset:1536
	s_or_b64 exec, exec, s[0:1]
                                        ; implicit-def: $vgpr23
	s_and_saveexec_b64 s[0:1], s[28:29]
	s_cbranch_execz .LBB433_38
.LBB433_61:
	v_mov_b32_e32 v23, s62
	v_add_co_u32_e32 v24, vcc, s49, v11
	v_addc_co_u32_e32 v25, vcc, 0, v23, vcc
	flat_load_ushort v23, v[24:25] offset:2048
	s_or_b64 exec, exec, s[0:1]
                                        ; implicit-def: $vgpr24
	s_and_saveexec_b64 s[0:1], s[8:9]
	s_cbranch_execz .LBB433_39
.LBB433_62:
	v_mov_b32_e32 v25, s62
	v_add_co_u32_e32 v24, vcc, s49, v11
	v_addc_co_u32_e32 v25, vcc, 0, v25, vcc
	flat_load_ushort v24, v[24:25] offset:2560
	s_or_b64 exec, exec, s[0:1]
                                        ; implicit-def: $vgpr25
	s_and_saveexec_b64 s[0:1], s[10:11]
	s_cbranch_execz .LBB433_40
.LBB433_63:
	v_mov_b32_e32 v25, s62
	v_add_co_u32_e32 v26, vcc, s49, v11
	v_addc_co_u32_e32 v27, vcc, 0, v25, vcc
	flat_load_ushort v25, v[26:27] offset:3072
	s_or_b64 exec, exec, s[0:1]
                                        ; implicit-def: $vgpr26
	s_and_saveexec_b64 s[0:1], s[12:13]
	s_cbranch_execz .LBB433_41
.LBB433_64:
	v_mov_b32_e32 v27, s62
	v_add_co_u32_e32 v26, vcc, s49, v11
	v_addc_co_u32_e32 v27, vcc, 0, v27, vcc
	flat_load_ushort v26, v[26:27] offset:3584
	s_or_b64 exec, exec, s[0:1]
                                        ; implicit-def: $vgpr27
	s_and_saveexec_b64 s[0:1], s[14:15]
	s_cbranch_execz .LBB433_42
.LBB433_65:
	v_mov_b32_e32 v27, s62
	v_add_co_u32_e32 v28, vcc, s49, v8
	v_addc_co_u32_e32 v29, vcc, 0, v27, vcc
	flat_load_ushort v27, v[28:29]
	s_or_b64 exec, exec, s[0:1]
                                        ; implicit-def: $vgpr8
	s_and_saveexec_b64 s[0:1], s[16:17]
	s_cbranch_execz .LBB433_43
.LBB433_66:
	v_mov_b32_e32 v28, s62
	v_add_co_u32_e32 v8, vcc, s49, v9
	v_addc_co_u32_e32 v9, vcc, 0, v28, vcc
	flat_load_ushort v8, v[8:9]
	s_or_b64 exec, exec, s[0:1]
                                        ; implicit-def: $vgpr9
	s_and_saveexec_b64 s[0:1], s[18:19]
	s_cbranch_execz .LBB433_44
.LBB433_67:
	v_mov_b32_e32 v9, s62
	v_add_co_u32_e32 v28, vcc, s49, v10
	v_addc_co_u32_e32 v29, vcc, 0, v9, vcc
	flat_load_ushort v9, v[28:29]
	s_or_b64 exec, exec, s[0:1]
                                        ; implicit-def: $vgpr10
	s_and_saveexec_b64 s[0:1], s[20:21]
	s_cbranch_execz .LBB433_45
.LBB433_68:
	v_mov_b32_e32 v10, s62
	v_add_co_u32_e32 v28, vcc, s49, v12
	v_addc_co_u32_e32 v29, vcc, 0, v10, vcc
	flat_load_ushort v10, v[28:29]
	s_or_b64 exec, exec, s[0:1]
                                        ; implicit-def: $vgpr12
	s_and_saveexec_b64 s[0:1], s[22:23]
	s_cbranch_execz .LBB433_46
.LBB433_69:
	v_mov_b32_e32 v28, s62
	v_add_co_u32_e32 v12, vcc, s49, v13
	v_addc_co_u32_e32 v13, vcc, 0, v28, vcc
	flat_load_ushort v12, v[12:13]
	s_or_b64 exec, exec, s[0:1]
                                        ; implicit-def: $vgpr13
	s_and_saveexec_b64 s[0:1], s[24:25]
	s_cbranch_execz .LBB433_47
.LBB433_70:
	v_mov_b32_e32 v13, s62
	v_add_co_u32_e32 v28, vcc, s49, v17
	v_addc_co_u32_e32 v29, vcc, 0, v13, vcc
	flat_load_ushort v13, v[28:29]
	s_or_b64 exec, exec, s[0:1]
                                        ; implicit-def: $vgpr17
	s_and_saveexec_b64 s[0:1], s[26:27]
	s_cbranch_execnz .LBB433_48
	s_branch .LBB433_49
.LBB433_71:
                                        ; implicit-def: $sgpr4_sgpr5
                                        ; implicit-def: $vgpr17
                                        ; implicit-def: $vgpr9
                                        ; implicit-def: $vgpr68
                                        ; implicit-def: $vgpr19
                                        ; implicit-def: $vgpr18
                                        ; implicit-def: $vgpr21
                                        ; implicit-def: $vgpr20
                                        ; implicit-def: $vgpr23
                                        ; implicit-def: $vgpr22
                                        ; implicit-def: $vgpr27
                                        ; implicit-def: $vgpr26
                                        ; implicit-def: $vgpr29
                                        ; implicit-def: $vgpr28
                                        ; implicit-def: $vgpr31
	s_cbranch_execz .LBB433_55
; %bb.72:
	v_lshlrev_b32_e32 v7, 1, v0
	v_lshrrev_b32_e32 v8, 16, v16
	s_mov_b32 s2, 0xcccd
	ds_write_b16 v7, v8
	v_mul_u32_u24_sdwa v9, v16, s2 dst_sel:DWORD dst_unused:UNUSED_PAD src0_sel:WORD_0 src1_sel:DWORD
	v_mul_u32_u24_e32 v8, 0xcccd, v8
	v_lshrrev_b32_e32 v9, 19, v9
	v_lshrrev_b32_e32 v8, 19, v8
	v_cmp_ne_u16_e32 vcc, v9, v8
	v_mul_u32_u24_sdwa v8, v15, s2 dst_sel:DWORD dst_unused:UNUSED_PAD src0_sel:WORD_1 src1_sel:DWORD
	v_lshrrev_b32_e32 v8, 19, v8
	v_mul_u32_u24_sdwa v10, v15, s2 dst_sel:DWORD dst_unused:UNUSED_PAD src0_sel:WORD_0 src1_sel:DWORD
	v_cndmask_b32_e64 v17, 0, 1, vcc
	v_cmp_ne_u16_e32 vcc, v8, v9
	v_lshrrev_b32_e32 v10, 19, v10
	v_cndmask_b32_e64 v9, 0, 1, vcc
	v_cmp_ne_u16_e32 vcc, v10, v8
	v_mul_u32_u24_sdwa v8, v14, s2 dst_sel:DWORD dst_unused:UNUSED_PAD src0_sel:WORD_1 src1_sel:DWORD
	v_lshrrev_b32_e32 v8, 19, v8
	v_cndmask_b32_e64 v68, 0, 1, vcc
	v_cmp_ne_u16_e32 vcc, v8, v10
	v_mul_u32_u24_sdwa v10, v14, s2 dst_sel:DWORD dst_unused:UNUSED_PAD src0_sel:WORD_0 src1_sel:DWORD
	v_lshrrev_b32_e32 v10, 19, v10
	v_cndmask_b32_e64 v19, 0, 1, vcc
	v_cmp_ne_u16_e32 vcc, v10, v8
	v_mul_u32_u24_sdwa v8, v5, s2 dst_sel:DWORD dst_unused:UNUSED_PAD src0_sel:WORD_1 src1_sel:DWORD
	v_lshrrev_b32_e32 v8, 19, v8
	v_cndmask_b32_e64 v18, 0, 1, vcc
	v_cmp_ne_u16_e32 vcc, v8, v10
	v_mul_u32_u24_sdwa v10, v5, s2 dst_sel:DWORD dst_unused:UNUSED_PAD src0_sel:WORD_0 src1_sel:DWORD
	;; [unrolled: 8-line block ×5, first 2 shown]
	v_lshrrev_b32_e32 v10, 19, v10
	v_cndmask_b32_e64 v29, 0, 1, vcc
	v_cmp_ne_u16_e32 vcc, v10, v8
	v_mul_u32_u24_sdwa v8, v1, s2 dst_sel:DWORD dst_unused:UNUSED_PAD src0_sel:WORD_0 src1_sel:DWORD
	v_lshrrev_b32_e32 v8, 19, v8
	v_cndmask_b32_e64 v28, 0, 1, vcc
	v_cmp_ne_u16_e32 vcc, v8, v10
	s_mov_b32 s8, 1
	v_cndmask_b32_e64 v31, 0, 1, vcc
	v_cmp_ne_u32_e32 vcc, 0, v0
	s_waitcnt lgkmcnt(0)
	s_barrier
	s_waitcnt lgkmcnt(0)
                                        ; implicit-def: $sgpr4_sgpr5
	s_and_saveexec_b64 s[2:3], vcc
	s_xor_b64 s[2:3], exec, s[2:3]
	s_cbranch_execz .LBB433_74
; %bb.73:
	v_add_u32_e32 v7, -2, v7
	ds_read_u16 v7, v7
	s_or_b64 s[0:1], s[0:1], exec
	s_waitcnt lgkmcnt(0)
	v_mul_u32_u24_e32 v7, 0xcccd, v7
	v_lshrrev_b32_e32 v7, 19, v7
	v_cmp_ne_u16_e32 vcc, v7, v8
	s_and_b64 s[4:5], vcc, exec
.LBB433_74:
	s_or_b64 exec, exec, s[2:3]
.LBB433_75:
	v_mov_b32_e32 v25, v9
	s_branch .LBB433_111
.LBB433_76:
	s_mul_hi_u32 s3, s38, 0xfffff100
	s_mul_i32 s2, s39, 0xfffff100
	s_sub_i32 s3, s3, s38
	s_add_i32 s3, s3, s2
	s_mul_i32 s2, s38, 0xfffff100
	s_add_u32 s2, s2, s56
	s_addc_u32 s3, s3, s57
	s_and_b64 vcc, exec, s[30:31]
	v_lshrrev_b32_e32 v10, 16, v16
	v_mad_u32_u24 v24, v0, 15, 14
	s_cbranch_vccz .LBB433_216
; %bb.77:
	v_mov_b32_e32 v7, s48
	v_add_co_u32_e64 v8, vcc, -2, s7
	v_addc_co_u32_e32 v9, vcc, -1, v7, vcc
	flat_load_ushort v11, v[8:9]
	v_mov_b32_e32 v9, 0
	v_mov_b32_e32 v25, v9
	v_lshlrev_b32_e32 v7, 1, v0
	v_cmp_gt_u64_e32 vcc, s[2:3], v[24:25]
	v_mov_b32_e32 v17, 0
	ds_write_b16 v7, v10
	s_and_saveexec_b64 s[0:1], vcc
; %bb.78:
	s_mov_b32 s4, 0xcccd
	v_mul_u32_u24_sdwa v8, v16, s4 dst_sel:DWORD dst_unused:UNUSED_PAD src0_sel:WORD_0 src1_sel:DWORD
	v_mul_u32_u24_sdwa v12, v10, s4 dst_sel:DWORD dst_unused:UNUSED_PAD src0_sel:WORD_0 src1_sel:DWORD
	v_lshrrev_b32_e32 v8, 19, v8
	v_lshrrev_b32_e32 v12, 19, v12
	v_cmp_ne_u16_e32 vcc, v8, v12
	v_cndmask_b32_e64 v17, 0, 1, vcc
; %bb.79:
	s_or_b64 exec, exec, s[0:1]
	v_add_u32_e32 v8, 13, v6
	v_cmp_gt_u64_e32 vcc, s[2:3], v[8:9]
	s_and_saveexec_b64 s[0:1], vcc
; %bb.80:
	s_mov_b32 s4, 0xcccd
	v_mul_u32_u24_sdwa v8, v15, s4 dst_sel:DWORD dst_unused:UNUSED_PAD src0_sel:WORD_1 src1_sel:DWORD
	v_mul_u32_u24_sdwa v9, v16, s4 dst_sel:DWORD dst_unused:UNUSED_PAD src0_sel:WORD_0 src1_sel:DWORD
	v_lshrrev_b32_e32 v8, 19, v8
	v_lshrrev_b32_e32 v9, 19, v9
	v_cmp_ne_u16_e32 vcc, v8, v9
	v_cndmask_b32_e64 v9, 0, 1, vcc
; %bb.81:
	s_or_b64 exec, exec, s[0:1]
	v_add_u32_e32 v18, 12, v6
	v_mov_b32_e32 v19, 0
	v_cmp_gt_u64_e32 vcc, s[2:3], v[18:19]
	v_mov_b32_e32 v68, 0
	s_and_saveexec_b64 s[0:1], vcc
; %bb.82:
	s_mov_b32 s4, 0xcccd
	v_mul_u32_u24_sdwa v8, v15, s4 dst_sel:DWORD dst_unused:UNUSED_PAD src0_sel:WORD_0 src1_sel:DWORD
	v_mul_u32_u24_sdwa v12, v15, s4 dst_sel:DWORD dst_unused:UNUSED_PAD src0_sel:WORD_1 src1_sel:DWORD
	v_lshrrev_b32_e32 v8, 19, v8
	v_lshrrev_b32_e32 v12, 19, v12
	v_cmp_ne_u16_e32 vcc, v8, v12
	v_cndmask_b32_e64 v68, 0, 1, vcc
; %bb.83:
	s_or_b64 exec, exec, s[0:1]
	v_add_u32_e32 v18, 11, v6
	v_cmp_gt_u64_e32 vcc, s[2:3], v[18:19]
	s_and_saveexec_b64 s[0:1], vcc
; %bb.84:
	s_mov_b32 s4, 0xcccd
	v_mul_u32_u24_sdwa v8, v14, s4 dst_sel:DWORD dst_unused:UNUSED_PAD src0_sel:WORD_1 src1_sel:DWORD
	v_mul_u32_u24_sdwa v12, v15, s4 dst_sel:DWORD dst_unused:UNUSED_PAD src0_sel:WORD_0 src1_sel:DWORD
	v_lshrrev_b32_e32 v8, 19, v8
	v_lshrrev_b32_e32 v12, 19, v12
	v_cmp_ne_u16_e32 vcc, v8, v12
	v_cndmask_b32_e64 v19, 0, 1, vcc
; %bb.85:
	s_or_b64 exec, exec, s[0:1]
	v_add_u32_e32 v20, 10, v6
	v_mov_b32_e32 v21, 0
	v_cmp_gt_u64_e32 vcc, s[2:3], v[20:21]
	v_mov_b32_e32 v18, 0
	s_and_saveexec_b64 s[0:1], vcc
; %bb.86:
	s_mov_b32 s4, 0xcccd
	v_mul_u32_u24_sdwa v8, v14, s4 dst_sel:DWORD dst_unused:UNUSED_PAD src0_sel:WORD_0 src1_sel:DWORD
	v_mul_u32_u24_sdwa v12, v14, s4 dst_sel:DWORD dst_unused:UNUSED_PAD src0_sel:WORD_1 src1_sel:DWORD
	;; [unrolled: 28-line block ×6, first 2 shown]
	v_lshrrev_b32_e32 v8, 19, v8
	v_lshrrev_b32_e32 v12, 19, v12
	v_cmp_ne_u16_e32 vcc, v8, v12
	v_cndmask_b32_e64 v28, 0, 1, vcc
; %bb.103:
	s_or_b64 exec, exec, s[0:1]
	v_add_u32_e32 v30, 1, v6
	v_cmp_gt_u64_e32 vcc, s[2:3], v[30:31]
	s_and_saveexec_b64 s[0:1], vcc
; %bb.104:
	s_mov_b32 s4, 0xcccd
	v_mul_u32_u24_sdwa v8, v1, s4 dst_sel:DWORD dst_unused:UNUSED_PAD src0_sel:WORD_0 src1_sel:DWORD
	v_mul_u32_u24_sdwa v12, v2, s4 dst_sel:DWORD dst_unused:UNUSED_PAD src0_sel:WORD_0 src1_sel:DWORD
	v_lshrrev_b32_e32 v8, 19, v8
	v_lshrrev_b32_e32 v12, 19, v12
	v_cmp_ne_u16_e32 vcc, v8, v12
	v_cndmask_b32_e64 v31, 0, 1, vcc
; %bb.105:
	s_or_b64 exec, exec, s[0:1]
	v_cmp_ne_u32_e32 vcc, 0, v0
	s_waitcnt lgkmcnt(0)
	s_barrier
	s_and_saveexec_b64 s[0:1], vcc
	s_cbranch_execz .LBB433_107
; %bb.106:
	v_add_u32_e32 v7, -2, v7
	s_waitcnt vmcnt(0)
	ds_read_u16 v11, v7
.LBB433_107:
	s_or_b64 exec, exec, s[0:1]
	v_mov_b32_e32 v7, 0
	v_cmp_gt_u64_e32 vcc, s[2:3], v[6:7]
	s_mov_b64 s[8:9], 0
	s_mov_b64 s[4:5], 0
	s_and_saveexec_b64 s[0:1], vcc
	s_cbranch_execz .LBB433_109
; %bb.108:
	s_mov_b32 s4, 0xcccd
	s_waitcnt vmcnt(0) lgkmcnt(0)
	v_mul_u32_u24_sdwa v7, v11, s4 dst_sel:DWORD dst_unused:UNUSED_PAD src0_sel:WORD_0 src1_sel:DWORD
	v_mul_u32_u24_sdwa v8, v1, s4 dst_sel:DWORD dst_unused:UNUSED_PAD src0_sel:WORD_0 src1_sel:DWORD
	v_lshrrev_b32_e32 v7, 19, v7
	v_lshrrev_b32_e32 v8, 19, v8
	v_cmp_ne_u16_e32 vcc, v7, v8
	s_and_b64 s[4:5], vcc, exec
.LBB433_109:
	s_or_b64 exec, exec, s[0:1]
	s_mov_b64 s[0:1], -1
	s_and_b64 vcc, exec, s[8:9]
	s_cbranch_vccnz .LBB433_217
.LBB433_110:
                                        ; implicit-def: $vgpr25
                                        ; implicit-def: $sgpr8
.LBB433_111:
	v_mov_b32_e32 v30, s8
	s_and_saveexec_b64 s[2:3], s[0:1]
.LBB433_112:
	v_cndmask_b32_e64 v30, 0, 1, s[4:5]
	v_mov_b32_e32 v25, v9
.LBB433_113:
	s_or_b64 exec, exec, s[2:3]
	s_cmp_eq_u64 s[46:47], 0
	v_add3_u32 v6, v31, v30, v28
	s_cselect_b64 s[30:31], -1, 0
	s_cmp_lg_u32 s6, 0
	v_cmp_eq_u32_e64 s[24:25], 0, v31
	v_cmp_eq_u32_e64 s[22:23], 0, v28
	;; [unrolled: 1-line block ×3, first 2 shown]
	v_add3_u32 v83, v6, v29, v26
	v_cmp_eq_u32_e64 s[18:19], 0, v26
	v_cmp_eq_u32_e64 s[16:17], 0, v27
	;; [unrolled: 1-line block ×10, first 2 shown]
	v_cmp_eq_u32_e32 vcc, 0, v17
	v_mbcnt_lo_u32_b32 v82, -1, 0
	v_lshrrev_b32_e32 v80, 6, v0
	v_or_b32_e32 v81, 63, v0
	s_cbranch_scc0 .LBB433_140
; %bb.114:
	v_cndmask_b32_e64 v6, 0, v77, s[24:25]
	v_add_u16_e32 v6, v6, v76
	v_cndmask_b32_e64 v6, 0, v6, s[22:23]
	v_add_u16_e32 v6, v6, v78
	;; [unrolled: 2-line block ×11, first 2 shown]
	v_cndmask_b32_e64 v6, 0, v6, s[2:3]
	v_add3_u32 v7, v83, v27, v22
	v_add_u16_e32 v6, v6, v66
	v_add3_u32 v7, v7, v23, v20
	v_cndmask_b32_e64 v6, 0, v6, s[0:1]
	v_add3_u32 v7, v7, v21, v18
	v_add_u16_e32 v6, v6, v64
	v_add3_u32 v7, v7, v19, v68
	v_cndmask_b32_e32 v6, 0, v6, vcc
	v_add3_u32 v7, v7, v25, v17
	v_add_u16_e32 v6, v6, v79
	v_mbcnt_hi_u32_b32 v33, -1, v82
	v_and_b32_e32 v8, 15, v33
	v_mov_b32_dpp v10, v6 row_shr:1 row_mask:0xf bank_mask:0xf
	v_cmp_eq_u32_e32 vcc, 0, v7
	v_mov_b32_dpp v9, v7 row_shr:1 row_mask:0xf bank_mask:0xf
	v_cndmask_b32_e32 v10, 0, v10, vcc
	v_cmp_eq_u32_e32 vcc, 0, v8
	v_add_u16_e32 v10, v10, v6
	v_cndmask_b32_e64 v9, v9, 0, vcc
	v_add_u32_e32 v7, v9, v7
	v_cndmask_b32_e32 v6, v10, v6, vcc
	v_cmp_eq_u32_e32 vcc, 0, v7
	v_mov_b32_dpp v9, v7 row_shr:2 row_mask:0xf bank_mask:0xf
	v_mov_b32_dpp v10, v6 row_shr:2 row_mask:0xf bank_mask:0xf
	v_cndmask_b32_e32 v10, 0, v10, vcc
	v_cmp_lt_u32_e32 vcc, 1, v8
	v_add_u16_e32 v10, v10, v6
	v_cndmask_b32_e32 v9, 0, v9, vcc
	v_cndmask_b32_e32 v6, v6, v10, vcc
	v_add_u32_e32 v7, v7, v9
	v_cmp_eq_u32_e32 vcc, 0, v7
	v_mov_b32_dpp v10, v6 row_shr:4 row_mask:0xf bank_mask:0xf
	v_mov_b32_dpp v9, v7 row_shr:4 row_mask:0xf bank_mask:0xf
	v_cndmask_b32_e32 v10, 0, v10, vcc
	v_cmp_lt_u32_e32 vcc, 3, v8
	v_add_u16_e32 v10, v10, v6
	v_cndmask_b32_e32 v9, 0, v9, vcc
	v_cndmask_b32_e32 v6, v6, v10, vcc
	v_add_u32_e32 v7, v9, v7
	;; [unrolled: 9-line block ×3, first 2 shown]
	v_bfe_i32 v10, v33, 4, 1
	v_mov_b32_dpp v9, v6 row_bcast:15 row_mask:0xf bank_mask:0xf
	v_mov_b32_dpp v8, v7 row_bcast:15 row_mask:0xf bank_mask:0xf
	v_cmp_eq_u32_e32 vcc, 0, v7
	s_waitcnt vmcnt(0) lgkmcnt(0)
	v_and_b32_e32 v11, 16, v33
	v_cndmask_b32_e32 v9, 0, v9, vcc
	v_and_b32_e32 v8, v10, v8
	v_add_u16_e32 v9, v9, v6
	v_add_u32_e32 v7, v8, v7
	v_cmp_eq_u32_e32 vcc, 0, v11
	v_cndmask_b32_e32 v8, v9, v6, vcc
	v_mov_b32_dpp v6, v7 row_bcast:31 row_mask:0xf bank_mask:0xf
	v_cmp_eq_u32_e32 vcc, 0, v7
	v_cmp_lt_u32_e64 s[26:27], 31, v33
	v_mov_b32_dpp v9, v8 row_bcast:31 row_mask:0xf bank_mask:0xf
	v_cndmask_b32_e64 v6, 0, v6, s[26:27]
	s_and_b64 vcc, s[26:27], vcc
	v_add_u32_e32 v6, v6, v7
	v_cndmask_b32_e32 v7, 0, v9, vcc
	v_add_u16_e32 v7, v7, v8
	v_cmp_eq_u32_e32 vcc, v81, v0
	v_lshlrev_b32_e32 v8, 3, v80
	s_and_saveexec_b64 s[26:27], vcc
	s_cbranch_execz .LBB433_116
; %bb.115:
	ds_write_b32 v8, v6 offset:1040
	ds_write_b16 v8, v7 offset:1044
.LBB433_116:
	s_or_b64 exec, exec, s[26:27]
	v_cmp_gt_u32_e32 vcc, 4, v0
	s_waitcnt lgkmcnt(0)
	s_barrier
	s_and_saveexec_b64 s[38:39], vcc
	s_cbranch_execz .LBB433_118
; %bb.117:
	v_lshlrev_b32_e32 v9, 3, v0
	ds_read_b64 v[10:11], v9 offset:1040
	v_and_b32_e32 v12, 3, v33
	s_mov_b32 s7, 0xffff0000
	v_cmp_lt_u32_e64 s[26:27], 1, v12
	s_waitcnt lgkmcnt(0)
	v_mov_b32_dpp v24, v11 row_shr:1 row_mask:0xf bank_mask:0xf
	v_cmp_eq_u32_e32 vcc, 0, v10
	v_mov_b32_dpp v13, v10 row_shr:1 row_mask:0xf bank_mask:0xf
	v_cndmask_b32_e32 v24, 0, v24, vcc
	v_cmp_eq_u32_e32 vcc, 0, v12
	v_add_u16_e32 v24, v24, v11
	v_cndmask_b32_e64 v13, v13, 0, vcc
	v_and_or_b32 v32, v11, s7, v24
	v_add_u32_e32 v10, v13, v10
	v_cndmask_b32_e32 v13, v24, v11, vcc
	v_cndmask_b32_e32 v11, v32, v11, vcc
	v_mov_b32_dpp v24, v10 row_shr:2 row_mask:0xf bank_mask:0xf
	v_cmp_eq_u32_e32 vcc, 0, v10
	v_mov_b32_dpp v11, v11 row_shr:2 row_mask:0xf bank_mask:0xf
	v_cndmask_b32_e64 v12, 0, v24, s[26:27]
	s_and_b64 vcc, s[26:27], vcc
	v_add_u32_e32 v10, v12, v10
	v_cndmask_b32_e32 v11, 0, v11, vcc
	v_add_u16_e32 v11, v13, v11
	ds_write_b32 v9, v10 offset:1040
	ds_write_b16 v9, v11 offset:1044
.LBB433_118:
	s_or_b64 exec, exec, s[38:39]
	v_cmp_gt_u32_e32 vcc, 64, v0
	v_cmp_lt_u32_e64 s[26:27], 63, v0
	v_mov_b32_e32 v24, 0
	v_mov_b32_e32 v36, 0
	s_waitcnt lgkmcnt(0)
	s_barrier
	s_and_saveexec_b64 s[38:39], s[26:27]
	s_cbranch_execz .LBB433_120
; %bb.119:
	ds_read_b32 v24, v8 offset:1032
	ds_read_u16 v36, v8 offset:1036
	v_cmp_eq_u32_e64 s[26:27], 0, v6
	s_waitcnt lgkmcnt(1)
	v_add_u32_e32 v8, v24, v6
	s_waitcnt lgkmcnt(0)
	v_cndmask_b32_e64 v6, 0, v36, s[26:27]
	v_add_u16_e32 v7, v6, v7
	v_mov_b32_e32 v6, v8
.LBB433_120:
	s_or_b64 exec, exec, s[38:39]
	v_add_u32_e32 v8, -1, v33
	v_and_b32_e32 v9, 64, v33
	v_cmp_lt_i32_e64 s[26:27], v8, v9
	v_cndmask_b32_e64 v8, v8, v33, s[26:27]
	v_and_b32_e32 v7, 0xffff, v7
	v_lshlrev_b32_e32 v8, 2, v8
	ds_bpermute_b32 v37, v8, v6
	ds_bpermute_b32 v38, v8, v7
	v_cmp_eq_u32_e64 s[26:27], 0, v33
	s_and_saveexec_b64 s[38:39], vcc
	s_cbranch_execz .LBB433_139
; %bb.121:
	v_mov_b32_e32 v9, 0
	ds_read_b64 v[6:7], v9 offset:1064
	s_waitcnt lgkmcnt(0)
	v_readfirstlane_b32 s7, v7
	s_and_saveexec_b64 s[40:41], s[26:27]
	s_cbranch_execz .LBB433_123
; %bb.122:
	s_add_i32 s46, s6, 64
	s_mov_b32 s47, 0
	s_lshl_b64 s[48:49], s[46:47], 4
	s_add_u32 s48, s44, s48
	s_addc_u32 s49, s45, s49
	s_and_b32 s51, s7, 0xff000000
	s_mov_b32 s50, s47
	s_and_b32 s57, s7, 0xff0000
	s_mov_b32 s56, s47
	s_or_b64 s[50:51], s[56:57], s[50:51]
	s_and_b32 s57, s7, 0xff00
	s_or_b64 s[50:51], s[50:51], s[56:57]
	s_and_b32 s57, s7, 0xff
	s_or_b64 s[46:47], s[50:51], s[56:57]
	v_mov_b32_e32 v7, s47
	v_mov_b32_e32 v8, 1
	v_pk_mov_b32 v[10:11], s[48:49], s[48:49] op_sel:[0,1]
	;;#ASMSTART
	global_store_dwordx4 v[10:11], v[6:9] off	
s_waitcnt vmcnt(0)
	;;#ASMEND
.LBB433_123:
	s_or_b64 exec, exec, s[40:41]
	v_xad_u32 v32, v33, -1, s6
	v_add_u32_e32 v8, 64, v32
	v_lshlrev_b64 v[10:11], 4, v[8:9]
	v_mov_b32_e32 v7, s45
	v_add_co_u32_e32 v34, vcc, s44, v10
	v_addc_co_u32_e32 v35, vcc, v7, v11, vcc
	;;#ASMSTART
	global_load_dwordx4 v[10:13], v[34:35] off glc	
s_waitcnt vmcnt(0)
	;;#ASMEND
	v_and_b32_e32 v7, 0xffffff, v10
	v_and_b32_e32 v8, 0xff000000, v10
	v_or_b32_e32 v7, v7, v8
	v_and_b32_e32 v8, 0xff, v11
	v_and_b32_e32 v10, 0xff00, v11
	v_or3_b32 v11, 0, v8, v10
	v_or3_b32 v10, v7, 0, 0
	v_cmp_eq_u16_sdwa s[46:47], v12, v9 src0_sel:BYTE_0 src1_sel:DWORD
	s_and_saveexec_b64 s[40:41], s[46:47]
	s_cbranch_execz .LBB433_127
; %bb.124:
	s_mov_b64 s[46:47], 0
	v_mov_b32_e32 v7, 0
.LBB433_125:                            ; =>This Inner Loop Header: Depth=1
	;;#ASMSTART
	global_load_dwordx4 v[10:13], v[34:35] off glc	
s_waitcnt vmcnt(0)
	;;#ASMEND
	v_cmp_ne_u16_sdwa s[48:49], v12, v7 src0_sel:BYTE_0 src1_sel:DWORD
	s_or_b64 s[46:47], s[48:49], s[46:47]
	s_andn2_b64 exec, exec, s[46:47]
	s_cbranch_execnz .LBB433_125
; %bb.126:
	s_or_b64 exec, exec, s[46:47]
	v_and_b32_e32 v11, 0xffff, v11
.LBB433_127:
	s_or_b64 exec, exec, s[40:41]
	v_mov_b32_e32 v7, 2
	v_and_b32_e32 v39, 63, v33
	v_cmp_eq_u16_sdwa s[40:41], v12, v7 src0_sel:BYTE_0 src1_sel:DWORD
	v_lshlrev_b64 v[8:9], v33, -1
	v_cmp_ne_u32_e32 vcc, 63, v39
	v_and_b32_e32 v13, s41, v9
	v_addc_co_u32_e32 v35, vcc, 0, v33, vcc
	v_or_b32_e32 v13, 0x80000000, v13
	v_lshlrev_b32_e32 v40, 2, v35
	v_and_b32_e32 v34, s40, v8
	v_ffbl_b32_e32 v13, v13
	ds_bpermute_b32 v35, v40, v11
	v_add_u32_e32 v13, 32, v13
	v_ffbl_b32_e32 v34, v34
	v_min_u32_e32 v13, v34, v13
	ds_bpermute_b32 v34, v40, v10
	v_cmp_eq_u32_e32 vcc, 0, v10
	s_waitcnt lgkmcnt(1)
	v_cndmask_b32_e32 v35, 0, v35, vcc
	v_add_u16_e32 v35, v35, v11
	v_cmp_lt_u32_e32 vcc, v39, v13
	v_cndmask_b32_e32 v11, v11, v35, vcc
	s_waitcnt lgkmcnt(0)
	v_cndmask_b32_e32 v34, 0, v34, vcc
	v_cmp_gt_u32_e32 vcc, 62, v39
	v_cndmask_b32_e64 v35, 0, 1, vcc
	v_lshlrev_b32_e32 v35, 1, v35
	v_add_lshl_u32 v41, v35, v33, 2
	ds_bpermute_b32 v35, v41, v11
	v_add_u32_e32 v10, v34, v10
	ds_bpermute_b32 v34, v41, v10
	v_cmp_eq_u32_e32 vcc, 0, v10
	v_add_u32_e32 v42, 2, v39
	s_waitcnt lgkmcnt(1)
	v_cndmask_b32_e32 v35, 0, v35, vcc
	v_add_u16_e32 v35, v35, v11
	v_cmp_gt_u32_e32 vcc, v42, v13
	v_cndmask_b32_e32 v11, v35, v11, vcc
	s_waitcnt lgkmcnt(0)
	v_cndmask_b32_e64 v34, v34, 0, vcc
	v_cmp_gt_u32_e32 vcc, 60, v39
	v_cndmask_b32_e64 v35, 0, 1, vcc
	v_lshlrev_b32_e32 v35, 2, v35
	v_add_lshl_u32 v43, v35, v33, 2
	ds_bpermute_b32 v35, v43, v11
	v_add_u32_e32 v10, v10, v34
	ds_bpermute_b32 v34, v43, v10
	v_cmp_eq_u32_e32 vcc, 0, v10
	v_add_u32_e32 v44, 4, v39
	s_waitcnt lgkmcnt(1)
	v_cndmask_b32_e32 v35, 0, v35, vcc
	v_add_u16_e32 v35, v11, v35
	v_cmp_gt_u32_e32 vcc, v44, v13
	v_cndmask_b32_e32 v11, v35, v11, vcc
	s_waitcnt lgkmcnt(0)
	v_cndmask_b32_e64 v34, v34, 0, vcc
	;; [unrolled: 16-line block ×4, first 2 shown]
	v_cmp_gt_u32_e32 vcc, 32, v39
	v_cndmask_b32_e64 v35, 0, 1, vcc
	v_lshlrev_b32_e32 v35, 5, v35
	v_add_lshl_u32 v51, v35, v33, 2
	ds_bpermute_b32 v33, v51, v11
	v_add_u32_e32 v10, v10, v34
	ds_bpermute_b32 v34, v51, v10
	v_add_u32_e32 v52, 32, v39
	v_cmp_eq_u32_e32 vcc, 0, v10
	s_waitcnt lgkmcnt(1)
	v_cndmask_b32_e32 v33, 0, v33, vcc
	v_cmp_gt_u32_e32 vcc, v52, v13
	v_cndmask_b32_e64 v13, v33, 0, vcc
	v_add_u16_e32 v11, v11, v13
	s_waitcnt lgkmcnt(0)
	v_cndmask_b32_e64 v13, v34, 0, vcc
	v_add_u32_e32 v10, v13, v10
	v_mov_b32_e32 v33, 0
	s_branch .LBB433_129
.LBB433_128:                            ;   in Loop: Header=BB433_129 Depth=1
	s_or_b64 exec, exec, s[40:41]
	v_cmp_eq_u16_sdwa s[40:41], v12, v7 src0_sel:BYTE_0 src1_sel:DWORD
	ds_bpermute_b32 v35, v40, v11
	v_and_b32_e32 v13, s41, v9
	v_or_b32_e32 v13, 0x80000000, v13
	v_and_b32_e32 v34, s40, v8
	v_ffbl_b32_e32 v13, v13
	v_add_u32_e32 v13, 32, v13
	v_ffbl_b32_e32 v34, v34
	v_cmp_eq_u32_e32 vcc, 0, v10
	v_min_u32_e32 v13, v34, v13
	ds_bpermute_b32 v34, v40, v10
	s_waitcnt lgkmcnt(1)
	v_cndmask_b32_e32 v35, 0, v35, vcc
	v_add_u16_e32 v35, v35, v11
	v_cmp_lt_u32_e32 vcc, v39, v13
	v_cndmask_b32_e32 v11, v11, v35, vcc
	ds_bpermute_b32 v35, v41, v11
	s_waitcnt lgkmcnt(1)
	v_cndmask_b32_e32 v34, 0, v34, vcc
	v_add_u32_e32 v10, v34, v10
	v_cmp_eq_u32_e32 vcc, 0, v10
	ds_bpermute_b32 v34, v41, v10
	s_waitcnt lgkmcnt(1)
	v_cndmask_b32_e32 v35, 0, v35, vcc
	v_add_u16_e32 v35, v35, v11
	v_cmp_gt_u32_e32 vcc, v42, v13
	v_cndmask_b32_e32 v11, v35, v11, vcc
	ds_bpermute_b32 v35, v43, v11
	s_waitcnt lgkmcnt(1)
	v_cndmask_b32_e64 v34, v34, 0, vcc
	v_add_u32_e32 v10, v10, v34
	v_cmp_eq_u32_e32 vcc, 0, v10
	ds_bpermute_b32 v34, v43, v10
	s_waitcnt lgkmcnt(1)
	v_cndmask_b32_e32 v35, 0, v35, vcc
	v_add_u16_e32 v35, v11, v35
	v_cmp_gt_u32_e32 vcc, v44, v13
	v_cndmask_b32_e32 v11, v35, v11, vcc
	ds_bpermute_b32 v35, v45, v11
	s_waitcnt lgkmcnt(1)
	v_cndmask_b32_e64 v34, v34, 0, vcc
	v_add_u32_e32 v10, v10, v34
	ds_bpermute_b32 v34, v45, v10
	v_cmp_eq_u32_e32 vcc, 0, v10
	s_waitcnt lgkmcnt(1)
	v_cndmask_b32_e32 v35, 0, v35, vcc
	v_add_u16_e32 v35, v11, v35
	v_cmp_gt_u32_e32 vcc, v46, v13
	v_cndmask_b32_e32 v11, v35, v11, vcc
	ds_bpermute_b32 v35, v48, v11
	s_waitcnt lgkmcnt(1)
	v_cndmask_b32_e64 v34, v34, 0, vcc
	v_add_u32_e32 v10, v10, v34
	ds_bpermute_b32 v34, v48, v10
	v_cmp_eq_u32_e32 vcc, 0, v10
	;; [unrolled: 11-line block ×3, first 2 shown]
	s_waitcnt lgkmcnt(1)
	v_cndmask_b32_e32 v35, 0, v35, vcc
	v_cmp_gt_u32_e32 vcc, v52, v13
	v_cndmask_b32_e64 v13, v35, 0, vcc
	v_add_u16_e32 v11, v11, v13
	s_waitcnt lgkmcnt(0)
	v_cndmask_b32_e64 v13, v34, 0, vcc
	v_cmp_eq_u32_e32 vcc, 0, v49
	v_cndmask_b32_e32 v11, 0, v11, vcc
	v_subrev_u32_e32 v32, 64, v32
	v_add3_u32 v10, v10, v49, v13
	v_add_u16_e32 v11, v11, v47
.LBB433_129:                            ; =>This Loop Header: Depth=1
                                        ;     Child Loop BB433_132 Depth 2
	v_cmp_ne_u16_sdwa s[40:41], v12, v7 src0_sel:BYTE_0 src1_sel:DWORD
	v_mov_b32_e32 v47, v11
	v_cndmask_b32_e64 v11, 0, 1, s[40:41]
	;;#ASMSTART
	;;#ASMEND
	v_cmp_ne_u32_e32 vcc, 0, v11
	s_cmp_lg_u64 vcc, exec
	v_mov_b32_e32 v49, v10
	s_cbranch_scc1 .LBB433_134
; %bb.130:                              ;   in Loop: Header=BB433_129 Depth=1
	v_lshlrev_b64 v[10:11], 4, v[32:33]
	v_mov_b32_e32 v12, s45
	v_add_co_u32_e32 v34, vcc, s44, v10
	v_addc_co_u32_e32 v35, vcc, v12, v11, vcc
	;;#ASMSTART
	global_load_dwordx4 v[10:13], v[34:35] off glc	
s_waitcnt vmcnt(0)
	;;#ASMEND
	v_and_b32_e32 v13, 0xffffff, v10
	v_and_b32_e32 v10, 0xff000000, v10
	v_or_b32_e32 v10, v13, v10
	v_and_b32_e32 v13, 0xff, v11
	v_and_b32_e32 v11, 0xff00, v11
	v_or3_b32 v11, 0, v13, v11
	v_or3_b32 v10, v10, 0, 0
	v_cmp_eq_u16_sdwa s[46:47], v12, v33 src0_sel:BYTE_0 src1_sel:DWORD
	s_and_saveexec_b64 s[40:41], s[46:47]
	s_cbranch_execz .LBB433_128
; %bb.131:                              ;   in Loop: Header=BB433_129 Depth=1
	s_mov_b64 s[46:47], 0
.LBB433_132:                            ;   Parent Loop BB433_129 Depth=1
                                        ; =>  This Inner Loop Header: Depth=2
	;;#ASMSTART
	global_load_dwordx4 v[10:13], v[34:35] off glc	
s_waitcnt vmcnt(0)
	;;#ASMEND
	v_cmp_ne_u16_sdwa s[48:49], v12, v33 src0_sel:BYTE_0 src1_sel:DWORD
	s_or_b64 s[46:47], s[48:49], s[46:47]
	s_andn2_b64 exec, exec, s[46:47]
	s_cbranch_execnz .LBB433_132
; %bb.133:                              ;   in Loop: Header=BB433_129 Depth=1
	s_or_b64 exec, exec, s[46:47]
	v_and_b32_e32 v11, 0xffff, v11
	s_branch .LBB433_128
.LBB433_134:                            ;   in Loop: Header=BB433_129 Depth=1
                                        ; implicit-def: $vgpr11
                                        ; implicit-def: $vgpr10
                                        ; implicit-def: $vgpr12
	s_cbranch_execz .LBB433_129
; %bb.135:
	s_and_saveexec_b64 s[40:41], s[26:27]
	s_cbranch_execz .LBB433_137
; %bb.136:
	s_mov_b32 s47, 0
	v_cmp_eq_u32_e32 vcc, 0, v6
	s_add_i32 s46, s6, 64
	v_cndmask_b32_e32 v7, 0, v47, vcc
	s_lshl_b64 s[46:47], s[46:47], 4
	v_add_u16_e32 v7, s7, v7
	s_add_u32 s46, s44, s46
	s_addc_u32 s47, s45, s47
	v_and_b32_e32 v9, 0xff00, v7
	v_add_u32_e32 v8, v49, v6
	v_mov_b32_e32 v11, 0
	v_or_b32_sdwa v9, v9, v7 dst_sel:DWORD dst_unused:UNUSED_PAD src0_sel:DWORD src1_sel:BYTE_0
	v_mov_b32_e32 v10, 2
	v_pk_mov_b32 v[12:13], s[46:47], s[46:47] op_sel:[0,1]
	;;#ASMSTART
	global_store_dwordx4 v[12:13], v[8:11] off	
s_waitcnt vmcnt(0)
	;;#ASMEND
	v_mov_b32_e32 v7, s7
	s_movk_i32 s6, 0x400
	ds_write_b16 v11, v7 offset:1028
	v_add_u32_e64 v7, s6, 0
	ds_write2_b32 v7, v6, v49 offset1:2
	ds_write_b16 v11, v47 offset:1036
.LBB433_137:
	s_or_b64 exec, exec, s[40:41]
	v_cmp_eq_u32_e32 vcc, 0, v0
	s_and_b64 exec, exec, vcc
	s_cbranch_execz .LBB433_139
; %bb.138:
	v_mov_b32_e32 v6, 0
	ds_write_b32 v6, v49 offset:1064
	ds_write_b16 v6, v47 offset:1068
.LBB433_139:
	s_or_b64 exec, exec, s[38:39]
	v_mov_b32_e32 v8, 0
	s_waitcnt lgkmcnt(0)
	s_barrier
	ds_read_b64 v[6:7], v8 offset:1064
	v_cndmask_b32_e64 v10, v37, v24, s[26:27]
	v_cmp_eq_u32_e32 vcc, 0, v10
	v_cndmask_b32_e64 v9, v38, v36, s[26:27]
	s_waitcnt lgkmcnt(0)
	v_cndmask_b32_e32 v11, 0, v7, vcc
	v_add_u16_e32 v9, v11, v9
	v_cmp_eq_u32_e32 vcc, 0, v0
	v_cndmask_b32_e32 v7, v9, v7, vcc
	v_cndmask_b32_e64 v9, v10, 0, vcc
	v_cmp_eq_u32_e32 vcc, 0, v30
	v_add_u32_e32 v62, v6, v9
	v_cndmask_b32_e32 v6, 0, v7, vcc
	v_add_u16_e32 v61, v6, v77
	v_cndmask_b32_e64 v6, 0, v61, s[24:25]
	v_add_u16_e32 v59, v6, v76
	v_cndmask_b32_e64 v6, 0, v59, s[22:23]
	;; [unrolled: 2-line block ×8, first 2 shown]
	v_add_u32_e32 v60, v62, v30
	v_add_u16_e32 v45, v6, v71
	v_add_u32_e32 v58, v60, v31
	v_cndmask_b32_e64 v6, 0, v45, s[8:9]
	v_add_u32_e32 v56, v58, v28
	v_add_u16_e32 v43, v6, v67
	v_add_u32_e32 v54, v56, v29
	v_cndmask_b32_e64 v6, 0, v43, s[28:29]
	;; [unrolled: 4-line block ×3, first 2 shown]
	v_and_b32_e32 v63, 0xffff, v7
	v_add_u32_e32 v48, v50, v22
	v_add_u16_e32 v39, v6, v65
	s_barrier
	ds_read_b128 v[6:9], v8 offset:1024
	v_add_u32_e32 v46, v48, v23
	v_add_u32_e32 v44, v46, v20
	;; [unrolled: 1-line block ×4, first 2 shown]
	v_cndmask_b32_e64 v10, 0, v39, s[2:3]
	v_add_u32_e32 v38, v40, v19
	v_add_u16_e32 v37, v10, v66
	s_waitcnt lgkmcnt(0)
	v_cmp_eq_u32_e32 vcc, 0, v6
	v_add_u32_e32 v36, v38, v68
	v_cndmask_b32_e64 v10, 0, v37, s[0:1]
	v_cndmask_b32_e32 v9, 0, v9, vcc
	v_add_u32_e32 v34, v36, v25
	v_add_u16_e32 v35, v10, v64
	v_add_u32_e32 v24, v9, v7
	s_branch .LBB433_152
.LBB433_140:
                                        ; implicit-def: $vgpr6
                                        ; implicit-def: $vgpr24
                                        ; implicit-def: $vgpr62_vgpr63
                                        ; implicit-def: $vgpr60_vgpr61
                                        ; implicit-def: $vgpr58_vgpr59
                                        ; implicit-def: $vgpr56_vgpr57
                                        ; implicit-def: $vgpr54_vgpr55
                                        ; implicit-def: $vgpr52_vgpr53
                                        ; implicit-def: $vgpr50_vgpr51
                                        ; implicit-def: $vgpr48_vgpr49
                                        ; implicit-def: $vgpr46_vgpr47
                                        ; implicit-def: $vgpr44_vgpr45
                                        ; implicit-def: $vgpr42_vgpr43
                                        ; implicit-def: $vgpr40_vgpr41
                                        ; implicit-def: $vgpr38_vgpr39
                                        ; implicit-def: $vgpr36_vgpr37
                                        ; implicit-def: $vgpr34_vgpr35
	s_cbranch_execz .LBB433_152
; %bb.141:
	s_and_b64 s[0:1], s[30:31], exec
	s_cselect_b32 s1, 0, s61
	s_cselect_b32 s0, 0, s60
	s_cmp_eq_u64 s[0:1], 0
	v_mov_b32_e32 v7, v77
	s_cbranch_scc1 .LBB433_143
; %bb.142:
	v_mov_b32_e32 v6, 0
	global_load_ushort v7, v6, s[0:1]
.LBB433_143:
	v_cmp_eq_u32_e64 s[0:1], 0, v31
	v_cndmask_b32_e64 v6, 0, v77, s[0:1]
	v_add_u16_e32 v6, v6, v76
	v_cmp_eq_u32_e64 s[2:3], 0, v28
	v_cndmask_b32_e64 v6, 0, v6, s[2:3]
	v_add_u16_e32 v6, v6, v78
	;; [unrolled: 3-line block ×11, first 2 shown]
	v_cmp_eq_u32_e64 s[22:23], 0, v68
	v_cndmask_b32_e64 v6, 0, v6, s[22:23]
	v_add3_u32 v8, v83, v27, v22
	v_add_u16_e32 v6, v6, v66
	v_cmp_eq_u32_e32 vcc, 0, v25
	v_add3_u32 v8, v8, v23, v20
	v_cndmask_b32_e32 v6, 0, v6, vcc
	v_add3_u32 v8, v8, v21, v18
	v_add_u16_e32 v6, v6, v64
	v_cmp_eq_u32_e64 s[24:25], 0, v17
	v_add3_u32 v8, v8, v19, v68
	v_cndmask_b32_e64 v6, 0, v6, s[24:25]
	v_add3_u32 v8, v8, v25, v17
	v_add_u16_e32 v9, v6, v79
	v_mbcnt_hi_u32_b32 v6, -1, v82
	v_and_b32_e32 v10, 15, v6
	v_mov_b32_dpp v12, v9 row_shr:1 row_mask:0xf bank_mask:0xf
	v_cmp_eq_u32_e64 s[24:25], 0, v8
	s_waitcnt vmcnt(0) lgkmcnt(0)
	v_mov_b32_dpp v11, v8 row_shr:1 row_mask:0xf bank_mask:0xf
	v_cndmask_b32_e64 v12, 0, v12, s[24:25]
	v_cmp_eq_u32_e64 s[24:25], 0, v10
	v_add_u16_e32 v12, v12, v9
	v_cndmask_b32_e64 v11, v11, 0, s[24:25]
	v_add_u32_e32 v8, v11, v8
	v_cndmask_b32_e64 v9, v12, v9, s[24:25]
	v_cmp_eq_u32_e64 s[24:25], 0, v8
	v_mov_b32_dpp v11, v8 row_shr:2 row_mask:0xf bank_mask:0xf
	v_mov_b32_dpp v12, v9 row_shr:2 row_mask:0xf bank_mask:0xf
	v_cndmask_b32_e64 v12, 0, v12, s[24:25]
	v_cmp_lt_u32_e64 s[24:25], 1, v10
	v_add_u16_e32 v12, v12, v9
	v_cndmask_b32_e64 v11, 0, v11, s[24:25]
	v_cndmask_b32_e64 v9, v9, v12, s[24:25]
	v_add_u32_e32 v8, v8, v11
	v_cmp_eq_u32_e64 s[24:25], 0, v8
	v_mov_b32_dpp v12, v9 row_shr:4 row_mask:0xf bank_mask:0xf
	v_mov_b32_dpp v11, v8 row_shr:4 row_mask:0xf bank_mask:0xf
	v_cndmask_b32_e64 v12, 0, v12, s[24:25]
	v_cmp_lt_u32_e64 s[24:25], 3, v10
	v_add_u16_e32 v12, v12, v9
	v_cndmask_b32_e64 v11, 0, v11, s[24:25]
	v_cndmask_b32_e64 v9, v9, v12, s[24:25]
	v_add_u32_e32 v8, v11, v8
	;; [unrolled: 9-line block ×3, first 2 shown]
	v_bfe_i32 v12, v6, 4, 1
	v_mov_b32_dpp v11, v9 row_bcast:15 row_mask:0xf bank_mask:0xf
	v_mov_b32_dpp v10, v8 row_bcast:15 row_mask:0xf bank_mask:0xf
	v_cmp_eq_u32_e64 s[24:25], 0, v8
	v_and_b32_e32 v13, 16, v6
	v_cndmask_b32_e64 v11, 0, v11, s[24:25]
	v_and_b32_e32 v10, v12, v10
	v_add_u16_e32 v11, v11, v9
	v_add_u32_e32 v8, v10, v8
	v_cmp_eq_u32_e64 s[24:25], 0, v13
	v_cndmask_b32_e64 v9, v11, v9, s[24:25]
	v_mov_b32_dpp v10, v8 row_bcast:31 row_mask:0xf bank_mask:0xf
	v_cmp_eq_u32_e64 s[24:25], 0, v8
	v_cmp_lt_u32_e64 s[26:27], 31, v6
	v_mov_b32_dpp v11, v9 row_bcast:31 row_mask:0xf bank_mask:0xf
	v_cndmask_b32_e64 v10, 0, v10, s[26:27]
	s_and_b64 s[24:25], s[26:27], s[24:25]
	v_add_u32_e32 v8, v10, v8
	v_cndmask_b32_e64 v10, 0, v11, s[24:25]
	v_add_u16_e32 v9, v10, v9
	v_cmp_eq_u32_e64 s[24:25], v81, v0
	v_lshlrev_b32_e32 v11, 3, v80
	s_and_saveexec_b64 s[26:27], s[24:25]
	s_cbranch_execz .LBB433_145
; %bb.144:
	ds_write_b32 v11, v8 offset:1040
	ds_write_b16 v11, v9 offset:1044
.LBB433_145:
	s_or_b64 exec, exec, s[26:27]
	v_cmp_gt_u32_e64 s[24:25], 4, v0
	s_waitcnt lgkmcnt(0)
	s_barrier
	s_and_saveexec_b64 s[28:29], s[24:25]
	s_cbranch_execz .LBB433_147
; %bb.146:
	v_lshlrev_b32_e32 v10, 3, v0
	ds_read_b64 v[12:13], v10 offset:1040
	v_and_b32_e32 v24, 3, v6
	s_mov_b32 s26, 0xffff0000
	s_waitcnt lgkmcnt(0)
	v_mov_b32_dpp v33, v13 row_shr:1 row_mask:0xf bank_mask:0xf
	v_cmp_eq_u32_e64 s[24:25], 0, v12
	v_mov_b32_dpp v32, v12 row_shr:1 row_mask:0xf bank_mask:0xf
	v_cndmask_b32_e64 v33, 0, v33, s[24:25]
	v_cmp_eq_u32_e64 s[24:25], 0, v24
	v_add_u16_e32 v33, v33, v13
	v_cndmask_b32_e64 v32, v32, 0, s[24:25]
	v_and_or_b32 v34, v13, s26, v33
	v_add_u32_e32 v12, v32, v12
	v_cndmask_b32_e64 v32, v33, v13, s[24:25]
	v_cndmask_b32_e64 v13, v34, v13, s[24:25]
	v_mov_b32_dpp v33, v12 row_shr:2 row_mask:0xf bank_mask:0xf
	v_cmp_eq_u32_e64 s[24:25], 0, v12
	v_cmp_lt_u32_e64 s[26:27], 1, v24
	v_mov_b32_dpp v13, v13 row_shr:2 row_mask:0xf bank_mask:0xf
	v_cndmask_b32_e64 v24, 0, v33, s[26:27]
	s_and_b64 s[24:25], s[26:27], s[24:25]
	v_add_u32_e32 v12, v24, v12
	v_cndmask_b32_e64 v13, 0, v13, s[24:25]
	v_add_u16_e32 v13, v32, v13
	ds_write_b32 v10, v12 offset:1040
	ds_write_b16 v10, v13 offset:1044
.LBB433_147:
	s_or_b64 exec, exec, s[28:29]
	v_cmp_lt_u32_e64 s[24:25], 63, v0
	v_mov_b32_e32 v10, 0
	v_mov_b32_e32 v12, 0
	;; [unrolled: 1-line block ×3, first 2 shown]
	s_waitcnt lgkmcnt(0)
	s_barrier
	s_and_saveexec_b64 s[26:27], s[24:25]
	s_cbranch_execz .LBB433_149
; %bb.148:
	ds_read_b32 v12, v11 offset:1032
	ds_read_u16 v11, v11 offset:1036
	s_waitcnt lgkmcnt(1)
	v_cmp_eq_u32_e64 s[24:25], 0, v12
	v_cndmask_b32_e64 v13, 0, v7, s[24:25]
	s_waitcnt lgkmcnt(0)
	v_add_u16_e32 v13, v13, v11
.LBB433_149:
	s_or_b64 exec, exec, s[26:27]
	v_cmp_eq_u32_e64 s[24:25], 0, v8
	v_add_u32_e32 v11, v12, v8
	v_cndmask_b32_e64 v8, 0, v13, s[24:25]
	v_add_u16_e32 v8, v8, v9
	v_add_u32_e32 v9, -1, v6
	v_and_b32_e32 v24, 64, v6
	v_cmp_lt_i32_e64 s[24:25], v9, v24
	v_cndmask_b32_e64 v9, v9, v6, s[24:25]
	v_lshlrev_b32_e32 v9, 2, v9
	ds_bpermute_b32 v11, v9, v11
	ds_bpermute_b32 v8, v9, v8
	v_cmp_eq_u32_e64 s[24:25], 0, v6
	v_cmp_eq_u32_e64 s[26:27], 0, v30
	s_waitcnt lgkmcnt(1)
	v_cndmask_b32_e64 v6, v11, v12, s[24:25]
	s_waitcnt lgkmcnt(0)
	v_cndmask_b32_e64 v8, v8, v13, s[24:25]
	v_cmp_eq_u32_e64 s[24:25], 0, v0
	v_cndmask_b32_e64 v8, v8, v7, s[24:25]
	v_cndmask_b32_e64 v62, v6, 0, s[24:25]
	;; [unrolled: 1-line block ×3, first 2 shown]
	v_add_u16_e32 v61, v6, v77
	v_cndmask_b32_e64 v6, 0, v61, s[0:1]
	v_add_u16_e32 v59, v6, v76
	v_cndmask_b32_e64 v6, 0, v59, s[2:3]
	;; [unrolled: 2-line block ×9, first 2 shown]
	v_add_u32_e32 v60, v62, v30
	v_add_u16_e32 v43, v6, v67
	v_add_u32_e32 v58, v60, v31
	v_cndmask_b32_e64 v6, 0, v43, s[18:19]
	v_add_u32_e32 v56, v58, v28
	v_add_u16_e32 v41, v6, v69
	v_add_u32_e32 v54, v56, v29
	v_cndmask_b32_e64 v6, 0, v41, s[20:21]
	;; [unrolled: 4-line block ×3, first 2 shown]
	v_add_u32_e32 v48, v50, v22
	v_add_u16_e32 v37, v6, v66
	ds_read_b32 v6, v10 offset:1064
	v_add_u32_e32 v46, v48, v23
	v_and_b32_e32 v63, 0xffff, v8
	ds_read_u16 v8, v10 offset:1068
	v_add_u32_e32 v44, v46, v20
	v_add_u32_e32 v42, v44, v21
	;; [unrolled: 1-line block ×4, first 2 shown]
	v_cndmask_b32_e32 v9, 0, v37, vcc
	s_waitcnt lgkmcnt(1)
	v_cmp_eq_u32_e32 vcc, 0, v6
	v_add_u32_e32 v36, v38, v68
	v_cndmask_b32_e32 v7, 0, v7, vcc
	v_add_u32_e32 v34, v36, v25
	v_add_u16_e32 v35, v9, v64
	s_waitcnt lgkmcnt(0)
	v_add_u16_e32 v24, v7, v8
	s_and_saveexec_b64 s[0:1], s[24:25]
	s_cbranch_execz .LBB433_151
; %bb.150:
	s_add_u32 s2, s44, 0x400
	s_addc_u32 s3, s45, 0
	v_and_b32_e32 v7, 0xff00, v24
	v_mov_b32_e32 v9, 0
	v_or_b32_sdwa v7, v7, v24 dst_sel:DWORD dst_unused:UNUSED_PAD src0_sel:DWORD src1_sel:BYTE_0
	v_mov_b32_e32 v8, 2
	v_pk_mov_b32 v[10:11], s[2:3], s[2:3] op_sel:[0,1]
	;;#ASMSTART
	global_store_dwordx4 v[10:11], v[6:9] off	
s_waitcnt vmcnt(0)
	;;#ASMEND
.LBB433_151:
	s_or_b64 exec, exec, s[0:1]
	v_mov_b32_e32 v8, 0
.LBB433_152:
	s_and_b64 s[0:1], s[30:31], exec
	s_cselect_b32 s1, 0, s59
	s_cselect_b32 s0, 0, s58
	s_cmp_eq_u64 s[0:1], 0
	v_pk_mov_b32 v[32:33], 0, 0
	s_waitcnt lgkmcnt(0)
	s_barrier
	s_cbranch_scc1 .LBB433_154
; %bb.153:
	v_mov_b32_e32 v7, 0
	global_load_dwordx2 v[32:33], v7, s[0:1]
.LBB433_154:
	s_waitcnt vmcnt(0)
	v_lshlrev_b64 v[64:65], 1, v[32:33]
	v_mov_b32_e32 v7, s43
	v_add_co_u32_e32 v10, vcc, s42, v64
	v_mov_b32_e32 v9, 0
	v_addc_co_u32_e32 v11, vcc, v7, v65, vcc
	v_lshlrev_b64 v[66:67], 1, v[8:9]
	v_add_co_u32_e32 v7, vcc, v10, v66
	v_addc_co_u32_e32 v9, vcc, v11, v67, vcc
	v_cmp_eq_u32_e32 vcc, 0, v30
	v_cndmask_b32_e64 v10, 1, 2, vcc
	v_cmp_eq_u32_e32 vcc, 0, v31
	v_cndmask_b32_e64 v11, 1, 2, vcc
	v_cmp_eq_u32_e32 vcc, 0, v28
	v_and_b32_e32 v10, v11, v10
	v_cndmask_b32_e64 v11, 1, 2, vcc
	v_cmp_eq_u32_e32 vcc, 0, v29
	v_and_b32_e32 v10, v10, v11
	;; [unrolled: 3-line block ×13, first 2 shown]
	v_cndmask_b32_e64 v11, 1, 2, vcc
	s_movk_i32 s30, 0x100
	v_and_b32_e32 v10, v10, v11
	v_cmp_gt_u32_e32 vcc, s30, v6
	v_cmp_ne_u32_e64 s[28:29], 0, v30
	v_cmp_ne_u32_e64 s[26:27], 0, v31
	;; [unrolled: 1-line block ×15, first 2 shown]
	s_mov_b64 s[38:39], -1
	v_cmp_gt_i16_e64 s[30:31], 2, v10
	s_cbranch_vccz .LBB433_161
; %bb.155:
	s_and_saveexec_b64 s[38:39], s[30:31]
	s_cbranch_execz .LBB433_160
; %bb.156:
	v_cmp_ne_u16_e32 vcc, 1, v10
	s_mov_b64 s[40:41], 0
	s_and_saveexec_b64 s[30:31], vcc
	s_xor_b64 s[30:31], exec, s[30:31]
	s_cbranch_execnz .LBB433_250
; %bb.157:
	s_andn2_saveexec_b64 s[30:31], s[30:31]
	s_cbranch_execnz .LBB433_266
.LBB433_158:
	s_or_b64 exec, exec, s[30:31]
	s_and_b64 exec, exec, s[40:41]
	s_cbranch_execz .LBB433_160
.LBB433_159:
	v_sub_u32_e32 v12, v34, v8
	v_mov_b32_e32 v13, 0
	v_lshlrev_b64 v[12:13], 1, v[12:13]
	v_add_co_u32_e32 v12, vcc, v7, v12
	v_addc_co_u32_e32 v13, vcc, v9, v13, vcc
	global_store_short_d16_hi v[12:13], v16, off
.LBB433_160:
	s_or_b64 exec, exec, s[38:39]
	s_mov_b64 s[38:39], 0
.LBB433_161:
	s_and_b64 vcc, exec, s[38:39]
	s_cbranch_vccz .LBB433_183
; %bb.162:
	v_cmp_gt_i16_e32 vcc, 2, v10
	s_and_saveexec_b64 s[30:31], vcc
	s_cbranch_execz .LBB433_167
; %bb.163:
	v_cmp_ne_u16_e32 vcc, 1, v10
	s_mov_b64 s[40:41], 0
	s_and_saveexec_b64 s[38:39], vcc
	s_xor_b64 s[38:39], exec, s[38:39]
	s_cbranch_execnz .LBB433_267
; %bb.164:
	s_andn2_saveexec_b64 s[0:1], s[38:39]
	s_cbranch_execnz .LBB433_283
.LBB433_165:
	s_or_b64 exec, exec, s[0:1]
	s_and_b64 exec, exec, s[40:41]
	s_cbranch_execz .LBB433_167
.LBB433_166:
	v_sub_u32_e32 v1, v34, v8
	v_lshlrev_b32_e32 v1, 1, v1
	ds_write_b16_d16_hi v1, v16
.LBB433_167:
	s_or_b64 exec, exec, s[30:31]
	v_cmp_lt_u32_e32 vcc, v0, v6
	s_waitcnt lgkmcnt(0)
	s_barrier
	s_and_saveexec_b64 s[2:3], vcc
	s_cbranch_execz .LBB433_182
; %bb.168:
	v_xad_u32 v1, v0, -1, v6
	s_movk_i32 s0, 0x1700
	v_cmp_gt_u32_e64 s[4:5], s0, v1
	s_movk_i32 s0, 0x16ff
	v_cmp_lt_u32_e32 vcc, s0, v1
	v_mov_b32_e32 v2, v0
	s_and_saveexec_b64 s[6:7], vcc
	s_cbranch_execz .LBB433_179
; %bb.169:
	v_sub_u32_e32 v2, v0, v6
	v_or_b32_e32 v2, 0xff, v2
	v_cmp_ge_u32_e32 vcc, v2, v0
	s_mov_b64 s[0:1], -1
	v_mov_b32_e32 v2, v0
	s_and_saveexec_b64 s[8:9], vcc
	s_cbranch_execz .LBB433_178
; %bb.170:
	v_lshrrev_b32_e32 v14, 8, v1
	v_or_b32_e32 v3, 0x300, v0
	v_or_b32_e32 v2, 0x200, v0
	v_add_u32_e32 v4, -3, v14
	v_or_b32_e32 v1, 0x100, v0
	v_lshrrev_b32_e32 v5, 2, v4
	v_pk_mov_b32 v[12:13], v[2:3], v[2:3] op_sel:[0,1]
	v_add_u32_e32 v15, 1, v5
	v_cmp_lt_u32_e32 vcc, 11, v4
	v_mov_b32_e32 v70, 0
	v_pk_mov_b32 v[10:11], v[0:1], v[0:1] op_sel:[0,1]
	s_and_saveexec_b64 s[10:11], vcc
	s_cbranch_execz .LBB433_174
; %bb.171:
	v_pk_mov_b32 v[12:13], v[2:3], v[2:3] op_sel:[0,1]
	v_and_b32_e32 v16, 0x7ffffffc, v15
	v_lshlrev_b32_e32 v69, 1, v0
	s_mov_b32 s14, 0
	s_mov_b64 s[12:13], 0
	v_mov_b32_e32 v5, 0
	v_pk_mov_b32 v[10:11], v[0:1], v[0:1] op_sel:[0,1]
.LBB433_172:                            ; =>This Inner Loop Header: Depth=1
	v_mov_b32_e32 v4, v10
	v_lshlrev_b64 v[86:87], 1, v[4:5]
	v_add_u32_e32 v72, 0x400, v11
	v_mov_b32_e32 v73, v5
	v_add_co_u32_e64 v86, s[0:1], v7, v86
	v_lshlrev_b64 v[72:73], 1, v[72:73]
	v_addc_co_u32_e64 v87, s[0:1], v9, v87, s[0:1]
	v_add_u32_e32 v70, 0x400, v12
	v_mov_b32_e32 v71, v5
	v_add_co_u32_e64 v72, s[0:1], v7, v72
	v_lshlrev_b64 v[88:89], 1, v[70:71]
	v_addc_co_u32_e64 v73, s[0:1], v9, v73, s[0:1]
	v_add_u32_e32 v2, 0x400, v13
	v_mov_b32_e32 v3, v5
	v_add_co_u32_e64 v88, s[0:1], v7, v88
	v_add_u32_e32 v16, -4, v16
	v_mov_b32_e32 v4, v11
	v_lshlrev_b64 v[2:3], 1, v[2:3]
	v_addc_co_u32_e64 v89, s[0:1], v9, v89, s[0:1]
	v_add_u32_e32 v78, 0x800, v11
	v_mov_b32_e32 v79, v5
	s_add_i32 s14, s14, 16
	v_cmp_eq_u32_e32 vcc, 0, v16
	v_lshlrev_b64 v[90:91], 1, v[4:5]
	v_add_co_u32_e64 v2, s[0:1], v7, v2
	v_lshlrev_b64 v[78:79], 1, v[78:79]
	v_mov_b32_e32 v4, v12
	v_addc_co_u32_e64 v3, s[0:1], v9, v3, s[0:1]
	s_or_b64 s[12:13], vcc, s[12:13]
	v_add_co_u32_e32 v90, vcc, v7, v90
	v_add_u32_e32 v76, 0x800, v12
	v_mov_b32_e32 v77, v5
	v_add_co_u32_e64 v78, s[0:1], v7, v78
	v_addc_co_u32_e32 v91, vcc, v9, v91, vcc
	v_lshlrev_b64 v[92:93], 1, v[4:5]
	v_lshlrev_b64 v[76:77], 1, v[76:77]
	v_addc_co_u32_e64 v79, s[0:1], v9, v79, s[0:1]
	v_mov_b32_e32 v4, v13
	v_add_co_u32_e32 v92, vcc, v7, v92
	ds_read_u16 v1, v69
	ds_read_u16 v96, v69 offset:512
	ds_read_u16 v97, v69 offset:1024
	;; [unrolled: 1-line block ×7, first 2 shown]
	v_add_u32_e32 v74, 0x800, v13
	v_mov_b32_e32 v75, v5
	v_add_co_u32_e64 v76, s[0:1], v7, v76
	v_addc_co_u32_e32 v93, vcc, v9, v93, vcc
	v_lshlrev_b64 v[94:95], 1, v[4:5]
	v_lshlrev_b64 v[74:75], 1, v[74:75]
	v_addc_co_u32_e64 v77, s[0:1], v9, v77, s[0:1]
	v_add_u32_e32 v4, 0x400, v10
	v_add_co_u32_e32 v94, vcc, v7, v94
	v_add_u32_e32 v84, 0xc00, v11
	v_mov_b32_e32 v85, v5
	ds_read_u16 v103, v69 offset:4096
	ds_read_u16 v104, v69 offset:4608
	;; [unrolled: 1-line block ×8, first 2 shown]
	v_add_co_u32_e64 v74, s[0:1], v7, v74
	v_addc_co_u32_e32 v95, vcc, v9, v95, vcc
	s_waitcnt lgkmcnt(14)
	global_store_short v[86:87], v1, off
	global_store_short v[90:91], v96, off
	s_waitcnt lgkmcnt(13)
	global_store_short v[92:93], v97, off
	v_lshlrev_b64 v[86:87], 1, v[4:5]
	v_lshlrev_b64 v[84:85], 1, v[84:85]
	v_addc_co_u32_e64 v75, s[0:1], v9, v75, s[0:1]
	v_add_u32_e32 v4, 0x800, v10
	v_add_co_u32_e32 v86, vcc, v7, v86
	v_add_u32_e32 v82, 0xc00, v12
	v_mov_b32_e32 v83, v5
	v_add_co_u32_e64 v84, s[0:1], v7, v84
	v_addc_co_u32_e32 v87, vcc, v9, v87, vcc
	v_lshlrev_b64 v[90:91], 1, v[4:5]
	v_lshlrev_b64 v[82:83], 1, v[82:83]
	v_addc_co_u32_e64 v85, s[0:1], v9, v85, s[0:1]
	s_waitcnt lgkmcnt(12)
	global_store_short v[94:95], v98, off
	v_add_u32_e32 v4, 0xc00, v10
	s_waitcnt lgkmcnt(11)
	global_store_short v[86:87], v99, off
	s_waitcnt lgkmcnt(10)
	global_store_short v[72:73], v100, off
	;; [unrolled: 2-line block ×4, first 2 shown]
	v_add_co_u32_e32 v2, vcc, v7, v90
	v_add_u32_e32 v80, 0xc00, v13
	v_mov_b32_e32 v81, v5
	v_add_co_u32_e64 v82, s[0:1], v7, v82
	v_addc_co_u32_e32 v3, vcc, v9, v91, vcc
	v_lshlrev_b64 v[72:73], 1, v[4:5]
	v_lshlrev_b64 v[80:81], 1, v[80:81]
	v_addc_co_u32_e64 v83, s[0:1], v9, v83, s[0:1]
	s_waitcnt lgkmcnt(7)
	global_store_short v[2:3], v103, off
	s_waitcnt lgkmcnt(6)
	global_store_short v[78:79], v104, off
	;; [unrolled: 2-line block ×4, first 2 shown]
	v_add_co_u32_e32 v2, vcc, v7, v72
	v_add_u32_e32 v69, 0x2000, v69
	v_add_u32_e32 v11, 0x1000, v11
	v_mov_b32_e32 v70, s14
	v_add_co_u32_e64 v80, s[0:1], v7, v80
	v_add_u32_e32 v12, 0x1000, v12
	v_add_u32_e32 v13, 0x1000, v13
	v_add_u32_e32 v10, 0x1000, v10
	v_addc_co_u32_e32 v3, vcc, v9, v73, vcc
	v_addc_co_u32_e64 v81, s[0:1], v9, v81, s[0:1]
	s_waitcnt lgkmcnt(3)
	global_store_short v[2:3], v107, off
	s_waitcnt lgkmcnt(2)
	global_store_short v[84:85], v108, off
	;; [unrolled: 2-line block ×4, first 2 shown]
	s_andn2_b64 exec, exec, s[12:13]
	s_cbranch_execnz .LBB433_172
; %bb.173:
	s_or_b64 exec, exec, s[12:13]
.LBB433_174:
	s_or_b64 exec, exec, s[10:11]
	v_and_b32_e32 v1, 3, v15
	v_cmp_ne_u32_e32 vcc, 0, v1
	s_and_saveexec_b64 s[10:11], vcc
	s_cbranch_execz .LBB433_177
; %bb.175:
	v_lshlrev_b32_e32 v2, 1, v0
	v_lshl_or_b32 v4, v70, 9, v2
	s_mov_b64 s[12:13], 0
	v_mov_b32_e32 v3, 0
.LBB433_176:                            ; =>This Inner Loop Header: Depth=1
	v_mov_b32_e32 v2, v10
	v_add_u32_e32 v1, -1, v1
	v_lshlrev_b64 v[70:71], 1, v[2:3]
	v_mov_b32_e32 v2, v11
	v_cmp_eq_u32_e32 vcc, 0, v1
	v_lshlrev_b64 v[72:73], 1, v[2:3]
	ds_read_u16 v5, v4
	ds_read_u16 v15, v4 offset:512
	ds_read_u16 v16, v4 offset:1024
	;; [unrolled: 1-line block ×3, first 2 shown]
	v_mov_b32_e32 v2, v12
	s_or_b64 s[12:13], vcc, s[12:13]
	v_add_co_u32_e32 v72, vcc, v7, v72
	v_addc_co_u32_e32 v73, vcc, v9, v73, vcc
	v_lshlrev_b64 v[74:75], 1, v[2:3]
	v_mov_b32_e32 v2, v13
	v_add_co_u32_e32 v74, vcc, v7, v74
	v_add_co_u32_e64 v70, s[0:1], v7, v70
	v_addc_co_u32_e32 v75, vcc, v9, v75, vcc
	v_lshlrev_b64 v[76:77], 1, v[2:3]
	v_add_u32_e32 v10, 0x400, v10
	v_add_u32_e32 v4, 0x800, v4
	v_add_u32_e32 v11, 0x400, v11
	v_addc_co_u32_e64 v71, s[0:1], v9, v71, s[0:1]
	v_add_u32_e32 v12, 0x400, v12
	v_add_u32_e32 v13, 0x400, v13
	v_add_co_u32_e32 v76, vcc, v7, v76
	v_addc_co_u32_e32 v77, vcc, v9, v77, vcc
	s_waitcnt lgkmcnt(3)
	global_store_short v[70:71], v5, off
	s_waitcnt lgkmcnt(2)
	global_store_short v[72:73], v15, off
	s_waitcnt lgkmcnt(1)
	global_store_short v[74:75], v16, off
	s_waitcnt lgkmcnt(0)
	global_store_short v[76:77], v69, off
	s_andn2_b64 exec, exec, s[12:13]
	s_cbranch_execnz .LBB433_176
.LBB433_177:
	s_or_b64 exec, exec, s[10:11]
	v_add_u32_e32 v1, 1, v14
	v_and_b32_e32 v3, 0x1fffffc, v1
	v_cmp_ne_u32_e32 vcc, v1, v3
	v_lshl_or_b32 v2, v3, 8, v0
	s_orn2_b64 s[0:1], vcc, exec
.LBB433_178:
	s_or_b64 exec, exec, s[8:9]
	s_andn2_b64 s[4:5], s[4:5], exec
	s_and_b64 s[0:1], s[0:1], exec
	s_or_b64 s[4:5], s[4:5], s[0:1]
.LBB433_179:
	s_or_b64 exec, exec, s[6:7]
	s_and_b64 exec, exec, s[4:5]
	s_cbranch_execz .LBB433_182
; %bb.180:
	v_lshlrev_b32_e32 v1, 1, v2
	s_mov_b64 s[0:1], 0
	v_mov_b32_e32 v3, 0
.LBB433_181:                            ; =>This Inner Loop Header: Depth=1
	v_lshlrev_b64 v[4:5], 1, v[2:3]
	ds_read_u16 v10, v1
	v_add_co_u32_e32 v4, vcc, v7, v4
	v_add_u32_e32 v2, 0x100, v2
	v_addc_co_u32_e32 v5, vcc, v9, v5, vcc
	v_cmp_ge_u32_e32 vcc, v2, v6
	v_add_u32_e32 v1, 0x200, v1
	s_or_b64 s[0:1], vcc, s[0:1]
	s_waitcnt lgkmcnt(0)
	global_store_short v[4:5], v10, off
	s_andn2_b64 exec, exec, s[0:1]
	s_cbranch_execnz .LBB433_181
.LBB433_182:
	s_or_b64 exec, exec, s[2:3]
.LBB433_183:
	s_cmpk_lg_i32 s33, 0xf00
	s_cselect_b64 s[0:1], -1, 0
	v_cndmask_b32_e64 v1, 0, 1, s[36:37]
	s_and_b64 s[0:1], s[34:35], s[0:1]
	v_cmp_eq_u32_e32 vcc, 0, v0
	v_sub_u32_e32 v3, v6, v1
	v_cndmask_b32_e64 v2, 0, 1, s[0:1]
	s_and_b64 s[0:1], vcc, s[36:37]
	v_add_u32_e32 v7, v3, v2
	v_cndmask_b32_e64 v3, v30, 0, s[0:1]
	s_mul_hi_u32 s0, s33, 0x88888889
	s_lshr_b32 s0, s0, 3
	v_mad_i32_i24 v4, v0, -15, s33
	v_cmp_eq_u32_e32 vcc, s0, v0
	v_cmp_ne_u32_e64 s[0:1], 0, v4
	v_cndmask_b32_e64 v5, 1, v3, s[0:1]
	v_cmp_ne_u32_e64 s[0:1], 1, v4
	v_cndmask_b32_e64 v9, 1, v31, s[0:1]
	;; [unrolled: 2-line block ×15, first 2 shown]
	s_and_b64 vcc, s[34:35], vcc
	v_cndmask_b32_e32 v4, v17, v4, vcc
	v_cndmask_b32_e32 v17, v25, v72, vcc
	;; [unrolled: 1-line block ×15, first 2 shown]
	v_mov_b32_e32 v3, s53
	v_add_co_u32_e32 v9, vcc, s52, v64
	v_addc_co_u32_e32 v3, vcc, v3, v65, vcc
	v_add_co_u32_e32 v9, vcc, v9, v66
	v_addc_co_u32_e32 v14, vcc, v3, v67, vcc
	v_lshlrev_b32_e32 v3, 1, v1
	v_add_co_u32_e32 v3, vcc, v3, v9
	v_addc_co_u32_e32 v16, vcc, 0, v14, vcc
	v_add_co_u32_e32 v15, vcc, -2, v3
	v_addc_co_u32_e32 v16, vcc, -1, v16, vcc
	v_cmp_eq_u32_e32 vcc, 0, v5
	v_cmp_ne_u32_e64 s[28:29], 0, v5
	v_cndmask_b32_e64 v5, 1, 2, vcc
	v_cmp_eq_u32_e32 vcc, 0, v26
	v_cmp_ne_u32_e64 s[26:27], 0, v26
	v_cndmask_b32_e64 v26, 1, 2, vcc
	v_cmp_eq_u32_e32 vcc, 0, v10
	v_and_b32_e32 v5, v26, v5
	v_cmp_ne_u32_e64 s[24:25], 0, v10
	v_cndmask_b32_e64 v10, 1, 2, vcc
	v_cmp_eq_u32_e32 vcc, 0, v11
	v_and_b32_e32 v5, v5, v10
	v_cndmask_b32_e64 v10, 1, 2, vcc
	v_cmp_eq_u32_e32 vcc, 0, v12
	v_and_b32_e32 v5, v5, v10
	;; [unrolled: 3-line block ×12, first 2 shown]
	v_cmp_ne_u32_e64 s[0:1], 0, v4
	v_cndmask_b32_e64 v4, 1, 2, vcc
	s_movk_i32 s30, 0x100
	v_and_b32_e32 v4, v5, v4
	v_cmp_gt_u32_e32 vcc, s30, v7
	v_add_u32_e32 v3, v8, v1
	v_cmp_ne_u32_e64 s[22:23], 0, v11
	v_cmp_ne_u32_e64 s[20:21], 0, v12
	;; [unrolled: 1-line block ×11, first 2 shown]
	s_mov_b64 s[36:37], -1
	v_cmp_gt_i16_e64 s[30:31], 2, v4
	s_barrier
	s_cbranch_vccz .LBB433_190
; %bb.184:
	s_and_saveexec_b64 s[36:37], s[30:31]
	s_cbranch_execz .LBB433_189
; %bb.185:
	v_cmp_ne_u16_e32 vcc, 1, v4
	s_mov_b64 s[38:39], 0
	s_and_saveexec_b64 s[30:31], vcc
	s_xor_b64 s[30:31], exec, s[30:31]
	s_cbranch_execnz .LBB433_284
; %bb.186:
	s_andn2_saveexec_b64 s[30:31], s[30:31]
	s_cbranch_execnz .LBB433_300
.LBB433_187:
	s_or_b64 exec, exec, s[30:31]
	s_and_b64 exec, exec, s[38:39]
	s_cbranch_execz .LBB433_189
.LBB433_188:
	v_sub_u32_e32 v10, v34, v3
	v_mov_b32_e32 v11, 0
	v_lshlrev_b64 v[10:11], 1, v[10:11]
	v_add_co_u32_e32 v10, vcc, v15, v10
	v_addc_co_u32_e32 v11, vcc, v16, v11, vcc
	global_store_short v[10:11], v35, off
.LBB433_189:
	s_or_b64 exec, exec, s[36:37]
	s_mov_b64 s[36:37], 0
.LBB433_190:
	s_and_b64 vcc, exec, s[36:37]
	s_cbranch_vccz .LBB433_212
; %bb.191:
	v_cmp_gt_i16_e32 vcc, 2, v4
	s_and_saveexec_b64 s[30:31], vcc
	s_cbranch_execz .LBB433_196
; %bb.192:
	v_cmp_ne_u16_e32 vcc, 1, v4
	s_mov_b64 s[38:39], 0
	s_and_saveexec_b64 s[36:37], vcc
	s_xor_b64 s[36:37], exec, s[36:37]
	s_cbranch_execnz .LBB433_301
; %bb.193:
	s_andn2_saveexec_b64 s[0:1], s[36:37]
	s_cbranch_execnz .LBB433_317
.LBB433_194:
	s_or_b64 exec, exec, s[0:1]
	s_and_b64 exec, exec, s[38:39]
	s_cbranch_execz .LBB433_196
.LBB433_195:
	v_sub_u32_e32 v3, v34, v3
	v_lshlrev_b32_e32 v3, 1, v3
	ds_write_b16 v3, v35
.LBB433_196:
	s_or_b64 exec, exec, s[30:31]
	v_cmp_lt_u32_e32 vcc, v0, v7
	s_waitcnt lgkmcnt(0)
	s_barrier
	s_and_saveexec_b64 s[2:3], vcc
	s_cbranch_execz .LBB433_211
; %bb.197:
	v_add_u32_e32 v4, v6, v2
	v_xad_u32 v2, v0, -1, v4
	v_sub_u32_e32 v3, v2, v1
	s_movk_i32 s0, 0x1b00
	v_cmp_gt_u32_e64 s[4:5], s0, v3
	s_movk_i32 s0, 0x1aff
	v_cmp_lt_u32_e32 vcc, s0, v3
	v_mov_b32_e32 v2, v0
	s_and_saveexec_b64 s[6:7], vcc
	s_cbranch_execz .LBB433_208
; %bb.198:
	v_sub_u32_e32 v2, v0, v4
	v_add_u32_e32 v1, v2, v1
	v_or_b32_e32 v1, 0xff, v1
	v_cmp_ge_u32_e32 vcc, v1, v0
	s_mov_b64 s[0:1], -1
	v_mov_b32_e32 v2, v0
	s_and_saveexec_b64 s[8:9], vcc
	s_cbranch_execz .LBB433_207
; %bb.199:
	v_lshrrev_b32_e32 v17, 8, v3
	v_or_b32_e32 v3, 0x300, v0
	v_or_b32_e32 v2, 0x200, v0
	v_add_u32_e32 v4, -3, v17
	v_or_b32_e32 v1, 0x100, v0
	v_lshrrev_b32_e32 v5, 2, v4
	v_pk_mov_b32 v[12:13], v[2:3], v[2:3] op_sel:[0,1]
	v_add_u32_e32 v19, 1, v5
	v_cmp_lt_u32_e32 vcc, 11, v4
	v_mov_b32_e32 v22, 0
	v_lshlrev_b32_e32 v18, 1, v0
	v_pk_mov_b32 v[10:11], v[0:1], v[0:1] op_sel:[0,1]
	s_and_saveexec_b64 s[10:11], vcc
	s_cbranch_execz .LBB433_203
; %bb.200:
	v_pk_mov_b32 v[12:13], v[2:3], v[2:3] op_sel:[0,1]
	v_and_b32_e32 v20, 0x7ffffffc, v19
	s_mov_b32 s14, 0
	s_mov_b64 s[12:13], 0
	v_mov_b32_e32 v5, 0
	v_mov_b32_e32 v21, v18
	v_pk_mov_b32 v[10:11], v[0:1], v[0:1] op_sel:[0,1]
.LBB433_201:                            ; =>This Inner Loop Header: Depth=1
	v_mov_b32_e32 v4, v10
	v_lshlrev_b64 v[42:43], 1, v[4:5]
	v_add_u32_e32 v26, 0x400, v11
	v_mov_b32_e32 v27, v5
	v_add_co_u32_e64 v42, s[0:1], v15, v42
	v_lshlrev_b64 v[26:27], 1, v[26:27]
	v_addc_co_u32_e64 v43, s[0:1], v16, v43, s[0:1]
	v_add_u32_e32 v22, 0x400, v12
	v_mov_b32_e32 v23, v5
	v_add_co_u32_e64 v26, s[0:1], v15, v26
	v_lshlrev_b64 v[44:45], 1, v[22:23]
	v_addc_co_u32_e64 v27, s[0:1], v16, v27, s[0:1]
	v_add_u32_e32 v2, 0x400, v13
	v_mov_b32_e32 v3, v5
	v_add_co_u32_e64 v44, s[0:1], v15, v44
	v_add_u32_e32 v20, -4, v20
	v_mov_b32_e32 v4, v11
	v_lshlrev_b64 v[2:3], 1, v[2:3]
	v_addc_co_u32_e64 v45, s[0:1], v16, v45, s[0:1]
	v_add_u32_e32 v34, 0x800, v11
	v_mov_b32_e32 v35, v5
	s_add_i32 s14, s14, 16
	v_cmp_eq_u32_e32 vcc, 0, v20
	v_lshlrev_b64 v[46:47], 1, v[4:5]
	v_add_co_u32_e64 v2, s[0:1], v15, v2
	v_lshlrev_b64 v[34:35], 1, v[34:35]
	v_mov_b32_e32 v4, v12
	v_addc_co_u32_e64 v3, s[0:1], v16, v3, s[0:1]
	s_or_b64 s[12:13], vcc, s[12:13]
	v_add_co_u32_e32 v46, vcc, v15, v46
	v_add_u32_e32 v30, 0x800, v12
	v_mov_b32_e32 v31, v5
	v_add_co_u32_e64 v34, s[0:1], v15, v34
	v_addc_co_u32_e32 v47, vcc, v16, v47, vcc
	v_lshlrev_b64 v[48:49], 1, v[4:5]
	v_lshlrev_b64 v[30:31], 1, v[30:31]
	v_addc_co_u32_e64 v35, s[0:1], v16, v35, s[0:1]
	v_mov_b32_e32 v4, v13
	v_add_co_u32_e32 v48, vcc, v15, v48
	ds_read_u16 v1, v21
	ds_read_u16 v25, v21 offset:512
	ds_read_u16 v52, v21 offset:1024
	ds_read_u16 v53, v21 offset:1536
	ds_read_u16 v54, v21 offset:2048
	ds_read_u16 v55, v21 offset:2560
	ds_read_u16 v56, v21 offset:3072
	ds_read_u16 v57, v21 offset:3584
	v_add_u32_e32 v28, 0x800, v13
	v_mov_b32_e32 v29, v5
	v_add_co_u32_e64 v30, s[0:1], v15, v30
	v_addc_co_u32_e32 v49, vcc, v16, v49, vcc
	v_lshlrev_b64 v[50:51], 1, v[4:5]
	v_lshlrev_b64 v[28:29], 1, v[28:29]
	v_addc_co_u32_e64 v31, s[0:1], v16, v31, s[0:1]
	v_add_u32_e32 v4, 0x400, v10
	v_add_co_u32_e32 v50, vcc, v15, v50
	v_add_u32_e32 v40, 0xc00, v11
	v_mov_b32_e32 v41, v5
	ds_read_u16 v58, v21 offset:4096
	ds_read_u16 v59, v21 offset:4608
	ds_read_u16 v60, v21 offset:5120
	ds_read_u16 v61, v21 offset:5632
	ds_read_u16 v62, v21 offset:6144
	ds_read_u16 v63, v21 offset:6656
	ds_read_u16 v64, v21 offset:7168
	ds_read_u16 v65, v21 offset:7680
	v_add_co_u32_e64 v28, s[0:1], v15, v28
	v_addc_co_u32_e32 v51, vcc, v16, v51, vcc
	s_waitcnt lgkmcnt(14)
	global_store_short v[42:43], v1, off
	global_store_short v[46:47], v25, off
	s_waitcnt lgkmcnt(13)
	global_store_short v[48:49], v52, off
	v_lshlrev_b64 v[42:43], 1, v[4:5]
	v_lshlrev_b64 v[40:41], 1, v[40:41]
	v_addc_co_u32_e64 v29, s[0:1], v16, v29, s[0:1]
	v_add_u32_e32 v4, 0x800, v10
	v_add_co_u32_e32 v42, vcc, v15, v42
	v_add_u32_e32 v38, 0xc00, v12
	v_mov_b32_e32 v39, v5
	v_add_co_u32_e64 v40, s[0:1], v15, v40
	v_addc_co_u32_e32 v43, vcc, v16, v43, vcc
	v_lshlrev_b64 v[46:47], 1, v[4:5]
	v_lshlrev_b64 v[38:39], 1, v[38:39]
	v_addc_co_u32_e64 v41, s[0:1], v16, v41, s[0:1]
	s_waitcnt lgkmcnt(12)
	global_store_short v[50:51], v53, off
	v_add_u32_e32 v4, 0xc00, v10
	s_waitcnt lgkmcnt(11)
	global_store_short v[42:43], v54, off
	s_waitcnt lgkmcnt(10)
	global_store_short v[26:27], v55, off
	;; [unrolled: 2-line block ×4, first 2 shown]
	v_add_co_u32_e32 v2, vcc, v15, v46
	v_add_u32_e32 v36, 0xc00, v13
	v_mov_b32_e32 v37, v5
	v_add_co_u32_e64 v38, s[0:1], v15, v38
	v_addc_co_u32_e32 v3, vcc, v16, v47, vcc
	v_lshlrev_b64 v[26:27], 1, v[4:5]
	v_lshlrev_b64 v[36:37], 1, v[36:37]
	v_addc_co_u32_e64 v39, s[0:1], v16, v39, s[0:1]
	s_waitcnt lgkmcnt(7)
	global_store_short v[2:3], v58, off
	s_waitcnt lgkmcnt(6)
	global_store_short v[34:35], v59, off
	;; [unrolled: 2-line block ×4, first 2 shown]
	v_add_co_u32_e32 v2, vcc, v15, v26
	v_add_u32_e32 v21, 0x2000, v21
	v_add_u32_e32 v11, 0x1000, v11
	v_mov_b32_e32 v22, s14
	v_add_co_u32_e64 v36, s[0:1], v15, v36
	v_add_u32_e32 v12, 0x1000, v12
	v_add_u32_e32 v13, 0x1000, v13
	v_add_u32_e32 v10, 0x1000, v10
	v_addc_co_u32_e32 v3, vcc, v16, v27, vcc
	v_addc_co_u32_e64 v37, s[0:1], v16, v37, s[0:1]
	s_waitcnt lgkmcnt(3)
	global_store_short v[2:3], v62, off
	s_waitcnt lgkmcnt(2)
	global_store_short v[40:41], v63, off
	;; [unrolled: 2-line block ×4, first 2 shown]
	s_andn2_b64 exec, exec, s[12:13]
	s_cbranch_execnz .LBB433_201
; %bb.202:
	s_or_b64 exec, exec, s[12:13]
.LBB433_203:
	s_or_b64 exec, exec, s[10:11]
	v_and_b32_e32 v1, 3, v19
	v_cmp_ne_u32_e32 vcc, 0, v1
	s_and_saveexec_b64 s[10:11], vcc
	s_cbranch_execz .LBB433_206
; %bb.204:
	v_lshl_or_b32 v4, v22, 9, v18
	s_mov_b64 s[12:13], 0
	v_mov_b32_e32 v3, 0
.LBB433_205:                            ; =>This Inner Loop Header: Depth=1
	v_mov_b32_e32 v2, v10
	v_add_u32_e32 v1, -1, v1
	v_lshlrev_b64 v[18:19], 1, v[2:3]
	v_mov_b32_e32 v2, v11
	v_cmp_eq_u32_e32 vcc, 0, v1
	v_lshlrev_b64 v[20:21], 1, v[2:3]
	ds_read_u16 v5, v4
	ds_read_u16 v25, v4 offset:512
	ds_read_u16 v28, v4 offset:1024
	;; [unrolled: 1-line block ×3, first 2 shown]
	v_mov_b32_e32 v2, v12
	s_or_b64 s[12:13], vcc, s[12:13]
	v_add_co_u32_e32 v20, vcc, v15, v20
	v_addc_co_u32_e32 v21, vcc, v16, v21, vcc
	v_lshlrev_b64 v[22:23], 1, v[2:3]
	v_mov_b32_e32 v2, v13
	v_add_co_u32_e32 v22, vcc, v15, v22
	v_add_co_u32_e64 v18, s[0:1], v15, v18
	v_addc_co_u32_e32 v23, vcc, v16, v23, vcc
	v_lshlrev_b64 v[26:27], 1, v[2:3]
	v_add_u32_e32 v10, 0x400, v10
	v_add_u32_e32 v4, 0x800, v4
	;; [unrolled: 1-line block ×3, first 2 shown]
	v_addc_co_u32_e64 v19, s[0:1], v16, v19, s[0:1]
	v_add_u32_e32 v12, 0x400, v12
	v_add_u32_e32 v13, 0x400, v13
	v_add_co_u32_e32 v26, vcc, v15, v26
	v_addc_co_u32_e32 v27, vcc, v16, v27, vcc
	s_waitcnt lgkmcnt(3)
	global_store_short v[18:19], v5, off
	s_waitcnt lgkmcnt(2)
	global_store_short v[20:21], v25, off
	;; [unrolled: 2-line block ×4, first 2 shown]
	s_andn2_b64 exec, exec, s[12:13]
	s_cbranch_execnz .LBB433_205
.LBB433_206:
	s_or_b64 exec, exec, s[10:11]
	v_add_u32_e32 v1, 1, v17
	v_and_b32_e32 v3, 0x1fffffc, v1
	v_cmp_ne_u32_e32 vcc, v1, v3
	v_lshl_or_b32 v2, v3, 8, v0
	s_orn2_b64 s[0:1], vcc, exec
.LBB433_207:
	s_or_b64 exec, exec, s[8:9]
	s_andn2_b64 s[4:5], s[4:5], exec
	s_and_b64 s[0:1], s[0:1], exec
	s_or_b64 s[4:5], s[4:5], s[0:1]
.LBB433_208:
	s_or_b64 exec, exec, s[6:7]
	s_and_b64 exec, exec, s[4:5]
	s_cbranch_execz .LBB433_211
; %bb.209:
	v_lshlrev_b32_e32 v1, 1, v2
	s_mov_b64 s[0:1], 0
	v_mov_b32_e32 v3, 0
.LBB433_210:                            ; =>This Inner Loop Header: Depth=1
	v_lshlrev_b64 v[4:5], 1, v[2:3]
	ds_read_u16 v10, v1
	v_add_co_u32_e32 v4, vcc, v15, v4
	v_add_u32_e32 v2, 0x100, v2
	v_addc_co_u32_e32 v5, vcc, v16, v5, vcc
	v_cmp_ge_u32_e32 vcc, v2, v7
	v_add_u32_e32 v1, 0x200, v1
	s_or_b64 s[0:1], vcc, s[0:1]
	s_waitcnt lgkmcnt(0)
	global_store_short v[4:5], v10, off
	s_andn2_b64 exec, exec, s[0:1]
	s_cbranch_execnz .LBB433_210
.LBB433_211:
	s_or_b64 exec, exec, s[2:3]
.LBB433_212:
	s_movk_i32 s0, 0xff
	v_cmp_eq_u32_e32 vcc, s0, v0
	s_and_b64 s[0:1], vcc, s[34:35]
	s_and_saveexec_b64 s[2:3], s[0:1]
	s_cbranch_execz .LBB433_215
; %bb.213:
	v_add_co_u32_e32 v0, vcc, v6, v8
	v_addc_co_u32_e64 v1, s[0:1], 0, 0, vcc
	v_add_co_u32_e32 v0, vcc, v0, v32
	v_mov_b32_e32 v7, 0
	v_addc_co_u32_e32 v1, vcc, v1, v33, vcc
	s_cmpk_lg_i32 s33, 0xf00
	global_store_dwordx2 v7, v[0:1], s[54:55]
	s_cbranch_scc1 .LBB433_215
; %bb.214:
	v_lshlrev_b64 v[0:1], 1, v[6:7]
	v_add_co_u32_e32 v0, vcc, v9, v0
	v_addc_co_u32_e32 v1, vcc, v14, v1, vcc
	global_store_short v[0:1], v24, off offset:-2
.LBB433_215:
	s_endpgm
.LBB433_216:
                                        ; implicit-def: $sgpr4_sgpr5
                                        ; implicit-def: $vgpr17
                                        ; implicit-def: $vgpr9
                                        ; implicit-def: $vgpr68
                                        ; implicit-def: $vgpr19
                                        ; implicit-def: $vgpr18
                                        ; implicit-def: $vgpr21
                                        ; implicit-def: $vgpr20
                                        ; implicit-def: $vgpr23
                                        ; implicit-def: $vgpr22
                                        ; implicit-def: $vgpr27
                                        ; implicit-def: $vgpr26
                                        ; implicit-def: $vgpr29
                                        ; implicit-def: $vgpr28
                                        ; implicit-def: $vgpr31
	s_cbranch_execz .LBB433_110
.LBB433_217:
	v_mov_b32_e32 v25, 0
	v_lshlrev_b32_e32 v8, 1, v0
	v_cmp_gt_u64_e32 vcc, s[2:3], v[24:25]
	v_mov_b32_e32 v17, 0
	ds_write_b16 v8, v10
	s_and_saveexec_b64 s[4:5], vcc
; %bb.218:
	s_mov_b32 s7, 0xcccd
	v_mul_u32_u24_sdwa v7, v16, s7 dst_sel:DWORD dst_unused:UNUSED_PAD src0_sel:WORD_0 src1_sel:DWORD
	v_mul_u32_u24_sdwa v9, v10, s7 dst_sel:DWORD dst_unused:UNUSED_PAD src0_sel:WORD_0 src1_sel:DWORD
	v_lshrrev_b32_e32 v7, 19, v7
	v_lshrrev_b32_e32 v9, 19, v9
	v_cmp_ne_u16_e32 vcc, v7, v9
	v_cndmask_b32_e64 v17, 0, 1, vcc
; %bb.219:
	s_or_b64 exec, exec, s[4:5]
	v_add_u32_e32 v24, 13, v6
	v_cmp_gt_u64_e32 vcc, s[2:3], v[24:25]
	s_and_saveexec_b64 s[4:5], vcc
; %bb.220:
	s_mov_b32 s7, 0xcccd
	v_mul_u32_u24_sdwa v7, v15, s7 dst_sel:DWORD dst_unused:UNUSED_PAD src0_sel:WORD_1 src1_sel:DWORD
	v_mul_u32_u24_sdwa v9, v16, s7 dst_sel:DWORD dst_unused:UNUSED_PAD src0_sel:WORD_0 src1_sel:DWORD
	v_lshrrev_b32_e32 v7, 19, v7
	v_lshrrev_b32_e32 v9, 19, v9
	v_cmp_ne_u16_e32 vcc, v7, v9
	v_cndmask_b32_e64 v25, 0, 1, vcc
; %bb.221:
	s_or_b64 exec, exec, s[4:5]
	v_add_u32_e32 v18, 12, v6
	v_mov_b32_e32 v19, 0
	v_cmp_gt_u64_e32 vcc, s[2:3], v[18:19]
	v_mov_b32_e32 v68, 0
	s_and_saveexec_b64 s[4:5], vcc
; %bb.222:
	s_mov_b32 s7, 0xcccd
	v_mul_u32_u24_sdwa v7, v15, s7 dst_sel:DWORD dst_unused:UNUSED_PAD src0_sel:WORD_0 src1_sel:DWORD
	v_mul_u32_u24_sdwa v9, v15, s7 dst_sel:DWORD dst_unused:UNUSED_PAD src0_sel:WORD_1 src1_sel:DWORD
	v_lshrrev_b32_e32 v7, 19, v7
	v_lshrrev_b32_e32 v9, 19, v9
	v_cmp_ne_u16_e32 vcc, v7, v9
	v_cndmask_b32_e64 v68, 0, 1, vcc
; %bb.223:
	s_or_b64 exec, exec, s[4:5]
	v_add_u32_e32 v18, 11, v6
	v_cmp_gt_u64_e32 vcc, s[2:3], v[18:19]
	s_and_saveexec_b64 s[4:5], vcc
; %bb.224:
	s_mov_b32 s7, 0xcccd
	v_mul_u32_u24_sdwa v7, v14, s7 dst_sel:DWORD dst_unused:UNUSED_PAD src0_sel:WORD_1 src1_sel:DWORD
	v_mul_u32_u24_sdwa v9, v15, s7 dst_sel:DWORD dst_unused:UNUSED_PAD src0_sel:WORD_0 src1_sel:DWORD
	v_lshrrev_b32_e32 v7, 19, v7
	v_lshrrev_b32_e32 v9, 19, v9
	v_cmp_ne_u16_e32 vcc, v7, v9
	v_cndmask_b32_e64 v19, 0, 1, vcc
; %bb.225:
	s_or_b64 exec, exec, s[4:5]
	v_add_u32_e32 v20, 10, v6
	v_mov_b32_e32 v21, 0
	v_cmp_gt_u64_e32 vcc, s[2:3], v[20:21]
	v_mov_b32_e32 v18, 0
	s_and_saveexec_b64 s[4:5], vcc
; %bb.226:
	s_mov_b32 s7, 0xcccd
	v_mul_u32_u24_sdwa v7, v14, s7 dst_sel:DWORD dst_unused:UNUSED_PAD src0_sel:WORD_0 src1_sel:DWORD
	v_mul_u32_u24_sdwa v9, v14, s7 dst_sel:DWORD dst_unused:UNUSED_PAD src0_sel:WORD_1 src1_sel:DWORD
	;; [unrolled: 28-line block ×6, first 2 shown]
	v_lshrrev_b32_e32 v7, 19, v7
	v_lshrrev_b32_e32 v9, 19, v9
	v_cmp_ne_u16_e32 vcc, v7, v9
	v_cndmask_b32_e64 v28, 0, 1, vcc
; %bb.243:
	s_or_b64 exec, exec, s[4:5]
	v_add_u32_e32 v30, 1, v6
	v_cmp_gt_u64_e32 vcc, s[2:3], v[30:31]
	s_and_saveexec_b64 s[4:5], vcc
; %bb.244:
	s_mov_b32 s7, 0xcccd
	v_mul_u32_u24_sdwa v7, v1, s7 dst_sel:DWORD dst_unused:UNUSED_PAD src0_sel:WORD_0 src1_sel:DWORD
	v_mul_u32_u24_sdwa v9, v2, s7 dst_sel:DWORD dst_unused:UNUSED_PAD src0_sel:WORD_0 src1_sel:DWORD
	v_lshrrev_b32_e32 v7, 19, v7
	v_lshrrev_b32_e32 v9, 19, v9
	v_cmp_ne_u16_e32 vcc, v7, v9
	v_cndmask_b32_e64 v31, 0, 1, vcc
; %bb.245:
	s_or_b64 exec, exec, s[4:5]
	v_cmp_ne_u32_e32 vcc, 0, v0
	s_waitcnt lgkmcnt(0)
	s_barrier
	s_waitcnt lgkmcnt(0)
                                        ; implicit-def: $sgpr4_sgpr5
	s_and_saveexec_b64 s[8:9], vcc
	s_cbranch_execz .LBB433_249
; %bb.246:
	v_mov_b32_e32 v7, 0
	v_cmp_gt_u64_e32 vcc, s[2:3], v[6:7]
	s_mov_b64 s[4:5], 0
	s_and_saveexec_b64 s[2:3], vcc
	s_cbranch_execz .LBB433_248
; %bb.247:
	v_add_u32_e32 v6, -2, v8
	ds_read_u16 v6, v6
	s_mov_b32 s4, 0xcccd
	v_mul_u32_u24_sdwa v7, v1, s4 dst_sel:DWORD dst_unused:UNUSED_PAD src0_sel:WORD_0 src1_sel:DWORD
	v_lshrrev_b32_e32 v7, 19, v7
	s_waitcnt lgkmcnt(0)
	v_mul_u32_u24_e32 v6, 0xcccd, v6
	v_lshrrev_b32_e32 v6, 19, v6
	v_cmp_ne_u16_e32 vcc, v6, v7
	s_and_b64 s[4:5], vcc, exec
.LBB433_248:
	s_or_b64 exec, exec, s[2:3]
	s_and_b64 s[4:5], s[4:5], exec
	s_or_b64 s[0:1], s[0:1], exec
.LBB433_249:
	s_or_b64 exec, exec, s[8:9]
	s_mov_b32 s8, 1
	v_mov_b32_e32 v9, v25
	v_mov_b32_e32 v30, s8
	s_and_saveexec_b64 s[2:3], s[0:1]
	s_cbranch_execnz .LBB433_112
	s_branch .LBB433_113
.LBB433_250:
	s_and_saveexec_b64 s[40:41], s[28:29]
	s_cbranch_execnz .LBB433_318
; %bb.251:
	s_or_b64 exec, exec, s[40:41]
	s_and_saveexec_b64 s[40:41], s[26:27]
	s_cbranch_execnz .LBB433_319
.LBB433_252:
	s_or_b64 exec, exec, s[40:41]
	s_and_saveexec_b64 s[40:41], s[24:25]
	s_cbranch_execnz .LBB433_320
.LBB433_253:
	s_or_b64 exec, exec, s[40:41]
	s_and_saveexec_b64 s[40:41], s[22:23]
	s_cbranch_execnz .LBB433_321
.LBB433_254:
	s_or_b64 exec, exec, s[40:41]
	s_and_saveexec_b64 s[40:41], s[20:21]
	s_cbranch_execnz .LBB433_322
.LBB433_255:
	s_or_b64 exec, exec, s[40:41]
	s_and_saveexec_b64 s[40:41], s[18:19]
	s_cbranch_execnz .LBB433_323
.LBB433_256:
	s_or_b64 exec, exec, s[40:41]
	s_and_saveexec_b64 s[40:41], s[16:17]
	s_cbranch_execnz .LBB433_324
.LBB433_257:
	s_or_b64 exec, exec, s[40:41]
	s_and_saveexec_b64 s[40:41], s[14:15]
	s_cbranch_execnz .LBB433_325
.LBB433_258:
	s_or_b64 exec, exec, s[40:41]
	s_and_saveexec_b64 s[40:41], s[12:13]
	s_cbranch_execnz .LBB433_326
.LBB433_259:
	s_or_b64 exec, exec, s[40:41]
	s_and_saveexec_b64 s[40:41], s[10:11]
	s_cbranch_execnz .LBB433_327
.LBB433_260:
	s_or_b64 exec, exec, s[40:41]
	s_and_saveexec_b64 s[40:41], s[8:9]
	s_cbranch_execnz .LBB433_328
.LBB433_261:
	s_or_b64 exec, exec, s[40:41]
	s_and_saveexec_b64 s[40:41], s[6:7]
	s_cbranch_execnz .LBB433_329
.LBB433_262:
	s_or_b64 exec, exec, s[40:41]
	s_and_saveexec_b64 s[40:41], s[4:5]
	s_cbranch_execnz .LBB433_330
.LBB433_263:
	s_or_b64 exec, exec, s[40:41]
	s_and_saveexec_b64 s[40:41], s[2:3]
	s_cbranch_execz .LBB433_265
.LBB433_264:
	v_sub_u32_e32 v12, v36, v8
	v_mov_b32_e32 v13, 0
	v_lshlrev_b64 v[12:13], 1, v[12:13]
	v_add_co_u32_e32 v12, vcc, v7, v12
	v_addc_co_u32_e32 v13, vcc, v9, v13, vcc
	global_store_short v[12:13], v16, off
.LBB433_265:
	s_or_b64 exec, exec, s[40:41]
	s_and_b64 s[40:41], s[0:1], exec
	s_andn2_saveexec_b64 s[30:31], s[30:31]
	s_cbranch_execz .LBB433_158
.LBB433_266:
	v_sub_u32_e32 v12, v62, v8
	v_mov_b32_e32 v13, 0
	v_lshlrev_b64 v[70:71], 1, v[12:13]
	v_add_co_u32_e32 v70, vcc, v7, v70
	v_addc_co_u32_e32 v71, vcc, v9, v71, vcc
	v_sub_u32_e32 v12, v60, v8
	global_store_short v[70:71], v1, off
	v_lshlrev_b64 v[70:71], 1, v[12:13]
	v_add_co_u32_e32 v70, vcc, v7, v70
	v_addc_co_u32_e32 v71, vcc, v9, v71, vcc
	v_sub_u32_e32 v12, v58, v8
	global_store_short v[70:71], v2, off
	v_lshlrev_b64 v[70:71], 1, v[12:13]
	v_add_co_u32_e32 v70, vcc, v7, v70
	v_addc_co_u32_e32 v71, vcc, v9, v71, vcc
	v_sub_u32_e32 v12, v56, v8
	global_store_short_d16_hi v[70:71], v2, off
	v_lshlrev_b64 v[70:71], 1, v[12:13]
	v_add_co_u32_e32 v70, vcc, v7, v70
	v_addc_co_u32_e32 v71, vcc, v9, v71, vcc
	v_sub_u32_e32 v12, v54, v8
	global_store_short v[70:71], v3, off
	v_lshlrev_b64 v[70:71], 1, v[12:13]
	v_add_co_u32_e32 v70, vcc, v7, v70
	v_addc_co_u32_e32 v71, vcc, v9, v71, vcc
	v_sub_u32_e32 v12, v52, v8
	global_store_short_d16_hi v[70:71], v3, off
	v_lshlrev_b64 v[70:71], 1, v[12:13]
	v_add_co_u32_e32 v70, vcc, v7, v70
	v_addc_co_u32_e32 v71, vcc, v9, v71, vcc
	v_sub_u32_e32 v12, v50, v8
	global_store_short v[70:71], v4, off
	v_lshlrev_b64 v[70:71], 1, v[12:13]
	v_add_co_u32_e32 v70, vcc, v7, v70
	v_addc_co_u32_e32 v71, vcc, v9, v71, vcc
	v_sub_u32_e32 v12, v48, v8
	global_store_short_d16_hi v[70:71], v4, off
	v_lshlrev_b64 v[70:71], 1, v[12:13]
	v_add_co_u32_e32 v70, vcc, v7, v70
	v_addc_co_u32_e32 v71, vcc, v9, v71, vcc
	v_sub_u32_e32 v12, v46, v8
	global_store_short v[70:71], v5, off
	v_lshlrev_b64 v[70:71], 1, v[12:13]
	v_add_co_u32_e32 v70, vcc, v7, v70
	v_addc_co_u32_e32 v71, vcc, v9, v71, vcc
	v_sub_u32_e32 v12, v44, v8
	global_store_short_d16_hi v[70:71], v5, off
	v_lshlrev_b64 v[70:71], 1, v[12:13]
	v_add_co_u32_e32 v70, vcc, v7, v70
	v_addc_co_u32_e32 v71, vcc, v9, v71, vcc
	v_sub_u32_e32 v12, v42, v8
	global_store_short v[70:71], v14, off
	v_lshlrev_b64 v[70:71], 1, v[12:13]
	v_add_co_u32_e32 v70, vcc, v7, v70
	v_addc_co_u32_e32 v71, vcc, v9, v71, vcc
	v_sub_u32_e32 v12, v40, v8
	global_store_short_d16_hi v[70:71], v14, off
	v_lshlrev_b64 v[70:71], 1, v[12:13]
	v_add_co_u32_e32 v70, vcc, v7, v70
	v_addc_co_u32_e32 v71, vcc, v9, v71, vcc
	v_sub_u32_e32 v12, v38, v8
	global_store_short v[70:71], v15, off
	v_lshlrev_b64 v[70:71], 1, v[12:13]
	v_add_co_u32_e32 v70, vcc, v7, v70
	v_sub_u32_e32 v12, v36, v8
	v_addc_co_u32_e32 v71, vcc, v9, v71, vcc
	v_lshlrev_b64 v[12:13], 1, v[12:13]
	v_add_co_u32_e32 v12, vcc, v7, v12
	v_addc_co_u32_e32 v13, vcc, v9, v13, vcc
	s_or_b64 s[40:41], s[40:41], exec
	global_store_short_d16_hi v[70:71], v15, off
	global_store_short v[12:13], v16, off
	s_or_b64 exec, exec, s[30:31]
	s_and_b64 exec, exec, s[40:41]
	s_cbranch_execnz .LBB433_159
	s_branch .LBB433_160
.LBB433_267:
	s_and_saveexec_b64 s[40:41], s[28:29]
	s_cbranch_execnz .LBB433_331
; %bb.268:
	s_or_b64 exec, exec, s[40:41]
	s_and_saveexec_b64 s[28:29], s[26:27]
	s_cbranch_execnz .LBB433_332
.LBB433_269:
	s_or_b64 exec, exec, s[28:29]
	s_and_saveexec_b64 s[26:27], s[24:25]
	s_cbranch_execnz .LBB433_333
.LBB433_270:
	s_or_b64 exec, exec, s[26:27]
	s_and_saveexec_b64 s[24:25], s[22:23]
	s_cbranch_execnz .LBB433_334
.LBB433_271:
	s_or_b64 exec, exec, s[24:25]
	s_and_saveexec_b64 s[22:23], s[20:21]
	s_cbranch_execnz .LBB433_335
.LBB433_272:
	s_or_b64 exec, exec, s[22:23]
	s_and_saveexec_b64 s[20:21], s[18:19]
	s_cbranch_execnz .LBB433_336
.LBB433_273:
	s_or_b64 exec, exec, s[20:21]
	s_and_saveexec_b64 s[18:19], s[16:17]
	s_cbranch_execnz .LBB433_337
.LBB433_274:
	s_or_b64 exec, exec, s[18:19]
	s_and_saveexec_b64 s[16:17], s[14:15]
	s_cbranch_execnz .LBB433_338
.LBB433_275:
	s_or_b64 exec, exec, s[16:17]
	s_and_saveexec_b64 s[14:15], s[12:13]
	s_cbranch_execnz .LBB433_339
.LBB433_276:
	s_or_b64 exec, exec, s[14:15]
	s_and_saveexec_b64 s[12:13], s[10:11]
	s_cbranch_execnz .LBB433_340
.LBB433_277:
	s_or_b64 exec, exec, s[12:13]
	s_and_saveexec_b64 s[10:11], s[8:9]
	s_cbranch_execnz .LBB433_341
.LBB433_278:
	s_or_b64 exec, exec, s[10:11]
	s_and_saveexec_b64 s[8:9], s[6:7]
	s_cbranch_execnz .LBB433_342
.LBB433_279:
	s_or_b64 exec, exec, s[8:9]
	s_and_saveexec_b64 s[6:7], s[4:5]
	s_cbranch_execnz .LBB433_343
.LBB433_280:
	s_or_b64 exec, exec, s[6:7]
	s_and_saveexec_b64 s[4:5], s[2:3]
	s_cbranch_execz .LBB433_282
.LBB433_281:
	v_sub_u32_e32 v1, v36, v8
	v_lshlrev_b32_e32 v1, 1, v1
	ds_write_b16 v1, v16
.LBB433_282:
	s_or_b64 exec, exec, s[4:5]
	s_and_b64 s[40:41], s[0:1], exec
                                        ; implicit-def: $vgpr1
                                        ; implicit-def: $vgpr2
	s_andn2_saveexec_b64 s[0:1], s[38:39]
	s_cbranch_execz .LBB433_165
.LBB433_283:
	v_sub_u32_e32 v10, v62, v8
	v_lshlrev_b32_e32 v10, 1, v10
	ds_write_b16 v10, v1
	v_sub_u32_e32 v1, v60, v8
	v_lshlrev_b32_e32 v1, 1, v1
	ds_write_b16 v1, v2
	v_sub_u32_e32 v1, v58, v8
	v_lshlrev_b32_e32 v1, 1, v1
	ds_write_b16_d16_hi v1, v2
	v_sub_u32_e32 v1, v56, v8
	v_lshlrev_b32_e32 v1, 1, v1
	ds_write_b16 v1, v3
	v_sub_u32_e32 v1, v54, v8
	v_lshlrev_b32_e32 v1, 1, v1
	ds_write_b16_d16_hi v1, v3
	v_sub_u32_e32 v1, v52, v8
	v_lshlrev_b32_e32 v1, 1, v1
	ds_write_b16 v1, v4
	v_sub_u32_e32 v1, v50, v8
	v_lshlrev_b32_e32 v1, 1, v1
	ds_write_b16_d16_hi v1, v4
	v_sub_u32_e32 v1, v48, v8
	v_lshlrev_b32_e32 v1, 1, v1
	ds_write_b16 v1, v5
	v_sub_u32_e32 v1, v46, v8
	v_lshlrev_b32_e32 v1, 1, v1
	ds_write_b16_d16_hi v1, v5
	v_sub_u32_e32 v1, v44, v8
	v_lshlrev_b32_e32 v1, 1, v1
	ds_write_b16 v1, v14
	v_sub_u32_e32 v1, v42, v8
	v_lshlrev_b32_e32 v1, 1, v1
	ds_write_b16_d16_hi v1, v14
	v_sub_u32_e32 v1, v40, v8
	v_lshlrev_b32_e32 v1, 1, v1
	ds_write_b16 v1, v15
	v_sub_u32_e32 v1, v38, v8
	v_lshlrev_b32_e32 v1, 1, v1
	ds_write_b16_d16_hi v1, v15
	v_sub_u32_e32 v1, v36, v8
	v_lshlrev_b32_e32 v1, 1, v1
	s_or_b64 s[40:41], s[40:41], exec
	ds_write_b16 v1, v16
	s_or_b64 exec, exec, s[0:1]
	s_and_b64 exec, exec, s[40:41]
	s_cbranch_execnz .LBB433_166
	s_branch .LBB433_167
.LBB433_284:
	s_and_saveexec_b64 s[38:39], s[28:29]
	s_cbranch_execnz .LBB433_344
; %bb.285:
	s_or_b64 exec, exec, s[38:39]
	s_and_saveexec_b64 s[38:39], s[26:27]
	s_cbranch_execnz .LBB433_345
.LBB433_286:
	s_or_b64 exec, exec, s[38:39]
	s_and_saveexec_b64 s[38:39], s[24:25]
	s_cbranch_execnz .LBB433_346
.LBB433_287:
	s_or_b64 exec, exec, s[38:39]
	s_and_saveexec_b64 s[38:39], s[22:23]
	s_cbranch_execnz .LBB433_347
.LBB433_288:
	s_or_b64 exec, exec, s[38:39]
	s_and_saveexec_b64 s[38:39], s[20:21]
	s_cbranch_execnz .LBB433_348
.LBB433_289:
	s_or_b64 exec, exec, s[38:39]
	s_and_saveexec_b64 s[38:39], s[18:19]
	s_cbranch_execnz .LBB433_349
.LBB433_290:
	s_or_b64 exec, exec, s[38:39]
	s_and_saveexec_b64 s[38:39], s[16:17]
	s_cbranch_execnz .LBB433_350
.LBB433_291:
	s_or_b64 exec, exec, s[38:39]
	s_and_saveexec_b64 s[38:39], s[14:15]
	s_cbranch_execnz .LBB433_351
.LBB433_292:
	s_or_b64 exec, exec, s[38:39]
	s_and_saveexec_b64 s[38:39], s[12:13]
	s_cbranch_execnz .LBB433_352
.LBB433_293:
	s_or_b64 exec, exec, s[38:39]
	s_and_saveexec_b64 s[38:39], s[10:11]
	s_cbranch_execnz .LBB433_353
.LBB433_294:
	s_or_b64 exec, exec, s[38:39]
	s_and_saveexec_b64 s[38:39], s[8:9]
	s_cbranch_execnz .LBB433_354
.LBB433_295:
	s_or_b64 exec, exec, s[38:39]
	s_and_saveexec_b64 s[38:39], s[6:7]
	s_cbranch_execnz .LBB433_355
.LBB433_296:
	s_or_b64 exec, exec, s[38:39]
	s_and_saveexec_b64 s[38:39], s[4:5]
	s_cbranch_execnz .LBB433_356
.LBB433_297:
	s_or_b64 exec, exec, s[38:39]
	s_and_saveexec_b64 s[38:39], s[2:3]
	s_cbranch_execz .LBB433_299
.LBB433_298:
	v_sub_u32_e32 v10, v36, v3
	v_mov_b32_e32 v11, 0
	v_lshlrev_b64 v[10:11], 1, v[10:11]
	v_add_co_u32_e32 v10, vcc, v15, v10
	v_addc_co_u32_e32 v11, vcc, v16, v11, vcc
	global_store_short v[10:11], v37, off
.LBB433_299:
	s_or_b64 exec, exec, s[38:39]
	s_and_b64 s[38:39], s[0:1], exec
	s_andn2_saveexec_b64 s[30:31], s[30:31]
	s_cbranch_execz .LBB433_187
.LBB433_300:
	v_sub_u32_e32 v10, v62, v3
	v_mov_b32_e32 v11, 0
	v_lshlrev_b64 v[12:13], 1, v[10:11]
	v_add_co_u32_e32 v12, vcc, v15, v12
	v_addc_co_u32_e32 v13, vcc, v16, v13, vcc
	v_sub_u32_e32 v10, v60, v3
	global_store_short v[12:13], v63, off
	v_lshlrev_b64 v[12:13], 1, v[10:11]
	v_add_co_u32_e32 v12, vcc, v15, v12
	v_addc_co_u32_e32 v13, vcc, v16, v13, vcc
	v_sub_u32_e32 v10, v58, v3
	global_store_short v[12:13], v61, off
	;; [unrolled: 5-line block ×12, first 2 shown]
	v_lshlrev_b64 v[12:13], 1, v[10:11]
	v_add_co_u32_e32 v12, vcc, v15, v12
	v_sub_u32_e32 v10, v36, v3
	v_addc_co_u32_e32 v13, vcc, v16, v13, vcc
	v_lshlrev_b64 v[10:11], 1, v[10:11]
	v_add_co_u32_e32 v10, vcc, v15, v10
	v_addc_co_u32_e32 v11, vcc, v16, v11, vcc
	s_or_b64 s[38:39], s[38:39], exec
	global_store_short v[12:13], v39, off
	global_store_short v[10:11], v37, off
	s_or_b64 exec, exec, s[30:31]
	s_and_b64 exec, exec, s[38:39]
	s_cbranch_execnz .LBB433_188
	s_branch .LBB433_189
.LBB433_301:
	s_and_saveexec_b64 s[38:39], s[28:29]
	s_cbranch_execnz .LBB433_357
; %bb.302:
	s_or_b64 exec, exec, s[38:39]
	s_and_saveexec_b64 s[28:29], s[26:27]
	s_cbranch_execnz .LBB433_358
.LBB433_303:
	s_or_b64 exec, exec, s[28:29]
	s_and_saveexec_b64 s[26:27], s[24:25]
	s_cbranch_execnz .LBB433_359
.LBB433_304:
	s_or_b64 exec, exec, s[26:27]
	s_and_saveexec_b64 s[24:25], s[22:23]
	s_cbranch_execnz .LBB433_360
.LBB433_305:
	s_or_b64 exec, exec, s[24:25]
	s_and_saveexec_b64 s[22:23], s[20:21]
	s_cbranch_execnz .LBB433_361
.LBB433_306:
	s_or_b64 exec, exec, s[22:23]
	s_and_saveexec_b64 s[20:21], s[18:19]
	s_cbranch_execnz .LBB433_362
.LBB433_307:
	s_or_b64 exec, exec, s[20:21]
	s_and_saveexec_b64 s[18:19], s[16:17]
	s_cbranch_execnz .LBB433_363
.LBB433_308:
	s_or_b64 exec, exec, s[18:19]
	s_and_saveexec_b64 s[16:17], s[14:15]
	s_cbranch_execnz .LBB433_364
.LBB433_309:
	s_or_b64 exec, exec, s[16:17]
	s_and_saveexec_b64 s[14:15], s[12:13]
	s_cbranch_execnz .LBB433_365
.LBB433_310:
	s_or_b64 exec, exec, s[14:15]
	s_and_saveexec_b64 s[12:13], s[10:11]
	s_cbranch_execnz .LBB433_366
.LBB433_311:
	s_or_b64 exec, exec, s[12:13]
	s_and_saveexec_b64 s[10:11], s[8:9]
	s_cbranch_execnz .LBB433_367
.LBB433_312:
	s_or_b64 exec, exec, s[10:11]
	s_and_saveexec_b64 s[8:9], s[6:7]
	s_cbranch_execnz .LBB433_368
.LBB433_313:
	s_or_b64 exec, exec, s[8:9]
	s_and_saveexec_b64 s[6:7], s[4:5]
	s_cbranch_execnz .LBB433_369
.LBB433_314:
	s_or_b64 exec, exec, s[6:7]
	s_and_saveexec_b64 s[4:5], s[2:3]
	s_cbranch_execz .LBB433_316
.LBB433_315:
	v_sub_u32_e32 v4, v36, v3
	v_lshlrev_b32_e32 v4, 1, v4
	ds_write_b16 v4, v37
.LBB433_316:
	s_or_b64 exec, exec, s[4:5]
	s_and_b64 s[38:39], s[0:1], exec
                                        ; implicit-def: $vgpr62_vgpr63
                                        ; implicit-def: $vgpr60_vgpr61
                                        ; implicit-def: $vgpr58_vgpr59
                                        ; implicit-def: $vgpr56_vgpr57
                                        ; implicit-def: $vgpr54_vgpr55
                                        ; implicit-def: $vgpr52_vgpr53
                                        ; implicit-def: $vgpr50_vgpr51
                                        ; implicit-def: $vgpr48_vgpr49
                                        ; implicit-def: $vgpr46_vgpr47
                                        ; implicit-def: $vgpr44_vgpr45
                                        ; implicit-def: $vgpr42_vgpr43
                                        ; implicit-def: $vgpr40_vgpr41
                                        ; implicit-def: $vgpr38_vgpr39
                                        ; implicit-def: $vgpr36_vgpr37
	s_andn2_saveexec_b64 s[0:1], s[36:37]
	s_cbranch_execz .LBB433_194
.LBB433_317:
	v_sub_u32_e32 v4, v62, v3
	v_lshlrev_b32_e32 v4, 1, v4
	ds_write_b16 v4, v63
	v_sub_u32_e32 v4, v60, v3
	v_lshlrev_b32_e32 v4, 1, v4
	ds_write_b16 v4, v61
	;; [unrolled: 3-line block ×13, first 2 shown]
	v_sub_u32_e32 v4, v36, v3
	v_lshlrev_b32_e32 v4, 1, v4
	s_or_b64 s[38:39], s[38:39], exec
	ds_write_b16 v4, v37
	s_or_b64 exec, exec, s[0:1]
	s_and_b64 exec, exec, s[38:39]
	s_cbranch_execnz .LBB433_195
	s_branch .LBB433_196
.LBB433_318:
	v_sub_u32_e32 v12, v62, v8
	v_mov_b32_e32 v13, 0
	v_lshlrev_b64 v[12:13], 1, v[12:13]
	v_add_co_u32_e32 v12, vcc, v7, v12
	v_addc_co_u32_e32 v13, vcc, v9, v13, vcc
	global_store_short v[12:13], v1, off
	s_or_b64 exec, exec, s[40:41]
	s_and_saveexec_b64 s[40:41], s[26:27]
	s_cbranch_execz .LBB433_252
.LBB433_319:
	v_sub_u32_e32 v12, v60, v8
	v_mov_b32_e32 v13, 0
	v_lshlrev_b64 v[12:13], 1, v[12:13]
	v_add_co_u32_e32 v12, vcc, v7, v12
	v_addc_co_u32_e32 v13, vcc, v9, v13, vcc
	global_store_short v[12:13], v2, off
	s_or_b64 exec, exec, s[40:41]
	s_and_saveexec_b64 s[40:41], s[24:25]
	s_cbranch_execz .LBB433_253
.LBB433_320:
	v_sub_u32_e32 v12, v58, v8
	v_mov_b32_e32 v13, 0
	v_lshlrev_b64 v[12:13], 1, v[12:13]
	v_add_co_u32_e32 v12, vcc, v7, v12
	v_addc_co_u32_e32 v13, vcc, v9, v13, vcc
	global_store_short_d16_hi v[12:13], v2, off
	s_or_b64 exec, exec, s[40:41]
	s_and_saveexec_b64 s[40:41], s[22:23]
	s_cbranch_execz .LBB433_254
.LBB433_321:
	v_sub_u32_e32 v12, v56, v8
	v_mov_b32_e32 v13, 0
	v_lshlrev_b64 v[12:13], 1, v[12:13]
	v_add_co_u32_e32 v12, vcc, v7, v12
	v_addc_co_u32_e32 v13, vcc, v9, v13, vcc
	global_store_short v[12:13], v3, off
	s_or_b64 exec, exec, s[40:41]
	s_and_saveexec_b64 s[40:41], s[20:21]
	s_cbranch_execz .LBB433_255
.LBB433_322:
	v_sub_u32_e32 v12, v54, v8
	v_mov_b32_e32 v13, 0
	v_lshlrev_b64 v[12:13], 1, v[12:13]
	v_add_co_u32_e32 v12, vcc, v7, v12
	v_addc_co_u32_e32 v13, vcc, v9, v13, vcc
	global_store_short_d16_hi v[12:13], v3, off
	s_or_b64 exec, exec, s[40:41]
	s_and_saveexec_b64 s[40:41], s[18:19]
	s_cbranch_execz .LBB433_256
.LBB433_323:
	v_sub_u32_e32 v12, v52, v8
	v_mov_b32_e32 v13, 0
	v_lshlrev_b64 v[12:13], 1, v[12:13]
	v_add_co_u32_e32 v12, vcc, v7, v12
	v_addc_co_u32_e32 v13, vcc, v9, v13, vcc
	global_store_short v[12:13], v4, off
	s_or_b64 exec, exec, s[40:41]
	s_and_saveexec_b64 s[40:41], s[16:17]
	s_cbranch_execz .LBB433_257
.LBB433_324:
	v_sub_u32_e32 v12, v50, v8
	v_mov_b32_e32 v13, 0
	v_lshlrev_b64 v[12:13], 1, v[12:13]
	v_add_co_u32_e32 v12, vcc, v7, v12
	v_addc_co_u32_e32 v13, vcc, v9, v13, vcc
	global_store_short_d16_hi v[12:13], v4, off
	s_or_b64 exec, exec, s[40:41]
	s_and_saveexec_b64 s[40:41], s[14:15]
	s_cbranch_execz .LBB433_258
.LBB433_325:
	v_sub_u32_e32 v12, v48, v8
	v_mov_b32_e32 v13, 0
	v_lshlrev_b64 v[12:13], 1, v[12:13]
	v_add_co_u32_e32 v12, vcc, v7, v12
	v_addc_co_u32_e32 v13, vcc, v9, v13, vcc
	global_store_short v[12:13], v5, off
	s_or_b64 exec, exec, s[40:41]
	s_and_saveexec_b64 s[40:41], s[12:13]
	s_cbranch_execz .LBB433_259
.LBB433_326:
	v_sub_u32_e32 v12, v46, v8
	v_mov_b32_e32 v13, 0
	v_lshlrev_b64 v[12:13], 1, v[12:13]
	v_add_co_u32_e32 v12, vcc, v7, v12
	v_addc_co_u32_e32 v13, vcc, v9, v13, vcc
	global_store_short_d16_hi v[12:13], v5, off
	s_or_b64 exec, exec, s[40:41]
	s_and_saveexec_b64 s[40:41], s[10:11]
	s_cbranch_execz .LBB433_260
.LBB433_327:
	v_sub_u32_e32 v12, v44, v8
	v_mov_b32_e32 v13, 0
	v_lshlrev_b64 v[12:13], 1, v[12:13]
	v_add_co_u32_e32 v12, vcc, v7, v12
	v_addc_co_u32_e32 v13, vcc, v9, v13, vcc
	global_store_short v[12:13], v14, off
	s_or_b64 exec, exec, s[40:41]
	s_and_saveexec_b64 s[40:41], s[8:9]
	s_cbranch_execz .LBB433_261
.LBB433_328:
	v_sub_u32_e32 v12, v42, v8
	v_mov_b32_e32 v13, 0
	v_lshlrev_b64 v[12:13], 1, v[12:13]
	v_add_co_u32_e32 v12, vcc, v7, v12
	v_addc_co_u32_e32 v13, vcc, v9, v13, vcc
	global_store_short_d16_hi v[12:13], v14, off
	s_or_b64 exec, exec, s[40:41]
	s_and_saveexec_b64 s[40:41], s[6:7]
	s_cbranch_execz .LBB433_262
.LBB433_329:
	v_sub_u32_e32 v12, v40, v8
	v_mov_b32_e32 v13, 0
	v_lshlrev_b64 v[12:13], 1, v[12:13]
	v_add_co_u32_e32 v12, vcc, v7, v12
	v_addc_co_u32_e32 v13, vcc, v9, v13, vcc
	global_store_short v[12:13], v15, off
	s_or_b64 exec, exec, s[40:41]
	s_and_saveexec_b64 s[40:41], s[4:5]
	s_cbranch_execz .LBB433_263
.LBB433_330:
	v_sub_u32_e32 v12, v38, v8
	v_mov_b32_e32 v13, 0
	v_lshlrev_b64 v[12:13], 1, v[12:13]
	v_add_co_u32_e32 v12, vcc, v7, v12
	v_addc_co_u32_e32 v13, vcc, v9, v13, vcc
	global_store_short_d16_hi v[12:13], v15, off
	s_or_b64 exec, exec, s[40:41]
	s_and_saveexec_b64 s[40:41], s[2:3]
	s_cbranch_execnz .LBB433_264
	s_branch .LBB433_265
.LBB433_331:
	v_sub_u32_e32 v10, v62, v8
	v_lshlrev_b32_e32 v10, 1, v10
	ds_write_b16 v10, v1
	s_or_b64 exec, exec, s[40:41]
	s_and_saveexec_b64 s[28:29], s[26:27]
	s_cbranch_execz .LBB433_269
.LBB433_332:
	v_sub_u32_e32 v1, v60, v8
	v_lshlrev_b32_e32 v1, 1, v1
	ds_write_b16 v1, v2
	s_or_b64 exec, exec, s[28:29]
	s_and_saveexec_b64 s[26:27], s[24:25]
	s_cbranch_execz .LBB433_270
.LBB433_333:
	v_sub_u32_e32 v1, v58, v8
	v_lshlrev_b32_e32 v1, 1, v1
	ds_write_b16_d16_hi v1, v2
	s_or_b64 exec, exec, s[26:27]
	s_and_saveexec_b64 s[24:25], s[22:23]
	s_cbranch_execz .LBB433_271
.LBB433_334:
	v_sub_u32_e32 v1, v56, v8
	v_lshlrev_b32_e32 v1, 1, v1
	ds_write_b16 v1, v3
	s_or_b64 exec, exec, s[24:25]
	s_and_saveexec_b64 s[22:23], s[20:21]
	s_cbranch_execz .LBB433_272
.LBB433_335:
	v_sub_u32_e32 v1, v54, v8
	v_lshlrev_b32_e32 v1, 1, v1
	ds_write_b16_d16_hi v1, v3
	s_or_b64 exec, exec, s[22:23]
	s_and_saveexec_b64 s[20:21], s[18:19]
	s_cbranch_execz .LBB433_273
.LBB433_336:
	v_sub_u32_e32 v1, v52, v8
	v_lshlrev_b32_e32 v1, 1, v1
	ds_write_b16 v1, v4
	s_or_b64 exec, exec, s[20:21]
	s_and_saveexec_b64 s[18:19], s[16:17]
	s_cbranch_execz .LBB433_274
.LBB433_337:
	v_sub_u32_e32 v1, v50, v8
	v_lshlrev_b32_e32 v1, 1, v1
	ds_write_b16_d16_hi v1, v4
	s_or_b64 exec, exec, s[18:19]
	s_and_saveexec_b64 s[16:17], s[14:15]
	s_cbranch_execz .LBB433_275
.LBB433_338:
	v_sub_u32_e32 v1, v48, v8
	v_lshlrev_b32_e32 v1, 1, v1
	ds_write_b16 v1, v5
	s_or_b64 exec, exec, s[16:17]
	s_and_saveexec_b64 s[14:15], s[12:13]
	s_cbranch_execz .LBB433_276
.LBB433_339:
	v_sub_u32_e32 v1, v46, v8
	v_lshlrev_b32_e32 v1, 1, v1
	ds_write_b16_d16_hi v1, v5
	s_or_b64 exec, exec, s[14:15]
	s_and_saveexec_b64 s[12:13], s[10:11]
	s_cbranch_execz .LBB433_277
.LBB433_340:
	v_sub_u32_e32 v1, v44, v8
	v_lshlrev_b32_e32 v1, 1, v1
	ds_write_b16 v1, v14
	s_or_b64 exec, exec, s[12:13]
	s_and_saveexec_b64 s[10:11], s[8:9]
	s_cbranch_execz .LBB433_278
.LBB433_341:
	v_sub_u32_e32 v1, v42, v8
	v_lshlrev_b32_e32 v1, 1, v1
	ds_write_b16_d16_hi v1, v14
	s_or_b64 exec, exec, s[10:11]
	s_and_saveexec_b64 s[8:9], s[6:7]
	s_cbranch_execz .LBB433_279
.LBB433_342:
	v_sub_u32_e32 v1, v40, v8
	v_lshlrev_b32_e32 v1, 1, v1
	ds_write_b16 v1, v15
	s_or_b64 exec, exec, s[8:9]
	s_and_saveexec_b64 s[6:7], s[4:5]
	s_cbranch_execz .LBB433_280
.LBB433_343:
	v_sub_u32_e32 v1, v38, v8
	v_lshlrev_b32_e32 v1, 1, v1
	ds_write_b16_d16_hi v1, v15
	s_or_b64 exec, exec, s[6:7]
	s_and_saveexec_b64 s[4:5], s[2:3]
	s_cbranch_execnz .LBB433_281
	s_branch .LBB433_282
.LBB433_344:
	v_sub_u32_e32 v10, v62, v3
	v_mov_b32_e32 v11, 0
	v_lshlrev_b64 v[10:11], 1, v[10:11]
	v_add_co_u32_e32 v10, vcc, v15, v10
	v_addc_co_u32_e32 v11, vcc, v16, v11, vcc
	global_store_short v[10:11], v63, off
	s_or_b64 exec, exec, s[38:39]
	s_and_saveexec_b64 s[38:39], s[26:27]
	s_cbranch_execz .LBB433_286
.LBB433_345:
	v_sub_u32_e32 v10, v60, v3
	v_mov_b32_e32 v11, 0
	v_lshlrev_b64 v[10:11], 1, v[10:11]
	v_add_co_u32_e32 v10, vcc, v15, v10
	v_addc_co_u32_e32 v11, vcc, v16, v11, vcc
	global_store_short v[10:11], v61, off
	s_or_b64 exec, exec, s[38:39]
	s_and_saveexec_b64 s[38:39], s[24:25]
	s_cbranch_execz .LBB433_287
.LBB433_346:
	v_sub_u32_e32 v10, v58, v3
	v_mov_b32_e32 v11, 0
	v_lshlrev_b64 v[10:11], 1, v[10:11]
	v_add_co_u32_e32 v10, vcc, v15, v10
	v_addc_co_u32_e32 v11, vcc, v16, v11, vcc
	global_store_short v[10:11], v59, off
	s_or_b64 exec, exec, s[38:39]
	s_and_saveexec_b64 s[38:39], s[22:23]
	s_cbranch_execz .LBB433_288
.LBB433_347:
	v_sub_u32_e32 v10, v56, v3
	v_mov_b32_e32 v11, 0
	v_lshlrev_b64 v[10:11], 1, v[10:11]
	v_add_co_u32_e32 v10, vcc, v15, v10
	v_addc_co_u32_e32 v11, vcc, v16, v11, vcc
	global_store_short v[10:11], v57, off
	s_or_b64 exec, exec, s[38:39]
	s_and_saveexec_b64 s[38:39], s[20:21]
	s_cbranch_execz .LBB433_289
.LBB433_348:
	v_sub_u32_e32 v10, v54, v3
	v_mov_b32_e32 v11, 0
	v_lshlrev_b64 v[10:11], 1, v[10:11]
	v_add_co_u32_e32 v10, vcc, v15, v10
	v_addc_co_u32_e32 v11, vcc, v16, v11, vcc
	global_store_short v[10:11], v55, off
	s_or_b64 exec, exec, s[38:39]
	s_and_saveexec_b64 s[38:39], s[18:19]
	s_cbranch_execz .LBB433_290
.LBB433_349:
	v_sub_u32_e32 v10, v52, v3
	v_mov_b32_e32 v11, 0
	v_lshlrev_b64 v[10:11], 1, v[10:11]
	v_add_co_u32_e32 v10, vcc, v15, v10
	v_addc_co_u32_e32 v11, vcc, v16, v11, vcc
	global_store_short v[10:11], v53, off
	s_or_b64 exec, exec, s[38:39]
	s_and_saveexec_b64 s[38:39], s[16:17]
	s_cbranch_execz .LBB433_291
.LBB433_350:
	v_sub_u32_e32 v10, v50, v3
	v_mov_b32_e32 v11, 0
	v_lshlrev_b64 v[10:11], 1, v[10:11]
	v_add_co_u32_e32 v10, vcc, v15, v10
	v_addc_co_u32_e32 v11, vcc, v16, v11, vcc
	global_store_short v[10:11], v51, off
	s_or_b64 exec, exec, s[38:39]
	s_and_saveexec_b64 s[38:39], s[14:15]
	s_cbranch_execz .LBB433_292
.LBB433_351:
	v_sub_u32_e32 v10, v48, v3
	v_mov_b32_e32 v11, 0
	v_lshlrev_b64 v[10:11], 1, v[10:11]
	v_add_co_u32_e32 v10, vcc, v15, v10
	v_addc_co_u32_e32 v11, vcc, v16, v11, vcc
	global_store_short v[10:11], v49, off
	s_or_b64 exec, exec, s[38:39]
	s_and_saveexec_b64 s[38:39], s[12:13]
	s_cbranch_execz .LBB433_293
.LBB433_352:
	v_sub_u32_e32 v10, v46, v3
	v_mov_b32_e32 v11, 0
	v_lshlrev_b64 v[10:11], 1, v[10:11]
	v_add_co_u32_e32 v10, vcc, v15, v10
	v_addc_co_u32_e32 v11, vcc, v16, v11, vcc
	global_store_short v[10:11], v47, off
	s_or_b64 exec, exec, s[38:39]
	s_and_saveexec_b64 s[38:39], s[10:11]
	s_cbranch_execz .LBB433_294
.LBB433_353:
	v_sub_u32_e32 v10, v44, v3
	v_mov_b32_e32 v11, 0
	v_lshlrev_b64 v[10:11], 1, v[10:11]
	v_add_co_u32_e32 v10, vcc, v15, v10
	v_addc_co_u32_e32 v11, vcc, v16, v11, vcc
	global_store_short v[10:11], v45, off
	s_or_b64 exec, exec, s[38:39]
	s_and_saveexec_b64 s[38:39], s[8:9]
	s_cbranch_execz .LBB433_295
.LBB433_354:
	v_sub_u32_e32 v10, v42, v3
	v_mov_b32_e32 v11, 0
	v_lshlrev_b64 v[10:11], 1, v[10:11]
	v_add_co_u32_e32 v10, vcc, v15, v10
	v_addc_co_u32_e32 v11, vcc, v16, v11, vcc
	global_store_short v[10:11], v43, off
	s_or_b64 exec, exec, s[38:39]
	s_and_saveexec_b64 s[38:39], s[6:7]
	s_cbranch_execz .LBB433_296
.LBB433_355:
	v_sub_u32_e32 v10, v40, v3
	v_mov_b32_e32 v11, 0
	v_lshlrev_b64 v[10:11], 1, v[10:11]
	v_add_co_u32_e32 v10, vcc, v15, v10
	v_addc_co_u32_e32 v11, vcc, v16, v11, vcc
	global_store_short v[10:11], v41, off
	s_or_b64 exec, exec, s[38:39]
	s_and_saveexec_b64 s[38:39], s[4:5]
	s_cbranch_execz .LBB433_297
.LBB433_356:
	v_sub_u32_e32 v10, v38, v3
	v_mov_b32_e32 v11, 0
	v_lshlrev_b64 v[10:11], 1, v[10:11]
	v_add_co_u32_e32 v10, vcc, v15, v10
	v_addc_co_u32_e32 v11, vcc, v16, v11, vcc
	global_store_short v[10:11], v39, off
	s_or_b64 exec, exec, s[38:39]
	s_and_saveexec_b64 s[38:39], s[2:3]
	s_cbranch_execnz .LBB433_298
	s_branch .LBB433_299
.LBB433_357:
	v_sub_u32_e32 v4, v62, v3
	v_lshlrev_b32_e32 v4, 1, v4
	ds_write_b16 v4, v63
	s_or_b64 exec, exec, s[38:39]
	s_and_saveexec_b64 s[28:29], s[26:27]
	s_cbranch_execz .LBB433_303
.LBB433_358:
	v_sub_u32_e32 v4, v60, v3
	v_lshlrev_b32_e32 v4, 1, v4
	ds_write_b16 v4, v61
	s_or_b64 exec, exec, s[28:29]
	s_and_saveexec_b64 s[26:27], s[24:25]
	s_cbranch_execz .LBB433_304
.LBB433_359:
	v_sub_u32_e32 v4, v58, v3
	v_lshlrev_b32_e32 v4, 1, v4
	ds_write_b16 v4, v59
	s_or_b64 exec, exec, s[26:27]
	s_and_saveexec_b64 s[24:25], s[22:23]
	s_cbranch_execz .LBB433_305
.LBB433_360:
	v_sub_u32_e32 v4, v56, v3
	v_lshlrev_b32_e32 v4, 1, v4
	ds_write_b16 v4, v57
	s_or_b64 exec, exec, s[24:25]
	s_and_saveexec_b64 s[22:23], s[20:21]
	s_cbranch_execz .LBB433_306
.LBB433_361:
	v_sub_u32_e32 v4, v54, v3
	v_lshlrev_b32_e32 v4, 1, v4
	ds_write_b16 v4, v55
	s_or_b64 exec, exec, s[22:23]
	s_and_saveexec_b64 s[20:21], s[18:19]
	s_cbranch_execz .LBB433_307
.LBB433_362:
	v_sub_u32_e32 v4, v52, v3
	v_lshlrev_b32_e32 v4, 1, v4
	ds_write_b16 v4, v53
	s_or_b64 exec, exec, s[20:21]
	s_and_saveexec_b64 s[18:19], s[16:17]
	s_cbranch_execz .LBB433_308
.LBB433_363:
	v_sub_u32_e32 v4, v50, v3
	v_lshlrev_b32_e32 v4, 1, v4
	ds_write_b16 v4, v51
	s_or_b64 exec, exec, s[18:19]
	s_and_saveexec_b64 s[16:17], s[14:15]
	s_cbranch_execz .LBB433_309
.LBB433_364:
	v_sub_u32_e32 v4, v48, v3
	v_lshlrev_b32_e32 v4, 1, v4
	ds_write_b16 v4, v49
	s_or_b64 exec, exec, s[16:17]
	s_and_saveexec_b64 s[14:15], s[12:13]
	s_cbranch_execz .LBB433_310
.LBB433_365:
	v_sub_u32_e32 v4, v46, v3
	v_lshlrev_b32_e32 v4, 1, v4
	ds_write_b16 v4, v47
	s_or_b64 exec, exec, s[14:15]
	s_and_saveexec_b64 s[12:13], s[10:11]
	s_cbranch_execz .LBB433_311
.LBB433_366:
	v_sub_u32_e32 v4, v44, v3
	v_lshlrev_b32_e32 v4, 1, v4
	ds_write_b16 v4, v45
	s_or_b64 exec, exec, s[12:13]
	s_and_saveexec_b64 s[10:11], s[8:9]
	s_cbranch_execz .LBB433_312
.LBB433_367:
	v_sub_u32_e32 v4, v42, v3
	v_lshlrev_b32_e32 v4, 1, v4
	ds_write_b16 v4, v43
	s_or_b64 exec, exec, s[10:11]
	s_and_saveexec_b64 s[8:9], s[6:7]
	s_cbranch_execz .LBB433_313
.LBB433_368:
	v_sub_u32_e32 v4, v40, v3
	v_lshlrev_b32_e32 v4, 1, v4
	ds_write_b16 v4, v41
	s_or_b64 exec, exec, s[8:9]
	s_and_saveexec_b64 s[6:7], s[4:5]
	s_cbranch_execz .LBB433_314
.LBB433_369:
	v_sub_u32_e32 v4, v38, v3
	v_lshlrev_b32_e32 v4, 1, v4
	ds_write_b16 v4, v39
	s_or_b64 exec, exec, s[6:7]
	s_and_saveexec_b64 s[4:5], s[2:3]
	s_cbranch_execnz .LBB433_315
	s_branch .LBB433_316
	.section	.rodata,"a",@progbits
	.p2align	6, 0x0
	.amdhsa_kernel _ZN7rocprim17ROCPRIM_400000_NS6detail17trampoline_kernelINS0_14default_configENS1_29reduce_by_key_config_selectorIttN6thrust23THRUST_200600_302600_NS4plusItEEEEZZNS1_33reduce_by_key_impl_wrapped_configILNS1_25lookback_scan_determinismE0ES3_S9_NS6_6detail15normal_iteratorINS6_10device_ptrItEEEESG_SG_SG_PmS8_22is_equal_div_10_reduceItEEE10hipError_tPvRmT2_T3_mT4_T5_T6_T7_T8_P12ihipStream_tbENKUlT_T0_E_clISt17integral_constantIbLb0EES11_EEDaSW_SX_EUlSW_E_NS1_11comp_targetILNS1_3genE4ELNS1_11target_archE910ELNS1_3gpuE8ELNS1_3repE0EEENS1_30default_config_static_selectorELNS0_4arch9wavefront6targetE1EEEvT1_
		.amdhsa_group_segment_fixed_size 7680
		.amdhsa_private_segment_fixed_size 0
		.amdhsa_kernarg_size 120
		.amdhsa_user_sgpr_count 6
		.amdhsa_user_sgpr_private_segment_buffer 1
		.amdhsa_user_sgpr_dispatch_ptr 0
		.amdhsa_user_sgpr_queue_ptr 0
		.amdhsa_user_sgpr_kernarg_segment_ptr 1
		.amdhsa_user_sgpr_dispatch_id 0
		.amdhsa_user_sgpr_flat_scratch_init 0
		.amdhsa_user_sgpr_kernarg_preload_length 0
		.amdhsa_user_sgpr_kernarg_preload_offset 0
		.amdhsa_user_sgpr_private_segment_size 0
		.amdhsa_uses_dynamic_stack 0
		.amdhsa_system_sgpr_private_segment_wavefront_offset 0
		.amdhsa_system_sgpr_workgroup_id_x 1
		.amdhsa_system_sgpr_workgroup_id_y 0
		.amdhsa_system_sgpr_workgroup_id_z 0
		.amdhsa_system_sgpr_workgroup_info 0
		.amdhsa_system_vgpr_workitem_id 0
		.amdhsa_next_free_vgpr 111
		.amdhsa_next_free_sgpr 63
		.amdhsa_accum_offset 112
		.amdhsa_reserve_vcc 1
		.amdhsa_reserve_flat_scratch 0
		.amdhsa_float_round_mode_32 0
		.amdhsa_float_round_mode_16_64 0
		.amdhsa_float_denorm_mode_32 3
		.amdhsa_float_denorm_mode_16_64 3
		.amdhsa_dx10_clamp 1
		.amdhsa_ieee_mode 1
		.amdhsa_fp16_overflow 0
		.amdhsa_tg_split 0
		.amdhsa_exception_fp_ieee_invalid_op 0
		.amdhsa_exception_fp_denorm_src 0
		.amdhsa_exception_fp_ieee_div_zero 0
		.amdhsa_exception_fp_ieee_overflow 0
		.amdhsa_exception_fp_ieee_underflow 0
		.amdhsa_exception_fp_ieee_inexact 0
		.amdhsa_exception_int_div_zero 0
	.end_amdhsa_kernel
	.section	.text._ZN7rocprim17ROCPRIM_400000_NS6detail17trampoline_kernelINS0_14default_configENS1_29reduce_by_key_config_selectorIttN6thrust23THRUST_200600_302600_NS4plusItEEEEZZNS1_33reduce_by_key_impl_wrapped_configILNS1_25lookback_scan_determinismE0ES3_S9_NS6_6detail15normal_iteratorINS6_10device_ptrItEEEESG_SG_SG_PmS8_22is_equal_div_10_reduceItEEE10hipError_tPvRmT2_T3_mT4_T5_T6_T7_T8_P12ihipStream_tbENKUlT_T0_E_clISt17integral_constantIbLb0EES11_EEDaSW_SX_EUlSW_E_NS1_11comp_targetILNS1_3genE4ELNS1_11target_archE910ELNS1_3gpuE8ELNS1_3repE0EEENS1_30default_config_static_selectorELNS0_4arch9wavefront6targetE1EEEvT1_,"axG",@progbits,_ZN7rocprim17ROCPRIM_400000_NS6detail17trampoline_kernelINS0_14default_configENS1_29reduce_by_key_config_selectorIttN6thrust23THRUST_200600_302600_NS4plusItEEEEZZNS1_33reduce_by_key_impl_wrapped_configILNS1_25lookback_scan_determinismE0ES3_S9_NS6_6detail15normal_iteratorINS6_10device_ptrItEEEESG_SG_SG_PmS8_22is_equal_div_10_reduceItEEE10hipError_tPvRmT2_T3_mT4_T5_T6_T7_T8_P12ihipStream_tbENKUlT_T0_E_clISt17integral_constantIbLb0EES11_EEDaSW_SX_EUlSW_E_NS1_11comp_targetILNS1_3genE4ELNS1_11target_archE910ELNS1_3gpuE8ELNS1_3repE0EEENS1_30default_config_static_selectorELNS0_4arch9wavefront6targetE1EEEvT1_,comdat
.Lfunc_end433:
	.size	_ZN7rocprim17ROCPRIM_400000_NS6detail17trampoline_kernelINS0_14default_configENS1_29reduce_by_key_config_selectorIttN6thrust23THRUST_200600_302600_NS4plusItEEEEZZNS1_33reduce_by_key_impl_wrapped_configILNS1_25lookback_scan_determinismE0ES3_S9_NS6_6detail15normal_iteratorINS6_10device_ptrItEEEESG_SG_SG_PmS8_22is_equal_div_10_reduceItEEE10hipError_tPvRmT2_T3_mT4_T5_T6_T7_T8_P12ihipStream_tbENKUlT_T0_E_clISt17integral_constantIbLb0EES11_EEDaSW_SX_EUlSW_E_NS1_11comp_targetILNS1_3genE4ELNS1_11target_archE910ELNS1_3gpuE8ELNS1_3repE0EEENS1_30default_config_static_selectorELNS0_4arch9wavefront6targetE1EEEvT1_, .Lfunc_end433-_ZN7rocprim17ROCPRIM_400000_NS6detail17trampoline_kernelINS0_14default_configENS1_29reduce_by_key_config_selectorIttN6thrust23THRUST_200600_302600_NS4plusItEEEEZZNS1_33reduce_by_key_impl_wrapped_configILNS1_25lookback_scan_determinismE0ES3_S9_NS6_6detail15normal_iteratorINS6_10device_ptrItEEEESG_SG_SG_PmS8_22is_equal_div_10_reduceItEEE10hipError_tPvRmT2_T3_mT4_T5_T6_T7_T8_P12ihipStream_tbENKUlT_T0_E_clISt17integral_constantIbLb0EES11_EEDaSW_SX_EUlSW_E_NS1_11comp_targetILNS1_3genE4ELNS1_11target_archE910ELNS1_3gpuE8ELNS1_3repE0EEENS1_30default_config_static_selectorELNS0_4arch9wavefront6targetE1EEEvT1_
                                        ; -- End function
	.section	.AMDGPU.csdata,"",@progbits
; Kernel info:
; codeLenInByte = 19296
; NumSgprs: 67
; NumVgprs: 111
; NumAgprs: 0
; TotalNumVgprs: 111
; ScratchSize: 0
; MemoryBound: 0
; FloatMode: 240
; IeeeMode: 1
; LDSByteSize: 7680 bytes/workgroup (compile time only)
; SGPRBlocks: 8
; VGPRBlocks: 13
; NumSGPRsForWavesPerEU: 67
; NumVGPRsForWavesPerEU: 111
; AccumOffset: 112
; Occupancy: 4
; WaveLimiterHint : 1
; COMPUTE_PGM_RSRC2:SCRATCH_EN: 0
; COMPUTE_PGM_RSRC2:USER_SGPR: 6
; COMPUTE_PGM_RSRC2:TRAP_HANDLER: 0
; COMPUTE_PGM_RSRC2:TGID_X_EN: 1
; COMPUTE_PGM_RSRC2:TGID_Y_EN: 0
; COMPUTE_PGM_RSRC2:TGID_Z_EN: 0
; COMPUTE_PGM_RSRC2:TIDIG_COMP_CNT: 0
; COMPUTE_PGM_RSRC3_GFX90A:ACCUM_OFFSET: 27
; COMPUTE_PGM_RSRC3_GFX90A:TG_SPLIT: 0
	.section	.text._ZN7rocprim17ROCPRIM_400000_NS6detail17trampoline_kernelINS0_14default_configENS1_29reduce_by_key_config_selectorIttN6thrust23THRUST_200600_302600_NS4plusItEEEEZZNS1_33reduce_by_key_impl_wrapped_configILNS1_25lookback_scan_determinismE0ES3_S9_NS6_6detail15normal_iteratorINS6_10device_ptrItEEEESG_SG_SG_PmS8_22is_equal_div_10_reduceItEEE10hipError_tPvRmT2_T3_mT4_T5_T6_T7_T8_P12ihipStream_tbENKUlT_T0_E_clISt17integral_constantIbLb0EES11_EEDaSW_SX_EUlSW_E_NS1_11comp_targetILNS1_3genE3ELNS1_11target_archE908ELNS1_3gpuE7ELNS1_3repE0EEENS1_30default_config_static_selectorELNS0_4arch9wavefront6targetE1EEEvT1_,"axG",@progbits,_ZN7rocprim17ROCPRIM_400000_NS6detail17trampoline_kernelINS0_14default_configENS1_29reduce_by_key_config_selectorIttN6thrust23THRUST_200600_302600_NS4plusItEEEEZZNS1_33reduce_by_key_impl_wrapped_configILNS1_25lookback_scan_determinismE0ES3_S9_NS6_6detail15normal_iteratorINS6_10device_ptrItEEEESG_SG_SG_PmS8_22is_equal_div_10_reduceItEEE10hipError_tPvRmT2_T3_mT4_T5_T6_T7_T8_P12ihipStream_tbENKUlT_T0_E_clISt17integral_constantIbLb0EES11_EEDaSW_SX_EUlSW_E_NS1_11comp_targetILNS1_3genE3ELNS1_11target_archE908ELNS1_3gpuE7ELNS1_3repE0EEENS1_30default_config_static_selectorELNS0_4arch9wavefront6targetE1EEEvT1_,comdat
	.protected	_ZN7rocprim17ROCPRIM_400000_NS6detail17trampoline_kernelINS0_14default_configENS1_29reduce_by_key_config_selectorIttN6thrust23THRUST_200600_302600_NS4plusItEEEEZZNS1_33reduce_by_key_impl_wrapped_configILNS1_25lookback_scan_determinismE0ES3_S9_NS6_6detail15normal_iteratorINS6_10device_ptrItEEEESG_SG_SG_PmS8_22is_equal_div_10_reduceItEEE10hipError_tPvRmT2_T3_mT4_T5_T6_T7_T8_P12ihipStream_tbENKUlT_T0_E_clISt17integral_constantIbLb0EES11_EEDaSW_SX_EUlSW_E_NS1_11comp_targetILNS1_3genE3ELNS1_11target_archE908ELNS1_3gpuE7ELNS1_3repE0EEENS1_30default_config_static_selectorELNS0_4arch9wavefront6targetE1EEEvT1_ ; -- Begin function _ZN7rocprim17ROCPRIM_400000_NS6detail17trampoline_kernelINS0_14default_configENS1_29reduce_by_key_config_selectorIttN6thrust23THRUST_200600_302600_NS4plusItEEEEZZNS1_33reduce_by_key_impl_wrapped_configILNS1_25lookback_scan_determinismE0ES3_S9_NS6_6detail15normal_iteratorINS6_10device_ptrItEEEESG_SG_SG_PmS8_22is_equal_div_10_reduceItEEE10hipError_tPvRmT2_T3_mT4_T5_T6_T7_T8_P12ihipStream_tbENKUlT_T0_E_clISt17integral_constantIbLb0EES11_EEDaSW_SX_EUlSW_E_NS1_11comp_targetILNS1_3genE3ELNS1_11target_archE908ELNS1_3gpuE7ELNS1_3repE0EEENS1_30default_config_static_selectorELNS0_4arch9wavefront6targetE1EEEvT1_
	.globl	_ZN7rocprim17ROCPRIM_400000_NS6detail17trampoline_kernelINS0_14default_configENS1_29reduce_by_key_config_selectorIttN6thrust23THRUST_200600_302600_NS4plusItEEEEZZNS1_33reduce_by_key_impl_wrapped_configILNS1_25lookback_scan_determinismE0ES3_S9_NS6_6detail15normal_iteratorINS6_10device_ptrItEEEESG_SG_SG_PmS8_22is_equal_div_10_reduceItEEE10hipError_tPvRmT2_T3_mT4_T5_T6_T7_T8_P12ihipStream_tbENKUlT_T0_E_clISt17integral_constantIbLb0EES11_EEDaSW_SX_EUlSW_E_NS1_11comp_targetILNS1_3genE3ELNS1_11target_archE908ELNS1_3gpuE7ELNS1_3repE0EEENS1_30default_config_static_selectorELNS0_4arch9wavefront6targetE1EEEvT1_
	.p2align	8
	.type	_ZN7rocprim17ROCPRIM_400000_NS6detail17trampoline_kernelINS0_14default_configENS1_29reduce_by_key_config_selectorIttN6thrust23THRUST_200600_302600_NS4plusItEEEEZZNS1_33reduce_by_key_impl_wrapped_configILNS1_25lookback_scan_determinismE0ES3_S9_NS6_6detail15normal_iteratorINS6_10device_ptrItEEEESG_SG_SG_PmS8_22is_equal_div_10_reduceItEEE10hipError_tPvRmT2_T3_mT4_T5_T6_T7_T8_P12ihipStream_tbENKUlT_T0_E_clISt17integral_constantIbLb0EES11_EEDaSW_SX_EUlSW_E_NS1_11comp_targetILNS1_3genE3ELNS1_11target_archE908ELNS1_3gpuE7ELNS1_3repE0EEENS1_30default_config_static_selectorELNS0_4arch9wavefront6targetE1EEEvT1_,@function
_ZN7rocprim17ROCPRIM_400000_NS6detail17trampoline_kernelINS0_14default_configENS1_29reduce_by_key_config_selectorIttN6thrust23THRUST_200600_302600_NS4plusItEEEEZZNS1_33reduce_by_key_impl_wrapped_configILNS1_25lookback_scan_determinismE0ES3_S9_NS6_6detail15normal_iteratorINS6_10device_ptrItEEEESG_SG_SG_PmS8_22is_equal_div_10_reduceItEEE10hipError_tPvRmT2_T3_mT4_T5_T6_T7_T8_P12ihipStream_tbENKUlT_T0_E_clISt17integral_constantIbLb0EES11_EEDaSW_SX_EUlSW_E_NS1_11comp_targetILNS1_3genE3ELNS1_11target_archE908ELNS1_3gpuE7ELNS1_3repE0EEENS1_30default_config_static_selectorELNS0_4arch9wavefront6targetE1EEEvT1_: ; @_ZN7rocprim17ROCPRIM_400000_NS6detail17trampoline_kernelINS0_14default_configENS1_29reduce_by_key_config_selectorIttN6thrust23THRUST_200600_302600_NS4plusItEEEEZZNS1_33reduce_by_key_impl_wrapped_configILNS1_25lookback_scan_determinismE0ES3_S9_NS6_6detail15normal_iteratorINS6_10device_ptrItEEEESG_SG_SG_PmS8_22is_equal_div_10_reduceItEEE10hipError_tPvRmT2_T3_mT4_T5_T6_T7_T8_P12ihipStream_tbENKUlT_T0_E_clISt17integral_constantIbLb0EES11_EEDaSW_SX_EUlSW_E_NS1_11comp_targetILNS1_3genE3ELNS1_11target_archE908ELNS1_3gpuE7ELNS1_3repE0EEENS1_30default_config_static_selectorELNS0_4arch9wavefront6targetE1EEEvT1_
; %bb.0:
	.section	.rodata,"a",@progbits
	.p2align	6, 0x0
	.amdhsa_kernel _ZN7rocprim17ROCPRIM_400000_NS6detail17trampoline_kernelINS0_14default_configENS1_29reduce_by_key_config_selectorIttN6thrust23THRUST_200600_302600_NS4plusItEEEEZZNS1_33reduce_by_key_impl_wrapped_configILNS1_25lookback_scan_determinismE0ES3_S9_NS6_6detail15normal_iteratorINS6_10device_ptrItEEEESG_SG_SG_PmS8_22is_equal_div_10_reduceItEEE10hipError_tPvRmT2_T3_mT4_T5_T6_T7_T8_P12ihipStream_tbENKUlT_T0_E_clISt17integral_constantIbLb0EES11_EEDaSW_SX_EUlSW_E_NS1_11comp_targetILNS1_3genE3ELNS1_11target_archE908ELNS1_3gpuE7ELNS1_3repE0EEENS1_30default_config_static_selectorELNS0_4arch9wavefront6targetE1EEEvT1_
		.amdhsa_group_segment_fixed_size 0
		.amdhsa_private_segment_fixed_size 0
		.amdhsa_kernarg_size 120
		.amdhsa_user_sgpr_count 6
		.amdhsa_user_sgpr_private_segment_buffer 1
		.amdhsa_user_sgpr_dispatch_ptr 0
		.amdhsa_user_sgpr_queue_ptr 0
		.amdhsa_user_sgpr_kernarg_segment_ptr 1
		.amdhsa_user_sgpr_dispatch_id 0
		.amdhsa_user_sgpr_flat_scratch_init 0
		.amdhsa_user_sgpr_kernarg_preload_length 0
		.amdhsa_user_sgpr_kernarg_preload_offset 0
		.amdhsa_user_sgpr_private_segment_size 0
		.amdhsa_uses_dynamic_stack 0
		.amdhsa_system_sgpr_private_segment_wavefront_offset 0
		.amdhsa_system_sgpr_workgroup_id_x 1
		.amdhsa_system_sgpr_workgroup_id_y 0
		.amdhsa_system_sgpr_workgroup_id_z 0
		.amdhsa_system_sgpr_workgroup_info 0
		.amdhsa_system_vgpr_workitem_id 0
		.amdhsa_next_free_vgpr 1
		.amdhsa_next_free_sgpr 0
		.amdhsa_accum_offset 4
		.amdhsa_reserve_vcc 0
		.amdhsa_reserve_flat_scratch 0
		.amdhsa_float_round_mode_32 0
		.amdhsa_float_round_mode_16_64 0
		.amdhsa_float_denorm_mode_32 3
		.amdhsa_float_denorm_mode_16_64 3
		.amdhsa_dx10_clamp 1
		.amdhsa_ieee_mode 1
		.amdhsa_fp16_overflow 0
		.amdhsa_tg_split 0
		.amdhsa_exception_fp_ieee_invalid_op 0
		.amdhsa_exception_fp_denorm_src 0
		.amdhsa_exception_fp_ieee_div_zero 0
		.amdhsa_exception_fp_ieee_overflow 0
		.amdhsa_exception_fp_ieee_underflow 0
		.amdhsa_exception_fp_ieee_inexact 0
		.amdhsa_exception_int_div_zero 0
	.end_amdhsa_kernel
	.section	.text._ZN7rocprim17ROCPRIM_400000_NS6detail17trampoline_kernelINS0_14default_configENS1_29reduce_by_key_config_selectorIttN6thrust23THRUST_200600_302600_NS4plusItEEEEZZNS1_33reduce_by_key_impl_wrapped_configILNS1_25lookback_scan_determinismE0ES3_S9_NS6_6detail15normal_iteratorINS6_10device_ptrItEEEESG_SG_SG_PmS8_22is_equal_div_10_reduceItEEE10hipError_tPvRmT2_T3_mT4_T5_T6_T7_T8_P12ihipStream_tbENKUlT_T0_E_clISt17integral_constantIbLb0EES11_EEDaSW_SX_EUlSW_E_NS1_11comp_targetILNS1_3genE3ELNS1_11target_archE908ELNS1_3gpuE7ELNS1_3repE0EEENS1_30default_config_static_selectorELNS0_4arch9wavefront6targetE1EEEvT1_,"axG",@progbits,_ZN7rocprim17ROCPRIM_400000_NS6detail17trampoline_kernelINS0_14default_configENS1_29reduce_by_key_config_selectorIttN6thrust23THRUST_200600_302600_NS4plusItEEEEZZNS1_33reduce_by_key_impl_wrapped_configILNS1_25lookback_scan_determinismE0ES3_S9_NS6_6detail15normal_iteratorINS6_10device_ptrItEEEESG_SG_SG_PmS8_22is_equal_div_10_reduceItEEE10hipError_tPvRmT2_T3_mT4_T5_T6_T7_T8_P12ihipStream_tbENKUlT_T0_E_clISt17integral_constantIbLb0EES11_EEDaSW_SX_EUlSW_E_NS1_11comp_targetILNS1_3genE3ELNS1_11target_archE908ELNS1_3gpuE7ELNS1_3repE0EEENS1_30default_config_static_selectorELNS0_4arch9wavefront6targetE1EEEvT1_,comdat
.Lfunc_end434:
	.size	_ZN7rocprim17ROCPRIM_400000_NS6detail17trampoline_kernelINS0_14default_configENS1_29reduce_by_key_config_selectorIttN6thrust23THRUST_200600_302600_NS4plusItEEEEZZNS1_33reduce_by_key_impl_wrapped_configILNS1_25lookback_scan_determinismE0ES3_S9_NS6_6detail15normal_iteratorINS6_10device_ptrItEEEESG_SG_SG_PmS8_22is_equal_div_10_reduceItEEE10hipError_tPvRmT2_T3_mT4_T5_T6_T7_T8_P12ihipStream_tbENKUlT_T0_E_clISt17integral_constantIbLb0EES11_EEDaSW_SX_EUlSW_E_NS1_11comp_targetILNS1_3genE3ELNS1_11target_archE908ELNS1_3gpuE7ELNS1_3repE0EEENS1_30default_config_static_selectorELNS0_4arch9wavefront6targetE1EEEvT1_, .Lfunc_end434-_ZN7rocprim17ROCPRIM_400000_NS6detail17trampoline_kernelINS0_14default_configENS1_29reduce_by_key_config_selectorIttN6thrust23THRUST_200600_302600_NS4plusItEEEEZZNS1_33reduce_by_key_impl_wrapped_configILNS1_25lookback_scan_determinismE0ES3_S9_NS6_6detail15normal_iteratorINS6_10device_ptrItEEEESG_SG_SG_PmS8_22is_equal_div_10_reduceItEEE10hipError_tPvRmT2_T3_mT4_T5_T6_T7_T8_P12ihipStream_tbENKUlT_T0_E_clISt17integral_constantIbLb0EES11_EEDaSW_SX_EUlSW_E_NS1_11comp_targetILNS1_3genE3ELNS1_11target_archE908ELNS1_3gpuE7ELNS1_3repE0EEENS1_30default_config_static_selectorELNS0_4arch9wavefront6targetE1EEEvT1_
                                        ; -- End function
	.section	.AMDGPU.csdata,"",@progbits
; Kernel info:
; codeLenInByte = 0
; NumSgprs: 4
; NumVgprs: 0
; NumAgprs: 0
; TotalNumVgprs: 0
; ScratchSize: 0
; MemoryBound: 0
; FloatMode: 240
; IeeeMode: 1
; LDSByteSize: 0 bytes/workgroup (compile time only)
; SGPRBlocks: 0
; VGPRBlocks: 0
; NumSGPRsForWavesPerEU: 4
; NumVGPRsForWavesPerEU: 1
; AccumOffset: 4
; Occupancy: 8
; WaveLimiterHint : 0
; COMPUTE_PGM_RSRC2:SCRATCH_EN: 0
; COMPUTE_PGM_RSRC2:USER_SGPR: 6
; COMPUTE_PGM_RSRC2:TRAP_HANDLER: 0
; COMPUTE_PGM_RSRC2:TGID_X_EN: 1
; COMPUTE_PGM_RSRC2:TGID_Y_EN: 0
; COMPUTE_PGM_RSRC2:TGID_Z_EN: 0
; COMPUTE_PGM_RSRC2:TIDIG_COMP_CNT: 0
; COMPUTE_PGM_RSRC3_GFX90A:ACCUM_OFFSET: 0
; COMPUTE_PGM_RSRC3_GFX90A:TG_SPLIT: 0
	.section	.text._ZN7rocprim17ROCPRIM_400000_NS6detail17trampoline_kernelINS0_14default_configENS1_29reduce_by_key_config_selectorIttN6thrust23THRUST_200600_302600_NS4plusItEEEEZZNS1_33reduce_by_key_impl_wrapped_configILNS1_25lookback_scan_determinismE0ES3_S9_NS6_6detail15normal_iteratorINS6_10device_ptrItEEEESG_SG_SG_PmS8_22is_equal_div_10_reduceItEEE10hipError_tPvRmT2_T3_mT4_T5_T6_T7_T8_P12ihipStream_tbENKUlT_T0_E_clISt17integral_constantIbLb0EES11_EEDaSW_SX_EUlSW_E_NS1_11comp_targetILNS1_3genE2ELNS1_11target_archE906ELNS1_3gpuE6ELNS1_3repE0EEENS1_30default_config_static_selectorELNS0_4arch9wavefront6targetE1EEEvT1_,"axG",@progbits,_ZN7rocprim17ROCPRIM_400000_NS6detail17trampoline_kernelINS0_14default_configENS1_29reduce_by_key_config_selectorIttN6thrust23THRUST_200600_302600_NS4plusItEEEEZZNS1_33reduce_by_key_impl_wrapped_configILNS1_25lookback_scan_determinismE0ES3_S9_NS6_6detail15normal_iteratorINS6_10device_ptrItEEEESG_SG_SG_PmS8_22is_equal_div_10_reduceItEEE10hipError_tPvRmT2_T3_mT4_T5_T6_T7_T8_P12ihipStream_tbENKUlT_T0_E_clISt17integral_constantIbLb0EES11_EEDaSW_SX_EUlSW_E_NS1_11comp_targetILNS1_3genE2ELNS1_11target_archE906ELNS1_3gpuE6ELNS1_3repE0EEENS1_30default_config_static_selectorELNS0_4arch9wavefront6targetE1EEEvT1_,comdat
	.protected	_ZN7rocprim17ROCPRIM_400000_NS6detail17trampoline_kernelINS0_14default_configENS1_29reduce_by_key_config_selectorIttN6thrust23THRUST_200600_302600_NS4plusItEEEEZZNS1_33reduce_by_key_impl_wrapped_configILNS1_25lookback_scan_determinismE0ES3_S9_NS6_6detail15normal_iteratorINS6_10device_ptrItEEEESG_SG_SG_PmS8_22is_equal_div_10_reduceItEEE10hipError_tPvRmT2_T3_mT4_T5_T6_T7_T8_P12ihipStream_tbENKUlT_T0_E_clISt17integral_constantIbLb0EES11_EEDaSW_SX_EUlSW_E_NS1_11comp_targetILNS1_3genE2ELNS1_11target_archE906ELNS1_3gpuE6ELNS1_3repE0EEENS1_30default_config_static_selectorELNS0_4arch9wavefront6targetE1EEEvT1_ ; -- Begin function _ZN7rocprim17ROCPRIM_400000_NS6detail17trampoline_kernelINS0_14default_configENS1_29reduce_by_key_config_selectorIttN6thrust23THRUST_200600_302600_NS4plusItEEEEZZNS1_33reduce_by_key_impl_wrapped_configILNS1_25lookback_scan_determinismE0ES3_S9_NS6_6detail15normal_iteratorINS6_10device_ptrItEEEESG_SG_SG_PmS8_22is_equal_div_10_reduceItEEE10hipError_tPvRmT2_T3_mT4_T5_T6_T7_T8_P12ihipStream_tbENKUlT_T0_E_clISt17integral_constantIbLb0EES11_EEDaSW_SX_EUlSW_E_NS1_11comp_targetILNS1_3genE2ELNS1_11target_archE906ELNS1_3gpuE6ELNS1_3repE0EEENS1_30default_config_static_selectorELNS0_4arch9wavefront6targetE1EEEvT1_
	.globl	_ZN7rocprim17ROCPRIM_400000_NS6detail17trampoline_kernelINS0_14default_configENS1_29reduce_by_key_config_selectorIttN6thrust23THRUST_200600_302600_NS4plusItEEEEZZNS1_33reduce_by_key_impl_wrapped_configILNS1_25lookback_scan_determinismE0ES3_S9_NS6_6detail15normal_iteratorINS6_10device_ptrItEEEESG_SG_SG_PmS8_22is_equal_div_10_reduceItEEE10hipError_tPvRmT2_T3_mT4_T5_T6_T7_T8_P12ihipStream_tbENKUlT_T0_E_clISt17integral_constantIbLb0EES11_EEDaSW_SX_EUlSW_E_NS1_11comp_targetILNS1_3genE2ELNS1_11target_archE906ELNS1_3gpuE6ELNS1_3repE0EEENS1_30default_config_static_selectorELNS0_4arch9wavefront6targetE1EEEvT1_
	.p2align	8
	.type	_ZN7rocprim17ROCPRIM_400000_NS6detail17trampoline_kernelINS0_14default_configENS1_29reduce_by_key_config_selectorIttN6thrust23THRUST_200600_302600_NS4plusItEEEEZZNS1_33reduce_by_key_impl_wrapped_configILNS1_25lookback_scan_determinismE0ES3_S9_NS6_6detail15normal_iteratorINS6_10device_ptrItEEEESG_SG_SG_PmS8_22is_equal_div_10_reduceItEEE10hipError_tPvRmT2_T3_mT4_T5_T6_T7_T8_P12ihipStream_tbENKUlT_T0_E_clISt17integral_constantIbLb0EES11_EEDaSW_SX_EUlSW_E_NS1_11comp_targetILNS1_3genE2ELNS1_11target_archE906ELNS1_3gpuE6ELNS1_3repE0EEENS1_30default_config_static_selectorELNS0_4arch9wavefront6targetE1EEEvT1_,@function
_ZN7rocprim17ROCPRIM_400000_NS6detail17trampoline_kernelINS0_14default_configENS1_29reduce_by_key_config_selectorIttN6thrust23THRUST_200600_302600_NS4plusItEEEEZZNS1_33reduce_by_key_impl_wrapped_configILNS1_25lookback_scan_determinismE0ES3_S9_NS6_6detail15normal_iteratorINS6_10device_ptrItEEEESG_SG_SG_PmS8_22is_equal_div_10_reduceItEEE10hipError_tPvRmT2_T3_mT4_T5_T6_T7_T8_P12ihipStream_tbENKUlT_T0_E_clISt17integral_constantIbLb0EES11_EEDaSW_SX_EUlSW_E_NS1_11comp_targetILNS1_3genE2ELNS1_11target_archE906ELNS1_3gpuE6ELNS1_3repE0EEENS1_30default_config_static_selectorELNS0_4arch9wavefront6targetE1EEEvT1_: ; @_ZN7rocprim17ROCPRIM_400000_NS6detail17trampoline_kernelINS0_14default_configENS1_29reduce_by_key_config_selectorIttN6thrust23THRUST_200600_302600_NS4plusItEEEEZZNS1_33reduce_by_key_impl_wrapped_configILNS1_25lookback_scan_determinismE0ES3_S9_NS6_6detail15normal_iteratorINS6_10device_ptrItEEEESG_SG_SG_PmS8_22is_equal_div_10_reduceItEEE10hipError_tPvRmT2_T3_mT4_T5_T6_T7_T8_P12ihipStream_tbENKUlT_T0_E_clISt17integral_constantIbLb0EES11_EEDaSW_SX_EUlSW_E_NS1_11comp_targetILNS1_3genE2ELNS1_11target_archE906ELNS1_3gpuE6ELNS1_3repE0EEENS1_30default_config_static_selectorELNS0_4arch9wavefront6targetE1EEEvT1_
; %bb.0:
	.section	.rodata,"a",@progbits
	.p2align	6, 0x0
	.amdhsa_kernel _ZN7rocprim17ROCPRIM_400000_NS6detail17trampoline_kernelINS0_14default_configENS1_29reduce_by_key_config_selectorIttN6thrust23THRUST_200600_302600_NS4plusItEEEEZZNS1_33reduce_by_key_impl_wrapped_configILNS1_25lookback_scan_determinismE0ES3_S9_NS6_6detail15normal_iteratorINS6_10device_ptrItEEEESG_SG_SG_PmS8_22is_equal_div_10_reduceItEEE10hipError_tPvRmT2_T3_mT4_T5_T6_T7_T8_P12ihipStream_tbENKUlT_T0_E_clISt17integral_constantIbLb0EES11_EEDaSW_SX_EUlSW_E_NS1_11comp_targetILNS1_3genE2ELNS1_11target_archE906ELNS1_3gpuE6ELNS1_3repE0EEENS1_30default_config_static_selectorELNS0_4arch9wavefront6targetE1EEEvT1_
		.amdhsa_group_segment_fixed_size 0
		.amdhsa_private_segment_fixed_size 0
		.amdhsa_kernarg_size 120
		.amdhsa_user_sgpr_count 6
		.amdhsa_user_sgpr_private_segment_buffer 1
		.amdhsa_user_sgpr_dispatch_ptr 0
		.amdhsa_user_sgpr_queue_ptr 0
		.amdhsa_user_sgpr_kernarg_segment_ptr 1
		.amdhsa_user_sgpr_dispatch_id 0
		.amdhsa_user_sgpr_flat_scratch_init 0
		.amdhsa_user_sgpr_kernarg_preload_length 0
		.amdhsa_user_sgpr_kernarg_preload_offset 0
		.amdhsa_user_sgpr_private_segment_size 0
		.amdhsa_uses_dynamic_stack 0
		.amdhsa_system_sgpr_private_segment_wavefront_offset 0
		.amdhsa_system_sgpr_workgroup_id_x 1
		.amdhsa_system_sgpr_workgroup_id_y 0
		.amdhsa_system_sgpr_workgroup_id_z 0
		.amdhsa_system_sgpr_workgroup_info 0
		.amdhsa_system_vgpr_workitem_id 0
		.amdhsa_next_free_vgpr 1
		.amdhsa_next_free_sgpr 0
		.amdhsa_accum_offset 4
		.amdhsa_reserve_vcc 0
		.amdhsa_reserve_flat_scratch 0
		.amdhsa_float_round_mode_32 0
		.amdhsa_float_round_mode_16_64 0
		.amdhsa_float_denorm_mode_32 3
		.amdhsa_float_denorm_mode_16_64 3
		.amdhsa_dx10_clamp 1
		.amdhsa_ieee_mode 1
		.amdhsa_fp16_overflow 0
		.amdhsa_tg_split 0
		.amdhsa_exception_fp_ieee_invalid_op 0
		.amdhsa_exception_fp_denorm_src 0
		.amdhsa_exception_fp_ieee_div_zero 0
		.amdhsa_exception_fp_ieee_overflow 0
		.amdhsa_exception_fp_ieee_underflow 0
		.amdhsa_exception_fp_ieee_inexact 0
		.amdhsa_exception_int_div_zero 0
	.end_amdhsa_kernel
	.section	.text._ZN7rocprim17ROCPRIM_400000_NS6detail17trampoline_kernelINS0_14default_configENS1_29reduce_by_key_config_selectorIttN6thrust23THRUST_200600_302600_NS4plusItEEEEZZNS1_33reduce_by_key_impl_wrapped_configILNS1_25lookback_scan_determinismE0ES3_S9_NS6_6detail15normal_iteratorINS6_10device_ptrItEEEESG_SG_SG_PmS8_22is_equal_div_10_reduceItEEE10hipError_tPvRmT2_T3_mT4_T5_T6_T7_T8_P12ihipStream_tbENKUlT_T0_E_clISt17integral_constantIbLb0EES11_EEDaSW_SX_EUlSW_E_NS1_11comp_targetILNS1_3genE2ELNS1_11target_archE906ELNS1_3gpuE6ELNS1_3repE0EEENS1_30default_config_static_selectorELNS0_4arch9wavefront6targetE1EEEvT1_,"axG",@progbits,_ZN7rocprim17ROCPRIM_400000_NS6detail17trampoline_kernelINS0_14default_configENS1_29reduce_by_key_config_selectorIttN6thrust23THRUST_200600_302600_NS4plusItEEEEZZNS1_33reduce_by_key_impl_wrapped_configILNS1_25lookback_scan_determinismE0ES3_S9_NS6_6detail15normal_iteratorINS6_10device_ptrItEEEESG_SG_SG_PmS8_22is_equal_div_10_reduceItEEE10hipError_tPvRmT2_T3_mT4_T5_T6_T7_T8_P12ihipStream_tbENKUlT_T0_E_clISt17integral_constantIbLb0EES11_EEDaSW_SX_EUlSW_E_NS1_11comp_targetILNS1_3genE2ELNS1_11target_archE906ELNS1_3gpuE6ELNS1_3repE0EEENS1_30default_config_static_selectorELNS0_4arch9wavefront6targetE1EEEvT1_,comdat
.Lfunc_end435:
	.size	_ZN7rocprim17ROCPRIM_400000_NS6detail17trampoline_kernelINS0_14default_configENS1_29reduce_by_key_config_selectorIttN6thrust23THRUST_200600_302600_NS4plusItEEEEZZNS1_33reduce_by_key_impl_wrapped_configILNS1_25lookback_scan_determinismE0ES3_S9_NS6_6detail15normal_iteratorINS6_10device_ptrItEEEESG_SG_SG_PmS8_22is_equal_div_10_reduceItEEE10hipError_tPvRmT2_T3_mT4_T5_T6_T7_T8_P12ihipStream_tbENKUlT_T0_E_clISt17integral_constantIbLb0EES11_EEDaSW_SX_EUlSW_E_NS1_11comp_targetILNS1_3genE2ELNS1_11target_archE906ELNS1_3gpuE6ELNS1_3repE0EEENS1_30default_config_static_selectorELNS0_4arch9wavefront6targetE1EEEvT1_, .Lfunc_end435-_ZN7rocprim17ROCPRIM_400000_NS6detail17trampoline_kernelINS0_14default_configENS1_29reduce_by_key_config_selectorIttN6thrust23THRUST_200600_302600_NS4plusItEEEEZZNS1_33reduce_by_key_impl_wrapped_configILNS1_25lookback_scan_determinismE0ES3_S9_NS6_6detail15normal_iteratorINS6_10device_ptrItEEEESG_SG_SG_PmS8_22is_equal_div_10_reduceItEEE10hipError_tPvRmT2_T3_mT4_T5_T6_T7_T8_P12ihipStream_tbENKUlT_T0_E_clISt17integral_constantIbLb0EES11_EEDaSW_SX_EUlSW_E_NS1_11comp_targetILNS1_3genE2ELNS1_11target_archE906ELNS1_3gpuE6ELNS1_3repE0EEENS1_30default_config_static_selectorELNS0_4arch9wavefront6targetE1EEEvT1_
                                        ; -- End function
	.section	.AMDGPU.csdata,"",@progbits
; Kernel info:
; codeLenInByte = 0
; NumSgprs: 4
; NumVgprs: 0
; NumAgprs: 0
; TotalNumVgprs: 0
; ScratchSize: 0
; MemoryBound: 0
; FloatMode: 240
; IeeeMode: 1
; LDSByteSize: 0 bytes/workgroup (compile time only)
; SGPRBlocks: 0
; VGPRBlocks: 0
; NumSGPRsForWavesPerEU: 4
; NumVGPRsForWavesPerEU: 1
; AccumOffset: 4
; Occupancy: 8
; WaveLimiterHint : 0
; COMPUTE_PGM_RSRC2:SCRATCH_EN: 0
; COMPUTE_PGM_RSRC2:USER_SGPR: 6
; COMPUTE_PGM_RSRC2:TRAP_HANDLER: 0
; COMPUTE_PGM_RSRC2:TGID_X_EN: 1
; COMPUTE_PGM_RSRC2:TGID_Y_EN: 0
; COMPUTE_PGM_RSRC2:TGID_Z_EN: 0
; COMPUTE_PGM_RSRC2:TIDIG_COMP_CNT: 0
; COMPUTE_PGM_RSRC3_GFX90A:ACCUM_OFFSET: 0
; COMPUTE_PGM_RSRC3_GFX90A:TG_SPLIT: 0
	.section	.text._ZN7rocprim17ROCPRIM_400000_NS6detail17trampoline_kernelINS0_14default_configENS1_29reduce_by_key_config_selectorIttN6thrust23THRUST_200600_302600_NS4plusItEEEEZZNS1_33reduce_by_key_impl_wrapped_configILNS1_25lookback_scan_determinismE0ES3_S9_NS6_6detail15normal_iteratorINS6_10device_ptrItEEEESG_SG_SG_PmS8_22is_equal_div_10_reduceItEEE10hipError_tPvRmT2_T3_mT4_T5_T6_T7_T8_P12ihipStream_tbENKUlT_T0_E_clISt17integral_constantIbLb0EES11_EEDaSW_SX_EUlSW_E_NS1_11comp_targetILNS1_3genE10ELNS1_11target_archE1201ELNS1_3gpuE5ELNS1_3repE0EEENS1_30default_config_static_selectorELNS0_4arch9wavefront6targetE1EEEvT1_,"axG",@progbits,_ZN7rocprim17ROCPRIM_400000_NS6detail17trampoline_kernelINS0_14default_configENS1_29reduce_by_key_config_selectorIttN6thrust23THRUST_200600_302600_NS4plusItEEEEZZNS1_33reduce_by_key_impl_wrapped_configILNS1_25lookback_scan_determinismE0ES3_S9_NS6_6detail15normal_iteratorINS6_10device_ptrItEEEESG_SG_SG_PmS8_22is_equal_div_10_reduceItEEE10hipError_tPvRmT2_T3_mT4_T5_T6_T7_T8_P12ihipStream_tbENKUlT_T0_E_clISt17integral_constantIbLb0EES11_EEDaSW_SX_EUlSW_E_NS1_11comp_targetILNS1_3genE10ELNS1_11target_archE1201ELNS1_3gpuE5ELNS1_3repE0EEENS1_30default_config_static_selectorELNS0_4arch9wavefront6targetE1EEEvT1_,comdat
	.protected	_ZN7rocprim17ROCPRIM_400000_NS6detail17trampoline_kernelINS0_14default_configENS1_29reduce_by_key_config_selectorIttN6thrust23THRUST_200600_302600_NS4plusItEEEEZZNS1_33reduce_by_key_impl_wrapped_configILNS1_25lookback_scan_determinismE0ES3_S9_NS6_6detail15normal_iteratorINS6_10device_ptrItEEEESG_SG_SG_PmS8_22is_equal_div_10_reduceItEEE10hipError_tPvRmT2_T3_mT4_T5_T6_T7_T8_P12ihipStream_tbENKUlT_T0_E_clISt17integral_constantIbLb0EES11_EEDaSW_SX_EUlSW_E_NS1_11comp_targetILNS1_3genE10ELNS1_11target_archE1201ELNS1_3gpuE5ELNS1_3repE0EEENS1_30default_config_static_selectorELNS0_4arch9wavefront6targetE1EEEvT1_ ; -- Begin function _ZN7rocprim17ROCPRIM_400000_NS6detail17trampoline_kernelINS0_14default_configENS1_29reduce_by_key_config_selectorIttN6thrust23THRUST_200600_302600_NS4plusItEEEEZZNS1_33reduce_by_key_impl_wrapped_configILNS1_25lookback_scan_determinismE0ES3_S9_NS6_6detail15normal_iteratorINS6_10device_ptrItEEEESG_SG_SG_PmS8_22is_equal_div_10_reduceItEEE10hipError_tPvRmT2_T3_mT4_T5_T6_T7_T8_P12ihipStream_tbENKUlT_T0_E_clISt17integral_constantIbLb0EES11_EEDaSW_SX_EUlSW_E_NS1_11comp_targetILNS1_3genE10ELNS1_11target_archE1201ELNS1_3gpuE5ELNS1_3repE0EEENS1_30default_config_static_selectorELNS0_4arch9wavefront6targetE1EEEvT1_
	.globl	_ZN7rocprim17ROCPRIM_400000_NS6detail17trampoline_kernelINS0_14default_configENS1_29reduce_by_key_config_selectorIttN6thrust23THRUST_200600_302600_NS4plusItEEEEZZNS1_33reduce_by_key_impl_wrapped_configILNS1_25lookback_scan_determinismE0ES3_S9_NS6_6detail15normal_iteratorINS6_10device_ptrItEEEESG_SG_SG_PmS8_22is_equal_div_10_reduceItEEE10hipError_tPvRmT2_T3_mT4_T5_T6_T7_T8_P12ihipStream_tbENKUlT_T0_E_clISt17integral_constantIbLb0EES11_EEDaSW_SX_EUlSW_E_NS1_11comp_targetILNS1_3genE10ELNS1_11target_archE1201ELNS1_3gpuE5ELNS1_3repE0EEENS1_30default_config_static_selectorELNS0_4arch9wavefront6targetE1EEEvT1_
	.p2align	8
	.type	_ZN7rocprim17ROCPRIM_400000_NS6detail17trampoline_kernelINS0_14default_configENS1_29reduce_by_key_config_selectorIttN6thrust23THRUST_200600_302600_NS4plusItEEEEZZNS1_33reduce_by_key_impl_wrapped_configILNS1_25lookback_scan_determinismE0ES3_S9_NS6_6detail15normal_iteratorINS6_10device_ptrItEEEESG_SG_SG_PmS8_22is_equal_div_10_reduceItEEE10hipError_tPvRmT2_T3_mT4_T5_T6_T7_T8_P12ihipStream_tbENKUlT_T0_E_clISt17integral_constantIbLb0EES11_EEDaSW_SX_EUlSW_E_NS1_11comp_targetILNS1_3genE10ELNS1_11target_archE1201ELNS1_3gpuE5ELNS1_3repE0EEENS1_30default_config_static_selectorELNS0_4arch9wavefront6targetE1EEEvT1_,@function
_ZN7rocprim17ROCPRIM_400000_NS6detail17trampoline_kernelINS0_14default_configENS1_29reduce_by_key_config_selectorIttN6thrust23THRUST_200600_302600_NS4plusItEEEEZZNS1_33reduce_by_key_impl_wrapped_configILNS1_25lookback_scan_determinismE0ES3_S9_NS6_6detail15normal_iteratorINS6_10device_ptrItEEEESG_SG_SG_PmS8_22is_equal_div_10_reduceItEEE10hipError_tPvRmT2_T3_mT4_T5_T6_T7_T8_P12ihipStream_tbENKUlT_T0_E_clISt17integral_constantIbLb0EES11_EEDaSW_SX_EUlSW_E_NS1_11comp_targetILNS1_3genE10ELNS1_11target_archE1201ELNS1_3gpuE5ELNS1_3repE0EEENS1_30default_config_static_selectorELNS0_4arch9wavefront6targetE1EEEvT1_: ; @_ZN7rocprim17ROCPRIM_400000_NS6detail17trampoline_kernelINS0_14default_configENS1_29reduce_by_key_config_selectorIttN6thrust23THRUST_200600_302600_NS4plusItEEEEZZNS1_33reduce_by_key_impl_wrapped_configILNS1_25lookback_scan_determinismE0ES3_S9_NS6_6detail15normal_iteratorINS6_10device_ptrItEEEESG_SG_SG_PmS8_22is_equal_div_10_reduceItEEE10hipError_tPvRmT2_T3_mT4_T5_T6_T7_T8_P12ihipStream_tbENKUlT_T0_E_clISt17integral_constantIbLb0EES11_EEDaSW_SX_EUlSW_E_NS1_11comp_targetILNS1_3genE10ELNS1_11target_archE1201ELNS1_3gpuE5ELNS1_3repE0EEENS1_30default_config_static_selectorELNS0_4arch9wavefront6targetE1EEEvT1_
; %bb.0:
	.section	.rodata,"a",@progbits
	.p2align	6, 0x0
	.amdhsa_kernel _ZN7rocprim17ROCPRIM_400000_NS6detail17trampoline_kernelINS0_14default_configENS1_29reduce_by_key_config_selectorIttN6thrust23THRUST_200600_302600_NS4plusItEEEEZZNS1_33reduce_by_key_impl_wrapped_configILNS1_25lookback_scan_determinismE0ES3_S9_NS6_6detail15normal_iteratorINS6_10device_ptrItEEEESG_SG_SG_PmS8_22is_equal_div_10_reduceItEEE10hipError_tPvRmT2_T3_mT4_T5_T6_T7_T8_P12ihipStream_tbENKUlT_T0_E_clISt17integral_constantIbLb0EES11_EEDaSW_SX_EUlSW_E_NS1_11comp_targetILNS1_3genE10ELNS1_11target_archE1201ELNS1_3gpuE5ELNS1_3repE0EEENS1_30default_config_static_selectorELNS0_4arch9wavefront6targetE1EEEvT1_
		.amdhsa_group_segment_fixed_size 0
		.amdhsa_private_segment_fixed_size 0
		.amdhsa_kernarg_size 120
		.amdhsa_user_sgpr_count 6
		.amdhsa_user_sgpr_private_segment_buffer 1
		.amdhsa_user_sgpr_dispatch_ptr 0
		.amdhsa_user_sgpr_queue_ptr 0
		.amdhsa_user_sgpr_kernarg_segment_ptr 1
		.amdhsa_user_sgpr_dispatch_id 0
		.amdhsa_user_sgpr_flat_scratch_init 0
		.amdhsa_user_sgpr_kernarg_preload_length 0
		.amdhsa_user_sgpr_kernarg_preload_offset 0
		.amdhsa_user_sgpr_private_segment_size 0
		.amdhsa_uses_dynamic_stack 0
		.amdhsa_system_sgpr_private_segment_wavefront_offset 0
		.amdhsa_system_sgpr_workgroup_id_x 1
		.amdhsa_system_sgpr_workgroup_id_y 0
		.amdhsa_system_sgpr_workgroup_id_z 0
		.amdhsa_system_sgpr_workgroup_info 0
		.amdhsa_system_vgpr_workitem_id 0
		.amdhsa_next_free_vgpr 1
		.amdhsa_next_free_sgpr 0
		.amdhsa_accum_offset 4
		.amdhsa_reserve_vcc 0
		.amdhsa_reserve_flat_scratch 0
		.amdhsa_float_round_mode_32 0
		.amdhsa_float_round_mode_16_64 0
		.amdhsa_float_denorm_mode_32 3
		.amdhsa_float_denorm_mode_16_64 3
		.amdhsa_dx10_clamp 1
		.amdhsa_ieee_mode 1
		.amdhsa_fp16_overflow 0
		.amdhsa_tg_split 0
		.amdhsa_exception_fp_ieee_invalid_op 0
		.amdhsa_exception_fp_denorm_src 0
		.amdhsa_exception_fp_ieee_div_zero 0
		.amdhsa_exception_fp_ieee_overflow 0
		.amdhsa_exception_fp_ieee_underflow 0
		.amdhsa_exception_fp_ieee_inexact 0
		.amdhsa_exception_int_div_zero 0
	.end_amdhsa_kernel
	.section	.text._ZN7rocprim17ROCPRIM_400000_NS6detail17trampoline_kernelINS0_14default_configENS1_29reduce_by_key_config_selectorIttN6thrust23THRUST_200600_302600_NS4plusItEEEEZZNS1_33reduce_by_key_impl_wrapped_configILNS1_25lookback_scan_determinismE0ES3_S9_NS6_6detail15normal_iteratorINS6_10device_ptrItEEEESG_SG_SG_PmS8_22is_equal_div_10_reduceItEEE10hipError_tPvRmT2_T3_mT4_T5_T6_T7_T8_P12ihipStream_tbENKUlT_T0_E_clISt17integral_constantIbLb0EES11_EEDaSW_SX_EUlSW_E_NS1_11comp_targetILNS1_3genE10ELNS1_11target_archE1201ELNS1_3gpuE5ELNS1_3repE0EEENS1_30default_config_static_selectorELNS0_4arch9wavefront6targetE1EEEvT1_,"axG",@progbits,_ZN7rocprim17ROCPRIM_400000_NS6detail17trampoline_kernelINS0_14default_configENS1_29reduce_by_key_config_selectorIttN6thrust23THRUST_200600_302600_NS4plusItEEEEZZNS1_33reduce_by_key_impl_wrapped_configILNS1_25lookback_scan_determinismE0ES3_S9_NS6_6detail15normal_iteratorINS6_10device_ptrItEEEESG_SG_SG_PmS8_22is_equal_div_10_reduceItEEE10hipError_tPvRmT2_T3_mT4_T5_T6_T7_T8_P12ihipStream_tbENKUlT_T0_E_clISt17integral_constantIbLb0EES11_EEDaSW_SX_EUlSW_E_NS1_11comp_targetILNS1_3genE10ELNS1_11target_archE1201ELNS1_3gpuE5ELNS1_3repE0EEENS1_30default_config_static_selectorELNS0_4arch9wavefront6targetE1EEEvT1_,comdat
.Lfunc_end436:
	.size	_ZN7rocprim17ROCPRIM_400000_NS6detail17trampoline_kernelINS0_14default_configENS1_29reduce_by_key_config_selectorIttN6thrust23THRUST_200600_302600_NS4plusItEEEEZZNS1_33reduce_by_key_impl_wrapped_configILNS1_25lookback_scan_determinismE0ES3_S9_NS6_6detail15normal_iteratorINS6_10device_ptrItEEEESG_SG_SG_PmS8_22is_equal_div_10_reduceItEEE10hipError_tPvRmT2_T3_mT4_T5_T6_T7_T8_P12ihipStream_tbENKUlT_T0_E_clISt17integral_constantIbLb0EES11_EEDaSW_SX_EUlSW_E_NS1_11comp_targetILNS1_3genE10ELNS1_11target_archE1201ELNS1_3gpuE5ELNS1_3repE0EEENS1_30default_config_static_selectorELNS0_4arch9wavefront6targetE1EEEvT1_, .Lfunc_end436-_ZN7rocprim17ROCPRIM_400000_NS6detail17trampoline_kernelINS0_14default_configENS1_29reduce_by_key_config_selectorIttN6thrust23THRUST_200600_302600_NS4plusItEEEEZZNS1_33reduce_by_key_impl_wrapped_configILNS1_25lookback_scan_determinismE0ES3_S9_NS6_6detail15normal_iteratorINS6_10device_ptrItEEEESG_SG_SG_PmS8_22is_equal_div_10_reduceItEEE10hipError_tPvRmT2_T3_mT4_T5_T6_T7_T8_P12ihipStream_tbENKUlT_T0_E_clISt17integral_constantIbLb0EES11_EEDaSW_SX_EUlSW_E_NS1_11comp_targetILNS1_3genE10ELNS1_11target_archE1201ELNS1_3gpuE5ELNS1_3repE0EEENS1_30default_config_static_selectorELNS0_4arch9wavefront6targetE1EEEvT1_
                                        ; -- End function
	.section	.AMDGPU.csdata,"",@progbits
; Kernel info:
; codeLenInByte = 0
; NumSgprs: 4
; NumVgprs: 0
; NumAgprs: 0
; TotalNumVgprs: 0
; ScratchSize: 0
; MemoryBound: 0
; FloatMode: 240
; IeeeMode: 1
; LDSByteSize: 0 bytes/workgroup (compile time only)
; SGPRBlocks: 0
; VGPRBlocks: 0
; NumSGPRsForWavesPerEU: 4
; NumVGPRsForWavesPerEU: 1
; AccumOffset: 4
; Occupancy: 8
; WaveLimiterHint : 0
; COMPUTE_PGM_RSRC2:SCRATCH_EN: 0
; COMPUTE_PGM_RSRC2:USER_SGPR: 6
; COMPUTE_PGM_RSRC2:TRAP_HANDLER: 0
; COMPUTE_PGM_RSRC2:TGID_X_EN: 1
; COMPUTE_PGM_RSRC2:TGID_Y_EN: 0
; COMPUTE_PGM_RSRC2:TGID_Z_EN: 0
; COMPUTE_PGM_RSRC2:TIDIG_COMP_CNT: 0
; COMPUTE_PGM_RSRC3_GFX90A:ACCUM_OFFSET: 0
; COMPUTE_PGM_RSRC3_GFX90A:TG_SPLIT: 0
	.section	.text._ZN7rocprim17ROCPRIM_400000_NS6detail17trampoline_kernelINS0_14default_configENS1_29reduce_by_key_config_selectorIttN6thrust23THRUST_200600_302600_NS4plusItEEEEZZNS1_33reduce_by_key_impl_wrapped_configILNS1_25lookback_scan_determinismE0ES3_S9_NS6_6detail15normal_iteratorINS6_10device_ptrItEEEESG_SG_SG_PmS8_22is_equal_div_10_reduceItEEE10hipError_tPvRmT2_T3_mT4_T5_T6_T7_T8_P12ihipStream_tbENKUlT_T0_E_clISt17integral_constantIbLb0EES11_EEDaSW_SX_EUlSW_E_NS1_11comp_targetILNS1_3genE10ELNS1_11target_archE1200ELNS1_3gpuE4ELNS1_3repE0EEENS1_30default_config_static_selectorELNS0_4arch9wavefront6targetE1EEEvT1_,"axG",@progbits,_ZN7rocprim17ROCPRIM_400000_NS6detail17trampoline_kernelINS0_14default_configENS1_29reduce_by_key_config_selectorIttN6thrust23THRUST_200600_302600_NS4plusItEEEEZZNS1_33reduce_by_key_impl_wrapped_configILNS1_25lookback_scan_determinismE0ES3_S9_NS6_6detail15normal_iteratorINS6_10device_ptrItEEEESG_SG_SG_PmS8_22is_equal_div_10_reduceItEEE10hipError_tPvRmT2_T3_mT4_T5_T6_T7_T8_P12ihipStream_tbENKUlT_T0_E_clISt17integral_constantIbLb0EES11_EEDaSW_SX_EUlSW_E_NS1_11comp_targetILNS1_3genE10ELNS1_11target_archE1200ELNS1_3gpuE4ELNS1_3repE0EEENS1_30default_config_static_selectorELNS0_4arch9wavefront6targetE1EEEvT1_,comdat
	.protected	_ZN7rocprim17ROCPRIM_400000_NS6detail17trampoline_kernelINS0_14default_configENS1_29reduce_by_key_config_selectorIttN6thrust23THRUST_200600_302600_NS4plusItEEEEZZNS1_33reduce_by_key_impl_wrapped_configILNS1_25lookback_scan_determinismE0ES3_S9_NS6_6detail15normal_iteratorINS6_10device_ptrItEEEESG_SG_SG_PmS8_22is_equal_div_10_reduceItEEE10hipError_tPvRmT2_T3_mT4_T5_T6_T7_T8_P12ihipStream_tbENKUlT_T0_E_clISt17integral_constantIbLb0EES11_EEDaSW_SX_EUlSW_E_NS1_11comp_targetILNS1_3genE10ELNS1_11target_archE1200ELNS1_3gpuE4ELNS1_3repE0EEENS1_30default_config_static_selectorELNS0_4arch9wavefront6targetE1EEEvT1_ ; -- Begin function _ZN7rocprim17ROCPRIM_400000_NS6detail17trampoline_kernelINS0_14default_configENS1_29reduce_by_key_config_selectorIttN6thrust23THRUST_200600_302600_NS4plusItEEEEZZNS1_33reduce_by_key_impl_wrapped_configILNS1_25lookback_scan_determinismE0ES3_S9_NS6_6detail15normal_iteratorINS6_10device_ptrItEEEESG_SG_SG_PmS8_22is_equal_div_10_reduceItEEE10hipError_tPvRmT2_T3_mT4_T5_T6_T7_T8_P12ihipStream_tbENKUlT_T0_E_clISt17integral_constantIbLb0EES11_EEDaSW_SX_EUlSW_E_NS1_11comp_targetILNS1_3genE10ELNS1_11target_archE1200ELNS1_3gpuE4ELNS1_3repE0EEENS1_30default_config_static_selectorELNS0_4arch9wavefront6targetE1EEEvT1_
	.globl	_ZN7rocprim17ROCPRIM_400000_NS6detail17trampoline_kernelINS0_14default_configENS1_29reduce_by_key_config_selectorIttN6thrust23THRUST_200600_302600_NS4plusItEEEEZZNS1_33reduce_by_key_impl_wrapped_configILNS1_25lookback_scan_determinismE0ES3_S9_NS6_6detail15normal_iteratorINS6_10device_ptrItEEEESG_SG_SG_PmS8_22is_equal_div_10_reduceItEEE10hipError_tPvRmT2_T3_mT4_T5_T6_T7_T8_P12ihipStream_tbENKUlT_T0_E_clISt17integral_constantIbLb0EES11_EEDaSW_SX_EUlSW_E_NS1_11comp_targetILNS1_3genE10ELNS1_11target_archE1200ELNS1_3gpuE4ELNS1_3repE0EEENS1_30default_config_static_selectorELNS0_4arch9wavefront6targetE1EEEvT1_
	.p2align	8
	.type	_ZN7rocprim17ROCPRIM_400000_NS6detail17trampoline_kernelINS0_14default_configENS1_29reduce_by_key_config_selectorIttN6thrust23THRUST_200600_302600_NS4plusItEEEEZZNS1_33reduce_by_key_impl_wrapped_configILNS1_25lookback_scan_determinismE0ES3_S9_NS6_6detail15normal_iteratorINS6_10device_ptrItEEEESG_SG_SG_PmS8_22is_equal_div_10_reduceItEEE10hipError_tPvRmT2_T3_mT4_T5_T6_T7_T8_P12ihipStream_tbENKUlT_T0_E_clISt17integral_constantIbLb0EES11_EEDaSW_SX_EUlSW_E_NS1_11comp_targetILNS1_3genE10ELNS1_11target_archE1200ELNS1_3gpuE4ELNS1_3repE0EEENS1_30default_config_static_selectorELNS0_4arch9wavefront6targetE1EEEvT1_,@function
_ZN7rocprim17ROCPRIM_400000_NS6detail17trampoline_kernelINS0_14default_configENS1_29reduce_by_key_config_selectorIttN6thrust23THRUST_200600_302600_NS4plusItEEEEZZNS1_33reduce_by_key_impl_wrapped_configILNS1_25lookback_scan_determinismE0ES3_S9_NS6_6detail15normal_iteratorINS6_10device_ptrItEEEESG_SG_SG_PmS8_22is_equal_div_10_reduceItEEE10hipError_tPvRmT2_T3_mT4_T5_T6_T7_T8_P12ihipStream_tbENKUlT_T0_E_clISt17integral_constantIbLb0EES11_EEDaSW_SX_EUlSW_E_NS1_11comp_targetILNS1_3genE10ELNS1_11target_archE1200ELNS1_3gpuE4ELNS1_3repE0EEENS1_30default_config_static_selectorELNS0_4arch9wavefront6targetE1EEEvT1_: ; @_ZN7rocprim17ROCPRIM_400000_NS6detail17trampoline_kernelINS0_14default_configENS1_29reduce_by_key_config_selectorIttN6thrust23THRUST_200600_302600_NS4plusItEEEEZZNS1_33reduce_by_key_impl_wrapped_configILNS1_25lookback_scan_determinismE0ES3_S9_NS6_6detail15normal_iteratorINS6_10device_ptrItEEEESG_SG_SG_PmS8_22is_equal_div_10_reduceItEEE10hipError_tPvRmT2_T3_mT4_T5_T6_T7_T8_P12ihipStream_tbENKUlT_T0_E_clISt17integral_constantIbLb0EES11_EEDaSW_SX_EUlSW_E_NS1_11comp_targetILNS1_3genE10ELNS1_11target_archE1200ELNS1_3gpuE4ELNS1_3repE0EEENS1_30default_config_static_selectorELNS0_4arch9wavefront6targetE1EEEvT1_
; %bb.0:
	.section	.rodata,"a",@progbits
	.p2align	6, 0x0
	.amdhsa_kernel _ZN7rocprim17ROCPRIM_400000_NS6detail17trampoline_kernelINS0_14default_configENS1_29reduce_by_key_config_selectorIttN6thrust23THRUST_200600_302600_NS4plusItEEEEZZNS1_33reduce_by_key_impl_wrapped_configILNS1_25lookback_scan_determinismE0ES3_S9_NS6_6detail15normal_iteratorINS6_10device_ptrItEEEESG_SG_SG_PmS8_22is_equal_div_10_reduceItEEE10hipError_tPvRmT2_T3_mT4_T5_T6_T7_T8_P12ihipStream_tbENKUlT_T0_E_clISt17integral_constantIbLb0EES11_EEDaSW_SX_EUlSW_E_NS1_11comp_targetILNS1_3genE10ELNS1_11target_archE1200ELNS1_3gpuE4ELNS1_3repE0EEENS1_30default_config_static_selectorELNS0_4arch9wavefront6targetE1EEEvT1_
		.amdhsa_group_segment_fixed_size 0
		.amdhsa_private_segment_fixed_size 0
		.amdhsa_kernarg_size 120
		.amdhsa_user_sgpr_count 6
		.amdhsa_user_sgpr_private_segment_buffer 1
		.amdhsa_user_sgpr_dispatch_ptr 0
		.amdhsa_user_sgpr_queue_ptr 0
		.amdhsa_user_sgpr_kernarg_segment_ptr 1
		.amdhsa_user_sgpr_dispatch_id 0
		.amdhsa_user_sgpr_flat_scratch_init 0
		.amdhsa_user_sgpr_kernarg_preload_length 0
		.amdhsa_user_sgpr_kernarg_preload_offset 0
		.amdhsa_user_sgpr_private_segment_size 0
		.amdhsa_uses_dynamic_stack 0
		.amdhsa_system_sgpr_private_segment_wavefront_offset 0
		.amdhsa_system_sgpr_workgroup_id_x 1
		.amdhsa_system_sgpr_workgroup_id_y 0
		.amdhsa_system_sgpr_workgroup_id_z 0
		.amdhsa_system_sgpr_workgroup_info 0
		.amdhsa_system_vgpr_workitem_id 0
		.amdhsa_next_free_vgpr 1
		.amdhsa_next_free_sgpr 0
		.amdhsa_accum_offset 4
		.amdhsa_reserve_vcc 0
		.amdhsa_reserve_flat_scratch 0
		.amdhsa_float_round_mode_32 0
		.amdhsa_float_round_mode_16_64 0
		.amdhsa_float_denorm_mode_32 3
		.amdhsa_float_denorm_mode_16_64 3
		.amdhsa_dx10_clamp 1
		.amdhsa_ieee_mode 1
		.amdhsa_fp16_overflow 0
		.amdhsa_tg_split 0
		.amdhsa_exception_fp_ieee_invalid_op 0
		.amdhsa_exception_fp_denorm_src 0
		.amdhsa_exception_fp_ieee_div_zero 0
		.amdhsa_exception_fp_ieee_overflow 0
		.amdhsa_exception_fp_ieee_underflow 0
		.amdhsa_exception_fp_ieee_inexact 0
		.amdhsa_exception_int_div_zero 0
	.end_amdhsa_kernel
	.section	.text._ZN7rocprim17ROCPRIM_400000_NS6detail17trampoline_kernelINS0_14default_configENS1_29reduce_by_key_config_selectorIttN6thrust23THRUST_200600_302600_NS4plusItEEEEZZNS1_33reduce_by_key_impl_wrapped_configILNS1_25lookback_scan_determinismE0ES3_S9_NS6_6detail15normal_iteratorINS6_10device_ptrItEEEESG_SG_SG_PmS8_22is_equal_div_10_reduceItEEE10hipError_tPvRmT2_T3_mT4_T5_T6_T7_T8_P12ihipStream_tbENKUlT_T0_E_clISt17integral_constantIbLb0EES11_EEDaSW_SX_EUlSW_E_NS1_11comp_targetILNS1_3genE10ELNS1_11target_archE1200ELNS1_3gpuE4ELNS1_3repE0EEENS1_30default_config_static_selectorELNS0_4arch9wavefront6targetE1EEEvT1_,"axG",@progbits,_ZN7rocprim17ROCPRIM_400000_NS6detail17trampoline_kernelINS0_14default_configENS1_29reduce_by_key_config_selectorIttN6thrust23THRUST_200600_302600_NS4plusItEEEEZZNS1_33reduce_by_key_impl_wrapped_configILNS1_25lookback_scan_determinismE0ES3_S9_NS6_6detail15normal_iteratorINS6_10device_ptrItEEEESG_SG_SG_PmS8_22is_equal_div_10_reduceItEEE10hipError_tPvRmT2_T3_mT4_T5_T6_T7_T8_P12ihipStream_tbENKUlT_T0_E_clISt17integral_constantIbLb0EES11_EEDaSW_SX_EUlSW_E_NS1_11comp_targetILNS1_3genE10ELNS1_11target_archE1200ELNS1_3gpuE4ELNS1_3repE0EEENS1_30default_config_static_selectorELNS0_4arch9wavefront6targetE1EEEvT1_,comdat
.Lfunc_end437:
	.size	_ZN7rocprim17ROCPRIM_400000_NS6detail17trampoline_kernelINS0_14default_configENS1_29reduce_by_key_config_selectorIttN6thrust23THRUST_200600_302600_NS4plusItEEEEZZNS1_33reduce_by_key_impl_wrapped_configILNS1_25lookback_scan_determinismE0ES3_S9_NS6_6detail15normal_iteratorINS6_10device_ptrItEEEESG_SG_SG_PmS8_22is_equal_div_10_reduceItEEE10hipError_tPvRmT2_T3_mT4_T5_T6_T7_T8_P12ihipStream_tbENKUlT_T0_E_clISt17integral_constantIbLb0EES11_EEDaSW_SX_EUlSW_E_NS1_11comp_targetILNS1_3genE10ELNS1_11target_archE1200ELNS1_3gpuE4ELNS1_3repE0EEENS1_30default_config_static_selectorELNS0_4arch9wavefront6targetE1EEEvT1_, .Lfunc_end437-_ZN7rocprim17ROCPRIM_400000_NS6detail17trampoline_kernelINS0_14default_configENS1_29reduce_by_key_config_selectorIttN6thrust23THRUST_200600_302600_NS4plusItEEEEZZNS1_33reduce_by_key_impl_wrapped_configILNS1_25lookback_scan_determinismE0ES3_S9_NS6_6detail15normal_iteratorINS6_10device_ptrItEEEESG_SG_SG_PmS8_22is_equal_div_10_reduceItEEE10hipError_tPvRmT2_T3_mT4_T5_T6_T7_T8_P12ihipStream_tbENKUlT_T0_E_clISt17integral_constantIbLb0EES11_EEDaSW_SX_EUlSW_E_NS1_11comp_targetILNS1_3genE10ELNS1_11target_archE1200ELNS1_3gpuE4ELNS1_3repE0EEENS1_30default_config_static_selectorELNS0_4arch9wavefront6targetE1EEEvT1_
                                        ; -- End function
	.section	.AMDGPU.csdata,"",@progbits
; Kernel info:
; codeLenInByte = 0
; NumSgprs: 4
; NumVgprs: 0
; NumAgprs: 0
; TotalNumVgprs: 0
; ScratchSize: 0
; MemoryBound: 0
; FloatMode: 240
; IeeeMode: 1
; LDSByteSize: 0 bytes/workgroup (compile time only)
; SGPRBlocks: 0
; VGPRBlocks: 0
; NumSGPRsForWavesPerEU: 4
; NumVGPRsForWavesPerEU: 1
; AccumOffset: 4
; Occupancy: 8
; WaveLimiterHint : 0
; COMPUTE_PGM_RSRC2:SCRATCH_EN: 0
; COMPUTE_PGM_RSRC2:USER_SGPR: 6
; COMPUTE_PGM_RSRC2:TRAP_HANDLER: 0
; COMPUTE_PGM_RSRC2:TGID_X_EN: 1
; COMPUTE_PGM_RSRC2:TGID_Y_EN: 0
; COMPUTE_PGM_RSRC2:TGID_Z_EN: 0
; COMPUTE_PGM_RSRC2:TIDIG_COMP_CNT: 0
; COMPUTE_PGM_RSRC3_GFX90A:ACCUM_OFFSET: 0
; COMPUTE_PGM_RSRC3_GFX90A:TG_SPLIT: 0
	.section	.text._ZN7rocprim17ROCPRIM_400000_NS6detail17trampoline_kernelINS0_14default_configENS1_29reduce_by_key_config_selectorIttN6thrust23THRUST_200600_302600_NS4plusItEEEEZZNS1_33reduce_by_key_impl_wrapped_configILNS1_25lookback_scan_determinismE0ES3_S9_NS6_6detail15normal_iteratorINS6_10device_ptrItEEEESG_SG_SG_PmS8_22is_equal_div_10_reduceItEEE10hipError_tPvRmT2_T3_mT4_T5_T6_T7_T8_P12ihipStream_tbENKUlT_T0_E_clISt17integral_constantIbLb0EES11_EEDaSW_SX_EUlSW_E_NS1_11comp_targetILNS1_3genE9ELNS1_11target_archE1100ELNS1_3gpuE3ELNS1_3repE0EEENS1_30default_config_static_selectorELNS0_4arch9wavefront6targetE1EEEvT1_,"axG",@progbits,_ZN7rocprim17ROCPRIM_400000_NS6detail17trampoline_kernelINS0_14default_configENS1_29reduce_by_key_config_selectorIttN6thrust23THRUST_200600_302600_NS4plusItEEEEZZNS1_33reduce_by_key_impl_wrapped_configILNS1_25lookback_scan_determinismE0ES3_S9_NS6_6detail15normal_iteratorINS6_10device_ptrItEEEESG_SG_SG_PmS8_22is_equal_div_10_reduceItEEE10hipError_tPvRmT2_T3_mT4_T5_T6_T7_T8_P12ihipStream_tbENKUlT_T0_E_clISt17integral_constantIbLb0EES11_EEDaSW_SX_EUlSW_E_NS1_11comp_targetILNS1_3genE9ELNS1_11target_archE1100ELNS1_3gpuE3ELNS1_3repE0EEENS1_30default_config_static_selectorELNS0_4arch9wavefront6targetE1EEEvT1_,comdat
	.protected	_ZN7rocprim17ROCPRIM_400000_NS6detail17trampoline_kernelINS0_14default_configENS1_29reduce_by_key_config_selectorIttN6thrust23THRUST_200600_302600_NS4plusItEEEEZZNS1_33reduce_by_key_impl_wrapped_configILNS1_25lookback_scan_determinismE0ES3_S9_NS6_6detail15normal_iteratorINS6_10device_ptrItEEEESG_SG_SG_PmS8_22is_equal_div_10_reduceItEEE10hipError_tPvRmT2_T3_mT4_T5_T6_T7_T8_P12ihipStream_tbENKUlT_T0_E_clISt17integral_constantIbLb0EES11_EEDaSW_SX_EUlSW_E_NS1_11comp_targetILNS1_3genE9ELNS1_11target_archE1100ELNS1_3gpuE3ELNS1_3repE0EEENS1_30default_config_static_selectorELNS0_4arch9wavefront6targetE1EEEvT1_ ; -- Begin function _ZN7rocprim17ROCPRIM_400000_NS6detail17trampoline_kernelINS0_14default_configENS1_29reduce_by_key_config_selectorIttN6thrust23THRUST_200600_302600_NS4plusItEEEEZZNS1_33reduce_by_key_impl_wrapped_configILNS1_25lookback_scan_determinismE0ES3_S9_NS6_6detail15normal_iteratorINS6_10device_ptrItEEEESG_SG_SG_PmS8_22is_equal_div_10_reduceItEEE10hipError_tPvRmT2_T3_mT4_T5_T6_T7_T8_P12ihipStream_tbENKUlT_T0_E_clISt17integral_constantIbLb0EES11_EEDaSW_SX_EUlSW_E_NS1_11comp_targetILNS1_3genE9ELNS1_11target_archE1100ELNS1_3gpuE3ELNS1_3repE0EEENS1_30default_config_static_selectorELNS0_4arch9wavefront6targetE1EEEvT1_
	.globl	_ZN7rocprim17ROCPRIM_400000_NS6detail17trampoline_kernelINS0_14default_configENS1_29reduce_by_key_config_selectorIttN6thrust23THRUST_200600_302600_NS4plusItEEEEZZNS1_33reduce_by_key_impl_wrapped_configILNS1_25lookback_scan_determinismE0ES3_S9_NS6_6detail15normal_iteratorINS6_10device_ptrItEEEESG_SG_SG_PmS8_22is_equal_div_10_reduceItEEE10hipError_tPvRmT2_T3_mT4_T5_T6_T7_T8_P12ihipStream_tbENKUlT_T0_E_clISt17integral_constantIbLb0EES11_EEDaSW_SX_EUlSW_E_NS1_11comp_targetILNS1_3genE9ELNS1_11target_archE1100ELNS1_3gpuE3ELNS1_3repE0EEENS1_30default_config_static_selectorELNS0_4arch9wavefront6targetE1EEEvT1_
	.p2align	8
	.type	_ZN7rocprim17ROCPRIM_400000_NS6detail17trampoline_kernelINS0_14default_configENS1_29reduce_by_key_config_selectorIttN6thrust23THRUST_200600_302600_NS4plusItEEEEZZNS1_33reduce_by_key_impl_wrapped_configILNS1_25lookback_scan_determinismE0ES3_S9_NS6_6detail15normal_iteratorINS6_10device_ptrItEEEESG_SG_SG_PmS8_22is_equal_div_10_reduceItEEE10hipError_tPvRmT2_T3_mT4_T5_T6_T7_T8_P12ihipStream_tbENKUlT_T0_E_clISt17integral_constantIbLb0EES11_EEDaSW_SX_EUlSW_E_NS1_11comp_targetILNS1_3genE9ELNS1_11target_archE1100ELNS1_3gpuE3ELNS1_3repE0EEENS1_30default_config_static_selectorELNS0_4arch9wavefront6targetE1EEEvT1_,@function
_ZN7rocprim17ROCPRIM_400000_NS6detail17trampoline_kernelINS0_14default_configENS1_29reduce_by_key_config_selectorIttN6thrust23THRUST_200600_302600_NS4plusItEEEEZZNS1_33reduce_by_key_impl_wrapped_configILNS1_25lookback_scan_determinismE0ES3_S9_NS6_6detail15normal_iteratorINS6_10device_ptrItEEEESG_SG_SG_PmS8_22is_equal_div_10_reduceItEEE10hipError_tPvRmT2_T3_mT4_T5_T6_T7_T8_P12ihipStream_tbENKUlT_T0_E_clISt17integral_constantIbLb0EES11_EEDaSW_SX_EUlSW_E_NS1_11comp_targetILNS1_3genE9ELNS1_11target_archE1100ELNS1_3gpuE3ELNS1_3repE0EEENS1_30default_config_static_selectorELNS0_4arch9wavefront6targetE1EEEvT1_: ; @_ZN7rocprim17ROCPRIM_400000_NS6detail17trampoline_kernelINS0_14default_configENS1_29reduce_by_key_config_selectorIttN6thrust23THRUST_200600_302600_NS4plusItEEEEZZNS1_33reduce_by_key_impl_wrapped_configILNS1_25lookback_scan_determinismE0ES3_S9_NS6_6detail15normal_iteratorINS6_10device_ptrItEEEESG_SG_SG_PmS8_22is_equal_div_10_reduceItEEE10hipError_tPvRmT2_T3_mT4_T5_T6_T7_T8_P12ihipStream_tbENKUlT_T0_E_clISt17integral_constantIbLb0EES11_EEDaSW_SX_EUlSW_E_NS1_11comp_targetILNS1_3genE9ELNS1_11target_archE1100ELNS1_3gpuE3ELNS1_3repE0EEENS1_30default_config_static_selectorELNS0_4arch9wavefront6targetE1EEEvT1_
; %bb.0:
	.section	.rodata,"a",@progbits
	.p2align	6, 0x0
	.amdhsa_kernel _ZN7rocprim17ROCPRIM_400000_NS6detail17trampoline_kernelINS0_14default_configENS1_29reduce_by_key_config_selectorIttN6thrust23THRUST_200600_302600_NS4plusItEEEEZZNS1_33reduce_by_key_impl_wrapped_configILNS1_25lookback_scan_determinismE0ES3_S9_NS6_6detail15normal_iteratorINS6_10device_ptrItEEEESG_SG_SG_PmS8_22is_equal_div_10_reduceItEEE10hipError_tPvRmT2_T3_mT4_T5_T6_T7_T8_P12ihipStream_tbENKUlT_T0_E_clISt17integral_constantIbLb0EES11_EEDaSW_SX_EUlSW_E_NS1_11comp_targetILNS1_3genE9ELNS1_11target_archE1100ELNS1_3gpuE3ELNS1_3repE0EEENS1_30default_config_static_selectorELNS0_4arch9wavefront6targetE1EEEvT1_
		.amdhsa_group_segment_fixed_size 0
		.amdhsa_private_segment_fixed_size 0
		.amdhsa_kernarg_size 120
		.amdhsa_user_sgpr_count 6
		.amdhsa_user_sgpr_private_segment_buffer 1
		.amdhsa_user_sgpr_dispatch_ptr 0
		.amdhsa_user_sgpr_queue_ptr 0
		.amdhsa_user_sgpr_kernarg_segment_ptr 1
		.amdhsa_user_sgpr_dispatch_id 0
		.amdhsa_user_sgpr_flat_scratch_init 0
		.amdhsa_user_sgpr_kernarg_preload_length 0
		.amdhsa_user_sgpr_kernarg_preload_offset 0
		.amdhsa_user_sgpr_private_segment_size 0
		.amdhsa_uses_dynamic_stack 0
		.amdhsa_system_sgpr_private_segment_wavefront_offset 0
		.amdhsa_system_sgpr_workgroup_id_x 1
		.amdhsa_system_sgpr_workgroup_id_y 0
		.amdhsa_system_sgpr_workgroup_id_z 0
		.amdhsa_system_sgpr_workgroup_info 0
		.amdhsa_system_vgpr_workitem_id 0
		.amdhsa_next_free_vgpr 1
		.amdhsa_next_free_sgpr 0
		.amdhsa_accum_offset 4
		.amdhsa_reserve_vcc 0
		.amdhsa_reserve_flat_scratch 0
		.amdhsa_float_round_mode_32 0
		.amdhsa_float_round_mode_16_64 0
		.amdhsa_float_denorm_mode_32 3
		.amdhsa_float_denorm_mode_16_64 3
		.amdhsa_dx10_clamp 1
		.amdhsa_ieee_mode 1
		.amdhsa_fp16_overflow 0
		.amdhsa_tg_split 0
		.amdhsa_exception_fp_ieee_invalid_op 0
		.amdhsa_exception_fp_denorm_src 0
		.amdhsa_exception_fp_ieee_div_zero 0
		.amdhsa_exception_fp_ieee_overflow 0
		.amdhsa_exception_fp_ieee_underflow 0
		.amdhsa_exception_fp_ieee_inexact 0
		.amdhsa_exception_int_div_zero 0
	.end_amdhsa_kernel
	.section	.text._ZN7rocprim17ROCPRIM_400000_NS6detail17trampoline_kernelINS0_14default_configENS1_29reduce_by_key_config_selectorIttN6thrust23THRUST_200600_302600_NS4plusItEEEEZZNS1_33reduce_by_key_impl_wrapped_configILNS1_25lookback_scan_determinismE0ES3_S9_NS6_6detail15normal_iteratorINS6_10device_ptrItEEEESG_SG_SG_PmS8_22is_equal_div_10_reduceItEEE10hipError_tPvRmT2_T3_mT4_T5_T6_T7_T8_P12ihipStream_tbENKUlT_T0_E_clISt17integral_constantIbLb0EES11_EEDaSW_SX_EUlSW_E_NS1_11comp_targetILNS1_3genE9ELNS1_11target_archE1100ELNS1_3gpuE3ELNS1_3repE0EEENS1_30default_config_static_selectorELNS0_4arch9wavefront6targetE1EEEvT1_,"axG",@progbits,_ZN7rocprim17ROCPRIM_400000_NS6detail17trampoline_kernelINS0_14default_configENS1_29reduce_by_key_config_selectorIttN6thrust23THRUST_200600_302600_NS4plusItEEEEZZNS1_33reduce_by_key_impl_wrapped_configILNS1_25lookback_scan_determinismE0ES3_S9_NS6_6detail15normal_iteratorINS6_10device_ptrItEEEESG_SG_SG_PmS8_22is_equal_div_10_reduceItEEE10hipError_tPvRmT2_T3_mT4_T5_T6_T7_T8_P12ihipStream_tbENKUlT_T0_E_clISt17integral_constantIbLb0EES11_EEDaSW_SX_EUlSW_E_NS1_11comp_targetILNS1_3genE9ELNS1_11target_archE1100ELNS1_3gpuE3ELNS1_3repE0EEENS1_30default_config_static_selectorELNS0_4arch9wavefront6targetE1EEEvT1_,comdat
.Lfunc_end438:
	.size	_ZN7rocprim17ROCPRIM_400000_NS6detail17trampoline_kernelINS0_14default_configENS1_29reduce_by_key_config_selectorIttN6thrust23THRUST_200600_302600_NS4plusItEEEEZZNS1_33reduce_by_key_impl_wrapped_configILNS1_25lookback_scan_determinismE0ES3_S9_NS6_6detail15normal_iteratorINS6_10device_ptrItEEEESG_SG_SG_PmS8_22is_equal_div_10_reduceItEEE10hipError_tPvRmT2_T3_mT4_T5_T6_T7_T8_P12ihipStream_tbENKUlT_T0_E_clISt17integral_constantIbLb0EES11_EEDaSW_SX_EUlSW_E_NS1_11comp_targetILNS1_3genE9ELNS1_11target_archE1100ELNS1_3gpuE3ELNS1_3repE0EEENS1_30default_config_static_selectorELNS0_4arch9wavefront6targetE1EEEvT1_, .Lfunc_end438-_ZN7rocprim17ROCPRIM_400000_NS6detail17trampoline_kernelINS0_14default_configENS1_29reduce_by_key_config_selectorIttN6thrust23THRUST_200600_302600_NS4plusItEEEEZZNS1_33reduce_by_key_impl_wrapped_configILNS1_25lookback_scan_determinismE0ES3_S9_NS6_6detail15normal_iteratorINS6_10device_ptrItEEEESG_SG_SG_PmS8_22is_equal_div_10_reduceItEEE10hipError_tPvRmT2_T3_mT4_T5_T6_T7_T8_P12ihipStream_tbENKUlT_T0_E_clISt17integral_constantIbLb0EES11_EEDaSW_SX_EUlSW_E_NS1_11comp_targetILNS1_3genE9ELNS1_11target_archE1100ELNS1_3gpuE3ELNS1_3repE0EEENS1_30default_config_static_selectorELNS0_4arch9wavefront6targetE1EEEvT1_
                                        ; -- End function
	.section	.AMDGPU.csdata,"",@progbits
; Kernel info:
; codeLenInByte = 0
; NumSgprs: 4
; NumVgprs: 0
; NumAgprs: 0
; TotalNumVgprs: 0
; ScratchSize: 0
; MemoryBound: 0
; FloatMode: 240
; IeeeMode: 1
; LDSByteSize: 0 bytes/workgroup (compile time only)
; SGPRBlocks: 0
; VGPRBlocks: 0
; NumSGPRsForWavesPerEU: 4
; NumVGPRsForWavesPerEU: 1
; AccumOffset: 4
; Occupancy: 8
; WaveLimiterHint : 0
; COMPUTE_PGM_RSRC2:SCRATCH_EN: 0
; COMPUTE_PGM_RSRC2:USER_SGPR: 6
; COMPUTE_PGM_RSRC2:TRAP_HANDLER: 0
; COMPUTE_PGM_RSRC2:TGID_X_EN: 1
; COMPUTE_PGM_RSRC2:TGID_Y_EN: 0
; COMPUTE_PGM_RSRC2:TGID_Z_EN: 0
; COMPUTE_PGM_RSRC2:TIDIG_COMP_CNT: 0
; COMPUTE_PGM_RSRC3_GFX90A:ACCUM_OFFSET: 0
; COMPUTE_PGM_RSRC3_GFX90A:TG_SPLIT: 0
	.section	.text._ZN7rocprim17ROCPRIM_400000_NS6detail17trampoline_kernelINS0_14default_configENS1_29reduce_by_key_config_selectorIttN6thrust23THRUST_200600_302600_NS4plusItEEEEZZNS1_33reduce_by_key_impl_wrapped_configILNS1_25lookback_scan_determinismE0ES3_S9_NS6_6detail15normal_iteratorINS6_10device_ptrItEEEESG_SG_SG_PmS8_22is_equal_div_10_reduceItEEE10hipError_tPvRmT2_T3_mT4_T5_T6_T7_T8_P12ihipStream_tbENKUlT_T0_E_clISt17integral_constantIbLb0EES11_EEDaSW_SX_EUlSW_E_NS1_11comp_targetILNS1_3genE8ELNS1_11target_archE1030ELNS1_3gpuE2ELNS1_3repE0EEENS1_30default_config_static_selectorELNS0_4arch9wavefront6targetE1EEEvT1_,"axG",@progbits,_ZN7rocprim17ROCPRIM_400000_NS6detail17trampoline_kernelINS0_14default_configENS1_29reduce_by_key_config_selectorIttN6thrust23THRUST_200600_302600_NS4plusItEEEEZZNS1_33reduce_by_key_impl_wrapped_configILNS1_25lookback_scan_determinismE0ES3_S9_NS6_6detail15normal_iteratorINS6_10device_ptrItEEEESG_SG_SG_PmS8_22is_equal_div_10_reduceItEEE10hipError_tPvRmT2_T3_mT4_T5_T6_T7_T8_P12ihipStream_tbENKUlT_T0_E_clISt17integral_constantIbLb0EES11_EEDaSW_SX_EUlSW_E_NS1_11comp_targetILNS1_3genE8ELNS1_11target_archE1030ELNS1_3gpuE2ELNS1_3repE0EEENS1_30default_config_static_selectorELNS0_4arch9wavefront6targetE1EEEvT1_,comdat
	.protected	_ZN7rocprim17ROCPRIM_400000_NS6detail17trampoline_kernelINS0_14default_configENS1_29reduce_by_key_config_selectorIttN6thrust23THRUST_200600_302600_NS4plusItEEEEZZNS1_33reduce_by_key_impl_wrapped_configILNS1_25lookback_scan_determinismE0ES3_S9_NS6_6detail15normal_iteratorINS6_10device_ptrItEEEESG_SG_SG_PmS8_22is_equal_div_10_reduceItEEE10hipError_tPvRmT2_T3_mT4_T5_T6_T7_T8_P12ihipStream_tbENKUlT_T0_E_clISt17integral_constantIbLb0EES11_EEDaSW_SX_EUlSW_E_NS1_11comp_targetILNS1_3genE8ELNS1_11target_archE1030ELNS1_3gpuE2ELNS1_3repE0EEENS1_30default_config_static_selectorELNS0_4arch9wavefront6targetE1EEEvT1_ ; -- Begin function _ZN7rocprim17ROCPRIM_400000_NS6detail17trampoline_kernelINS0_14default_configENS1_29reduce_by_key_config_selectorIttN6thrust23THRUST_200600_302600_NS4plusItEEEEZZNS1_33reduce_by_key_impl_wrapped_configILNS1_25lookback_scan_determinismE0ES3_S9_NS6_6detail15normal_iteratorINS6_10device_ptrItEEEESG_SG_SG_PmS8_22is_equal_div_10_reduceItEEE10hipError_tPvRmT2_T3_mT4_T5_T6_T7_T8_P12ihipStream_tbENKUlT_T0_E_clISt17integral_constantIbLb0EES11_EEDaSW_SX_EUlSW_E_NS1_11comp_targetILNS1_3genE8ELNS1_11target_archE1030ELNS1_3gpuE2ELNS1_3repE0EEENS1_30default_config_static_selectorELNS0_4arch9wavefront6targetE1EEEvT1_
	.globl	_ZN7rocprim17ROCPRIM_400000_NS6detail17trampoline_kernelINS0_14default_configENS1_29reduce_by_key_config_selectorIttN6thrust23THRUST_200600_302600_NS4plusItEEEEZZNS1_33reduce_by_key_impl_wrapped_configILNS1_25lookback_scan_determinismE0ES3_S9_NS6_6detail15normal_iteratorINS6_10device_ptrItEEEESG_SG_SG_PmS8_22is_equal_div_10_reduceItEEE10hipError_tPvRmT2_T3_mT4_T5_T6_T7_T8_P12ihipStream_tbENKUlT_T0_E_clISt17integral_constantIbLb0EES11_EEDaSW_SX_EUlSW_E_NS1_11comp_targetILNS1_3genE8ELNS1_11target_archE1030ELNS1_3gpuE2ELNS1_3repE0EEENS1_30default_config_static_selectorELNS0_4arch9wavefront6targetE1EEEvT1_
	.p2align	8
	.type	_ZN7rocprim17ROCPRIM_400000_NS6detail17trampoline_kernelINS0_14default_configENS1_29reduce_by_key_config_selectorIttN6thrust23THRUST_200600_302600_NS4plusItEEEEZZNS1_33reduce_by_key_impl_wrapped_configILNS1_25lookback_scan_determinismE0ES3_S9_NS6_6detail15normal_iteratorINS6_10device_ptrItEEEESG_SG_SG_PmS8_22is_equal_div_10_reduceItEEE10hipError_tPvRmT2_T3_mT4_T5_T6_T7_T8_P12ihipStream_tbENKUlT_T0_E_clISt17integral_constantIbLb0EES11_EEDaSW_SX_EUlSW_E_NS1_11comp_targetILNS1_3genE8ELNS1_11target_archE1030ELNS1_3gpuE2ELNS1_3repE0EEENS1_30default_config_static_selectorELNS0_4arch9wavefront6targetE1EEEvT1_,@function
_ZN7rocprim17ROCPRIM_400000_NS6detail17trampoline_kernelINS0_14default_configENS1_29reduce_by_key_config_selectorIttN6thrust23THRUST_200600_302600_NS4plusItEEEEZZNS1_33reduce_by_key_impl_wrapped_configILNS1_25lookback_scan_determinismE0ES3_S9_NS6_6detail15normal_iteratorINS6_10device_ptrItEEEESG_SG_SG_PmS8_22is_equal_div_10_reduceItEEE10hipError_tPvRmT2_T3_mT4_T5_T6_T7_T8_P12ihipStream_tbENKUlT_T0_E_clISt17integral_constantIbLb0EES11_EEDaSW_SX_EUlSW_E_NS1_11comp_targetILNS1_3genE8ELNS1_11target_archE1030ELNS1_3gpuE2ELNS1_3repE0EEENS1_30default_config_static_selectorELNS0_4arch9wavefront6targetE1EEEvT1_: ; @_ZN7rocprim17ROCPRIM_400000_NS6detail17trampoline_kernelINS0_14default_configENS1_29reduce_by_key_config_selectorIttN6thrust23THRUST_200600_302600_NS4plusItEEEEZZNS1_33reduce_by_key_impl_wrapped_configILNS1_25lookback_scan_determinismE0ES3_S9_NS6_6detail15normal_iteratorINS6_10device_ptrItEEEESG_SG_SG_PmS8_22is_equal_div_10_reduceItEEE10hipError_tPvRmT2_T3_mT4_T5_T6_T7_T8_P12ihipStream_tbENKUlT_T0_E_clISt17integral_constantIbLb0EES11_EEDaSW_SX_EUlSW_E_NS1_11comp_targetILNS1_3genE8ELNS1_11target_archE1030ELNS1_3gpuE2ELNS1_3repE0EEENS1_30default_config_static_selectorELNS0_4arch9wavefront6targetE1EEEvT1_
; %bb.0:
	.section	.rodata,"a",@progbits
	.p2align	6, 0x0
	.amdhsa_kernel _ZN7rocprim17ROCPRIM_400000_NS6detail17trampoline_kernelINS0_14default_configENS1_29reduce_by_key_config_selectorIttN6thrust23THRUST_200600_302600_NS4plusItEEEEZZNS1_33reduce_by_key_impl_wrapped_configILNS1_25lookback_scan_determinismE0ES3_S9_NS6_6detail15normal_iteratorINS6_10device_ptrItEEEESG_SG_SG_PmS8_22is_equal_div_10_reduceItEEE10hipError_tPvRmT2_T3_mT4_T5_T6_T7_T8_P12ihipStream_tbENKUlT_T0_E_clISt17integral_constantIbLb0EES11_EEDaSW_SX_EUlSW_E_NS1_11comp_targetILNS1_3genE8ELNS1_11target_archE1030ELNS1_3gpuE2ELNS1_3repE0EEENS1_30default_config_static_selectorELNS0_4arch9wavefront6targetE1EEEvT1_
		.amdhsa_group_segment_fixed_size 0
		.amdhsa_private_segment_fixed_size 0
		.amdhsa_kernarg_size 120
		.amdhsa_user_sgpr_count 6
		.amdhsa_user_sgpr_private_segment_buffer 1
		.amdhsa_user_sgpr_dispatch_ptr 0
		.amdhsa_user_sgpr_queue_ptr 0
		.amdhsa_user_sgpr_kernarg_segment_ptr 1
		.amdhsa_user_sgpr_dispatch_id 0
		.amdhsa_user_sgpr_flat_scratch_init 0
		.amdhsa_user_sgpr_kernarg_preload_length 0
		.amdhsa_user_sgpr_kernarg_preload_offset 0
		.amdhsa_user_sgpr_private_segment_size 0
		.amdhsa_uses_dynamic_stack 0
		.amdhsa_system_sgpr_private_segment_wavefront_offset 0
		.amdhsa_system_sgpr_workgroup_id_x 1
		.amdhsa_system_sgpr_workgroup_id_y 0
		.amdhsa_system_sgpr_workgroup_id_z 0
		.amdhsa_system_sgpr_workgroup_info 0
		.amdhsa_system_vgpr_workitem_id 0
		.amdhsa_next_free_vgpr 1
		.amdhsa_next_free_sgpr 0
		.amdhsa_accum_offset 4
		.amdhsa_reserve_vcc 0
		.amdhsa_reserve_flat_scratch 0
		.amdhsa_float_round_mode_32 0
		.amdhsa_float_round_mode_16_64 0
		.amdhsa_float_denorm_mode_32 3
		.amdhsa_float_denorm_mode_16_64 3
		.amdhsa_dx10_clamp 1
		.amdhsa_ieee_mode 1
		.amdhsa_fp16_overflow 0
		.amdhsa_tg_split 0
		.amdhsa_exception_fp_ieee_invalid_op 0
		.amdhsa_exception_fp_denorm_src 0
		.amdhsa_exception_fp_ieee_div_zero 0
		.amdhsa_exception_fp_ieee_overflow 0
		.amdhsa_exception_fp_ieee_underflow 0
		.amdhsa_exception_fp_ieee_inexact 0
		.amdhsa_exception_int_div_zero 0
	.end_amdhsa_kernel
	.section	.text._ZN7rocprim17ROCPRIM_400000_NS6detail17trampoline_kernelINS0_14default_configENS1_29reduce_by_key_config_selectorIttN6thrust23THRUST_200600_302600_NS4plusItEEEEZZNS1_33reduce_by_key_impl_wrapped_configILNS1_25lookback_scan_determinismE0ES3_S9_NS6_6detail15normal_iteratorINS6_10device_ptrItEEEESG_SG_SG_PmS8_22is_equal_div_10_reduceItEEE10hipError_tPvRmT2_T3_mT4_T5_T6_T7_T8_P12ihipStream_tbENKUlT_T0_E_clISt17integral_constantIbLb0EES11_EEDaSW_SX_EUlSW_E_NS1_11comp_targetILNS1_3genE8ELNS1_11target_archE1030ELNS1_3gpuE2ELNS1_3repE0EEENS1_30default_config_static_selectorELNS0_4arch9wavefront6targetE1EEEvT1_,"axG",@progbits,_ZN7rocprim17ROCPRIM_400000_NS6detail17trampoline_kernelINS0_14default_configENS1_29reduce_by_key_config_selectorIttN6thrust23THRUST_200600_302600_NS4plusItEEEEZZNS1_33reduce_by_key_impl_wrapped_configILNS1_25lookback_scan_determinismE0ES3_S9_NS6_6detail15normal_iteratorINS6_10device_ptrItEEEESG_SG_SG_PmS8_22is_equal_div_10_reduceItEEE10hipError_tPvRmT2_T3_mT4_T5_T6_T7_T8_P12ihipStream_tbENKUlT_T0_E_clISt17integral_constantIbLb0EES11_EEDaSW_SX_EUlSW_E_NS1_11comp_targetILNS1_3genE8ELNS1_11target_archE1030ELNS1_3gpuE2ELNS1_3repE0EEENS1_30default_config_static_selectorELNS0_4arch9wavefront6targetE1EEEvT1_,comdat
.Lfunc_end439:
	.size	_ZN7rocprim17ROCPRIM_400000_NS6detail17trampoline_kernelINS0_14default_configENS1_29reduce_by_key_config_selectorIttN6thrust23THRUST_200600_302600_NS4plusItEEEEZZNS1_33reduce_by_key_impl_wrapped_configILNS1_25lookback_scan_determinismE0ES3_S9_NS6_6detail15normal_iteratorINS6_10device_ptrItEEEESG_SG_SG_PmS8_22is_equal_div_10_reduceItEEE10hipError_tPvRmT2_T3_mT4_T5_T6_T7_T8_P12ihipStream_tbENKUlT_T0_E_clISt17integral_constantIbLb0EES11_EEDaSW_SX_EUlSW_E_NS1_11comp_targetILNS1_3genE8ELNS1_11target_archE1030ELNS1_3gpuE2ELNS1_3repE0EEENS1_30default_config_static_selectorELNS0_4arch9wavefront6targetE1EEEvT1_, .Lfunc_end439-_ZN7rocprim17ROCPRIM_400000_NS6detail17trampoline_kernelINS0_14default_configENS1_29reduce_by_key_config_selectorIttN6thrust23THRUST_200600_302600_NS4plusItEEEEZZNS1_33reduce_by_key_impl_wrapped_configILNS1_25lookback_scan_determinismE0ES3_S9_NS6_6detail15normal_iteratorINS6_10device_ptrItEEEESG_SG_SG_PmS8_22is_equal_div_10_reduceItEEE10hipError_tPvRmT2_T3_mT4_T5_T6_T7_T8_P12ihipStream_tbENKUlT_T0_E_clISt17integral_constantIbLb0EES11_EEDaSW_SX_EUlSW_E_NS1_11comp_targetILNS1_3genE8ELNS1_11target_archE1030ELNS1_3gpuE2ELNS1_3repE0EEENS1_30default_config_static_selectorELNS0_4arch9wavefront6targetE1EEEvT1_
                                        ; -- End function
	.section	.AMDGPU.csdata,"",@progbits
; Kernel info:
; codeLenInByte = 0
; NumSgprs: 4
; NumVgprs: 0
; NumAgprs: 0
; TotalNumVgprs: 0
; ScratchSize: 0
; MemoryBound: 0
; FloatMode: 240
; IeeeMode: 1
; LDSByteSize: 0 bytes/workgroup (compile time only)
; SGPRBlocks: 0
; VGPRBlocks: 0
; NumSGPRsForWavesPerEU: 4
; NumVGPRsForWavesPerEU: 1
; AccumOffset: 4
; Occupancy: 8
; WaveLimiterHint : 0
; COMPUTE_PGM_RSRC2:SCRATCH_EN: 0
; COMPUTE_PGM_RSRC2:USER_SGPR: 6
; COMPUTE_PGM_RSRC2:TRAP_HANDLER: 0
; COMPUTE_PGM_RSRC2:TGID_X_EN: 1
; COMPUTE_PGM_RSRC2:TGID_Y_EN: 0
; COMPUTE_PGM_RSRC2:TGID_Z_EN: 0
; COMPUTE_PGM_RSRC2:TIDIG_COMP_CNT: 0
; COMPUTE_PGM_RSRC3_GFX90A:ACCUM_OFFSET: 0
; COMPUTE_PGM_RSRC3_GFX90A:TG_SPLIT: 0
	.section	.text._ZN7rocprim17ROCPRIM_400000_NS6detail17trampoline_kernelINS0_14default_configENS1_29reduce_by_key_config_selectorIttN6thrust23THRUST_200600_302600_NS4plusItEEEEZZNS1_33reduce_by_key_impl_wrapped_configILNS1_25lookback_scan_determinismE0ES3_S9_NS6_6detail15normal_iteratorINS6_10device_ptrItEEEESG_SG_SG_PmS8_22is_equal_div_10_reduceItEEE10hipError_tPvRmT2_T3_mT4_T5_T6_T7_T8_P12ihipStream_tbENKUlT_T0_E_clISt17integral_constantIbLb1EES11_EEDaSW_SX_EUlSW_E_NS1_11comp_targetILNS1_3genE0ELNS1_11target_archE4294967295ELNS1_3gpuE0ELNS1_3repE0EEENS1_30default_config_static_selectorELNS0_4arch9wavefront6targetE1EEEvT1_,"axG",@progbits,_ZN7rocprim17ROCPRIM_400000_NS6detail17trampoline_kernelINS0_14default_configENS1_29reduce_by_key_config_selectorIttN6thrust23THRUST_200600_302600_NS4plusItEEEEZZNS1_33reduce_by_key_impl_wrapped_configILNS1_25lookback_scan_determinismE0ES3_S9_NS6_6detail15normal_iteratorINS6_10device_ptrItEEEESG_SG_SG_PmS8_22is_equal_div_10_reduceItEEE10hipError_tPvRmT2_T3_mT4_T5_T6_T7_T8_P12ihipStream_tbENKUlT_T0_E_clISt17integral_constantIbLb1EES11_EEDaSW_SX_EUlSW_E_NS1_11comp_targetILNS1_3genE0ELNS1_11target_archE4294967295ELNS1_3gpuE0ELNS1_3repE0EEENS1_30default_config_static_selectorELNS0_4arch9wavefront6targetE1EEEvT1_,comdat
	.protected	_ZN7rocprim17ROCPRIM_400000_NS6detail17trampoline_kernelINS0_14default_configENS1_29reduce_by_key_config_selectorIttN6thrust23THRUST_200600_302600_NS4plusItEEEEZZNS1_33reduce_by_key_impl_wrapped_configILNS1_25lookback_scan_determinismE0ES3_S9_NS6_6detail15normal_iteratorINS6_10device_ptrItEEEESG_SG_SG_PmS8_22is_equal_div_10_reduceItEEE10hipError_tPvRmT2_T3_mT4_T5_T6_T7_T8_P12ihipStream_tbENKUlT_T0_E_clISt17integral_constantIbLb1EES11_EEDaSW_SX_EUlSW_E_NS1_11comp_targetILNS1_3genE0ELNS1_11target_archE4294967295ELNS1_3gpuE0ELNS1_3repE0EEENS1_30default_config_static_selectorELNS0_4arch9wavefront6targetE1EEEvT1_ ; -- Begin function _ZN7rocprim17ROCPRIM_400000_NS6detail17trampoline_kernelINS0_14default_configENS1_29reduce_by_key_config_selectorIttN6thrust23THRUST_200600_302600_NS4plusItEEEEZZNS1_33reduce_by_key_impl_wrapped_configILNS1_25lookback_scan_determinismE0ES3_S9_NS6_6detail15normal_iteratorINS6_10device_ptrItEEEESG_SG_SG_PmS8_22is_equal_div_10_reduceItEEE10hipError_tPvRmT2_T3_mT4_T5_T6_T7_T8_P12ihipStream_tbENKUlT_T0_E_clISt17integral_constantIbLb1EES11_EEDaSW_SX_EUlSW_E_NS1_11comp_targetILNS1_3genE0ELNS1_11target_archE4294967295ELNS1_3gpuE0ELNS1_3repE0EEENS1_30default_config_static_selectorELNS0_4arch9wavefront6targetE1EEEvT1_
	.globl	_ZN7rocprim17ROCPRIM_400000_NS6detail17trampoline_kernelINS0_14default_configENS1_29reduce_by_key_config_selectorIttN6thrust23THRUST_200600_302600_NS4plusItEEEEZZNS1_33reduce_by_key_impl_wrapped_configILNS1_25lookback_scan_determinismE0ES3_S9_NS6_6detail15normal_iteratorINS6_10device_ptrItEEEESG_SG_SG_PmS8_22is_equal_div_10_reduceItEEE10hipError_tPvRmT2_T3_mT4_T5_T6_T7_T8_P12ihipStream_tbENKUlT_T0_E_clISt17integral_constantIbLb1EES11_EEDaSW_SX_EUlSW_E_NS1_11comp_targetILNS1_3genE0ELNS1_11target_archE4294967295ELNS1_3gpuE0ELNS1_3repE0EEENS1_30default_config_static_selectorELNS0_4arch9wavefront6targetE1EEEvT1_
	.p2align	8
	.type	_ZN7rocprim17ROCPRIM_400000_NS6detail17trampoline_kernelINS0_14default_configENS1_29reduce_by_key_config_selectorIttN6thrust23THRUST_200600_302600_NS4plusItEEEEZZNS1_33reduce_by_key_impl_wrapped_configILNS1_25lookback_scan_determinismE0ES3_S9_NS6_6detail15normal_iteratorINS6_10device_ptrItEEEESG_SG_SG_PmS8_22is_equal_div_10_reduceItEEE10hipError_tPvRmT2_T3_mT4_T5_T6_T7_T8_P12ihipStream_tbENKUlT_T0_E_clISt17integral_constantIbLb1EES11_EEDaSW_SX_EUlSW_E_NS1_11comp_targetILNS1_3genE0ELNS1_11target_archE4294967295ELNS1_3gpuE0ELNS1_3repE0EEENS1_30default_config_static_selectorELNS0_4arch9wavefront6targetE1EEEvT1_,@function
_ZN7rocprim17ROCPRIM_400000_NS6detail17trampoline_kernelINS0_14default_configENS1_29reduce_by_key_config_selectorIttN6thrust23THRUST_200600_302600_NS4plusItEEEEZZNS1_33reduce_by_key_impl_wrapped_configILNS1_25lookback_scan_determinismE0ES3_S9_NS6_6detail15normal_iteratorINS6_10device_ptrItEEEESG_SG_SG_PmS8_22is_equal_div_10_reduceItEEE10hipError_tPvRmT2_T3_mT4_T5_T6_T7_T8_P12ihipStream_tbENKUlT_T0_E_clISt17integral_constantIbLb1EES11_EEDaSW_SX_EUlSW_E_NS1_11comp_targetILNS1_3genE0ELNS1_11target_archE4294967295ELNS1_3gpuE0ELNS1_3repE0EEENS1_30default_config_static_selectorELNS0_4arch9wavefront6targetE1EEEvT1_: ; @_ZN7rocprim17ROCPRIM_400000_NS6detail17trampoline_kernelINS0_14default_configENS1_29reduce_by_key_config_selectorIttN6thrust23THRUST_200600_302600_NS4plusItEEEEZZNS1_33reduce_by_key_impl_wrapped_configILNS1_25lookback_scan_determinismE0ES3_S9_NS6_6detail15normal_iteratorINS6_10device_ptrItEEEESG_SG_SG_PmS8_22is_equal_div_10_reduceItEEE10hipError_tPvRmT2_T3_mT4_T5_T6_T7_T8_P12ihipStream_tbENKUlT_T0_E_clISt17integral_constantIbLb1EES11_EEDaSW_SX_EUlSW_E_NS1_11comp_targetILNS1_3genE0ELNS1_11target_archE4294967295ELNS1_3gpuE0ELNS1_3repE0EEENS1_30default_config_static_selectorELNS0_4arch9wavefront6targetE1EEEvT1_
; %bb.0:
	.section	.rodata,"a",@progbits
	.p2align	6, 0x0
	.amdhsa_kernel _ZN7rocprim17ROCPRIM_400000_NS6detail17trampoline_kernelINS0_14default_configENS1_29reduce_by_key_config_selectorIttN6thrust23THRUST_200600_302600_NS4plusItEEEEZZNS1_33reduce_by_key_impl_wrapped_configILNS1_25lookback_scan_determinismE0ES3_S9_NS6_6detail15normal_iteratorINS6_10device_ptrItEEEESG_SG_SG_PmS8_22is_equal_div_10_reduceItEEE10hipError_tPvRmT2_T3_mT4_T5_T6_T7_T8_P12ihipStream_tbENKUlT_T0_E_clISt17integral_constantIbLb1EES11_EEDaSW_SX_EUlSW_E_NS1_11comp_targetILNS1_3genE0ELNS1_11target_archE4294967295ELNS1_3gpuE0ELNS1_3repE0EEENS1_30default_config_static_selectorELNS0_4arch9wavefront6targetE1EEEvT1_
		.amdhsa_group_segment_fixed_size 0
		.amdhsa_private_segment_fixed_size 0
		.amdhsa_kernarg_size 120
		.amdhsa_user_sgpr_count 6
		.amdhsa_user_sgpr_private_segment_buffer 1
		.amdhsa_user_sgpr_dispatch_ptr 0
		.amdhsa_user_sgpr_queue_ptr 0
		.amdhsa_user_sgpr_kernarg_segment_ptr 1
		.amdhsa_user_sgpr_dispatch_id 0
		.amdhsa_user_sgpr_flat_scratch_init 0
		.amdhsa_user_sgpr_kernarg_preload_length 0
		.amdhsa_user_sgpr_kernarg_preload_offset 0
		.amdhsa_user_sgpr_private_segment_size 0
		.amdhsa_uses_dynamic_stack 0
		.amdhsa_system_sgpr_private_segment_wavefront_offset 0
		.amdhsa_system_sgpr_workgroup_id_x 1
		.amdhsa_system_sgpr_workgroup_id_y 0
		.amdhsa_system_sgpr_workgroup_id_z 0
		.amdhsa_system_sgpr_workgroup_info 0
		.amdhsa_system_vgpr_workitem_id 0
		.amdhsa_next_free_vgpr 1
		.amdhsa_next_free_sgpr 0
		.amdhsa_accum_offset 4
		.amdhsa_reserve_vcc 0
		.amdhsa_reserve_flat_scratch 0
		.amdhsa_float_round_mode_32 0
		.amdhsa_float_round_mode_16_64 0
		.amdhsa_float_denorm_mode_32 3
		.amdhsa_float_denorm_mode_16_64 3
		.amdhsa_dx10_clamp 1
		.amdhsa_ieee_mode 1
		.amdhsa_fp16_overflow 0
		.amdhsa_tg_split 0
		.amdhsa_exception_fp_ieee_invalid_op 0
		.amdhsa_exception_fp_denorm_src 0
		.amdhsa_exception_fp_ieee_div_zero 0
		.amdhsa_exception_fp_ieee_overflow 0
		.amdhsa_exception_fp_ieee_underflow 0
		.amdhsa_exception_fp_ieee_inexact 0
		.amdhsa_exception_int_div_zero 0
	.end_amdhsa_kernel
	.section	.text._ZN7rocprim17ROCPRIM_400000_NS6detail17trampoline_kernelINS0_14default_configENS1_29reduce_by_key_config_selectorIttN6thrust23THRUST_200600_302600_NS4plusItEEEEZZNS1_33reduce_by_key_impl_wrapped_configILNS1_25lookback_scan_determinismE0ES3_S9_NS6_6detail15normal_iteratorINS6_10device_ptrItEEEESG_SG_SG_PmS8_22is_equal_div_10_reduceItEEE10hipError_tPvRmT2_T3_mT4_T5_T6_T7_T8_P12ihipStream_tbENKUlT_T0_E_clISt17integral_constantIbLb1EES11_EEDaSW_SX_EUlSW_E_NS1_11comp_targetILNS1_3genE0ELNS1_11target_archE4294967295ELNS1_3gpuE0ELNS1_3repE0EEENS1_30default_config_static_selectorELNS0_4arch9wavefront6targetE1EEEvT1_,"axG",@progbits,_ZN7rocprim17ROCPRIM_400000_NS6detail17trampoline_kernelINS0_14default_configENS1_29reduce_by_key_config_selectorIttN6thrust23THRUST_200600_302600_NS4plusItEEEEZZNS1_33reduce_by_key_impl_wrapped_configILNS1_25lookback_scan_determinismE0ES3_S9_NS6_6detail15normal_iteratorINS6_10device_ptrItEEEESG_SG_SG_PmS8_22is_equal_div_10_reduceItEEE10hipError_tPvRmT2_T3_mT4_T5_T6_T7_T8_P12ihipStream_tbENKUlT_T0_E_clISt17integral_constantIbLb1EES11_EEDaSW_SX_EUlSW_E_NS1_11comp_targetILNS1_3genE0ELNS1_11target_archE4294967295ELNS1_3gpuE0ELNS1_3repE0EEENS1_30default_config_static_selectorELNS0_4arch9wavefront6targetE1EEEvT1_,comdat
.Lfunc_end440:
	.size	_ZN7rocprim17ROCPRIM_400000_NS6detail17trampoline_kernelINS0_14default_configENS1_29reduce_by_key_config_selectorIttN6thrust23THRUST_200600_302600_NS4plusItEEEEZZNS1_33reduce_by_key_impl_wrapped_configILNS1_25lookback_scan_determinismE0ES3_S9_NS6_6detail15normal_iteratorINS6_10device_ptrItEEEESG_SG_SG_PmS8_22is_equal_div_10_reduceItEEE10hipError_tPvRmT2_T3_mT4_T5_T6_T7_T8_P12ihipStream_tbENKUlT_T0_E_clISt17integral_constantIbLb1EES11_EEDaSW_SX_EUlSW_E_NS1_11comp_targetILNS1_3genE0ELNS1_11target_archE4294967295ELNS1_3gpuE0ELNS1_3repE0EEENS1_30default_config_static_selectorELNS0_4arch9wavefront6targetE1EEEvT1_, .Lfunc_end440-_ZN7rocprim17ROCPRIM_400000_NS6detail17trampoline_kernelINS0_14default_configENS1_29reduce_by_key_config_selectorIttN6thrust23THRUST_200600_302600_NS4plusItEEEEZZNS1_33reduce_by_key_impl_wrapped_configILNS1_25lookback_scan_determinismE0ES3_S9_NS6_6detail15normal_iteratorINS6_10device_ptrItEEEESG_SG_SG_PmS8_22is_equal_div_10_reduceItEEE10hipError_tPvRmT2_T3_mT4_T5_T6_T7_T8_P12ihipStream_tbENKUlT_T0_E_clISt17integral_constantIbLb1EES11_EEDaSW_SX_EUlSW_E_NS1_11comp_targetILNS1_3genE0ELNS1_11target_archE4294967295ELNS1_3gpuE0ELNS1_3repE0EEENS1_30default_config_static_selectorELNS0_4arch9wavefront6targetE1EEEvT1_
                                        ; -- End function
	.section	.AMDGPU.csdata,"",@progbits
; Kernel info:
; codeLenInByte = 0
; NumSgprs: 4
; NumVgprs: 0
; NumAgprs: 0
; TotalNumVgprs: 0
; ScratchSize: 0
; MemoryBound: 0
; FloatMode: 240
; IeeeMode: 1
; LDSByteSize: 0 bytes/workgroup (compile time only)
; SGPRBlocks: 0
; VGPRBlocks: 0
; NumSGPRsForWavesPerEU: 4
; NumVGPRsForWavesPerEU: 1
; AccumOffset: 4
; Occupancy: 8
; WaveLimiterHint : 0
; COMPUTE_PGM_RSRC2:SCRATCH_EN: 0
; COMPUTE_PGM_RSRC2:USER_SGPR: 6
; COMPUTE_PGM_RSRC2:TRAP_HANDLER: 0
; COMPUTE_PGM_RSRC2:TGID_X_EN: 1
; COMPUTE_PGM_RSRC2:TGID_Y_EN: 0
; COMPUTE_PGM_RSRC2:TGID_Z_EN: 0
; COMPUTE_PGM_RSRC2:TIDIG_COMP_CNT: 0
; COMPUTE_PGM_RSRC3_GFX90A:ACCUM_OFFSET: 0
; COMPUTE_PGM_RSRC3_GFX90A:TG_SPLIT: 0
	.section	.text._ZN7rocprim17ROCPRIM_400000_NS6detail17trampoline_kernelINS0_14default_configENS1_29reduce_by_key_config_selectorIttN6thrust23THRUST_200600_302600_NS4plusItEEEEZZNS1_33reduce_by_key_impl_wrapped_configILNS1_25lookback_scan_determinismE0ES3_S9_NS6_6detail15normal_iteratorINS6_10device_ptrItEEEESG_SG_SG_PmS8_22is_equal_div_10_reduceItEEE10hipError_tPvRmT2_T3_mT4_T5_T6_T7_T8_P12ihipStream_tbENKUlT_T0_E_clISt17integral_constantIbLb1EES11_EEDaSW_SX_EUlSW_E_NS1_11comp_targetILNS1_3genE5ELNS1_11target_archE942ELNS1_3gpuE9ELNS1_3repE0EEENS1_30default_config_static_selectorELNS0_4arch9wavefront6targetE1EEEvT1_,"axG",@progbits,_ZN7rocprim17ROCPRIM_400000_NS6detail17trampoline_kernelINS0_14default_configENS1_29reduce_by_key_config_selectorIttN6thrust23THRUST_200600_302600_NS4plusItEEEEZZNS1_33reduce_by_key_impl_wrapped_configILNS1_25lookback_scan_determinismE0ES3_S9_NS6_6detail15normal_iteratorINS6_10device_ptrItEEEESG_SG_SG_PmS8_22is_equal_div_10_reduceItEEE10hipError_tPvRmT2_T3_mT4_T5_T6_T7_T8_P12ihipStream_tbENKUlT_T0_E_clISt17integral_constantIbLb1EES11_EEDaSW_SX_EUlSW_E_NS1_11comp_targetILNS1_3genE5ELNS1_11target_archE942ELNS1_3gpuE9ELNS1_3repE0EEENS1_30default_config_static_selectorELNS0_4arch9wavefront6targetE1EEEvT1_,comdat
	.protected	_ZN7rocprim17ROCPRIM_400000_NS6detail17trampoline_kernelINS0_14default_configENS1_29reduce_by_key_config_selectorIttN6thrust23THRUST_200600_302600_NS4plusItEEEEZZNS1_33reduce_by_key_impl_wrapped_configILNS1_25lookback_scan_determinismE0ES3_S9_NS6_6detail15normal_iteratorINS6_10device_ptrItEEEESG_SG_SG_PmS8_22is_equal_div_10_reduceItEEE10hipError_tPvRmT2_T3_mT4_T5_T6_T7_T8_P12ihipStream_tbENKUlT_T0_E_clISt17integral_constantIbLb1EES11_EEDaSW_SX_EUlSW_E_NS1_11comp_targetILNS1_3genE5ELNS1_11target_archE942ELNS1_3gpuE9ELNS1_3repE0EEENS1_30default_config_static_selectorELNS0_4arch9wavefront6targetE1EEEvT1_ ; -- Begin function _ZN7rocprim17ROCPRIM_400000_NS6detail17trampoline_kernelINS0_14default_configENS1_29reduce_by_key_config_selectorIttN6thrust23THRUST_200600_302600_NS4plusItEEEEZZNS1_33reduce_by_key_impl_wrapped_configILNS1_25lookback_scan_determinismE0ES3_S9_NS6_6detail15normal_iteratorINS6_10device_ptrItEEEESG_SG_SG_PmS8_22is_equal_div_10_reduceItEEE10hipError_tPvRmT2_T3_mT4_T5_T6_T7_T8_P12ihipStream_tbENKUlT_T0_E_clISt17integral_constantIbLb1EES11_EEDaSW_SX_EUlSW_E_NS1_11comp_targetILNS1_3genE5ELNS1_11target_archE942ELNS1_3gpuE9ELNS1_3repE0EEENS1_30default_config_static_selectorELNS0_4arch9wavefront6targetE1EEEvT1_
	.globl	_ZN7rocprim17ROCPRIM_400000_NS6detail17trampoline_kernelINS0_14default_configENS1_29reduce_by_key_config_selectorIttN6thrust23THRUST_200600_302600_NS4plusItEEEEZZNS1_33reduce_by_key_impl_wrapped_configILNS1_25lookback_scan_determinismE0ES3_S9_NS6_6detail15normal_iteratorINS6_10device_ptrItEEEESG_SG_SG_PmS8_22is_equal_div_10_reduceItEEE10hipError_tPvRmT2_T3_mT4_T5_T6_T7_T8_P12ihipStream_tbENKUlT_T0_E_clISt17integral_constantIbLb1EES11_EEDaSW_SX_EUlSW_E_NS1_11comp_targetILNS1_3genE5ELNS1_11target_archE942ELNS1_3gpuE9ELNS1_3repE0EEENS1_30default_config_static_selectorELNS0_4arch9wavefront6targetE1EEEvT1_
	.p2align	8
	.type	_ZN7rocprim17ROCPRIM_400000_NS6detail17trampoline_kernelINS0_14default_configENS1_29reduce_by_key_config_selectorIttN6thrust23THRUST_200600_302600_NS4plusItEEEEZZNS1_33reduce_by_key_impl_wrapped_configILNS1_25lookback_scan_determinismE0ES3_S9_NS6_6detail15normal_iteratorINS6_10device_ptrItEEEESG_SG_SG_PmS8_22is_equal_div_10_reduceItEEE10hipError_tPvRmT2_T3_mT4_T5_T6_T7_T8_P12ihipStream_tbENKUlT_T0_E_clISt17integral_constantIbLb1EES11_EEDaSW_SX_EUlSW_E_NS1_11comp_targetILNS1_3genE5ELNS1_11target_archE942ELNS1_3gpuE9ELNS1_3repE0EEENS1_30default_config_static_selectorELNS0_4arch9wavefront6targetE1EEEvT1_,@function
_ZN7rocprim17ROCPRIM_400000_NS6detail17trampoline_kernelINS0_14default_configENS1_29reduce_by_key_config_selectorIttN6thrust23THRUST_200600_302600_NS4plusItEEEEZZNS1_33reduce_by_key_impl_wrapped_configILNS1_25lookback_scan_determinismE0ES3_S9_NS6_6detail15normal_iteratorINS6_10device_ptrItEEEESG_SG_SG_PmS8_22is_equal_div_10_reduceItEEE10hipError_tPvRmT2_T3_mT4_T5_T6_T7_T8_P12ihipStream_tbENKUlT_T0_E_clISt17integral_constantIbLb1EES11_EEDaSW_SX_EUlSW_E_NS1_11comp_targetILNS1_3genE5ELNS1_11target_archE942ELNS1_3gpuE9ELNS1_3repE0EEENS1_30default_config_static_selectorELNS0_4arch9wavefront6targetE1EEEvT1_: ; @_ZN7rocprim17ROCPRIM_400000_NS6detail17trampoline_kernelINS0_14default_configENS1_29reduce_by_key_config_selectorIttN6thrust23THRUST_200600_302600_NS4plusItEEEEZZNS1_33reduce_by_key_impl_wrapped_configILNS1_25lookback_scan_determinismE0ES3_S9_NS6_6detail15normal_iteratorINS6_10device_ptrItEEEESG_SG_SG_PmS8_22is_equal_div_10_reduceItEEE10hipError_tPvRmT2_T3_mT4_T5_T6_T7_T8_P12ihipStream_tbENKUlT_T0_E_clISt17integral_constantIbLb1EES11_EEDaSW_SX_EUlSW_E_NS1_11comp_targetILNS1_3genE5ELNS1_11target_archE942ELNS1_3gpuE9ELNS1_3repE0EEENS1_30default_config_static_selectorELNS0_4arch9wavefront6targetE1EEEvT1_
; %bb.0:
	.section	.rodata,"a",@progbits
	.p2align	6, 0x0
	.amdhsa_kernel _ZN7rocprim17ROCPRIM_400000_NS6detail17trampoline_kernelINS0_14default_configENS1_29reduce_by_key_config_selectorIttN6thrust23THRUST_200600_302600_NS4plusItEEEEZZNS1_33reduce_by_key_impl_wrapped_configILNS1_25lookback_scan_determinismE0ES3_S9_NS6_6detail15normal_iteratorINS6_10device_ptrItEEEESG_SG_SG_PmS8_22is_equal_div_10_reduceItEEE10hipError_tPvRmT2_T3_mT4_T5_T6_T7_T8_P12ihipStream_tbENKUlT_T0_E_clISt17integral_constantIbLb1EES11_EEDaSW_SX_EUlSW_E_NS1_11comp_targetILNS1_3genE5ELNS1_11target_archE942ELNS1_3gpuE9ELNS1_3repE0EEENS1_30default_config_static_selectorELNS0_4arch9wavefront6targetE1EEEvT1_
		.amdhsa_group_segment_fixed_size 0
		.amdhsa_private_segment_fixed_size 0
		.amdhsa_kernarg_size 120
		.amdhsa_user_sgpr_count 6
		.amdhsa_user_sgpr_private_segment_buffer 1
		.amdhsa_user_sgpr_dispatch_ptr 0
		.amdhsa_user_sgpr_queue_ptr 0
		.amdhsa_user_sgpr_kernarg_segment_ptr 1
		.amdhsa_user_sgpr_dispatch_id 0
		.amdhsa_user_sgpr_flat_scratch_init 0
		.amdhsa_user_sgpr_kernarg_preload_length 0
		.amdhsa_user_sgpr_kernarg_preload_offset 0
		.amdhsa_user_sgpr_private_segment_size 0
		.amdhsa_uses_dynamic_stack 0
		.amdhsa_system_sgpr_private_segment_wavefront_offset 0
		.amdhsa_system_sgpr_workgroup_id_x 1
		.amdhsa_system_sgpr_workgroup_id_y 0
		.amdhsa_system_sgpr_workgroup_id_z 0
		.amdhsa_system_sgpr_workgroup_info 0
		.amdhsa_system_vgpr_workitem_id 0
		.amdhsa_next_free_vgpr 1
		.amdhsa_next_free_sgpr 0
		.amdhsa_accum_offset 4
		.amdhsa_reserve_vcc 0
		.amdhsa_reserve_flat_scratch 0
		.amdhsa_float_round_mode_32 0
		.amdhsa_float_round_mode_16_64 0
		.amdhsa_float_denorm_mode_32 3
		.amdhsa_float_denorm_mode_16_64 3
		.amdhsa_dx10_clamp 1
		.amdhsa_ieee_mode 1
		.amdhsa_fp16_overflow 0
		.amdhsa_tg_split 0
		.amdhsa_exception_fp_ieee_invalid_op 0
		.amdhsa_exception_fp_denorm_src 0
		.amdhsa_exception_fp_ieee_div_zero 0
		.amdhsa_exception_fp_ieee_overflow 0
		.amdhsa_exception_fp_ieee_underflow 0
		.amdhsa_exception_fp_ieee_inexact 0
		.amdhsa_exception_int_div_zero 0
	.end_amdhsa_kernel
	.section	.text._ZN7rocprim17ROCPRIM_400000_NS6detail17trampoline_kernelINS0_14default_configENS1_29reduce_by_key_config_selectorIttN6thrust23THRUST_200600_302600_NS4plusItEEEEZZNS1_33reduce_by_key_impl_wrapped_configILNS1_25lookback_scan_determinismE0ES3_S9_NS6_6detail15normal_iteratorINS6_10device_ptrItEEEESG_SG_SG_PmS8_22is_equal_div_10_reduceItEEE10hipError_tPvRmT2_T3_mT4_T5_T6_T7_T8_P12ihipStream_tbENKUlT_T0_E_clISt17integral_constantIbLb1EES11_EEDaSW_SX_EUlSW_E_NS1_11comp_targetILNS1_3genE5ELNS1_11target_archE942ELNS1_3gpuE9ELNS1_3repE0EEENS1_30default_config_static_selectorELNS0_4arch9wavefront6targetE1EEEvT1_,"axG",@progbits,_ZN7rocprim17ROCPRIM_400000_NS6detail17trampoline_kernelINS0_14default_configENS1_29reduce_by_key_config_selectorIttN6thrust23THRUST_200600_302600_NS4plusItEEEEZZNS1_33reduce_by_key_impl_wrapped_configILNS1_25lookback_scan_determinismE0ES3_S9_NS6_6detail15normal_iteratorINS6_10device_ptrItEEEESG_SG_SG_PmS8_22is_equal_div_10_reduceItEEE10hipError_tPvRmT2_T3_mT4_T5_T6_T7_T8_P12ihipStream_tbENKUlT_T0_E_clISt17integral_constantIbLb1EES11_EEDaSW_SX_EUlSW_E_NS1_11comp_targetILNS1_3genE5ELNS1_11target_archE942ELNS1_3gpuE9ELNS1_3repE0EEENS1_30default_config_static_selectorELNS0_4arch9wavefront6targetE1EEEvT1_,comdat
.Lfunc_end441:
	.size	_ZN7rocprim17ROCPRIM_400000_NS6detail17trampoline_kernelINS0_14default_configENS1_29reduce_by_key_config_selectorIttN6thrust23THRUST_200600_302600_NS4plusItEEEEZZNS1_33reduce_by_key_impl_wrapped_configILNS1_25lookback_scan_determinismE0ES3_S9_NS6_6detail15normal_iteratorINS6_10device_ptrItEEEESG_SG_SG_PmS8_22is_equal_div_10_reduceItEEE10hipError_tPvRmT2_T3_mT4_T5_T6_T7_T8_P12ihipStream_tbENKUlT_T0_E_clISt17integral_constantIbLb1EES11_EEDaSW_SX_EUlSW_E_NS1_11comp_targetILNS1_3genE5ELNS1_11target_archE942ELNS1_3gpuE9ELNS1_3repE0EEENS1_30default_config_static_selectorELNS0_4arch9wavefront6targetE1EEEvT1_, .Lfunc_end441-_ZN7rocprim17ROCPRIM_400000_NS6detail17trampoline_kernelINS0_14default_configENS1_29reduce_by_key_config_selectorIttN6thrust23THRUST_200600_302600_NS4plusItEEEEZZNS1_33reduce_by_key_impl_wrapped_configILNS1_25lookback_scan_determinismE0ES3_S9_NS6_6detail15normal_iteratorINS6_10device_ptrItEEEESG_SG_SG_PmS8_22is_equal_div_10_reduceItEEE10hipError_tPvRmT2_T3_mT4_T5_T6_T7_T8_P12ihipStream_tbENKUlT_T0_E_clISt17integral_constantIbLb1EES11_EEDaSW_SX_EUlSW_E_NS1_11comp_targetILNS1_3genE5ELNS1_11target_archE942ELNS1_3gpuE9ELNS1_3repE0EEENS1_30default_config_static_selectorELNS0_4arch9wavefront6targetE1EEEvT1_
                                        ; -- End function
	.section	.AMDGPU.csdata,"",@progbits
; Kernel info:
; codeLenInByte = 0
; NumSgprs: 4
; NumVgprs: 0
; NumAgprs: 0
; TotalNumVgprs: 0
; ScratchSize: 0
; MemoryBound: 0
; FloatMode: 240
; IeeeMode: 1
; LDSByteSize: 0 bytes/workgroup (compile time only)
; SGPRBlocks: 0
; VGPRBlocks: 0
; NumSGPRsForWavesPerEU: 4
; NumVGPRsForWavesPerEU: 1
; AccumOffset: 4
; Occupancy: 8
; WaveLimiterHint : 0
; COMPUTE_PGM_RSRC2:SCRATCH_EN: 0
; COMPUTE_PGM_RSRC2:USER_SGPR: 6
; COMPUTE_PGM_RSRC2:TRAP_HANDLER: 0
; COMPUTE_PGM_RSRC2:TGID_X_EN: 1
; COMPUTE_PGM_RSRC2:TGID_Y_EN: 0
; COMPUTE_PGM_RSRC2:TGID_Z_EN: 0
; COMPUTE_PGM_RSRC2:TIDIG_COMP_CNT: 0
; COMPUTE_PGM_RSRC3_GFX90A:ACCUM_OFFSET: 0
; COMPUTE_PGM_RSRC3_GFX90A:TG_SPLIT: 0
	.section	.text._ZN7rocprim17ROCPRIM_400000_NS6detail17trampoline_kernelINS0_14default_configENS1_29reduce_by_key_config_selectorIttN6thrust23THRUST_200600_302600_NS4plusItEEEEZZNS1_33reduce_by_key_impl_wrapped_configILNS1_25lookback_scan_determinismE0ES3_S9_NS6_6detail15normal_iteratorINS6_10device_ptrItEEEESG_SG_SG_PmS8_22is_equal_div_10_reduceItEEE10hipError_tPvRmT2_T3_mT4_T5_T6_T7_T8_P12ihipStream_tbENKUlT_T0_E_clISt17integral_constantIbLb1EES11_EEDaSW_SX_EUlSW_E_NS1_11comp_targetILNS1_3genE4ELNS1_11target_archE910ELNS1_3gpuE8ELNS1_3repE0EEENS1_30default_config_static_selectorELNS0_4arch9wavefront6targetE1EEEvT1_,"axG",@progbits,_ZN7rocprim17ROCPRIM_400000_NS6detail17trampoline_kernelINS0_14default_configENS1_29reduce_by_key_config_selectorIttN6thrust23THRUST_200600_302600_NS4plusItEEEEZZNS1_33reduce_by_key_impl_wrapped_configILNS1_25lookback_scan_determinismE0ES3_S9_NS6_6detail15normal_iteratorINS6_10device_ptrItEEEESG_SG_SG_PmS8_22is_equal_div_10_reduceItEEE10hipError_tPvRmT2_T3_mT4_T5_T6_T7_T8_P12ihipStream_tbENKUlT_T0_E_clISt17integral_constantIbLb1EES11_EEDaSW_SX_EUlSW_E_NS1_11comp_targetILNS1_3genE4ELNS1_11target_archE910ELNS1_3gpuE8ELNS1_3repE0EEENS1_30default_config_static_selectorELNS0_4arch9wavefront6targetE1EEEvT1_,comdat
	.protected	_ZN7rocprim17ROCPRIM_400000_NS6detail17trampoline_kernelINS0_14default_configENS1_29reduce_by_key_config_selectorIttN6thrust23THRUST_200600_302600_NS4plusItEEEEZZNS1_33reduce_by_key_impl_wrapped_configILNS1_25lookback_scan_determinismE0ES3_S9_NS6_6detail15normal_iteratorINS6_10device_ptrItEEEESG_SG_SG_PmS8_22is_equal_div_10_reduceItEEE10hipError_tPvRmT2_T3_mT4_T5_T6_T7_T8_P12ihipStream_tbENKUlT_T0_E_clISt17integral_constantIbLb1EES11_EEDaSW_SX_EUlSW_E_NS1_11comp_targetILNS1_3genE4ELNS1_11target_archE910ELNS1_3gpuE8ELNS1_3repE0EEENS1_30default_config_static_selectorELNS0_4arch9wavefront6targetE1EEEvT1_ ; -- Begin function _ZN7rocprim17ROCPRIM_400000_NS6detail17trampoline_kernelINS0_14default_configENS1_29reduce_by_key_config_selectorIttN6thrust23THRUST_200600_302600_NS4plusItEEEEZZNS1_33reduce_by_key_impl_wrapped_configILNS1_25lookback_scan_determinismE0ES3_S9_NS6_6detail15normal_iteratorINS6_10device_ptrItEEEESG_SG_SG_PmS8_22is_equal_div_10_reduceItEEE10hipError_tPvRmT2_T3_mT4_T5_T6_T7_T8_P12ihipStream_tbENKUlT_T0_E_clISt17integral_constantIbLb1EES11_EEDaSW_SX_EUlSW_E_NS1_11comp_targetILNS1_3genE4ELNS1_11target_archE910ELNS1_3gpuE8ELNS1_3repE0EEENS1_30default_config_static_selectorELNS0_4arch9wavefront6targetE1EEEvT1_
	.globl	_ZN7rocprim17ROCPRIM_400000_NS6detail17trampoline_kernelINS0_14default_configENS1_29reduce_by_key_config_selectorIttN6thrust23THRUST_200600_302600_NS4plusItEEEEZZNS1_33reduce_by_key_impl_wrapped_configILNS1_25lookback_scan_determinismE0ES3_S9_NS6_6detail15normal_iteratorINS6_10device_ptrItEEEESG_SG_SG_PmS8_22is_equal_div_10_reduceItEEE10hipError_tPvRmT2_T3_mT4_T5_T6_T7_T8_P12ihipStream_tbENKUlT_T0_E_clISt17integral_constantIbLb1EES11_EEDaSW_SX_EUlSW_E_NS1_11comp_targetILNS1_3genE4ELNS1_11target_archE910ELNS1_3gpuE8ELNS1_3repE0EEENS1_30default_config_static_selectorELNS0_4arch9wavefront6targetE1EEEvT1_
	.p2align	8
	.type	_ZN7rocprim17ROCPRIM_400000_NS6detail17trampoline_kernelINS0_14default_configENS1_29reduce_by_key_config_selectorIttN6thrust23THRUST_200600_302600_NS4plusItEEEEZZNS1_33reduce_by_key_impl_wrapped_configILNS1_25lookback_scan_determinismE0ES3_S9_NS6_6detail15normal_iteratorINS6_10device_ptrItEEEESG_SG_SG_PmS8_22is_equal_div_10_reduceItEEE10hipError_tPvRmT2_T3_mT4_T5_T6_T7_T8_P12ihipStream_tbENKUlT_T0_E_clISt17integral_constantIbLb1EES11_EEDaSW_SX_EUlSW_E_NS1_11comp_targetILNS1_3genE4ELNS1_11target_archE910ELNS1_3gpuE8ELNS1_3repE0EEENS1_30default_config_static_selectorELNS0_4arch9wavefront6targetE1EEEvT1_,@function
_ZN7rocprim17ROCPRIM_400000_NS6detail17trampoline_kernelINS0_14default_configENS1_29reduce_by_key_config_selectorIttN6thrust23THRUST_200600_302600_NS4plusItEEEEZZNS1_33reduce_by_key_impl_wrapped_configILNS1_25lookback_scan_determinismE0ES3_S9_NS6_6detail15normal_iteratorINS6_10device_ptrItEEEESG_SG_SG_PmS8_22is_equal_div_10_reduceItEEE10hipError_tPvRmT2_T3_mT4_T5_T6_T7_T8_P12ihipStream_tbENKUlT_T0_E_clISt17integral_constantIbLb1EES11_EEDaSW_SX_EUlSW_E_NS1_11comp_targetILNS1_3genE4ELNS1_11target_archE910ELNS1_3gpuE8ELNS1_3repE0EEENS1_30default_config_static_selectorELNS0_4arch9wavefront6targetE1EEEvT1_: ; @_ZN7rocprim17ROCPRIM_400000_NS6detail17trampoline_kernelINS0_14default_configENS1_29reduce_by_key_config_selectorIttN6thrust23THRUST_200600_302600_NS4plusItEEEEZZNS1_33reduce_by_key_impl_wrapped_configILNS1_25lookback_scan_determinismE0ES3_S9_NS6_6detail15normal_iteratorINS6_10device_ptrItEEEESG_SG_SG_PmS8_22is_equal_div_10_reduceItEEE10hipError_tPvRmT2_T3_mT4_T5_T6_T7_T8_P12ihipStream_tbENKUlT_T0_E_clISt17integral_constantIbLb1EES11_EEDaSW_SX_EUlSW_E_NS1_11comp_targetILNS1_3genE4ELNS1_11target_archE910ELNS1_3gpuE8ELNS1_3repE0EEENS1_30default_config_static_selectorELNS0_4arch9wavefront6targetE1EEEvT1_
; %bb.0:
	s_load_dwordx8 s[36:43], s[4:5], 0x0
	s_load_dwordx4 s[52:55], s[4:5], 0x20
	s_load_dwordx8 s[44:51], s[4:5], 0x38
	s_load_dwordx2 s[60:61], s[4:5], 0x68
	s_load_dwordx4 s[56:59], s[4:5], 0x58
	v_cmp_ne_u32_e64 s[2:3], 0, v0
	v_cmp_eq_u32_e64 s[0:1], 0, v0
	s_and_saveexec_b64 s[6:7], s[0:1]
	s_cbranch_execz .LBB442_4
; %bb.1:
	s_mov_b64 s[10:11], exec
	v_mbcnt_lo_u32_b32 v1, s10, 0
	v_mbcnt_hi_u32_b32 v1, s11, v1
	v_cmp_eq_u32_e32 vcc, 0, v1
                                        ; implicit-def: $vgpr2
	s_and_saveexec_b64 s[8:9], vcc
	s_cbranch_execz .LBB442_3
; %bb.2:
	s_load_dwordx2 s[4:5], s[4:5], 0x70
	s_bcnt1_i32_b64 s10, s[10:11]
	v_mov_b32_e32 v2, 0
	v_mov_b32_e32 v3, s10
	s_waitcnt lgkmcnt(0)
	global_atomic_add v2, v2, v3, s[4:5] glc
.LBB442_3:
	s_or_b64 exec, exec, s[8:9]
	s_waitcnt vmcnt(0)
	v_readfirstlane_b32 s4, v2
	v_add_u32_e32 v1, s4, v1
	v_mov_b32_e32 v2, 0
	ds_write_b32 v2, v1
.LBB442_4:
	s_or_b64 exec, exec, s[6:7]
	v_mov_b32_e32 v3, 0
	s_waitcnt lgkmcnt(0)
	s_lshl_b64 s[4:5], s[38:39], 1
	s_barrier
	ds_read_b32 v1, v3
	s_add_u32 s6, s36, s4
	s_addc_u32 s7, s37, s5
	s_add_u32 s4, s40, s4
	s_mul_i32 s8, s48, s47
	s_mul_hi_u32 s9, s48, s46
	s_addc_u32 s5, s41, s5
	s_add_i32 s8, s9, s8
	s_mul_i32 s9, s49, s46
	s_add_i32 s8, s8, s9
	s_mul_i32 s9, s48, s46
	s_waitcnt lgkmcnt(0)
	v_readfirstlane_b32 s62, v1
	s_movk_i32 s10, 0xf00
	v_mul_lo_u32 v2, v1, s10
	s_add_u32 s40, s9, s62
	v_lshlrev_b64 v[2:3], 1, v[2:3]
	s_addc_u32 s41, s8, 0
	v_mov_b32_e32 v1, s7
	v_add_co_u32_e32 v6, vcc, s6, v2
	s_add_u32 s6, s50, -1
	v_addc_co_u32_e32 v7, vcc, v1, v3, vcc
	s_addc_u32 s7, s51, -1
	v_mov_b32_e32 v1, s5
	v_add_co_u32_e32 v8, vcc, s4, v2
	s_cmp_eq_u64 s[40:41], s[6:7]
	v_addc_co_u32_e32 v9, vcc, v1, v3, vcc
	s_cselect_b64 s[36:37], -1, 0
	s_cmp_lg_u64 s[40:41], s[6:7]
	s_mov_b64 s[4:5], -1
	s_cselect_b64 s[48:49], -1, 0
	s_mul_i32 s33, s6, 0xfffff100
	s_and_b64 vcc, exec, s[36:37]
	s_barrier
	s_cbranch_vccnz .LBB442_6
; %bb.5:
	v_lshlrev_b32_e32 v11, 1, v0
	v_add_co_u32_e32 v2, vcc, v6, v11
	v_addc_co_u32_e32 v3, vcc, 0, v7, vcc
	flat_load_ushort v1, v[2:3]
	flat_load_ushort v4, v[2:3] offset:512
	flat_load_ushort v5, v[2:3] offset:1024
	;; [unrolled: 1-line block ×7, first 2 shown]
	v_add_co_u32_e32 v2, vcc, 0x1000, v2
	v_addc_co_u32_e32 v3, vcc, 0, v3, vcc
	flat_load_ushort v21, v[2:3]
	flat_load_ushort v22, v[2:3] offset:512
	flat_load_ushort v23, v[2:3] offset:1024
	;; [unrolled: 1-line block ×6, first 2 shown]
	v_add_co_u32_e32 v12, vcc, v8, v11
	s_movk_i32 s4, 0x1000
	v_addc_co_u32_e32 v13, vcc, 0, v9, vcc
	v_mad_u32_u24 v10, v0, 28, v11
	v_add_co_u32_e32 v18, vcc, s4, v12
	v_addc_co_u32_e32 v19, vcc, 0, v13, vcc
	s_waitcnt vmcnt(0) lgkmcnt(0)
	ds_write_b16 v11, v1
	ds_write_b16 v11, v4 offset:512
	ds_write_b16 v11, v5 offset:1024
	;; [unrolled: 1-line block ×14, first 2 shown]
	s_waitcnt lgkmcnt(0)
	s_barrier
	ds_read_u16 v1, v10
	ds_read_b128 v[2:5], v10 offset:2
	ds_read_b96 v[14:16], v10 offset:18
	s_waitcnt lgkmcnt(0)
	s_barrier
	flat_load_ushort v17, v[12:13]
	flat_load_ushort v20, v[12:13] offset:512
	flat_load_ushort v21, v[12:13] offset:1024
	;; [unrolled: 1-line block ×7, first 2 shown]
	flat_load_ushort v27, v[18:19]
	flat_load_ushort v28, v[18:19] offset:512
	flat_load_ushort v29, v[18:19] offset:1024
	;; [unrolled: 1-line block ×6, first 2 shown]
	v_mul_u32_u24_e32 v12, 15, v0
	s_waitcnt vmcnt(0) lgkmcnt(0)
	ds_write_b16 v11, v17
	ds_write_b16 v11, v20 offset:512
	ds_write_b16 v11, v21 offset:1024
	;; [unrolled: 1-line block ×14, first 2 shown]
	s_waitcnt lgkmcnt(0)
	s_barrier
	s_add_i32 s33, s33, s56
	s_cbranch_execz .LBB442_7
	s_branch .LBB442_54
.LBB442_6:
                                        ; implicit-def: $vgpr2
                                        ; implicit-def: $vgpr14
                                        ; implicit-def: $vgpr12
                                        ; implicit-def: $vgpr10
                                        ; implicit-def: $vgpr1
	s_andn2_b64 vcc, exec, s[4:5]
	s_add_i32 s33, s33, s56
	s_cbranch_vccnz .LBB442_54
.LBB442_7:
	v_cmp_gt_u32_e32 vcc, s33, v0
                                        ; implicit-def: $vgpr1
	s_and_saveexec_b64 s[6:7], vcc
	s_cbranch_execz .LBB442_9
; %bb.8:
	v_lshlrev_b32_e32 v1, 1, v0
	v_add_co_u32_e64 v2, s[4:5], v6, v1
	v_addc_co_u32_e64 v3, s[4:5], 0, v7, s[4:5]
	flat_load_ushort v1, v[2:3]
.LBB442_9:
	s_or_b64 exec, exec, s[6:7]
	v_or_b32_e32 v2, 0x100, v0
	v_cmp_gt_u32_e64 s[4:5], s33, v2
                                        ; implicit-def: $vgpr2
	s_and_saveexec_b64 s[8:9], s[4:5]
	s_cbranch_execz .LBB442_11
; %bb.10:
	v_lshlrev_b32_e32 v2, 1, v0
	v_add_co_u32_e64 v2, s[6:7], v6, v2
	v_addc_co_u32_e64 v3, s[6:7], 0, v7, s[6:7]
	flat_load_ushort v2, v[2:3] offset:512
.LBB442_11:
	s_or_b64 exec, exec, s[8:9]
	v_or_b32_e32 v3, 0x200, v0
	v_cmp_gt_u32_e64 s[6:7], s33, v3
                                        ; implicit-def: $vgpr3
	s_and_saveexec_b64 s[10:11], s[6:7]
	s_cbranch_execz .LBB442_13
; %bb.12:
	v_lshlrev_b32_e32 v3, 1, v0
	v_add_co_u32_e64 v4, s[8:9], v6, v3
	v_addc_co_u32_e64 v5, s[8:9], 0, v7, s[8:9]
	flat_load_ushort v3, v[4:5] offset:1024
.LBB442_13:
	s_or_b64 exec, exec, s[10:11]
	v_or_b32_e32 v4, 0x300, v0
	v_cmp_gt_u32_e64 s[8:9], s33, v4
                                        ; implicit-def: $vgpr4
	s_and_saveexec_b64 s[12:13], s[8:9]
	s_cbranch_execz .LBB442_15
; %bb.14:
	v_lshlrev_b32_e32 v4, 1, v0
	v_add_co_u32_e64 v4, s[10:11], v6, v4
	v_addc_co_u32_e64 v5, s[10:11], 0, v7, s[10:11]
	flat_load_ushort v4, v[4:5] offset:1536
.LBB442_15:
	s_or_b64 exec, exec, s[12:13]
	v_or_b32_e32 v5, 0x400, v0
	v_cmp_gt_u32_e64 s[10:11], s33, v5
                                        ; implicit-def: $vgpr5
	s_and_saveexec_b64 s[14:15], s[10:11]
	s_cbranch_execz .LBB442_17
; %bb.16:
	v_lshlrev_b32_e32 v5, 1, v0
	v_add_co_u32_e64 v10, s[12:13], v6, v5
	v_addc_co_u32_e64 v11, s[12:13], 0, v7, s[12:13]
	flat_load_ushort v5, v[10:11] offset:2048
.LBB442_17:
	s_or_b64 exec, exec, s[14:15]
	v_or_b32_e32 v10, 0x500, v0
	v_cmp_gt_u32_e64 s[12:13], s33, v10
                                        ; implicit-def: $vgpr10
	s_and_saveexec_b64 s[16:17], s[12:13]
	s_cbranch_execz .LBB442_19
; %bb.18:
	v_lshlrev_b32_e32 v10, 1, v0
	v_add_co_u32_e64 v10, s[14:15], v6, v10
	v_addc_co_u32_e64 v11, s[14:15], 0, v7, s[14:15]
	flat_load_ushort v10, v[10:11] offset:2560
.LBB442_19:
	s_or_b64 exec, exec, s[16:17]
	v_or_b32_e32 v11, 0x600, v0
	v_cmp_gt_u32_e64 s[14:15], s33, v11
                                        ; implicit-def: $vgpr14
	s_and_saveexec_b64 s[18:19], s[14:15]
	s_cbranch_execz .LBB442_21
; %bb.20:
	v_lshlrev_b32_e32 v11, 1, v0
	v_add_co_u32_e64 v12, s[16:17], v6, v11
	v_addc_co_u32_e64 v13, s[16:17], 0, v7, s[16:17]
	flat_load_ushort v14, v[12:13] offset:3072
.LBB442_21:
	s_or_b64 exec, exec, s[18:19]
	v_or_b32_e32 v11, 0x700, v0
	v_cmp_gt_u32_e64 s[16:17], s33, v11
                                        ; implicit-def: $vgpr15
	s_and_saveexec_b64 s[20:21], s[16:17]
	s_cbranch_execz .LBB442_23
; %bb.22:
	v_lshlrev_b32_e32 v11, 1, v0
	v_add_co_u32_e64 v12, s[18:19], v6, v11
	v_addc_co_u32_e64 v13, s[18:19], 0, v7, s[18:19]
	flat_load_ushort v15, v[12:13] offset:3584
.LBB442_23:
	s_or_b64 exec, exec, s[20:21]
	v_or_b32_e32 v12, 0x800, v0
	v_cmp_gt_u32_e64 s[18:19], s33, v12
                                        ; implicit-def: $vgpr16
	s_and_saveexec_b64 s[22:23], s[18:19]
	s_cbranch_execz .LBB442_25
; %bb.24:
	v_lshlrev_b32_e32 v11, 1, v12
	v_add_co_u32_e64 v16, s[20:21], v6, v11
	v_addc_co_u32_e64 v17, s[20:21], 0, v7, s[20:21]
	flat_load_ushort v16, v[16:17]
.LBB442_25:
	s_or_b64 exec, exec, s[22:23]
	v_or_b32_e32 v13, 0x900, v0
	v_cmp_gt_u32_e64 s[20:21], s33, v13
                                        ; implicit-def: $vgpr22
	s_and_saveexec_b64 s[24:25], s[20:21]
	s_cbranch_execz .LBB442_27
; %bb.26:
	v_lshlrev_b32_e32 v11, 1, v13
	v_add_co_u32_e64 v18, s[22:23], v6, v11
	v_addc_co_u32_e64 v19, s[22:23], 0, v7, s[22:23]
	flat_load_ushort v22, v[18:19]
.LBB442_27:
	s_or_b64 exec, exec, s[24:25]
	v_or_b32_e32 v17, 0xa00, v0
	v_cmp_gt_u32_e64 s[22:23], s33, v17
                                        ; implicit-def: $vgpr23
	s_and_saveexec_b64 s[26:27], s[22:23]
	s_cbranch_execz .LBB442_29
; %bb.28:
	v_lshlrev_b32_e32 v11, 1, v17
	v_add_co_u32_e64 v18, s[24:25], v6, v11
	v_addc_co_u32_e64 v19, s[24:25], 0, v7, s[24:25]
	flat_load_ushort v23, v[18:19]
.LBB442_29:
	s_or_b64 exec, exec, s[26:27]
	v_or_b32_e32 v18, 0xb00, v0
	v_cmp_gt_u32_e64 s[24:25], s33, v18
                                        ; implicit-def: $vgpr24
	s_and_saveexec_b64 s[28:29], s[24:25]
	s_cbranch_execz .LBB442_31
; %bb.30:
	v_lshlrev_b32_e32 v11, 1, v18
	v_add_co_u32_e64 v20, s[26:27], v6, v11
	v_addc_co_u32_e64 v21, s[26:27], 0, v7, s[26:27]
	flat_load_ushort v24, v[20:21]
.LBB442_31:
	s_or_b64 exec, exec, s[28:29]
	v_or_b32_e32 v19, 0xc00, v0
	v_cmp_gt_u32_e64 s[26:27], s33, v19
                                        ; implicit-def: $vgpr25
	s_and_saveexec_b64 s[30:31], s[26:27]
	s_cbranch_execz .LBB442_33
; %bb.32:
	v_lshlrev_b32_e32 v11, 1, v19
	v_add_co_u32_e64 v20, s[28:29], v6, v11
	v_addc_co_u32_e64 v21, s[28:29], 0, v7, s[28:29]
	flat_load_ushort v25, v[20:21]
.LBB442_33:
	s_or_b64 exec, exec, s[30:31]
	v_or_b32_e32 v20, 0xd00, v0
	v_cmp_gt_u32_e64 s[28:29], s33, v20
                                        ; implicit-def: $vgpr26
	s_and_saveexec_b64 s[34:35], s[28:29]
	s_cbranch_execz .LBB442_35
; %bb.34:
	v_lshlrev_b32_e32 v11, 1, v20
	v_add_co_u32_e64 v26, s[30:31], v6, v11
	v_addc_co_u32_e64 v27, s[30:31], 0, v7, s[30:31]
	flat_load_ushort v26, v[26:27]
.LBB442_35:
	s_or_b64 exec, exec, s[34:35]
	v_or_b32_e32 v21, 0xe00, v0
	v_cmp_gt_u32_e64 s[30:31], s33, v21
                                        ; implicit-def: $vgpr27
	s_and_saveexec_b64 s[38:39], s[30:31]
	s_cbranch_execz .LBB442_37
; %bb.36:
	v_lshlrev_b32_e32 v11, 1, v21
	v_add_co_u32_e64 v28, s[34:35], v6, v11
	v_addc_co_u32_e64 v29, s[34:35], 0, v7, s[34:35]
	flat_load_ushort v27, v[28:29]
.LBB442_37:
	s_or_b64 exec, exec, s[38:39]
	v_lshlrev_b32_e32 v11, 1, v0
	s_waitcnt vmcnt(0) lgkmcnt(0)
	ds_write_b16 v11, v1
	ds_write_b16 v11, v2 offset:512
	ds_write_b16 v11, v3 offset:1024
	;; [unrolled: 1-line block ×14, first 2 shown]
	v_mad_u32_u24 v10, v0, 28, v11
	s_waitcnt lgkmcnt(0)
	s_barrier
	ds_read_u16 v1, v10
	ds_read_b128 v[2:5], v10 offset:2
	ds_read_b96 v[14:16], v10 offset:18
	s_waitcnt lgkmcnt(0)
	s_barrier
	s_waitcnt lgkmcnt(0)
                                        ; implicit-def: $vgpr22
	s_and_saveexec_b64 s[34:35], vcc
	s_cbranch_execnz .LBB442_61
; %bb.38:
	s_or_b64 exec, exec, s[34:35]
                                        ; implicit-def: $vgpr23
	s_and_saveexec_b64 s[34:35], s[4:5]
	s_cbranch_execnz .LBB442_62
.LBB442_39:
	s_or_b64 exec, exec, s[34:35]
                                        ; implicit-def: $vgpr24
	s_and_saveexec_b64 s[4:5], s[6:7]
	s_cbranch_execnz .LBB442_63
.LBB442_40:
	s_or_b64 exec, exec, s[4:5]
                                        ; implicit-def: $vgpr25
	s_and_saveexec_b64 s[4:5], s[8:9]
	s_cbranch_execnz .LBB442_64
.LBB442_41:
	s_or_b64 exec, exec, s[4:5]
                                        ; implicit-def: $vgpr26
	s_and_saveexec_b64 s[4:5], s[10:11]
	s_cbranch_execnz .LBB442_65
.LBB442_42:
	s_or_b64 exec, exec, s[4:5]
                                        ; implicit-def: $vgpr27
	s_and_saveexec_b64 s[4:5], s[12:13]
	s_cbranch_execnz .LBB442_66
.LBB442_43:
	s_or_b64 exec, exec, s[4:5]
                                        ; implicit-def: $vgpr28
	s_and_saveexec_b64 s[4:5], s[14:15]
	s_cbranch_execnz .LBB442_67
.LBB442_44:
	s_or_b64 exec, exec, s[4:5]
                                        ; implicit-def: $vgpr29
	s_and_saveexec_b64 s[4:5], s[16:17]
	s_cbranch_execnz .LBB442_68
.LBB442_45:
	s_or_b64 exec, exec, s[4:5]
                                        ; implicit-def: $vgpr30
	s_and_saveexec_b64 s[4:5], s[18:19]
	s_cbranch_execnz .LBB442_69
.LBB442_46:
	s_or_b64 exec, exec, s[4:5]
                                        ; implicit-def: $vgpr31
	s_and_saveexec_b64 s[4:5], s[20:21]
	s_cbranch_execnz .LBB442_70
.LBB442_47:
	s_or_b64 exec, exec, s[4:5]
                                        ; implicit-def: $vgpr13
	s_and_saveexec_b64 s[4:5], s[22:23]
	s_cbranch_execnz .LBB442_71
.LBB442_48:
	s_or_b64 exec, exec, s[4:5]
                                        ; implicit-def: $vgpr17
	s_and_saveexec_b64 s[4:5], s[24:25]
	s_cbranch_execnz .LBB442_72
.LBB442_49:
	s_or_b64 exec, exec, s[4:5]
                                        ; implicit-def: $vgpr18
	s_and_saveexec_b64 s[4:5], s[26:27]
	s_cbranch_execnz .LBB442_73
.LBB442_50:
	s_or_b64 exec, exec, s[4:5]
                                        ; implicit-def: $vgpr19
	s_and_saveexec_b64 s[4:5], s[28:29]
	s_cbranch_execnz .LBB442_74
.LBB442_51:
	s_or_b64 exec, exec, s[4:5]
                                        ; implicit-def: $vgpr20
	s_and_saveexec_b64 s[4:5], s[30:31]
	s_cbranch_execz .LBB442_53
.LBB442_52:
	v_lshlrev_b32_e32 v12, 1, v21
	v_add_co_u32_e32 v8, vcc, v8, v12
	v_addc_co_u32_e32 v9, vcc, 0, v9, vcc
	flat_load_ushort v20, v[8:9]
.LBB442_53:
	s_or_b64 exec, exec, s[4:5]
	v_mul_u32_u24_e32 v12, 15, v0
	s_waitcnt vmcnt(0) lgkmcnt(0)
	ds_write_b16 v11, v22
	ds_write_b16 v11, v23 offset:512
	ds_write_b16 v11, v24 offset:1024
	;; [unrolled: 1-line block ×14, first 2 shown]
	s_waitcnt lgkmcnt(0)
	s_barrier
.LBB442_54:
	v_lshlrev_b32_e32 v8, 1, v12
	ds_read_u16 v76, v10
	ds_read_u16 v75, v10 offset:2
	ds_read_u16 v73, v10 offset:6
	;; [unrolled: 1-line block ×14, first 2 shown]
	s_cmp_eq_u64 s[40:41], 0
	s_cselect_b64 s[38:39], -1, 0
	s_cmp_lg_u64 s[40:41], 0
	s_mov_b64 s[4:5], 0
	s_cselect_b64 s[30:31], -1, 0
	s_and_b64 vcc, exec, s[48:49]
	s_waitcnt lgkmcnt(0)
	s_barrier
	s_cbranch_vccz .LBB442_60
; %bb.55:
	s_and_b64 vcc, exec, s[30:31]
	s_cbranch_vccz .LBB442_75
; %bb.56:
	v_add_co_u32_e32 v8, vcc, -2, v6
	v_addc_co_u32_e32 v9, vcc, -1, v7, vcc
	flat_load_ushort v8, v[8:9]
	v_lshlrev_b32_e32 v9, 1, v0
	v_lshrrev_b32_e32 v10, 16, v16
	s_mov_b32 s48, 0xcccd
	ds_write_b16 v9, v10
	v_mul_u32_u24_sdwa v11, v16, s48 dst_sel:DWORD dst_unused:UNUSED_PAD src0_sel:WORD_0 src1_sel:DWORD
	v_mul_u32_u24_e32 v10, 0xcccd, v10
	v_lshrrev_b32_e32 v11, 19, v11
	v_lshrrev_b32_e32 v10, 19, v10
	v_cmp_ne_u16_e32 vcc, v11, v10
	v_mul_u32_u24_sdwa v10, v15, s48 dst_sel:DWORD dst_unused:UNUSED_PAD src0_sel:WORD_1 src1_sel:DWORD
	v_lshrrev_b32_e32 v10, 19, v10
	v_cmp_ne_u16_e64 s[4:5], v10, v11
	v_mul_u32_u24_sdwa v11, v15, s48 dst_sel:DWORD dst_unused:UNUSED_PAD src0_sel:WORD_0 src1_sel:DWORD
	v_lshrrev_b32_e32 v11, 19, v11
	v_cmp_ne_u16_e64 s[6:7], v11, v10
	v_mul_u32_u24_sdwa v10, v14, s48 dst_sel:DWORD dst_unused:UNUSED_PAD src0_sel:WORD_1 src1_sel:DWORD
	v_lshrrev_b32_e32 v10, 19, v10
	v_cmp_ne_u16_e64 s[8:9], v10, v11
	v_mul_u32_u24_sdwa v11, v14, s48 dst_sel:DWORD dst_unused:UNUSED_PAD src0_sel:WORD_0 src1_sel:DWORD
	v_lshrrev_b32_e32 v11, 19, v11
	v_cmp_ne_u16_e64 s[10:11], v11, v10
	;; [unrolled: 6-line block ×6, first 2 shown]
	v_mul_u32_u24_sdwa v10, v1, s48 dst_sel:DWORD dst_unused:UNUSED_PAD src0_sel:WORD_0 src1_sel:DWORD
	v_lshrrev_b32_e32 v10, 19, v10
	v_cmp_ne_u16_e64 s[28:29], v10, v11
	s_waitcnt lgkmcnt(0)
	s_barrier
	s_and_saveexec_b64 s[34:35], s[2:3]
	s_cbranch_execz .LBB442_58
; %bb.57:
	s_waitcnt vmcnt(0)
	v_add_u32_e32 v8, -2, v9
	ds_read_u16 v8, v8
.LBB442_58:
	s_or_b64 exec, exec, s[34:35]
	s_waitcnt vmcnt(0) lgkmcnt(0)
	v_mul_u32_u24_sdwa v8, v8, s48 dst_sel:DWORD dst_unused:UNUSED_PAD src0_sel:WORD_0 src1_sel:DWORD
	v_lshrrev_b32_e32 v8, 19, v8
	v_cndmask_b32_e64 v17, 0, 1, vcc
	v_cndmask_b32_e64 v19, 0, 1, s[4:5]
	v_cndmask_b32_e64 v18, 0, 1, s[6:7]
	v_cndmask_b32_e64 v21, 0, 1, s[8:9]
	v_cndmask_b32_e64 v20, 0, 1, s[10:11]
	v_cndmask_b32_e64 v23, 0, 1, s[12:13]
	v_cndmask_b32_e64 v22, 0, 1, s[14:15]
	v_cndmask_b32_e64 v25, 0, 1, s[16:17]
	v_cndmask_b32_e64 v24, 0, 1, s[18:19]
	v_cndmask_b32_e64 v27, 0, 1, s[20:21]
	v_cndmask_b32_e64 v26, 0, 1, s[22:23]
	v_cndmask_b32_e64 v29, 0, 1, s[24:25]
	v_cndmask_b32_e64 v28, 0, 1, s[26:27]
	v_cndmask_b32_e64 v31, 0, 1, s[28:29]
	v_cmp_ne_u16_e64 s[8:9], v8, v10
	s_mov_b64 s[4:5], -1
.LBB442_59:
                                        ; implicit-def: $sgpr10
	s_branch .LBB442_114
.LBB442_60:
                                        ; implicit-def: $sgpr8_sgpr9
                                        ; implicit-def: $vgpr17
                                        ; implicit-def: $vgpr19
                                        ; implicit-def: $vgpr18
                                        ; implicit-def: $vgpr21
                                        ; implicit-def: $vgpr20
                                        ; implicit-def: $vgpr23
                                        ; implicit-def: $vgpr22
                                        ; implicit-def: $vgpr25
                                        ; implicit-def: $vgpr24
                                        ; implicit-def: $vgpr27
                                        ; implicit-def: $vgpr26
                                        ; implicit-def: $vgpr29
                                        ; implicit-def: $vgpr28
                                        ; implicit-def: $vgpr31
                                        ; implicit-def: $sgpr10
	s_cbranch_execnz .LBB442_79
	s_branch .LBB442_114
.LBB442_61:
	v_add_co_u32_e32 v22, vcc, v8, v11
	v_addc_co_u32_e32 v23, vcc, 0, v9, vcc
	flat_load_ushort v22, v[22:23]
	s_or_b64 exec, exec, s[34:35]
                                        ; implicit-def: $vgpr23
	s_and_saveexec_b64 s[34:35], s[4:5]
	s_cbranch_execz .LBB442_39
.LBB442_62:
	v_add_co_u32_e32 v24, vcc, v8, v11
	v_addc_co_u32_e32 v25, vcc, 0, v9, vcc
	flat_load_ushort v23, v[24:25] offset:512
	s_or_b64 exec, exec, s[34:35]
                                        ; implicit-def: $vgpr24
	s_and_saveexec_b64 s[4:5], s[6:7]
	s_cbranch_execz .LBB442_40
.LBB442_63:
	v_add_co_u32_e32 v24, vcc, v8, v11
	v_addc_co_u32_e32 v25, vcc, 0, v9, vcc
	flat_load_ushort v24, v[24:25] offset:1024
	s_or_b64 exec, exec, s[4:5]
                                        ; implicit-def: $vgpr25
	s_and_saveexec_b64 s[4:5], s[8:9]
	s_cbranch_execz .LBB442_41
.LBB442_64:
	v_add_co_u32_e32 v26, vcc, v8, v11
	v_addc_co_u32_e32 v27, vcc, 0, v9, vcc
	flat_load_ushort v25, v[26:27] offset:1536
	s_or_b64 exec, exec, s[4:5]
                                        ; implicit-def: $vgpr26
	s_and_saveexec_b64 s[4:5], s[10:11]
	s_cbranch_execz .LBB442_42
.LBB442_65:
	v_add_co_u32_e32 v26, vcc, v8, v11
	v_addc_co_u32_e32 v27, vcc, 0, v9, vcc
	flat_load_ushort v26, v[26:27] offset:2048
	s_or_b64 exec, exec, s[4:5]
                                        ; implicit-def: $vgpr27
	s_and_saveexec_b64 s[4:5], s[12:13]
	s_cbranch_execz .LBB442_43
.LBB442_66:
	v_add_co_u32_e32 v28, vcc, v8, v11
	v_addc_co_u32_e32 v29, vcc, 0, v9, vcc
	flat_load_ushort v27, v[28:29] offset:2560
	s_or_b64 exec, exec, s[4:5]
                                        ; implicit-def: $vgpr28
	s_and_saveexec_b64 s[4:5], s[14:15]
	s_cbranch_execz .LBB442_44
.LBB442_67:
	v_add_co_u32_e32 v28, vcc, v8, v11
	v_addc_co_u32_e32 v29, vcc, 0, v9, vcc
	flat_load_ushort v28, v[28:29] offset:3072
	s_or_b64 exec, exec, s[4:5]
                                        ; implicit-def: $vgpr29
	s_and_saveexec_b64 s[4:5], s[16:17]
	s_cbranch_execz .LBB442_45
.LBB442_68:
	v_add_co_u32_e32 v30, vcc, v8, v11
	v_addc_co_u32_e32 v31, vcc, 0, v9, vcc
	flat_load_ushort v29, v[30:31] offset:3584
	s_or_b64 exec, exec, s[4:5]
                                        ; implicit-def: $vgpr30
	s_and_saveexec_b64 s[4:5], s[18:19]
	s_cbranch_execz .LBB442_46
.LBB442_69:
	v_lshlrev_b32_e32 v12, 1, v12
	v_add_co_u32_e32 v30, vcc, v8, v12
	v_addc_co_u32_e32 v31, vcc, 0, v9, vcc
	flat_load_ushort v30, v[30:31]
	s_or_b64 exec, exec, s[4:5]
                                        ; implicit-def: $vgpr31
	s_and_saveexec_b64 s[4:5], s[20:21]
	s_cbranch_execz .LBB442_47
.LBB442_70:
	v_lshlrev_b32_e32 v12, 1, v13
	v_add_co_u32_e32 v12, vcc, v8, v12
	v_addc_co_u32_e32 v13, vcc, 0, v9, vcc
	flat_load_ushort v31, v[12:13]
	s_or_b64 exec, exec, s[4:5]
                                        ; implicit-def: $vgpr13
	s_and_saveexec_b64 s[4:5], s[22:23]
	s_cbranch_execz .LBB442_48
.LBB442_71:
	v_lshlrev_b32_e32 v12, 1, v17
	v_add_co_u32_e32 v12, vcc, v8, v12
	v_addc_co_u32_e32 v13, vcc, 0, v9, vcc
	flat_load_ushort v13, v[12:13]
	s_or_b64 exec, exec, s[4:5]
                                        ; implicit-def: $vgpr17
	s_and_saveexec_b64 s[4:5], s[24:25]
	s_cbranch_execz .LBB442_49
.LBB442_72:
	v_lshlrev_b32_e32 v12, 1, v18
	v_add_co_u32_e32 v32, vcc, v8, v12
	v_addc_co_u32_e32 v33, vcc, 0, v9, vcc
	flat_load_ushort v17, v[32:33]
	s_or_b64 exec, exec, s[4:5]
                                        ; implicit-def: $vgpr18
	s_and_saveexec_b64 s[4:5], s[26:27]
	s_cbranch_execz .LBB442_50
.LBB442_73:
	v_lshlrev_b32_e32 v12, 1, v19
	v_add_co_u32_e32 v18, vcc, v8, v12
	v_addc_co_u32_e32 v19, vcc, 0, v9, vcc
	flat_load_ushort v18, v[18:19]
	s_or_b64 exec, exec, s[4:5]
                                        ; implicit-def: $vgpr19
	s_and_saveexec_b64 s[4:5], s[28:29]
	s_cbranch_execz .LBB442_51
.LBB442_74:
	v_lshlrev_b32_e32 v12, 1, v20
	v_add_co_u32_e32 v32, vcc, v8, v12
	v_addc_co_u32_e32 v33, vcc, 0, v9, vcc
	flat_load_ushort v19, v[32:33]
	s_or_b64 exec, exec, s[4:5]
                                        ; implicit-def: $vgpr20
	s_and_saveexec_b64 s[4:5], s[30:31]
	s_cbranch_execnz .LBB442_52
	s_branch .LBB442_53
.LBB442_75:
                                        ; implicit-def: $sgpr8_sgpr9
                                        ; implicit-def: $vgpr17
                                        ; implicit-def: $vgpr19
                                        ; implicit-def: $vgpr18
                                        ; implicit-def: $vgpr21
                                        ; implicit-def: $vgpr20
                                        ; implicit-def: $vgpr23
                                        ; implicit-def: $vgpr22
                                        ; implicit-def: $vgpr25
                                        ; implicit-def: $vgpr24
                                        ; implicit-def: $vgpr27
                                        ; implicit-def: $vgpr26
                                        ; implicit-def: $vgpr29
                                        ; implicit-def: $vgpr28
                                        ; implicit-def: $vgpr31
	s_cbranch_execz .LBB442_59
; %bb.76:
	v_lshlrev_b32_e32 v8, 1, v0
	v_lshrrev_b32_e32 v9, 16, v16
	s_mov_b32 s6, 0xcccd
	ds_write_b16 v8, v9
	v_mul_u32_u24_sdwa v10, v16, s6 dst_sel:DWORD dst_unused:UNUSED_PAD src0_sel:WORD_0 src1_sel:DWORD
	v_mul_u32_u24_e32 v9, 0xcccd, v9
	v_lshrrev_b32_e32 v10, 19, v10
	v_lshrrev_b32_e32 v9, 19, v9
	v_cmp_ne_u16_e32 vcc, v10, v9
	v_mul_u32_u24_sdwa v9, v15, s6 dst_sel:DWORD dst_unused:UNUSED_PAD src0_sel:WORD_1 src1_sel:DWORD
	v_lshrrev_b32_e32 v9, 19, v9
	v_cndmask_b32_e64 v17, 0, 1, vcc
	v_cmp_ne_u16_e32 vcc, v9, v10
	v_mul_u32_u24_sdwa v10, v15, s6 dst_sel:DWORD dst_unused:UNUSED_PAD src0_sel:WORD_0 src1_sel:DWORD
	v_lshrrev_b32_e32 v10, 19, v10
	v_cndmask_b32_e64 v19, 0, 1, vcc
	v_cmp_ne_u16_e32 vcc, v10, v9
	v_mul_u32_u24_sdwa v9, v14, s6 dst_sel:DWORD dst_unused:UNUSED_PAD src0_sel:WORD_1 src1_sel:DWORD
	v_lshrrev_b32_e32 v9, 19, v9
	v_cndmask_b32_e64 v18, 0, 1, vcc
	v_cmp_ne_u16_e32 vcc, v9, v10
	v_mul_u32_u24_sdwa v10, v14, s6 dst_sel:DWORD dst_unused:UNUSED_PAD src0_sel:WORD_0 src1_sel:DWORD
	v_lshrrev_b32_e32 v10, 19, v10
	v_cndmask_b32_e64 v21, 0, 1, vcc
	;; [unrolled: 8-line block ×6, first 2 shown]
	v_cmp_ne_u16_e32 vcc, v10, v9
	v_mul_u32_u24_sdwa v9, v1, s6 dst_sel:DWORD dst_unused:UNUSED_PAD src0_sel:WORD_0 src1_sel:DWORD
	v_lshrrev_b32_e32 v9, 19, v9
	v_cndmask_b32_e64 v28, 0, 1, vcc
	v_cmp_ne_u16_e32 vcc, v9, v10
	s_mov_b32 s10, 1
	v_cndmask_b32_e64 v31, 0, 1, vcc
	s_waitcnt lgkmcnt(0)
	s_barrier
	s_waitcnt lgkmcnt(0)
                                        ; implicit-def: $sgpr8_sgpr9
	s_and_saveexec_b64 s[6:7], s[2:3]
	s_xor_b64 s[6:7], exec, s[6:7]
	s_cbranch_execz .LBB442_78
; %bb.77:
	v_add_u32_e32 v8, -2, v8
	ds_read_u16 v8, v8
	s_or_b64 s[4:5], s[4:5], exec
	s_waitcnt lgkmcnt(0)
	v_mul_u32_u24_e32 v8, 0xcccd, v8
	v_lshrrev_b32_e32 v8, 19, v8
	v_cmp_ne_u16_e32 vcc, v8, v9
	s_and_b64 s[8:9], vcc, exec
.LBB442_78:
	s_or_b64 exec, exec, s[6:7]
	s_branch .LBB442_114
.LBB442_79:
	s_mul_hi_u32 s7, s40, 0xfffff100
	s_mul_i32 s6, s41, 0xfffff100
	s_sub_i32 s7, s7, s40
	s_add_i32 s7, s7, s6
	s_mul_i32 s6, s40, 0xfffff100
	s_add_u32 s6, s6, s56
	s_addc_u32 s7, s7, s57
	s_and_b64 vcc, exec, s[30:31]
	s_cbranch_vccz .LBB442_223
; %bb.80:
	v_add_co_u32_e32 v6, vcc, -2, v6
	v_addc_co_u32_e32 v7, vcc, -1, v7, vcc
	flat_load_ushort v8, v[6:7]
	v_mad_u32_u24 v18, v0, 15, 14
	v_mov_b32_e32 v19, 0
	v_lshlrev_b32_e32 v7, 1, v0
	v_lshrrev_b32_e32 v9, 16, v16
	v_mul_u32_u24_e32 v6, 15, v0
	v_cmp_gt_u64_e32 vcc, s[6:7], v[18:19]
	v_mov_b32_e32 v17, 0
	ds_write_b16 v7, v9
	s_and_saveexec_b64 s[4:5], vcc
; %bb.81:
	s_mov_b32 s8, 0xcccd
	v_mul_u32_u24_sdwa v10, v16, s8 dst_sel:DWORD dst_unused:UNUSED_PAD src0_sel:WORD_0 src1_sel:DWORD
	v_mul_u32_u24_sdwa v9, v9, s8 dst_sel:DWORD dst_unused:UNUSED_PAD src0_sel:WORD_0 src1_sel:DWORD
	v_lshrrev_b32_e32 v10, 19, v10
	v_lshrrev_b32_e32 v9, 19, v9
	v_cmp_ne_u16_e32 vcc, v10, v9
	v_cndmask_b32_e64 v17, 0, 1, vcc
; %bb.82:
	s_or_b64 exec, exec, s[4:5]
	v_add_u32_e32 v18, 13, v6
	v_cmp_gt_u64_e32 vcc, s[6:7], v[18:19]
	s_and_saveexec_b64 s[4:5], vcc
; %bb.83:
	s_mov_b32 s8, 0xcccd
	v_mul_u32_u24_sdwa v9, v15, s8 dst_sel:DWORD dst_unused:UNUSED_PAD src0_sel:WORD_1 src1_sel:DWORD
	v_mul_u32_u24_sdwa v10, v16, s8 dst_sel:DWORD dst_unused:UNUSED_PAD src0_sel:WORD_0 src1_sel:DWORD
	v_lshrrev_b32_e32 v9, 19, v9
	v_lshrrev_b32_e32 v10, 19, v10
	v_cmp_ne_u16_e32 vcc, v9, v10
	v_cndmask_b32_e64 v19, 0, 1, vcc
; %bb.84:
	s_or_b64 exec, exec, s[4:5]
	v_add_u32_e32 v20, 12, v6
	v_mov_b32_e32 v21, 0
	v_cmp_gt_u64_e32 vcc, s[6:7], v[20:21]
	v_mov_b32_e32 v18, 0
	s_and_saveexec_b64 s[4:5], vcc
; %bb.85:
	s_mov_b32 s8, 0xcccd
	v_mul_u32_u24_sdwa v9, v15, s8 dst_sel:DWORD dst_unused:UNUSED_PAD src0_sel:WORD_0 src1_sel:DWORD
	v_mul_u32_u24_sdwa v10, v15, s8 dst_sel:DWORD dst_unused:UNUSED_PAD src0_sel:WORD_1 src1_sel:DWORD
	v_lshrrev_b32_e32 v9, 19, v9
	v_lshrrev_b32_e32 v10, 19, v10
	v_cmp_ne_u16_e32 vcc, v9, v10
	v_cndmask_b32_e64 v18, 0, 1, vcc
; %bb.86:
	s_or_b64 exec, exec, s[4:5]
	v_add_u32_e32 v20, 11, v6
	v_cmp_gt_u64_e32 vcc, s[6:7], v[20:21]
	s_and_saveexec_b64 s[4:5], vcc
; %bb.87:
	s_mov_b32 s8, 0xcccd
	v_mul_u32_u24_sdwa v9, v14, s8 dst_sel:DWORD dst_unused:UNUSED_PAD src0_sel:WORD_1 src1_sel:DWORD
	v_mul_u32_u24_sdwa v10, v15, s8 dst_sel:DWORD dst_unused:UNUSED_PAD src0_sel:WORD_0 src1_sel:DWORD
	v_lshrrev_b32_e32 v9, 19, v9
	v_lshrrev_b32_e32 v10, 19, v10
	v_cmp_ne_u16_e32 vcc, v9, v10
	v_cndmask_b32_e64 v21, 0, 1, vcc
; %bb.88:
	s_or_b64 exec, exec, s[4:5]
	v_add_u32_e32 v22, 10, v6
	v_mov_b32_e32 v23, 0
	v_cmp_gt_u64_e32 vcc, s[6:7], v[22:23]
	v_mov_b32_e32 v20, 0
	s_and_saveexec_b64 s[4:5], vcc
; %bb.89:
	s_mov_b32 s8, 0xcccd
	v_mul_u32_u24_sdwa v9, v14, s8 dst_sel:DWORD dst_unused:UNUSED_PAD src0_sel:WORD_0 src1_sel:DWORD
	v_mul_u32_u24_sdwa v10, v14, s8 dst_sel:DWORD dst_unused:UNUSED_PAD src0_sel:WORD_1 src1_sel:DWORD
	;; [unrolled: 28-line block ×6, first 2 shown]
	v_lshrrev_b32_e32 v9, 19, v9
	v_lshrrev_b32_e32 v10, 19, v10
	v_cmp_ne_u16_e32 vcc, v9, v10
	v_cndmask_b32_e64 v28, 0, 1, vcc
; %bb.106:
	s_or_b64 exec, exec, s[4:5]
	v_add_u32_e32 v30, 1, v6
	v_cmp_gt_u64_e32 vcc, s[6:7], v[30:31]
	s_and_saveexec_b64 s[4:5], vcc
; %bb.107:
	s_mov_b32 s8, 0xcccd
	v_mul_u32_u24_sdwa v9, v1, s8 dst_sel:DWORD dst_unused:UNUSED_PAD src0_sel:WORD_0 src1_sel:DWORD
	v_mul_u32_u24_sdwa v10, v2, s8 dst_sel:DWORD dst_unused:UNUSED_PAD src0_sel:WORD_0 src1_sel:DWORD
	v_lshrrev_b32_e32 v9, 19, v9
	v_lshrrev_b32_e32 v10, 19, v10
	v_cmp_ne_u16_e32 vcc, v9, v10
	v_cndmask_b32_e64 v31, 0, 1, vcc
; %bb.108:
	s_or_b64 exec, exec, s[4:5]
	s_waitcnt lgkmcnt(0)
	s_barrier
	s_and_saveexec_b64 s[4:5], s[2:3]
	s_cbranch_execz .LBB442_110
; %bb.109:
	v_add_u32_e32 v7, -2, v7
	s_waitcnt vmcnt(0)
	ds_read_u16 v8, v7
.LBB442_110:
	s_or_b64 exec, exec, s[4:5]
	v_mov_b32_e32 v7, 0
	v_cmp_gt_u64_e32 vcc, s[6:7], v[6:7]
	s_mov_b64 s[10:11], 0
	s_mov_b64 s[8:9], 0
	s_and_saveexec_b64 s[4:5], vcc
	s_cbranch_execz .LBB442_112
; %bb.111:
	s_mov_b32 s8, 0xcccd
	s_waitcnt vmcnt(0) lgkmcnt(0)
	v_mul_u32_u24_sdwa v6, v8, s8 dst_sel:DWORD dst_unused:UNUSED_PAD src0_sel:WORD_0 src1_sel:DWORD
	v_mul_u32_u24_sdwa v7, v1, s8 dst_sel:DWORD dst_unused:UNUSED_PAD src0_sel:WORD_0 src1_sel:DWORD
	v_lshrrev_b32_e32 v6, 19, v6
	v_lshrrev_b32_e32 v7, 19, v7
	v_cmp_ne_u16_e32 vcc, v6, v7
	s_and_b64 s[8:9], vcc, exec
.LBB442_112:
	s_or_b64 exec, exec, s[4:5]
	s_mov_b64 s[4:5], -1
	s_and_b64 vcc, exec, s[10:11]
	s_cbranch_vccnz .LBB442_224
.LBB442_113:
                                        ; implicit-def: $sgpr10
.LBB442_114:
	v_mov_b32_e32 v78, s10
	s_and_saveexec_b64 s[2:3], s[4:5]
.LBB442_115:
	v_cndmask_b32_e64 v78, 0, 1, s[8:9]
.LBB442_116:
	s_or_b64 exec, exec, s[2:3]
	s_cmp_eq_u64 s[46:47], 0
	v_add3_u32 v6, v31, v78, v28
	s_cselect_b64 s[30:31], -1, 0
	s_cmp_lg_u32 s62, 0
	v_cmp_eq_u32_e64 s[26:27], 0, v31
	v_cmp_eq_u32_e64 s[24:25], 0, v28
	;; [unrolled: 1-line block ×3, first 2 shown]
	v_add3_u32 v83, v6, v29, v26
	v_cmp_eq_u32_e64 s[20:21], 0, v26
	v_cmp_eq_u32_e64 s[18:19], 0, v27
	;; [unrolled: 1-line block ×10, first 2 shown]
	v_cmp_eq_u32_e32 vcc, 0, v17
	v_mbcnt_lo_u32_b32 v82, -1, 0
	v_lshrrev_b32_e32 v80, 6, v0
	v_or_b32_e32 v81, 63, v0
	s_cbranch_scc0 .LBB442_147
; %bb.117:
	v_cndmask_b32_e64 v6, 0, v76, s[26:27]
	v_add_u16_e32 v6, v6, v75
	v_cndmask_b32_e64 v6, 0, v6, s[24:25]
	v_add_u16_e32 v6, v6, v77
	;; [unrolled: 2-line block ×11, first 2 shown]
	v_cndmask_b32_e64 v6, 0, v6, s[4:5]
	v_add3_u32 v7, v83, v27, v24
	v_add_u16_e32 v6, v6, v66
	v_add3_u32 v7, v7, v25, v22
	v_cndmask_b32_e64 v6, 0, v6, s[2:3]
	v_add3_u32 v7, v7, v23, v20
	v_add_u16_e32 v6, v6, v64
	v_add3_u32 v7, v7, v21, v18
	v_cndmask_b32_e32 v6, 0, v6, vcc
	v_add3_u32 v7, v7, v19, v17
	v_add_u16_e32 v6, v6, v79
	v_mbcnt_hi_u32_b32 v33, -1, v82
	s_waitcnt vmcnt(0) lgkmcnt(0)
	v_and_b32_e32 v8, 15, v33
	v_mov_b32_dpp v10, v6 row_shr:1 row_mask:0xf bank_mask:0xf
	v_cmp_eq_u32_e32 vcc, 0, v7
	v_mov_b32_dpp v9, v7 row_shr:1 row_mask:0xf bank_mask:0xf
	v_cndmask_b32_e32 v10, 0, v10, vcc
	v_cmp_eq_u32_e32 vcc, 0, v8
	v_add_u16_e32 v10, v10, v6
	v_cndmask_b32_e64 v9, v9, 0, vcc
	v_add_u32_e32 v7, v9, v7
	v_cndmask_b32_e32 v6, v10, v6, vcc
	v_cmp_eq_u32_e32 vcc, 0, v7
	v_mov_b32_dpp v9, v7 row_shr:2 row_mask:0xf bank_mask:0xf
	v_mov_b32_dpp v10, v6 row_shr:2 row_mask:0xf bank_mask:0xf
	v_cndmask_b32_e32 v10, 0, v10, vcc
	v_cmp_lt_u32_e32 vcc, 1, v8
	v_add_u16_e32 v10, v10, v6
	v_cndmask_b32_e32 v9, 0, v9, vcc
	v_cndmask_b32_e32 v6, v6, v10, vcc
	v_add_u32_e32 v7, v7, v9
	v_cmp_eq_u32_e32 vcc, 0, v7
	v_mov_b32_dpp v10, v6 row_shr:4 row_mask:0xf bank_mask:0xf
	v_mov_b32_dpp v9, v7 row_shr:4 row_mask:0xf bank_mask:0xf
	v_cndmask_b32_e32 v10, 0, v10, vcc
	v_cmp_lt_u32_e32 vcc, 3, v8
	v_add_u16_e32 v10, v10, v6
	v_cndmask_b32_e32 v9, 0, v9, vcc
	v_cndmask_b32_e32 v6, v6, v10, vcc
	v_add_u32_e32 v7, v9, v7
	;; [unrolled: 9-line block ×3, first 2 shown]
	v_bfe_i32 v10, v33, 4, 1
	v_mov_b32_dpp v9, v6 row_bcast:15 row_mask:0xf bank_mask:0xf
	v_mov_b32_dpp v8, v7 row_bcast:15 row_mask:0xf bank_mask:0xf
	v_cmp_eq_u32_e32 vcc, 0, v7
	v_and_b32_e32 v11, 16, v33
	v_cndmask_b32_e32 v9, 0, v9, vcc
	v_and_b32_e32 v8, v10, v8
	v_add_u16_e32 v9, v9, v6
	v_add_u32_e32 v7, v8, v7
	v_cmp_eq_u32_e32 vcc, 0, v11
	v_cndmask_b32_e32 v8, v9, v6, vcc
	v_mov_b32_dpp v6, v7 row_bcast:31 row_mask:0xf bank_mask:0xf
	v_cmp_eq_u32_e32 vcc, 0, v7
	v_cmp_lt_u32_e64 s[28:29], 31, v33
	v_mov_b32_dpp v9, v8 row_bcast:31 row_mask:0xf bank_mask:0xf
	v_cndmask_b32_e64 v6, 0, v6, s[28:29]
	s_and_b64 vcc, s[28:29], vcc
	v_add_u32_e32 v6, v6, v7
	v_cndmask_b32_e32 v7, 0, v9, vcc
	v_add_u16_e32 v7, v7, v8
	v_cmp_eq_u32_e32 vcc, v81, v0
	v_lshlrev_b32_e32 v8, 3, v80
	s_and_saveexec_b64 s[28:29], vcc
	s_cbranch_execz .LBB442_119
; %bb.118:
	ds_write_b32 v8, v6 offset:1040
	ds_write_b16 v8, v7 offset:1044
.LBB442_119:
	s_or_b64 exec, exec, s[28:29]
	v_cmp_gt_u32_e32 vcc, 4, v0
	s_waitcnt lgkmcnt(0)
	s_barrier
	s_and_saveexec_b64 s[34:35], vcc
	s_cbranch_execz .LBB442_121
; %bb.120:
	v_lshlrev_b32_e32 v9, 3, v0
	ds_read_b64 v[10:11], v9 offset:1040
	v_and_b32_e32 v12, 3, v33
	s_mov_b32 s28, 0xffff0000
	s_waitcnt lgkmcnt(0)
	v_mov_b32_dpp v30, v11 row_shr:1 row_mask:0xf bank_mask:0xf
	v_cmp_eq_u32_e32 vcc, 0, v10
	v_mov_b32_dpp v13, v10 row_shr:1 row_mask:0xf bank_mask:0xf
	v_cndmask_b32_e32 v30, 0, v30, vcc
	v_cmp_eq_u32_e32 vcc, 0, v12
	v_add_u16_e32 v30, v30, v11
	v_cndmask_b32_e64 v13, v13, 0, vcc
	v_and_or_b32 v32, v11, s28, v30
	v_add_u32_e32 v10, v13, v10
	v_cndmask_b32_e32 v13, v30, v11, vcc
	v_cndmask_b32_e32 v11, v32, v11, vcc
	v_mov_b32_dpp v30, v10 row_shr:2 row_mask:0xf bank_mask:0xf
	v_cmp_eq_u32_e32 vcc, 0, v10
	v_cmp_lt_u32_e64 s[28:29], 1, v12
	v_mov_b32_dpp v11, v11 row_shr:2 row_mask:0xf bank_mask:0xf
	v_cndmask_b32_e64 v12, 0, v30, s[28:29]
	s_and_b64 vcc, s[28:29], vcc
	v_add_u32_e32 v10, v12, v10
	v_cndmask_b32_e32 v11, 0, v11, vcc
	v_add_u16_e32 v11, v13, v11
	ds_write_b32 v9, v10 offset:1040
	ds_write_b16 v9, v11 offset:1044
.LBB442_121:
	s_or_b64 exec, exec, s[34:35]
	v_cmp_gt_u32_e32 vcc, 64, v0
	v_cmp_lt_u32_e64 s[28:29], 63, v0
	v_mov_b32_e32 v30, 0
	v_mov_b32_e32 v36, 0
	s_waitcnt lgkmcnt(0)
	s_barrier
	s_and_saveexec_b64 s[34:35], s[28:29]
	s_cbranch_execz .LBB442_123
; %bb.122:
	ds_read_b32 v30, v8 offset:1032
	ds_read_u16 v36, v8 offset:1036
	v_cmp_eq_u32_e64 s[28:29], 0, v6
	s_waitcnt lgkmcnt(1)
	v_add_u32_e32 v8, v30, v6
	s_waitcnt lgkmcnt(0)
	v_cndmask_b32_e64 v6, 0, v36, s[28:29]
	v_add_u16_e32 v7, v6, v7
	v_mov_b32_e32 v6, v8
.LBB442_123:
	s_or_b64 exec, exec, s[34:35]
	v_add_u32_e32 v8, -1, v33
	v_and_b32_e32 v9, 64, v33
	v_cmp_lt_i32_e64 s[28:29], v8, v9
	v_cndmask_b32_e64 v8, v8, v33, s[28:29]
	v_and_b32_e32 v7, 0xffff, v7
	v_lshlrev_b32_e32 v8, 2, v8
	ds_bpermute_b32 v37, v8, v6
	ds_bpermute_b32 v38, v8, v7
	v_cmp_eq_u32_e64 s[28:29], 0, v33
	s_and_saveexec_b64 s[34:35], vcc
	s_cbranch_execz .LBB442_146
; %bb.124:
	v_mov_b32_e32 v9, 0
	ds_read_b64 v[6:7], v9 offset:1064
	s_waitcnt lgkmcnt(0)
	v_readfirstlane_b32 s48, v7
	s_and_saveexec_b64 s[40:41], s[28:29]
	s_cbranch_execz .LBB442_126
; %bb.125:
	s_add_i32 s46, s62, 64
	s_mov_b32 s47, 0
	s_lshl_b64 s[50:51], s[46:47], 4
	s_add_u32 s50, s44, s50
	s_addc_u32 s51, s45, s51
	s_and_b32 s57, s48, 0xff000000
	s_mov_b32 s56, s47
	s_and_b32 s65, s48, 0xff0000
	s_mov_b32 s64, s47
	s_or_b64 s[56:57], s[64:65], s[56:57]
	s_and_b32 s65, s48, 0xff00
	s_or_b64 s[56:57], s[56:57], s[64:65]
	s_and_b32 s65, s48, 0xff
	s_or_b64 s[46:47], s[56:57], s[64:65]
	v_mov_b32_e32 v7, s47
	v_mov_b32_e32 v8, 1
	v_pk_mov_b32 v[10:11], s[50:51], s[50:51] op_sel:[0,1]
	;;#ASMSTART
	global_store_dwordx4 v[10:11], v[6:9] off	
s_waitcnt vmcnt(0)
	;;#ASMEND
.LBB442_126:
	s_or_b64 exec, exec, s[40:41]
	v_xad_u32 v32, v33, -1, s62
	v_add_u32_e32 v8, 64, v32
	v_lshlrev_b64 v[10:11], 4, v[8:9]
	v_mov_b32_e32 v7, s45
	v_add_co_u32_e32 v34, vcc, s44, v10
	v_addc_co_u32_e32 v35, vcc, v7, v11, vcc
	;;#ASMSTART
	global_load_dwordx4 v[10:13], v[34:35] off glc	
s_waitcnt vmcnt(0)
	;;#ASMEND
	v_and_b32_e32 v7, 0xffffff, v10
	v_and_b32_e32 v8, 0xff000000, v10
	v_or_b32_e32 v7, v7, v8
	v_and_b32_e32 v8, 0xff, v11
	v_and_b32_e32 v10, 0xff00, v11
	v_or3_b32 v11, 0, v8, v10
	v_or3_b32 v10, v7, 0, 0
	v_cmp_eq_u16_sdwa s[46:47], v12, v9 src0_sel:BYTE_0 src1_sel:DWORD
	s_and_saveexec_b64 s[40:41], s[46:47]
	s_cbranch_execz .LBB442_132
; %bb.127:
	s_mov_b32 s49, 1
	s_mov_b64 s[46:47], 0
	v_mov_b32_e32 v7, 0
.LBB442_128:                            ; =>This Loop Header: Depth=1
                                        ;     Child Loop BB442_129 Depth 2
	s_max_u32 s50, s49, 1
.LBB442_129:                            ;   Parent Loop BB442_128 Depth=1
                                        ; =>  This Inner Loop Header: Depth=2
	s_add_i32 s50, s50, -1
	s_cmp_eq_u32 s50, 0
	s_sleep 1
	s_cbranch_scc0 .LBB442_129
; %bb.130:                              ;   in Loop: Header=BB442_128 Depth=1
	s_cmp_lt_u32 s49, 32
	s_cselect_b64 s[50:51], -1, 0
	s_cmp_lg_u64 s[50:51], 0
	s_addc_u32 s49, s49, 0
	;;#ASMSTART
	global_load_dwordx4 v[10:13], v[34:35] off glc	
s_waitcnt vmcnt(0)
	;;#ASMEND
	v_cmp_ne_u16_sdwa s[50:51], v12, v7 src0_sel:BYTE_0 src1_sel:DWORD
	s_or_b64 s[46:47], s[50:51], s[46:47]
	s_andn2_b64 exec, exec, s[46:47]
	s_cbranch_execnz .LBB442_128
; %bb.131:
	s_or_b64 exec, exec, s[46:47]
	v_and_b32_e32 v11, 0xffff, v11
.LBB442_132:
	s_or_b64 exec, exec, s[40:41]
	v_mov_b32_e32 v7, 2
	v_and_b32_e32 v39, 63, v33
	v_cmp_eq_u16_sdwa s[40:41], v12, v7 src0_sel:BYTE_0 src1_sel:DWORD
	v_lshlrev_b64 v[8:9], v33, -1
	v_cmp_ne_u32_e32 vcc, 63, v39
	v_and_b32_e32 v13, s41, v9
	v_addc_co_u32_e32 v35, vcc, 0, v33, vcc
	v_or_b32_e32 v13, 0x80000000, v13
	v_lshlrev_b32_e32 v40, 2, v35
	v_and_b32_e32 v34, s40, v8
	v_ffbl_b32_e32 v13, v13
	ds_bpermute_b32 v35, v40, v11
	v_add_u32_e32 v13, 32, v13
	v_ffbl_b32_e32 v34, v34
	v_min_u32_e32 v13, v34, v13
	ds_bpermute_b32 v34, v40, v10
	v_cmp_eq_u32_e32 vcc, 0, v10
	s_waitcnt lgkmcnt(1)
	v_cndmask_b32_e32 v35, 0, v35, vcc
	v_add_u16_e32 v35, v35, v11
	v_cmp_lt_u32_e32 vcc, v39, v13
	v_cndmask_b32_e32 v11, v11, v35, vcc
	s_waitcnt lgkmcnt(0)
	v_cndmask_b32_e32 v34, 0, v34, vcc
	v_cmp_gt_u32_e32 vcc, 62, v39
	v_cndmask_b32_e64 v35, 0, 1, vcc
	v_lshlrev_b32_e32 v35, 1, v35
	v_add_lshl_u32 v41, v35, v33, 2
	ds_bpermute_b32 v35, v41, v11
	v_add_u32_e32 v10, v34, v10
	ds_bpermute_b32 v34, v41, v10
	v_cmp_eq_u32_e32 vcc, 0, v10
	v_add_u32_e32 v42, 2, v39
	s_waitcnt lgkmcnt(1)
	v_cndmask_b32_e32 v35, 0, v35, vcc
	v_add_u16_e32 v35, v35, v11
	v_cmp_gt_u32_e32 vcc, v42, v13
	v_cndmask_b32_e32 v11, v35, v11, vcc
	s_waitcnt lgkmcnt(0)
	v_cndmask_b32_e64 v34, v34, 0, vcc
	v_cmp_gt_u32_e32 vcc, 60, v39
	v_cndmask_b32_e64 v35, 0, 1, vcc
	v_lshlrev_b32_e32 v35, 2, v35
	v_add_lshl_u32 v43, v35, v33, 2
	ds_bpermute_b32 v35, v43, v11
	v_add_u32_e32 v10, v10, v34
	ds_bpermute_b32 v34, v43, v10
	v_cmp_eq_u32_e32 vcc, 0, v10
	v_add_u32_e32 v44, 4, v39
	s_waitcnt lgkmcnt(1)
	v_cndmask_b32_e32 v35, 0, v35, vcc
	v_add_u16_e32 v35, v11, v35
	v_cmp_gt_u32_e32 vcc, v44, v13
	v_cndmask_b32_e32 v11, v35, v11, vcc
	s_waitcnt lgkmcnt(0)
	v_cndmask_b32_e64 v34, v34, 0, vcc
	;; [unrolled: 16-line block ×4, first 2 shown]
	v_cmp_gt_u32_e32 vcc, 32, v39
	v_cndmask_b32_e64 v35, 0, 1, vcc
	v_lshlrev_b32_e32 v35, 5, v35
	v_add_lshl_u32 v51, v35, v33, 2
	ds_bpermute_b32 v33, v51, v11
	v_add_u32_e32 v10, v10, v34
	ds_bpermute_b32 v34, v51, v10
	v_add_u32_e32 v52, 32, v39
	v_cmp_eq_u32_e32 vcc, 0, v10
	s_waitcnt lgkmcnt(1)
	v_cndmask_b32_e32 v33, 0, v33, vcc
	v_cmp_gt_u32_e32 vcc, v52, v13
	v_cndmask_b32_e64 v13, v33, 0, vcc
	v_add_u16_e32 v11, v11, v13
	s_waitcnt lgkmcnt(0)
	v_cndmask_b32_e64 v13, v34, 0, vcc
	v_add_u32_e32 v10, v13, v10
	v_mov_b32_e32 v33, 0
	s_branch .LBB442_134
.LBB442_133:                            ;   in Loop: Header=BB442_134 Depth=1
	s_or_b64 exec, exec, s[40:41]
	v_cmp_eq_u16_sdwa s[40:41], v12, v7 src0_sel:BYTE_0 src1_sel:DWORD
	ds_bpermute_b32 v35, v40, v11
	v_and_b32_e32 v13, s41, v9
	v_or_b32_e32 v13, 0x80000000, v13
	v_and_b32_e32 v34, s40, v8
	v_ffbl_b32_e32 v13, v13
	v_add_u32_e32 v13, 32, v13
	v_ffbl_b32_e32 v34, v34
	v_cmp_eq_u32_e32 vcc, 0, v10
	v_min_u32_e32 v13, v34, v13
	ds_bpermute_b32 v34, v40, v10
	s_waitcnt lgkmcnt(1)
	v_cndmask_b32_e32 v35, 0, v35, vcc
	v_add_u16_e32 v35, v35, v11
	v_cmp_lt_u32_e32 vcc, v39, v13
	v_cndmask_b32_e32 v11, v11, v35, vcc
	ds_bpermute_b32 v35, v41, v11
	s_waitcnt lgkmcnt(1)
	v_cndmask_b32_e32 v34, 0, v34, vcc
	v_add_u32_e32 v10, v34, v10
	v_cmp_eq_u32_e32 vcc, 0, v10
	ds_bpermute_b32 v34, v41, v10
	s_waitcnt lgkmcnt(1)
	v_cndmask_b32_e32 v35, 0, v35, vcc
	v_add_u16_e32 v35, v35, v11
	v_cmp_gt_u32_e32 vcc, v42, v13
	v_cndmask_b32_e32 v11, v35, v11, vcc
	ds_bpermute_b32 v35, v43, v11
	s_waitcnt lgkmcnt(1)
	v_cndmask_b32_e64 v34, v34, 0, vcc
	v_add_u32_e32 v10, v10, v34
	v_cmp_eq_u32_e32 vcc, 0, v10
	ds_bpermute_b32 v34, v43, v10
	s_waitcnt lgkmcnt(1)
	v_cndmask_b32_e32 v35, 0, v35, vcc
	v_add_u16_e32 v35, v11, v35
	v_cmp_gt_u32_e32 vcc, v44, v13
	v_cndmask_b32_e32 v11, v35, v11, vcc
	ds_bpermute_b32 v35, v45, v11
	s_waitcnt lgkmcnt(1)
	v_cndmask_b32_e64 v34, v34, 0, vcc
	v_add_u32_e32 v10, v10, v34
	ds_bpermute_b32 v34, v45, v10
	v_cmp_eq_u32_e32 vcc, 0, v10
	s_waitcnt lgkmcnt(1)
	v_cndmask_b32_e32 v35, 0, v35, vcc
	v_add_u16_e32 v35, v11, v35
	v_cmp_gt_u32_e32 vcc, v46, v13
	v_cndmask_b32_e32 v11, v35, v11, vcc
	ds_bpermute_b32 v35, v48, v11
	s_waitcnt lgkmcnt(1)
	v_cndmask_b32_e64 v34, v34, 0, vcc
	v_add_u32_e32 v10, v10, v34
	ds_bpermute_b32 v34, v48, v10
	v_cmp_eq_u32_e32 vcc, 0, v10
	;; [unrolled: 11-line block ×3, first 2 shown]
	s_waitcnt lgkmcnt(1)
	v_cndmask_b32_e32 v35, 0, v35, vcc
	v_cmp_gt_u32_e32 vcc, v52, v13
	v_cndmask_b32_e64 v13, v35, 0, vcc
	v_add_u16_e32 v11, v11, v13
	s_waitcnt lgkmcnt(0)
	v_cndmask_b32_e64 v13, v34, 0, vcc
	v_cmp_eq_u32_e32 vcc, 0, v49
	v_cndmask_b32_e32 v11, 0, v11, vcc
	v_subrev_u32_e32 v32, 64, v32
	v_add3_u32 v10, v10, v49, v13
	v_add_u16_e32 v11, v11, v47
.LBB442_134:                            ; =>This Loop Header: Depth=1
                                        ;     Child Loop BB442_137 Depth 2
                                        ;       Child Loop BB442_138 Depth 3
	v_cmp_ne_u16_sdwa s[40:41], v12, v7 src0_sel:BYTE_0 src1_sel:DWORD
	v_mov_b32_e32 v47, v11
	v_cndmask_b32_e64 v11, 0, 1, s[40:41]
	;;#ASMSTART
	;;#ASMEND
	v_cmp_ne_u32_e32 vcc, 0, v11
	s_cmp_lg_u64 vcc, exec
	v_mov_b32_e32 v49, v10
	s_cbranch_scc1 .LBB442_141
; %bb.135:                              ;   in Loop: Header=BB442_134 Depth=1
	v_lshlrev_b64 v[10:11], 4, v[32:33]
	v_mov_b32_e32 v12, s45
	v_add_co_u32_e32 v34, vcc, s44, v10
	v_addc_co_u32_e32 v35, vcc, v12, v11, vcc
	;;#ASMSTART
	global_load_dwordx4 v[10:13], v[34:35] off glc	
s_waitcnt vmcnt(0)
	;;#ASMEND
	v_and_b32_e32 v13, 0xffffff, v10
	v_and_b32_e32 v10, 0xff000000, v10
	v_or_b32_e32 v10, v13, v10
	v_and_b32_e32 v13, 0xff, v11
	v_and_b32_e32 v11, 0xff00, v11
	v_or3_b32 v11, 0, v13, v11
	v_or3_b32 v10, v10, 0, 0
	v_cmp_eq_u16_sdwa s[46:47], v12, v33 src0_sel:BYTE_0 src1_sel:DWORD
	s_and_saveexec_b64 s[40:41], s[46:47]
	s_cbranch_execz .LBB442_133
; %bb.136:                              ;   in Loop: Header=BB442_134 Depth=1
	s_mov_b32 s49, 1
	s_mov_b64 s[46:47], 0
.LBB442_137:                            ;   Parent Loop BB442_134 Depth=1
                                        ; =>  This Loop Header: Depth=2
                                        ;       Child Loop BB442_138 Depth 3
	s_max_u32 s50, s49, 1
.LBB442_138:                            ;   Parent Loop BB442_134 Depth=1
                                        ;     Parent Loop BB442_137 Depth=2
                                        ; =>    This Inner Loop Header: Depth=3
	s_add_i32 s50, s50, -1
	s_cmp_eq_u32 s50, 0
	s_sleep 1
	s_cbranch_scc0 .LBB442_138
; %bb.139:                              ;   in Loop: Header=BB442_137 Depth=2
	s_cmp_lt_u32 s49, 32
	s_cselect_b64 s[50:51], -1, 0
	s_cmp_lg_u64 s[50:51], 0
	s_addc_u32 s49, s49, 0
	;;#ASMSTART
	global_load_dwordx4 v[10:13], v[34:35] off glc	
s_waitcnt vmcnt(0)
	;;#ASMEND
	v_cmp_ne_u16_sdwa s[50:51], v12, v33 src0_sel:BYTE_0 src1_sel:DWORD
	s_or_b64 s[46:47], s[50:51], s[46:47]
	s_andn2_b64 exec, exec, s[46:47]
	s_cbranch_execnz .LBB442_137
; %bb.140:                              ;   in Loop: Header=BB442_134 Depth=1
	s_or_b64 exec, exec, s[46:47]
	v_and_b32_e32 v11, 0xffff, v11
	s_branch .LBB442_133
.LBB442_141:                            ;   in Loop: Header=BB442_134 Depth=1
                                        ; implicit-def: $vgpr11
                                        ; implicit-def: $vgpr10
                                        ; implicit-def: $vgpr12
	s_cbranch_execz .LBB442_134
; %bb.142:
	s_and_saveexec_b64 s[40:41], s[28:29]
	s_cbranch_execz .LBB442_144
; %bb.143:
	s_mov_b32 s47, 0
	v_cmp_eq_u32_e32 vcc, 0, v6
	s_add_i32 s46, s62, 64
	v_cndmask_b32_e32 v7, 0, v47, vcc
	s_lshl_b64 s[46:47], s[46:47], 4
	v_add_u16_e32 v7, s48, v7
	s_add_u32 s46, s44, s46
	s_addc_u32 s47, s45, s47
	v_and_b32_e32 v9, 0xff00, v7
	v_add_u32_e32 v8, v49, v6
	v_mov_b32_e32 v11, 0
	v_or_b32_sdwa v9, v9, v7 dst_sel:DWORD dst_unused:UNUSED_PAD src0_sel:DWORD src1_sel:BYTE_0
	v_mov_b32_e32 v10, 2
	v_pk_mov_b32 v[12:13], s[46:47], s[46:47] op_sel:[0,1]
	;;#ASMSTART
	global_store_dwordx4 v[12:13], v[8:11] off	
s_waitcnt vmcnt(0)
	;;#ASMEND
	v_mov_b32_e32 v7, s48
	s_movk_i32 s46, 0x400
	ds_write_b16 v11, v7 offset:1028
	v_add_u32_e64 v7, s46, 0
	ds_write2_b32 v7, v6, v49 offset1:2
	ds_write_b16 v11, v47 offset:1036
.LBB442_144:
	s_or_b64 exec, exec, s[40:41]
	s_and_b64 exec, exec, s[0:1]
	s_cbranch_execz .LBB442_146
; %bb.145:
	v_mov_b32_e32 v6, 0
	ds_write_b32 v6, v49 offset:1064
	ds_write_b16 v6, v47 offset:1068
.LBB442_146:
	s_or_b64 exec, exec, s[34:35]
	v_mov_b32_e32 v8, 0
	s_waitcnt lgkmcnt(0)
	s_barrier
	ds_read_b64 v[6:7], v8 offset:1064
	v_cndmask_b32_e64 v10, v37, v30, s[28:29]
	v_cmp_eq_u32_e32 vcc, 0, v10
	v_cndmask_b32_e64 v9, v38, v36, s[28:29]
	s_waitcnt lgkmcnt(0)
	v_cndmask_b32_e32 v11, 0, v7, vcc
	v_add_u16_e32 v9, v11, v9
	v_cndmask_b32_e64 v7, v9, v7, s[0:1]
	v_cndmask_b32_e64 v9, v10, 0, s[0:1]
	v_cmp_eq_u32_e32 vcc, 0, v78
	v_add_u32_e32 v62, v6, v9
	v_cndmask_b32_e32 v6, 0, v7, vcc
	v_add_u16_e32 v61, v6, v76
	v_cndmask_b32_e64 v6, 0, v61, s[26:27]
	v_add_u16_e32 v59, v6, v75
	v_cndmask_b32_e64 v6, 0, v59, s[24:25]
	;; [unrolled: 2-line block ×8, first 2 shown]
	v_add_u32_e32 v60, v62, v78
	v_add_u16_e32 v45, v6, v70
	v_add_u32_e32 v58, v60, v31
	v_cndmask_b32_e64 v6, 0, v45, s[10:11]
	v_add_u32_e32 v56, v58, v28
	v_add_u16_e32 v43, v6, v67
	v_add_u32_e32 v54, v56, v29
	v_cndmask_b32_e64 v6, 0, v43, s[8:9]
	v_add_u32_e32 v52, v54, v26
	v_add_u16_e32 v41, v6, v68
	v_add_u32_e32 v50, v52, v27
	v_cndmask_b32_e64 v6, 0, v41, s[6:7]
	v_and_b32_e32 v63, 0xffff, v7
	v_add_u32_e32 v48, v50, v24
	v_add_u16_e32 v39, v6, v65
	s_barrier
	ds_read_b128 v[6:9], v8 offset:1024
	v_add_u32_e32 v46, v48, v25
	v_add_u32_e32 v44, v46, v22
	;; [unrolled: 1-line block ×4, first 2 shown]
	v_cndmask_b32_e64 v10, 0, v39, s[4:5]
	v_add_u32_e32 v38, v40, v21
	v_add_u16_e32 v37, v10, v66
	s_waitcnt lgkmcnt(0)
	v_cmp_eq_u32_e32 vcc, 0, v6
	v_add_u32_e32 v36, v38, v18
	v_cndmask_b32_e64 v10, 0, v37, s[2:3]
	v_cndmask_b32_e32 v9, 0, v9, vcc
	v_add_u32_e32 v34, v36, v19
	v_add_u16_e32 v35, v10, v64
	v_add_u32_e32 v30, v9, v7
	s_branch .LBB442_159
.LBB442_147:
                                        ; implicit-def: $vgpr6
                                        ; implicit-def: $vgpr30
                                        ; implicit-def: $vgpr62_vgpr63
                                        ; implicit-def: $vgpr60_vgpr61
                                        ; implicit-def: $vgpr58_vgpr59
                                        ; implicit-def: $vgpr56_vgpr57
                                        ; implicit-def: $vgpr54_vgpr55
                                        ; implicit-def: $vgpr52_vgpr53
                                        ; implicit-def: $vgpr50_vgpr51
                                        ; implicit-def: $vgpr48_vgpr49
                                        ; implicit-def: $vgpr46_vgpr47
                                        ; implicit-def: $vgpr44_vgpr45
                                        ; implicit-def: $vgpr42_vgpr43
                                        ; implicit-def: $vgpr40_vgpr41
                                        ; implicit-def: $vgpr38_vgpr39
                                        ; implicit-def: $vgpr36_vgpr37
                                        ; implicit-def: $vgpr34_vgpr35
	s_cbranch_execz .LBB442_159
; %bb.148:
	s_and_b64 s[2:3], s[30:31], exec
	s_cselect_b32 s3, 0, s61
	s_cselect_b32 s2, 0, s60
	s_cmp_eq_u64 s[2:3], 0
	v_mov_b32_e32 v7, v76
	s_cbranch_scc1 .LBB442_150
; %bb.149:
	v_mov_b32_e32 v6, 0
	global_load_ushort v7, v6, s[2:3]
.LBB442_150:
	v_cmp_eq_u32_e64 s[2:3], 0, v31
	v_cndmask_b32_e64 v6, 0, v76, s[2:3]
	v_add_u16_e32 v6, v6, v75
	v_cmp_eq_u32_e64 s[4:5], 0, v28
	v_cndmask_b32_e64 v6, 0, v6, s[4:5]
	v_add_u16_e32 v6, v6, v77
	v_cmp_eq_u32_e64 s[6:7], 0, v29
	v_cndmask_b32_e64 v6, 0, v6, s[6:7]
	v_add_u16_e32 v6, v6, v73
	v_cmp_eq_u32_e64 s[8:9], 0, v26
	v_cndmask_b32_e64 v6, 0, v6, s[8:9]
	v_add_u16_e32 v6, v6, v74
	v_cmp_eq_u32_e64 s[10:11], 0, v27
	v_cndmask_b32_e64 v6, 0, v6, s[10:11]
	v_add_u16_e32 v6, v6, v71
	v_cmp_eq_u32_e64 s[12:13], 0, v24
	v_cndmask_b32_e64 v6, 0, v6, s[12:13]
	v_add_u16_e32 v6, v6, v72
	v_cmp_eq_u32_e64 s[14:15], 0, v25
	v_cndmask_b32_e64 v6, 0, v6, s[14:15]
	v_add_u16_e32 v6, v6, v69
	v_cmp_eq_u32_e64 s[16:17], 0, v22
	v_cndmask_b32_e64 v6, 0, v6, s[16:17]
	v_add_u16_e32 v6, v6, v70
	v_cmp_eq_u32_e64 s[18:19], 0, v23
	v_cndmask_b32_e64 v6, 0, v6, s[18:19]
	v_add_u16_e32 v6, v6, v67
	v_cmp_eq_u32_e64 s[20:21], 0, v20
	v_cndmask_b32_e64 v6, 0, v6, s[20:21]
	v_add_u16_e32 v6, v6, v68
	v_cmp_eq_u32_e64 s[22:23], 0, v21
	v_cndmask_b32_e64 v6, 0, v6, s[22:23]
	v_add_u16_e32 v6, v6, v65
	v_cmp_eq_u32_e64 s[24:25], 0, v18
	v_cndmask_b32_e64 v6, 0, v6, s[24:25]
	s_waitcnt vmcnt(0) lgkmcnt(0)
	v_add3_u32 v8, v83, v27, v24
	v_add_u16_e32 v6, v6, v66
	v_cmp_eq_u32_e32 vcc, 0, v19
	v_add3_u32 v8, v8, v25, v22
	v_cndmask_b32_e32 v6, 0, v6, vcc
	v_add3_u32 v8, v8, v23, v20
	v_add_u16_e32 v6, v6, v64
	v_cmp_eq_u32_e64 s[26:27], 0, v17
	v_add3_u32 v8, v8, v21, v18
	v_cndmask_b32_e64 v6, 0, v6, s[26:27]
	v_add3_u32 v8, v8, v19, v17
	v_add_u16_e32 v9, v6, v79
	v_mbcnt_hi_u32_b32 v6, -1, v82
	v_and_b32_e32 v10, 15, v6
	v_mov_b32_dpp v12, v9 row_shr:1 row_mask:0xf bank_mask:0xf
	v_cmp_eq_u32_e64 s[26:27], 0, v8
	v_mov_b32_dpp v11, v8 row_shr:1 row_mask:0xf bank_mask:0xf
	v_cndmask_b32_e64 v12, 0, v12, s[26:27]
	v_cmp_eq_u32_e64 s[26:27], 0, v10
	v_add_u16_e32 v12, v12, v9
	v_cndmask_b32_e64 v11, v11, 0, s[26:27]
	v_add_u32_e32 v8, v11, v8
	v_cndmask_b32_e64 v9, v12, v9, s[26:27]
	v_cmp_eq_u32_e64 s[26:27], 0, v8
	v_mov_b32_dpp v11, v8 row_shr:2 row_mask:0xf bank_mask:0xf
	v_mov_b32_dpp v12, v9 row_shr:2 row_mask:0xf bank_mask:0xf
	v_cndmask_b32_e64 v12, 0, v12, s[26:27]
	v_cmp_lt_u32_e64 s[26:27], 1, v10
	v_add_u16_e32 v12, v12, v9
	v_cndmask_b32_e64 v11, 0, v11, s[26:27]
	v_cndmask_b32_e64 v9, v9, v12, s[26:27]
	v_add_u32_e32 v8, v8, v11
	v_cmp_eq_u32_e64 s[26:27], 0, v8
	v_mov_b32_dpp v12, v9 row_shr:4 row_mask:0xf bank_mask:0xf
	v_mov_b32_dpp v11, v8 row_shr:4 row_mask:0xf bank_mask:0xf
	v_cndmask_b32_e64 v12, 0, v12, s[26:27]
	v_cmp_lt_u32_e64 s[26:27], 3, v10
	v_add_u16_e32 v12, v12, v9
	v_cndmask_b32_e64 v11, 0, v11, s[26:27]
	v_cndmask_b32_e64 v9, v9, v12, s[26:27]
	v_add_u32_e32 v8, v11, v8
	;; [unrolled: 9-line block ×3, first 2 shown]
	v_bfe_i32 v12, v6, 4, 1
	v_mov_b32_dpp v11, v9 row_bcast:15 row_mask:0xf bank_mask:0xf
	v_mov_b32_dpp v10, v8 row_bcast:15 row_mask:0xf bank_mask:0xf
	v_cmp_eq_u32_e64 s[26:27], 0, v8
	v_and_b32_e32 v13, 16, v6
	v_cndmask_b32_e64 v11, 0, v11, s[26:27]
	v_and_b32_e32 v10, v12, v10
	v_add_u16_e32 v11, v11, v9
	v_add_u32_e32 v8, v10, v8
	v_cmp_eq_u32_e64 s[26:27], 0, v13
	v_cndmask_b32_e64 v9, v11, v9, s[26:27]
	v_mov_b32_dpp v10, v8 row_bcast:31 row_mask:0xf bank_mask:0xf
	v_cmp_eq_u32_e64 s[26:27], 0, v8
	v_cmp_lt_u32_e64 s[28:29], 31, v6
	v_mov_b32_dpp v11, v9 row_bcast:31 row_mask:0xf bank_mask:0xf
	v_cndmask_b32_e64 v10, 0, v10, s[28:29]
	s_and_b64 s[26:27], s[28:29], s[26:27]
	v_add_u32_e32 v8, v10, v8
	v_cndmask_b32_e64 v10, 0, v11, s[26:27]
	v_add_u16_e32 v9, v10, v9
	v_cmp_eq_u32_e64 s[26:27], v81, v0
	s_and_saveexec_b64 s[28:29], s[26:27]
	s_cbranch_execz .LBB442_152
; %bb.151:
	v_lshlrev_b32_e32 v10, 3, v80
	ds_write_b32 v10, v8 offset:1040
	ds_write_b16 v10, v9 offset:1044
.LBB442_152:
	s_or_b64 exec, exec, s[28:29]
	v_cmp_gt_u32_e64 s[26:27], 4, v0
	s_waitcnt lgkmcnt(0)
	s_barrier
	s_and_saveexec_b64 s[34:35], s[26:27]
	s_cbranch_execz .LBB442_154
; %bb.153:
	v_lshlrev_b32_e32 v12, 3, v0
	ds_read_b64 v[10:11], v12 offset:1040
	v_and_b32_e32 v13, 3, v6
	s_mov_b32 s28, 0xffff0000
	s_waitcnt lgkmcnt(0)
	v_mov_b32_dpp v32, v11 row_shr:1 row_mask:0xf bank_mask:0xf
	v_cmp_eq_u32_e64 s[26:27], 0, v10
	v_mov_b32_dpp v30, v10 row_shr:1 row_mask:0xf bank_mask:0xf
	v_cndmask_b32_e64 v32, 0, v32, s[26:27]
	v_cmp_eq_u32_e64 s[26:27], 0, v13
	v_add_u16_e32 v32, v32, v11
	v_cndmask_b32_e64 v30, v30, 0, s[26:27]
	v_and_or_b32 v33, v11, s28, v32
	v_add_u32_e32 v10, v30, v10
	v_cndmask_b32_e64 v30, v32, v11, s[26:27]
	v_cndmask_b32_e64 v11, v33, v11, s[26:27]
	v_mov_b32_dpp v32, v10 row_shr:2 row_mask:0xf bank_mask:0xf
	v_cmp_eq_u32_e64 s[26:27], 0, v10
	v_cmp_lt_u32_e64 s[28:29], 1, v13
	v_mov_b32_dpp v11, v11 row_shr:2 row_mask:0xf bank_mask:0xf
	v_cndmask_b32_e64 v13, 0, v32, s[28:29]
	s_and_b64 s[26:27], s[28:29], s[26:27]
	v_add_u32_e32 v10, v13, v10
	v_cndmask_b32_e64 v11, 0, v11, s[26:27]
	v_add_u16_e32 v11, v30, v11
	ds_write_b32 v12, v10 offset:1040
	ds_write_b16 v12, v11 offset:1044
.LBB442_154:
	s_or_b64 exec, exec, s[34:35]
	v_cmp_lt_u32_e64 s[26:27], 63, v0
	v_mov_b32_e32 v10, 0
	v_mov_b32_e32 v11, 0
	;; [unrolled: 1-line block ×3, first 2 shown]
	s_waitcnt lgkmcnt(0)
	s_barrier
	s_and_saveexec_b64 s[28:29], s[26:27]
	s_cbranch_execz .LBB442_156
; %bb.155:
	v_lshlrev_b32_e32 v12, 3, v80
	ds_read_b32 v11, v12 offset:1032
	ds_read_u16 v12, v12 offset:1036
	s_waitcnt lgkmcnt(1)
	v_cmp_eq_u32_e64 s[26:27], 0, v11
	v_cndmask_b32_e64 v13, 0, v7, s[26:27]
	s_waitcnt lgkmcnt(0)
	v_add_u16_e32 v12, v13, v12
.LBB442_156:
	s_or_b64 exec, exec, s[28:29]
	v_cmp_eq_u32_e64 s[26:27], 0, v8
	v_add_u32_e32 v13, v11, v8
	v_cndmask_b32_e64 v8, 0, v12, s[26:27]
	v_add_u16_e32 v8, v8, v9
	v_add_u32_e32 v9, -1, v6
	v_and_b32_e32 v30, 64, v6
	v_cmp_lt_i32_e64 s[26:27], v9, v30
	v_cndmask_b32_e64 v9, v9, v6, s[26:27]
	v_lshlrev_b32_e32 v9, 2, v9
	ds_bpermute_b32 v8, v9, v8
	ds_bpermute_b32 v13, v9, v13
	v_cmp_eq_u32_e64 s[26:27], 0, v6
	s_waitcnt lgkmcnt(1)
	v_cndmask_b32_e64 v8, v8, v12, s[26:27]
	s_waitcnt lgkmcnt(0)
	v_cndmask_b32_e64 v6, v13, v11, s[26:27]
	v_cndmask_b32_e64 v8, v8, v7, s[0:1]
	v_cmp_eq_u32_e64 s[26:27], 0, v78
	v_cndmask_b32_e64 v62, v6, 0, s[0:1]
	v_cndmask_b32_e64 v6, 0, v8, s[26:27]
	v_add_u16_e32 v61, v6, v76
	v_cndmask_b32_e64 v6, 0, v61, s[2:3]
	v_add_u16_e32 v59, v6, v75
	;; [unrolled: 2-line block ×9, first 2 shown]
	v_cndmask_b32_e64 v6, 0, v45, s[18:19]
	v_add_u32_e32 v60, v62, v78
	v_add_u16_e32 v43, v6, v67
	v_add_u32_e32 v58, v60, v31
	v_cndmask_b32_e64 v6, 0, v43, s[20:21]
	v_add_u32_e32 v56, v58, v28
	v_add_u16_e32 v41, v6, v68
	v_add_u32_e32 v54, v56, v29
	;; [unrolled: 4-line block ×3, first 2 shown]
	v_cndmask_b32_e64 v6, 0, v39, s[24:25]
	v_add_u32_e32 v48, v50, v24
	v_add_u16_e32 v37, v6, v66
	ds_read_b32 v6, v10 offset:1064
	v_add_u32_e32 v46, v48, v25
	v_and_b32_e32 v63, 0xffff, v8
	ds_read_u16 v8, v10 offset:1068
	v_add_u32_e32 v44, v46, v22
	v_add_u32_e32 v42, v44, v23
	;; [unrolled: 1-line block ×4, first 2 shown]
	v_cndmask_b32_e32 v9, 0, v37, vcc
	s_waitcnt lgkmcnt(1)
	v_cmp_eq_u32_e32 vcc, 0, v6
	v_add_u32_e32 v36, v38, v18
	v_cndmask_b32_e32 v7, 0, v7, vcc
	v_add_u32_e32 v34, v36, v19
	v_add_u16_e32 v35, v9, v64
	s_waitcnt lgkmcnt(0)
	v_add_u16_e32 v30, v7, v8
	s_and_saveexec_b64 s[2:3], s[0:1]
	s_cbranch_execz .LBB442_158
; %bb.157:
	s_add_u32 s4, s44, 0x400
	s_addc_u32 s5, s45, 0
	v_and_b32_e32 v7, 0xff00, v30
	v_mov_b32_e32 v9, 0
	v_or_b32_sdwa v7, v7, v30 dst_sel:DWORD dst_unused:UNUSED_PAD src0_sel:DWORD src1_sel:BYTE_0
	v_mov_b32_e32 v8, 2
	v_pk_mov_b32 v[10:11], s[4:5], s[4:5] op_sel:[0,1]
	;;#ASMSTART
	global_store_dwordx4 v[10:11], v[6:9] off	
s_waitcnt vmcnt(0)
	;;#ASMEND
.LBB442_158:
	s_or_b64 exec, exec, s[2:3]
	v_mov_b32_e32 v8, 0
.LBB442_159:
	s_and_b64 s[2:3], s[30:31], exec
	s_cselect_b32 s3, 0, s59
	s_cselect_b32 s2, 0, s58
	s_cmp_eq_u64 s[2:3], 0
	v_pk_mov_b32 v[32:33], 0, 0
	s_waitcnt lgkmcnt(0)
	s_barrier
	s_cbranch_scc1 .LBB442_161
; %bb.160:
	v_mov_b32_e32 v7, 0
	global_load_dwordx2 v[32:33], v7, s[2:3]
.LBB442_161:
	s_waitcnt vmcnt(0)
	v_lshlrev_b64 v[64:65], 1, v[32:33]
	v_mov_b32_e32 v7, s43
	v_add_co_u32_e32 v10, vcc, s42, v64
	v_mov_b32_e32 v9, 0
	v_addc_co_u32_e32 v11, vcc, v7, v65, vcc
	v_lshlrev_b64 v[66:67], 1, v[8:9]
	v_add_co_u32_e32 v7, vcc, v10, v66
	v_addc_co_u32_e32 v9, vcc, v11, v67, vcc
	v_cmp_eq_u32_e32 vcc, 0, v78
	v_cndmask_b32_e64 v10, 1, 2, vcc
	v_cmp_eq_u32_e32 vcc, 0, v31
	v_cndmask_b32_e64 v11, 1, 2, vcc
	v_cmp_eq_u32_e32 vcc, 0, v28
	v_and_b32_e32 v10, v11, v10
	v_cndmask_b32_e64 v11, 1, 2, vcc
	v_cmp_eq_u32_e32 vcc, 0, v29
	v_and_b32_e32 v10, v10, v11
	v_cndmask_b32_e64 v11, 1, 2, vcc
	v_cmp_eq_u32_e32 vcc, 0, v26
	v_and_b32_e32 v10, v10, v11
	v_cndmask_b32_e64 v11, 1, 2, vcc
	v_cmp_eq_u32_e32 vcc, 0, v27
	v_and_b32_e32 v10, v10, v11
	v_cndmask_b32_e64 v11, 1, 2, vcc
	v_cmp_eq_u32_e32 vcc, 0, v24
	v_and_b32_e32 v10, v10, v11
	v_cndmask_b32_e64 v11, 1, 2, vcc
	v_cmp_eq_u32_e32 vcc, 0, v25
	v_and_b32_e32 v10, v10, v11
	v_cndmask_b32_e64 v11, 1, 2, vcc
	v_cmp_eq_u32_e32 vcc, 0, v22
	v_and_b32_e32 v10, v10, v11
	v_cndmask_b32_e64 v11, 1, 2, vcc
	v_cmp_eq_u32_e32 vcc, 0, v23
	v_and_b32_e32 v10, v10, v11
	v_cndmask_b32_e64 v11, 1, 2, vcc
	v_cmp_eq_u32_e32 vcc, 0, v20
	v_and_b32_e32 v10, v10, v11
	v_cndmask_b32_e64 v11, 1, 2, vcc
	v_cmp_eq_u32_e32 vcc, 0, v21
	v_and_b32_e32 v10, v10, v11
	v_cndmask_b32_e64 v11, 1, 2, vcc
	v_cmp_eq_u32_e32 vcc, 0, v18
	v_and_b32_e32 v10, v10, v11
	v_cndmask_b32_e64 v11, 1, 2, vcc
	v_cmp_eq_u32_e32 vcc, 0, v19
	v_and_b32_e32 v10, v10, v11
	v_cndmask_b32_e64 v11, 1, 2, vcc
	v_cmp_eq_u32_e32 vcc, 0, v17
	v_and_b32_e32 v10, v10, v11
	v_cndmask_b32_e64 v11, 1, 2, vcc
	s_movk_i32 s34, 0x100
	v_and_b32_e32 v10, v10, v11
	v_cmp_gt_u32_e32 vcc, s34, v6
	v_cmp_ne_u32_e64 s[30:31], 0, v78
	v_cmp_ne_u32_e64 s[28:29], 0, v31
	;; [unrolled: 1-line block ×15, first 2 shown]
	s_mov_b64 s[40:41], -1
	v_cmp_gt_i16_e64 s[34:35], 2, v10
	s_cbranch_vccz .LBB442_168
; %bb.162:
	s_and_saveexec_b64 s[40:41], s[34:35]
	s_cbranch_execz .LBB442_167
; %bb.163:
	v_cmp_ne_u16_e32 vcc, 1, v10
	s_mov_b64 s[42:43], 0
	s_and_saveexec_b64 s[34:35], vcc
	s_xor_b64 s[34:35], exec, s[34:35]
	s_cbranch_execnz .LBB442_257
; %bb.164:
	s_andn2_saveexec_b64 s[34:35], s[34:35]
	s_cbranch_execnz .LBB442_273
.LBB442_165:
	s_or_b64 exec, exec, s[34:35]
	s_and_b64 exec, exec, s[42:43]
	s_cbranch_execz .LBB442_167
.LBB442_166:
	v_sub_u32_e32 v12, v34, v8
	v_mov_b32_e32 v13, 0
	v_lshlrev_b64 v[12:13], 1, v[12:13]
	v_add_co_u32_e32 v12, vcc, v7, v12
	v_addc_co_u32_e32 v13, vcc, v9, v13, vcc
	global_store_short_d16_hi v[12:13], v16, off
.LBB442_167:
	s_or_b64 exec, exec, s[40:41]
	s_mov_b64 s[40:41], 0
.LBB442_168:
	s_and_b64 vcc, exec, s[40:41]
	s_cbranch_vccz .LBB442_190
; %bb.169:
	v_cmp_gt_i16_e32 vcc, 2, v10
	s_and_saveexec_b64 s[34:35], vcc
	s_cbranch_execz .LBB442_174
; %bb.170:
	v_cmp_ne_u16_e32 vcc, 1, v10
	s_mov_b64 s[42:43], 0
	s_and_saveexec_b64 s[40:41], vcc
	s_xor_b64 s[40:41], exec, s[40:41]
	s_cbranch_execnz .LBB442_274
; %bb.171:
	s_andn2_saveexec_b64 s[2:3], s[40:41]
	s_cbranch_execnz .LBB442_290
.LBB442_172:
	s_or_b64 exec, exec, s[2:3]
	s_and_b64 exec, exec, s[42:43]
	s_cbranch_execz .LBB442_174
.LBB442_173:
	v_sub_u32_e32 v1, v34, v8
	v_lshlrev_b32_e32 v1, 1, v1
	ds_write_b16_d16_hi v1, v16
.LBB442_174:
	s_or_b64 exec, exec, s[34:35]
	v_cmp_lt_u32_e32 vcc, v0, v6
	s_waitcnt lgkmcnt(0)
	s_barrier
	s_and_saveexec_b64 s[4:5], vcc
	s_cbranch_execz .LBB442_189
; %bb.175:
	v_xad_u32 v1, v0, -1, v6
	s_movk_i32 s2, 0x1700
	v_cmp_gt_u32_e64 s[6:7], s2, v1
	s_movk_i32 s2, 0x16ff
	v_cmp_lt_u32_e32 vcc, s2, v1
	v_mov_b32_e32 v2, v0
	s_and_saveexec_b64 s[8:9], vcc
	s_cbranch_execz .LBB442_186
; %bb.176:
	v_sub_u32_e32 v2, v0, v6
	v_or_b32_e32 v2, 0xff, v2
	v_cmp_ge_u32_e32 vcc, v2, v0
	s_mov_b64 s[2:3], -1
	v_mov_b32_e32 v2, v0
	s_and_saveexec_b64 s[10:11], vcc
	s_cbranch_execz .LBB442_185
; %bb.177:
	v_lshrrev_b32_e32 v14, 8, v1
	v_or_b32_e32 v3, 0x300, v0
	v_or_b32_e32 v2, 0x200, v0
	v_add_u32_e32 v4, -3, v14
	v_or_b32_e32 v1, 0x100, v0
	v_lshrrev_b32_e32 v5, 2, v4
	v_pk_mov_b32 v[12:13], v[2:3], v[2:3] op_sel:[0,1]
	v_add_u32_e32 v15, 1, v5
	v_cmp_lt_u32_e32 vcc, 11, v4
	v_mov_b32_e32 v69, 0
	v_pk_mov_b32 v[10:11], v[0:1], v[0:1] op_sel:[0,1]
	s_and_saveexec_b64 s[12:13], vcc
	s_cbranch_execz .LBB442_181
; %bb.178:
	v_pk_mov_b32 v[12:13], v[2:3], v[2:3] op_sel:[0,1]
	v_and_b32_e32 v16, 0x7ffffffc, v15
	v_lshlrev_b32_e32 v68, 1, v0
	s_mov_b32 s16, 0
	s_mov_b64 s[14:15], 0
	v_mov_b32_e32 v5, 0
	v_pk_mov_b32 v[10:11], v[0:1], v[0:1] op_sel:[0,1]
.LBB442_179:                            ; =>This Inner Loop Header: Depth=1
	v_mov_b32_e32 v4, v10
	v_lshlrev_b64 v[88:89], 1, v[4:5]
	v_add_u32_e32 v72, 0x400, v11
	v_mov_b32_e32 v73, v5
	v_add_co_u32_e64 v88, s[2:3], v7, v88
	v_lshlrev_b64 v[72:73], 1, v[72:73]
	v_addc_co_u32_e64 v89, s[2:3], v9, v89, s[2:3]
	v_add_u32_e32 v70, 0x400, v12
	v_mov_b32_e32 v71, v5
	v_add_co_u32_e64 v72, s[2:3], v7, v72
	v_lshlrev_b64 v[70:71], 1, v[70:71]
	v_addc_co_u32_e64 v73, s[2:3], v9, v73, s[2:3]
	v_add_u32_e32 v2, 0x400, v13
	v_mov_b32_e32 v3, v5
	v_add_co_u32_e64 v70, s[2:3], v7, v70
	v_add_u32_e32 v16, -4, v16
	v_mov_b32_e32 v4, v11
	v_lshlrev_b64 v[2:3], 1, v[2:3]
	v_addc_co_u32_e64 v71, s[2:3], v9, v71, s[2:3]
	v_add_u32_e32 v80, 0x800, v11
	v_mov_b32_e32 v81, v5
	s_add_i32 s16, s16, 16
	v_cmp_eq_u32_e32 vcc, 0, v16
	v_lshlrev_b64 v[90:91], 1, v[4:5]
	v_add_co_u32_e64 v2, s[2:3], v7, v2
	v_lshlrev_b64 v[80:81], 1, v[80:81]
	v_mov_b32_e32 v4, v12
	v_addc_co_u32_e64 v3, s[2:3], v9, v3, s[2:3]
	s_or_b64 s[14:15], vcc, s[14:15]
	v_add_co_u32_e32 v90, vcc, v7, v90
	v_add_u32_e32 v76, 0x800, v12
	v_mov_b32_e32 v77, v5
	v_add_co_u32_e64 v80, s[2:3], v7, v80
	v_addc_co_u32_e32 v91, vcc, v9, v91, vcc
	v_lshlrev_b64 v[92:93], 1, v[4:5]
	v_lshlrev_b64 v[76:77], 1, v[76:77]
	v_addc_co_u32_e64 v81, s[2:3], v9, v81, s[2:3]
	v_mov_b32_e32 v4, v13
	v_add_co_u32_e32 v92, vcc, v7, v92
	ds_read_u16 v1, v68
	ds_read_u16 v79, v68 offset:512
	ds_read_u16 v96, v68 offset:1024
	;; [unrolled: 1-line block ×7, first 2 shown]
	v_add_u32_e32 v74, 0x800, v13
	v_mov_b32_e32 v75, v5
	v_add_co_u32_e64 v76, s[2:3], v7, v76
	v_addc_co_u32_e32 v93, vcc, v9, v93, vcc
	v_lshlrev_b64 v[94:95], 1, v[4:5]
	v_lshlrev_b64 v[74:75], 1, v[74:75]
	v_addc_co_u32_e64 v77, s[2:3], v9, v77, s[2:3]
	v_add_u32_e32 v4, 0x400, v10
	v_add_co_u32_e32 v94, vcc, v7, v94
	v_add_u32_e32 v86, 0xc00, v11
	v_mov_b32_e32 v87, v5
	ds_read_u16 v102, v68 offset:4096
	ds_read_u16 v103, v68 offset:4608
	;; [unrolled: 1-line block ×8, first 2 shown]
	v_add_co_u32_e64 v74, s[2:3], v7, v74
	v_addc_co_u32_e32 v95, vcc, v9, v95, vcc
	s_waitcnt lgkmcnt(14)
	global_store_short v[88:89], v1, off
	global_store_short v[90:91], v79, off
	s_waitcnt lgkmcnt(13)
	global_store_short v[92:93], v96, off
	v_lshlrev_b64 v[88:89], 1, v[4:5]
	v_lshlrev_b64 v[86:87], 1, v[86:87]
	v_addc_co_u32_e64 v75, s[2:3], v9, v75, s[2:3]
	v_add_u32_e32 v4, 0x800, v10
	v_add_co_u32_e32 v88, vcc, v7, v88
	v_add_u32_e32 v84, 0xc00, v12
	v_mov_b32_e32 v85, v5
	v_add_co_u32_e64 v86, s[2:3], v7, v86
	v_addc_co_u32_e32 v89, vcc, v9, v89, vcc
	v_lshlrev_b64 v[90:91], 1, v[4:5]
	v_lshlrev_b64 v[84:85], 1, v[84:85]
	v_addc_co_u32_e64 v87, s[2:3], v9, v87, s[2:3]
	s_waitcnt lgkmcnt(12)
	global_store_short v[94:95], v97, off
	v_add_u32_e32 v4, 0xc00, v10
	s_waitcnt lgkmcnt(11)
	global_store_short v[88:89], v98, off
	s_waitcnt lgkmcnt(10)
	global_store_short v[72:73], v99, off
	;; [unrolled: 2-line block ×4, first 2 shown]
	v_add_co_u32_e32 v2, vcc, v7, v90
	v_add_u32_e32 v82, 0xc00, v13
	v_mov_b32_e32 v83, v5
	v_add_co_u32_e64 v84, s[2:3], v7, v84
	v_addc_co_u32_e32 v3, vcc, v9, v91, vcc
	v_lshlrev_b64 v[70:71], 1, v[4:5]
	v_lshlrev_b64 v[82:83], 1, v[82:83]
	v_addc_co_u32_e64 v85, s[2:3], v9, v85, s[2:3]
	s_waitcnt lgkmcnt(7)
	global_store_short v[2:3], v102, off
	s_waitcnt lgkmcnt(6)
	global_store_short v[80:81], v103, off
	;; [unrolled: 2-line block ×4, first 2 shown]
	v_add_co_u32_e32 v2, vcc, v7, v70
	v_add_u32_e32 v68, 0x2000, v68
	v_add_u32_e32 v11, 0x1000, v11
	v_mov_b32_e32 v69, s16
	v_add_co_u32_e64 v82, s[2:3], v7, v82
	v_add_u32_e32 v12, 0x1000, v12
	v_add_u32_e32 v13, 0x1000, v13
	;; [unrolled: 1-line block ×3, first 2 shown]
	v_addc_co_u32_e32 v3, vcc, v9, v71, vcc
	v_addc_co_u32_e64 v83, s[2:3], v9, v83, s[2:3]
	s_waitcnt lgkmcnt(3)
	global_store_short v[2:3], v106, off
	s_waitcnt lgkmcnt(2)
	global_store_short v[86:87], v107, off
	;; [unrolled: 2-line block ×4, first 2 shown]
	s_andn2_b64 exec, exec, s[14:15]
	s_cbranch_execnz .LBB442_179
; %bb.180:
	s_or_b64 exec, exec, s[14:15]
.LBB442_181:
	s_or_b64 exec, exec, s[12:13]
	v_and_b32_e32 v1, 3, v15
	v_cmp_ne_u32_e32 vcc, 0, v1
	s_and_saveexec_b64 s[12:13], vcc
	s_cbranch_execz .LBB442_184
; %bb.182:
	v_lshlrev_b32_e32 v2, 1, v0
	v_lshl_or_b32 v4, v69, 9, v2
	s_mov_b64 s[14:15], 0
	v_mov_b32_e32 v3, 0
.LBB442_183:                            ; =>This Inner Loop Header: Depth=1
	v_mov_b32_e32 v2, v10
	v_add_u32_e32 v1, -1, v1
	v_lshlrev_b64 v[68:69], 1, v[2:3]
	v_mov_b32_e32 v2, v11
	v_cmp_eq_u32_e32 vcc, 0, v1
	v_lshlrev_b64 v[70:71], 1, v[2:3]
	ds_read_u16 v5, v4
	ds_read_u16 v15, v4 offset:512
	ds_read_u16 v16, v4 offset:1024
	;; [unrolled: 1-line block ×3, first 2 shown]
	v_mov_b32_e32 v2, v12
	s_or_b64 s[14:15], vcc, s[14:15]
	v_add_co_u32_e32 v70, vcc, v7, v70
	v_addc_co_u32_e32 v71, vcc, v9, v71, vcc
	v_lshlrev_b64 v[72:73], 1, v[2:3]
	v_mov_b32_e32 v2, v13
	v_add_co_u32_e32 v72, vcc, v7, v72
	v_add_co_u32_e64 v68, s[2:3], v7, v68
	v_addc_co_u32_e32 v73, vcc, v9, v73, vcc
	v_lshlrev_b64 v[74:75], 1, v[2:3]
	v_add_u32_e32 v10, 0x400, v10
	v_add_u32_e32 v4, 0x800, v4
	v_add_u32_e32 v11, 0x400, v11
	v_addc_co_u32_e64 v69, s[2:3], v9, v69, s[2:3]
	v_add_u32_e32 v12, 0x400, v12
	v_add_u32_e32 v13, 0x400, v13
	v_add_co_u32_e32 v74, vcc, v7, v74
	v_addc_co_u32_e32 v75, vcc, v9, v75, vcc
	s_waitcnt lgkmcnt(3)
	global_store_short v[68:69], v5, off
	s_waitcnt lgkmcnt(2)
	global_store_short v[70:71], v15, off
	;; [unrolled: 2-line block ×4, first 2 shown]
	s_andn2_b64 exec, exec, s[14:15]
	s_cbranch_execnz .LBB442_183
.LBB442_184:
	s_or_b64 exec, exec, s[12:13]
	v_add_u32_e32 v1, 1, v14
	v_and_b32_e32 v3, 0x1fffffc, v1
	v_cmp_ne_u32_e32 vcc, v1, v3
	v_lshl_or_b32 v2, v3, 8, v0
	s_orn2_b64 s[2:3], vcc, exec
.LBB442_185:
	s_or_b64 exec, exec, s[10:11]
	s_andn2_b64 s[6:7], s[6:7], exec
	s_and_b64 s[2:3], s[2:3], exec
	s_or_b64 s[6:7], s[6:7], s[2:3]
.LBB442_186:
	s_or_b64 exec, exec, s[8:9]
	s_and_b64 exec, exec, s[6:7]
	s_cbranch_execz .LBB442_189
; %bb.187:
	v_lshlrev_b32_e32 v1, 1, v2
	s_mov_b64 s[2:3], 0
	v_mov_b32_e32 v3, 0
.LBB442_188:                            ; =>This Inner Loop Header: Depth=1
	v_lshlrev_b64 v[4:5], 1, v[2:3]
	ds_read_u16 v10, v1
	v_add_co_u32_e32 v4, vcc, v7, v4
	v_add_u32_e32 v2, 0x100, v2
	v_addc_co_u32_e32 v5, vcc, v9, v5, vcc
	v_cmp_ge_u32_e32 vcc, v2, v6
	v_add_u32_e32 v1, 0x200, v1
	s_or_b64 s[2:3], vcc, s[2:3]
	s_waitcnt lgkmcnt(0)
	global_store_short v[4:5], v10, off
	s_andn2_b64 exec, exec, s[2:3]
	s_cbranch_execnz .LBB442_188
.LBB442_189:
	s_or_b64 exec, exec, s[4:5]
.LBB442_190:
	s_cmpk_lg_i32 s33, 0xf00
	s_cselect_b64 s[2:3], -1, 0
	v_cndmask_b32_e64 v1, 0, 1, s[38:39]
	s_and_b64 s[2:3], s[2:3], s[36:37]
	v_sub_u32_e32 v3, v6, v1
	v_cndmask_b32_e64 v2, 0, 1, s[2:3]
	s_and_b64 s[0:1], s[0:1], s[38:39]
	v_add_u32_e32 v7, v3, v2
	v_cndmask_b32_e64 v3, v78, 0, s[0:1]
	s_mul_hi_u32 s0, s33, 0x88888889
	s_lshr_b32 s0, s0, 3
	v_mad_i32_i24 v4, v0, -15, s33
	v_cmp_eq_u32_e32 vcc, s0, v0
	v_cmp_ne_u32_e64 s[0:1], 0, v4
	v_cndmask_b32_e64 v5, 1, v3, s[0:1]
	v_cmp_ne_u32_e64 s[0:1], 1, v4
	v_cndmask_b32_e64 v9, 1, v31, s[0:1]
	v_cmp_ne_u32_e64 s[0:1], 2, v4
	v_cndmask_b32_e64 v10, 1, v28, s[0:1]
	v_cmp_ne_u32_e64 s[0:1], 3, v4
	v_cndmask_b32_e64 v11, 1, v29, s[0:1]
	v_cmp_ne_u32_e64 s[0:1], 4, v4
	v_cndmask_b32_e64 v12, 1, v26, s[0:1]
	v_cmp_ne_u32_e64 s[0:1], 5, v4
	v_cndmask_b32_e64 v13, 1, v27, s[0:1]
	v_cmp_ne_u32_e64 s[0:1], 6, v4
	v_cndmask_b32_e64 v14, 1, v24, s[0:1]
	v_cmp_ne_u32_e64 s[0:1], 7, v4
	v_cndmask_b32_e64 v15, 1, v25, s[0:1]
	v_cmp_ne_u32_e64 s[0:1], 8, v4
	v_cndmask_b32_e64 v16, 1, v22, s[0:1]
	v_cmp_ne_u32_e64 s[0:1], 9, v4
	v_cndmask_b32_e64 v68, 1, v23, s[0:1]
	v_cmp_ne_u32_e64 s[0:1], 10, v4
	v_cndmask_b32_e64 v69, 1, v20, s[0:1]
	v_cmp_ne_u32_e64 s[0:1], 11, v4
	v_cndmask_b32_e64 v70, 1, v21, s[0:1]
	v_cmp_ne_u32_e64 s[0:1], 12, v4
	v_cndmask_b32_e64 v71, 1, v18, s[0:1]
	v_cmp_ne_u32_e64 s[0:1], 13, v4
	v_cndmask_b32_e64 v72, 1, v19, s[0:1]
	v_cmp_ne_u32_e64 s[0:1], 14, v4
	v_cndmask_b32_e64 v4, 1, v17, s[0:1]
	s_and_b64 vcc, vcc, s[36:37]
	v_cndmask_b32_e32 v4, v17, v4, vcc
	v_cndmask_b32_e32 v17, v19, v72, vcc
	;; [unrolled: 1-line block ×15, first 2 shown]
	v_mov_b32_e32 v3, s53
	v_add_co_u32_e32 v9, vcc, s52, v64
	v_addc_co_u32_e32 v3, vcc, v3, v65, vcc
	v_add_co_u32_e32 v9, vcc, v9, v66
	v_addc_co_u32_e32 v14, vcc, v3, v67, vcc
	v_lshlrev_b32_e32 v3, 1, v1
	v_add_co_u32_e32 v3, vcc, v3, v9
	v_addc_co_u32_e32 v16, vcc, 0, v14, vcc
	v_add_co_u32_e32 v15, vcc, -2, v3
	v_addc_co_u32_e32 v16, vcc, -1, v16, vcc
	v_cmp_eq_u32_e32 vcc, 0, v5
	v_cmp_ne_u32_e64 s[28:29], 0, v5
	v_cndmask_b32_e64 v5, 1, 2, vcc
	v_cmp_eq_u32_e32 vcc, 0, v25
	v_cmp_ne_u32_e64 s[26:27], 0, v25
	v_cndmask_b32_e64 v25, 1, 2, vcc
	v_cmp_eq_u32_e32 vcc, 0, v10
	v_and_b32_e32 v5, v25, v5
	v_cmp_ne_u32_e64 s[24:25], 0, v10
	v_cndmask_b32_e64 v10, 1, 2, vcc
	v_cmp_eq_u32_e32 vcc, 0, v11
	v_and_b32_e32 v5, v5, v10
	v_cndmask_b32_e64 v10, 1, 2, vcc
	v_cmp_eq_u32_e32 vcc, 0, v12
	v_and_b32_e32 v5, v5, v10
	;; [unrolled: 3-line block ×12, first 2 shown]
	v_cmp_ne_u32_e64 s[0:1], 0, v4
	v_cndmask_b32_e64 v4, 1, 2, vcc
	s_movk_i32 s30, 0x100
	v_and_b32_e32 v4, v5, v4
	v_cmp_gt_u32_e32 vcc, s30, v7
	v_add_u32_e32 v3, v8, v1
	v_cmp_ne_u32_e64 s[22:23], 0, v11
	v_cmp_ne_u32_e64 s[20:21], 0, v12
	;; [unrolled: 1-line block ×11, first 2 shown]
	s_mov_b64 s[34:35], -1
	v_cmp_gt_i16_e64 s[30:31], 2, v4
	s_barrier
	s_cbranch_vccz .LBB442_197
; %bb.191:
	s_and_saveexec_b64 s[34:35], s[30:31]
	s_cbranch_execz .LBB442_196
; %bb.192:
	v_cmp_ne_u16_e32 vcc, 1, v4
	s_mov_b64 s[38:39], 0
	s_and_saveexec_b64 s[30:31], vcc
	s_xor_b64 s[30:31], exec, s[30:31]
	s_cbranch_execnz .LBB442_291
; %bb.193:
	s_andn2_saveexec_b64 s[30:31], s[30:31]
	s_cbranch_execnz .LBB442_307
.LBB442_194:
	s_or_b64 exec, exec, s[30:31]
	s_and_b64 exec, exec, s[38:39]
	s_cbranch_execz .LBB442_196
.LBB442_195:
	v_sub_u32_e32 v10, v34, v3
	v_mov_b32_e32 v11, 0
	v_lshlrev_b64 v[10:11], 1, v[10:11]
	v_add_co_u32_e32 v10, vcc, v15, v10
	v_addc_co_u32_e32 v11, vcc, v16, v11, vcc
	global_store_short v[10:11], v35, off
.LBB442_196:
	s_or_b64 exec, exec, s[34:35]
	s_mov_b64 s[34:35], 0
.LBB442_197:
	s_and_b64 vcc, exec, s[34:35]
	s_cbranch_vccz .LBB442_219
; %bb.198:
	v_cmp_gt_i16_e32 vcc, 2, v4
	s_and_saveexec_b64 s[30:31], vcc
	s_cbranch_execz .LBB442_203
; %bb.199:
	v_cmp_ne_u16_e32 vcc, 1, v4
	s_mov_b64 s[38:39], 0
	s_and_saveexec_b64 s[34:35], vcc
	s_xor_b64 s[34:35], exec, s[34:35]
	s_cbranch_execnz .LBB442_308
; %bb.200:
	s_andn2_saveexec_b64 s[0:1], s[34:35]
	s_cbranch_execnz .LBB442_324
.LBB442_201:
	s_or_b64 exec, exec, s[0:1]
	s_and_b64 exec, exec, s[38:39]
	s_cbranch_execz .LBB442_203
.LBB442_202:
	v_sub_u32_e32 v3, v34, v3
	v_lshlrev_b32_e32 v3, 1, v3
	ds_write_b16 v3, v35
.LBB442_203:
	s_or_b64 exec, exec, s[30:31]
	v_cmp_lt_u32_e32 vcc, v0, v7
	s_waitcnt lgkmcnt(0)
	s_barrier
	s_and_saveexec_b64 s[2:3], vcc
	s_cbranch_execz .LBB442_218
; %bb.204:
	v_add_u32_e32 v4, v6, v2
	v_xad_u32 v2, v0, -1, v4
	v_sub_u32_e32 v3, v2, v1
	s_movk_i32 s0, 0x1b00
	v_cmp_gt_u32_e64 s[4:5], s0, v3
	s_movk_i32 s0, 0x1aff
	v_cmp_lt_u32_e32 vcc, s0, v3
	v_mov_b32_e32 v2, v0
	s_and_saveexec_b64 s[6:7], vcc
	s_cbranch_execz .LBB442_215
; %bb.205:
	v_sub_u32_e32 v2, v0, v4
	v_add_u32_e32 v1, v2, v1
	v_or_b32_e32 v1, 0xff, v1
	v_cmp_ge_u32_e32 vcc, v1, v0
	s_mov_b64 s[0:1], -1
	v_mov_b32_e32 v2, v0
	s_and_saveexec_b64 s[8:9], vcc
	s_cbranch_execz .LBB442_214
; %bb.206:
	v_lshrrev_b32_e32 v17, 8, v3
	v_or_b32_e32 v3, 0x300, v0
	v_or_b32_e32 v2, 0x200, v0
	v_add_u32_e32 v4, -3, v17
	v_or_b32_e32 v1, 0x100, v0
	v_lshrrev_b32_e32 v5, 2, v4
	v_pk_mov_b32 v[12:13], v[2:3], v[2:3] op_sel:[0,1]
	v_add_u32_e32 v19, 1, v5
	v_cmp_lt_u32_e32 vcc, 11, v4
	v_mov_b32_e32 v22, 0
	v_lshlrev_b32_e32 v18, 1, v0
	v_pk_mov_b32 v[10:11], v[0:1], v[0:1] op_sel:[0,1]
	s_and_saveexec_b64 s[10:11], vcc
	s_cbranch_execz .LBB442_210
; %bb.207:
	v_pk_mov_b32 v[12:13], v[2:3], v[2:3] op_sel:[0,1]
	v_and_b32_e32 v20, 0x7ffffffc, v19
	s_mov_b32 s14, 0
	s_mov_b64 s[12:13], 0
	v_mov_b32_e32 v5, 0
	v_mov_b32_e32 v21, v18
	v_pk_mov_b32 v[10:11], v[0:1], v[0:1] op_sel:[0,1]
.LBB442_208:                            ; =>This Inner Loop Header: Depth=1
	v_mov_b32_e32 v4, v10
	v_lshlrev_b64 v[42:43], 1, v[4:5]
	v_add_u32_e32 v24, 0x400, v11
	v_mov_b32_e32 v25, v5
	v_add_co_u32_e64 v42, s[0:1], v15, v42
	v_lshlrev_b64 v[24:25], 1, v[24:25]
	v_addc_co_u32_e64 v43, s[0:1], v16, v43, s[0:1]
	v_add_u32_e32 v22, 0x400, v12
	v_mov_b32_e32 v23, v5
	v_add_co_u32_e64 v24, s[0:1], v15, v24
	v_lshlrev_b64 v[44:45], 1, v[22:23]
	v_addc_co_u32_e64 v25, s[0:1], v16, v25, s[0:1]
	v_add_u32_e32 v2, 0x400, v13
	v_mov_b32_e32 v3, v5
	v_add_co_u32_e64 v44, s[0:1], v15, v44
	v_add_u32_e32 v20, -4, v20
	v_mov_b32_e32 v4, v11
	v_lshlrev_b64 v[2:3], 1, v[2:3]
	v_addc_co_u32_e64 v45, s[0:1], v16, v45, s[0:1]
	v_add_u32_e32 v34, 0x800, v11
	v_mov_b32_e32 v35, v5
	s_add_i32 s14, s14, 16
	v_cmp_eq_u32_e32 vcc, 0, v20
	v_lshlrev_b64 v[46:47], 1, v[4:5]
	v_add_co_u32_e64 v2, s[0:1], v15, v2
	v_lshlrev_b64 v[34:35], 1, v[34:35]
	v_mov_b32_e32 v4, v12
	v_addc_co_u32_e64 v3, s[0:1], v16, v3, s[0:1]
	s_or_b64 s[12:13], vcc, s[12:13]
	v_add_co_u32_e32 v46, vcc, v15, v46
	v_add_u32_e32 v28, 0x800, v12
	v_mov_b32_e32 v29, v5
	v_add_co_u32_e64 v34, s[0:1], v15, v34
	v_addc_co_u32_e32 v47, vcc, v16, v47, vcc
	v_lshlrev_b64 v[48:49], 1, v[4:5]
	v_lshlrev_b64 v[28:29], 1, v[28:29]
	v_addc_co_u32_e64 v35, s[0:1], v16, v35, s[0:1]
	v_mov_b32_e32 v4, v13
	v_add_co_u32_e32 v48, vcc, v15, v48
	ds_read_u16 v1, v21
	ds_read_u16 v31, v21 offset:512
	ds_read_u16 v52, v21 offset:1024
	;; [unrolled: 1-line block ×7, first 2 shown]
	v_add_u32_e32 v26, 0x800, v13
	v_mov_b32_e32 v27, v5
	v_add_co_u32_e64 v28, s[0:1], v15, v28
	v_addc_co_u32_e32 v49, vcc, v16, v49, vcc
	v_lshlrev_b64 v[50:51], 1, v[4:5]
	v_lshlrev_b64 v[26:27], 1, v[26:27]
	v_addc_co_u32_e64 v29, s[0:1], v16, v29, s[0:1]
	v_add_u32_e32 v4, 0x400, v10
	v_add_co_u32_e32 v50, vcc, v15, v50
	v_add_u32_e32 v40, 0xc00, v11
	v_mov_b32_e32 v41, v5
	ds_read_u16 v58, v21 offset:4096
	ds_read_u16 v59, v21 offset:4608
	;; [unrolled: 1-line block ×8, first 2 shown]
	v_add_co_u32_e64 v26, s[0:1], v15, v26
	v_addc_co_u32_e32 v51, vcc, v16, v51, vcc
	s_waitcnt lgkmcnt(14)
	global_store_short v[42:43], v1, off
	global_store_short v[46:47], v31, off
	s_waitcnt lgkmcnt(13)
	global_store_short v[48:49], v52, off
	v_lshlrev_b64 v[42:43], 1, v[4:5]
	v_lshlrev_b64 v[40:41], 1, v[40:41]
	v_addc_co_u32_e64 v27, s[0:1], v16, v27, s[0:1]
	v_add_u32_e32 v4, 0x800, v10
	v_add_co_u32_e32 v42, vcc, v15, v42
	v_add_u32_e32 v38, 0xc00, v12
	v_mov_b32_e32 v39, v5
	v_add_co_u32_e64 v40, s[0:1], v15, v40
	v_addc_co_u32_e32 v43, vcc, v16, v43, vcc
	v_lshlrev_b64 v[46:47], 1, v[4:5]
	v_lshlrev_b64 v[38:39], 1, v[38:39]
	v_addc_co_u32_e64 v41, s[0:1], v16, v41, s[0:1]
	s_waitcnt lgkmcnt(12)
	global_store_short v[50:51], v53, off
	v_add_u32_e32 v4, 0xc00, v10
	s_waitcnt lgkmcnt(11)
	global_store_short v[42:43], v54, off
	s_waitcnt lgkmcnt(10)
	global_store_short v[24:25], v55, off
	;; [unrolled: 2-line block ×4, first 2 shown]
	v_add_co_u32_e32 v2, vcc, v15, v46
	v_add_u32_e32 v36, 0xc00, v13
	v_mov_b32_e32 v37, v5
	v_add_co_u32_e64 v38, s[0:1], v15, v38
	v_addc_co_u32_e32 v3, vcc, v16, v47, vcc
	v_lshlrev_b64 v[24:25], 1, v[4:5]
	v_lshlrev_b64 v[36:37], 1, v[36:37]
	v_addc_co_u32_e64 v39, s[0:1], v16, v39, s[0:1]
	s_waitcnt lgkmcnt(7)
	global_store_short v[2:3], v58, off
	s_waitcnt lgkmcnt(6)
	global_store_short v[34:35], v59, off
	;; [unrolled: 2-line block ×4, first 2 shown]
	v_add_co_u32_e32 v2, vcc, v15, v24
	v_add_u32_e32 v21, 0x2000, v21
	v_add_u32_e32 v11, 0x1000, v11
	v_mov_b32_e32 v22, s14
	v_add_co_u32_e64 v36, s[0:1], v15, v36
	v_add_u32_e32 v12, 0x1000, v12
	v_add_u32_e32 v13, 0x1000, v13
	;; [unrolled: 1-line block ×3, first 2 shown]
	v_addc_co_u32_e32 v3, vcc, v16, v25, vcc
	v_addc_co_u32_e64 v37, s[0:1], v16, v37, s[0:1]
	s_waitcnt lgkmcnt(3)
	global_store_short v[2:3], v62, off
	s_waitcnt lgkmcnt(2)
	global_store_short v[40:41], v63, off
	;; [unrolled: 2-line block ×4, first 2 shown]
	s_andn2_b64 exec, exec, s[12:13]
	s_cbranch_execnz .LBB442_208
; %bb.209:
	s_or_b64 exec, exec, s[12:13]
.LBB442_210:
	s_or_b64 exec, exec, s[10:11]
	v_and_b32_e32 v1, 3, v19
	v_cmp_ne_u32_e32 vcc, 0, v1
	s_and_saveexec_b64 s[10:11], vcc
	s_cbranch_execz .LBB442_213
; %bb.211:
	v_lshl_or_b32 v4, v22, 9, v18
	s_mov_b64 s[12:13], 0
	v_mov_b32_e32 v3, 0
.LBB442_212:                            ; =>This Inner Loop Header: Depth=1
	v_mov_b32_e32 v2, v10
	v_add_u32_e32 v1, -1, v1
	v_lshlrev_b64 v[18:19], 1, v[2:3]
	v_mov_b32_e32 v2, v11
	v_cmp_eq_u32_e32 vcc, 0, v1
	v_lshlrev_b64 v[20:21], 1, v[2:3]
	ds_read_u16 v5, v4
	ds_read_u16 v26, v4 offset:512
	ds_read_u16 v27, v4 offset:1024
	;; [unrolled: 1-line block ×3, first 2 shown]
	v_mov_b32_e32 v2, v12
	s_or_b64 s[12:13], vcc, s[12:13]
	v_add_co_u32_e32 v20, vcc, v15, v20
	v_addc_co_u32_e32 v21, vcc, v16, v21, vcc
	v_lshlrev_b64 v[22:23], 1, v[2:3]
	v_mov_b32_e32 v2, v13
	v_add_co_u32_e32 v22, vcc, v15, v22
	v_add_co_u32_e64 v18, s[0:1], v15, v18
	v_addc_co_u32_e32 v23, vcc, v16, v23, vcc
	v_lshlrev_b64 v[24:25], 1, v[2:3]
	v_add_u32_e32 v10, 0x400, v10
	v_add_u32_e32 v4, 0x800, v4
	;; [unrolled: 1-line block ×3, first 2 shown]
	v_addc_co_u32_e64 v19, s[0:1], v16, v19, s[0:1]
	v_add_u32_e32 v12, 0x400, v12
	v_add_u32_e32 v13, 0x400, v13
	v_add_co_u32_e32 v24, vcc, v15, v24
	v_addc_co_u32_e32 v25, vcc, v16, v25, vcc
	s_waitcnt lgkmcnt(3)
	global_store_short v[18:19], v5, off
	s_waitcnt lgkmcnt(2)
	global_store_short v[20:21], v26, off
	;; [unrolled: 2-line block ×4, first 2 shown]
	s_andn2_b64 exec, exec, s[12:13]
	s_cbranch_execnz .LBB442_212
.LBB442_213:
	s_or_b64 exec, exec, s[10:11]
	v_add_u32_e32 v1, 1, v17
	v_and_b32_e32 v3, 0x1fffffc, v1
	v_cmp_ne_u32_e32 vcc, v1, v3
	v_lshl_or_b32 v2, v3, 8, v0
	s_orn2_b64 s[0:1], vcc, exec
.LBB442_214:
	s_or_b64 exec, exec, s[8:9]
	s_andn2_b64 s[4:5], s[4:5], exec
	s_and_b64 s[0:1], s[0:1], exec
	s_or_b64 s[4:5], s[4:5], s[0:1]
.LBB442_215:
	s_or_b64 exec, exec, s[6:7]
	s_and_b64 exec, exec, s[4:5]
	s_cbranch_execz .LBB442_218
; %bb.216:
	v_lshlrev_b32_e32 v1, 1, v2
	s_mov_b64 s[0:1], 0
	v_mov_b32_e32 v3, 0
.LBB442_217:                            ; =>This Inner Loop Header: Depth=1
	v_lshlrev_b64 v[4:5], 1, v[2:3]
	ds_read_u16 v10, v1
	v_add_co_u32_e32 v4, vcc, v15, v4
	v_add_u32_e32 v2, 0x100, v2
	v_addc_co_u32_e32 v5, vcc, v16, v5, vcc
	v_cmp_ge_u32_e32 vcc, v2, v7
	v_add_u32_e32 v1, 0x200, v1
	s_or_b64 s[0:1], vcc, s[0:1]
	s_waitcnt lgkmcnt(0)
	global_store_short v[4:5], v10, off
	s_andn2_b64 exec, exec, s[0:1]
	s_cbranch_execnz .LBB442_217
.LBB442_218:
	s_or_b64 exec, exec, s[2:3]
.LBB442_219:
	s_movk_i32 s0, 0xff
	v_cmp_eq_u32_e32 vcc, s0, v0
	s_and_b64 s[0:1], vcc, s[36:37]
	s_and_saveexec_b64 s[2:3], s[0:1]
	s_cbranch_execz .LBB442_222
; %bb.220:
	v_add_co_u32_e32 v0, vcc, v6, v8
	v_addc_co_u32_e64 v1, s[0:1], 0, 0, vcc
	v_add_co_u32_e32 v0, vcc, v0, v32
	v_mov_b32_e32 v7, 0
	v_addc_co_u32_e32 v1, vcc, v1, v33, vcc
	s_cmpk_lg_i32 s33, 0xf00
	global_store_dwordx2 v7, v[0:1], s[54:55]
	s_cbranch_scc1 .LBB442_222
; %bb.221:
	v_lshlrev_b64 v[0:1], 1, v[6:7]
	v_add_co_u32_e32 v0, vcc, v9, v0
	v_addc_co_u32_e32 v1, vcc, v14, v1, vcc
	global_store_short v[0:1], v30, off offset:-2
.LBB442_222:
	s_endpgm
.LBB442_223:
                                        ; implicit-def: $sgpr8_sgpr9
                                        ; implicit-def: $vgpr17
                                        ; implicit-def: $vgpr19
                                        ; implicit-def: $vgpr18
                                        ; implicit-def: $vgpr21
                                        ; implicit-def: $vgpr20
                                        ; implicit-def: $vgpr23
                                        ; implicit-def: $vgpr22
                                        ; implicit-def: $vgpr25
                                        ; implicit-def: $vgpr24
                                        ; implicit-def: $vgpr27
                                        ; implicit-def: $vgpr26
                                        ; implicit-def: $vgpr29
                                        ; implicit-def: $vgpr28
                                        ; implicit-def: $vgpr31
	s_cbranch_execz .LBB442_113
.LBB442_224:
	v_mad_u32_u24 v18, v0, 15, 14
	v_mov_b32_e32 v19, 0
	s_waitcnt vmcnt(0) lgkmcnt(0)
	v_lshlrev_b32_e32 v8, 1, v0
	v_lshrrev_b32_e32 v7, 16, v16
	v_mul_u32_u24_e32 v6, 15, v0
	v_cmp_gt_u64_e32 vcc, s[6:7], v[18:19]
	v_mov_b32_e32 v17, 0
	ds_write_b16 v8, v7
	s_and_saveexec_b64 s[8:9], vcc
; %bb.225:
	s_mov_b32 s10, 0xcccd
	v_mul_u32_u24_sdwa v9, v16, s10 dst_sel:DWORD dst_unused:UNUSED_PAD src0_sel:WORD_0 src1_sel:DWORD
	v_mul_u32_u24_sdwa v7, v7, s10 dst_sel:DWORD dst_unused:UNUSED_PAD src0_sel:WORD_0 src1_sel:DWORD
	v_lshrrev_b32_e32 v9, 19, v9
	v_lshrrev_b32_e32 v7, 19, v7
	v_cmp_ne_u16_e32 vcc, v9, v7
	v_cndmask_b32_e64 v17, 0, 1, vcc
; %bb.226:
	s_or_b64 exec, exec, s[8:9]
	v_add_u32_e32 v18, 13, v6
	v_cmp_gt_u64_e32 vcc, s[6:7], v[18:19]
	s_and_saveexec_b64 s[8:9], vcc
; %bb.227:
	s_mov_b32 s10, 0xcccd
	v_mul_u32_u24_sdwa v7, v15, s10 dst_sel:DWORD dst_unused:UNUSED_PAD src0_sel:WORD_1 src1_sel:DWORD
	v_mul_u32_u24_sdwa v9, v16, s10 dst_sel:DWORD dst_unused:UNUSED_PAD src0_sel:WORD_0 src1_sel:DWORD
	v_lshrrev_b32_e32 v7, 19, v7
	v_lshrrev_b32_e32 v9, 19, v9
	v_cmp_ne_u16_e32 vcc, v7, v9
	v_cndmask_b32_e64 v19, 0, 1, vcc
; %bb.228:
	s_or_b64 exec, exec, s[8:9]
	v_add_u32_e32 v20, 12, v6
	v_mov_b32_e32 v21, 0
	v_cmp_gt_u64_e32 vcc, s[6:7], v[20:21]
	v_mov_b32_e32 v18, 0
	s_and_saveexec_b64 s[8:9], vcc
; %bb.229:
	s_mov_b32 s10, 0xcccd
	v_mul_u32_u24_sdwa v7, v15, s10 dst_sel:DWORD dst_unused:UNUSED_PAD src0_sel:WORD_0 src1_sel:DWORD
	v_mul_u32_u24_sdwa v9, v15, s10 dst_sel:DWORD dst_unused:UNUSED_PAD src0_sel:WORD_1 src1_sel:DWORD
	v_lshrrev_b32_e32 v7, 19, v7
	v_lshrrev_b32_e32 v9, 19, v9
	v_cmp_ne_u16_e32 vcc, v7, v9
	v_cndmask_b32_e64 v18, 0, 1, vcc
; %bb.230:
	s_or_b64 exec, exec, s[8:9]
	v_add_u32_e32 v20, 11, v6
	v_cmp_gt_u64_e32 vcc, s[6:7], v[20:21]
	s_and_saveexec_b64 s[8:9], vcc
; %bb.231:
	s_mov_b32 s10, 0xcccd
	v_mul_u32_u24_sdwa v7, v14, s10 dst_sel:DWORD dst_unused:UNUSED_PAD src0_sel:WORD_1 src1_sel:DWORD
	v_mul_u32_u24_sdwa v9, v15, s10 dst_sel:DWORD dst_unused:UNUSED_PAD src0_sel:WORD_0 src1_sel:DWORD
	v_lshrrev_b32_e32 v7, 19, v7
	v_lshrrev_b32_e32 v9, 19, v9
	v_cmp_ne_u16_e32 vcc, v7, v9
	v_cndmask_b32_e64 v21, 0, 1, vcc
; %bb.232:
	s_or_b64 exec, exec, s[8:9]
	v_add_u32_e32 v22, 10, v6
	v_mov_b32_e32 v23, 0
	v_cmp_gt_u64_e32 vcc, s[6:7], v[22:23]
	v_mov_b32_e32 v20, 0
	s_and_saveexec_b64 s[8:9], vcc
; %bb.233:
	s_mov_b32 s10, 0xcccd
	v_mul_u32_u24_sdwa v7, v14, s10 dst_sel:DWORD dst_unused:UNUSED_PAD src0_sel:WORD_0 src1_sel:DWORD
	v_mul_u32_u24_sdwa v9, v14, s10 dst_sel:DWORD dst_unused:UNUSED_PAD src0_sel:WORD_1 src1_sel:DWORD
	;; [unrolled: 28-line block ×6, first 2 shown]
	v_lshrrev_b32_e32 v7, 19, v7
	v_lshrrev_b32_e32 v9, 19, v9
	v_cmp_ne_u16_e32 vcc, v7, v9
	v_cndmask_b32_e64 v28, 0, 1, vcc
; %bb.250:
	s_or_b64 exec, exec, s[8:9]
	v_add_u32_e32 v30, 1, v6
	v_cmp_gt_u64_e32 vcc, s[6:7], v[30:31]
	s_and_saveexec_b64 s[8:9], vcc
; %bb.251:
	s_mov_b32 s10, 0xcccd
	v_mul_u32_u24_sdwa v7, v1, s10 dst_sel:DWORD dst_unused:UNUSED_PAD src0_sel:WORD_0 src1_sel:DWORD
	v_mul_u32_u24_sdwa v9, v2, s10 dst_sel:DWORD dst_unused:UNUSED_PAD src0_sel:WORD_0 src1_sel:DWORD
	v_lshrrev_b32_e32 v7, 19, v7
	v_lshrrev_b32_e32 v9, 19, v9
	v_cmp_ne_u16_e32 vcc, v7, v9
	v_cndmask_b32_e64 v31, 0, 1, vcc
; %bb.252:
	s_or_b64 exec, exec, s[8:9]
	s_waitcnt lgkmcnt(0)
	s_barrier
	s_waitcnt lgkmcnt(0)
                                        ; implicit-def: $sgpr8_sgpr9
	s_and_saveexec_b64 s[10:11], s[2:3]
	s_cbranch_execz .LBB442_256
; %bb.253:
	v_mov_b32_e32 v7, 0
	v_cmp_gt_u64_e32 vcc, s[6:7], v[6:7]
	s_mov_b64 s[6:7], 0
	s_and_saveexec_b64 s[2:3], vcc
	s_cbranch_execz .LBB442_255
; %bb.254:
	v_add_u32_e32 v6, -2, v8
	ds_read_u16 v6, v6
	s_mov_b32 s6, 0xcccd
	v_mul_u32_u24_sdwa v7, v1, s6 dst_sel:DWORD dst_unused:UNUSED_PAD src0_sel:WORD_0 src1_sel:DWORD
	v_lshrrev_b32_e32 v7, 19, v7
	s_waitcnt lgkmcnt(0)
	v_mul_u32_u24_e32 v6, 0xcccd, v6
	v_lshrrev_b32_e32 v6, 19, v6
	v_cmp_ne_u16_e32 vcc, v6, v7
	s_and_b64 s[6:7], vcc, exec
.LBB442_255:
	s_or_b64 exec, exec, s[2:3]
	s_and_b64 s[8:9], s[6:7], exec
	s_or_b64 s[4:5], s[4:5], exec
.LBB442_256:
	s_or_b64 exec, exec, s[10:11]
	s_mov_b32 s10, 1
	v_mov_b32_e32 v78, s10
	s_and_saveexec_b64 s[2:3], s[4:5]
	s_cbranch_execnz .LBB442_115
	s_branch .LBB442_116
.LBB442_257:
	s_and_saveexec_b64 s[42:43], s[30:31]
	s_cbranch_execnz .LBB442_325
; %bb.258:
	s_or_b64 exec, exec, s[42:43]
	s_and_saveexec_b64 s[42:43], s[28:29]
	s_cbranch_execnz .LBB442_326
.LBB442_259:
	s_or_b64 exec, exec, s[42:43]
	s_and_saveexec_b64 s[42:43], s[26:27]
	s_cbranch_execnz .LBB442_327
.LBB442_260:
	s_or_b64 exec, exec, s[42:43]
	s_and_saveexec_b64 s[42:43], s[24:25]
	s_cbranch_execnz .LBB442_328
.LBB442_261:
	s_or_b64 exec, exec, s[42:43]
	s_and_saveexec_b64 s[42:43], s[22:23]
	s_cbranch_execnz .LBB442_329
.LBB442_262:
	s_or_b64 exec, exec, s[42:43]
	s_and_saveexec_b64 s[42:43], s[20:21]
	s_cbranch_execnz .LBB442_330
.LBB442_263:
	s_or_b64 exec, exec, s[42:43]
	s_and_saveexec_b64 s[42:43], s[18:19]
	s_cbranch_execnz .LBB442_331
.LBB442_264:
	s_or_b64 exec, exec, s[42:43]
	s_and_saveexec_b64 s[42:43], s[16:17]
	s_cbranch_execnz .LBB442_332
.LBB442_265:
	s_or_b64 exec, exec, s[42:43]
	s_and_saveexec_b64 s[42:43], s[14:15]
	s_cbranch_execnz .LBB442_333
.LBB442_266:
	s_or_b64 exec, exec, s[42:43]
	s_and_saveexec_b64 s[42:43], s[12:13]
	s_cbranch_execnz .LBB442_334
.LBB442_267:
	s_or_b64 exec, exec, s[42:43]
	s_and_saveexec_b64 s[42:43], s[10:11]
	s_cbranch_execnz .LBB442_335
.LBB442_268:
	s_or_b64 exec, exec, s[42:43]
	s_and_saveexec_b64 s[42:43], s[8:9]
	s_cbranch_execnz .LBB442_336
.LBB442_269:
	s_or_b64 exec, exec, s[42:43]
	s_and_saveexec_b64 s[42:43], s[6:7]
	s_cbranch_execnz .LBB442_337
.LBB442_270:
	s_or_b64 exec, exec, s[42:43]
	s_and_saveexec_b64 s[42:43], s[4:5]
	s_cbranch_execz .LBB442_272
.LBB442_271:
	v_sub_u32_e32 v12, v36, v8
	v_mov_b32_e32 v13, 0
	v_lshlrev_b64 v[12:13], 1, v[12:13]
	v_add_co_u32_e32 v12, vcc, v7, v12
	v_addc_co_u32_e32 v13, vcc, v9, v13, vcc
	global_store_short v[12:13], v16, off
.LBB442_272:
	s_or_b64 exec, exec, s[42:43]
	s_and_b64 s[42:43], s[2:3], exec
	s_andn2_saveexec_b64 s[34:35], s[34:35]
	s_cbranch_execz .LBB442_165
.LBB442_273:
	v_sub_u32_e32 v12, v62, v8
	v_mov_b32_e32 v13, 0
	v_lshlrev_b64 v[68:69], 1, v[12:13]
	v_add_co_u32_e32 v68, vcc, v7, v68
	v_addc_co_u32_e32 v69, vcc, v9, v69, vcc
	v_sub_u32_e32 v12, v60, v8
	global_store_short v[68:69], v1, off
	v_lshlrev_b64 v[68:69], 1, v[12:13]
	v_add_co_u32_e32 v68, vcc, v7, v68
	v_addc_co_u32_e32 v69, vcc, v9, v69, vcc
	v_sub_u32_e32 v12, v58, v8
	global_store_short v[68:69], v2, off
	v_lshlrev_b64 v[68:69], 1, v[12:13]
	v_add_co_u32_e32 v68, vcc, v7, v68
	v_addc_co_u32_e32 v69, vcc, v9, v69, vcc
	v_sub_u32_e32 v12, v56, v8
	global_store_short_d16_hi v[68:69], v2, off
	v_lshlrev_b64 v[68:69], 1, v[12:13]
	v_add_co_u32_e32 v68, vcc, v7, v68
	v_addc_co_u32_e32 v69, vcc, v9, v69, vcc
	v_sub_u32_e32 v12, v54, v8
	global_store_short v[68:69], v3, off
	v_lshlrev_b64 v[68:69], 1, v[12:13]
	v_add_co_u32_e32 v68, vcc, v7, v68
	v_addc_co_u32_e32 v69, vcc, v9, v69, vcc
	v_sub_u32_e32 v12, v52, v8
	global_store_short_d16_hi v[68:69], v3, off
	v_lshlrev_b64 v[68:69], 1, v[12:13]
	v_add_co_u32_e32 v68, vcc, v7, v68
	v_addc_co_u32_e32 v69, vcc, v9, v69, vcc
	v_sub_u32_e32 v12, v50, v8
	global_store_short v[68:69], v4, off
	v_lshlrev_b64 v[68:69], 1, v[12:13]
	v_add_co_u32_e32 v68, vcc, v7, v68
	v_addc_co_u32_e32 v69, vcc, v9, v69, vcc
	v_sub_u32_e32 v12, v48, v8
	global_store_short_d16_hi v[68:69], v4, off
	v_lshlrev_b64 v[68:69], 1, v[12:13]
	v_add_co_u32_e32 v68, vcc, v7, v68
	v_addc_co_u32_e32 v69, vcc, v9, v69, vcc
	v_sub_u32_e32 v12, v46, v8
	global_store_short v[68:69], v5, off
	v_lshlrev_b64 v[68:69], 1, v[12:13]
	v_add_co_u32_e32 v68, vcc, v7, v68
	v_addc_co_u32_e32 v69, vcc, v9, v69, vcc
	v_sub_u32_e32 v12, v44, v8
	global_store_short_d16_hi v[68:69], v5, off
	v_lshlrev_b64 v[68:69], 1, v[12:13]
	v_add_co_u32_e32 v68, vcc, v7, v68
	v_addc_co_u32_e32 v69, vcc, v9, v69, vcc
	v_sub_u32_e32 v12, v42, v8
	global_store_short v[68:69], v14, off
	v_lshlrev_b64 v[68:69], 1, v[12:13]
	v_add_co_u32_e32 v68, vcc, v7, v68
	v_addc_co_u32_e32 v69, vcc, v9, v69, vcc
	v_sub_u32_e32 v12, v40, v8
	global_store_short_d16_hi v[68:69], v14, off
	v_lshlrev_b64 v[68:69], 1, v[12:13]
	v_add_co_u32_e32 v68, vcc, v7, v68
	v_addc_co_u32_e32 v69, vcc, v9, v69, vcc
	v_sub_u32_e32 v12, v38, v8
	global_store_short v[68:69], v15, off
	v_lshlrev_b64 v[68:69], 1, v[12:13]
	v_add_co_u32_e32 v68, vcc, v7, v68
	v_sub_u32_e32 v12, v36, v8
	v_addc_co_u32_e32 v69, vcc, v9, v69, vcc
	v_lshlrev_b64 v[12:13], 1, v[12:13]
	v_add_co_u32_e32 v12, vcc, v7, v12
	v_addc_co_u32_e32 v13, vcc, v9, v13, vcc
	s_or_b64 s[42:43], s[42:43], exec
	global_store_short_d16_hi v[68:69], v15, off
	global_store_short v[12:13], v16, off
	s_or_b64 exec, exec, s[34:35]
	s_and_b64 exec, exec, s[42:43]
	s_cbranch_execnz .LBB442_166
	s_branch .LBB442_167
.LBB442_274:
	s_and_saveexec_b64 s[42:43], s[30:31]
	s_cbranch_execnz .LBB442_338
; %bb.275:
	s_or_b64 exec, exec, s[42:43]
	s_and_saveexec_b64 s[30:31], s[28:29]
	s_cbranch_execnz .LBB442_339
.LBB442_276:
	s_or_b64 exec, exec, s[30:31]
	s_and_saveexec_b64 s[28:29], s[26:27]
	s_cbranch_execnz .LBB442_340
.LBB442_277:
	s_or_b64 exec, exec, s[28:29]
	s_and_saveexec_b64 s[26:27], s[24:25]
	s_cbranch_execnz .LBB442_341
.LBB442_278:
	s_or_b64 exec, exec, s[26:27]
	s_and_saveexec_b64 s[24:25], s[22:23]
	s_cbranch_execnz .LBB442_342
.LBB442_279:
	s_or_b64 exec, exec, s[24:25]
	s_and_saveexec_b64 s[22:23], s[20:21]
	s_cbranch_execnz .LBB442_343
.LBB442_280:
	s_or_b64 exec, exec, s[22:23]
	s_and_saveexec_b64 s[20:21], s[18:19]
	s_cbranch_execnz .LBB442_344
.LBB442_281:
	s_or_b64 exec, exec, s[20:21]
	s_and_saveexec_b64 s[18:19], s[16:17]
	s_cbranch_execnz .LBB442_345
.LBB442_282:
	s_or_b64 exec, exec, s[18:19]
	s_and_saveexec_b64 s[16:17], s[14:15]
	s_cbranch_execnz .LBB442_346
.LBB442_283:
	s_or_b64 exec, exec, s[16:17]
	s_and_saveexec_b64 s[14:15], s[12:13]
	s_cbranch_execnz .LBB442_347
.LBB442_284:
	s_or_b64 exec, exec, s[14:15]
	s_and_saveexec_b64 s[12:13], s[10:11]
	s_cbranch_execnz .LBB442_348
.LBB442_285:
	s_or_b64 exec, exec, s[12:13]
	s_and_saveexec_b64 s[10:11], s[8:9]
	s_cbranch_execnz .LBB442_349
.LBB442_286:
	s_or_b64 exec, exec, s[10:11]
	s_and_saveexec_b64 s[8:9], s[6:7]
	s_cbranch_execnz .LBB442_350
.LBB442_287:
	s_or_b64 exec, exec, s[8:9]
	s_and_saveexec_b64 s[6:7], s[4:5]
	s_cbranch_execz .LBB442_289
.LBB442_288:
	v_sub_u32_e32 v1, v36, v8
	v_lshlrev_b32_e32 v1, 1, v1
	ds_write_b16 v1, v16
.LBB442_289:
	s_or_b64 exec, exec, s[6:7]
	s_and_b64 s[42:43], s[2:3], exec
                                        ; implicit-def: $vgpr1
                                        ; implicit-def: $vgpr2
	s_andn2_saveexec_b64 s[2:3], s[40:41]
	s_cbranch_execz .LBB442_172
.LBB442_290:
	v_sub_u32_e32 v10, v62, v8
	v_lshlrev_b32_e32 v10, 1, v10
	ds_write_b16 v10, v1
	v_sub_u32_e32 v1, v60, v8
	v_lshlrev_b32_e32 v1, 1, v1
	ds_write_b16 v1, v2
	v_sub_u32_e32 v1, v58, v8
	v_lshlrev_b32_e32 v1, 1, v1
	ds_write_b16_d16_hi v1, v2
	v_sub_u32_e32 v1, v56, v8
	v_lshlrev_b32_e32 v1, 1, v1
	ds_write_b16 v1, v3
	v_sub_u32_e32 v1, v54, v8
	v_lshlrev_b32_e32 v1, 1, v1
	ds_write_b16_d16_hi v1, v3
	v_sub_u32_e32 v1, v52, v8
	v_lshlrev_b32_e32 v1, 1, v1
	ds_write_b16 v1, v4
	v_sub_u32_e32 v1, v50, v8
	v_lshlrev_b32_e32 v1, 1, v1
	ds_write_b16_d16_hi v1, v4
	v_sub_u32_e32 v1, v48, v8
	v_lshlrev_b32_e32 v1, 1, v1
	ds_write_b16 v1, v5
	v_sub_u32_e32 v1, v46, v8
	v_lshlrev_b32_e32 v1, 1, v1
	ds_write_b16_d16_hi v1, v5
	v_sub_u32_e32 v1, v44, v8
	v_lshlrev_b32_e32 v1, 1, v1
	ds_write_b16 v1, v14
	v_sub_u32_e32 v1, v42, v8
	v_lshlrev_b32_e32 v1, 1, v1
	ds_write_b16_d16_hi v1, v14
	v_sub_u32_e32 v1, v40, v8
	v_lshlrev_b32_e32 v1, 1, v1
	ds_write_b16 v1, v15
	v_sub_u32_e32 v1, v38, v8
	v_lshlrev_b32_e32 v1, 1, v1
	ds_write_b16_d16_hi v1, v15
	v_sub_u32_e32 v1, v36, v8
	v_lshlrev_b32_e32 v1, 1, v1
	s_or_b64 s[42:43], s[42:43], exec
	ds_write_b16 v1, v16
	s_or_b64 exec, exec, s[2:3]
	s_and_b64 exec, exec, s[42:43]
	s_cbranch_execnz .LBB442_173
	s_branch .LBB442_174
.LBB442_291:
	s_and_saveexec_b64 s[38:39], s[28:29]
	s_cbranch_execnz .LBB442_351
; %bb.292:
	s_or_b64 exec, exec, s[38:39]
	s_and_saveexec_b64 s[38:39], s[26:27]
	s_cbranch_execnz .LBB442_352
.LBB442_293:
	s_or_b64 exec, exec, s[38:39]
	s_and_saveexec_b64 s[38:39], s[24:25]
	s_cbranch_execnz .LBB442_353
.LBB442_294:
	s_or_b64 exec, exec, s[38:39]
	s_and_saveexec_b64 s[38:39], s[22:23]
	s_cbranch_execnz .LBB442_354
.LBB442_295:
	s_or_b64 exec, exec, s[38:39]
	s_and_saveexec_b64 s[38:39], s[20:21]
	s_cbranch_execnz .LBB442_355
.LBB442_296:
	s_or_b64 exec, exec, s[38:39]
	s_and_saveexec_b64 s[38:39], s[18:19]
	s_cbranch_execnz .LBB442_356
.LBB442_297:
	s_or_b64 exec, exec, s[38:39]
	s_and_saveexec_b64 s[38:39], s[16:17]
	s_cbranch_execnz .LBB442_357
.LBB442_298:
	s_or_b64 exec, exec, s[38:39]
	s_and_saveexec_b64 s[38:39], s[14:15]
	s_cbranch_execnz .LBB442_358
.LBB442_299:
	s_or_b64 exec, exec, s[38:39]
	s_and_saveexec_b64 s[38:39], s[12:13]
	s_cbranch_execnz .LBB442_359
.LBB442_300:
	s_or_b64 exec, exec, s[38:39]
	s_and_saveexec_b64 s[38:39], s[10:11]
	s_cbranch_execnz .LBB442_360
.LBB442_301:
	s_or_b64 exec, exec, s[38:39]
	s_and_saveexec_b64 s[38:39], s[8:9]
	s_cbranch_execnz .LBB442_361
.LBB442_302:
	s_or_b64 exec, exec, s[38:39]
	s_and_saveexec_b64 s[38:39], s[6:7]
	s_cbranch_execnz .LBB442_362
.LBB442_303:
	s_or_b64 exec, exec, s[38:39]
	s_and_saveexec_b64 s[38:39], s[4:5]
	s_cbranch_execnz .LBB442_363
.LBB442_304:
	s_or_b64 exec, exec, s[38:39]
	s_and_saveexec_b64 s[38:39], s[2:3]
	s_cbranch_execz .LBB442_306
.LBB442_305:
	v_sub_u32_e32 v10, v36, v3
	v_mov_b32_e32 v11, 0
	v_lshlrev_b64 v[10:11], 1, v[10:11]
	v_add_co_u32_e32 v10, vcc, v15, v10
	v_addc_co_u32_e32 v11, vcc, v16, v11, vcc
	global_store_short v[10:11], v37, off
.LBB442_306:
	s_or_b64 exec, exec, s[38:39]
	s_and_b64 s[38:39], s[0:1], exec
	s_andn2_saveexec_b64 s[30:31], s[30:31]
	s_cbranch_execz .LBB442_194
.LBB442_307:
	v_sub_u32_e32 v10, v62, v3
	v_mov_b32_e32 v11, 0
	v_lshlrev_b64 v[12:13], 1, v[10:11]
	v_add_co_u32_e32 v12, vcc, v15, v12
	v_addc_co_u32_e32 v13, vcc, v16, v13, vcc
	v_sub_u32_e32 v10, v60, v3
	global_store_short v[12:13], v63, off
	v_lshlrev_b64 v[12:13], 1, v[10:11]
	v_add_co_u32_e32 v12, vcc, v15, v12
	v_addc_co_u32_e32 v13, vcc, v16, v13, vcc
	v_sub_u32_e32 v10, v58, v3
	global_store_short v[12:13], v61, off
	;; [unrolled: 5-line block ×12, first 2 shown]
	v_lshlrev_b64 v[12:13], 1, v[10:11]
	v_add_co_u32_e32 v12, vcc, v15, v12
	v_sub_u32_e32 v10, v36, v3
	v_addc_co_u32_e32 v13, vcc, v16, v13, vcc
	v_lshlrev_b64 v[10:11], 1, v[10:11]
	v_add_co_u32_e32 v10, vcc, v15, v10
	v_addc_co_u32_e32 v11, vcc, v16, v11, vcc
	s_or_b64 s[38:39], s[38:39], exec
	global_store_short v[12:13], v39, off
	global_store_short v[10:11], v37, off
	s_or_b64 exec, exec, s[30:31]
	s_and_b64 exec, exec, s[38:39]
	s_cbranch_execnz .LBB442_195
	s_branch .LBB442_196
.LBB442_308:
	s_and_saveexec_b64 s[38:39], s[28:29]
	s_cbranch_execnz .LBB442_364
; %bb.309:
	s_or_b64 exec, exec, s[38:39]
	s_and_saveexec_b64 s[28:29], s[26:27]
	s_cbranch_execnz .LBB442_365
.LBB442_310:
	s_or_b64 exec, exec, s[28:29]
	s_and_saveexec_b64 s[26:27], s[24:25]
	s_cbranch_execnz .LBB442_366
.LBB442_311:
	s_or_b64 exec, exec, s[26:27]
	s_and_saveexec_b64 s[24:25], s[22:23]
	s_cbranch_execnz .LBB442_367
.LBB442_312:
	s_or_b64 exec, exec, s[24:25]
	s_and_saveexec_b64 s[22:23], s[20:21]
	s_cbranch_execnz .LBB442_368
.LBB442_313:
	s_or_b64 exec, exec, s[22:23]
	s_and_saveexec_b64 s[20:21], s[18:19]
	s_cbranch_execnz .LBB442_369
.LBB442_314:
	s_or_b64 exec, exec, s[20:21]
	s_and_saveexec_b64 s[18:19], s[16:17]
	s_cbranch_execnz .LBB442_370
.LBB442_315:
	s_or_b64 exec, exec, s[18:19]
	s_and_saveexec_b64 s[16:17], s[14:15]
	s_cbranch_execnz .LBB442_371
.LBB442_316:
	s_or_b64 exec, exec, s[16:17]
	s_and_saveexec_b64 s[14:15], s[12:13]
	s_cbranch_execnz .LBB442_372
.LBB442_317:
	s_or_b64 exec, exec, s[14:15]
	s_and_saveexec_b64 s[12:13], s[10:11]
	s_cbranch_execnz .LBB442_373
.LBB442_318:
	s_or_b64 exec, exec, s[12:13]
	s_and_saveexec_b64 s[10:11], s[8:9]
	s_cbranch_execnz .LBB442_374
.LBB442_319:
	s_or_b64 exec, exec, s[10:11]
	s_and_saveexec_b64 s[8:9], s[6:7]
	s_cbranch_execnz .LBB442_375
.LBB442_320:
	s_or_b64 exec, exec, s[8:9]
	s_and_saveexec_b64 s[6:7], s[4:5]
	s_cbranch_execnz .LBB442_376
.LBB442_321:
	s_or_b64 exec, exec, s[6:7]
	s_and_saveexec_b64 s[4:5], s[2:3]
	s_cbranch_execz .LBB442_323
.LBB442_322:
	v_sub_u32_e32 v4, v36, v3
	v_lshlrev_b32_e32 v4, 1, v4
	ds_write_b16 v4, v37
.LBB442_323:
	s_or_b64 exec, exec, s[4:5]
	s_and_b64 s[38:39], s[0:1], exec
                                        ; implicit-def: $vgpr62_vgpr63
                                        ; implicit-def: $vgpr60_vgpr61
                                        ; implicit-def: $vgpr58_vgpr59
                                        ; implicit-def: $vgpr56_vgpr57
                                        ; implicit-def: $vgpr54_vgpr55
                                        ; implicit-def: $vgpr52_vgpr53
                                        ; implicit-def: $vgpr50_vgpr51
                                        ; implicit-def: $vgpr48_vgpr49
                                        ; implicit-def: $vgpr46_vgpr47
                                        ; implicit-def: $vgpr44_vgpr45
                                        ; implicit-def: $vgpr42_vgpr43
                                        ; implicit-def: $vgpr40_vgpr41
                                        ; implicit-def: $vgpr38_vgpr39
                                        ; implicit-def: $vgpr36_vgpr37
	s_andn2_saveexec_b64 s[0:1], s[34:35]
	s_cbranch_execz .LBB442_201
.LBB442_324:
	v_sub_u32_e32 v4, v62, v3
	v_lshlrev_b32_e32 v4, 1, v4
	ds_write_b16 v4, v63
	v_sub_u32_e32 v4, v60, v3
	v_lshlrev_b32_e32 v4, 1, v4
	ds_write_b16 v4, v61
	v_sub_u32_e32 v4, v58, v3
	v_lshlrev_b32_e32 v4, 1, v4
	ds_write_b16 v4, v59
	v_sub_u32_e32 v4, v56, v3
	v_lshlrev_b32_e32 v4, 1, v4
	ds_write_b16 v4, v57
	v_sub_u32_e32 v4, v54, v3
	v_lshlrev_b32_e32 v4, 1, v4
	ds_write_b16 v4, v55
	v_sub_u32_e32 v4, v52, v3
	v_lshlrev_b32_e32 v4, 1, v4
	ds_write_b16 v4, v53
	v_sub_u32_e32 v4, v50, v3
	v_lshlrev_b32_e32 v4, 1, v4
	ds_write_b16 v4, v51
	v_sub_u32_e32 v4, v48, v3
	v_lshlrev_b32_e32 v4, 1, v4
	ds_write_b16 v4, v49
	v_sub_u32_e32 v4, v46, v3
	v_lshlrev_b32_e32 v4, 1, v4
	ds_write_b16 v4, v47
	v_sub_u32_e32 v4, v44, v3
	v_lshlrev_b32_e32 v4, 1, v4
	ds_write_b16 v4, v45
	v_sub_u32_e32 v4, v42, v3
	v_lshlrev_b32_e32 v4, 1, v4
	ds_write_b16 v4, v43
	v_sub_u32_e32 v4, v40, v3
	v_lshlrev_b32_e32 v4, 1, v4
	ds_write_b16 v4, v41
	v_sub_u32_e32 v4, v38, v3
	v_lshlrev_b32_e32 v4, 1, v4
	ds_write_b16 v4, v39
	v_sub_u32_e32 v4, v36, v3
	v_lshlrev_b32_e32 v4, 1, v4
	s_or_b64 s[38:39], s[38:39], exec
	ds_write_b16 v4, v37
	s_or_b64 exec, exec, s[0:1]
	s_and_b64 exec, exec, s[38:39]
	s_cbranch_execnz .LBB442_202
	s_branch .LBB442_203
.LBB442_325:
	v_sub_u32_e32 v12, v62, v8
	v_mov_b32_e32 v13, 0
	v_lshlrev_b64 v[12:13], 1, v[12:13]
	v_add_co_u32_e32 v12, vcc, v7, v12
	v_addc_co_u32_e32 v13, vcc, v9, v13, vcc
	global_store_short v[12:13], v1, off
	s_or_b64 exec, exec, s[42:43]
	s_and_saveexec_b64 s[42:43], s[28:29]
	s_cbranch_execz .LBB442_259
.LBB442_326:
	v_sub_u32_e32 v12, v60, v8
	v_mov_b32_e32 v13, 0
	v_lshlrev_b64 v[12:13], 1, v[12:13]
	v_add_co_u32_e32 v12, vcc, v7, v12
	v_addc_co_u32_e32 v13, vcc, v9, v13, vcc
	global_store_short v[12:13], v2, off
	s_or_b64 exec, exec, s[42:43]
	s_and_saveexec_b64 s[42:43], s[26:27]
	s_cbranch_execz .LBB442_260
.LBB442_327:
	v_sub_u32_e32 v12, v58, v8
	v_mov_b32_e32 v13, 0
	v_lshlrev_b64 v[12:13], 1, v[12:13]
	v_add_co_u32_e32 v12, vcc, v7, v12
	v_addc_co_u32_e32 v13, vcc, v9, v13, vcc
	global_store_short_d16_hi v[12:13], v2, off
	s_or_b64 exec, exec, s[42:43]
	s_and_saveexec_b64 s[42:43], s[24:25]
	s_cbranch_execz .LBB442_261
.LBB442_328:
	v_sub_u32_e32 v12, v56, v8
	v_mov_b32_e32 v13, 0
	v_lshlrev_b64 v[12:13], 1, v[12:13]
	v_add_co_u32_e32 v12, vcc, v7, v12
	v_addc_co_u32_e32 v13, vcc, v9, v13, vcc
	global_store_short v[12:13], v3, off
	s_or_b64 exec, exec, s[42:43]
	s_and_saveexec_b64 s[42:43], s[22:23]
	s_cbranch_execz .LBB442_262
.LBB442_329:
	v_sub_u32_e32 v12, v54, v8
	v_mov_b32_e32 v13, 0
	v_lshlrev_b64 v[12:13], 1, v[12:13]
	v_add_co_u32_e32 v12, vcc, v7, v12
	v_addc_co_u32_e32 v13, vcc, v9, v13, vcc
	global_store_short_d16_hi v[12:13], v3, off
	s_or_b64 exec, exec, s[42:43]
	s_and_saveexec_b64 s[42:43], s[20:21]
	s_cbranch_execz .LBB442_263
.LBB442_330:
	v_sub_u32_e32 v12, v52, v8
	v_mov_b32_e32 v13, 0
	v_lshlrev_b64 v[12:13], 1, v[12:13]
	v_add_co_u32_e32 v12, vcc, v7, v12
	v_addc_co_u32_e32 v13, vcc, v9, v13, vcc
	global_store_short v[12:13], v4, off
	s_or_b64 exec, exec, s[42:43]
	s_and_saveexec_b64 s[42:43], s[18:19]
	s_cbranch_execz .LBB442_264
.LBB442_331:
	v_sub_u32_e32 v12, v50, v8
	v_mov_b32_e32 v13, 0
	v_lshlrev_b64 v[12:13], 1, v[12:13]
	v_add_co_u32_e32 v12, vcc, v7, v12
	v_addc_co_u32_e32 v13, vcc, v9, v13, vcc
	global_store_short_d16_hi v[12:13], v4, off
	s_or_b64 exec, exec, s[42:43]
	s_and_saveexec_b64 s[42:43], s[16:17]
	s_cbranch_execz .LBB442_265
.LBB442_332:
	v_sub_u32_e32 v12, v48, v8
	v_mov_b32_e32 v13, 0
	v_lshlrev_b64 v[12:13], 1, v[12:13]
	v_add_co_u32_e32 v12, vcc, v7, v12
	v_addc_co_u32_e32 v13, vcc, v9, v13, vcc
	global_store_short v[12:13], v5, off
	s_or_b64 exec, exec, s[42:43]
	s_and_saveexec_b64 s[42:43], s[14:15]
	s_cbranch_execz .LBB442_266
.LBB442_333:
	v_sub_u32_e32 v12, v46, v8
	v_mov_b32_e32 v13, 0
	v_lshlrev_b64 v[12:13], 1, v[12:13]
	v_add_co_u32_e32 v12, vcc, v7, v12
	v_addc_co_u32_e32 v13, vcc, v9, v13, vcc
	global_store_short_d16_hi v[12:13], v5, off
	s_or_b64 exec, exec, s[42:43]
	s_and_saveexec_b64 s[42:43], s[12:13]
	s_cbranch_execz .LBB442_267
.LBB442_334:
	v_sub_u32_e32 v12, v44, v8
	v_mov_b32_e32 v13, 0
	v_lshlrev_b64 v[12:13], 1, v[12:13]
	v_add_co_u32_e32 v12, vcc, v7, v12
	v_addc_co_u32_e32 v13, vcc, v9, v13, vcc
	global_store_short v[12:13], v14, off
	s_or_b64 exec, exec, s[42:43]
	s_and_saveexec_b64 s[42:43], s[10:11]
	s_cbranch_execz .LBB442_268
.LBB442_335:
	v_sub_u32_e32 v12, v42, v8
	v_mov_b32_e32 v13, 0
	v_lshlrev_b64 v[12:13], 1, v[12:13]
	v_add_co_u32_e32 v12, vcc, v7, v12
	v_addc_co_u32_e32 v13, vcc, v9, v13, vcc
	global_store_short_d16_hi v[12:13], v14, off
	s_or_b64 exec, exec, s[42:43]
	s_and_saveexec_b64 s[42:43], s[8:9]
	s_cbranch_execz .LBB442_269
.LBB442_336:
	v_sub_u32_e32 v12, v40, v8
	v_mov_b32_e32 v13, 0
	v_lshlrev_b64 v[12:13], 1, v[12:13]
	v_add_co_u32_e32 v12, vcc, v7, v12
	v_addc_co_u32_e32 v13, vcc, v9, v13, vcc
	global_store_short v[12:13], v15, off
	s_or_b64 exec, exec, s[42:43]
	s_and_saveexec_b64 s[42:43], s[6:7]
	s_cbranch_execz .LBB442_270
.LBB442_337:
	v_sub_u32_e32 v12, v38, v8
	v_mov_b32_e32 v13, 0
	v_lshlrev_b64 v[12:13], 1, v[12:13]
	v_add_co_u32_e32 v12, vcc, v7, v12
	v_addc_co_u32_e32 v13, vcc, v9, v13, vcc
	global_store_short_d16_hi v[12:13], v15, off
	s_or_b64 exec, exec, s[42:43]
	s_and_saveexec_b64 s[42:43], s[4:5]
	s_cbranch_execnz .LBB442_271
	s_branch .LBB442_272
.LBB442_338:
	v_sub_u32_e32 v10, v62, v8
	v_lshlrev_b32_e32 v10, 1, v10
	ds_write_b16 v10, v1
	s_or_b64 exec, exec, s[42:43]
	s_and_saveexec_b64 s[30:31], s[28:29]
	s_cbranch_execz .LBB442_276
.LBB442_339:
	v_sub_u32_e32 v1, v60, v8
	v_lshlrev_b32_e32 v1, 1, v1
	ds_write_b16 v1, v2
	s_or_b64 exec, exec, s[30:31]
	s_and_saveexec_b64 s[28:29], s[26:27]
	s_cbranch_execz .LBB442_277
.LBB442_340:
	v_sub_u32_e32 v1, v58, v8
	v_lshlrev_b32_e32 v1, 1, v1
	ds_write_b16_d16_hi v1, v2
	s_or_b64 exec, exec, s[28:29]
	s_and_saveexec_b64 s[26:27], s[24:25]
	s_cbranch_execz .LBB442_278
.LBB442_341:
	v_sub_u32_e32 v1, v56, v8
	v_lshlrev_b32_e32 v1, 1, v1
	ds_write_b16 v1, v3
	s_or_b64 exec, exec, s[26:27]
	s_and_saveexec_b64 s[24:25], s[22:23]
	s_cbranch_execz .LBB442_279
.LBB442_342:
	v_sub_u32_e32 v1, v54, v8
	v_lshlrev_b32_e32 v1, 1, v1
	ds_write_b16_d16_hi v1, v3
	s_or_b64 exec, exec, s[24:25]
	s_and_saveexec_b64 s[22:23], s[20:21]
	s_cbranch_execz .LBB442_280
.LBB442_343:
	v_sub_u32_e32 v1, v52, v8
	v_lshlrev_b32_e32 v1, 1, v1
	ds_write_b16 v1, v4
	s_or_b64 exec, exec, s[22:23]
	s_and_saveexec_b64 s[20:21], s[18:19]
	s_cbranch_execz .LBB442_281
.LBB442_344:
	v_sub_u32_e32 v1, v50, v8
	v_lshlrev_b32_e32 v1, 1, v1
	ds_write_b16_d16_hi v1, v4
	s_or_b64 exec, exec, s[20:21]
	s_and_saveexec_b64 s[18:19], s[16:17]
	s_cbranch_execz .LBB442_282
.LBB442_345:
	v_sub_u32_e32 v1, v48, v8
	v_lshlrev_b32_e32 v1, 1, v1
	ds_write_b16 v1, v5
	s_or_b64 exec, exec, s[18:19]
	s_and_saveexec_b64 s[16:17], s[14:15]
	s_cbranch_execz .LBB442_283
.LBB442_346:
	v_sub_u32_e32 v1, v46, v8
	v_lshlrev_b32_e32 v1, 1, v1
	ds_write_b16_d16_hi v1, v5
	s_or_b64 exec, exec, s[16:17]
	s_and_saveexec_b64 s[14:15], s[12:13]
	s_cbranch_execz .LBB442_284
.LBB442_347:
	v_sub_u32_e32 v1, v44, v8
	v_lshlrev_b32_e32 v1, 1, v1
	ds_write_b16 v1, v14
	s_or_b64 exec, exec, s[14:15]
	s_and_saveexec_b64 s[12:13], s[10:11]
	s_cbranch_execz .LBB442_285
.LBB442_348:
	v_sub_u32_e32 v1, v42, v8
	v_lshlrev_b32_e32 v1, 1, v1
	ds_write_b16_d16_hi v1, v14
	s_or_b64 exec, exec, s[12:13]
	s_and_saveexec_b64 s[10:11], s[8:9]
	s_cbranch_execz .LBB442_286
.LBB442_349:
	v_sub_u32_e32 v1, v40, v8
	v_lshlrev_b32_e32 v1, 1, v1
	ds_write_b16 v1, v15
	s_or_b64 exec, exec, s[10:11]
	s_and_saveexec_b64 s[8:9], s[6:7]
	s_cbranch_execz .LBB442_287
.LBB442_350:
	v_sub_u32_e32 v1, v38, v8
	v_lshlrev_b32_e32 v1, 1, v1
	ds_write_b16_d16_hi v1, v15
	s_or_b64 exec, exec, s[8:9]
	s_and_saveexec_b64 s[6:7], s[4:5]
	s_cbranch_execnz .LBB442_288
	s_branch .LBB442_289
.LBB442_351:
	v_sub_u32_e32 v10, v62, v3
	v_mov_b32_e32 v11, 0
	v_lshlrev_b64 v[10:11], 1, v[10:11]
	v_add_co_u32_e32 v10, vcc, v15, v10
	v_addc_co_u32_e32 v11, vcc, v16, v11, vcc
	global_store_short v[10:11], v63, off
	s_or_b64 exec, exec, s[38:39]
	s_and_saveexec_b64 s[38:39], s[26:27]
	s_cbranch_execz .LBB442_293
.LBB442_352:
	v_sub_u32_e32 v10, v60, v3
	v_mov_b32_e32 v11, 0
	v_lshlrev_b64 v[10:11], 1, v[10:11]
	v_add_co_u32_e32 v10, vcc, v15, v10
	v_addc_co_u32_e32 v11, vcc, v16, v11, vcc
	global_store_short v[10:11], v61, off
	s_or_b64 exec, exec, s[38:39]
	s_and_saveexec_b64 s[38:39], s[24:25]
	s_cbranch_execz .LBB442_294
.LBB442_353:
	v_sub_u32_e32 v10, v58, v3
	v_mov_b32_e32 v11, 0
	v_lshlrev_b64 v[10:11], 1, v[10:11]
	v_add_co_u32_e32 v10, vcc, v15, v10
	v_addc_co_u32_e32 v11, vcc, v16, v11, vcc
	global_store_short v[10:11], v59, off
	s_or_b64 exec, exec, s[38:39]
	s_and_saveexec_b64 s[38:39], s[22:23]
	s_cbranch_execz .LBB442_295
.LBB442_354:
	v_sub_u32_e32 v10, v56, v3
	v_mov_b32_e32 v11, 0
	v_lshlrev_b64 v[10:11], 1, v[10:11]
	v_add_co_u32_e32 v10, vcc, v15, v10
	v_addc_co_u32_e32 v11, vcc, v16, v11, vcc
	global_store_short v[10:11], v57, off
	s_or_b64 exec, exec, s[38:39]
	s_and_saveexec_b64 s[38:39], s[20:21]
	s_cbranch_execz .LBB442_296
.LBB442_355:
	v_sub_u32_e32 v10, v54, v3
	v_mov_b32_e32 v11, 0
	v_lshlrev_b64 v[10:11], 1, v[10:11]
	v_add_co_u32_e32 v10, vcc, v15, v10
	v_addc_co_u32_e32 v11, vcc, v16, v11, vcc
	global_store_short v[10:11], v55, off
	s_or_b64 exec, exec, s[38:39]
	s_and_saveexec_b64 s[38:39], s[18:19]
	s_cbranch_execz .LBB442_297
.LBB442_356:
	v_sub_u32_e32 v10, v52, v3
	v_mov_b32_e32 v11, 0
	v_lshlrev_b64 v[10:11], 1, v[10:11]
	v_add_co_u32_e32 v10, vcc, v15, v10
	v_addc_co_u32_e32 v11, vcc, v16, v11, vcc
	global_store_short v[10:11], v53, off
	s_or_b64 exec, exec, s[38:39]
	s_and_saveexec_b64 s[38:39], s[16:17]
	s_cbranch_execz .LBB442_298
.LBB442_357:
	v_sub_u32_e32 v10, v50, v3
	v_mov_b32_e32 v11, 0
	v_lshlrev_b64 v[10:11], 1, v[10:11]
	v_add_co_u32_e32 v10, vcc, v15, v10
	v_addc_co_u32_e32 v11, vcc, v16, v11, vcc
	global_store_short v[10:11], v51, off
	s_or_b64 exec, exec, s[38:39]
	s_and_saveexec_b64 s[38:39], s[14:15]
	s_cbranch_execz .LBB442_299
.LBB442_358:
	v_sub_u32_e32 v10, v48, v3
	v_mov_b32_e32 v11, 0
	v_lshlrev_b64 v[10:11], 1, v[10:11]
	v_add_co_u32_e32 v10, vcc, v15, v10
	v_addc_co_u32_e32 v11, vcc, v16, v11, vcc
	global_store_short v[10:11], v49, off
	s_or_b64 exec, exec, s[38:39]
	s_and_saveexec_b64 s[38:39], s[12:13]
	s_cbranch_execz .LBB442_300
.LBB442_359:
	v_sub_u32_e32 v10, v46, v3
	v_mov_b32_e32 v11, 0
	v_lshlrev_b64 v[10:11], 1, v[10:11]
	v_add_co_u32_e32 v10, vcc, v15, v10
	v_addc_co_u32_e32 v11, vcc, v16, v11, vcc
	global_store_short v[10:11], v47, off
	s_or_b64 exec, exec, s[38:39]
	s_and_saveexec_b64 s[38:39], s[10:11]
	s_cbranch_execz .LBB442_301
.LBB442_360:
	v_sub_u32_e32 v10, v44, v3
	v_mov_b32_e32 v11, 0
	v_lshlrev_b64 v[10:11], 1, v[10:11]
	v_add_co_u32_e32 v10, vcc, v15, v10
	v_addc_co_u32_e32 v11, vcc, v16, v11, vcc
	global_store_short v[10:11], v45, off
	s_or_b64 exec, exec, s[38:39]
	s_and_saveexec_b64 s[38:39], s[8:9]
	s_cbranch_execz .LBB442_302
.LBB442_361:
	v_sub_u32_e32 v10, v42, v3
	v_mov_b32_e32 v11, 0
	v_lshlrev_b64 v[10:11], 1, v[10:11]
	v_add_co_u32_e32 v10, vcc, v15, v10
	v_addc_co_u32_e32 v11, vcc, v16, v11, vcc
	global_store_short v[10:11], v43, off
	s_or_b64 exec, exec, s[38:39]
	s_and_saveexec_b64 s[38:39], s[6:7]
	s_cbranch_execz .LBB442_303
.LBB442_362:
	v_sub_u32_e32 v10, v40, v3
	v_mov_b32_e32 v11, 0
	v_lshlrev_b64 v[10:11], 1, v[10:11]
	v_add_co_u32_e32 v10, vcc, v15, v10
	v_addc_co_u32_e32 v11, vcc, v16, v11, vcc
	global_store_short v[10:11], v41, off
	s_or_b64 exec, exec, s[38:39]
	s_and_saveexec_b64 s[38:39], s[4:5]
	s_cbranch_execz .LBB442_304
.LBB442_363:
	v_sub_u32_e32 v10, v38, v3
	v_mov_b32_e32 v11, 0
	v_lshlrev_b64 v[10:11], 1, v[10:11]
	v_add_co_u32_e32 v10, vcc, v15, v10
	v_addc_co_u32_e32 v11, vcc, v16, v11, vcc
	global_store_short v[10:11], v39, off
	s_or_b64 exec, exec, s[38:39]
	s_and_saveexec_b64 s[38:39], s[2:3]
	s_cbranch_execnz .LBB442_305
	s_branch .LBB442_306
.LBB442_364:
	v_sub_u32_e32 v4, v62, v3
	v_lshlrev_b32_e32 v4, 1, v4
	ds_write_b16 v4, v63
	s_or_b64 exec, exec, s[38:39]
	s_and_saveexec_b64 s[28:29], s[26:27]
	s_cbranch_execz .LBB442_310
.LBB442_365:
	v_sub_u32_e32 v4, v60, v3
	v_lshlrev_b32_e32 v4, 1, v4
	ds_write_b16 v4, v61
	s_or_b64 exec, exec, s[28:29]
	s_and_saveexec_b64 s[26:27], s[24:25]
	s_cbranch_execz .LBB442_311
.LBB442_366:
	v_sub_u32_e32 v4, v58, v3
	v_lshlrev_b32_e32 v4, 1, v4
	ds_write_b16 v4, v59
	s_or_b64 exec, exec, s[26:27]
	s_and_saveexec_b64 s[24:25], s[22:23]
	s_cbranch_execz .LBB442_312
.LBB442_367:
	v_sub_u32_e32 v4, v56, v3
	v_lshlrev_b32_e32 v4, 1, v4
	ds_write_b16 v4, v57
	s_or_b64 exec, exec, s[24:25]
	s_and_saveexec_b64 s[22:23], s[20:21]
	s_cbranch_execz .LBB442_313
.LBB442_368:
	v_sub_u32_e32 v4, v54, v3
	v_lshlrev_b32_e32 v4, 1, v4
	ds_write_b16 v4, v55
	s_or_b64 exec, exec, s[22:23]
	s_and_saveexec_b64 s[20:21], s[18:19]
	s_cbranch_execz .LBB442_314
.LBB442_369:
	v_sub_u32_e32 v4, v52, v3
	v_lshlrev_b32_e32 v4, 1, v4
	ds_write_b16 v4, v53
	s_or_b64 exec, exec, s[20:21]
	s_and_saveexec_b64 s[18:19], s[16:17]
	s_cbranch_execz .LBB442_315
.LBB442_370:
	v_sub_u32_e32 v4, v50, v3
	v_lshlrev_b32_e32 v4, 1, v4
	ds_write_b16 v4, v51
	s_or_b64 exec, exec, s[18:19]
	s_and_saveexec_b64 s[16:17], s[14:15]
	s_cbranch_execz .LBB442_316
.LBB442_371:
	v_sub_u32_e32 v4, v48, v3
	v_lshlrev_b32_e32 v4, 1, v4
	ds_write_b16 v4, v49
	s_or_b64 exec, exec, s[16:17]
	s_and_saveexec_b64 s[14:15], s[12:13]
	s_cbranch_execz .LBB442_317
.LBB442_372:
	v_sub_u32_e32 v4, v46, v3
	v_lshlrev_b32_e32 v4, 1, v4
	ds_write_b16 v4, v47
	s_or_b64 exec, exec, s[14:15]
	s_and_saveexec_b64 s[12:13], s[10:11]
	s_cbranch_execz .LBB442_318
.LBB442_373:
	v_sub_u32_e32 v4, v44, v3
	v_lshlrev_b32_e32 v4, 1, v4
	ds_write_b16 v4, v45
	s_or_b64 exec, exec, s[12:13]
	s_and_saveexec_b64 s[10:11], s[8:9]
	s_cbranch_execz .LBB442_319
.LBB442_374:
	v_sub_u32_e32 v4, v42, v3
	v_lshlrev_b32_e32 v4, 1, v4
	ds_write_b16 v4, v43
	s_or_b64 exec, exec, s[10:11]
	s_and_saveexec_b64 s[8:9], s[6:7]
	s_cbranch_execz .LBB442_320
.LBB442_375:
	v_sub_u32_e32 v4, v40, v3
	v_lshlrev_b32_e32 v4, 1, v4
	ds_write_b16 v4, v41
	s_or_b64 exec, exec, s[8:9]
	s_and_saveexec_b64 s[6:7], s[4:5]
	s_cbranch_execz .LBB442_321
.LBB442_376:
	v_sub_u32_e32 v4, v38, v3
	v_lshlrev_b32_e32 v4, 1, v4
	ds_write_b16 v4, v39
	s_or_b64 exec, exec, s[6:7]
	s_and_saveexec_b64 s[4:5], s[2:3]
	s_cbranch_execnz .LBB442_322
	s_branch .LBB442_323
	.section	.rodata,"a",@progbits
	.p2align	6, 0x0
	.amdhsa_kernel _ZN7rocprim17ROCPRIM_400000_NS6detail17trampoline_kernelINS0_14default_configENS1_29reduce_by_key_config_selectorIttN6thrust23THRUST_200600_302600_NS4plusItEEEEZZNS1_33reduce_by_key_impl_wrapped_configILNS1_25lookback_scan_determinismE0ES3_S9_NS6_6detail15normal_iteratorINS6_10device_ptrItEEEESG_SG_SG_PmS8_22is_equal_div_10_reduceItEEE10hipError_tPvRmT2_T3_mT4_T5_T6_T7_T8_P12ihipStream_tbENKUlT_T0_E_clISt17integral_constantIbLb1EES11_EEDaSW_SX_EUlSW_E_NS1_11comp_targetILNS1_3genE4ELNS1_11target_archE910ELNS1_3gpuE8ELNS1_3repE0EEENS1_30default_config_static_selectorELNS0_4arch9wavefront6targetE1EEEvT1_
		.amdhsa_group_segment_fixed_size 7680
		.amdhsa_private_segment_fixed_size 0
		.amdhsa_kernarg_size 120
		.amdhsa_user_sgpr_count 6
		.amdhsa_user_sgpr_private_segment_buffer 1
		.amdhsa_user_sgpr_dispatch_ptr 0
		.amdhsa_user_sgpr_queue_ptr 0
		.amdhsa_user_sgpr_kernarg_segment_ptr 1
		.amdhsa_user_sgpr_dispatch_id 0
		.amdhsa_user_sgpr_flat_scratch_init 0
		.amdhsa_user_sgpr_kernarg_preload_length 0
		.amdhsa_user_sgpr_kernarg_preload_offset 0
		.amdhsa_user_sgpr_private_segment_size 0
		.amdhsa_uses_dynamic_stack 0
		.amdhsa_system_sgpr_private_segment_wavefront_offset 0
		.amdhsa_system_sgpr_workgroup_id_x 1
		.amdhsa_system_sgpr_workgroup_id_y 0
		.amdhsa_system_sgpr_workgroup_id_z 0
		.amdhsa_system_sgpr_workgroup_info 0
		.amdhsa_system_vgpr_workitem_id 0
		.amdhsa_next_free_vgpr 110
		.amdhsa_next_free_sgpr 66
		.amdhsa_accum_offset 112
		.amdhsa_reserve_vcc 1
		.amdhsa_reserve_flat_scratch 0
		.amdhsa_float_round_mode_32 0
		.amdhsa_float_round_mode_16_64 0
		.amdhsa_float_denorm_mode_32 3
		.amdhsa_float_denorm_mode_16_64 3
		.amdhsa_dx10_clamp 1
		.amdhsa_ieee_mode 1
		.amdhsa_fp16_overflow 0
		.amdhsa_tg_split 0
		.amdhsa_exception_fp_ieee_invalid_op 0
		.amdhsa_exception_fp_denorm_src 0
		.amdhsa_exception_fp_ieee_div_zero 0
		.amdhsa_exception_fp_ieee_overflow 0
		.amdhsa_exception_fp_ieee_underflow 0
		.amdhsa_exception_fp_ieee_inexact 0
		.amdhsa_exception_int_div_zero 0
	.end_amdhsa_kernel
	.section	.text._ZN7rocprim17ROCPRIM_400000_NS6detail17trampoline_kernelINS0_14default_configENS1_29reduce_by_key_config_selectorIttN6thrust23THRUST_200600_302600_NS4plusItEEEEZZNS1_33reduce_by_key_impl_wrapped_configILNS1_25lookback_scan_determinismE0ES3_S9_NS6_6detail15normal_iteratorINS6_10device_ptrItEEEESG_SG_SG_PmS8_22is_equal_div_10_reduceItEEE10hipError_tPvRmT2_T3_mT4_T5_T6_T7_T8_P12ihipStream_tbENKUlT_T0_E_clISt17integral_constantIbLb1EES11_EEDaSW_SX_EUlSW_E_NS1_11comp_targetILNS1_3genE4ELNS1_11target_archE910ELNS1_3gpuE8ELNS1_3repE0EEENS1_30default_config_static_selectorELNS0_4arch9wavefront6targetE1EEEvT1_,"axG",@progbits,_ZN7rocprim17ROCPRIM_400000_NS6detail17trampoline_kernelINS0_14default_configENS1_29reduce_by_key_config_selectorIttN6thrust23THRUST_200600_302600_NS4plusItEEEEZZNS1_33reduce_by_key_impl_wrapped_configILNS1_25lookback_scan_determinismE0ES3_S9_NS6_6detail15normal_iteratorINS6_10device_ptrItEEEESG_SG_SG_PmS8_22is_equal_div_10_reduceItEEE10hipError_tPvRmT2_T3_mT4_T5_T6_T7_T8_P12ihipStream_tbENKUlT_T0_E_clISt17integral_constantIbLb1EES11_EEDaSW_SX_EUlSW_E_NS1_11comp_targetILNS1_3genE4ELNS1_11target_archE910ELNS1_3gpuE8ELNS1_3repE0EEENS1_30default_config_static_selectorELNS0_4arch9wavefront6targetE1EEEvT1_,comdat
.Lfunc_end442:
	.size	_ZN7rocprim17ROCPRIM_400000_NS6detail17trampoline_kernelINS0_14default_configENS1_29reduce_by_key_config_selectorIttN6thrust23THRUST_200600_302600_NS4plusItEEEEZZNS1_33reduce_by_key_impl_wrapped_configILNS1_25lookback_scan_determinismE0ES3_S9_NS6_6detail15normal_iteratorINS6_10device_ptrItEEEESG_SG_SG_PmS8_22is_equal_div_10_reduceItEEE10hipError_tPvRmT2_T3_mT4_T5_T6_T7_T8_P12ihipStream_tbENKUlT_T0_E_clISt17integral_constantIbLb1EES11_EEDaSW_SX_EUlSW_E_NS1_11comp_targetILNS1_3genE4ELNS1_11target_archE910ELNS1_3gpuE8ELNS1_3repE0EEENS1_30default_config_static_selectorELNS0_4arch9wavefront6targetE1EEEvT1_, .Lfunc_end442-_ZN7rocprim17ROCPRIM_400000_NS6detail17trampoline_kernelINS0_14default_configENS1_29reduce_by_key_config_selectorIttN6thrust23THRUST_200600_302600_NS4plusItEEEEZZNS1_33reduce_by_key_impl_wrapped_configILNS1_25lookback_scan_determinismE0ES3_S9_NS6_6detail15normal_iteratorINS6_10device_ptrItEEEESG_SG_SG_PmS8_22is_equal_div_10_reduceItEEE10hipError_tPvRmT2_T3_mT4_T5_T6_T7_T8_P12ihipStream_tbENKUlT_T0_E_clISt17integral_constantIbLb1EES11_EEDaSW_SX_EUlSW_E_NS1_11comp_targetILNS1_3genE4ELNS1_11target_archE910ELNS1_3gpuE8ELNS1_3repE0EEENS1_30default_config_static_selectorELNS0_4arch9wavefront6targetE1EEEvT1_
                                        ; -- End function
	.section	.AMDGPU.csdata,"",@progbits
; Kernel info:
; codeLenInByte = 19392
; NumSgprs: 70
; NumVgprs: 110
; NumAgprs: 0
; TotalNumVgprs: 110
; ScratchSize: 0
; MemoryBound: 0
; FloatMode: 240
; IeeeMode: 1
; LDSByteSize: 7680 bytes/workgroup (compile time only)
; SGPRBlocks: 8
; VGPRBlocks: 13
; NumSGPRsForWavesPerEU: 70
; NumVGPRsForWavesPerEU: 110
; AccumOffset: 112
; Occupancy: 4
; WaveLimiterHint : 1
; COMPUTE_PGM_RSRC2:SCRATCH_EN: 0
; COMPUTE_PGM_RSRC2:USER_SGPR: 6
; COMPUTE_PGM_RSRC2:TRAP_HANDLER: 0
; COMPUTE_PGM_RSRC2:TGID_X_EN: 1
; COMPUTE_PGM_RSRC2:TGID_Y_EN: 0
; COMPUTE_PGM_RSRC2:TGID_Z_EN: 0
; COMPUTE_PGM_RSRC2:TIDIG_COMP_CNT: 0
; COMPUTE_PGM_RSRC3_GFX90A:ACCUM_OFFSET: 27
; COMPUTE_PGM_RSRC3_GFX90A:TG_SPLIT: 0
	.section	.text._ZN7rocprim17ROCPRIM_400000_NS6detail17trampoline_kernelINS0_14default_configENS1_29reduce_by_key_config_selectorIttN6thrust23THRUST_200600_302600_NS4plusItEEEEZZNS1_33reduce_by_key_impl_wrapped_configILNS1_25lookback_scan_determinismE0ES3_S9_NS6_6detail15normal_iteratorINS6_10device_ptrItEEEESG_SG_SG_PmS8_22is_equal_div_10_reduceItEEE10hipError_tPvRmT2_T3_mT4_T5_T6_T7_T8_P12ihipStream_tbENKUlT_T0_E_clISt17integral_constantIbLb1EES11_EEDaSW_SX_EUlSW_E_NS1_11comp_targetILNS1_3genE3ELNS1_11target_archE908ELNS1_3gpuE7ELNS1_3repE0EEENS1_30default_config_static_selectorELNS0_4arch9wavefront6targetE1EEEvT1_,"axG",@progbits,_ZN7rocprim17ROCPRIM_400000_NS6detail17trampoline_kernelINS0_14default_configENS1_29reduce_by_key_config_selectorIttN6thrust23THRUST_200600_302600_NS4plusItEEEEZZNS1_33reduce_by_key_impl_wrapped_configILNS1_25lookback_scan_determinismE0ES3_S9_NS6_6detail15normal_iteratorINS6_10device_ptrItEEEESG_SG_SG_PmS8_22is_equal_div_10_reduceItEEE10hipError_tPvRmT2_T3_mT4_T5_T6_T7_T8_P12ihipStream_tbENKUlT_T0_E_clISt17integral_constantIbLb1EES11_EEDaSW_SX_EUlSW_E_NS1_11comp_targetILNS1_3genE3ELNS1_11target_archE908ELNS1_3gpuE7ELNS1_3repE0EEENS1_30default_config_static_selectorELNS0_4arch9wavefront6targetE1EEEvT1_,comdat
	.protected	_ZN7rocprim17ROCPRIM_400000_NS6detail17trampoline_kernelINS0_14default_configENS1_29reduce_by_key_config_selectorIttN6thrust23THRUST_200600_302600_NS4plusItEEEEZZNS1_33reduce_by_key_impl_wrapped_configILNS1_25lookback_scan_determinismE0ES3_S9_NS6_6detail15normal_iteratorINS6_10device_ptrItEEEESG_SG_SG_PmS8_22is_equal_div_10_reduceItEEE10hipError_tPvRmT2_T3_mT4_T5_T6_T7_T8_P12ihipStream_tbENKUlT_T0_E_clISt17integral_constantIbLb1EES11_EEDaSW_SX_EUlSW_E_NS1_11comp_targetILNS1_3genE3ELNS1_11target_archE908ELNS1_3gpuE7ELNS1_3repE0EEENS1_30default_config_static_selectorELNS0_4arch9wavefront6targetE1EEEvT1_ ; -- Begin function _ZN7rocprim17ROCPRIM_400000_NS6detail17trampoline_kernelINS0_14default_configENS1_29reduce_by_key_config_selectorIttN6thrust23THRUST_200600_302600_NS4plusItEEEEZZNS1_33reduce_by_key_impl_wrapped_configILNS1_25lookback_scan_determinismE0ES3_S9_NS6_6detail15normal_iteratorINS6_10device_ptrItEEEESG_SG_SG_PmS8_22is_equal_div_10_reduceItEEE10hipError_tPvRmT2_T3_mT4_T5_T6_T7_T8_P12ihipStream_tbENKUlT_T0_E_clISt17integral_constantIbLb1EES11_EEDaSW_SX_EUlSW_E_NS1_11comp_targetILNS1_3genE3ELNS1_11target_archE908ELNS1_3gpuE7ELNS1_3repE0EEENS1_30default_config_static_selectorELNS0_4arch9wavefront6targetE1EEEvT1_
	.globl	_ZN7rocprim17ROCPRIM_400000_NS6detail17trampoline_kernelINS0_14default_configENS1_29reduce_by_key_config_selectorIttN6thrust23THRUST_200600_302600_NS4plusItEEEEZZNS1_33reduce_by_key_impl_wrapped_configILNS1_25lookback_scan_determinismE0ES3_S9_NS6_6detail15normal_iteratorINS6_10device_ptrItEEEESG_SG_SG_PmS8_22is_equal_div_10_reduceItEEE10hipError_tPvRmT2_T3_mT4_T5_T6_T7_T8_P12ihipStream_tbENKUlT_T0_E_clISt17integral_constantIbLb1EES11_EEDaSW_SX_EUlSW_E_NS1_11comp_targetILNS1_3genE3ELNS1_11target_archE908ELNS1_3gpuE7ELNS1_3repE0EEENS1_30default_config_static_selectorELNS0_4arch9wavefront6targetE1EEEvT1_
	.p2align	8
	.type	_ZN7rocprim17ROCPRIM_400000_NS6detail17trampoline_kernelINS0_14default_configENS1_29reduce_by_key_config_selectorIttN6thrust23THRUST_200600_302600_NS4plusItEEEEZZNS1_33reduce_by_key_impl_wrapped_configILNS1_25lookback_scan_determinismE0ES3_S9_NS6_6detail15normal_iteratorINS6_10device_ptrItEEEESG_SG_SG_PmS8_22is_equal_div_10_reduceItEEE10hipError_tPvRmT2_T3_mT4_T5_T6_T7_T8_P12ihipStream_tbENKUlT_T0_E_clISt17integral_constantIbLb1EES11_EEDaSW_SX_EUlSW_E_NS1_11comp_targetILNS1_3genE3ELNS1_11target_archE908ELNS1_3gpuE7ELNS1_3repE0EEENS1_30default_config_static_selectorELNS0_4arch9wavefront6targetE1EEEvT1_,@function
_ZN7rocprim17ROCPRIM_400000_NS6detail17trampoline_kernelINS0_14default_configENS1_29reduce_by_key_config_selectorIttN6thrust23THRUST_200600_302600_NS4plusItEEEEZZNS1_33reduce_by_key_impl_wrapped_configILNS1_25lookback_scan_determinismE0ES3_S9_NS6_6detail15normal_iteratorINS6_10device_ptrItEEEESG_SG_SG_PmS8_22is_equal_div_10_reduceItEEE10hipError_tPvRmT2_T3_mT4_T5_T6_T7_T8_P12ihipStream_tbENKUlT_T0_E_clISt17integral_constantIbLb1EES11_EEDaSW_SX_EUlSW_E_NS1_11comp_targetILNS1_3genE3ELNS1_11target_archE908ELNS1_3gpuE7ELNS1_3repE0EEENS1_30default_config_static_selectorELNS0_4arch9wavefront6targetE1EEEvT1_: ; @_ZN7rocprim17ROCPRIM_400000_NS6detail17trampoline_kernelINS0_14default_configENS1_29reduce_by_key_config_selectorIttN6thrust23THRUST_200600_302600_NS4plusItEEEEZZNS1_33reduce_by_key_impl_wrapped_configILNS1_25lookback_scan_determinismE0ES3_S9_NS6_6detail15normal_iteratorINS6_10device_ptrItEEEESG_SG_SG_PmS8_22is_equal_div_10_reduceItEEE10hipError_tPvRmT2_T3_mT4_T5_T6_T7_T8_P12ihipStream_tbENKUlT_T0_E_clISt17integral_constantIbLb1EES11_EEDaSW_SX_EUlSW_E_NS1_11comp_targetILNS1_3genE3ELNS1_11target_archE908ELNS1_3gpuE7ELNS1_3repE0EEENS1_30default_config_static_selectorELNS0_4arch9wavefront6targetE1EEEvT1_
; %bb.0:
	.section	.rodata,"a",@progbits
	.p2align	6, 0x0
	.amdhsa_kernel _ZN7rocprim17ROCPRIM_400000_NS6detail17trampoline_kernelINS0_14default_configENS1_29reduce_by_key_config_selectorIttN6thrust23THRUST_200600_302600_NS4plusItEEEEZZNS1_33reduce_by_key_impl_wrapped_configILNS1_25lookback_scan_determinismE0ES3_S9_NS6_6detail15normal_iteratorINS6_10device_ptrItEEEESG_SG_SG_PmS8_22is_equal_div_10_reduceItEEE10hipError_tPvRmT2_T3_mT4_T5_T6_T7_T8_P12ihipStream_tbENKUlT_T0_E_clISt17integral_constantIbLb1EES11_EEDaSW_SX_EUlSW_E_NS1_11comp_targetILNS1_3genE3ELNS1_11target_archE908ELNS1_3gpuE7ELNS1_3repE0EEENS1_30default_config_static_selectorELNS0_4arch9wavefront6targetE1EEEvT1_
		.amdhsa_group_segment_fixed_size 0
		.amdhsa_private_segment_fixed_size 0
		.amdhsa_kernarg_size 120
		.amdhsa_user_sgpr_count 6
		.amdhsa_user_sgpr_private_segment_buffer 1
		.amdhsa_user_sgpr_dispatch_ptr 0
		.amdhsa_user_sgpr_queue_ptr 0
		.amdhsa_user_sgpr_kernarg_segment_ptr 1
		.amdhsa_user_sgpr_dispatch_id 0
		.amdhsa_user_sgpr_flat_scratch_init 0
		.amdhsa_user_sgpr_kernarg_preload_length 0
		.amdhsa_user_sgpr_kernarg_preload_offset 0
		.amdhsa_user_sgpr_private_segment_size 0
		.amdhsa_uses_dynamic_stack 0
		.amdhsa_system_sgpr_private_segment_wavefront_offset 0
		.amdhsa_system_sgpr_workgroup_id_x 1
		.amdhsa_system_sgpr_workgroup_id_y 0
		.amdhsa_system_sgpr_workgroup_id_z 0
		.amdhsa_system_sgpr_workgroup_info 0
		.amdhsa_system_vgpr_workitem_id 0
		.amdhsa_next_free_vgpr 1
		.amdhsa_next_free_sgpr 0
		.amdhsa_accum_offset 4
		.amdhsa_reserve_vcc 0
		.amdhsa_reserve_flat_scratch 0
		.amdhsa_float_round_mode_32 0
		.amdhsa_float_round_mode_16_64 0
		.amdhsa_float_denorm_mode_32 3
		.amdhsa_float_denorm_mode_16_64 3
		.amdhsa_dx10_clamp 1
		.amdhsa_ieee_mode 1
		.amdhsa_fp16_overflow 0
		.amdhsa_tg_split 0
		.amdhsa_exception_fp_ieee_invalid_op 0
		.amdhsa_exception_fp_denorm_src 0
		.amdhsa_exception_fp_ieee_div_zero 0
		.amdhsa_exception_fp_ieee_overflow 0
		.amdhsa_exception_fp_ieee_underflow 0
		.amdhsa_exception_fp_ieee_inexact 0
		.amdhsa_exception_int_div_zero 0
	.end_amdhsa_kernel
	.section	.text._ZN7rocprim17ROCPRIM_400000_NS6detail17trampoline_kernelINS0_14default_configENS1_29reduce_by_key_config_selectorIttN6thrust23THRUST_200600_302600_NS4plusItEEEEZZNS1_33reduce_by_key_impl_wrapped_configILNS1_25lookback_scan_determinismE0ES3_S9_NS6_6detail15normal_iteratorINS6_10device_ptrItEEEESG_SG_SG_PmS8_22is_equal_div_10_reduceItEEE10hipError_tPvRmT2_T3_mT4_T5_T6_T7_T8_P12ihipStream_tbENKUlT_T0_E_clISt17integral_constantIbLb1EES11_EEDaSW_SX_EUlSW_E_NS1_11comp_targetILNS1_3genE3ELNS1_11target_archE908ELNS1_3gpuE7ELNS1_3repE0EEENS1_30default_config_static_selectorELNS0_4arch9wavefront6targetE1EEEvT1_,"axG",@progbits,_ZN7rocprim17ROCPRIM_400000_NS6detail17trampoline_kernelINS0_14default_configENS1_29reduce_by_key_config_selectorIttN6thrust23THRUST_200600_302600_NS4plusItEEEEZZNS1_33reduce_by_key_impl_wrapped_configILNS1_25lookback_scan_determinismE0ES3_S9_NS6_6detail15normal_iteratorINS6_10device_ptrItEEEESG_SG_SG_PmS8_22is_equal_div_10_reduceItEEE10hipError_tPvRmT2_T3_mT4_T5_T6_T7_T8_P12ihipStream_tbENKUlT_T0_E_clISt17integral_constantIbLb1EES11_EEDaSW_SX_EUlSW_E_NS1_11comp_targetILNS1_3genE3ELNS1_11target_archE908ELNS1_3gpuE7ELNS1_3repE0EEENS1_30default_config_static_selectorELNS0_4arch9wavefront6targetE1EEEvT1_,comdat
.Lfunc_end443:
	.size	_ZN7rocprim17ROCPRIM_400000_NS6detail17trampoline_kernelINS0_14default_configENS1_29reduce_by_key_config_selectorIttN6thrust23THRUST_200600_302600_NS4plusItEEEEZZNS1_33reduce_by_key_impl_wrapped_configILNS1_25lookback_scan_determinismE0ES3_S9_NS6_6detail15normal_iteratorINS6_10device_ptrItEEEESG_SG_SG_PmS8_22is_equal_div_10_reduceItEEE10hipError_tPvRmT2_T3_mT4_T5_T6_T7_T8_P12ihipStream_tbENKUlT_T0_E_clISt17integral_constantIbLb1EES11_EEDaSW_SX_EUlSW_E_NS1_11comp_targetILNS1_3genE3ELNS1_11target_archE908ELNS1_3gpuE7ELNS1_3repE0EEENS1_30default_config_static_selectorELNS0_4arch9wavefront6targetE1EEEvT1_, .Lfunc_end443-_ZN7rocprim17ROCPRIM_400000_NS6detail17trampoline_kernelINS0_14default_configENS1_29reduce_by_key_config_selectorIttN6thrust23THRUST_200600_302600_NS4plusItEEEEZZNS1_33reduce_by_key_impl_wrapped_configILNS1_25lookback_scan_determinismE0ES3_S9_NS6_6detail15normal_iteratorINS6_10device_ptrItEEEESG_SG_SG_PmS8_22is_equal_div_10_reduceItEEE10hipError_tPvRmT2_T3_mT4_T5_T6_T7_T8_P12ihipStream_tbENKUlT_T0_E_clISt17integral_constantIbLb1EES11_EEDaSW_SX_EUlSW_E_NS1_11comp_targetILNS1_3genE3ELNS1_11target_archE908ELNS1_3gpuE7ELNS1_3repE0EEENS1_30default_config_static_selectorELNS0_4arch9wavefront6targetE1EEEvT1_
                                        ; -- End function
	.section	.AMDGPU.csdata,"",@progbits
; Kernel info:
; codeLenInByte = 0
; NumSgprs: 4
; NumVgprs: 0
; NumAgprs: 0
; TotalNumVgprs: 0
; ScratchSize: 0
; MemoryBound: 0
; FloatMode: 240
; IeeeMode: 1
; LDSByteSize: 0 bytes/workgroup (compile time only)
; SGPRBlocks: 0
; VGPRBlocks: 0
; NumSGPRsForWavesPerEU: 4
; NumVGPRsForWavesPerEU: 1
; AccumOffset: 4
; Occupancy: 8
; WaveLimiterHint : 0
; COMPUTE_PGM_RSRC2:SCRATCH_EN: 0
; COMPUTE_PGM_RSRC2:USER_SGPR: 6
; COMPUTE_PGM_RSRC2:TRAP_HANDLER: 0
; COMPUTE_PGM_RSRC2:TGID_X_EN: 1
; COMPUTE_PGM_RSRC2:TGID_Y_EN: 0
; COMPUTE_PGM_RSRC2:TGID_Z_EN: 0
; COMPUTE_PGM_RSRC2:TIDIG_COMP_CNT: 0
; COMPUTE_PGM_RSRC3_GFX90A:ACCUM_OFFSET: 0
; COMPUTE_PGM_RSRC3_GFX90A:TG_SPLIT: 0
	.section	.text._ZN7rocprim17ROCPRIM_400000_NS6detail17trampoline_kernelINS0_14default_configENS1_29reduce_by_key_config_selectorIttN6thrust23THRUST_200600_302600_NS4plusItEEEEZZNS1_33reduce_by_key_impl_wrapped_configILNS1_25lookback_scan_determinismE0ES3_S9_NS6_6detail15normal_iteratorINS6_10device_ptrItEEEESG_SG_SG_PmS8_22is_equal_div_10_reduceItEEE10hipError_tPvRmT2_T3_mT4_T5_T6_T7_T8_P12ihipStream_tbENKUlT_T0_E_clISt17integral_constantIbLb1EES11_EEDaSW_SX_EUlSW_E_NS1_11comp_targetILNS1_3genE2ELNS1_11target_archE906ELNS1_3gpuE6ELNS1_3repE0EEENS1_30default_config_static_selectorELNS0_4arch9wavefront6targetE1EEEvT1_,"axG",@progbits,_ZN7rocprim17ROCPRIM_400000_NS6detail17trampoline_kernelINS0_14default_configENS1_29reduce_by_key_config_selectorIttN6thrust23THRUST_200600_302600_NS4plusItEEEEZZNS1_33reduce_by_key_impl_wrapped_configILNS1_25lookback_scan_determinismE0ES3_S9_NS6_6detail15normal_iteratorINS6_10device_ptrItEEEESG_SG_SG_PmS8_22is_equal_div_10_reduceItEEE10hipError_tPvRmT2_T3_mT4_T5_T6_T7_T8_P12ihipStream_tbENKUlT_T0_E_clISt17integral_constantIbLb1EES11_EEDaSW_SX_EUlSW_E_NS1_11comp_targetILNS1_3genE2ELNS1_11target_archE906ELNS1_3gpuE6ELNS1_3repE0EEENS1_30default_config_static_selectorELNS0_4arch9wavefront6targetE1EEEvT1_,comdat
	.protected	_ZN7rocprim17ROCPRIM_400000_NS6detail17trampoline_kernelINS0_14default_configENS1_29reduce_by_key_config_selectorIttN6thrust23THRUST_200600_302600_NS4plusItEEEEZZNS1_33reduce_by_key_impl_wrapped_configILNS1_25lookback_scan_determinismE0ES3_S9_NS6_6detail15normal_iteratorINS6_10device_ptrItEEEESG_SG_SG_PmS8_22is_equal_div_10_reduceItEEE10hipError_tPvRmT2_T3_mT4_T5_T6_T7_T8_P12ihipStream_tbENKUlT_T0_E_clISt17integral_constantIbLb1EES11_EEDaSW_SX_EUlSW_E_NS1_11comp_targetILNS1_3genE2ELNS1_11target_archE906ELNS1_3gpuE6ELNS1_3repE0EEENS1_30default_config_static_selectorELNS0_4arch9wavefront6targetE1EEEvT1_ ; -- Begin function _ZN7rocprim17ROCPRIM_400000_NS6detail17trampoline_kernelINS0_14default_configENS1_29reduce_by_key_config_selectorIttN6thrust23THRUST_200600_302600_NS4plusItEEEEZZNS1_33reduce_by_key_impl_wrapped_configILNS1_25lookback_scan_determinismE0ES3_S9_NS6_6detail15normal_iteratorINS6_10device_ptrItEEEESG_SG_SG_PmS8_22is_equal_div_10_reduceItEEE10hipError_tPvRmT2_T3_mT4_T5_T6_T7_T8_P12ihipStream_tbENKUlT_T0_E_clISt17integral_constantIbLb1EES11_EEDaSW_SX_EUlSW_E_NS1_11comp_targetILNS1_3genE2ELNS1_11target_archE906ELNS1_3gpuE6ELNS1_3repE0EEENS1_30default_config_static_selectorELNS0_4arch9wavefront6targetE1EEEvT1_
	.globl	_ZN7rocprim17ROCPRIM_400000_NS6detail17trampoline_kernelINS0_14default_configENS1_29reduce_by_key_config_selectorIttN6thrust23THRUST_200600_302600_NS4plusItEEEEZZNS1_33reduce_by_key_impl_wrapped_configILNS1_25lookback_scan_determinismE0ES3_S9_NS6_6detail15normal_iteratorINS6_10device_ptrItEEEESG_SG_SG_PmS8_22is_equal_div_10_reduceItEEE10hipError_tPvRmT2_T3_mT4_T5_T6_T7_T8_P12ihipStream_tbENKUlT_T0_E_clISt17integral_constantIbLb1EES11_EEDaSW_SX_EUlSW_E_NS1_11comp_targetILNS1_3genE2ELNS1_11target_archE906ELNS1_3gpuE6ELNS1_3repE0EEENS1_30default_config_static_selectorELNS0_4arch9wavefront6targetE1EEEvT1_
	.p2align	8
	.type	_ZN7rocprim17ROCPRIM_400000_NS6detail17trampoline_kernelINS0_14default_configENS1_29reduce_by_key_config_selectorIttN6thrust23THRUST_200600_302600_NS4plusItEEEEZZNS1_33reduce_by_key_impl_wrapped_configILNS1_25lookback_scan_determinismE0ES3_S9_NS6_6detail15normal_iteratorINS6_10device_ptrItEEEESG_SG_SG_PmS8_22is_equal_div_10_reduceItEEE10hipError_tPvRmT2_T3_mT4_T5_T6_T7_T8_P12ihipStream_tbENKUlT_T0_E_clISt17integral_constantIbLb1EES11_EEDaSW_SX_EUlSW_E_NS1_11comp_targetILNS1_3genE2ELNS1_11target_archE906ELNS1_3gpuE6ELNS1_3repE0EEENS1_30default_config_static_selectorELNS0_4arch9wavefront6targetE1EEEvT1_,@function
_ZN7rocprim17ROCPRIM_400000_NS6detail17trampoline_kernelINS0_14default_configENS1_29reduce_by_key_config_selectorIttN6thrust23THRUST_200600_302600_NS4plusItEEEEZZNS1_33reduce_by_key_impl_wrapped_configILNS1_25lookback_scan_determinismE0ES3_S9_NS6_6detail15normal_iteratorINS6_10device_ptrItEEEESG_SG_SG_PmS8_22is_equal_div_10_reduceItEEE10hipError_tPvRmT2_T3_mT4_T5_T6_T7_T8_P12ihipStream_tbENKUlT_T0_E_clISt17integral_constantIbLb1EES11_EEDaSW_SX_EUlSW_E_NS1_11comp_targetILNS1_3genE2ELNS1_11target_archE906ELNS1_3gpuE6ELNS1_3repE0EEENS1_30default_config_static_selectorELNS0_4arch9wavefront6targetE1EEEvT1_: ; @_ZN7rocprim17ROCPRIM_400000_NS6detail17trampoline_kernelINS0_14default_configENS1_29reduce_by_key_config_selectorIttN6thrust23THRUST_200600_302600_NS4plusItEEEEZZNS1_33reduce_by_key_impl_wrapped_configILNS1_25lookback_scan_determinismE0ES3_S9_NS6_6detail15normal_iteratorINS6_10device_ptrItEEEESG_SG_SG_PmS8_22is_equal_div_10_reduceItEEE10hipError_tPvRmT2_T3_mT4_T5_T6_T7_T8_P12ihipStream_tbENKUlT_T0_E_clISt17integral_constantIbLb1EES11_EEDaSW_SX_EUlSW_E_NS1_11comp_targetILNS1_3genE2ELNS1_11target_archE906ELNS1_3gpuE6ELNS1_3repE0EEENS1_30default_config_static_selectorELNS0_4arch9wavefront6targetE1EEEvT1_
; %bb.0:
	.section	.rodata,"a",@progbits
	.p2align	6, 0x0
	.amdhsa_kernel _ZN7rocprim17ROCPRIM_400000_NS6detail17trampoline_kernelINS0_14default_configENS1_29reduce_by_key_config_selectorIttN6thrust23THRUST_200600_302600_NS4plusItEEEEZZNS1_33reduce_by_key_impl_wrapped_configILNS1_25lookback_scan_determinismE0ES3_S9_NS6_6detail15normal_iteratorINS6_10device_ptrItEEEESG_SG_SG_PmS8_22is_equal_div_10_reduceItEEE10hipError_tPvRmT2_T3_mT4_T5_T6_T7_T8_P12ihipStream_tbENKUlT_T0_E_clISt17integral_constantIbLb1EES11_EEDaSW_SX_EUlSW_E_NS1_11comp_targetILNS1_3genE2ELNS1_11target_archE906ELNS1_3gpuE6ELNS1_3repE0EEENS1_30default_config_static_selectorELNS0_4arch9wavefront6targetE1EEEvT1_
		.amdhsa_group_segment_fixed_size 0
		.amdhsa_private_segment_fixed_size 0
		.amdhsa_kernarg_size 120
		.amdhsa_user_sgpr_count 6
		.amdhsa_user_sgpr_private_segment_buffer 1
		.amdhsa_user_sgpr_dispatch_ptr 0
		.amdhsa_user_sgpr_queue_ptr 0
		.amdhsa_user_sgpr_kernarg_segment_ptr 1
		.amdhsa_user_sgpr_dispatch_id 0
		.amdhsa_user_sgpr_flat_scratch_init 0
		.amdhsa_user_sgpr_kernarg_preload_length 0
		.amdhsa_user_sgpr_kernarg_preload_offset 0
		.amdhsa_user_sgpr_private_segment_size 0
		.amdhsa_uses_dynamic_stack 0
		.amdhsa_system_sgpr_private_segment_wavefront_offset 0
		.amdhsa_system_sgpr_workgroup_id_x 1
		.amdhsa_system_sgpr_workgroup_id_y 0
		.amdhsa_system_sgpr_workgroup_id_z 0
		.amdhsa_system_sgpr_workgroup_info 0
		.amdhsa_system_vgpr_workitem_id 0
		.amdhsa_next_free_vgpr 1
		.amdhsa_next_free_sgpr 0
		.amdhsa_accum_offset 4
		.amdhsa_reserve_vcc 0
		.amdhsa_reserve_flat_scratch 0
		.amdhsa_float_round_mode_32 0
		.amdhsa_float_round_mode_16_64 0
		.amdhsa_float_denorm_mode_32 3
		.amdhsa_float_denorm_mode_16_64 3
		.amdhsa_dx10_clamp 1
		.amdhsa_ieee_mode 1
		.amdhsa_fp16_overflow 0
		.amdhsa_tg_split 0
		.amdhsa_exception_fp_ieee_invalid_op 0
		.amdhsa_exception_fp_denorm_src 0
		.amdhsa_exception_fp_ieee_div_zero 0
		.amdhsa_exception_fp_ieee_overflow 0
		.amdhsa_exception_fp_ieee_underflow 0
		.amdhsa_exception_fp_ieee_inexact 0
		.amdhsa_exception_int_div_zero 0
	.end_amdhsa_kernel
	.section	.text._ZN7rocprim17ROCPRIM_400000_NS6detail17trampoline_kernelINS0_14default_configENS1_29reduce_by_key_config_selectorIttN6thrust23THRUST_200600_302600_NS4plusItEEEEZZNS1_33reduce_by_key_impl_wrapped_configILNS1_25lookback_scan_determinismE0ES3_S9_NS6_6detail15normal_iteratorINS6_10device_ptrItEEEESG_SG_SG_PmS8_22is_equal_div_10_reduceItEEE10hipError_tPvRmT2_T3_mT4_T5_T6_T7_T8_P12ihipStream_tbENKUlT_T0_E_clISt17integral_constantIbLb1EES11_EEDaSW_SX_EUlSW_E_NS1_11comp_targetILNS1_3genE2ELNS1_11target_archE906ELNS1_3gpuE6ELNS1_3repE0EEENS1_30default_config_static_selectorELNS0_4arch9wavefront6targetE1EEEvT1_,"axG",@progbits,_ZN7rocprim17ROCPRIM_400000_NS6detail17trampoline_kernelINS0_14default_configENS1_29reduce_by_key_config_selectorIttN6thrust23THRUST_200600_302600_NS4plusItEEEEZZNS1_33reduce_by_key_impl_wrapped_configILNS1_25lookback_scan_determinismE0ES3_S9_NS6_6detail15normal_iteratorINS6_10device_ptrItEEEESG_SG_SG_PmS8_22is_equal_div_10_reduceItEEE10hipError_tPvRmT2_T3_mT4_T5_T6_T7_T8_P12ihipStream_tbENKUlT_T0_E_clISt17integral_constantIbLb1EES11_EEDaSW_SX_EUlSW_E_NS1_11comp_targetILNS1_3genE2ELNS1_11target_archE906ELNS1_3gpuE6ELNS1_3repE0EEENS1_30default_config_static_selectorELNS0_4arch9wavefront6targetE1EEEvT1_,comdat
.Lfunc_end444:
	.size	_ZN7rocprim17ROCPRIM_400000_NS6detail17trampoline_kernelINS0_14default_configENS1_29reduce_by_key_config_selectorIttN6thrust23THRUST_200600_302600_NS4plusItEEEEZZNS1_33reduce_by_key_impl_wrapped_configILNS1_25lookback_scan_determinismE0ES3_S9_NS6_6detail15normal_iteratorINS6_10device_ptrItEEEESG_SG_SG_PmS8_22is_equal_div_10_reduceItEEE10hipError_tPvRmT2_T3_mT4_T5_T6_T7_T8_P12ihipStream_tbENKUlT_T0_E_clISt17integral_constantIbLb1EES11_EEDaSW_SX_EUlSW_E_NS1_11comp_targetILNS1_3genE2ELNS1_11target_archE906ELNS1_3gpuE6ELNS1_3repE0EEENS1_30default_config_static_selectorELNS0_4arch9wavefront6targetE1EEEvT1_, .Lfunc_end444-_ZN7rocprim17ROCPRIM_400000_NS6detail17trampoline_kernelINS0_14default_configENS1_29reduce_by_key_config_selectorIttN6thrust23THRUST_200600_302600_NS4plusItEEEEZZNS1_33reduce_by_key_impl_wrapped_configILNS1_25lookback_scan_determinismE0ES3_S9_NS6_6detail15normal_iteratorINS6_10device_ptrItEEEESG_SG_SG_PmS8_22is_equal_div_10_reduceItEEE10hipError_tPvRmT2_T3_mT4_T5_T6_T7_T8_P12ihipStream_tbENKUlT_T0_E_clISt17integral_constantIbLb1EES11_EEDaSW_SX_EUlSW_E_NS1_11comp_targetILNS1_3genE2ELNS1_11target_archE906ELNS1_3gpuE6ELNS1_3repE0EEENS1_30default_config_static_selectorELNS0_4arch9wavefront6targetE1EEEvT1_
                                        ; -- End function
	.section	.AMDGPU.csdata,"",@progbits
; Kernel info:
; codeLenInByte = 0
; NumSgprs: 4
; NumVgprs: 0
; NumAgprs: 0
; TotalNumVgprs: 0
; ScratchSize: 0
; MemoryBound: 0
; FloatMode: 240
; IeeeMode: 1
; LDSByteSize: 0 bytes/workgroup (compile time only)
; SGPRBlocks: 0
; VGPRBlocks: 0
; NumSGPRsForWavesPerEU: 4
; NumVGPRsForWavesPerEU: 1
; AccumOffset: 4
; Occupancy: 8
; WaveLimiterHint : 0
; COMPUTE_PGM_RSRC2:SCRATCH_EN: 0
; COMPUTE_PGM_RSRC2:USER_SGPR: 6
; COMPUTE_PGM_RSRC2:TRAP_HANDLER: 0
; COMPUTE_PGM_RSRC2:TGID_X_EN: 1
; COMPUTE_PGM_RSRC2:TGID_Y_EN: 0
; COMPUTE_PGM_RSRC2:TGID_Z_EN: 0
; COMPUTE_PGM_RSRC2:TIDIG_COMP_CNT: 0
; COMPUTE_PGM_RSRC3_GFX90A:ACCUM_OFFSET: 0
; COMPUTE_PGM_RSRC3_GFX90A:TG_SPLIT: 0
	.section	.text._ZN7rocprim17ROCPRIM_400000_NS6detail17trampoline_kernelINS0_14default_configENS1_29reduce_by_key_config_selectorIttN6thrust23THRUST_200600_302600_NS4plusItEEEEZZNS1_33reduce_by_key_impl_wrapped_configILNS1_25lookback_scan_determinismE0ES3_S9_NS6_6detail15normal_iteratorINS6_10device_ptrItEEEESG_SG_SG_PmS8_22is_equal_div_10_reduceItEEE10hipError_tPvRmT2_T3_mT4_T5_T6_T7_T8_P12ihipStream_tbENKUlT_T0_E_clISt17integral_constantIbLb1EES11_EEDaSW_SX_EUlSW_E_NS1_11comp_targetILNS1_3genE10ELNS1_11target_archE1201ELNS1_3gpuE5ELNS1_3repE0EEENS1_30default_config_static_selectorELNS0_4arch9wavefront6targetE1EEEvT1_,"axG",@progbits,_ZN7rocprim17ROCPRIM_400000_NS6detail17trampoline_kernelINS0_14default_configENS1_29reduce_by_key_config_selectorIttN6thrust23THRUST_200600_302600_NS4plusItEEEEZZNS1_33reduce_by_key_impl_wrapped_configILNS1_25lookback_scan_determinismE0ES3_S9_NS6_6detail15normal_iteratorINS6_10device_ptrItEEEESG_SG_SG_PmS8_22is_equal_div_10_reduceItEEE10hipError_tPvRmT2_T3_mT4_T5_T6_T7_T8_P12ihipStream_tbENKUlT_T0_E_clISt17integral_constantIbLb1EES11_EEDaSW_SX_EUlSW_E_NS1_11comp_targetILNS1_3genE10ELNS1_11target_archE1201ELNS1_3gpuE5ELNS1_3repE0EEENS1_30default_config_static_selectorELNS0_4arch9wavefront6targetE1EEEvT1_,comdat
	.protected	_ZN7rocprim17ROCPRIM_400000_NS6detail17trampoline_kernelINS0_14default_configENS1_29reduce_by_key_config_selectorIttN6thrust23THRUST_200600_302600_NS4plusItEEEEZZNS1_33reduce_by_key_impl_wrapped_configILNS1_25lookback_scan_determinismE0ES3_S9_NS6_6detail15normal_iteratorINS6_10device_ptrItEEEESG_SG_SG_PmS8_22is_equal_div_10_reduceItEEE10hipError_tPvRmT2_T3_mT4_T5_T6_T7_T8_P12ihipStream_tbENKUlT_T0_E_clISt17integral_constantIbLb1EES11_EEDaSW_SX_EUlSW_E_NS1_11comp_targetILNS1_3genE10ELNS1_11target_archE1201ELNS1_3gpuE5ELNS1_3repE0EEENS1_30default_config_static_selectorELNS0_4arch9wavefront6targetE1EEEvT1_ ; -- Begin function _ZN7rocprim17ROCPRIM_400000_NS6detail17trampoline_kernelINS0_14default_configENS1_29reduce_by_key_config_selectorIttN6thrust23THRUST_200600_302600_NS4plusItEEEEZZNS1_33reduce_by_key_impl_wrapped_configILNS1_25lookback_scan_determinismE0ES3_S9_NS6_6detail15normal_iteratorINS6_10device_ptrItEEEESG_SG_SG_PmS8_22is_equal_div_10_reduceItEEE10hipError_tPvRmT2_T3_mT4_T5_T6_T7_T8_P12ihipStream_tbENKUlT_T0_E_clISt17integral_constantIbLb1EES11_EEDaSW_SX_EUlSW_E_NS1_11comp_targetILNS1_3genE10ELNS1_11target_archE1201ELNS1_3gpuE5ELNS1_3repE0EEENS1_30default_config_static_selectorELNS0_4arch9wavefront6targetE1EEEvT1_
	.globl	_ZN7rocprim17ROCPRIM_400000_NS6detail17trampoline_kernelINS0_14default_configENS1_29reduce_by_key_config_selectorIttN6thrust23THRUST_200600_302600_NS4plusItEEEEZZNS1_33reduce_by_key_impl_wrapped_configILNS1_25lookback_scan_determinismE0ES3_S9_NS6_6detail15normal_iteratorINS6_10device_ptrItEEEESG_SG_SG_PmS8_22is_equal_div_10_reduceItEEE10hipError_tPvRmT2_T3_mT4_T5_T6_T7_T8_P12ihipStream_tbENKUlT_T0_E_clISt17integral_constantIbLb1EES11_EEDaSW_SX_EUlSW_E_NS1_11comp_targetILNS1_3genE10ELNS1_11target_archE1201ELNS1_3gpuE5ELNS1_3repE0EEENS1_30default_config_static_selectorELNS0_4arch9wavefront6targetE1EEEvT1_
	.p2align	8
	.type	_ZN7rocprim17ROCPRIM_400000_NS6detail17trampoline_kernelINS0_14default_configENS1_29reduce_by_key_config_selectorIttN6thrust23THRUST_200600_302600_NS4plusItEEEEZZNS1_33reduce_by_key_impl_wrapped_configILNS1_25lookback_scan_determinismE0ES3_S9_NS6_6detail15normal_iteratorINS6_10device_ptrItEEEESG_SG_SG_PmS8_22is_equal_div_10_reduceItEEE10hipError_tPvRmT2_T3_mT4_T5_T6_T7_T8_P12ihipStream_tbENKUlT_T0_E_clISt17integral_constantIbLb1EES11_EEDaSW_SX_EUlSW_E_NS1_11comp_targetILNS1_3genE10ELNS1_11target_archE1201ELNS1_3gpuE5ELNS1_3repE0EEENS1_30default_config_static_selectorELNS0_4arch9wavefront6targetE1EEEvT1_,@function
_ZN7rocprim17ROCPRIM_400000_NS6detail17trampoline_kernelINS0_14default_configENS1_29reduce_by_key_config_selectorIttN6thrust23THRUST_200600_302600_NS4plusItEEEEZZNS1_33reduce_by_key_impl_wrapped_configILNS1_25lookback_scan_determinismE0ES3_S9_NS6_6detail15normal_iteratorINS6_10device_ptrItEEEESG_SG_SG_PmS8_22is_equal_div_10_reduceItEEE10hipError_tPvRmT2_T3_mT4_T5_T6_T7_T8_P12ihipStream_tbENKUlT_T0_E_clISt17integral_constantIbLb1EES11_EEDaSW_SX_EUlSW_E_NS1_11comp_targetILNS1_3genE10ELNS1_11target_archE1201ELNS1_3gpuE5ELNS1_3repE0EEENS1_30default_config_static_selectorELNS0_4arch9wavefront6targetE1EEEvT1_: ; @_ZN7rocprim17ROCPRIM_400000_NS6detail17trampoline_kernelINS0_14default_configENS1_29reduce_by_key_config_selectorIttN6thrust23THRUST_200600_302600_NS4plusItEEEEZZNS1_33reduce_by_key_impl_wrapped_configILNS1_25lookback_scan_determinismE0ES3_S9_NS6_6detail15normal_iteratorINS6_10device_ptrItEEEESG_SG_SG_PmS8_22is_equal_div_10_reduceItEEE10hipError_tPvRmT2_T3_mT4_T5_T6_T7_T8_P12ihipStream_tbENKUlT_T0_E_clISt17integral_constantIbLb1EES11_EEDaSW_SX_EUlSW_E_NS1_11comp_targetILNS1_3genE10ELNS1_11target_archE1201ELNS1_3gpuE5ELNS1_3repE0EEENS1_30default_config_static_selectorELNS0_4arch9wavefront6targetE1EEEvT1_
; %bb.0:
	.section	.rodata,"a",@progbits
	.p2align	6, 0x0
	.amdhsa_kernel _ZN7rocprim17ROCPRIM_400000_NS6detail17trampoline_kernelINS0_14default_configENS1_29reduce_by_key_config_selectorIttN6thrust23THRUST_200600_302600_NS4plusItEEEEZZNS1_33reduce_by_key_impl_wrapped_configILNS1_25lookback_scan_determinismE0ES3_S9_NS6_6detail15normal_iteratorINS6_10device_ptrItEEEESG_SG_SG_PmS8_22is_equal_div_10_reduceItEEE10hipError_tPvRmT2_T3_mT4_T5_T6_T7_T8_P12ihipStream_tbENKUlT_T0_E_clISt17integral_constantIbLb1EES11_EEDaSW_SX_EUlSW_E_NS1_11comp_targetILNS1_3genE10ELNS1_11target_archE1201ELNS1_3gpuE5ELNS1_3repE0EEENS1_30default_config_static_selectorELNS0_4arch9wavefront6targetE1EEEvT1_
		.amdhsa_group_segment_fixed_size 0
		.amdhsa_private_segment_fixed_size 0
		.amdhsa_kernarg_size 120
		.amdhsa_user_sgpr_count 6
		.amdhsa_user_sgpr_private_segment_buffer 1
		.amdhsa_user_sgpr_dispatch_ptr 0
		.amdhsa_user_sgpr_queue_ptr 0
		.amdhsa_user_sgpr_kernarg_segment_ptr 1
		.amdhsa_user_sgpr_dispatch_id 0
		.amdhsa_user_sgpr_flat_scratch_init 0
		.amdhsa_user_sgpr_kernarg_preload_length 0
		.amdhsa_user_sgpr_kernarg_preload_offset 0
		.amdhsa_user_sgpr_private_segment_size 0
		.amdhsa_uses_dynamic_stack 0
		.amdhsa_system_sgpr_private_segment_wavefront_offset 0
		.amdhsa_system_sgpr_workgroup_id_x 1
		.amdhsa_system_sgpr_workgroup_id_y 0
		.amdhsa_system_sgpr_workgroup_id_z 0
		.amdhsa_system_sgpr_workgroup_info 0
		.amdhsa_system_vgpr_workitem_id 0
		.amdhsa_next_free_vgpr 1
		.amdhsa_next_free_sgpr 0
		.amdhsa_accum_offset 4
		.amdhsa_reserve_vcc 0
		.amdhsa_reserve_flat_scratch 0
		.amdhsa_float_round_mode_32 0
		.amdhsa_float_round_mode_16_64 0
		.amdhsa_float_denorm_mode_32 3
		.amdhsa_float_denorm_mode_16_64 3
		.amdhsa_dx10_clamp 1
		.amdhsa_ieee_mode 1
		.amdhsa_fp16_overflow 0
		.amdhsa_tg_split 0
		.amdhsa_exception_fp_ieee_invalid_op 0
		.amdhsa_exception_fp_denorm_src 0
		.amdhsa_exception_fp_ieee_div_zero 0
		.amdhsa_exception_fp_ieee_overflow 0
		.amdhsa_exception_fp_ieee_underflow 0
		.amdhsa_exception_fp_ieee_inexact 0
		.amdhsa_exception_int_div_zero 0
	.end_amdhsa_kernel
	.section	.text._ZN7rocprim17ROCPRIM_400000_NS6detail17trampoline_kernelINS0_14default_configENS1_29reduce_by_key_config_selectorIttN6thrust23THRUST_200600_302600_NS4plusItEEEEZZNS1_33reduce_by_key_impl_wrapped_configILNS1_25lookback_scan_determinismE0ES3_S9_NS6_6detail15normal_iteratorINS6_10device_ptrItEEEESG_SG_SG_PmS8_22is_equal_div_10_reduceItEEE10hipError_tPvRmT2_T3_mT4_T5_T6_T7_T8_P12ihipStream_tbENKUlT_T0_E_clISt17integral_constantIbLb1EES11_EEDaSW_SX_EUlSW_E_NS1_11comp_targetILNS1_3genE10ELNS1_11target_archE1201ELNS1_3gpuE5ELNS1_3repE0EEENS1_30default_config_static_selectorELNS0_4arch9wavefront6targetE1EEEvT1_,"axG",@progbits,_ZN7rocprim17ROCPRIM_400000_NS6detail17trampoline_kernelINS0_14default_configENS1_29reduce_by_key_config_selectorIttN6thrust23THRUST_200600_302600_NS4plusItEEEEZZNS1_33reduce_by_key_impl_wrapped_configILNS1_25lookback_scan_determinismE0ES3_S9_NS6_6detail15normal_iteratorINS6_10device_ptrItEEEESG_SG_SG_PmS8_22is_equal_div_10_reduceItEEE10hipError_tPvRmT2_T3_mT4_T5_T6_T7_T8_P12ihipStream_tbENKUlT_T0_E_clISt17integral_constantIbLb1EES11_EEDaSW_SX_EUlSW_E_NS1_11comp_targetILNS1_3genE10ELNS1_11target_archE1201ELNS1_3gpuE5ELNS1_3repE0EEENS1_30default_config_static_selectorELNS0_4arch9wavefront6targetE1EEEvT1_,comdat
.Lfunc_end445:
	.size	_ZN7rocprim17ROCPRIM_400000_NS6detail17trampoline_kernelINS0_14default_configENS1_29reduce_by_key_config_selectorIttN6thrust23THRUST_200600_302600_NS4plusItEEEEZZNS1_33reduce_by_key_impl_wrapped_configILNS1_25lookback_scan_determinismE0ES3_S9_NS6_6detail15normal_iteratorINS6_10device_ptrItEEEESG_SG_SG_PmS8_22is_equal_div_10_reduceItEEE10hipError_tPvRmT2_T3_mT4_T5_T6_T7_T8_P12ihipStream_tbENKUlT_T0_E_clISt17integral_constantIbLb1EES11_EEDaSW_SX_EUlSW_E_NS1_11comp_targetILNS1_3genE10ELNS1_11target_archE1201ELNS1_3gpuE5ELNS1_3repE0EEENS1_30default_config_static_selectorELNS0_4arch9wavefront6targetE1EEEvT1_, .Lfunc_end445-_ZN7rocprim17ROCPRIM_400000_NS6detail17trampoline_kernelINS0_14default_configENS1_29reduce_by_key_config_selectorIttN6thrust23THRUST_200600_302600_NS4plusItEEEEZZNS1_33reduce_by_key_impl_wrapped_configILNS1_25lookback_scan_determinismE0ES3_S9_NS6_6detail15normal_iteratorINS6_10device_ptrItEEEESG_SG_SG_PmS8_22is_equal_div_10_reduceItEEE10hipError_tPvRmT2_T3_mT4_T5_T6_T7_T8_P12ihipStream_tbENKUlT_T0_E_clISt17integral_constantIbLb1EES11_EEDaSW_SX_EUlSW_E_NS1_11comp_targetILNS1_3genE10ELNS1_11target_archE1201ELNS1_3gpuE5ELNS1_3repE0EEENS1_30default_config_static_selectorELNS0_4arch9wavefront6targetE1EEEvT1_
                                        ; -- End function
	.section	.AMDGPU.csdata,"",@progbits
; Kernel info:
; codeLenInByte = 0
; NumSgprs: 4
; NumVgprs: 0
; NumAgprs: 0
; TotalNumVgprs: 0
; ScratchSize: 0
; MemoryBound: 0
; FloatMode: 240
; IeeeMode: 1
; LDSByteSize: 0 bytes/workgroup (compile time only)
; SGPRBlocks: 0
; VGPRBlocks: 0
; NumSGPRsForWavesPerEU: 4
; NumVGPRsForWavesPerEU: 1
; AccumOffset: 4
; Occupancy: 8
; WaveLimiterHint : 0
; COMPUTE_PGM_RSRC2:SCRATCH_EN: 0
; COMPUTE_PGM_RSRC2:USER_SGPR: 6
; COMPUTE_PGM_RSRC2:TRAP_HANDLER: 0
; COMPUTE_PGM_RSRC2:TGID_X_EN: 1
; COMPUTE_PGM_RSRC2:TGID_Y_EN: 0
; COMPUTE_PGM_RSRC2:TGID_Z_EN: 0
; COMPUTE_PGM_RSRC2:TIDIG_COMP_CNT: 0
; COMPUTE_PGM_RSRC3_GFX90A:ACCUM_OFFSET: 0
; COMPUTE_PGM_RSRC3_GFX90A:TG_SPLIT: 0
	.section	.text._ZN7rocprim17ROCPRIM_400000_NS6detail17trampoline_kernelINS0_14default_configENS1_29reduce_by_key_config_selectorIttN6thrust23THRUST_200600_302600_NS4plusItEEEEZZNS1_33reduce_by_key_impl_wrapped_configILNS1_25lookback_scan_determinismE0ES3_S9_NS6_6detail15normal_iteratorINS6_10device_ptrItEEEESG_SG_SG_PmS8_22is_equal_div_10_reduceItEEE10hipError_tPvRmT2_T3_mT4_T5_T6_T7_T8_P12ihipStream_tbENKUlT_T0_E_clISt17integral_constantIbLb1EES11_EEDaSW_SX_EUlSW_E_NS1_11comp_targetILNS1_3genE10ELNS1_11target_archE1200ELNS1_3gpuE4ELNS1_3repE0EEENS1_30default_config_static_selectorELNS0_4arch9wavefront6targetE1EEEvT1_,"axG",@progbits,_ZN7rocprim17ROCPRIM_400000_NS6detail17trampoline_kernelINS0_14default_configENS1_29reduce_by_key_config_selectorIttN6thrust23THRUST_200600_302600_NS4plusItEEEEZZNS1_33reduce_by_key_impl_wrapped_configILNS1_25lookback_scan_determinismE0ES3_S9_NS6_6detail15normal_iteratorINS6_10device_ptrItEEEESG_SG_SG_PmS8_22is_equal_div_10_reduceItEEE10hipError_tPvRmT2_T3_mT4_T5_T6_T7_T8_P12ihipStream_tbENKUlT_T0_E_clISt17integral_constantIbLb1EES11_EEDaSW_SX_EUlSW_E_NS1_11comp_targetILNS1_3genE10ELNS1_11target_archE1200ELNS1_3gpuE4ELNS1_3repE0EEENS1_30default_config_static_selectorELNS0_4arch9wavefront6targetE1EEEvT1_,comdat
	.protected	_ZN7rocprim17ROCPRIM_400000_NS6detail17trampoline_kernelINS0_14default_configENS1_29reduce_by_key_config_selectorIttN6thrust23THRUST_200600_302600_NS4plusItEEEEZZNS1_33reduce_by_key_impl_wrapped_configILNS1_25lookback_scan_determinismE0ES3_S9_NS6_6detail15normal_iteratorINS6_10device_ptrItEEEESG_SG_SG_PmS8_22is_equal_div_10_reduceItEEE10hipError_tPvRmT2_T3_mT4_T5_T6_T7_T8_P12ihipStream_tbENKUlT_T0_E_clISt17integral_constantIbLb1EES11_EEDaSW_SX_EUlSW_E_NS1_11comp_targetILNS1_3genE10ELNS1_11target_archE1200ELNS1_3gpuE4ELNS1_3repE0EEENS1_30default_config_static_selectorELNS0_4arch9wavefront6targetE1EEEvT1_ ; -- Begin function _ZN7rocprim17ROCPRIM_400000_NS6detail17trampoline_kernelINS0_14default_configENS1_29reduce_by_key_config_selectorIttN6thrust23THRUST_200600_302600_NS4plusItEEEEZZNS1_33reduce_by_key_impl_wrapped_configILNS1_25lookback_scan_determinismE0ES3_S9_NS6_6detail15normal_iteratorINS6_10device_ptrItEEEESG_SG_SG_PmS8_22is_equal_div_10_reduceItEEE10hipError_tPvRmT2_T3_mT4_T5_T6_T7_T8_P12ihipStream_tbENKUlT_T0_E_clISt17integral_constantIbLb1EES11_EEDaSW_SX_EUlSW_E_NS1_11comp_targetILNS1_3genE10ELNS1_11target_archE1200ELNS1_3gpuE4ELNS1_3repE0EEENS1_30default_config_static_selectorELNS0_4arch9wavefront6targetE1EEEvT1_
	.globl	_ZN7rocprim17ROCPRIM_400000_NS6detail17trampoline_kernelINS0_14default_configENS1_29reduce_by_key_config_selectorIttN6thrust23THRUST_200600_302600_NS4plusItEEEEZZNS1_33reduce_by_key_impl_wrapped_configILNS1_25lookback_scan_determinismE0ES3_S9_NS6_6detail15normal_iteratorINS6_10device_ptrItEEEESG_SG_SG_PmS8_22is_equal_div_10_reduceItEEE10hipError_tPvRmT2_T3_mT4_T5_T6_T7_T8_P12ihipStream_tbENKUlT_T0_E_clISt17integral_constantIbLb1EES11_EEDaSW_SX_EUlSW_E_NS1_11comp_targetILNS1_3genE10ELNS1_11target_archE1200ELNS1_3gpuE4ELNS1_3repE0EEENS1_30default_config_static_selectorELNS0_4arch9wavefront6targetE1EEEvT1_
	.p2align	8
	.type	_ZN7rocprim17ROCPRIM_400000_NS6detail17trampoline_kernelINS0_14default_configENS1_29reduce_by_key_config_selectorIttN6thrust23THRUST_200600_302600_NS4plusItEEEEZZNS1_33reduce_by_key_impl_wrapped_configILNS1_25lookback_scan_determinismE0ES3_S9_NS6_6detail15normal_iteratorINS6_10device_ptrItEEEESG_SG_SG_PmS8_22is_equal_div_10_reduceItEEE10hipError_tPvRmT2_T3_mT4_T5_T6_T7_T8_P12ihipStream_tbENKUlT_T0_E_clISt17integral_constantIbLb1EES11_EEDaSW_SX_EUlSW_E_NS1_11comp_targetILNS1_3genE10ELNS1_11target_archE1200ELNS1_3gpuE4ELNS1_3repE0EEENS1_30default_config_static_selectorELNS0_4arch9wavefront6targetE1EEEvT1_,@function
_ZN7rocprim17ROCPRIM_400000_NS6detail17trampoline_kernelINS0_14default_configENS1_29reduce_by_key_config_selectorIttN6thrust23THRUST_200600_302600_NS4plusItEEEEZZNS1_33reduce_by_key_impl_wrapped_configILNS1_25lookback_scan_determinismE0ES3_S9_NS6_6detail15normal_iteratorINS6_10device_ptrItEEEESG_SG_SG_PmS8_22is_equal_div_10_reduceItEEE10hipError_tPvRmT2_T3_mT4_T5_T6_T7_T8_P12ihipStream_tbENKUlT_T0_E_clISt17integral_constantIbLb1EES11_EEDaSW_SX_EUlSW_E_NS1_11comp_targetILNS1_3genE10ELNS1_11target_archE1200ELNS1_3gpuE4ELNS1_3repE0EEENS1_30default_config_static_selectorELNS0_4arch9wavefront6targetE1EEEvT1_: ; @_ZN7rocprim17ROCPRIM_400000_NS6detail17trampoline_kernelINS0_14default_configENS1_29reduce_by_key_config_selectorIttN6thrust23THRUST_200600_302600_NS4plusItEEEEZZNS1_33reduce_by_key_impl_wrapped_configILNS1_25lookback_scan_determinismE0ES3_S9_NS6_6detail15normal_iteratorINS6_10device_ptrItEEEESG_SG_SG_PmS8_22is_equal_div_10_reduceItEEE10hipError_tPvRmT2_T3_mT4_T5_T6_T7_T8_P12ihipStream_tbENKUlT_T0_E_clISt17integral_constantIbLb1EES11_EEDaSW_SX_EUlSW_E_NS1_11comp_targetILNS1_3genE10ELNS1_11target_archE1200ELNS1_3gpuE4ELNS1_3repE0EEENS1_30default_config_static_selectorELNS0_4arch9wavefront6targetE1EEEvT1_
; %bb.0:
	.section	.rodata,"a",@progbits
	.p2align	6, 0x0
	.amdhsa_kernel _ZN7rocprim17ROCPRIM_400000_NS6detail17trampoline_kernelINS0_14default_configENS1_29reduce_by_key_config_selectorIttN6thrust23THRUST_200600_302600_NS4plusItEEEEZZNS1_33reduce_by_key_impl_wrapped_configILNS1_25lookback_scan_determinismE0ES3_S9_NS6_6detail15normal_iteratorINS6_10device_ptrItEEEESG_SG_SG_PmS8_22is_equal_div_10_reduceItEEE10hipError_tPvRmT2_T3_mT4_T5_T6_T7_T8_P12ihipStream_tbENKUlT_T0_E_clISt17integral_constantIbLb1EES11_EEDaSW_SX_EUlSW_E_NS1_11comp_targetILNS1_3genE10ELNS1_11target_archE1200ELNS1_3gpuE4ELNS1_3repE0EEENS1_30default_config_static_selectorELNS0_4arch9wavefront6targetE1EEEvT1_
		.amdhsa_group_segment_fixed_size 0
		.amdhsa_private_segment_fixed_size 0
		.amdhsa_kernarg_size 120
		.amdhsa_user_sgpr_count 6
		.amdhsa_user_sgpr_private_segment_buffer 1
		.amdhsa_user_sgpr_dispatch_ptr 0
		.amdhsa_user_sgpr_queue_ptr 0
		.amdhsa_user_sgpr_kernarg_segment_ptr 1
		.amdhsa_user_sgpr_dispatch_id 0
		.amdhsa_user_sgpr_flat_scratch_init 0
		.amdhsa_user_sgpr_kernarg_preload_length 0
		.amdhsa_user_sgpr_kernarg_preload_offset 0
		.amdhsa_user_sgpr_private_segment_size 0
		.amdhsa_uses_dynamic_stack 0
		.amdhsa_system_sgpr_private_segment_wavefront_offset 0
		.amdhsa_system_sgpr_workgroup_id_x 1
		.amdhsa_system_sgpr_workgroup_id_y 0
		.amdhsa_system_sgpr_workgroup_id_z 0
		.amdhsa_system_sgpr_workgroup_info 0
		.amdhsa_system_vgpr_workitem_id 0
		.amdhsa_next_free_vgpr 1
		.amdhsa_next_free_sgpr 0
		.amdhsa_accum_offset 4
		.amdhsa_reserve_vcc 0
		.amdhsa_reserve_flat_scratch 0
		.amdhsa_float_round_mode_32 0
		.amdhsa_float_round_mode_16_64 0
		.amdhsa_float_denorm_mode_32 3
		.amdhsa_float_denorm_mode_16_64 3
		.amdhsa_dx10_clamp 1
		.amdhsa_ieee_mode 1
		.amdhsa_fp16_overflow 0
		.amdhsa_tg_split 0
		.amdhsa_exception_fp_ieee_invalid_op 0
		.amdhsa_exception_fp_denorm_src 0
		.amdhsa_exception_fp_ieee_div_zero 0
		.amdhsa_exception_fp_ieee_overflow 0
		.amdhsa_exception_fp_ieee_underflow 0
		.amdhsa_exception_fp_ieee_inexact 0
		.amdhsa_exception_int_div_zero 0
	.end_amdhsa_kernel
	.section	.text._ZN7rocprim17ROCPRIM_400000_NS6detail17trampoline_kernelINS0_14default_configENS1_29reduce_by_key_config_selectorIttN6thrust23THRUST_200600_302600_NS4plusItEEEEZZNS1_33reduce_by_key_impl_wrapped_configILNS1_25lookback_scan_determinismE0ES3_S9_NS6_6detail15normal_iteratorINS6_10device_ptrItEEEESG_SG_SG_PmS8_22is_equal_div_10_reduceItEEE10hipError_tPvRmT2_T3_mT4_T5_T6_T7_T8_P12ihipStream_tbENKUlT_T0_E_clISt17integral_constantIbLb1EES11_EEDaSW_SX_EUlSW_E_NS1_11comp_targetILNS1_3genE10ELNS1_11target_archE1200ELNS1_3gpuE4ELNS1_3repE0EEENS1_30default_config_static_selectorELNS0_4arch9wavefront6targetE1EEEvT1_,"axG",@progbits,_ZN7rocprim17ROCPRIM_400000_NS6detail17trampoline_kernelINS0_14default_configENS1_29reduce_by_key_config_selectorIttN6thrust23THRUST_200600_302600_NS4plusItEEEEZZNS1_33reduce_by_key_impl_wrapped_configILNS1_25lookback_scan_determinismE0ES3_S9_NS6_6detail15normal_iteratorINS6_10device_ptrItEEEESG_SG_SG_PmS8_22is_equal_div_10_reduceItEEE10hipError_tPvRmT2_T3_mT4_T5_T6_T7_T8_P12ihipStream_tbENKUlT_T0_E_clISt17integral_constantIbLb1EES11_EEDaSW_SX_EUlSW_E_NS1_11comp_targetILNS1_3genE10ELNS1_11target_archE1200ELNS1_3gpuE4ELNS1_3repE0EEENS1_30default_config_static_selectorELNS0_4arch9wavefront6targetE1EEEvT1_,comdat
.Lfunc_end446:
	.size	_ZN7rocprim17ROCPRIM_400000_NS6detail17trampoline_kernelINS0_14default_configENS1_29reduce_by_key_config_selectorIttN6thrust23THRUST_200600_302600_NS4plusItEEEEZZNS1_33reduce_by_key_impl_wrapped_configILNS1_25lookback_scan_determinismE0ES3_S9_NS6_6detail15normal_iteratorINS6_10device_ptrItEEEESG_SG_SG_PmS8_22is_equal_div_10_reduceItEEE10hipError_tPvRmT2_T3_mT4_T5_T6_T7_T8_P12ihipStream_tbENKUlT_T0_E_clISt17integral_constantIbLb1EES11_EEDaSW_SX_EUlSW_E_NS1_11comp_targetILNS1_3genE10ELNS1_11target_archE1200ELNS1_3gpuE4ELNS1_3repE0EEENS1_30default_config_static_selectorELNS0_4arch9wavefront6targetE1EEEvT1_, .Lfunc_end446-_ZN7rocprim17ROCPRIM_400000_NS6detail17trampoline_kernelINS0_14default_configENS1_29reduce_by_key_config_selectorIttN6thrust23THRUST_200600_302600_NS4plusItEEEEZZNS1_33reduce_by_key_impl_wrapped_configILNS1_25lookback_scan_determinismE0ES3_S9_NS6_6detail15normal_iteratorINS6_10device_ptrItEEEESG_SG_SG_PmS8_22is_equal_div_10_reduceItEEE10hipError_tPvRmT2_T3_mT4_T5_T6_T7_T8_P12ihipStream_tbENKUlT_T0_E_clISt17integral_constantIbLb1EES11_EEDaSW_SX_EUlSW_E_NS1_11comp_targetILNS1_3genE10ELNS1_11target_archE1200ELNS1_3gpuE4ELNS1_3repE0EEENS1_30default_config_static_selectorELNS0_4arch9wavefront6targetE1EEEvT1_
                                        ; -- End function
	.section	.AMDGPU.csdata,"",@progbits
; Kernel info:
; codeLenInByte = 0
; NumSgprs: 4
; NumVgprs: 0
; NumAgprs: 0
; TotalNumVgprs: 0
; ScratchSize: 0
; MemoryBound: 0
; FloatMode: 240
; IeeeMode: 1
; LDSByteSize: 0 bytes/workgroup (compile time only)
; SGPRBlocks: 0
; VGPRBlocks: 0
; NumSGPRsForWavesPerEU: 4
; NumVGPRsForWavesPerEU: 1
; AccumOffset: 4
; Occupancy: 8
; WaveLimiterHint : 0
; COMPUTE_PGM_RSRC2:SCRATCH_EN: 0
; COMPUTE_PGM_RSRC2:USER_SGPR: 6
; COMPUTE_PGM_RSRC2:TRAP_HANDLER: 0
; COMPUTE_PGM_RSRC2:TGID_X_EN: 1
; COMPUTE_PGM_RSRC2:TGID_Y_EN: 0
; COMPUTE_PGM_RSRC2:TGID_Z_EN: 0
; COMPUTE_PGM_RSRC2:TIDIG_COMP_CNT: 0
; COMPUTE_PGM_RSRC3_GFX90A:ACCUM_OFFSET: 0
; COMPUTE_PGM_RSRC3_GFX90A:TG_SPLIT: 0
	.section	.text._ZN7rocprim17ROCPRIM_400000_NS6detail17trampoline_kernelINS0_14default_configENS1_29reduce_by_key_config_selectorIttN6thrust23THRUST_200600_302600_NS4plusItEEEEZZNS1_33reduce_by_key_impl_wrapped_configILNS1_25lookback_scan_determinismE0ES3_S9_NS6_6detail15normal_iteratorINS6_10device_ptrItEEEESG_SG_SG_PmS8_22is_equal_div_10_reduceItEEE10hipError_tPvRmT2_T3_mT4_T5_T6_T7_T8_P12ihipStream_tbENKUlT_T0_E_clISt17integral_constantIbLb1EES11_EEDaSW_SX_EUlSW_E_NS1_11comp_targetILNS1_3genE9ELNS1_11target_archE1100ELNS1_3gpuE3ELNS1_3repE0EEENS1_30default_config_static_selectorELNS0_4arch9wavefront6targetE1EEEvT1_,"axG",@progbits,_ZN7rocprim17ROCPRIM_400000_NS6detail17trampoline_kernelINS0_14default_configENS1_29reduce_by_key_config_selectorIttN6thrust23THRUST_200600_302600_NS4plusItEEEEZZNS1_33reduce_by_key_impl_wrapped_configILNS1_25lookback_scan_determinismE0ES3_S9_NS6_6detail15normal_iteratorINS6_10device_ptrItEEEESG_SG_SG_PmS8_22is_equal_div_10_reduceItEEE10hipError_tPvRmT2_T3_mT4_T5_T6_T7_T8_P12ihipStream_tbENKUlT_T0_E_clISt17integral_constantIbLb1EES11_EEDaSW_SX_EUlSW_E_NS1_11comp_targetILNS1_3genE9ELNS1_11target_archE1100ELNS1_3gpuE3ELNS1_3repE0EEENS1_30default_config_static_selectorELNS0_4arch9wavefront6targetE1EEEvT1_,comdat
	.protected	_ZN7rocprim17ROCPRIM_400000_NS6detail17trampoline_kernelINS0_14default_configENS1_29reduce_by_key_config_selectorIttN6thrust23THRUST_200600_302600_NS4plusItEEEEZZNS1_33reduce_by_key_impl_wrapped_configILNS1_25lookback_scan_determinismE0ES3_S9_NS6_6detail15normal_iteratorINS6_10device_ptrItEEEESG_SG_SG_PmS8_22is_equal_div_10_reduceItEEE10hipError_tPvRmT2_T3_mT4_T5_T6_T7_T8_P12ihipStream_tbENKUlT_T0_E_clISt17integral_constantIbLb1EES11_EEDaSW_SX_EUlSW_E_NS1_11comp_targetILNS1_3genE9ELNS1_11target_archE1100ELNS1_3gpuE3ELNS1_3repE0EEENS1_30default_config_static_selectorELNS0_4arch9wavefront6targetE1EEEvT1_ ; -- Begin function _ZN7rocprim17ROCPRIM_400000_NS6detail17trampoline_kernelINS0_14default_configENS1_29reduce_by_key_config_selectorIttN6thrust23THRUST_200600_302600_NS4plusItEEEEZZNS1_33reduce_by_key_impl_wrapped_configILNS1_25lookback_scan_determinismE0ES3_S9_NS6_6detail15normal_iteratorINS6_10device_ptrItEEEESG_SG_SG_PmS8_22is_equal_div_10_reduceItEEE10hipError_tPvRmT2_T3_mT4_T5_T6_T7_T8_P12ihipStream_tbENKUlT_T0_E_clISt17integral_constantIbLb1EES11_EEDaSW_SX_EUlSW_E_NS1_11comp_targetILNS1_3genE9ELNS1_11target_archE1100ELNS1_3gpuE3ELNS1_3repE0EEENS1_30default_config_static_selectorELNS0_4arch9wavefront6targetE1EEEvT1_
	.globl	_ZN7rocprim17ROCPRIM_400000_NS6detail17trampoline_kernelINS0_14default_configENS1_29reduce_by_key_config_selectorIttN6thrust23THRUST_200600_302600_NS4plusItEEEEZZNS1_33reduce_by_key_impl_wrapped_configILNS1_25lookback_scan_determinismE0ES3_S9_NS6_6detail15normal_iteratorINS6_10device_ptrItEEEESG_SG_SG_PmS8_22is_equal_div_10_reduceItEEE10hipError_tPvRmT2_T3_mT4_T5_T6_T7_T8_P12ihipStream_tbENKUlT_T0_E_clISt17integral_constantIbLb1EES11_EEDaSW_SX_EUlSW_E_NS1_11comp_targetILNS1_3genE9ELNS1_11target_archE1100ELNS1_3gpuE3ELNS1_3repE0EEENS1_30default_config_static_selectorELNS0_4arch9wavefront6targetE1EEEvT1_
	.p2align	8
	.type	_ZN7rocprim17ROCPRIM_400000_NS6detail17trampoline_kernelINS0_14default_configENS1_29reduce_by_key_config_selectorIttN6thrust23THRUST_200600_302600_NS4plusItEEEEZZNS1_33reduce_by_key_impl_wrapped_configILNS1_25lookback_scan_determinismE0ES3_S9_NS6_6detail15normal_iteratorINS6_10device_ptrItEEEESG_SG_SG_PmS8_22is_equal_div_10_reduceItEEE10hipError_tPvRmT2_T3_mT4_T5_T6_T7_T8_P12ihipStream_tbENKUlT_T0_E_clISt17integral_constantIbLb1EES11_EEDaSW_SX_EUlSW_E_NS1_11comp_targetILNS1_3genE9ELNS1_11target_archE1100ELNS1_3gpuE3ELNS1_3repE0EEENS1_30default_config_static_selectorELNS0_4arch9wavefront6targetE1EEEvT1_,@function
_ZN7rocprim17ROCPRIM_400000_NS6detail17trampoline_kernelINS0_14default_configENS1_29reduce_by_key_config_selectorIttN6thrust23THRUST_200600_302600_NS4plusItEEEEZZNS1_33reduce_by_key_impl_wrapped_configILNS1_25lookback_scan_determinismE0ES3_S9_NS6_6detail15normal_iteratorINS6_10device_ptrItEEEESG_SG_SG_PmS8_22is_equal_div_10_reduceItEEE10hipError_tPvRmT2_T3_mT4_T5_T6_T7_T8_P12ihipStream_tbENKUlT_T0_E_clISt17integral_constantIbLb1EES11_EEDaSW_SX_EUlSW_E_NS1_11comp_targetILNS1_3genE9ELNS1_11target_archE1100ELNS1_3gpuE3ELNS1_3repE0EEENS1_30default_config_static_selectorELNS0_4arch9wavefront6targetE1EEEvT1_: ; @_ZN7rocprim17ROCPRIM_400000_NS6detail17trampoline_kernelINS0_14default_configENS1_29reduce_by_key_config_selectorIttN6thrust23THRUST_200600_302600_NS4plusItEEEEZZNS1_33reduce_by_key_impl_wrapped_configILNS1_25lookback_scan_determinismE0ES3_S9_NS6_6detail15normal_iteratorINS6_10device_ptrItEEEESG_SG_SG_PmS8_22is_equal_div_10_reduceItEEE10hipError_tPvRmT2_T3_mT4_T5_T6_T7_T8_P12ihipStream_tbENKUlT_T0_E_clISt17integral_constantIbLb1EES11_EEDaSW_SX_EUlSW_E_NS1_11comp_targetILNS1_3genE9ELNS1_11target_archE1100ELNS1_3gpuE3ELNS1_3repE0EEENS1_30default_config_static_selectorELNS0_4arch9wavefront6targetE1EEEvT1_
; %bb.0:
	.section	.rodata,"a",@progbits
	.p2align	6, 0x0
	.amdhsa_kernel _ZN7rocprim17ROCPRIM_400000_NS6detail17trampoline_kernelINS0_14default_configENS1_29reduce_by_key_config_selectorIttN6thrust23THRUST_200600_302600_NS4plusItEEEEZZNS1_33reduce_by_key_impl_wrapped_configILNS1_25lookback_scan_determinismE0ES3_S9_NS6_6detail15normal_iteratorINS6_10device_ptrItEEEESG_SG_SG_PmS8_22is_equal_div_10_reduceItEEE10hipError_tPvRmT2_T3_mT4_T5_T6_T7_T8_P12ihipStream_tbENKUlT_T0_E_clISt17integral_constantIbLb1EES11_EEDaSW_SX_EUlSW_E_NS1_11comp_targetILNS1_3genE9ELNS1_11target_archE1100ELNS1_3gpuE3ELNS1_3repE0EEENS1_30default_config_static_selectorELNS0_4arch9wavefront6targetE1EEEvT1_
		.amdhsa_group_segment_fixed_size 0
		.amdhsa_private_segment_fixed_size 0
		.amdhsa_kernarg_size 120
		.amdhsa_user_sgpr_count 6
		.amdhsa_user_sgpr_private_segment_buffer 1
		.amdhsa_user_sgpr_dispatch_ptr 0
		.amdhsa_user_sgpr_queue_ptr 0
		.amdhsa_user_sgpr_kernarg_segment_ptr 1
		.amdhsa_user_sgpr_dispatch_id 0
		.amdhsa_user_sgpr_flat_scratch_init 0
		.amdhsa_user_sgpr_kernarg_preload_length 0
		.amdhsa_user_sgpr_kernarg_preload_offset 0
		.amdhsa_user_sgpr_private_segment_size 0
		.amdhsa_uses_dynamic_stack 0
		.amdhsa_system_sgpr_private_segment_wavefront_offset 0
		.amdhsa_system_sgpr_workgroup_id_x 1
		.amdhsa_system_sgpr_workgroup_id_y 0
		.amdhsa_system_sgpr_workgroup_id_z 0
		.amdhsa_system_sgpr_workgroup_info 0
		.amdhsa_system_vgpr_workitem_id 0
		.amdhsa_next_free_vgpr 1
		.amdhsa_next_free_sgpr 0
		.amdhsa_accum_offset 4
		.amdhsa_reserve_vcc 0
		.amdhsa_reserve_flat_scratch 0
		.amdhsa_float_round_mode_32 0
		.amdhsa_float_round_mode_16_64 0
		.amdhsa_float_denorm_mode_32 3
		.amdhsa_float_denorm_mode_16_64 3
		.amdhsa_dx10_clamp 1
		.amdhsa_ieee_mode 1
		.amdhsa_fp16_overflow 0
		.amdhsa_tg_split 0
		.amdhsa_exception_fp_ieee_invalid_op 0
		.amdhsa_exception_fp_denorm_src 0
		.amdhsa_exception_fp_ieee_div_zero 0
		.amdhsa_exception_fp_ieee_overflow 0
		.amdhsa_exception_fp_ieee_underflow 0
		.amdhsa_exception_fp_ieee_inexact 0
		.amdhsa_exception_int_div_zero 0
	.end_amdhsa_kernel
	.section	.text._ZN7rocprim17ROCPRIM_400000_NS6detail17trampoline_kernelINS0_14default_configENS1_29reduce_by_key_config_selectorIttN6thrust23THRUST_200600_302600_NS4plusItEEEEZZNS1_33reduce_by_key_impl_wrapped_configILNS1_25lookback_scan_determinismE0ES3_S9_NS6_6detail15normal_iteratorINS6_10device_ptrItEEEESG_SG_SG_PmS8_22is_equal_div_10_reduceItEEE10hipError_tPvRmT2_T3_mT4_T5_T6_T7_T8_P12ihipStream_tbENKUlT_T0_E_clISt17integral_constantIbLb1EES11_EEDaSW_SX_EUlSW_E_NS1_11comp_targetILNS1_3genE9ELNS1_11target_archE1100ELNS1_3gpuE3ELNS1_3repE0EEENS1_30default_config_static_selectorELNS0_4arch9wavefront6targetE1EEEvT1_,"axG",@progbits,_ZN7rocprim17ROCPRIM_400000_NS6detail17trampoline_kernelINS0_14default_configENS1_29reduce_by_key_config_selectorIttN6thrust23THRUST_200600_302600_NS4plusItEEEEZZNS1_33reduce_by_key_impl_wrapped_configILNS1_25lookback_scan_determinismE0ES3_S9_NS6_6detail15normal_iteratorINS6_10device_ptrItEEEESG_SG_SG_PmS8_22is_equal_div_10_reduceItEEE10hipError_tPvRmT2_T3_mT4_T5_T6_T7_T8_P12ihipStream_tbENKUlT_T0_E_clISt17integral_constantIbLb1EES11_EEDaSW_SX_EUlSW_E_NS1_11comp_targetILNS1_3genE9ELNS1_11target_archE1100ELNS1_3gpuE3ELNS1_3repE0EEENS1_30default_config_static_selectorELNS0_4arch9wavefront6targetE1EEEvT1_,comdat
.Lfunc_end447:
	.size	_ZN7rocprim17ROCPRIM_400000_NS6detail17trampoline_kernelINS0_14default_configENS1_29reduce_by_key_config_selectorIttN6thrust23THRUST_200600_302600_NS4plusItEEEEZZNS1_33reduce_by_key_impl_wrapped_configILNS1_25lookback_scan_determinismE0ES3_S9_NS6_6detail15normal_iteratorINS6_10device_ptrItEEEESG_SG_SG_PmS8_22is_equal_div_10_reduceItEEE10hipError_tPvRmT2_T3_mT4_T5_T6_T7_T8_P12ihipStream_tbENKUlT_T0_E_clISt17integral_constantIbLb1EES11_EEDaSW_SX_EUlSW_E_NS1_11comp_targetILNS1_3genE9ELNS1_11target_archE1100ELNS1_3gpuE3ELNS1_3repE0EEENS1_30default_config_static_selectorELNS0_4arch9wavefront6targetE1EEEvT1_, .Lfunc_end447-_ZN7rocprim17ROCPRIM_400000_NS6detail17trampoline_kernelINS0_14default_configENS1_29reduce_by_key_config_selectorIttN6thrust23THRUST_200600_302600_NS4plusItEEEEZZNS1_33reduce_by_key_impl_wrapped_configILNS1_25lookback_scan_determinismE0ES3_S9_NS6_6detail15normal_iteratorINS6_10device_ptrItEEEESG_SG_SG_PmS8_22is_equal_div_10_reduceItEEE10hipError_tPvRmT2_T3_mT4_T5_T6_T7_T8_P12ihipStream_tbENKUlT_T0_E_clISt17integral_constantIbLb1EES11_EEDaSW_SX_EUlSW_E_NS1_11comp_targetILNS1_3genE9ELNS1_11target_archE1100ELNS1_3gpuE3ELNS1_3repE0EEENS1_30default_config_static_selectorELNS0_4arch9wavefront6targetE1EEEvT1_
                                        ; -- End function
	.section	.AMDGPU.csdata,"",@progbits
; Kernel info:
; codeLenInByte = 0
; NumSgprs: 4
; NumVgprs: 0
; NumAgprs: 0
; TotalNumVgprs: 0
; ScratchSize: 0
; MemoryBound: 0
; FloatMode: 240
; IeeeMode: 1
; LDSByteSize: 0 bytes/workgroup (compile time only)
; SGPRBlocks: 0
; VGPRBlocks: 0
; NumSGPRsForWavesPerEU: 4
; NumVGPRsForWavesPerEU: 1
; AccumOffset: 4
; Occupancy: 8
; WaveLimiterHint : 0
; COMPUTE_PGM_RSRC2:SCRATCH_EN: 0
; COMPUTE_PGM_RSRC2:USER_SGPR: 6
; COMPUTE_PGM_RSRC2:TRAP_HANDLER: 0
; COMPUTE_PGM_RSRC2:TGID_X_EN: 1
; COMPUTE_PGM_RSRC2:TGID_Y_EN: 0
; COMPUTE_PGM_RSRC2:TGID_Z_EN: 0
; COMPUTE_PGM_RSRC2:TIDIG_COMP_CNT: 0
; COMPUTE_PGM_RSRC3_GFX90A:ACCUM_OFFSET: 0
; COMPUTE_PGM_RSRC3_GFX90A:TG_SPLIT: 0
	.section	.text._ZN7rocprim17ROCPRIM_400000_NS6detail17trampoline_kernelINS0_14default_configENS1_29reduce_by_key_config_selectorIttN6thrust23THRUST_200600_302600_NS4plusItEEEEZZNS1_33reduce_by_key_impl_wrapped_configILNS1_25lookback_scan_determinismE0ES3_S9_NS6_6detail15normal_iteratorINS6_10device_ptrItEEEESG_SG_SG_PmS8_22is_equal_div_10_reduceItEEE10hipError_tPvRmT2_T3_mT4_T5_T6_T7_T8_P12ihipStream_tbENKUlT_T0_E_clISt17integral_constantIbLb1EES11_EEDaSW_SX_EUlSW_E_NS1_11comp_targetILNS1_3genE8ELNS1_11target_archE1030ELNS1_3gpuE2ELNS1_3repE0EEENS1_30default_config_static_selectorELNS0_4arch9wavefront6targetE1EEEvT1_,"axG",@progbits,_ZN7rocprim17ROCPRIM_400000_NS6detail17trampoline_kernelINS0_14default_configENS1_29reduce_by_key_config_selectorIttN6thrust23THRUST_200600_302600_NS4plusItEEEEZZNS1_33reduce_by_key_impl_wrapped_configILNS1_25lookback_scan_determinismE0ES3_S9_NS6_6detail15normal_iteratorINS6_10device_ptrItEEEESG_SG_SG_PmS8_22is_equal_div_10_reduceItEEE10hipError_tPvRmT2_T3_mT4_T5_T6_T7_T8_P12ihipStream_tbENKUlT_T0_E_clISt17integral_constantIbLb1EES11_EEDaSW_SX_EUlSW_E_NS1_11comp_targetILNS1_3genE8ELNS1_11target_archE1030ELNS1_3gpuE2ELNS1_3repE0EEENS1_30default_config_static_selectorELNS0_4arch9wavefront6targetE1EEEvT1_,comdat
	.protected	_ZN7rocprim17ROCPRIM_400000_NS6detail17trampoline_kernelINS0_14default_configENS1_29reduce_by_key_config_selectorIttN6thrust23THRUST_200600_302600_NS4plusItEEEEZZNS1_33reduce_by_key_impl_wrapped_configILNS1_25lookback_scan_determinismE0ES3_S9_NS6_6detail15normal_iteratorINS6_10device_ptrItEEEESG_SG_SG_PmS8_22is_equal_div_10_reduceItEEE10hipError_tPvRmT2_T3_mT4_T5_T6_T7_T8_P12ihipStream_tbENKUlT_T0_E_clISt17integral_constantIbLb1EES11_EEDaSW_SX_EUlSW_E_NS1_11comp_targetILNS1_3genE8ELNS1_11target_archE1030ELNS1_3gpuE2ELNS1_3repE0EEENS1_30default_config_static_selectorELNS0_4arch9wavefront6targetE1EEEvT1_ ; -- Begin function _ZN7rocprim17ROCPRIM_400000_NS6detail17trampoline_kernelINS0_14default_configENS1_29reduce_by_key_config_selectorIttN6thrust23THRUST_200600_302600_NS4plusItEEEEZZNS1_33reduce_by_key_impl_wrapped_configILNS1_25lookback_scan_determinismE0ES3_S9_NS6_6detail15normal_iteratorINS6_10device_ptrItEEEESG_SG_SG_PmS8_22is_equal_div_10_reduceItEEE10hipError_tPvRmT2_T3_mT4_T5_T6_T7_T8_P12ihipStream_tbENKUlT_T0_E_clISt17integral_constantIbLb1EES11_EEDaSW_SX_EUlSW_E_NS1_11comp_targetILNS1_3genE8ELNS1_11target_archE1030ELNS1_3gpuE2ELNS1_3repE0EEENS1_30default_config_static_selectorELNS0_4arch9wavefront6targetE1EEEvT1_
	.globl	_ZN7rocprim17ROCPRIM_400000_NS6detail17trampoline_kernelINS0_14default_configENS1_29reduce_by_key_config_selectorIttN6thrust23THRUST_200600_302600_NS4plusItEEEEZZNS1_33reduce_by_key_impl_wrapped_configILNS1_25lookback_scan_determinismE0ES3_S9_NS6_6detail15normal_iteratorINS6_10device_ptrItEEEESG_SG_SG_PmS8_22is_equal_div_10_reduceItEEE10hipError_tPvRmT2_T3_mT4_T5_T6_T7_T8_P12ihipStream_tbENKUlT_T0_E_clISt17integral_constantIbLb1EES11_EEDaSW_SX_EUlSW_E_NS1_11comp_targetILNS1_3genE8ELNS1_11target_archE1030ELNS1_3gpuE2ELNS1_3repE0EEENS1_30default_config_static_selectorELNS0_4arch9wavefront6targetE1EEEvT1_
	.p2align	8
	.type	_ZN7rocprim17ROCPRIM_400000_NS6detail17trampoline_kernelINS0_14default_configENS1_29reduce_by_key_config_selectorIttN6thrust23THRUST_200600_302600_NS4plusItEEEEZZNS1_33reduce_by_key_impl_wrapped_configILNS1_25lookback_scan_determinismE0ES3_S9_NS6_6detail15normal_iteratorINS6_10device_ptrItEEEESG_SG_SG_PmS8_22is_equal_div_10_reduceItEEE10hipError_tPvRmT2_T3_mT4_T5_T6_T7_T8_P12ihipStream_tbENKUlT_T0_E_clISt17integral_constantIbLb1EES11_EEDaSW_SX_EUlSW_E_NS1_11comp_targetILNS1_3genE8ELNS1_11target_archE1030ELNS1_3gpuE2ELNS1_3repE0EEENS1_30default_config_static_selectorELNS0_4arch9wavefront6targetE1EEEvT1_,@function
_ZN7rocprim17ROCPRIM_400000_NS6detail17trampoline_kernelINS0_14default_configENS1_29reduce_by_key_config_selectorIttN6thrust23THRUST_200600_302600_NS4plusItEEEEZZNS1_33reduce_by_key_impl_wrapped_configILNS1_25lookback_scan_determinismE0ES3_S9_NS6_6detail15normal_iteratorINS6_10device_ptrItEEEESG_SG_SG_PmS8_22is_equal_div_10_reduceItEEE10hipError_tPvRmT2_T3_mT4_T5_T6_T7_T8_P12ihipStream_tbENKUlT_T0_E_clISt17integral_constantIbLb1EES11_EEDaSW_SX_EUlSW_E_NS1_11comp_targetILNS1_3genE8ELNS1_11target_archE1030ELNS1_3gpuE2ELNS1_3repE0EEENS1_30default_config_static_selectorELNS0_4arch9wavefront6targetE1EEEvT1_: ; @_ZN7rocprim17ROCPRIM_400000_NS6detail17trampoline_kernelINS0_14default_configENS1_29reduce_by_key_config_selectorIttN6thrust23THRUST_200600_302600_NS4plusItEEEEZZNS1_33reduce_by_key_impl_wrapped_configILNS1_25lookback_scan_determinismE0ES3_S9_NS6_6detail15normal_iteratorINS6_10device_ptrItEEEESG_SG_SG_PmS8_22is_equal_div_10_reduceItEEE10hipError_tPvRmT2_T3_mT4_T5_T6_T7_T8_P12ihipStream_tbENKUlT_T0_E_clISt17integral_constantIbLb1EES11_EEDaSW_SX_EUlSW_E_NS1_11comp_targetILNS1_3genE8ELNS1_11target_archE1030ELNS1_3gpuE2ELNS1_3repE0EEENS1_30default_config_static_selectorELNS0_4arch9wavefront6targetE1EEEvT1_
; %bb.0:
	.section	.rodata,"a",@progbits
	.p2align	6, 0x0
	.amdhsa_kernel _ZN7rocprim17ROCPRIM_400000_NS6detail17trampoline_kernelINS0_14default_configENS1_29reduce_by_key_config_selectorIttN6thrust23THRUST_200600_302600_NS4plusItEEEEZZNS1_33reduce_by_key_impl_wrapped_configILNS1_25lookback_scan_determinismE0ES3_S9_NS6_6detail15normal_iteratorINS6_10device_ptrItEEEESG_SG_SG_PmS8_22is_equal_div_10_reduceItEEE10hipError_tPvRmT2_T3_mT4_T5_T6_T7_T8_P12ihipStream_tbENKUlT_T0_E_clISt17integral_constantIbLb1EES11_EEDaSW_SX_EUlSW_E_NS1_11comp_targetILNS1_3genE8ELNS1_11target_archE1030ELNS1_3gpuE2ELNS1_3repE0EEENS1_30default_config_static_selectorELNS0_4arch9wavefront6targetE1EEEvT1_
		.amdhsa_group_segment_fixed_size 0
		.amdhsa_private_segment_fixed_size 0
		.amdhsa_kernarg_size 120
		.amdhsa_user_sgpr_count 6
		.amdhsa_user_sgpr_private_segment_buffer 1
		.amdhsa_user_sgpr_dispatch_ptr 0
		.amdhsa_user_sgpr_queue_ptr 0
		.amdhsa_user_sgpr_kernarg_segment_ptr 1
		.amdhsa_user_sgpr_dispatch_id 0
		.amdhsa_user_sgpr_flat_scratch_init 0
		.amdhsa_user_sgpr_kernarg_preload_length 0
		.amdhsa_user_sgpr_kernarg_preload_offset 0
		.amdhsa_user_sgpr_private_segment_size 0
		.amdhsa_uses_dynamic_stack 0
		.amdhsa_system_sgpr_private_segment_wavefront_offset 0
		.amdhsa_system_sgpr_workgroup_id_x 1
		.amdhsa_system_sgpr_workgroup_id_y 0
		.amdhsa_system_sgpr_workgroup_id_z 0
		.amdhsa_system_sgpr_workgroup_info 0
		.amdhsa_system_vgpr_workitem_id 0
		.amdhsa_next_free_vgpr 1
		.amdhsa_next_free_sgpr 0
		.amdhsa_accum_offset 4
		.amdhsa_reserve_vcc 0
		.amdhsa_reserve_flat_scratch 0
		.amdhsa_float_round_mode_32 0
		.amdhsa_float_round_mode_16_64 0
		.amdhsa_float_denorm_mode_32 3
		.amdhsa_float_denorm_mode_16_64 3
		.amdhsa_dx10_clamp 1
		.amdhsa_ieee_mode 1
		.amdhsa_fp16_overflow 0
		.amdhsa_tg_split 0
		.amdhsa_exception_fp_ieee_invalid_op 0
		.amdhsa_exception_fp_denorm_src 0
		.amdhsa_exception_fp_ieee_div_zero 0
		.amdhsa_exception_fp_ieee_overflow 0
		.amdhsa_exception_fp_ieee_underflow 0
		.amdhsa_exception_fp_ieee_inexact 0
		.amdhsa_exception_int_div_zero 0
	.end_amdhsa_kernel
	.section	.text._ZN7rocprim17ROCPRIM_400000_NS6detail17trampoline_kernelINS0_14default_configENS1_29reduce_by_key_config_selectorIttN6thrust23THRUST_200600_302600_NS4plusItEEEEZZNS1_33reduce_by_key_impl_wrapped_configILNS1_25lookback_scan_determinismE0ES3_S9_NS6_6detail15normal_iteratorINS6_10device_ptrItEEEESG_SG_SG_PmS8_22is_equal_div_10_reduceItEEE10hipError_tPvRmT2_T3_mT4_T5_T6_T7_T8_P12ihipStream_tbENKUlT_T0_E_clISt17integral_constantIbLb1EES11_EEDaSW_SX_EUlSW_E_NS1_11comp_targetILNS1_3genE8ELNS1_11target_archE1030ELNS1_3gpuE2ELNS1_3repE0EEENS1_30default_config_static_selectorELNS0_4arch9wavefront6targetE1EEEvT1_,"axG",@progbits,_ZN7rocprim17ROCPRIM_400000_NS6detail17trampoline_kernelINS0_14default_configENS1_29reduce_by_key_config_selectorIttN6thrust23THRUST_200600_302600_NS4plusItEEEEZZNS1_33reduce_by_key_impl_wrapped_configILNS1_25lookback_scan_determinismE0ES3_S9_NS6_6detail15normal_iteratorINS6_10device_ptrItEEEESG_SG_SG_PmS8_22is_equal_div_10_reduceItEEE10hipError_tPvRmT2_T3_mT4_T5_T6_T7_T8_P12ihipStream_tbENKUlT_T0_E_clISt17integral_constantIbLb1EES11_EEDaSW_SX_EUlSW_E_NS1_11comp_targetILNS1_3genE8ELNS1_11target_archE1030ELNS1_3gpuE2ELNS1_3repE0EEENS1_30default_config_static_selectorELNS0_4arch9wavefront6targetE1EEEvT1_,comdat
.Lfunc_end448:
	.size	_ZN7rocprim17ROCPRIM_400000_NS6detail17trampoline_kernelINS0_14default_configENS1_29reduce_by_key_config_selectorIttN6thrust23THRUST_200600_302600_NS4plusItEEEEZZNS1_33reduce_by_key_impl_wrapped_configILNS1_25lookback_scan_determinismE0ES3_S9_NS6_6detail15normal_iteratorINS6_10device_ptrItEEEESG_SG_SG_PmS8_22is_equal_div_10_reduceItEEE10hipError_tPvRmT2_T3_mT4_T5_T6_T7_T8_P12ihipStream_tbENKUlT_T0_E_clISt17integral_constantIbLb1EES11_EEDaSW_SX_EUlSW_E_NS1_11comp_targetILNS1_3genE8ELNS1_11target_archE1030ELNS1_3gpuE2ELNS1_3repE0EEENS1_30default_config_static_selectorELNS0_4arch9wavefront6targetE1EEEvT1_, .Lfunc_end448-_ZN7rocprim17ROCPRIM_400000_NS6detail17trampoline_kernelINS0_14default_configENS1_29reduce_by_key_config_selectorIttN6thrust23THRUST_200600_302600_NS4plusItEEEEZZNS1_33reduce_by_key_impl_wrapped_configILNS1_25lookback_scan_determinismE0ES3_S9_NS6_6detail15normal_iteratorINS6_10device_ptrItEEEESG_SG_SG_PmS8_22is_equal_div_10_reduceItEEE10hipError_tPvRmT2_T3_mT4_T5_T6_T7_T8_P12ihipStream_tbENKUlT_T0_E_clISt17integral_constantIbLb1EES11_EEDaSW_SX_EUlSW_E_NS1_11comp_targetILNS1_3genE8ELNS1_11target_archE1030ELNS1_3gpuE2ELNS1_3repE0EEENS1_30default_config_static_selectorELNS0_4arch9wavefront6targetE1EEEvT1_
                                        ; -- End function
	.section	.AMDGPU.csdata,"",@progbits
; Kernel info:
; codeLenInByte = 0
; NumSgprs: 4
; NumVgprs: 0
; NumAgprs: 0
; TotalNumVgprs: 0
; ScratchSize: 0
; MemoryBound: 0
; FloatMode: 240
; IeeeMode: 1
; LDSByteSize: 0 bytes/workgroup (compile time only)
; SGPRBlocks: 0
; VGPRBlocks: 0
; NumSGPRsForWavesPerEU: 4
; NumVGPRsForWavesPerEU: 1
; AccumOffset: 4
; Occupancy: 8
; WaveLimiterHint : 0
; COMPUTE_PGM_RSRC2:SCRATCH_EN: 0
; COMPUTE_PGM_RSRC2:USER_SGPR: 6
; COMPUTE_PGM_RSRC2:TRAP_HANDLER: 0
; COMPUTE_PGM_RSRC2:TGID_X_EN: 1
; COMPUTE_PGM_RSRC2:TGID_Y_EN: 0
; COMPUTE_PGM_RSRC2:TGID_Z_EN: 0
; COMPUTE_PGM_RSRC2:TIDIG_COMP_CNT: 0
; COMPUTE_PGM_RSRC3_GFX90A:ACCUM_OFFSET: 0
; COMPUTE_PGM_RSRC3_GFX90A:TG_SPLIT: 0
	.section	.text._ZN7rocprim17ROCPRIM_400000_NS6detail17trampoline_kernelINS0_14default_configENS1_29reduce_by_key_config_selectorIttN6thrust23THRUST_200600_302600_NS4plusItEEEEZZNS1_33reduce_by_key_impl_wrapped_configILNS1_25lookback_scan_determinismE0ES3_S9_NS6_6detail15normal_iteratorINS6_10device_ptrItEEEESG_SG_SG_PmS8_22is_equal_div_10_reduceItEEE10hipError_tPvRmT2_T3_mT4_T5_T6_T7_T8_P12ihipStream_tbENKUlT_T0_E_clISt17integral_constantIbLb1EES10_IbLb0EEEEDaSW_SX_EUlSW_E_NS1_11comp_targetILNS1_3genE0ELNS1_11target_archE4294967295ELNS1_3gpuE0ELNS1_3repE0EEENS1_30default_config_static_selectorELNS0_4arch9wavefront6targetE1EEEvT1_,"axG",@progbits,_ZN7rocprim17ROCPRIM_400000_NS6detail17trampoline_kernelINS0_14default_configENS1_29reduce_by_key_config_selectorIttN6thrust23THRUST_200600_302600_NS4plusItEEEEZZNS1_33reduce_by_key_impl_wrapped_configILNS1_25lookback_scan_determinismE0ES3_S9_NS6_6detail15normal_iteratorINS6_10device_ptrItEEEESG_SG_SG_PmS8_22is_equal_div_10_reduceItEEE10hipError_tPvRmT2_T3_mT4_T5_T6_T7_T8_P12ihipStream_tbENKUlT_T0_E_clISt17integral_constantIbLb1EES10_IbLb0EEEEDaSW_SX_EUlSW_E_NS1_11comp_targetILNS1_3genE0ELNS1_11target_archE4294967295ELNS1_3gpuE0ELNS1_3repE0EEENS1_30default_config_static_selectorELNS0_4arch9wavefront6targetE1EEEvT1_,comdat
	.protected	_ZN7rocprim17ROCPRIM_400000_NS6detail17trampoline_kernelINS0_14default_configENS1_29reduce_by_key_config_selectorIttN6thrust23THRUST_200600_302600_NS4plusItEEEEZZNS1_33reduce_by_key_impl_wrapped_configILNS1_25lookback_scan_determinismE0ES3_S9_NS6_6detail15normal_iteratorINS6_10device_ptrItEEEESG_SG_SG_PmS8_22is_equal_div_10_reduceItEEE10hipError_tPvRmT2_T3_mT4_T5_T6_T7_T8_P12ihipStream_tbENKUlT_T0_E_clISt17integral_constantIbLb1EES10_IbLb0EEEEDaSW_SX_EUlSW_E_NS1_11comp_targetILNS1_3genE0ELNS1_11target_archE4294967295ELNS1_3gpuE0ELNS1_3repE0EEENS1_30default_config_static_selectorELNS0_4arch9wavefront6targetE1EEEvT1_ ; -- Begin function _ZN7rocprim17ROCPRIM_400000_NS6detail17trampoline_kernelINS0_14default_configENS1_29reduce_by_key_config_selectorIttN6thrust23THRUST_200600_302600_NS4plusItEEEEZZNS1_33reduce_by_key_impl_wrapped_configILNS1_25lookback_scan_determinismE0ES3_S9_NS6_6detail15normal_iteratorINS6_10device_ptrItEEEESG_SG_SG_PmS8_22is_equal_div_10_reduceItEEE10hipError_tPvRmT2_T3_mT4_T5_T6_T7_T8_P12ihipStream_tbENKUlT_T0_E_clISt17integral_constantIbLb1EES10_IbLb0EEEEDaSW_SX_EUlSW_E_NS1_11comp_targetILNS1_3genE0ELNS1_11target_archE4294967295ELNS1_3gpuE0ELNS1_3repE0EEENS1_30default_config_static_selectorELNS0_4arch9wavefront6targetE1EEEvT1_
	.globl	_ZN7rocprim17ROCPRIM_400000_NS6detail17trampoline_kernelINS0_14default_configENS1_29reduce_by_key_config_selectorIttN6thrust23THRUST_200600_302600_NS4plusItEEEEZZNS1_33reduce_by_key_impl_wrapped_configILNS1_25lookback_scan_determinismE0ES3_S9_NS6_6detail15normal_iteratorINS6_10device_ptrItEEEESG_SG_SG_PmS8_22is_equal_div_10_reduceItEEE10hipError_tPvRmT2_T3_mT4_T5_T6_T7_T8_P12ihipStream_tbENKUlT_T0_E_clISt17integral_constantIbLb1EES10_IbLb0EEEEDaSW_SX_EUlSW_E_NS1_11comp_targetILNS1_3genE0ELNS1_11target_archE4294967295ELNS1_3gpuE0ELNS1_3repE0EEENS1_30default_config_static_selectorELNS0_4arch9wavefront6targetE1EEEvT1_
	.p2align	8
	.type	_ZN7rocprim17ROCPRIM_400000_NS6detail17trampoline_kernelINS0_14default_configENS1_29reduce_by_key_config_selectorIttN6thrust23THRUST_200600_302600_NS4plusItEEEEZZNS1_33reduce_by_key_impl_wrapped_configILNS1_25lookback_scan_determinismE0ES3_S9_NS6_6detail15normal_iteratorINS6_10device_ptrItEEEESG_SG_SG_PmS8_22is_equal_div_10_reduceItEEE10hipError_tPvRmT2_T3_mT4_T5_T6_T7_T8_P12ihipStream_tbENKUlT_T0_E_clISt17integral_constantIbLb1EES10_IbLb0EEEEDaSW_SX_EUlSW_E_NS1_11comp_targetILNS1_3genE0ELNS1_11target_archE4294967295ELNS1_3gpuE0ELNS1_3repE0EEENS1_30default_config_static_selectorELNS0_4arch9wavefront6targetE1EEEvT1_,@function
_ZN7rocprim17ROCPRIM_400000_NS6detail17trampoline_kernelINS0_14default_configENS1_29reduce_by_key_config_selectorIttN6thrust23THRUST_200600_302600_NS4plusItEEEEZZNS1_33reduce_by_key_impl_wrapped_configILNS1_25lookback_scan_determinismE0ES3_S9_NS6_6detail15normal_iteratorINS6_10device_ptrItEEEESG_SG_SG_PmS8_22is_equal_div_10_reduceItEEE10hipError_tPvRmT2_T3_mT4_T5_T6_T7_T8_P12ihipStream_tbENKUlT_T0_E_clISt17integral_constantIbLb1EES10_IbLb0EEEEDaSW_SX_EUlSW_E_NS1_11comp_targetILNS1_3genE0ELNS1_11target_archE4294967295ELNS1_3gpuE0ELNS1_3repE0EEENS1_30default_config_static_selectorELNS0_4arch9wavefront6targetE1EEEvT1_: ; @_ZN7rocprim17ROCPRIM_400000_NS6detail17trampoline_kernelINS0_14default_configENS1_29reduce_by_key_config_selectorIttN6thrust23THRUST_200600_302600_NS4plusItEEEEZZNS1_33reduce_by_key_impl_wrapped_configILNS1_25lookback_scan_determinismE0ES3_S9_NS6_6detail15normal_iteratorINS6_10device_ptrItEEEESG_SG_SG_PmS8_22is_equal_div_10_reduceItEEE10hipError_tPvRmT2_T3_mT4_T5_T6_T7_T8_P12ihipStream_tbENKUlT_T0_E_clISt17integral_constantIbLb1EES10_IbLb0EEEEDaSW_SX_EUlSW_E_NS1_11comp_targetILNS1_3genE0ELNS1_11target_archE4294967295ELNS1_3gpuE0ELNS1_3repE0EEENS1_30default_config_static_selectorELNS0_4arch9wavefront6targetE1EEEvT1_
; %bb.0:
	.section	.rodata,"a",@progbits
	.p2align	6, 0x0
	.amdhsa_kernel _ZN7rocprim17ROCPRIM_400000_NS6detail17trampoline_kernelINS0_14default_configENS1_29reduce_by_key_config_selectorIttN6thrust23THRUST_200600_302600_NS4plusItEEEEZZNS1_33reduce_by_key_impl_wrapped_configILNS1_25lookback_scan_determinismE0ES3_S9_NS6_6detail15normal_iteratorINS6_10device_ptrItEEEESG_SG_SG_PmS8_22is_equal_div_10_reduceItEEE10hipError_tPvRmT2_T3_mT4_T5_T6_T7_T8_P12ihipStream_tbENKUlT_T0_E_clISt17integral_constantIbLb1EES10_IbLb0EEEEDaSW_SX_EUlSW_E_NS1_11comp_targetILNS1_3genE0ELNS1_11target_archE4294967295ELNS1_3gpuE0ELNS1_3repE0EEENS1_30default_config_static_selectorELNS0_4arch9wavefront6targetE1EEEvT1_
		.amdhsa_group_segment_fixed_size 0
		.amdhsa_private_segment_fixed_size 0
		.amdhsa_kernarg_size 120
		.amdhsa_user_sgpr_count 6
		.amdhsa_user_sgpr_private_segment_buffer 1
		.amdhsa_user_sgpr_dispatch_ptr 0
		.amdhsa_user_sgpr_queue_ptr 0
		.amdhsa_user_sgpr_kernarg_segment_ptr 1
		.amdhsa_user_sgpr_dispatch_id 0
		.amdhsa_user_sgpr_flat_scratch_init 0
		.amdhsa_user_sgpr_kernarg_preload_length 0
		.amdhsa_user_sgpr_kernarg_preload_offset 0
		.amdhsa_user_sgpr_private_segment_size 0
		.amdhsa_uses_dynamic_stack 0
		.amdhsa_system_sgpr_private_segment_wavefront_offset 0
		.amdhsa_system_sgpr_workgroup_id_x 1
		.amdhsa_system_sgpr_workgroup_id_y 0
		.amdhsa_system_sgpr_workgroup_id_z 0
		.amdhsa_system_sgpr_workgroup_info 0
		.amdhsa_system_vgpr_workitem_id 0
		.amdhsa_next_free_vgpr 1
		.amdhsa_next_free_sgpr 0
		.amdhsa_accum_offset 4
		.amdhsa_reserve_vcc 0
		.amdhsa_reserve_flat_scratch 0
		.amdhsa_float_round_mode_32 0
		.amdhsa_float_round_mode_16_64 0
		.amdhsa_float_denorm_mode_32 3
		.amdhsa_float_denorm_mode_16_64 3
		.amdhsa_dx10_clamp 1
		.amdhsa_ieee_mode 1
		.amdhsa_fp16_overflow 0
		.amdhsa_tg_split 0
		.amdhsa_exception_fp_ieee_invalid_op 0
		.amdhsa_exception_fp_denorm_src 0
		.amdhsa_exception_fp_ieee_div_zero 0
		.amdhsa_exception_fp_ieee_overflow 0
		.amdhsa_exception_fp_ieee_underflow 0
		.amdhsa_exception_fp_ieee_inexact 0
		.amdhsa_exception_int_div_zero 0
	.end_amdhsa_kernel
	.section	.text._ZN7rocprim17ROCPRIM_400000_NS6detail17trampoline_kernelINS0_14default_configENS1_29reduce_by_key_config_selectorIttN6thrust23THRUST_200600_302600_NS4plusItEEEEZZNS1_33reduce_by_key_impl_wrapped_configILNS1_25lookback_scan_determinismE0ES3_S9_NS6_6detail15normal_iteratorINS6_10device_ptrItEEEESG_SG_SG_PmS8_22is_equal_div_10_reduceItEEE10hipError_tPvRmT2_T3_mT4_T5_T6_T7_T8_P12ihipStream_tbENKUlT_T0_E_clISt17integral_constantIbLb1EES10_IbLb0EEEEDaSW_SX_EUlSW_E_NS1_11comp_targetILNS1_3genE0ELNS1_11target_archE4294967295ELNS1_3gpuE0ELNS1_3repE0EEENS1_30default_config_static_selectorELNS0_4arch9wavefront6targetE1EEEvT1_,"axG",@progbits,_ZN7rocprim17ROCPRIM_400000_NS6detail17trampoline_kernelINS0_14default_configENS1_29reduce_by_key_config_selectorIttN6thrust23THRUST_200600_302600_NS4plusItEEEEZZNS1_33reduce_by_key_impl_wrapped_configILNS1_25lookback_scan_determinismE0ES3_S9_NS6_6detail15normal_iteratorINS6_10device_ptrItEEEESG_SG_SG_PmS8_22is_equal_div_10_reduceItEEE10hipError_tPvRmT2_T3_mT4_T5_T6_T7_T8_P12ihipStream_tbENKUlT_T0_E_clISt17integral_constantIbLb1EES10_IbLb0EEEEDaSW_SX_EUlSW_E_NS1_11comp_targetILNS1_3genE0ELNS1_11target_archE4294967295ELNS1_3gpuE0ELNS1_3repE0EEENS1_30default_config_static_selectorELNS0_4arch9wavefront6targetE1EEEvT1_,comdat
.Lfunc_end449:
	.size	_ZN7rocprim17ROCPRIM_400000_NS6detail17trampoline_kernelINS0_14default_configENS1_29reduce_by_key_config_selectorIttN6thrust23THRUST_200600_302600_NS4plusItEEEEZZNS1_33reduce_by_key_impl_wrapped_configILNS1_25lookback_scan_determinismE0ES3_S9_NS6_6detail15normal_iteratorINS6_10device_ptrItEEEESG_SG_SG_PmS8_22is_equal_div_10_reduceItEEE10hipError_tPvRmT2_T3_mT4_T5_T6_T7_T8_P12ihipStream_tbENKUlT_T0_E_clISt17integral_constantIbLb1EES10_IbLb0EEEEDaSW_SX_EUlSW_E_NS1_11comp_targetILNS1_3genE0ELNS1_11target_archE4294967295ELNS1_3gpuE0ELNS1_3repE0EEENS1_30default_config_static_selectorELNS0_4arch9wavefront6targetE1EEEvT1_, .Lfunc_end449-_ZN7rocprim17ROCPRIM_400000_NS6detail17trampoline_kernelINS0_14default_configENS1_29reduce_by_key_config_selectorIttN6thrust23THRUST_200600_302600_NS4plusItEEEEZZNS1_33reduce_by_key_impl_wrapped_configILNS1_25lookback_scan_determinismE0ES3_S9_NS6_6detail15normal_iteratorINS6_10device_ptrItEEEESG_SG_SG_PmS8_22is_equal_div_10_reduceItEEE10hipError_tPvRmT2_T3_mT4_T5_T6_T7_T8_P12ihipStream_tbENKUlT_T0_E_clISt17integral_constantIbLb1EES10_IbLb0EEEEDaSW_SX_EUlSW_E_NS1_11comp_targetILNS1_3genE0ELNS1_11target_archE4294967295ELNS1_3gpuE0ELNS1_3repE0EEENS1_30default_config_static_selectorELNS0_4arch9wavefront6targetE1EEEvT1_
                                        ; -- End function
	.section	.AMDGPU.csdata,"",@progbits
; Kernel info:
; codeLenInByte = 0
; NumSgprs: 4
; NumVgprs: 0
; NumAgprs: 0
; TotalNumVgprs: 0
; ScratchSize: 0
; MemoryBound: 0
; FloatMode: 240
; IeeeMode: 1
; LDSByteSize: 0 bytes/workgroup (compile time only)
; SGPRBlocks: 0
; VGPRBlocks: 0
; NumSGPRsForWavesPerEU: 4
; NumVGPRsForWavesPerEU: 1
; AccumOffset: 4
; Occupancy: 8
; WaveLimiterHint : 0
; COMPUTE_PGM_RSRC2:SCRATCH_EN: 0
; COMPUTE_PGM_RSRC2:USER_SGPR: 6
; COMPUTE_PGM_RSRC2:TRAP_HANDLER: 0
; COMPUTE_PGM_RSRC2:TGID_X_EN: 1
; COMPUTE_PGM_RSRC2:TGID_Y_EN: 0
; COMPUTE_PGM_RSRC2:TGID_Z_EN: 0
; COMPUTE_PGM_RSRC2:TIDIG_COMP_CNT: 0
; COMPUTE_PGM_RSRC3_GFX90A:ACCUM_OFFSET: 0
; COMPUTE_PGM_RSRC3_GFX90A:TG_SPLIT: 0
	.section	.text._ZN7rocprim17ROCPRIM_400000_NS6detail17trampoline_kernelINS0_14default_configENS1_29reduce_by_key_config_selectorIttN6thrust23THRUST_200600_302600_NS4plusItEEEEZZNS1_33reduce_by_key_impl_wrapped_configILNS1_25lookback_scan_determinismE0ES3_S9_NS6_6detail15normal_iteratorINS6_10device_ptrItEEEESG_SG_SG_PmS8_22is_equal_div_10_reduceItEEE10hipError_tPvRmT2_T3_mT4_T5_T6_T7_T8_P12ihipStream_tbENKUlT_T0_E_clISt17integral_constantIbLb1EES10_IbLb0EEEEDaSW_SX_EUlSW_E_NS1_11comp_targetILNS1_3genE5ELNS1_11target_archE942ELNS1_3gpuE9ELNS1_3repE0EEENS1_30default_config_static_selectorELNS0_4arch9wavefront6targetE1EEEvT1_,"axG",@progbits,_ZN7rocprim17ROCPRIM_400000_NS6detail17trampoline_kernelINS0_14default_configENS1_29reduce_by_key_config_selectorIttN6thrust23THRUST_200600_302600_NS4plusItEEEEZZNS1_33reduce_by_key_impl_wrapped_configILNS1_25lookback_scan_determinismE0ES3_S9_NS6_6detail15normal_iteratorINS6_10device_ptrItEEEESG_SG_SG_PmS8_22is_equal_div_10_reduceItEEE10hipError_tPvRmT2_T3_mT4_T5_T6_T7_T8_P12ihipStream_tbENKUlT_T0_E_clISt17integral_constantIbLb1EES10_IbLb0EEEEDaSW_SX_EUlSW_E_NS1_11comp_targetILNS1_3genE5ELNS1_11target_archE942ELNS1_3gpuE9ELNS1_3repE0EEENS1_30default_config_static_selectorELNS0_4arch9wavefront6targetE1EEEvT1_,comdat
	.protected	_ZN7rocprim17ROCPRIM_400000_NS6detail17trampoline_kernelINS0_14default_configENS1_29reduce_by_key_config_selectorIttN6thrust23THRUST_200600_302600_NS4plusItEEEEZZNS1_33reduce_by_key_impl_wrapped_configILNS1_25lookback_scan_determinismE0ES3_S9_NS6_6detail15normal_iteratorINS6_10device_ptrItEEEESG_SG_SG_PmS8_22is_equal_div_10_reduceItEEE10hipError_tPvRmT2_T3_mT4_T5_T6_T7_T8_P12ihipStream_tbENKUlT_T0_E_clISt17integral_constantIbLb1EES10_IbLb0EEEEDaSW_SX_EUlSW_E_NS1_11comp_targetILNS1_3genE5ELNS1_11target_archE942ELNS1_3gpuE9ELNS1_3repE0EEENS1_30default_config_static_selectorELNS0_4arch9wavefront6targetE1EEEvT1_ ; -- Begin function _ZN7rocprim17ROCPRIM_400000_NS6detail17trampoline_kernelINS0_14default_configENS1_29reduce_by_key_config_selectorIttN6thrust23THRUST_200600_302600_NS4plusItEEEEZZNS1_33reduce_by_key_impl_wrapped_configILNS1_25lookback_scan_determinismE0ES3_S9_NS6_6detail15normal_iteratorINS6_10device_ptrItEEEESG_SG_SG_PmS8_22is_equal_div_10_reduceItEEE10hipError_tPvRmT2_T3_mT4_T5_T6_T7_T8_P12ihipStream_tbENKUlT_T0_E_clISt17integral_constantIbLb1EES10_IbLb0EEEEDaSW_SX_EUlSW_E_NS1_11comp_targetILNS1_3genE5ELNS1_11target_archE942ELNS1_3gpuE9ELNS1_3repE0EEENS1_30default_config_static_selectorELNS0_4arch9wavefront6targetE1EEEvT1_
	.globl	_ZN7rocprim17ROCPRIM_400000_NS6detail17trampoline_kernelINS0_14default_configENS1_29reduce_by_key_config_selectorIttN6thrust23THRUST_200600_302600_NS4plusItEEEEZZNS1_33reduce_by_key_impl_wrapped_configILNS1_25lookback_scan_determinismE0ES3_S9_NS6_6detail15normal_iteratorINS6_10device_ptrItEEEESG_SG_SG_PmS8_22is_equal_div_10_reduceItEEE10hipError_tPvRmT2_T3_mT4_T5_T6_T7_T8_P12ihipStream_tbENKUlT_T0_E_clISt17integral_constantIbLb1EES10_IbLb0EEEEDaSW_SX_EUlSW_E_NS1_11comp_targetILNS1_3genE5ELNS1_11target_archE942ELNS1_3gpuE9ELNS1_3repE0EEENS1_30default_config_static_selectorELNS0_4arch9wavefront6targetE1EEEvT1_
	.p2align	8
	.type	_ZN7rocprim17ROCPRIM_400000_NS6detail17trampoline_kernelINS0_14default_configENS1_29reduce_by_key_config_selectorIttN6thrust23THRUST_200600_302600_NS4plusItEEEEZZNS1_33reduce_by_key_impl_wrapped_configILNS1_25lookback_scan_determinismE0ES3_S9_NS6_6detail15normal_iteratorINS6_10device_ptrItEEEESG_SG_SG_PmS8_22is_equal_div_10_reduceItEEE10hipError_tPvRmT2_T3_mT4_T5_T6_T7_T8_P12ihipStream_tbENKUlT_T0_E_clISt17integral_constantIbLb1EES10_IbLb0EEEEDaSW_SX_EUlSW_E_NS1_11comp_targetILNS1_3genE5ELNS1_11target_archE942ELNS1_3gpuE9ELNS1_3repE0EEENS1_30default_config_static_selectorELNS0_4arch9wavefront6targetE1EEEvT1_,@function
_ZN7rocprim17ROCPRIM_400000_NS6detail17trampoline_kernelINS0_14default_configENS1_29reduce_by_key_config_selectorIttN6thrust23THRUST_200600_302600_NS4plusItEEEEZZNS1_33reduce_by_key_impl_wrapped_configILNS1_25lookback_scan_determinismE0ES3_S9_NS6_6detail15normal_iteratorINS6_10device_ptrItEEEESG_SG_SG_PmS8_22is_equal_div_10_reduceItEEE10hipError_tPvRmT2_T3_mT4_T5_T6_T7_T8_P12ihipStream_tbENKUlT_T0_E_clISt17integral_constantIbLb1EES10_IbLb0EEEEDaSW_SX_EUlSW_E_NS1_11comp_targetILNS1_3genE5ELNS1_11target_archE942ELNS1_3gpuE9ELNS1_3repE0EEENS1_30default_config_static_selectorELNS0_4arch9wavefront6targetE1EEEvT1_: ; @_ZN7rocprim17ROCPRIM_400000_NS6detail17trampoline_kernelINS0_14default_configENS1_29reduce_by_key_config_selectorIttN6thrust23THRUST_200600_302600_NS4plusItEEEEZZNS1_33reduce_by_key_impl_wrapped_configILNS1_25lookback_scan_determinismE0ES3_S9_NS6_6detail15normal_iteratorINS6_10device_ptrItEEEESG_SG_SG_PmS8_22is_equal_div_10_reduceItEEE10hipError_tPvRmT2_T3_mT4_T5_T6_T7_T8_P12ihipStream_tbENKUlT_T0_E_clISt17integral_constantIbLb1EES10_IbLb0EEEEDaSW_SX_EUlSW_E_NS1_11comp_targetILNS1_3genE5ELNS1_11target_archE942ELNS1_3gpuE9ELNS1_3repE0EEENS1_30default_config_static_selectorELNS0_4arch9wavefront6targetE1EEEvT1_
; %bb.0:
	.section	.rodata,"a",@progbits
	.p2align	6, 0x0
	.amdhsa_kernel _ZN7rocprim17ROCPRIM_400000_NS6detail17trampoline_kernelINS0_14default_configENS1_29reduce_by_key_config_selectorIttN6thrust23THRUST_200600_302600_NS4plusItEEEEZZNS1_33reduce_by_key_impl_wrapped_configILNS1_25lookback_scan_determinismE0ES3_S9_NS6_6detail15normal_iteratorINS6_10device_ptrItEEEESG_SG_SG_PmS8_22is_equal_div_10_reduceItEEE10hipError_tPvRmT2_T3_mT4_T5_T6_T7_T8_P12ihipStream_tbENKUlT_T0_E_clISt17integral_constantIbLb1EES10_IbLb0EEEEDaSW_SX_EUlSW_E_NS1_11comp_targetILNS1_3genE5ELNS1_11target_archE942ELNS1_3gpuE9ELNS1_3repE0EEENS1_30default_config_static_selectorELNS0_4arch9wavefront6targetE1EEEvT1_
		.amdhsa_group_segment_fixed_size 0
		.amdhsa_private_segment_fixed_size 0
		.amdhsa_kernarg_size 120
		.amdhsa_user_sgpr_count 6
		.amdhsa_user_sgpr_private_segment_buffer 1
		.amdhsa_user_sgpr_dispatch_ptr 0
		.amdhsa_user_sgpr_queue_ptr 0
		.amdhsa_user_sgpr_kernarg_segment_ptr 1
		.amdhsa_user_sgpr_dispatch_id 0
		.amdhsa_user_sgpr_flat_scratch_init 0
		.amdhsa_user_sgpr_kernarg_preload_length 0
		.amdhsa_user_sgpr_kernarg_preload_offset 0
		.amdhsa_user_sgpr_private_segment_size 0
		.amdhsa_uses_dynamic_stack 0
		.amdhsa_system_sgpr_private_segment_wavefront_offset 0
		.amdhsa_system_sgpr_workgroup_id_x 1
		.amdhsa_system_sgpr_workgroup_id_y 0
		.amdhsa_system_sgpr_workgroup_id_z 0
		.amdhsa_system_sgpr_workgroup_info 0
		.amdhsa_system_vgpr_workitem_id 0
		.amdhsa_next_free_vgpr 1
		.amdhsa_next_free_sgpr 0
		.amdhsa_accum_offset 4
		.amdhsa_reserve_vcc 0
		.amdhsa_reserve_flat_scratch 0
		.amdhsa_float_round_mode_32 0
		.amdhsa_float_round_mode_16_64 0
		.amdhsa_float_denorm_mode_32 3
		.amdhsa_float_denorm_mode_16_64 3
		.amdhsa_dx10_clamp 1
		.amdhsa_ieee_mode 1
		.amdhsa_fp16_overflow 0
		.amdhsa_tg_split 0
		.amdhsa_exception_fp_ieee_invalid_op 0
		.amdhsa_exception_fp_denorm_src 0
		.amdhsa_exception_fp_ieee_div_zero 0
		.amdhsa_exception_fp_ieee_overflow 0
		.amdhsa_exception_fp_ieee_underflow 0
		.amdhsa_exception_fp_ieee_inexact 0
		.amdhsa_exception_int_div_zero 0
	.end_amdhsa_kernel
	.section	.text._ZN7rocprim17ROCPRIM_400000_NS6detail17trampoline_kernelINS0_14default_configENS1_29reduce_by_key_config_selectorIttN6thrust23THRUST_200600_302600_NS4plusItEEEEZZNS1_33reduce_by_key_impl_wrapped_configILNS1_25lookback_scan_determinismE0ES3_S9_NS6_6detail15normal_iteratorINS6_10device_ptrItEEEESG_SG_SG_PmS8_22is_equal_div_10_reduceItEEE10hipError_tPvRmT2_T3_mT4_T5_T6_T7_T8_P12ihipStream_tbENKUlT_T0_E_clISt17integral_constantIbLb1EES10_IbLb0EEEEDaSW_SX_EUlSW_E_NS1_11comp_targetILNS1_3genE5ELNS1_11target_archE942ELNS1_3gpuE9ELNS1_3repE0EEENS1_30default_config_static_selectorELNS0_4arch9wavefront6targetE1EEEvT1_,"axG",@progbits,_ZN7rocprim17ROCPRIM_400000_NS6detail17trampoline_kernelINS0_14default_configENS1_29reduce_by_key_config_selectorIttN6thrust23THRUST_200600_302600_NS4plusItEEEEZZNS1_33reduce_by_key_impl_wrapped_configILNS1_25lookback_scan_determinismE0ES3_S9_NS6_6detail15normal_iteratorINS6_10device_ptrItEEEESG_SG_SG_PmS8_22is_equal_div_10_reduceItEEE10hipError_tPvRmT2_T3_mT4_T5_T6_T7_T8_P12ihipStream_tbENKUlT_T0_E_clISt17integral_constantIbLb1EES10_IbLb0EEEEDaSW_SX_EUlSW_E_NS1_11comp_targetILNS1_3genE5ELNS1_11target_archE942ELNS1_3gpuE9ELNS1_3repE0EEENS1_30default_config_static_selectorELNS0_4arch9wavefront6targetE1EEEvT1_,comdat
.Lfunc_end450:
	.size	_ZN7rocprim17ROCPRIM_400000_NS6detail17trampoline_kernelINS0_14default_configENS1_29reduce_by_key_config_selectorIttN6thrust23THRUST_200600_302600_NS4plusItEEEEZZNS1_33reduce_by_key_impl_wrapped_configILNS1_25lookback_scan_determinismE0ES3_S9_NS6_6detail15normal_iteratorINS6_10device_ptrItEEEESG_SG_SG_PmS8_22is_equal_div_10_reduceItEEE10hipError_tPvRmT2_T3_mT4_T5_T6_T7_T8_P12ihipStream_tbENKUlT_T0_E_clISt17integral_constantIbLb1EES10_IbLb0EEEEDaSW_SX_EUlSW_E_NS1_11comp_targetILNS1_3genE5ELNS1_11target_archE942ELNS1_3gpuE9ELNS1_3repE0EEENS1_30default_config_static_selectorELNS0_4arch9wavefront6targetE1EEEvT1_, .Lfunc_end450-_ZN7rocprim17ROCPRIM_400000_NS6detail17trampoline_kernelINS0_14default_configENS1_29reduce_by_key_config_selectorIttN6thrust23THRUST_200600_302600_NS4plusItEEEEZZNS1_33reduce_by_key_impl_wrapped_configILNS1_25lookback_scan_determinismE0ES3_S9_NS6_6detail15normal_iteratorINS6_10device_ptrItEEEESG_SG_SG_PmS8_22is_equal_div_10_reduceItEEE10hipError_tPvRmT2_T3_mT4_T5_T6_T7_T8_P12ihipStream_tbENKUlT_T0_E_clISt17integral_constantIbLb1EES10_IbLb0EEEEDaSW_SX_EUlSW_E_NS1_11comp_targetILNS1_3genE5ELNS1_11target_archE942ELNS1_3gpuE9ELNS1_3repE0EEENS1_30default_config_static_selectorELNS0_4arch9wavefront6targetE1EEEvT1_
                                        ; -- End function
	.section	.AMDGPU.csdata,"",@progbits
; Kernel info:
; codeLenInByte = 0
; NumSgprs: 4
; NumVgprs: 0
; NumAgprs: 0
; TotalNumVgprs: 0
; ScratchSize: 0
; MemoryBound: 0
; FloatMode: 240
; IeeeMode: 1
; LDSByteSize: 0 bytes/workgroup (compile time only)
; SGPRBlocks: 0
; VGPRBlocks: 0
; NumSGPRsForWavesPerEU: 4
; NumVGPRsForWavesPerEU: 1
; AccumOffset: 4
; Occupancy: 8
; WaveLimiterHint : 0
; COMPUTE_PGM_RSRC2:SCRATCH_EN: 0
; COMPUTE_PGM_RSRC2:USER_SGPR: 6
; COMPUTE_PGM_RSRC2:TRAP_HANDLER: 0
; COMPUTE_PGM_RSRC2:TGID_X_EN: 1
; COMPUTE_PGM_RSRC2:TGID_Y_EN: 0
; COMPUTE_PGM_RSRC2:TGID_Z_EN: 0
; COMPUTE_PGM_RSRC2:TIDIG_COMP_CNT: 0
; COMPUTE_PGM_RSRC3_GFX90A:ACCUM_OFFSET: 0
; COMPUTE_PGM_RSRC3_GFX90A:TG_SPLIT: 0
	.section	.text._ZN7rocprim17ROCPRIM_400000_NS6detail17trampoline_kernelINS0_14default_configENS1_29reduce_by_key_config_selectorIttN6thrust23THRUST_200600_302600_NS4plusItEEEEZZNS1_33reduce_by_key_impl_wrapped_configILNS1_25lookback_scan_determinismE0ES3_S9_NS6_6detail15normal_iteratorINS6_10device_ptrItEEEESG_SG_SG_PmS8_22is_equal_div_10_reduceItEEE10hipError_tPvRmT2_T3_mT4_T5_T6_T7_T8_P12ihipStream_tbENKUlT_T0_E_clISt17integral_constantIbLb1EES10_IbLb0EEEEDaSW_SX_EUlSW_E_NS1_11comp_targetILNS1_3genE4ELNS1_11target_archE910ELNS1_3gpuE8ELNS1_3repE0EEENS1_30default_config_static_selectorELNS0_4arch9wavefront6targetE1EEEvT1_,"axG",@progbits,_ZN7rocprim17ROCPRIM_400000_NS6detail17trampoline_kernelINS0_14default_configENS1_29reduce_by_key_config_selectorIttN6thrust23THRUST_200600_302600_NS4plusItEEEEZZNS1_33reduce_by_key_impl_wrapped_configILNS1_25lookback_scan_determinismE0ES3_S9_NS6_6detail15normal_iteratorINS6_10device_ptrItEEEESG_SG_SG_PmS8_22is_equal_div_10_reduceItEEE10hipError_tPvRmT2_T3_mT4_T5_T6_T7_T8_P12ihipStream_tbENKUlT_T0_E_clISt17integral_constantIbLb1EES10_IbLb0EEEEDaSW_SX_EUlSW_E_NS1_11comp_targetILNS1_3genE4ELNS1_11target_archE910ELNS1_3gpuE8ELNS1_3repE0EEENS1_30default_config_static_selectorELNS0_4arch9wavefront6targetE1EEEvT1_,comdat
	.protected	_ZN7rocprim17ROCPRIM_400000_NS6detail17trampoline_kernelINS0_14default_configENS1_29reduce_by_key_config_selectorIttN6thrust23THRUST_200600_302600_NS4plusItEEEEZZNS1_33reduce_by_key_impl_wrapped_configILNS1_25lookback_scan_determinismE0ES3_S9_NS6_6detail15normal_iteratorINS6_10device_ptrItEEEESG_SG_SG_PmS8_22is_equal_div_10_reduceItEEE10hipError_tPvRmT2_T3_mT4_T5_T6_T7_T8_P12ihipStream_tbENKUlT_T0_E_clISt17integral_constantIbLb1EES10_IbLb0EEEEDaSW_SX_EUlSW_E_NS1_11comp_targetILNS1_3genE4ELNS1_11target_archE910ELNS1_3gpuE8ELNS1_3repE0EEENS1_30default_config_static_selectorELNS0_4arch9wavefront6targetE1EEEvT1_ ; -- Begin function _ZN7rocprim17ROCPRIM_400000_NS6detail17trampoline_kernelINS0_14default_configENS1_29reduce_by_key_config_selectorIttN6thrust23THRUST_200600_302600_NS4plusItEEEEZZNS1_33reduce_by_key_impl_wrapped_configILNS1_25lookback_scan_determinismE0ES3_S9_NS6_6detail15normal_iteratorINS6_10device_ptrItEEEESG_SG_SG_PmS8_22is_equal_div_10_reduceItEEE10hipError_tPvRmT2_T3_mT4_T5_T6_T7_T8_P12ihipStream_tbENKUlT_T0_E_clISt17integral_constantIbLb1EES10_IbLb0EEEEDaSW_SX_EUlSW_E_NS1_11comp_targetILNS1_3genE4ELNS1_11target_archE910ELNS1_3gpuE8ELNS1_3repE0EEENS1_30default_config_static_selectorELNS0_4arch9wavefront6targetE1EEEvT1_
	.globl	_ZN7rocprim17ROCPRIM_400000_NS6detail17trampoline_kernelINS0_14default_configENS1_29reduce_by_key_config_selectorIttN6thrust23THRUST_200600_302600_NS4plusItEEEEZZNS1_33reduce_by_key_impl_wrapped_configILNS1_25lookback_scan_determinismE0ES3_S9_NS6_6detail15normal_iteratorINS6_10device_ptrItEEEESG_SG_SG_PmS8_22is_equal_div_10_reduceItEEE10hipError_tPvRmT2_T3_mT4_T5_T6_T7_T8_P12ihipStream_tbENKUlT_T0_E_clISt17integral_constantIbLb1EES10_IbLb0EEEEDaSW_SX_EUlSW_E_NS1_11comp_targetILNS1_3genE4ELNS1_11target_archE910ELNS1_3gpuE8ELNS1_3repE0EEENS1_30default_config_static_selectorELNS0_4arch9wavefront6targetE1EEEvT1_
	.p2align	8
	.type	_ZN7rocprim17ROCPRIM_400000_NS6detail17trampoline_kernelINS0_14default_configENS1_29reduce_by_key_config_selectorIttN6thrust23THRUST_200600_302600_NS4plusItEEEEZZNS1_33reduce_by_key_impl_wrapped_configILNS1_25lookback_scan_determinismE0ES3_S9_NS6_6detail15normal_iteratorINS6_10device_ptrItEEEESG_SG_SG_PmS8_22is_equal_div_10_reduceItEEE10hipError_tPvRmT2_T3_mT4_T5_T6_T7_T8_P12ihipStream_tbENKUlT_T0_E_clISt17integral_constantIbLb1EES10_IbLb0EEEEDaSW_SX_EUlSW_E_NS1_11comp_targetILNS1_3genE4ELNS1_11target_archE910ELNS1_3gpuE8ELNS1_3repE0EEENS1_30default_config_static_selectorELNS0_4arch9wavefront6targetE1EEEvT1_,@function
_ZN7rocprim17ROCPRIM_400000_NS6detail17trampoline_kernelINS0_14default_configENS1_29reduce_by_key_config_selectorIttN6thrust23THRUST_200600_302600_NS4plusItEEEEZZNS1_33reduce_by_key_impl_wrapped_configILNS1_25lookback_scan_determinismE0ES3_S9_NS6_6detail15normal_iteratorINS6_10device_ptrItEEEESG_SG_SG_PmS8_22is_equal_div_10_reduceItEEE10hipError_tPvRmT2_T3_mT4_T5_T6_T7_T8_P12ihipStream_tbENKUlT_T0_E_clISt17integral_constantIbLb1EES10_IbLb0EEEEDaSW_SX_EUlSW_E_NS1_11comp_targetILNS1_3genE4ELNS1_11target_archE910ELNS1_3gpuE8ELNS1_3repE0EEENS1_30default_config_static_selectorELNS0_4arch9wavefront6targetE1EEEvT1_: ; @_ZN7rocprim17ROCPRIM_400000_NS6detail17trampoline_kernelINS0_14default_configENS1_29reduce_by_key_config_selectorIttN6thrust23THRUST_200600_302600_NS4plusItEEEEZZNS1_33reduce_by_key_impl_wrapped_configILNS1_25lookback_scan_determinismE0ES3_S9_NS6_6detail15normal_iteratorINS6_10device_ptrItEEEESG_SG_SG_PmS8_22is_equal_div_10_reduceItEEE10hipError_tPvRmT2_T3_mT4_T5_T6_T7_T8_P12ihipStream_tbENKUlT_T0_E_clISt17integral_constantIbLb1EES10_IbLb0EEEEDaSW_SX_EUlSW_E_NS1_11comp_targetILNS1_3genE4ELNS1_11target_archE910ELNS1_3gpuE8ELNS1_3repE0EEENS1_30default_config_static_selectorELNS0_4arch9wavefront6targetE1EEEvT1_
; %bb.0:
	s_load_dwordx8 s[36:43], s[4:5], 0x0
	s_load_dwordx4 s[52:55], s[4:5], 0x20
	s_load_dwordx8 s[44:51], s[4:5], 0x38
	s_load_dwordx2 s[60:61], s[4:5], 0x68
	s_load_dwordx4 s[56:59], s[4:5], 0x58
	s_waitcnt lgkmcnt(0)
	s_lshl_b64 s[0:1], s[38:39], 1
	s_add_u32 s2, s36, s0
	s_addc_u32 s3, s37, s1
	s_add_u32 s4, s40, s0
	s_addc_u32 s5, s41, s1
	s_mul_i32 s0, s48, s47
	s_mul_hi_u32 s1, s48, s46
	s_add_i32 s0, s1, s0
	s_mul_i32 s1, s49, s46
	s_add_i32 s8, s0, s1
	s_mul_i32 s0, s6, 0xf00
	s_mov_b32 s1, 0
	s_lshl_b64 s[0:1], s[0:1], 1
	s_add_u32 s7, s2, s0
	s_mul_i32 s9, s48, s46
	s_addc_u32 s48, s3, s1
	s_add_u32 s49, s4, s0
	s_addc_u32 s62, s5, s1
	s_add_u32 s38, s9, s6
	s_addc_u32 s39, s8, 0
	s_add_u32 s2, s50, -1
	s_addc_u32 s3, s51, -1
	s_cmp_eq_u64 s[38:39], s[2:3]
	s_cselect_b64 s[34:35], -1, 0
	s_cmp_lg_u64 s[38:39], s[2:3]
	s_mov_b64 s[0:1], -1
	s_cselect_b64 s[40:41], -1, 0
	s_mul_i32 s33, s2, 0xfffff100
	s_and_b64 vcc, exec, s[34:35]
	s_cbranch_vccnz .LBB451_2
; %bb.1:
	v_lshlrev_b32_e32 v7, 1, v0
	v_mov_b32_e32 v1, s48
	v_add_co_u32_e32 v2, vcc, s7, v7
	v_addc_co_u32_e32 v3, vcc, 0, v1, vcc
	flat_load_ushort v1, v[2:3]
	flat_load_ushort v4, v[2:3] offset:512
	flat_load_ushort v5, v[2:3] offset:1024
	;; [unrolled: 1-line block ×7, first 2 shown]
	v_add_co_u32_e32 v2, vcc, 0x1000, v2
	v_addc_co_u32_e32 v3, vcc, 0, v3, vcc
	flat_load_ushort v17, v[2:3]
	flat_load_ushort v18, v[2:3] offset:512
	flat_load_ushort v19, v[2:3] offset:1024
	;; [unrolled: 1-line block ×6, first 2 shown]
	v_mov_b32_e32 v2, s62
	v_add_co_u32_e32 v8, vcc, s49, v7
	s_movk_i32 s0, 0x1000
	v_addc_co_u32_e32 v9, vcc, 0, v2, vcc
	v_mad_u32_u24 v6, v0, 28, v7
	v_add_co_u32_e32 v10, vcc, s0, v8
	v_addc_co_u32_e32 v11, vcc, 0, v9, vcc
	s_waitcnt vmcnt(0) lgkmcnt(0)
	ds_write_b16 v7, v1
	ds_write_b16 v7, v4 offset:512
	ds_write_b16 v7, v5 offset:1024
	;; [unrolled: 1-line block ×14, first 2 shown]
	s_waitcnt lgkmcnt(0)
	s_barrier
	ds_read_u16 v1, v6
	ds_read_b128 v[2:5], v6 offset:2
	ds_read_b96 v[14:16], v6 offset:18
	s_waitcnt lgkmcnt(0)
	s_barrier
	flat_load_ushort v12, v[8:9]
	flat_load_ushort v13, v[8:9] offset:512
	flat_load_ushort v17, v[8:9] offset:1024
	flat_load_ushort v18, v[8:9] offset:1536
	flat_load_ushort v19, v[8:9] offset:2048
	flat_load_ushort v20, v[8:9] offset:2560
	flat_load_ushort v21, v[8:9] offset:3072
	flat_load_ushort v22, v[8:9] offset:3584
	flat_load_ushort v23, v[10:11]
	flat_load_ushort v24, v[10:11] offset:512
	flat_load_ushort v25, v[10:11] offset:1024
	;; [unrolled: 1-line block ×6, first 2 shown]
	v_mul_u32_u24_e32 v9, 15, v0
	s_waitcnt vmcnt(0) lgkmcnt(0)
	ds_write_b16 v7, v12
	ds_write_b16 v7, v13 offset:512
	ds_write_b16 v7, v17 offset:1024
	;; [unrolled: 1-line block ×14, first 2 shown]
	s_waitcnt lgkmcnt(0)
	s_barrier
	s_add_i32 s33, s33, s56
	s_cbranch_execz .LBB451_3
	s_branch .LBB451_50
.LBB451_2:
                                        ; implicit-def: $vgpr2
                                        ; implicit-def: $vgpr14
                                        ; implicit-def: $vgpr9
                                        ; implicit-def: $vgpr6
                                        ; implicit-def: $vgpr1
	s_andn2_b64 vcc, exec, s[0:1]
	s_add_i32 s33, s33, s56
	s_cbranch_vccnz .LBB451_50
.LBB451_3:
	v_cmp_gt_u32_e32 vcc, s33, v0
                                        ; implicit-def: $vgpr1
	s_and_saveexec_b64 s[2:3], vcc
	s_cbranch_execz .LBB451_5
; %bb.4:
	v_lshlrev_b32_e32 v1, 1, v0
	v_mov_b32_e32 v3, s48
	v_add_co_u32_e64 v2, s[0:1], s7, v1
	v_addc_co_u32_e64 v3, s[0:1], 0, v3, s[0:1]
	flat_load_ushort v1, v[2:3]
.LBB451_5:
	s_or_b64 exec, exec, s[2:3]
	v_or_b32_e32 v2, 0x100, v0
	v_cmp_gt_u32_e64 s[0:1], s33, v2
                                        ; implicit-def: $vgpr2
	s_and_saveexec_b64 s[4:5], s[0:1]
	s_cbranch_execz .LBB451_7
; %bb.6:
	v_lshlrev_b32_e32 v2, 1, v0
	v_mov_b32_e32 v3, s48
	v_add_co_u32_e64 v2, s[2:3], s7, v2
	v_addc_co_u32_e64 v3, s[2:3], 0, v3, s[2:3]
	flat_load_ushort v2, v[2:3] offset:512
.LBB451_7:
	s_or_b64 exec, exec, s[4:5]
	v_or_b32_e32 v3, 0x200, v0
	v_cmp_gt_u32_e64 s[2:3], s33, v3
                                        ; implicit-def: $vgpr3
	s_and_saveexec_b64 s[8:9], s[2:3]
	s_cbranch_execz .LBB451_9
; %bb.8:
	v_lshlrev_b32_e32 v3, 1, v0
	v_mov_b32_e32 v5, s48
	v_add_co_u32_e64 v4, s[4:5], s7, v3
	v_addc_co_u32_e64 v5, s[4:5], 0, v5, s[4:5]
	flat_load_ushort v3, v[4:5] offset:1024
.LBB451_9:
	s_or_b64 exec, exec, s[8:9]
	v_or_b32_e32 v4, 0x300, v0
	v_cmp_gt_u32_e64 s[4:5], s33, v4
                                        ; implicit-def: $vgpr4
	s_and_saveexec_b64 s[10:11], s[4:5]
	s_cbranch_execz .LBB451_11
; %bb.10:
	v_lshlrev_b32_e32 v4, 1, v0
	v_mov_b32_e32 v5, s48
	v_add_co_u32_e64 v4, s[8:9], s7, v4
	v_addc_co_u32_e64 v5, s[8:9], 0, v5, s[8:9]
	flat_load_ushort v4, v[4:5] offset:1536
.LBB451_11:
	s_or_b64 exec, exec, s[10:11]
	v_or_b32_e32 v5, 0x400, v0
	v_cmp_gt_u32_e64 s[28:29], s33, v5
                                        ; implicit-def: $vgpr5
	s_and_saveexec_b64 s[10:11], s[28:29]
	s_cbranch_execz .LBB451_13
; %bb.12:
	v_lshlrev_b32_e32 v5, 1, v0
	v_mov_b32_e32 v7, s48
	v_add_co_u32_e64 v6, s[8:9], s7, v5
	v_addc_co_u32_e64 v7, s[8:9], 0, v7, s[8:9]
	flat_load_ushort v5, v[6:7] offset:2048
.LBB451_13:
	s_or_b64 exec, exec, s[10:11]
	v_or_b32_e32 v6, 0x500, v0
	v_cmp_gt_u32_e64 s[8:9], s33, v6
                                        ; implicit-def: $vgpr6
	s_and_saveexec_b64 s[12:13], s[8:9]
	s_cbranch_execz .LBB451_15
; %bb.14:
	v_lshlrev_b32_e32 v6, 1, v0
	v_mov_b32_e32 v7, s48
	v_add_co_u32_e64 v6, s[10:11], s7, v6
	v_addc_co_u32_e64 v7, s[10:11], 0, v7, s[10:11]
	flat_load_ushort v6, v[6:7] offset:2560
.LBB451_15:
	s_or_b64 exec, exec, s[12:13]
	v_or_b32_e32 v7, 0x600, v0
	v_cmp_gt_u32_e64 s[10:11], s33, v7
                                        ; implicit-def: $vgpr14
	s_and_saveexec_b64 s[14:15], s[10:11]
	s_cbranch_execz .LBB451_17
; %bb.16:
	v_lshlrev_b32_e32 v7, 1, v0
	v_mov_b32_e32 v9, s48
	v_add_co_u32_e64 v8, s[12:13], s7, v7
	v_addc_co_u32_e64 v9, s[12:13], 0, v9, s[12:13]
	flat_load_ushort v14, v[8:9] offset:3072
.LBB451_17:
	s_or_b64 exec, exec, s[14:15]
	v_or_b32_e32 v7, 0x700, v0
	v_cmp_gt_u32_e64 s[12:13], s33, v7
                                        ; implicit-def: $vgpr15
	s_and_saveexec_b64 s[16:17], s[12:13]
	s_cbranch_execz .LBB451_19
; %bb.18:
	v_lshlrev_b32_e32 v7, 1, v0
	v_mov_b32_e32 v9, s48
	v_add_co_u32_e64 v8, s[14:15], s7, v7
	v_addc_co_u32_e64 v9, s[14:15], 0, v9, s[14:15]
	flat_load_ushort v15, v[8:9] offset:3584
.LBB451_19:
	s_or_b64 exec, exec, s[16:17]
	v_or_b32_e32 v8, 0x800, v0
	v_cmp_gt_u32_e64 s[14:15], s33, v8
                                        ; implicit-def: $vgpr16
	s_and_saveexec_b64 s[18:19], s[14:15]
	s_cbranch_execz .LBB451_21
; %bb.20:
	v_lshlrev_b32_e32 v7, 1, v8
	v_mov_b32_e32 v9, s48
	v_add_co_u32_e64 v10, s[16:17], s7, v7
	v_addc_co_u32_e64 v11, s[16:17], 0, v9, s[16:17]
	flat_load_ushort v16, v[10:11]
.LBB451_21:
	s_or_b64 exec, exec, s[18:19]
	v_or_b32_e32 v9, 0x900, v0
	v_cmp_gt_u32_e64 s[16:17], s33, v9
                                        ; implicit-def: $vgpr18
	s_and_saveexec_b64 s[20:21], s[16:17]
	s_cbranch_execz .LBB451_23
; %bb.22:
	v_lshlrev_b32_e32 v7, 1, v9
	v_mov_b32_e32 v11, s48
	v_add_co_u32_e64 v10, s[18:19], s7, v7
	v_addc_co_u32_e64 v11, s[18:19], 0, v11, s[18:19]
	flat_load_ushort v18, v[10:11]
.LBB451_23:
	s_or_b64 exec, exec, s[20:21]
	v_or_b32_e32 v10, 0xa00, v0
	v_cmp_gt_u32_e64 s[18:19], s33, v10
                                        ; implicit-def: $vgpr19
	s_and_saveexec_b64 s[22:23], s[18:19]
	s_cbranch_execz .LBB451_25
; %bb.24:
	v_lshlrev_b32_e32 v7, 1, v10
	v_mov_b32_e32 v11, s48
	v_add_co_u32_e64 v12, s[20:21], s7, v7
	v_addc_co_u32_e64 v13, s[20:21], 0, v11, s[20:21]
	flat_load_ushort v19, v[12:13]
.LBB451_25:
	s_or_b64 exec, exec, s[22:23]
	v_or_b32_e32 v11, 0xb00, v0
	v_cmp_gt_u32_e64 s[20:21], s33, v11
                                        ; implicit-def: $vgpr20
	s_and_saveexec_b64 s[24:25], s[20:21]
	s_cbranch_execz .LBB451_27
; %bb.26:
	v_lshlrev_b32_e32 v7, 1, v11
	v_mov_b32_e32 v13, s48
	v_add_co_u32_e64 v12, s[22:23], s7, v7
	v_addc_co_u32_e64 v13, s[22:23], 0, v13, s[22:23]
	flat_load_ushort v20, v[12:13]
.LBB451_27:
	s_or_b64 exec, exec, s[24:25]
	v_or_b32_e32 v12, 0xc00, v0
	v_cmp_gt_u32_e64 s[22:23], s33, v12
                                        ; implicit-def: $vgpr21
	s_and_saveexec_b64 s[26:27], s[22:23]
	s_cbranch_execz .LBB451_29
; %bb.28:
	v_lshlrev_b32_e32 v7, 1, v12
	v_mov_b32_e32 v13, s48
	v_add_co_u32_e64 v22, s[24:25], s7, v7
	v_addc_co_u32_e64 v23, s[24:25], 0, v13, s[24:25]
	flat_load_ushort v21, v[22:23]
.LBB451_29:
	s_or_b64 exec, exec, s[26:27]
	v_or_b32_e32 v13, 0xd00, v0
	v_cmp_gt_u32_e64 s[24:25], s33, v13
                                        ; implicit-def: $vgpr22
	s_and_saveexec_b64 s[30:31], s[24:25]
	s_cbranch_execz .LBB451_31
; %bb.30:
	v_lshlrev_b32_e32 v7, 1, v13
	v_mov_b32_e32 v17, s48
	v_add_co_u32_e64 v22, s[26:27], s7, v7
	v_addc_co_u32_e64 v23, s[26:27], 0, v17, s[26:27]
	flat_load_ushort v22, v[22:23]
.LBB451_31:
	s_or_b64 exec, exec, s[30:31]
	v_or_b32_e32 v17, 0xe00, v0
	v_cmp_gt_u32_e64 s[26:27], s33, v17
                                        ; implicit-def: $vgpr23
	s_and_saveexec_b64 s[36:37], s[26:27]
	s_cbranch_execz .LBB451_33
; %bb.32:
	v_lshlrev_b32_e32 v7, 1, v17
	v_mov_b32_e32 v23, s48
	v_add_co_u32_e64 v24, s[30:31], s7, v7
	v_addc_co_u32_e64 v25, s[30:31], 0, v23, s[30:31]
	flat_load_ushort v23, v[24:25]
.LBB451_33:
	s_or_b64 exec, exec, s[36:37]
	v_lshlrev_b32_e32 v7, 1, v0
	s_waitcnt vmcnt(0) lgkmcnt(0)
	ds_write_b16 v7, v1
	ds_write_b16 v7, v2 offset:512
	ds_write_b16 v7, v3 offset:1024
	;; [unrolled: 1-line block ×14, first 2 shown]
	v_mad_u32_u24 v6, v0, 28, v7
	s_waitcnt lgkmcnt(0)
	s_barrier
	ds_read_u16 v1, v6
	ds_read_b128 v[2:5], v6 offset:2
	ds_read_b96 v[14:16], v6 offset:18
	s_waitcnt lgkmcnt(0)
	s_barrier
	s_waitcnt lgkmcnt(0)
                                        ; implicit-def: $vgpr18
	s_and_saveexec_b64 s[30:31], vcc
	s_cbranch_execnz .LBB451_57
; %bb.34:
	s_or_b64 exec, exec, s[30:31]
                                        ; implicit-def: $vgpr19
	s_and_saveexec_b64 s[30:31], s[0:1]
	s_cbranch_execnz .LBB451_58
.LBB451_35:
	s_or_b64 exec, exec, s[30:31]
                                        ; implicit-def: $vgpr20
	s_and_saveexec_b64 s[0:1], s[2:3]
	s_cbranch_execnz .LBB451_59
.LBB451_36:
	s_or_b64 exec, exec, s[0:1]
                                        ; implicit-def: $vgpr21
	s_and_saveexec_b64 s[0:1], s[4:5]
	s_cbranch_execnz .LBB451_60
.LBB451_37:
	s_or_b64 exec, exec, s[0:1]
                                        ; implicit-def: $vgpr22
	s_and_saveexec_b64 s[0:1], s[28:29]
	s_cbranch_execnz .LBB451_61
.LBB451_38:
	s_or_b64 exec, exec, s[0:1]
                                        ; implicit-def: $vgpr23
	s_and_saveexec_b64 s[0:1], s[8:9]
	s_cbranch_execnz .LBB451_62
.LBB451_39:
	s_or_b64 exec, exec, s[0:1]
                                        ; implicit-def: $vgpr24
	s_and_saveexec_b64 s[0:1], s[10:11]
	s_cbranch_execnz .LBB451_63
.LBB451_40:
	s_or_b64 exec, exec, s[0:1]
                                        ; implicit-def: $vgpr25
	s_and_saveexec_b64 s[0:1], s[12:13]
	s_cbranch_execnz .LBB451_64
.LBB451_41:
	s_or_b64 exec, exec, s[0:1]
                                        ; implicit-def: $vgpr26
	s_and_saveexec_b64 s[0:1], s[14:15]
	s_cbranch_execnz .LBB451_65
.LBB451_42:
	s_or_b64 exec, exec, s[0:1]
                                        ; implicit-def: $vgpr8
	s_and_saveexec_b64 s[0:1], s[16:17]
	s_cbranch_execnz .LBB451_66
.LBB451_43:
	s_or_b64 exec, exec, s[0:1]
                                        ; implicit-def: $vgpr27
	s_and_saveexec_b64 s[0:1], s[18:19]
	s_cbranch_execnz .LBB451_67
.LBB451_44:
	s_or_b64 exec, exec, s[0:1]
                                        ; implicit-def: $vgpr10
	s_and_saveexec_b64 s[0:1], s[20:21]
	s_cbranch_execnz .LBB451_68
.LBB451_45:
	s_or_b64 exec, exec, s[0:1]
                                        ; implicit-def: $vgpr11
	s_and_saveexec_b64 s[0:1], s[22:23]
	s_cbranch_execnz .LBB451_69
.LBB451_46:
	s_or_b64 exec, exec, s[0:1]
                                        ; implicit-def: $vgpr12
	s_and_saveexec_b64 s[0:1], s[24:25]
	s_cbranch_execnz .LBB451_70
.LBB451_47:
	s_or_b64 exec, exec, s[0:1]
                                        ; implicit-def: $vgpr13
	s_and_saveexec_b64 s[0:1], s[26:27]
	s_cbranch_execz .LBB451_49
.LBB451_48:
	v_lshlrev_b32_e32 v9, 1, v17
	v_mov_b32_e32 v13, s62
	v_add_co_u32_e32 v28, vcc, s49, v9
	v_addc_co_u32_e32 v29, vcc, 0, v13, vcc
	flat_load_ushort v13, v[28:29]
.LBB451_49:
	s_or_b64 exec, exec, s[0:1]
	v_mul_u32_u24_e32 v9, 15, v0
	s_waitcnt vmcnt(0) lgkmcnt(0)
	ds_write_b16 v7, v18
	ds_write_b16 v7, v19 offset:512
	ds_write_b16 v7, v20 offset:1024
	;; [unrolled: 1-line block ×14, first 2 shown]
	s_waitcnt lgkmcnt(0)
	s_barrier
.LBB451_50:
	v_lshlrev_b32_e32 v7, 1, v9
	ds_read_u16 v76, v6
	ds_read_u16 v75, v6 offset:2
	ds_read_u16 v73, v6 offset:6
	;; [unrolled: 1-line block ×14, first 2 shown]
	s_cmp_eq_u64 s[38:39], 0
	s_cselect_b64 s[36:37], -1, 0
	s_cmp_lg_u64 s[38:39], 0
	s_mov_b64 s[0:1], 0
	s_cselect_b64 s[30:31], -1, 0
	s_and_b64 vcc, exec, s[40:41]
	s_waitcnt lgkmcnt(0)
	s_barrier
	s_cbranch_vccz .LBB451_56
; %bb.51:
	s_and_b64 vcc, exec, s[30:31]
	s_cbranch_vccz .LBB451_71
; %bb.52:
	v_mov_b32_e32 v7, s48
	v_add_co_u32_e64 v6, vcc, -2, s7
	v_addc_co_u32_e32 v7, vcc, -1, v7, vcc
	flat_load_ushort v6, v[6:7]
	v_lshlrev_b32_e32 v7, 1, v0
	v_lshrrev_b32_e32 v8, 16, v16
	s_mov_b32 s49, 0xcccd
	ds_write_b16 v7, v8
	v_mul_u32_u24_sdwa v9, v16, s49 dst_sel:DWORD dst_unused:UNUSED_PAD src0_sel:WORD_0 src1_sel:DWORD
	v_mul_u32_u24_e32 v8, 0xcccd, v8
	v_lshrrev_b32_e32 v9, 19, v9
	v_lshrrev_b32_e32 v8, 19, v8
	v_cmp_ne_u16_e32 vcc, v9, v8
	v_mul_u32_u24_sdwa v8, v15, s49 dst_sel:DWORD dst_unused:UNUSED_PAD src0_sel:WORD_1 src1_sel:DWORD
	v_lshrrev_b32_e32 v8, 19, v8
	v_cmp_ne_u16_e64 s[0:1], v8, v9
	v_mul_u32_u24_sdwa v9, v15, s49 dst_sel:DWORD dst_unused:UNUSED_PAD src0_sel:WORD_0 src1_sel:DWORD
	v_lshrrev_b32_e32 v9, 19, v9
	v_cmp_ne_u16_e64 s[2:3], v9, v8
	v_mul_u32_u24_sdwa v8, v14, s49 dst_sel:DWORD dst_unused:UNUSED_PAD src0_sel:WORD_1 src1_sel:DWORD
	v_lshrrev_b32_e32 v8, 19, v8
	v_cmp_ne_u16_e64 s[4:5], v8, v9
	v_mul_u32_u24_sdwa v9, v14, s49 dst_sel:DWORD dst_unused:UNUSED_PAD src0_sel:WORD_0 src1_sel:DWORD
	v_lshrrev_b32_e32 v9, 19, v9
	v_cmp_ne_u16_e64 s[26:27], v9, v8
	;; [unrolled: 6-line block ×6, first 2 shown]
	v_mul_u32_u24_sdwa v8, v1, s49 dst_sel:DWORD dst_unused:UNUSED_PAD src0_sel:WORD_0 src1_sel:DWORD
	v_lshrrev_b32_e32 v8, 19, v8
	v_cmp_ne_u16_e64 s[24:25], v8, v9
	v_cmp_ne_u32_e64 s[28:29], 0, v0
	s_waitcnt lgkmcnt(0)
	s_barrier
	s_and_saveexec_b64 s[40:41], s[28:29]
	s_cbranch_execz .LBB451_54
; %bb.53:
	s_waitcnt vmcnt(0)
	v_add_u32_e32 v6, -2, v7
	ds_read_u16 v6, v6
.LBB451_54:
	s_or_b64 exec, exec, s[40:41]
	s_waitcnt vmcnt(0) lgkmcnt(0)
	v_mul_u32_u24_sdwa v6, v6, s49 dst_sel:DWORD dst_unused:UNUSED_PAD src0_sel:WORD_0 src1_sel:DWORD
	v_lshrrev_b32_e32 v6, 19, v6
	v_cndmask_b32_e64 v17, 0, 1, vcc
	v_cndmask_b32_e64 v19, 0, 1, s[0:1]
	v_cndmask_b32_e64 v18, 0, 1, s[2:3]
	;; [unrolled: 1-line block ×13, first 2 shown]
	v_cmp_ne_u16_e64 s[4:5], v6, v8
	s_mov_b64 s[0:1], -1
.LBB451_55:
                                        ; implicit-def: $sgpr8
	s_branch .LBB451_110
.LBB451_56:
                                        ; implicit-def: $sgpr4_sgpr5
                                        ; implicit-def: $vgpr17
                                        ; implicit-def: $vgpr19
                                        ; implicit-def: $vgpr18
                                        ; implicit-def: $vgpr21
                                        ; implicit-def: $vgpr20
                                        ; implicit-def: $vgpr23
                                        ; implicit-def: $vgpr22
                                        ; implicit-def: $vgpr25
                                        ; implicit-def: $vgpr24
                                        ; implicit-def: $vgpr27
                                        ; implicit-def: $vgpr26
                                        ; implicit-def: $vgpr29
                                        ; implicit-def: $vgpr28
                                        ; implicit-def: $vgpr31
                                        ; implicit-def: $sgpr8
	s_cbranch_execnz .LBB451_75
	s_branch .LBB451_110
.LBB451_57:
	v_mov_b32_e32 v19, s62
	v_add_co_u32_e32 v18, vcc, s49, v7
	v_addc_co_u32_e32 v19, vcc, 0, v19, vcc
	flat_load_ushort v18, v[18:19]
	s_or_b64 exec, exec, s[30:31]
                                        ; implicit-def: $vgpr19
	s_and_saveexec_b64 s[30:31], s[0:1]
	s_cbranch_execz .LBB451_35
.LBB451_58:
	v_mov_b32_e32 v19, s62
	v_add_co_u32_e32 v20, vcc, s49, v7
	v_addc_co_u32_e32 v21, vcc, 0, v19, vcc
	flat_load_ushort v19, v[20:21] offset:512
	s_or_b64 exec, exec, s[30:31]
                                        ; implicit-def: $vgpr20
	s_and_saveexec_b64 s[0:1], s[2:3]
	s_cbranch_execz .LBB451_36
.LBB451_59:
	v_mov_b32_e32 v21, s62
	v_add_co_u32_e32 v20, vcc, s49, v7
	v_addc_co_u32_e32 v21, vcc, 0, v21, vcc
	flat_load_ushort v20, v[20:21] offset:1024
	s_or_b64 exec, exec, s[0:1]
                                        ; implicit-def: $vgpr21
	s_and_saveexec_b64 s[0:1], s[4:5]
	s_cbranch_execz .LBB451_37
.LBB451_60:
	v_mov_b32_e32 v21, s62
	v_add_co_u32_e32 v22, vcc, s49, v7
	v_addc_co_u32_e32 v23, vcc, 0, v21, vcc
	flat_load_ushort v21, v[22:23] offset:1536
	s_or_b64 exec, exec, s[0:1]
                                        ; implicit-def: $vgpr22
	s_and_saveexec_b64 s[0:1], s[28:29]
	s_cbranch_execz .LBB451_38
.LBB451_61:
	v_mov_b32_e32 v23, s62
	v_add_co_u32_e32 v22, vcc, s49, v7
	v_addc_co_u32_e32 v23, vcc, 0, v23, vcc
	flat_load_ushort v22, v[22:23] offset:2048
	s_or_b64 exec, exec, s[0:1]
                                        ; implicit-def: $vgpr23
	s_and_saveexec_b64 s[0:1], s[8:9]
	s_cbranch_execz .LBB451_39
.LBB451_62:
	v_mov_b32_e32 v23, s62
	v_add_co_u32_e32 v24, vcc, s49, v7
	v_addc_co_u32_e32 v25, vcc, 0, v23, vcc
	flat_load_ushort v23, v[24:25] offset:2560
	s_or_b64 exec, exec, s[0:1]
                                        ; implicit-def: $vgpr24
	s_and_saveexec_b64 s[0:1], s[10:11]
	s_cbranch_execz .LBB451_40
.LBB451_63:
	v_mov_b32_e32 v25, s62
	v_add_co_u32_e32 v24, vcc, s49, v7
	v_addc_co_u32_e32 v25, vcc, 0, v25, vcc
	flat_load_ushort v24, v[24:25] offset:3072
	s_or_b64 exec, exec, s[0:1]
                                        ; implicit-def: $vgpr25
	s_and_saveexec_b64 s[0:1], s[12:13]
	s_cbranch_execz .LBB451_41
.LBB451_64:
	v_mov_b32_e32 v25, s62
	v_add_co_u32_e32 v26, vcc, s49, v7
	v_addc_co_u32_e32 v27, vcc, 0, v25, vcc
	flat_load_ushort v25, v[26:27] offset:3584
	s_or_b64 exec, exec, s[0:1]
                                        ; implicit-def: $vgpr26
	s_and_saveexec_b64 s[0:1], s[14:15]
	s_cbranch_execz .LBB451_42
.LBB451_65:
	v_lshlrev_b32_e32 v8, 1, v8
	v_mov_b32_e32 v27, s62
	v_add_co_u32_e32 v26, vcc, s49, v8
	v_addc_co_u32_e32 v27, vcc, 0, v27, vcc
	flat_load_ushort v26, v[26:27]
	s_or_b64 exec, exec, s[0:1]
                                        ; implicit-def: $vgpr8
	s_and_saveexec_b64 s[0:1], s[16:17]
	s_cbranch_execz .LBB451_43
.LBB451_66:
	v_lshlrev_b32_e32 v8, 1, v9
	v_mov_b32_e32 v9, s62
	v_add_co_u32_e32 v8, vcc, s49, v8
	v_addc_co_u32_e32 v9, vcc, 0, v9, vcc
	flat_load_ushort v8, v[8:9]
	s_or_b64 exec, exec, s[0:1]
                                        ; implicit-def: $vgpr27
	s_and_saveexec_b64 s[0:1], s[18:19]
	s_cbranch_execz .LBB451_44
.LBB451_67:
	v_lshlrev_b32_e32 v9, 1, v10
	v_mov_b32_e32 v10, s62
	v_add_co_u32_e32 v28, vcc, s49, v9
	v_addc_co_u32_e32 v29, vcc, 0, v10, vcc
	flat_load_ushort v27, v[28:29]
	s_or_b64 exec, exec, s[0:1]
                                        ; implicit-def: $vgpr10
	s_and_saveexec_b64 s[0:1], s[20:21]
	s_cbranch_execz .LBB451_45
.LBB451_68:
	v_lshlrev_b32_e32 v9, 1, v11
	v_mov_b32_e32 v11, s62
	v_add_co_u32_e32 v10, vcc, s49, v9
	v_addc_co_u32_e32 v11, vcc, 0, v11, vcc
	flat_load_ushort v10, v[10:11]
	s_or_b64 exec, exec, s[0:1]
                                        ; implicit-def: $vgpr11
	s_and_saveexec_b64 s[0:1], s[22:23]
	s_cbranch_execz .LBB451_46
.LBB451_69:
	v_lshlrev_b32_e32 v9, 1, v12
	v_mov_b32_e32 v11, s62
	v_add_co_u32_e32 v28, vcc, s49, v9
	v_addc_co_u32_e32 v29, vcc, 0, v11, vcc
	flat_load_ushort v11, v[28:29]
	s_or_b64 exec, exec, s[0:1]
                                        ; implicit-def: $vgpr12
	s_and_saveexec_b64 s[0:1], s[24:25]
	s_cbranch_execz .LBB451_47
.LBB451_70:
	v_lshlrev_b32_e32 v9, 1, v13
	v_mov_b32_e32 v13, s62
	v_add_co_u32_e32 v12, vcc, s49, v9
	v_addc_co_u32_e32 v13, vcc, 0, v13, vcc
	flat_load_ushort v12, v[12:13]
	s_or_b64 exec, exec, s[0:1]
                                        ; implicit-def: $vgpr13
	s_and_saveexec_b64 s[0:1], s[26:27]
	s_cbranch_execnz .LBB451_48
	s_branch .LBB451_49
.LBB451_71:
                                        ; implicit-def: $sgpr4_sgpr5
                                        ; implicit-def: $vgpr17
                                        ; implicit-def: $vgpr19
                                        ; implicit-def: $vgpr18
                                        ; implicit-def: $vgpr21
                                        ; implicit-def: $vgpr20
                                        ; implicit-def: $vgpr23
                                        ; implicit-def: $vgpr22
                                        ; implicit-def: $vgpr25
                                        ; implicit-def: $vgpr24
                                        ; implicit-def: $vgpr27
                                        ; implicit-def: $vgpr26
                                        ; implicit-def: $vgpr29
                                        ; implicit-def: $vgpr28
                                        ; implicit-def: $vgpr31
	s_cbranch_execz .LBB451_55
; %bb.72:
	v_lshlrev_b32_e32 v6, 1, v0
	v_lshrrev_b32_e32 v7, 16, v16
	s_mov_b32 s2, 0xcccd
	ds_write_b16 v6, v7
	v_mul_u32_u24_sdwa v8, v16, s2 dst_sel:DWORD dst_unused:UNUSED_PAD src0_sel:WORD_0 src1_sel:DWORD
	v_mul_u32_u24_e32 v7, 0xcccd, v7
	v_lshrrev_b32_e32 v8, 19, v8
	v_lshrrev_b32_e32 v7, 19, v7
	v_cmp_ne_u16_e32 vcc, v8, v7
	v_mul_u32_u24_sdwa v7, v15, s2 dst_sel:DWORD dst_unused:UNUSED_PAD src0_sel:WORD_1 src1_sel:DWORD
	v_lshrrev_b32_e32 v7, 19, v7
	v_cndmask_b32_e64 v17, 0, 1, vcc
	v_cmp_ne_u16_e32 vcc, v7, v8
	v_mul_u32_u24_sdwa v8, v15, s2 dst_sel:DWORD dst_unused:UNUSED_PAD src0_sel:WORD_0 src1_sel:DWORD
	v_lshrrev_b32_e32 v8, 19, v8
	v_cndmask_b32_e64 v19, 0, 1, vcc
	v_cmp_ne_u16_e32 vcc, v8, v7
	v_mul_u32_u24_sdwa v7, v14, s2 dst_sel:DWORD dst_unused:UNUSED_PAD src0_sel:WORD_1 src1_sel:DWORD
	v_lshrrev_b32_e32 v7, 19, v7
	v_cndmask_b32_e64 v18, 0, 1, vcc
	v_cmp_ne_u16_e32 vcc, v7, v8
	v_mul_u32_u24_sdwa v8, v14, s2 dst_sel:DWORD dst_unused:UNUSED_PAD src0_sel:WORD_0 src1_sel:DWORD
	v_lshrrev_b32_e32 v8, 19, v8
	v_cndmask_b32_e64 v21, 0, 1, vcc
	;; [unrolled: 8-line block ×6, first 2 shown]
	v_cmp_ne_u16_e32 vcc, v8, v7
	v_mul_u32_u24_sdwa v7, v1, s2 dst_sel:DWORD dst_unused:UNUSED_PAD src0_sel:WORD_0 src1_sel:DWORD
	v_lshrrev_b32_e32 v7, 19, v7
	v_cndmask_b32_e64 v28, 0, 1, vcc
	v_cmp_ne_u16_e32 vcc, v7, v8
	s_mov_b32 s8, 1
	v_cndmask_b32_e64 v31, 0, 1, vcc
	v_cmp_ne_u32_e32 vcc, 0, v0
	s_waitcnt lgkmcnt(0)
	s_barrier
	s_waitcnt lgkmcnt(0)
                                        ; implicit-def: $sgpr4_sgpr5
	s_and_saveexec_b64 s[2:3], vcc
	s_xor_b64 s[2:3], exec, s[2:3]
	s_cbranch_execz .LBB451_74
; %bb.73:
	v_add_u32_e32 v6, -2, v6
	ds_read_u16 v6, v6
	s_or_b64 s[0:1], s[0:1], exec
	s_waitcnt lgkmcnt(0)
	v_mul_u32_u24_e32 v6, 0xcccd, v6
	v_lshrrev_b32_e32 v6, 19, v6
	v_cmp_ne_u16_e32 vcc, v6, v7
	s_and_b64 s[4:5], vcc, exec
.LBB451_74:
	s_or_b64 exec, exec, s[2:3]
	s_branch .LBB451_110
.LBB451_75:
	s_mul_hi_u32 s3, s38, 0xfffff100
	s_mul_i32 s2, s39, 0xfffff100
	s_sub_i32 s3, s3, s38
	s_add_i32 s3, s3, s2
	s_mul_i32 s2, s38, 0xfffff100
	s_add_u32 s2, s2, s56
	s_addc_u32 s3, s3, s57
	s_and_b64 vcc, exec, s[30:31]
	s_cbranch_vccz .LBB451_219
; %bb.76:
	v_mov_b32_e32 v7, s48
	v_add_co_u32_e64 v6, vcc, -2, s7
	v_addc_co_u32_e32 v7, vcc, -1, v7, vcc
	flat_load_ushort v8, v[6:7]
	v_mad_u32_u24 v18, v0, 15, 14
	v_mov_b32_e32 v19, 0
	v_lshlrev_b32_e32 v7, 1, v0
	v_lshrrev_b32_e32 v9, 16, v16
	v_mul_u32_u24_e32 v6, 15, v0
	v_cmp_gt_u64_e32 vcc, s[2:3], v[18:19]
	v_mov_b32_e32 v17, 0
	ds_write_b16 v7, v9
	s_and_saveexec_b64 s[0:1], vcc
; %bb.77:
	s_mov_b32 s4, 0xcccd
	v_mul_u32_u24_sdwa v10, v16, s4 dst_sel:DWORD dst_unused:UNUSED_PAD src0_sel:WORD_0 src1_sel:DWORD
	v_mul_u32_u24_sdwa v9, v9, s4 dst_sel:DWORD dst_unused:UNUSED_PAD src0_sel:WORD_0 src1_sel:DWORD
	v_lshrrev_b32_e32 v10, 19, v10
	v_lshrrev_b32_e32 v9, 19, v9
	v_cmp_ne_u16_e32 vcc, v10, v9
	v_cndmask_b32_e64 v17, 0, 1, vcc
; %bb.78:
	s_or_b64 exec, exec, s[0:1]
	v_add_u32_e32 v18, 13, v6
	v_cmp_gt_u64_e32 vcc, s[2:3], v[18:19]
	s_and_saveexec_b64 s[0:1], vcc
; %bb.79:
	s_mov_b32 s4, 0xcccd
	v_mul_u32_u24_sdwa v9, v15, s4 dst_sel:DWORD dst_unused:UNUSED_PAD src0_sel:WORD_1 src1_sel:DWORD
	v_mul_u32_u24_sdwa v10, v16, s4 dst_sel:DWORD dst_unused:UNUSED_PAD src0_sel:WORD_0 src1_sel:DWORD
	v_lshrrev_b32_e32 v9, 19, v9
	v_lshrrev_b32_e32 v10, 19, v10
	v_cmp_ne_u16_e32 vcc, v9, v10
	v_cndmask_b32_e64 v19, 0, 1, vcc
; %bb.80:
	s_or_b64 exec, exec, s[0:1]
	v_add_u32_e32 v20, 12, v6
	v_mov_b32_e32 v21, 0
	v_cmp_gt_u64_e32 vcc, s[2:3], v[20:21]
	v_mov_b32_e32 v18, 0
	s_and_saveexec_b64 s[0:1], vcc
; %bb.81:
	s_mov_b32 s4, 0xcccd
	v_mul_u32_u24_sdwa v9, v15, s4 dst_sel:DWORD dst_unused:UNUSED_PAD src0_sel:WORD_0 src1_sel:DWORD
	v_mul_u32_u24_sdwa v10, v15, s4 dst_sel:DWORD dst_unused:UNUSED_PAD src0_sel:WORD_1 src1_sel:DWORD
	v_lshrrev_b32_e32 v9, 19, v9
	v_lshrrev_b32_e32 v10, 19, v10
	v_cmp_ne_u16_e32 vcc, v9, v10
	v_cndmask_b32_e64 v18, 0, 1, vcc
; %bb.82:
	s_or_b64 exec, exec, s[0:1]
	v_add_u32_e32 v20, 11, v6
	v_cmp_gt_u64_e32 vcc, s[2:3], v[20:21]
	s_and_saveexec_b64 s[0:1], vcc
; %bb.83:
	s_mov_b32 s4, 0xcccd
	v_mul_u32_u24_sdwa v9, v14, s4 dst_sel:DWORD dst_unused:UNUSED_PAD src0_sel:WORD_1 src1_sel:DWORD
	v_mul_u32_u24_sdwa v10, v15, s4 dst_sel:DWORD dst_unused:UNUSED_PAD src0_sel:WORD_0 src1_sel:DWORD
	v_lshrrev_b32_e32 v9, 19, v9
	v_lshrrev_b32_e32 v10, 19, v10
	v_cmp_ne_u16_e32 vcc, v9, v10
	v_cndmask_b32_e64 v21, 0, 1, vcc
; %bb.84:
	s_or_b64 exec, exec, s[0:1]
	v_add_u32_e32 v22, 10, v6
	v_mov_b32_e32 v23, 0
	v_cmp_gt_u64_e32 vcc, s[2:3], v[22:23]
	v_mov_b32_e32 v20, 0
	s_and_saveexec_b64 s[0:1], vcc
; %bb.85:
	s_mov_b32 s4, 0xcccd
	v_mul_u32_u24_sdwa v9, v14, s4 dst_sel:DWORD dst_unused:UNUSED_PAD src0_sel:WORD_0 src1_sel:DWORD
	v_mul_u32_u24_sdwa v10, v14, s4 dst_sel:DWORD dst_unused:UNUSED_PAD src0_sel:WORD_1 src1_sel:DWORD
	;; [unrolled: 28-line block ×6, first 2 shown]
	v_lshrrev_b32_e32 v9, 19, v9
	v_lshrrev_b32_e32 v10, 19, v10
	v_cmp_ne_u16_e32 vcc, v9, v10
	v_cndmask_b32_e64 v28, 0, 1, vcc
; %bb.102:
	s_or_b64 exec, exec, s[0:1]
	v_add_u32_e32 v30, 1, v6
	v_cmp_gt_u64_e32 vcc, s[2:3], v[30:31]
	s_and_saveexec_b64 s[0:1], vcc
; %bb.103:
	s_mov_b32 s4, 0xcccd
	v_mul_u32_u24_sdwa v9, v1, s4 dst_sel:DWORD dst_unused:UNUSED_PAD src0_sel:WORD_0 src1_sel:DWORD
	v_mul_u32_u24_sdwa v10, v2, s4 dst_sel:DWORD dst_unused:UNUSED_PAD src0_sel:WORD_0 src1_sel:DWORD
	v_lshrrev_b32_e32 v9, 19, v9
	v_lshrrev_b32_e32 v10, 19, v10
	v_cmp_ne_u16_e32 vcc, v9, v10
	v_cndmask_b32_e64 v31, 0, 1, vcc
; %bb.104:
	s_or_b64 exec, exec, s[0:1]
	v_cmp_ne_u32_e32 vcc, 0, v0
	s_waitcnt lgkmcnt(0)
	s_barrier
	s_and_saveexec_b64 s[0:1], vcc
	s_cbranch_execz .LBB451_106
; %bb.105:
	v_add_u32_e32 v7, -2, v7
	s_waitcnt vmcnt(0)
	ds_read_u16 v8, v7
.LBB451_106:
	s_or_b64 exec, exec, s[0:1]
	v_mov_b32_e32 v7, 0
	v_cmp_gt_u64_e32 vcc, s[2:3], v[6:7]
	s_mov_b64 s[8:9], 0
	s_mov_b64 s[4:5], 0
	s_and_saveexec_b64 s[0:1], vcc
	s_cbranch_execz .LBB451_108
; %bb.107:
	s_mov_b32 s4, 0xcccd
	s_waitcnt vmcnt(0) lgkmcnt(0)
	v_mul_u32_u24_sdwa v6, v8, s4 dst_sel:DWORD dst_unused:UNUSED_PAD src0_sel:WORD_0 src1_sel:DWORD
	v_mul_u32_u24_sdwa v7, v1, s4 dst_sel:DWORD dst_unused:UNUSED_PAD src0_sel:WORD_0 src1_sel:DWORD
	v_lshrrev_b32_e32 v6, 19, v6
	v_lshrrev_b32_e32 v7, 19, v7
	v_cmp_ne_u16_e32 vcc, v6, v7
	s_and_b64 s[4:5], vcc, exec
.LBB451_108:
	s_or_b64 exec, exec, s[0:1]
	s_mov_b64 s[0:1], -1
	s_and_b64 vcc, exec, s[8:9]
	s_cbranch_vccnz .LBB451_220
.LBB451_109:
                                        ; implicit-def: $sgpr8
.LBB451_110:
	v_mov_b32_e32 v78, s8
	s_and_saveexec_b64 s[2:3], s[0:1]
.LBB451_111:
	v_cndmask_b32_e64 v78, 0, 1, s[4:5]
.LBB451_112:
	s_or_b64 exec, exec, s[2:3]
	s_cmp_eq_u64 s[46:47], 0
	v_add3_u32 v6, v31, v78, v28
	s_cselect_b64 s[30:31], -1, 0
	s_cmp_lg_u32 s6, 0
	v_cmp_eq_u32_e64 s[24:25], 0, v31
	v_cmp_eq_u32_e64 s[22:23], 0, v28
	;; [unrolled: 1-line block ×3, first 2 shown]
	v_add3_u32 v83, v6, v29, v26
	v_cmp_eq_u32_e64 s[18:19], 0, v26
	v_cmp_eq_u32_e64 s[16:17], 0, v27
	;; [unrolled: 1-line block ×10, first 2 shown]
	v_cmp_eq_u32_e32 vcc, 0, v17
	v_mbcnt_lo_u32_b32 v82, -1, 0
	v_lshrrev_b32_e32 v80, 6, v0
	v_or_b32_e32 v81, 63, v0
	s_cbranch_scc0 .LBB451_143
; %bb.113:
	v_cndmask_b32_e64 v6, 0, v76, s[24:25]
	v_add_u16_e32 v6, v6, v75
	v_cndmask_b32_e64 v6, 0, v6, s[22:23]
	v_add_u16_e32 v6, v6, v77
	;; [unrolled: 2-line block ×11, first 2 shown]
	v_cndmask_b32_e64 v6, 0, v6, s[2:3]
	v_add3_u32 v7, v83, v27, v24
	v_add_u16_e32 v6, v6, v66
	v_add3_u32 v7, v7, v25, v22
	v_cndmask_b32_e64 v6, 0, v6, s[0:1]
	v_add3_u32 v7, v7, v23, v20
	v_add_u16_e32 v6, v6, v64
	v_add3_u32 v7, v7, v21, v18
	v_cndmask_b32_e32 v6, 0, v6, vcc
	v_add3_u32 v7, v7, v19, v17
	v_add_u16_e32 v6, v6, v79
	v_mbcnt_hi_u32_b32 v33, -1, v82
	s_waitcnt vmcnt(0) lgkmcnt(0)
	v_and_b32_e32 v8, 15, v33
	v_mov_b32_dpp v10, v6 row_shr:1 row_mask:0xf bank_mask:0xf
	v_cmp_eq_u32_e32 vcc, 0, v7
	v_mov_b32_dpp v9, v7 row_shr:1 row_mask:0xf bank_mask:0xf
	v_cndmask_b32_e32 v10, 0, v10, vcc
	v_cmp_eq_u32_e32 vcc, 0, v8
	v_add_u16_e32 v10, v10, v6
	v_cndmask_b32_e64 v9, v9, 0, vcc
	v_add_u32_e32 v7, v9, v7
	v_cndmask_b32_e32 v6, v10, v6, vcc
	v_cmp_eq_u32_e32 vcc, 0, v7
	v_mov_b32_dpp v9, v7 row_shr:2 row_mask:0xf bank_mask:0xf
	v_mov_b32_dpp v10, v6 row_shr:2 row_mask:0xf bank_mask:0xf
	v_cndmask_b32_e32 v10, 0, v10, vcc
	v_cmp_lt_u32_e32 vcc, 1, v8
	v_add_u16_e32 v10, v10, v6
	v_cndmask_b32_e32 v9, 0, v9, vcc
	v_cndmask_b32_e32 v6, v6, v10, vcc
	v_add_u32_e32 v7, v7, v9
	v_cmp_eq_u32_e32 vcc, 0, v7
	v_mov_b32_dpp v10, v6 row_shr:4 row_mask:0xf bank_mask:0xf
	v_mov_b32_dpp v9, v7 row_shr:4 row_mask:0xf bank_mask:0xf
	v_cndmask_b32_e32 v10, 0, v10, vcc
	v_cmp_lt_u32_e32 vcc, 3, v8
	v_add_u16_e32 v10, v10, v6
	v_cndmask_b32_e32 v9, 0, v9, vcc
	v_cndmask_b32_e32 v6, v6, v10, vcc
	v_add_u32_e32 v7, v9, v7
	;; [unrolled: 9-line block ×3, first 2 shown]
	v_bfe_i32 v10, v33, 4, 1
	v_mov_b32_dpp v9, v6 row_bcast:15 row_mask:0xf bank_mask:0xf
	v_mov_b32_dpp v8, v7 row_bcast:15 row_mask:0xf bank_mask:0xf
	v_cmp_eq_u32_e32 vcc, 0, v7
	v_and_b32_e32 v11, 16, v33
	v_cndmask_b32_e32 v9, 0, v9, vcc
	v_and_b32_e32 v8, v10, v8
	v_add_u16_e32 v9, v9, v6
	v_add_u32_e32 v7, v8, v7
	v_cmp_eq_u32_e32 vcc, 0, v11
	v_cndmask_b32_e32 v8, v9, v6, vcc
	v_mov_b32_dpp v6, v7 row_bcast:31 row_mask:0xf bank_mask:0xf
	v_cmp_eq_u32_e32 vcc, 0, v7
	v_cmp_lt_u32_e64 s[26:27], 31, v33
	v_mov_b32_dpp v9, v8 row_bcast:31 row_mask:0xf bank_mask:0xf
	v_cndmask_b32_e64 v6, 0, v6, s[26:27]
	s_and_b64 vcc, s[26:27], vcc
	v_add_u32_e32 v6, v6, v7
	v_cndmask_b32_e32 v7, 0, v9, vcc
	v_add_u16_e32 v7, v7, v8
	v_cmp_eq_u32_e32 vcc, v81, v0
	v_lshlrev_b32_e32 v8, 3, v80
	s_and_saveexec_b64 s[26:27], vcc
	s_cbranch_execz .LBB451_115
; %bb.114:
	ds_write_b32 v8, v6 offset:1040
	ds_write_b16 v8, v7 offset:1044
.LBB451_115:
	s_or_b64 exec, exec, s[26:27]
	v_cmp_gt_u32_e32 vcc, 4, v0
	s_waitcnt lgkmcnt(0)
	s_barrier
	s_and_saveexec_b64 s[38:39], vcc
	s_cbranch_execz .LBB451_117
; %bb.116:
	v_lshlrev_b32_e32 v9, 3, v0
	ds_read_b64 v[10:11], v9 offset:1040
	v_and_b32_e32 v12, 3, v33
	s_mov_b32 s7, 0xffff0000
	v_cmp_lt_u32_e64 s[26:27], 1, v12
	s_waitcnt lgkmcnt(0)
	v_mov_b32_dpp v30, v11 row_shr:1 row_mask:0xf bank_mask:0xf
	v_cmp_eq_u32_e32 vcc, 0, v10
	v_mov_b32_dpp v13, v10 row_shr:1 row_mask:0xf bank_mask:0xf
	v_cndmask_b32_e32 v30, 0, v30, vcc
	v_cmp_eq_u32_e32 vcc, 0, v12
	v_add_u16_e32 v30, v30, v11
	v_cndmask_b32_e64 v13, v13, 0, vcc
	v_and_or_b32 v32, v11, s7, v30
	v_add_u32_e32 v10, v13, v10
	v_cndmask_b32_e32 v13, v30, v11, vcc
	v_cndmask_b32_e32 v11, v32, v11, vcc
	v_mov_b32_dpp v30, v10 row_shr:2 row_mask:0xf bank_mask:0xf
	v_cmp_eq_u32_e32 vcc, 0, v10
	v_mov_b32_dpp v11, v11 row_shr:2 row_mask:0xf bank_mask:0xf
	v_cndmask_b32_e64 v12, 0, v30, s[26:27]
	s_and_b64 vcc, s[26:27], vcc
	v_add_u32_e32 v10, v12, v10
	v_cndmask_b32_e32 v11, 0, v11, vcc
	v_add_u16_e32 v11, v13, v11
	ds_write_b32 v9, v10 offset:1040
	ds_write_b16 v9, v11 offset:1044
.LBB451_117:
	s_or_b64 exec, exec, s[38:39]
	v_cmp_gt_u32_e32 vcc, 64, v0
	v_cmp_lt_u32_e64 s[26:27], 63, v0
	v_mov_b32_e32 v30, 0
	v_mov_b32_e32 v36, 0
	s_waitcnt lgkmcnt(0)
	s_barrier
	s_and_saveexec_b64 s[38:39], s[26:27]
	s_cbranch_execz .LBB451_119
; %bb.118:
	ds_read_b32 v30, v8 offset:1032
	ds_read_u16 v36, v8 offset:1036
	v_cmp_eq_u32_e64 s[26:27], 0, v6
	s_waitcnt lgkmcnt(1)
	v_add_u32_e32 v8, v30, v6
	s_waitcnt lgkmcnt(0)
	v_cndmask_b32_e64 v6, 0, v36, s[26:27]
	v_add_u16_e32 v7, v6, v7
	v_mov_b32_e32 v6, v8
.LBB451_119:
	s_or_b64 exec, exec, s[38:39]
	v_add_u32_e32 v8, -1, v33
	v_and_b32_e32 v9, 64, v33
	v_cmp_lt_i32_e64 s[26:27], v8, v9
	v_cndmask_b32_e64 v8, v8, v33, s[26:27]
	v_and_b32_e32 v7, 0xffff, v7
	v_lshlrev_b32_e32 v8, 2, v8
	ds_bpermute_b32 v37, v8, v6
	ds_bpermute_b32 v38, v8, v7
	v_cmp_eq_u32_e64 s[26:27], 0, v33
	s_and_saveexec_b64 s[38:39], vcc
	s_cbranch_execz .LBB451_142
; %bb.120:
	v_mov_b32_e32 v9, 0
	ds_read_b64 v[6:7], v9 offset:1064
	s_waitcnt lgkmcnt(0)
	v_readfirstlane_b32 s7, v7
	s_and_saveexec_b64 s[40:41], s[26:27]
	s_cbranch_execz .LBB451_122
; %bb.121:
	s_add_i32 s46, s6, 64
	s_mov_b32 s47, 0
	s_lshl_b64 s[48:49], s[46:47], 4
	s_add_u32 s48, s44, s48
	s_addc_u32 s49, s45, s49
	s_and_b32 s51, s7, 0xff000000
	s_mov_b32 s50, s47
	s_and_b32 s57, s7, 0xff0000
	s_mov_b32 s56, s47
	s_or_b64 s[50:51], s[56:57], s[50:51]
	s_and_b32 s57, s7, 0xff00
	s_or_b64 s[50:51], s[50:51], s[56:57]
	s_and_b32 s57, s7, 0xff
	s_or_b64 s[46:47], s[50:51], s[56:57]
	v_mov_b32_e32 v7, s47
	v_mov_b32_e32 v8, 1
	v_pk_mov_b32 v[10:11], s[48:49], s[48:49] op_sel:[0,1]
	;;#ASMSTART
	global_store_dwordx4 v[10:11], v[6:9] off	
s_waitcnt vmcnt(0)
	;;#ASMEND
.LBB451_122:
	s_or_b64 exec, exec, s[40:41]
	v_xad_u32 v32, v33, -1, s6
	v_add_u32_e32 v8, 64, v32
	v_lshlrev_b64 v[10:11], 4, v[8:9]
	v_mov_b32_e32 v7, s45
	v_add_co_u32_e32 v34, vcc, s44, v10
	v_addc_co_u32_e32 v35, vcc, v7, v11, vcc
	;;#ASMSTART
	global_load_dwordx4 v[10:13], v[34:35] off glc	
s_waitcnt vmcnt(0)
	;;#ASMEND
	v_and_b32_e32 v7, 0xffffff, v10
	v_and_b32_e32 v8, 0xff000000, v10
	v_or_b32_e32 v7, v7, v8
	v_and_b32_e32 v8, 0xff, v11
	v_and_b32_e32 v10, 0xff00, v11
	v_or3_b32 v11, 0, v8, v10
	v_or3_b32 v10, v7, 0, 0
	v_cmp_eq_u16_sdwa s[46:47], v12, v9 src0_sel:BYTE_0 src1_sel:DWORD
	s_and_saveexec_b64 s[40:41], s[46:47]
	s_cbranch_execz .LBB451_128
; %bb.123:
	s_mov_b32 s48, 1
	s_mov_b64 s[46:47], 0
	v_mov_b32_e32 v7, 0
.LBB451_124:                            ; =>This Loop Header: Depth=1
                                        ;     Child Loop BB451_125 Depth 2
	s_max_u32 s49, s48, 1
.LBB451_125:                            ;   Parent Loop BB451_124 Depth=1
                                        ; =>  This Inner Loop Header: Depth=2
	s_add_i32 s49, s49, -1
	s_cmp_eq_u32 s49, 0
	s_sleep 1
	s_cbranch_scc0 .LBB451_125
; %bb.126:                              ;   in Loop: Header=BB451_124 Depth=1
	s_cmp_lt_u32 s48, 32
	s_cselect_b64 s[50:51], -1, 0
	s_cmp_lg_u64 s[50:51], 0
	s_addc_u32 s48, s48, 0
	;;#ASMSTART
	global_load_dwordx4 v[10:13], v[34:35] off glc	
s_waitcnt vmcnt(0)
	;;#ASMEND
	v_cmp_ne_u16_sdwa s[50:51], v12, v7 src0_sel:BYTE_0 src1_sel:DWORD
	s_or_b64 s[46:47], s[50:51], s[46:47]
	s_andn2_b64 exec, exec, s[46:47]
	s_cbranch_execnz .LBB451_124
; %bb.127:
	s_or_b64 exec, exec, s[46:47]
	v_and_b32_e32 v11, 0xffff, v11
.LBB451_128:
	s_or_b64 exec, exec, s[40:41]
	v_mov_b32_e32 v7, 2
	v_and_b32_e32 v39, 63, v33
	v_cmp_eq_u16_sdwa s[40:41], v12, v7 src0_sel:BYTE_0 src1_sel:DWORD
	v_lshlrev_b64 v[8:9], v33, -1
	v_cmp_ne_u32_e32 vcc, 63, v39
	v_and_b32_e32 v13, s41, v9
	v_addc_co_u32_e32 v35, vcc, 0, v33, vcc
	v_or_b32_e32 v13, 0x80000000, v13
	v_lshlrev_b32_e32 v40, 2, v35
	v_and_b32_e32 v34, s40, v8
	v_ffbl_b32_e32 v13, v13
	ds_bpermute_b32 v35, v40, v11
	v_add_u32_e32 v13, 32, v13
	v_ffbl_b32_e32 v34, v34
	v_min_u32_e32 v13, v34, v13
	ds_bpermute_b32 v34, v40, v10
	v_cmp_eq_u32_e32 vcc, 0, v10
	s_waitcnt lgkmcnt(1)
	v_cndmask_b32_e32 v35, 0, v35, vcc
	v_add_u16_e32 v35, v35, v11
	v_cmp_lt_u32_e32 vcc, v39, v13
	v_cndmask_b32_e32 v11, v11, v35, vcc
	s_waitcnt lgkmcnt(0)
	v_cndmask_b32_e32 v34, 0, v34, vcc
	v_cmp_gt_u32_e32 vcc, 62, v39
	v_cndmask_b32_e64 v35, 0, 1, vcc
	v_lshlrev_b32_e32 v35, 1, v35
	v_add_lshl_u32 v41, v35, v33, 2
	ds_bpermute_b32 v35, v41, v11
	v_add_u32_e32 v10, v34, v10
	ds_bpermute_b32 v34, v41, v10
	v_cmp_eq_u32_e32 vcc, 0, v10
	v_add_u32_e32 v42, 2, v39
	s_waitcnt lgkmcnt(1)
	v_cndmask_b32_e32 v35, 0, v35, vcc
	v_add_u16_e32 v35, v35, v11
	v_cmp_gt_u32_e32 vcc, v42, v13
	v_cndmask_b32_e32 v11, v35, v11, vcc
	s_waitcnt lgkmcnt(0)
	v_cndmask_b32_e64 v34, v34, 0, vcc
	v_cmp_gt_u32_e32 vcc, 60, v39
	v_cndmask_b32_e64 v35, 0, 1, vcc
	v_lshlrev_b32_e32 v35, 2, v35
	v_add_lshl_u32 v43, v35, v33, 2
	ds_bpermute_b32 v35, v43, v11
	v_add_u32_e32 v10, v10, v34
	ds_bpermute_b32 v34, v43, v10
	v_cmp_eq_u32_e32 vcc, 0, v10
	v_add_u32_e32 v44, 4, v39
	s_waitcnt lgkmcnt(1)
	v_cndmask_b32_e32 v35, 0, v35, vcc
	v_add_u16_e32 v35, v11, v35
	v_cmp_gt_u32_e32 vcc, v44, v13
	v_cndmask_b32_e32 v11, v35, v11, vcc
	s_waitcnt lgkmcnt(0)
	v_cndmask_b32_e64 v34, v34, 0, vcc
	;; [unrolled: 16-line block ×4, first 2 shown]
	v_cmp_gt_u32_e32 vcc, 32, v39
	v_cndmask_b32_e64 v35, 0, 1, vcc
	v_lshlrev_b32_e32 v35, 5, v35
	v_add_lshl_u32 v51, v35, v33, 2
	ds_bpermute_b32 v33, v51, v11
	v_add_u32_e32 v10, v10, v34
	ds_bpermute_b32 v34, v51, v10
	v_add_u32_e32 v52, 32, v39
	v_cmp_eq_u32_e32 vcc, 0, v10
	s_waitcnt lgkmcnt(1)
	v_cndmask_b32_e32 v33, 0, v33, vcc
	v_cmp_gt_u32_e32 vcc, v52, v13
	v_cndmask_b32_e64 v13, v33, 0, vcc
	v_add_u16_e32 v11, v11, v13
	s_waitcnt lgkmcnt(0)
	v_cndmask_b32_e64 v13, v34, 0, vcc
	v_add_u32_e32 v10, v13, v10
	v_mov_b32_e32 v33, 0
	s_branch .LBB451_130
.LBB451_129:                            ;   in Loop: Header=BB451_130 Depth=1
	s_or_b64 exec, exec, s[40:41]
	v_cmp_eq_u16_sdwa s[40:41], v12, v7 src0_sel:BYTE_0 src1_sel:DWORD
	ds_bpermute_b32 v35, v40, v11
	v_and_b32_e32 v13, s41, v9
	v_or_b32_e32 v13, 0x80000000, v13
	v_and_b32_e32 v34, s40, v8
	v_ffbl_b32_e32 v13, v13
	v_add_u32_e32 v13, 32, v13
	v_ffbl_b32_e32 v34, v34
	v_cmp_eq_u32_e32 vcc, 0, v10
	v_min_u32_e32 v13, v34, v13
	ds_bpermute_b32 v34, v40, v10
	s_waitcnt lgkmcnt(1)
	v_cndmask_b32_e32 v35, 0, v35, vcc
	v_add_u16_e32 v35, v35, v11
	v_cmp_lt_u32_e32 vcc, v39, v13
	v_cndmask_b32_e32 v11, v11, v35, vcc
	ds_bpermute_b32 v35, v41, v11
	s_waitcnt lgkmcnt(1)
	v_cndmask_b32_e32 v34, 0, v34, vcc
	v_add_u32_e32 v10, v34, v10
	v_cmp_eq_u32_e32 vcc, 0, v10
	ds_bpermute_b32 v34, v41, v10
	s_waitcnt lgkmcnt(1)
	v_cndmask_b32_e32 v35, 0, v35, vcc
	v_add_u16_e32 v35, v35, v11
	v_cmp_gt_u32_e32 vcc, v42, v13
	v_cndmask_b32_e32 v11, v35, v11, vcc
	ds_bpermute_b32 v35, v43, v11
	s_waitcnt lgkmcnt(1)
	v_cndmask_b32_e64 v34, v34, 0, vcc
	v_add_u32_e32 v10, v10, v34
	v_cmp_eq_u32_e32 vcc, 0, v10
	ds_bpermute_b32 v34, v43, v10
	s_waitcnt lgkmcnt(1)
	v_cndmask_b32_e32 v35, 0, v35, vcc
	v_add_u16_e32 v35, v11, v35
	v_cmp_gt_u32_e32 vcc, v44, v13
	v_cndmask_b32_e32 v11, v35, v11, vcc
	ds_bpermute_b32 v35, v45, v11
	s_waitcnt lgkmcnt(1)
	v_cndmask_b32_e64 v34, v34, 0, vcc
	v_add_u32_e32 v10, v10, v34
	ds_bpermute_b32 v34, v45, v10
	v_cmp_eq_u32_e32 vcc, 0, v10
	s_waitcnt lgkmcnt(1)
	v_cndmask_b32_e32 v35, 0, v35, vcc
	v_add_u16_e32 v35, v11, v35
	v_cmp_gt_u32_e32 vcc, v46, v13
	v_cndmask_b32_e32 v11, v35, v11, vcc
	ds_bpermute_b32 v35, v48, v11
	s_waitcnt lgkmcnt(1)
	v_cndmask_b32_e64 v34, v34, 0, vcc
	v_add_u32_e32 v10, v10, v34
	ds_bpermute_b32 v34, v48, v10
	v_cmp_eq_u32_e32 vcc, 0, v10
	;; [unrolled: 11-line block ×3, first 2 shown]
	s_waitcnt lgkmcnt(1)
	v_cndmask_b32_e32 v35, 0, v35, vcc
	v_cmp_gt_u32_e32 vcc, v52, v13
	v_cndmask_b32_e64 v13, v35, 0, vcc
	v_add_u16_e32 v11, v11, v13
	s_waitcnt lgkmcnt(0)
	v_cndmask_b32_e64 v13, v34, 0, vcc
	v_cmp_eq_u32_e32 vcc, 0, v49
	v_cndmask_b32_e32 v11, 0, v11, vcc
	v_subrev_u32_e32 v32, 64, v32
	v_add3_u32 v10, v10, v49, v13
	v_add_u16_e32 v11, v11, v47
.LBB451_130:                            ; =>This Loop Header: Depth=1
                                        ;     Child Loop BB451_133 Depth 2
                                        ;       Child Loop BB451_134 Depth 3
	v_cmp_ne_u16_sdwa s[40:41], v12, v7 src0_sel:BYTE_0 src1_sel:DWORD
	v_mov_b32_e32 v47, v11
	v_cndmask_b32_e64 v11, 0, 1, s[40:41]
	;;#ASMSTART
	;;#ASMEND
	v_cmp_ne_u32_e32 vcc, 0, v11
	s_cmp_lg_u64 vcc, exec
	v_mov_b32_e32 v49, v10
	s_cbranch_scc1 .LBB451_137
; %bb.131:                              ;   in Loop: Header=BB451_130 Depth=1
	v_lshlrev_b64 v[10:11], 4, v[32:33]
	v_mov_b32_e32 v12, s45
	v_add_co_u32_e32 v34, vcc, s44, v10
	v_addc_co_u32_e32 v35, vcc, v12, v11, vcc
	;;#ASMSTART
	global_load_dwordx4 v[10:13], v[34:35] off glc	
s_waitcnt vmcnt(0)
	;;#ASMEND
	v_and_b32_e32 v13, 0xffffff, v10
	v_and_b32_e32 v10, 0xff000000, v10
	v_or_b32_e32 v10, v13, v10
	v_and_b32_e32 v13, 0xff, v11
	v_and_b32_e32 v11, 0xff00, v11
	v_or3_b32 v11, 0, v13, v11
	v_or3_b32 v10, v10, 0, 0
	v_cmp_eq_u16_sdwa s[46:47], v12, v33 src0_sel:BYTE_0 src1_sel:DWORD
	s_and_saveexec_b64 s[40:41], s[46:47]
	s_cbranch_execz .LBB451_129
; %bb.132:                              ;   in Loop: Header=BB451_130 Depth=1
	s_mov_b32 s48, 1
	s_mov_b64 s[46:47], 0
.LBB451_133:                            ;   Parent Loop BB451_130 Depth=1
                                        ; =>  This Loop Header: Depth=2
                                        ;       Child Loop BB451_134 Depth 3
	s_max_u32 s49, s48, 1
.LBB451_134:                            ;   Parent Loop BB451_130 Depth=1
                                        ;     Parent Loop BB451_133 Depth=2
                                        ; =>    This Inner Loop Header: Depth=3
	s_add_i32 s49, s49, -1
	s_cmp_eq_u32 s49, 0
	s_sleep 1
	s_cbranch_scc0 .LBB451_134
; %bb.135:                              ;   in Loop: Header=BB451_133 Depth=2
	s_cmp_lt_u32 s48, 32
	s_cselect_b64 s[50:51], -1, 0
	s_cmp_lg_u64 s[50:51], 0
	s_addc_u32 s48, s48, 0
	;;#ASMSTART
	global_load_dwordx4 v[10:13], v[34:35] off glc	
s_waitcnt vmcnt(0)
	;;#ASMEND
	v_cmp_ne_u16_sdwa s[50:51], v12, v33 src0_sel:BYTE_0 src1_sel:DWORD
	s_or_b64 s[46:47], s[50:51], s[46:47]
	s_andn2_b64 exec, exec, s[46:47]
	s_cbranch_execnz .LBB451_133
; %bb.136:                              ;   in Loop: Header=BB451_130 Depth=1
	s_or_b64 exec, exec, s[46:47]
	v_and_b32_e32 v11, 0xffff, v11
	s_branch .LBB451_129
.LBB451_137:                            ;   in Loop: Header=BB451_130 Depth=1
                                        ; implicit-def: $vgpr11
                                        ; implicit-def: $vgpr10
                                        ; implicit-def: $vgpr12
	s_cbranch_execz .LBB451_130
; %bb.138:
	s_and_saveexec_b64 s[40:41], s[26:27]
	s_cbranch_execz .LBB451_140
; %bb.139:
	s_mov_b32 s47, 0
	v_cmp_eq_u32_e32 vcc, 0, v6
	s_add_i32 s46, s6, 64
	v_cndmask_b32_e32 v7, 0, v47, vcc
	s_lshl_b64 s[46:47], s[46:47], 4
	v_add_u16_e32 v7, s7, v7
	s_add_u32 s46, s44, s46
	s_addc_u32 s47, s45, s47
	v_and_b32_e32 v9, 0xff00, v7
	v_add_u32_e32 v8, v49, v6
	v_mov_b32_e32 v11, 0
	v_or_b32_sdwa v9, v9, v7 dst_sel:DWORD dst_unused:UNUSED_PAD src0_sel:DWORD src1_sel:BYTE_0
	v_mov_b32_e32 v10, 2
	v_pk_mov_b32 v[12:13], s[46:47], s[46:47] op_sel:[0,1]
	;;#ASMSTART
	global_store_dwordx4 v[12:13], v[8:11] off	
s_waitcnt vmcnt(0)
	;;#ASMEND
	v_mov_b32_e32 v7, s7
	s_movk_i32 s6, 0x400
	ds_write_b16 v11, v7 offset:1028
	v_add_u32_e64 v7, s6, 0
	ds_write2_b32 v7, v6, v49 offset1:2
	ds_write_b16 v11, v47 offset:1036
.LBB451_140:
	s_or_b64 exec, exec, s[40:41]
	v_cmp_eq_u32_e32 vcc, 0, v0
	s_and_b64 exec, exec, vcc
	s_cbranch_execz .LBB451_142
; %bb.141:
	v_mov_b32_e32 v6, 0
	ds_write_b32 v6, v49 offset:1064
	ds_write_b16 v6, v47 offset:1068
.LBB451_142:
	s_or_b64 exec, exec, s[38:39]
	v_mov_b32_e32 v8, 0
	s_waitcnt lgkmcnt(0)
	s_barrier
	ds_read_b64 v[6:7], v8 offset:1064
	v_cndmask_b32_e64 v10, v37, v30, s[26:27]
	v_cmp_eq_u32_e32 vcc, 0, v10
	v_cndmask_b32_e64 v9, v38, v36, s[26:27]
	s_waitcnt lgkmcnt(0)
	v_cndmask_b32_e32 v11, 0, v7, vcc
	v_add_u16_e32 v9, v11, v9
	v_cmp_eq_u32_e32 vcc, 0, v0
	v_cndmask_b32_e32 v7, v9, v7, vcc
	v_cndmask_b32_e64 v9, v10, 0, vcc
	v_cmp_eq_u32_e32 vcc, 0, v78
	v_add_u32_e32 v62, v6, v9
	v_cndmask_b32_e32 v6, 0, v7, vcc
	v_add_u16_e32 v61, v6, v76
	v_cndmask_b32_e64 v6, 0, v61, s[24:25]
	v_add_u16_e32 v59, v6, v75
	v_cndmask_b32_e64 v6, 0, v59, s[22:23]
	;; [unrolled: 2-line block ×8, first 2 shown]
	v_add_u32_e32 v60, v62, v78
	v_add_u16_e32 v45, v6, v70
	v_add_u32_e32 v58, v60, v31
	v_cndmask_b32_e64 v6, 0, v45, s[8:9]
	v_add_u32_e32 v56, v58, v28
	v_add_u16_e32 v43, v6, v67
	v_add_u32_e32 v54, v56, v29
	v_cndmask_b32_e64 v6, 0, v43, s[28:29]
	;; [unrolled: 4-line block ×3, first 2 shown]
	v_and_b32_e32 v63, 0xffff, v7
	v_add_u32_e32 v48, v50, v24
	v_add_u16_e32 v39, v6, v65
	s_barrier
	ds_read_b128 v[6:9], v8 offset:1024
	v_add_u32_e32 v46, v48, v25
	v_add_u32_e32 v44, v46, v22
	;; [unrolled: 1-line block ×4, first 2 shown]
	v_cndmask_b32_e64 v10, 0, v39, s[2:3]
	v_add_u32_e32 v38, v40, v21
	v_add_u16_e32 v37, v10, v66
	s_waitcnt lgkmcnt(0)
	v_cmp_eq_u32_e32 vcc, 0, v6
	v_add_u32_e32 v36, v38, v18
	v_cndmask_b32_e64 v10, 0, v37, s[0:1]
	v_cndmask_b32_e32 v9, 0, v9, vcc
	v_add_u32_e32 v34, v36, v19
	v_add_u16_e32 v35, v10, v64
	v_add_u32_e32 v30, v9, v7
	s_branch .LBB451_155
.LBB451_143:
                                        ; implicit-def: $vgpr6
                                        ; implicit-def: $vgpr30
                                        ; implicit-def: $vgpr62_vgpr63
                                        ; implicit-def: $vgpr60_vgpr61
                                        ; implicit-def: $vgpr58_vgpr59
                                        ; implicit-def: $vgpr56_vgpr57
                                        ; implicit-def: $vgpr54_vgpr55
                                        ; implicit-def: $vgpr52_vgpr53
                                        ; implicit-def: $vgpr50_vgpr51
                                        ; implicit-def: $vgpr48_vgpr49
                                        ; implicit-def: $vgpr46_vgpr47
                                        ; implicit-def: $vgpr44_vgpr45
                                        ; implicit-def: $vgpr42_vgpr43
                                        ; implicit-def: $vgpr40_vgpr41
                                        ; implicit-def: $vgpr38_vgpr39
                                        ; implicit-def: $vgpr36_vgpr37
                                        ; implicit-def: $vgpr34_vgpr35
	s_cbranch_execz .LBB451_155
; %bb.144:
	s_and_b64 s[0:1], s[30:31], exec
	s_cselect_b32 s1, 0, s61
	s_cselect_b32 s0, 0, s60
	s_cmp_eq_u64 s[0:1], 0
	v_mov_b32_e32 v7, v76
	s_cbranch_scc1 .LBB451_146
; %bb.145:
	v_mov_b32_e32 v6, 0
	global_load_ushort v7, v6, s[0:1]
.LBB451_146:
	v_cmp_eq_u32_e64 s[0:1], 0, v31
	v_cndmask_b32_e64 v6, 0, v76, s[0:1]
	v_add_u16_e32 v6, v6, v75
	v_cmp_eq_u32_e64 s[2:3], 0, v28
	v_cndmask_b32_e64 v6, 0, v6, s[2:3]
	v_add_u16_e32 v6, v6, v77
	;; [unrolled: 3-line block ×11, first 2 shown]
	v_cmp_eq_u32_e64 s[22:23], 0, v18
	v_cndmask_b32_e64 v6, 0, v6, s[22:23]
	s_waitcnt vmcnt(0) lgkmcnt(0)
	v_add3_u32 v8, v83, v27, v24
	v_add_u16_e32 v6, v6, v66
	v_cmp_eq_u32_e32 vcc, 0, v19
	v_add3_u32 v8, v8, v25, v22
	v_cndmask_b32_e32 v6, 0, v6, vcc
	v_add3_u32 v8, v8, v23, v20
	v_add_u16_e32 v6, v6, v64
	v_cmp_eq_u32_e64 s[24:25], 0, v17
	v_add3_u32 v8, v8, v21, v18
	v_cndmask_b32_e64 v6, 0, v6, s[24:25]
	v_add3_u32 v8, v8, v19, v17
	v_add_u16_e32 v9, v6, v79
	v_mbcnt_hi_u32_b32 v6, -1, v82
	v_and_b32_e32 v10, 15, v6
	v_mov_b32_dpp v12, v9 row_shr:1 row_mask:0xf bank_mask:0xf
	v_cmp_eq_u32_e64 s[24:25], 0, v8
	v_mov_b32_dpp v11, v8 row_shr:1 row_mask:0xf bank_mask:0xf
	v_cndmask_b32_e64 v12, 0, v12, s[24:25]
	v_cmp_eq_u32_e64 s[24:25], 0, v10
	v_add_u16_e32 v12, v12, v9
	v_cndmask_b32_e64 v11, v11, 0, s[24:25]
	v_add_u32_e32 v8, v11, v8
	v_cndmask_b32_e64 v9, v12, v9, s[24:25]
	v_cmp_eq_u32_e64 s[24:25], 0, v8
	v_mov_b32_dpp v11, v8 row_shr:2 row_mask:0xf bank_mask:0xf
	v_mov_b32_dpp v12, v9 row_shr:2 row_mask:0xf bank_mask:0xf
	v_cndmask_b32_e64 v12, 0, v12, s[24:25]
	v_cmp_lt_u32_e64 s[24:25], 1, v10
	v_add_u16_e32 v12, v12, v9
	v_cndmask_b32_e64 v11, 0, v11, s[24:25]
	v_cndmask_b32_e64 v9, v9, v12, s[24:25]
	v_add_u32_e32 v8, v8, v11
	v_cmp_eq_u32_e64 s[24:25], 0, v8
	v_mov_b32_dpp v12, v9 row_shr:4 row_mask:0xf bank_mask:0xf
	v_mov_b32_dpp v11, v8 row_shr:4 row_mask:0xf bank_mask:0xf
	v_cndmask_b32_e64 v12, 0, v12, s[24:25]
	v_cmp_lt_u32_e64 s[24:25], 3, v10
	v_add_u16_e32 v12, v12, v9
	v_cndmask_b32_e64 v11, 0, v11, s[24:25]
	v_cndmask_b32_e64 v9, v9, v12, s[24:25]
	v_add_u32_e32 v8, v11, v8
	;; [unrolled: 9-line block ×3, first 2 shown]
	v_bfe_i32 v12, v6, 4, 1
	v_mov_b32_dpp v11, v9 row_bcast:15 row_mask:0xf bank_mask:0xf
	v_mov_b32_dpp v10, v8 row_bcast:15 row_mask:0xf bank_mask:0xf
	v_cmp_eq_u32_e64 s[24:25], 0, v8
	v_and_b32_e32 v13, 16, v6
	v_cndmask_b32_e64 v11, 0, v11, s[24:25]
	v_and_b32_e32 v10, v12, v10
	v_add_u16_e32 v11, v11, v9
	v_add_u32_e32 v8, v10, v8
	v_cmp_eq_u32_e64 s[24:25], 0, v13
	v_cndmask_b32_e64 v9, v11, v9, s[24:25]
	v_mov_b32_dpp v10, v8 row_bcast:31 row_mask:0xf bank_mask:0xf
	v_cmp_eq_u32_e64 s[24:25], 0, v8
	v_cmp_lt_u32_e64 s[26:27], 31, v6
	v_mov_b32_dpp v11, v9 row_bcast:31 row_mask:0xf bank_mask:0xf
	v_cndmask_b32_e64 v10, 0, v10, s[26:27]
	s_and_b64 s[24:25], s[26:27], s[24:25]
	v_add_u32_e32 v8, v10, v8
	v_cndmask_b32_e64 v10, 0, v11, s[24:25]
	v_add_u16_e32 v9, v10, v9
	v_cmp_eq_u32_e64 s[24:25], v81, v0
	s_and_saveexec_b64 s[26:27], s[24:25]
	s_cbranch_execz .LBB451_148
; %bb.147:
	v_lshlrev_b32_e32 v10, 3, v80
	ds_write_b32 v10, v8 offset:1040
	ds_write_b16 v10, v9 offset:1044
.LBB451_148:
	s_or_b64 exec, exec, s[26:27]
	v_cmp_gt_u32_e64 s[24:25], 4, v0
	s_waitcnt lgkmcnt(0)
	s_barrier
	s_and_saveexec_b64 s[28:29], s[24:25]
	s_cbranch_execz .LBB451_150
; %bb.149:
	v_lshlrev_b32_e32 v12, 3, v0
	ds_read_b64 v[10:11], v12 offset:1040
	v_and_b32_e32 v13, 3, v6
	s_mov_b32 s26, 0xffff0000
	s_waitcnt lgkmcnt(0)
	v_mov_b32_dpp v32, v11 row_shr:1 row_mask:0xf bank_mask:0xf
	v_cmp_eq_u32_e64 s[24:25], 0, v10
	v_mov_b32_dpp v30, v10 row_shr:1 row_mask:0xf bank_mask:0xf
	v_cndmask_b32_e64 v32, 0, v32, s[24:25]
	v_cmp_eq_u32_e64 s[24:25], 0, v13
	v_add_u16_e32 v32, v32, v11
	v_cndmask_b32_e64 v30, v30, 0, s[24:25]
	v_and_or_b32 v33, v11, s26, v32
	v_add_u32_e32 v10, v30, v10
	v_cndmask_b32_e64 v30, v32, v11, s[24:25]
	v_cndmask_b32_e64 v11, v33, v11, s[24:25]
	v_mov_b32_dpp v32, v10 row_shr:2 row_mask:0xf bank_mask:0xf
	v_cmp_eq_u32_e64 s[24:25], 0, v10
	v_cmp_lt_u32_e64 s[26:27], 1, v13
	v_mov_b32_dpp v11, v11 row_shr:2 row_mask:0xf bank_mask:0xf
	v_cndmask_b32_e64 v13, 0, v32, s[26:27]
	s_and_b64 s[24:25], s[26:27], s[24:25]
	v_add_u32_e32 v10, v13, v10
	v_cndmask_b32_e64 v11, 0, v11, s[24:25]
	v_add_u16_e32 v11, v30, v11
	ds_write_b32 v12, v10 offset:1040
	ds_write_b16 v12, v11 offset:1044
.LBB451_150:
	s_or_b64 exec, exec, s[28:29]
	v_cmp_lt_u32_e64 s[24:25], 63, v0
	v_mov_b32_e32 v10, 0
	v_mov_b32_e32 v11, 0
	;; [unrolled: 1-line block ×3, first 2 shown]
	s_waitcnt lgkmcnt(0)
	s_barrier
	s_and_saveexec_b64 s[26:27], s[24:25]
	s_cbranch_execz .LBB451_152
; %bb.151:
	v_lshlrev_b32_e32 v12, 3, v80
	ds_read_b32 v11, v12 offset:1032
	ds_read_u16 v12, v12 offset:1036
	s_waitcnt lgkmcnt(1)
	v_cmp_eq_u32_e64 s[24:25], 0, v11
	v_cndmask_b32_e64 v13, 0, v7, s[24:25]
	s_waitcnt lgkmcnt(0)
	v_add_u16_e32 v12, v13, v12
.LBB451_152:
	s_or_b64 exec, exec, s[26:27]
	v_cmp_eq_u32_e64 s[24:25], 0, v8
	v_add_u32_e32 v13, v11, v8
	v_cndmask_b32_e64 v8, 0, v12, s[24:25]
	v_add_u16_e32 v8, v8, v9
	v_add_u32_e32 v9, -1, v6
	v_and_b32_e32 v30, 64, v6
	v_cmp_lt_i32_e64 s[24:25], v9, v30
	v_cndmask_b32_e64 v9, v9, v6, s[24:25]
	v_lshlrev_b32_e32 v9, 2, v9
	ds_bpermute_b32 v13, v9, v13
	ds_bpermute_b32 v8, v9, v8
	v_cmp_eq_u32_e64 s[24:25], 0, v6
	v_cmp_eq_u32_e64 s[26:27], 0, v78
	s_waitcnt lgkmcnt(1)
	v_cndmask_b32_e64 v6, v13, v11, s[24:25]
	s_waitcnt lgkmcnt(0)
	v_cndmask_b32_e64 v8, v8, v12, s[24:25]
	v_cmp_eq_u32_e64 s[24:25], 0, v0
	v_cndmask_b32_e64 v8, v8, v7, s[24:25]
	v_cndmask_b32_e64 v62, v6, 0, s[24:25]
	;; [unrolled: 1-line block ×3, first 2 shown]
	v_add_u16_e32 v61, v6, v76
	v_cndmask_b32_e64 v6, 0, v61, s[0:1]
	v_add_u16_e32 v59, v6, v75
	v_cndmask_b32_e64 v6, 0, v59, s[2:3]
	;; [unrolled: 2-line block ×9, first 2 shown]
	v_add_u32_e32 v60, v62, v78
	v_add_u16_e32 v43, v6, v67
	v_add_u32_e32 v58, v60, v31
	v_cndmask_b32_e64 v6, 0, v43, s[18:19]
	v_add_u32_e32 v56, v58, v28
	v_add_u16_e32 v41, v6, v68
	v_add_u32_e32 v54, v56, v29
	v_cndmask_b32_e64 v6, 0, v41, s[20:21]
	;; [unrolled: 4-line block ×3, first 2 shown]
	v_add_u32_e32 v48, v50, v24
	v_add_u16_e32 v37, v6, v66
	ds_read_b32 v6, v10 offset:1064
	v_add_u32_e32 v46, v48, v25
	v_and_b32_e32 v63, 0xffff, v8
	ds_read_u16 v8, v10 offset:1068
	v_add_u32_e32 v44, v46, v22
	v_add_u32_e32 v42, v44, v23
	;; [unrolled: 1-line block ×4, first 2 shown]
	v_cndmask_b32_e32 v9, 0, v37, vcc
	s_waitcnt lgkmcnt(1)
	v_cmp_eq_u32_e32 vcc, 0, v6
	v_add_u32_e32 v36, v38, v18
	v_cndmask_b32_e32 v7, 0, v7, vcc
	v_add_u32_e32 v34, v36, v19
	v_add_u16_e32 v35, v9, v64
	s_waitcnt lgkmcnt(0)
	v_add_u16_e32 v30, v7, v8
	s_and_saveexec_b64 s[0:1], s[24:25]
	s_cbranch_execz .LBB451_154
; %bb.153:
	s_add_u32 s2, s44, 0x400
	s_addc_u32 s3, s45, 0
	v_and_b32_e32 v7, 0xff00, v30
	v_mov_b32_e32 v9, 0
	v_or_b32_sdwa v7, v7, v30 dst_sel:DWORD dst_unused:UNUSED_PAD src0_sel:DWORD src1_sel:BYTE_0
	v_mov_b32_e32 v8, 2
	v_pk_mov_b32 v[10:11], s[2:3], s[2:3] op_sel:[0,1]
	;;#ASMSTART
	global_store_dwordx4 v[10:11], v[6:9] off	
s_waitcnt vmcnt(0)
	;;#ASMEND
.LBB451_154:
	s_or_b64 exec, exec, s[0:1]
	v_mov_b32_e32 v8, 0
.LBB451_155:
	s_and_b64 s[0:1], s[30:31], exec
	s_cselect_b32 s1, 0, s59
	s_cselect_b32 s0, 0, s58
	s_cmp_eq_u64 s[0:1], 0
	v_pk_mov_b32 v[32:33], 0, 0
	s_waitcnt lgkmcnt(0)
	s_barrier
	s_cbranch_scc1 .LBB451_157
; %bb.156:
	v_mov_b32_e32 v7, 0
	global_load_dwordx2 v[32:33], v7, s[0:1]
.LBB451_157:
	s_waitcnt vmcnt(0)
	v_lshlrev_b64 v[64:65], 1, v[32:33]
	v_mov_b32_e32 v7, s43
	v_add_co_u32_e32 v10, vcc, s42, v64
	v_mov_b32_e32 v9, 0
	v_addc_co_u32_e32 v11, vcc, v7, v65, vcc
	v_lshlrev_b64 v[66:67], 1, v[8:9]
	v_add_co_u32_e32 v7, vcc, v10, v66
	v_addc_co_u32_e32 v9, vcc, v11, v67, vcc
	v_cmp_eq_u32_e32 vcc, 0, v78
	v_cndmask_b32_e64 v10, 1, 2, vcc
	v_cmp_eq_u32_e32 vcc, 0, v31
	v_cndmask_b32_e64 v11, 1, 2, vcc
	v_cmp_eq_u32_e32 vcc, 0, v28
	v_and_b32_e32 v10, v11, v10
	v_cndmask_b32_e64 v11, 1, 2, vcc
	v_cmp_eq_u32_e32 vcc, 0, v29
	v_and_b32_e32 v10, v10, v11
	;; [unrolled: 3-line block ×13, first 2 shown]
	v_cndmask_b32_e64 v11, 1, 2, vcc
	s_movk_i32 s30, 0x100
	v_and_b32_e32 v10, v10, v11
	v_cmp_gt_u32_e32 vcc, s30, v6
	v_cmp_ne_u32_e64 s[28:29], 0, v78
	v_cmp_ne_u32_e64 s[26:27], 0, v31
	;; [unrolled: 1-line block ×15, first 2 shown]
	s_mov_b64 s[38:39], -1
	v_cmp_gt_i16_e64 s[30:31], 2, v10
	s_cbranch_vccz .LBB451_164
; %bb.158:
	s_and_saveexec_b64 s[38:39], s[30:31]
	s_cbranch_execz .LBB451_163
; %bb.159:
	v_cmp_ne_u16_e32 vcc, 1, v10
	s_mov_b64 s[40:41], 0
	s_and_saveexec_b64 s[30:31], vcc
	s_xor_b64 s[30:31], exec, s[30:31]
	s_cbranch_execnz .LBB451_253
; %bb.160:
	s_andn2_saveexec_b64 s[30:31], s[30:31]
	s_cbranch_execnz .LBB451_269
.LBB451_161:
	s_or_b64 exec, exec, s[30:31]
	s_and_b64 exec, exec, s[40:41]
	s_cbranch_execz .LBB451_163
.LBB451_162:
	v_sub_u32_e32 v12, v34, v8
	v_mov_b32_e32 v13, 0
	v_lshlrev_b64 v[12:13], 1, v[12:13]
	v_add_co_u32_e32 v12, vcc, v7, v12
	v_addc_co_u32_e32 v13, vcc, v9, v13, vcc
	global_store_short_d16_hi v[12:13], v16, off
.LBB451_163:
	s_or_b64 exec, exec, s[38:39]
	s_mov_b64 s[38:39], 0
.LBB451_164:
	s_and_b64 vcc, exec, s[38:39]
	s_cbranch_vccz .LBB451_186
; %bb.165:
	v_cmp_gt_i16_e32 vcc, 2, v10
	s_and_saveexec_b64 s[30:31], vcc
	s_cbranch_execz .LBB451_170
; %bb.166:
	v_cmp_ne_u16_e32 vcc, 1, v10
	s_mov_b64 s[40:41], 0
	s_and_saveexec_b64 s[38:39], vcc
	s_xor_b64 s[38:39], exec, s[38:39]
	s_cbranch_execnz .LBB451_270
; %bb.167:
	s_andn2_saveexec_b64 s[0:1], s[38:39]
	s_cbranch_execnz .LBB451_286
.LBB451_168:
	s_or_b64 exec, exec, s[0:1]
	s_and_b64 exec, exec, s[40:41]
	s_cbranch_execz .LBB451_170
.LBB451_169:
	v_sub_u32_e32 v1, v34, v8
	v_lshlrev_b32_e32 v1, 1, v1
	ds_write_b16_d16_hi v1, v16
.LBB451_170:
	s_or_b64 exec, exec, s[30:31]
	v_cmp_lt_u32_e32 vcc, v0, v6
	s_waitcnt lgkmcnt(0)
	s_barrier
	s_and_saveexec_b64 s[2:3], vcc
	s_cbranch_execz .LBB451_185
; %bb.171:
	v_xad_u32 v1, v0, -1, v6
	s_movk_i32 s0, 0x1700
	v_cmp_gt_u32_e64 s[4:5], s0, v1
	s_movk_i32 s0, 0x16ff
	v_cmp_lt_u32_e32 vcc, s0, v1
	v_mov_b32_e32 v2, v0
	s_and_saveexec_b64 s[6:7], vcc
	s_cbranch_execz .LBB451_182
; %bb.172:
	v_sub_u32_e32 v2, v0, v6
	v_or_b32_e32 v2, 0xff, v2
	v_cmp_ge_u32_e32 vcc, v2, v0
	s_mov_b64 s[0:1], -1
	v_mov_b32_e32 v2, v0
	s_and_saveexec_b64 s[8:9], vcc
	s_cbranch_execz .LBB451_181
; %bb.173:
	v_lshrrev_b32_e32 v14, 8, v1
	v_or_b32_e32 v3, 0x300, v0
	v_or_b32_e32 v2, 0x200, v0
	v_add_u32_e32 v4, -3, v14
	v_or_b32_e32 v1, 0x100, v0
	v_lshrrev_b32_e32 v5, 2, v4
	v_pk_mov_b32 v[12:13], v[2:3], v[2:3] op_sel:[0,1]
	v_add_u32_e32 v15, 1, v5
	v_cmp_lt_u32_e32 vcc, 11, v4
	v_mov_b32_e32 v69, 0
	v_pk_mov_b32 v[10:11], v[0:1], v[0:1] op_sel:[0,1]
	s_and_saveexec_b64 s[10:11], vcc
	s_cbranch_execz .LBB451_177
; %bb.174:
	v_pk_mov_b32 v[12:13], v[2:3], v[2:3] op_sel:[0,1]
	v_and_b32_e32 v16, 0x7ffffffc, v15
	v_lshlrev_b32_e32 v68, 1, v0
	s_mov_b32 s14, 0
	s_mov_b64 s[12:13], 0
	v_mov_b32_e32 v5, 0
	v_pk_mov_b32 v[10:11], v[0:1], v[0:1] op_sel:[0,1]
.LBB451_175:                            ; =>This Inner Loop Header: Depth=1
	v_mov_b32_e32 v4, v10
	v_lshlrev_b64 v[88:89], 1, v[4:5]
	v_add_u32_e32 v72, 0x400, v11
	v_mov_b32_e32 v73, v5
	v_add_co_u32_e64 v88, s[0:1], v7, v88
	v_lshlrev_b64 v[72:73], 1, v[72:73]
	v_addc_co_u32_e64 v89, s[0:1], v9, v89, s[0:1]
	v_add_u32_e32 v70, 0x400, v12
	v_mov_b32_e32 v71, v5
	v_add_co_u32_e64 v72, s[0:1], v7, v72
	v_lshlrev_b64 v[70:71], 1, v[70:71]
	v_addc_co_u32_e64 v73, s[0:1], v9, v73, s[0:1]
	v_add_u32_e32 v2, 0x400, v13
	v_mov_b32_e32 v3, v5
	v_add_co_u32_e64 v70, s[0:1], v7, v70
	v_add_u32_e32 v16, -4, v16
	v_mov_b32_e32 v4, v11
	v_lshlrev_b64 v[2:3], 1, v[2:3]
	v_addc_co_u32_e64 v71, s[0:1], v9, v71, s[0:1]
	v_add_u32_e32 v80, 0x800, v11
	v_mov_b32_e32 v81, v5
	s_add_i32 s14, s14, 16
	v_cmp_eq_u32_e32 vcc, 0, v16
	v_lshlrev_b64 v[90:91], 1, v[4:5]
	v_add_co_u32_e64 v2, s[0:1], v7, v2
	v_lshlrev_b64 v[80:81], 1, v[80:81]
	v_mov_b32_e32 v4, v12
	v_addc_co_u32_e64 v3, s[0:1], v9, v3, s[0:1]
	s_or_b64 s[12:13], vcc, s[12:13]
	v_add_co_u32_e32 v90, vcc, v7, v90
	v_add_u32_e32 v76, 0x800, v12
	v_mov_b32_e32 v77, v5
	v_add_co_u32_e64 v80, s[0:1], v7, v80
	v_addc_co_u32_e32 v91, vcc, v9, v91, vcc
	v_lshlrev_b64 v[92:93], 1, v[4:5]
	v_lshlrev_b64 v[76:77], 1, v[76:77]
	v_addc_co_u32_e64 v81, s[0:1], v9, v81, s[0:1]
	v_mov_b32_e32 v4, v13
	v_add_co_u32_e32 v92, vcc, v7, v92
	ds_read_u16 v1, v68
	ds_read_u16 v79, v68 offset:512
	ds_read_u16 v96, v68 offset:1024
	;; [unrolled: 1-line block ×7, first 2 shown]
	v_add_u32_e32 v74, 0x800, v13
	v_mov_b32_e32 v75, v5
	v_add_co_u32_e64 v76, s[0:1], v7, v76
	v_addc_co_u32_e32 v93, vcc, v9, v93, vcc
	v_lshlrev_b64 v[94:95], 1, v[4:5]
	v_lshlrev_b64 v[74:75], 1, v[74:75]
	v_addc_co_u32_e64 v77, s[0:1], v9, v77, s[0:1]
	v_add_u32_e32 v4, 0x400, v10
	v_add_co_u32_e32 v94, vcc, v7, v94
	v_add_u32_e32 v86, 0xc00, v11
	v_mov_b32_e32 v87, v5
	ds_read_u16 v102, v68 offset:4096
	ds_read_u16 v103, v68 offset:4608
	ds_read_u16 v104, v68 offset:5120
	ds_read_u16 v105, v68 offset:5632
	ds_read_u16 v106, v68 offset:6144
	ds_read_u16 v107, v68 offset:6656
	ds_read_u16 v108, v68 offset:7168
	ds_read_u16 v109, v68 offset:7680
	v_add_co_u32_e64 v74, s[0:1], v7, v74
	v_addc_co_u32_e32 v95, vcc, v9, v95, vcc
	s_waitcnt lgkmcnt(14)
	global_store_short v[88:89], v1, off
	global_store_short v[90:91], v79, off
	s_waitcnt lgkmcnt(13)
	global_store_short v[92:93], v96, off
	v_lshlrev_b64 v[88:89], 1, v[4:5]
	v_lshlrev_b64 v[86:87], 1, v[86:87]
	v_addc_co_u32_e64 v75, s[0:1], v9, v75, s[0:1]
	v_add_u32_e32 v4, 0x800, v10
	v_add_co_u32_e32 v88, vcc, v7, v88
	v_add_u32_e32 v84, 0xc00, v12
	v_mov_b32_e32 v85, v5
	v_add_co_u32_e64 v86, s[0:1], v7, v86
	v_addc_co_u32_e32 v89, vcc, v9, v89, vcc
	v_lshlrev_b64 v[90:91], 1, v[4:5]
	v_lshlrev_b64 v[84:85], 1, v[84:85]
	v_addc_co_u32_e64 v87, s[0:1], v9, v87, s[0:1]
	s_waitcnt lgkmcnt(12)
	global_store_short v[94:95], v97, off
	v_add_u32_e32 v4, 0xc00, v10
	s_waitcnt lgkmcnt(11)
	global_store_short v[88:89], v98, off
	s_waitcnt lgkmcnt(10)
	global_store_short v[72:73], v99, off
	;; [unrolled: 2-line block ×4, first 2 shown]
	v_add_co_u32_e32 v2, vcc, v7, v90
	v_add_u32_e32 v82, 0xc00, v13
	v_mov_b32_e32 v83, v5
	v_add_co_u32_e64 v84, s[0:1], v7, v84
	v_addc_co_u32_e32 v3, vcc, v9, v91, vcc
	v_lshlrev_b64 v[70:71], 1, v[4:5]
	v_lshlrev_b64 v[82:83], 1, v[82:83]
	v_addc_co_u32_e64 v85, s[0:1], v9, v85, s[0:1]
	s_waitcnt lgkmcnt(7)
	global_store_short v[2:3], v102, off
	s_waitcnt lgkmcnt(6)
	global_store_short v[80:81], v103, off
	;; [unrolled: 2-line block ×4, first 2 shown]
	v_add_co_u32_e32 v2, vcc, v7, v70
	v_add_u32_e32 v68, 0x2000, v68
	v_add_u32_e32 v11, 0x1000, v11
	v_mov_b32_e32 v69, s14
	v_add_co_u32_e64 v82, s[0:1], v7, v82
	v_add_u32_e32 v12, 0x1000, v12
	v_add_u32_e32 v13, 0x1000, v13
	;; [unrolled: 1-line block ×3, first 2 shown]
	v_addc_co_u32_e32 v3, vcc, v9, v71, vcc
	v_addc_co_u32_e64 v83, s[0:1], v9, v83, s[0:1]
	s_waitcnt lgkmcnt(3)
	global_store_short v[2:3], v106, off
	s_waitcnt lgkmcnt(2)
	global_store_short v[86:87], v107, off
	;; [unrolled: 2-line block ×4, first 2 shown]
	s_andn2_b64 exec, exec, s[12:13]
	s_cbranch_execnz .LBB451_175
; %bb.176:
	s_or_b64 exec, exec, s[12:13]
.LBB451_177:
	s_or_b64 exec, exec, s[10:11]
	v_and_b32_e32 v1, 3, v15
	v_cmp_ne_u32_e32 vcc, 0, v1
	s_and_saveexec_b64 s[10:11], vcc
	s_cbranch_execz .LBB451_180
; %bb.178:
	v_lshlrev_b32_e32 v2, 1, v0
	v_lshl_or_b32 v4, v69, 9, v2
	s_mov_b64 s[12:13], 0
	v_mov_b32_e32 v3, 0
.LBB451_179:                            ; =>This Inner Loop Header: Depth=1
	v_mov_b32_e32 v2, v10
	v_add_u32_e32 v1, -1, v1
	v_lshlrev_b64 v[68:69], 1, v[2:3]
	v_mov_b32_e32 v2, v11
	v_cmp_eq_u32_e32 vcc, 0, v1
	v_lshlrev_b64 v[70:71], 1, v[2:3]
	ds_read_u16 v5, v4
	ds_read_u16 v15, v4 offset:512
	ds_read_u16 v16, v4 offset:1024
	;; [unrolled: 1-line block ×3, first 2 shown]
	v_mov_b32_e32 v2, v12
	s_or_b64 s[12:13], vcc, s[12:13]
	v_add_co_u32_e32 v70, vcc, v7, v70
	v_addc_co_u32_e32 v71, vcc, v9, v71, vcc
	v_lshlrev_b64 v[72:73], 1, v[2:3]
	v_mov_b32_e32 v2, v13
	v_add_co_u32_e32 v72, vcc, v7, v72
	v_add_co_u32_e64 v68, s[0:1], v7, v68
	v_addc_co_u32_e32 v73, vcc, v9, v73, vcc
	v_lshlrev_b64 v[74:75], 1, v[2:3]
	v_add_u32_e32 v10, 0x400, v10
	v_add_u32_e32 v4, 0x800, v4
	;; [unrolled: 1-line block ×3, first 2 shown]
	v_addc_co_u32_e64 v69, s[0:1], v9, v69, s[0:1]
	v_add_u32_e32 v12, 0x400, v12
	v_add_u32_e32 v13, 0x400, v13
	v_add_co_u32_e32 v74, vcc, v7, v74
	v_addc_co_u32_e32 v75, vcc, v9, v75, vcc
	s_waitcnt lgkmcnt(3)
	global_store_short v[68:69], v5, off
	s_waitcnt lgkmcnt(2)
	global_store_short v[70:71], v15, off
	;; [unrolled: 2-line block ×4, first 2 shown]
	s_andn2_b64 exec, exec, s[12:13]
	s_cbranch_execnz .LBB451_179
.LBB451_180:
	s_or_b64 exec, exec, s[10:11]
	v_add_u32_e32 v1, 1, v14
	v_and_b32_e32 v3, 0x1fffffc, v1
	v_cmp_ne_u32_e32 vcc, v1, v3
	v_lshl_or_b32 v2, v3, 8, v0
	s_orn2_b64 s[0:1], vcc, exec
.LBB451_181:
	s_or_b64 exec, exec, s[8:9]
	s_andn2_b64 s[4:5], s[4:5], exec
	s_and_b64 s[0:1], s[0:1], exec
	s_or_b64 s[4:5], s[4:5], s[0:1]
.LBB451_182:
	s_or_b64 exec, exec, s[6:7]
	s_and_b64 exec, exec, s[4:5]
	s_cbranch_execz .LBB451_185
; %bb.183:
	v_lshlrev_b32_e32 v1, 1, v2
	s_mov_b64 s[0:1], 0
	v_mov_b32_e32 v3, 0
.LBB451_184:                            ; =>This Inner Loop Header: Depth=1
	v_lshlrev_b64 v[4:5], 1, v[2:3]
	ds_read_u16 v10, v1
	v_add_co_u32_e32 v4, vcc, v7, v4
	v_add_u32_e32 v2, 0x100, v2
	v_addc_co_u32_e32 v5, vcc, v9, v5, vcc
	v_cmp_ge_u32_e32 vcc, v2, v6
	v_add_u32_e32 v1, 0x200, v1
	s_or_b64 s[0:1], vcc, s[0:1]
	s_waitcnt lgkmcnt(0)
	global_store_short v[4:5], v10, off
	s_andn2_b64 exec, exec, s[0:1]
	s_cbranch_execnz .LBB451_184
.LBB451_185:
	s_or_b64 exec, exec, s[2:3]
.LBB451_186:
	s_cmpk_lg_i32 s33, 0xf00
	s_cselect_b64 s[0:1], -1, 0
	v_cndmask_b32_e64 v1, 0, 1, s[36:37]
	s_and_b64 s[0:1], s[34:35], s[0:1]
	v_cmp_eq_u32_e32 vcc, 0, v0
	v_sub_u32_e32 v3, v6, v1
	v_cndmask_b32_e64 v2, 0, 1, s[0:1]
	s_and_b64 s[0:1], vcc, s[36:37]
	v_add_u32_e32 v7, v3, v2
	v_cndmask_b32_e64 v3, v78, 0, s[0:1]
	s_mul_hi_u32 s0, s33, 0x88888889
	s_lshr_b32 s0, s0, 3
	v_mad_i32_i24 v4, v0, -15, s33
	v_cmp_eq_u32_e32 vcc, s0, v0
	v_cmp_ne_u32_e64 s[0:1], 0, v4
	v_cndmask_b32_e64 v5, 1, v3, s[0:1]
	v_cmp_ne_u32_e64 s[0:1], 1, v4
	v_cndmask_b32_e64 v9, 1, v31, s[0:1]
	;; [unrolled: 2-line block ×15, first 2 shown]
	s_and_b64 vcc, s[34:35], vcc
	v_cndmask_b32_e32 v4, v17, v4, vcc
	v_cndmask_b32_e32 v17, v19, v72, vcc
	;; [unrolled: 1-line block ×15, first 2 shown]
	v_mov_b32_e32 v3, s53
	v_add_co_u32_e32 v9, vcc, s52, v64
	v_addc_co_u32_e32 v3, vcc, v3, v65, vcc
	v_add_co_u32_e32 v9, vcc, v9, v66
	v_addc_co_u32_e32 v14, vcc, v3, v67, vcc
	v_lshlrev_b32_e32 v3, 1, v1
	v_add_co_u32_e32 v3, vcc, v3, v9
	v_addc_co_u32_e32 v16, vcc, 0, v14, vcc
	v_add_co_u32_e32 v15, vcc, -2, v3
	v_addc_co_u32_e32 v16, vcc, -1, v16, vcc
	v_cmp_eq_u32_e32 vcc, 0, v5
	v_cmp_ne_u32_e64 s[28:29], 0, v5
	v_cndmask_b32_e64 v5, 1, 2, vcc
	v_cmp_eq_u32_e32 vcc, 0, v25
	v_cmp_ne_u32_e64 s[26:27], 0, v25
	v_cndmask_b32_e64 v25, 1, 2, vcc
	v_cmp_eq_u32_e32 vcc, 0, v10
	v_and_b32_e32 v5, v25, v5
	v_cmp_ne_u32_e64 s[24:25], 0, v10
	v_cndmask_b32_e64 v10, 1, 2, vcc
	v_cmp_eq_u32_e32 vcc, 0, v11
	v_and_b32_e32 v5, v5, v10
	v_cndmask_b32_e64 v10, 1, 2, vcc
	v_cmp_eq_u32_e32 vcc, 0, v12
	v_and_b32_e32 v5, v5, v10
	;; [unrolled: 3-line block ×12, first 2 shown]
	v_cmp_ne_u32_e64 s[0:1], 0, v4
	v_cndmask_b32_e64 v4, 1, 2, vcc
	s_movk_i32 s30, 0x100
	v_and_b32_e32 v4, v5, v4
	v_cmp_gt_u32_e32 vcc, s30, v7
	v_add_u32_e32 v3, v8, v1
	v_cmp_ne_u32_e64 s[22:23], 0, v11
	v_cmp_ne_u32_e64 s[20:21], 0, v12
	;; [unrolled: 1-line block ×11, first 2 shown]
	s_mov_b64 s[36:37], -1
	v_cmp_gt_i16_e64 s[30:31], 2, v4
	s_barrier
	s_cbranch_vccz .LBB451_193
; %bb.187:
	s_and_saveexec_b64 s[36:37], s[30:31]
	s_cbranch_execz .LBB451_192
; %bb.188:
	v_cmp_ne_u16_e32 vcc, 1, v4
	s_mov_b64 s[38:39], 0
	s_and_saveexec_b64 s[30:31], vcc
	s_xor_b64 s[30:31], exec, s[30:31]
	s_cbranch_execnz .LBB451_287
; %bb.189:
	s_andn2_saveexec_b64 s[30:31], s[30:31]
	s_cbranch_execnz .LBB451_303
.LBB451_190:
	s_or_b64 exec, exec, s[30:31]
	s_and_b64 exec, exec, s[38:39]
	s_cbranch_execz .LBB451_192
.LBB451_191:
	v_sub_u32_e32 v10, v34, v3
	v_mov_b32_e32 v11, 0
	v_lshlrev_b64 v[10:11], 1, v[10:11]
	v_add_co_u32_e32 v10, vcc, v15, v10
	v_addc_co_u32_e32 v11, vcc, v16, v11, vcc
	global_store_short v[10:11], v35, off
.LBB451_192:
	s_or_b64 exec, exec, s[36:37]
	s_mov_b64 s[36:37], 0
.LBB451_193:
	s_and_b64 vcc, exec, s[36:37]
	s_cbranch_vccz .LBB451_215
; %bb.194:
	v_cmp_gt_i16_e32 vcc, 2, v4
	s_and_saveexec_b64 s[30:31], vcc
	s_cbranch_execz .LBB451_199
; %bb.195:
	v_cmp_ne_u16_e32 vcc, 1, v4
	s_mov_b64 s[38:39], 0
	s_and_saveexec_b64 s[36:37], vcc
	s_xor_b64 s[36:37], exec, s[36:37]
	s_cbranch_execnz .LBB451_304
; %bb.196:
	s_andn2_saveexec_b64 s[0:1], s[36:37]
	s_cbranch_execnz .LBB451_320
.LBB451_197:
	s_or_b64 exec, exec, s[0:1]
	s_and_b64 exec, exec, s[38:39]
	s_cbranch_execz .LBB451_199
.LBB451_198:
	v_sub_u32_e32 v3, v34, v3
	v_lshlrev_b32_e32 v3, 1, v3
	ds_write_b16 v3, v35
.LBB451_199:
	s_or_b64 exec, exec, s[30:31]
	v_cmp_lt_u32_e32 vcc, v0, v7
	s_waitcnt lgkmcnt(0)
	s_barrier
	s_and_saveexec_b64 s[2:3], vcc
	s_cbranch_execz .LBB451_214
; %bb.200:
	v_add_u32_e32 v4, v6, v2
	v_xad_u32 v2, v0, -1, v4
	v_sub_u32_e32 v3, v2, v1
	s_movk_i32 s0, 0x1b00
	v_cmp_gt_u32_e64 s[4:5], s0, v3
	s_movk_i32 s0, 0x1aff
	v_cmp_lt_u32_e32 vcc, s0, v3
	v_mov_b32_e32 v2, v0
	s_and_saveexec_b64 s[6:7], vcc
	s_cbranch_execz .LBB451_211
; %bb.201:
	v_sub_u32_e32 v2, v0, v4
	v_add_u32_e32 v1, v2, v1
	v_or_b32_e32 v1, 0xff, v1
	v_cmp_ge_u32_e32 vcc, v1, v0
	s_mov_b64 s[0:1], -1
	v_mov_b32_e32 v2, v0
	s_and_saveexec_b64 s[8:9], vcc
	s_cbranch_execz .LBB451_210
; %bb.202:
	v_lshrrev_b32_e32 v17, 8, v3
	v_or_b32_e32 v3, 0x300, v0
	v_or_b32_e32 v2, 0x200, v0
	v_add_u32_e32 v4, -3, v17
	v_or_b32_e32 v1, 0x100, v0
	v_lshrrev_b32_e32 v5, 2, v4
	v_pk_mov_b32 v[12:13], v[2:3], v[2:3] op_sel:[0,1]
	v_add_u32_e32 v19, 1, v5
	v_cmp_lt_u32_e32 vcc, 11, v4
	v_mov_b32_e32 v22, 0
	v_lshlrev_b32_e32 v18, 1, v0
	v_pk_mov_b32 v[10:11], v[0:1], v[0:1] op_sel:[0,1]
	s_and_saveexec_b64 s[10:11], vcc
	s_cbranch_execz .LBB451_206
; %bb.203:
	v_pk_mov_b32 v[12:13], v[2:3], v[2:3] op_sel:[0,1]
	v_and_b32_e32 v20, 0x7ffffffc, v19
	s_mov_b32 s14, 0
	s_mov_b64 s[12:13], 0
	v_mov_b32_e32 v5, 0
	v_mov_b32_e32 v21, v18
	v_pk_mov_b32 v[10:11], v[0:1], v[0:1] op_sel:[0,1]
.LBB451_204:                            ; =>This Inner Loop Header: Depth=1
	v_mov_b32_e32 v4, v10
	v_lshlrev_b64 v[42:43], 1, v[4:5]
	v_add_u32_e32 v24, 0x400, v11
	v_mov_b32_e32 v25, v5
	v_add_co_u32_e64 v42, s[0:1], v15, v42
	v_lshlrev_b64 v[24:25], 1, v[24:25]
	v_addc_co_u32_e64 v43, s[0:1], v16, v43, s[0:1]
	v_add_u32_e32 v22, 0x400, v12
	v_mov_b32_e32 v23, v5
	v_add_co_u32_e64 v24, s[0:1], v15, v24
	v_lshlrev_b64 v[44:45], 1, v[22:23]
	v_addc_co_u32_e64 v25, s[0:1], v16, v25, s[0:1]
	v_add_u32_e32 v2, 0x400, v13
	v_mov_b32_e32 v3, v5
	v_add_co_u32_e64 v44, s[0:1], v15, v44
	v_add_u32_e32 v20, -4, v20
	v_mov_b32_e32 v4, v11
	v_lshlrev_b64 v[2:3], 1, v[2:3]
	v_addc_co_u32_e64 v45, s[0:1], v16, v45, s[0:1]
	v_add_u32_e32 v34, 0x800, v11
	v_mov_b32_e32 v35, v5
	s_add_i32 s14, s14, 16
	v_cmp_eq_u32_e32 vcc, 0, v20
	v_lshlrev_b64 v[46:47], 1, v[4:5]
	v_add_co_u32_e64 v2, s[0:1], v15, v2
	v_lshlrev_b64 v[34:35], 1, v[34:35]
	v_mov_b32_e32 v4, v12
	v_addc_co_u32_e64 v3, s[0:1], v16, v3, s[0:1]
	s_or_b64 s[12:13], vcc, s[12:13]
	v_add_co_u32_e32 v46, vcc, v15, v46
	v_add_u32_e32 v28, 0x800, v12
	v_mov_b32_e32 v29, v5
	v_add_co_u32_e64 v34, s[0:1], v15, v34
	v_addc_co_u32_e32 v47, vcc, v16, v47, vcc
	v_lshlrev_b64 v[48:49], 1, v[4:5]
	v_lshlrev_b64 v[28:29], 1, v[28:29]
	v_addc_co_u32_e64 v35, s[0:1], v16, v35, s[0:1]
	v_mov_b32_e32 v4, v13
	v_add_co_u32_e32 v48, vcc, v15, v48
	ds_read_u16 v1, v21
	ds_read_u16 v31, v21 offset:512
	ds_read_u16 v52, v21 offset:1024
	;; [unrolled: 1-line block ×7, first 2 shown]
	v_add_u32_e32 v26, 0x800, v13
	v_mov_b32_e32 v27, v5
	v_add_co_u32_e64 v28, s[0:1], v15, v28
	v_addc_co_u32_e32 v49, vcc, v16, v49, vcc
	v_lshlrev_b64 v[50:51], 1, v[4:5]
	v_lshlrev_b64 v[26:27], 1, v[26:27]
	v_addc_co_u32_e64 v29, s[0:1], v16, v29, s[0:1]
	v_add_u32_e32 v4, 0x400, v10
	v_add_co_u32_e32 v50, vcc, v15, v50
	v_add_u32_e32 v40, 0xc00, v11
	v_mov_b32_e32 v41, v5
	ds_read_u16 v58, v21 offset:4096
	ds_read_u16 v59, v21 offset:4608
	;; [unrolled: 1-line block ×8, first 2 shown]
	v_add_co_u32_e64 v26, s[0:1], v15, v26
	v_addc_co_u32_e32 v51, vcc, v16, v51, vcc
	s_waitcnt lgkmcnt(14)
	global_store_short v[42:43], v1, off
	global_store_short v[46:47], v31, off
	s_waitcnt lgkmcnt(13)
	global_store_short v[48:49], v52, off
	v_lshlrev_b64 v[42:43], 1, v[4:5]
	v_lshlrev_b64 v[40:41], 1, v[40:41]
	v_addc_co_u32_e64 v27, s[0:1], v16, v27, s[0:1]
	v_add_u32_e32 v4, 0x800, v10
	v_add_co_u32_e32 v42, vcc, v15, v42
	v_add_u32_e32 v38, 0xc00, v12
	v_mov_b32_e32 v39, v5
	v_add_co_u32_e64 v40, s[0:1], v15, v40
	v_addc_co_u32_e32 v43, vcc, v16, v43, vcc
	v_lshlrev_b64 v[46:47], 1, v[4:5]
	v_lshlrev_b64 v[38:39], 1, v[38:39]
	v_addc_co_u32_e64 v41, s[0:1], v16, v41, s[0:1]
	s_waitcnt lgkmcnt(12)
	global_store_short v[50:51], v53, off
	v_add_u32_e32 v4, 0xc00, v10
	s_waitcnt lgkmcnt(11)
	global_store_short v[42:43], v54, off
	s_waitcnt lgkmcnt(10)
	global_store_short v[24:25], v55, off
	s_waitcnt lgkmcnt(9)
	global_store_short v[44:45], v56, off
	s_waitcnt lgkmcnt(8)
	global_store_short v[2:3], v57, off
	v_add_co_u32_e32 v2, vcc, v15, v46
	v_add_u32_e32 v36, 0xc00, v13
	v_mov_b32_e32 v37, v5
	v_add_co_u32_e64 v38, s[0:1], v15, v38
	v_addc_co_u32_e32 v3, vcc, v16, v47, vcc
	v_lshlrev_b64 v[24:25], 1, v[4:5]
	v_lshlrev_b64 v[36:37], 1, v[36:37]
	v_addc_co_u32_e64 v39, s[0:1], v16, v39, s[0:1]
	s_waitcnt lgkmcnt(7)
	global_store_short v[2:3], v58, off
	s_waitcnt lgkmcnt(6)
	global_store_short v[34:35], v59, off
	;; [unrolled: 2-line block ×4, first 2 shown]
	v_add_co_u32_e32 v2, vcc, v15, v24
	v_add_u32_e32 v21, 0x2000, v21
	v_add_u32_e32 v11, 0x1000, v11
	v_mov_b32_e32 v22, s14
	v_add_co_u32_e64 v36, s[0:1], v15, v36
	v_add_u32_e32 v12, 0x1000, v12
	v_add_u32_e32 v13, 0x1000, v13
	;; [unrolled: 1-line block ×3, first 2 shown]
	v_addc_co_u32_e32 v3, vcc, v16, v25, vcc
	v_addc_co_u32_e64 v37, s[0:1], v16, v37, s[0:1]
	s_waitcnt lgkmcnt(3)
	global_store_short v[2:3], v62, off
	s_waitcnt lgkmcnt(2)
	global_store_short v[40:41], v63, off
	;; [unrolled: 2-line block ×4, first 2 shown]
	s_andn2_b64 exec, exec, s[12:13]
	s_cbranch_execnz .LBB451_204
; %bb.205:
	s_or_b64 exec, exec, s[12:13]
.LBB451_206:
	s_or_b64 exec, exec, s[10:11]
	v_and_b32_e32 v1, 3, v19
	v_cmp_ne_u32_e32 vcc, 0, v1
	s_and_saveexec_b64 s[10:11], vcc
	s_cbranch_execz .LBB451_209
; %bb.207:
	v_lshl_or_b32 v4, v22, 9, v18
	s_mov_b64 s[12:13], 0
	v_mov_b32_e32 v3, 0
.LBB451_208:                            ; =>This Inner Loop Header: Depth=1
	v_mov_b32_e32 v2, v10
	v_add_u32_e32 v1, -1, v1
	v_lshlrev_b64 v[18:19], 1, v[2:3]
	v_mov_b32_e32 v2, v11
	v_cmp_eq_u32_e32 vcc, 0, v1
	v_lshlrev_b64 v[20:21], 1, v[2:3]
	ds_read_u16 v5, v4
	ds_read_u16 v26, v4 offset:512
	ds_read_u16 v27, v4 offset:1024
	;; [unrolled: 1-line block ×3, first 2 shown]
	v_mov_b32_e32 v2, v12
	s_or_b64 s[12:13], vcc, s[12:13]
	v_add_co_u32_e32 v20, vcc, v15, v20
	v_addc_co_u32_e32 v21, vcc, v16, v21, vcc
	v_lshlrev_b64 v[22:23], 1, v[2:3]
	v_mov_b32_e32 v2, v13
	v_add_co_u32_e32 v22, vcc, v15, v22
	v_add_co_u32_e64 v18, s[0:1], v15, v18
	v_addc_co_u32_e32 v23, vcc, v16, v23, vcc
	v_lshlrev_b64 v[24:25], 1, v[2:3]
	v_add_u32_e32 v10, 0x400, v10
	v_add_u32_e32 v4, 0x800, v4
	;; [unrolled: 1-line block ×3, first 2 shown]
	v_addc_co_u32_e64 v19, s[0:1], v16, v19, s[0:1]
	v_add_u32_e32 v12, 0x400, v12
	v_add_u32_e32 v13, 0x400, v13
	v_add_co_u32_e32 v24, vcc, v15, v24
	v_addc_co_u32_e32 v25, vcc, v16, v25, vcc
	s_waitcnt lgkmcnt(3)
	global_store_short v[18:19], v5, off
	s_waitcnt lgkmcnt(2)
	global_store_short v[20:21], v26, off
	;; [unrolled: 2-line block ×4, first 2 shown]
	s_andn2_b64 exec, exec, s[12:13]
	s_cbranch_execnz .LBB451_208
.LBB451_209:
	s_or_b64 exec, exec, s[10:11]
	v_add_u32_e32 v1, 1, v17
	v_and_b32_e32 v3, 0x1fffffc, v1
	v_cmp_ne_u32_e32 vcc, v1, v3
	v_lshl_or_b32 v2, v3, 8, v0
	s_orn2_b64 s[0:1], vcc, exec
.LBB451_210:
	s_or_b64 exec, exec, s[8:9]
	s_andn2_b64 s[4:5], s[4:5], exec
	s_and_b64 s[0:1], s[0:1], exec
	s_or_b64 s[4:5], s[4:5], s[0:1]
.LBB451_211:
	s_or_b64 exec, exec, s[6:7]
	s_and_b64 exec, exec, s[4:5]
	s_cbranch_execz .LBB451_214
; %bb.212:
	v_lshlrev_b32_e32 v1, 1, v2
	s_mov_b64 s[0:1], 0
	v_mov_b32_e32 v3, 0
.LBB451_213:                            ; =>This Inner Loop Header: Depth=1
	v_lshlrev_b64 v[4:5], 1, v[2:3]
	ds_read_u16 v10, v1
	v_add_co_u32_e32 v4, vcc, v15, v4
	v_add_u32_e32 v2, 0x100, v2
	v_addc_co_u32_e32 v5, vcc, v16, v5, vcc
	v_cmp_ge_u32_e32 vcc, v2, v7
	v_add_u32_e32 v1, 0x200, v1
	s_or_b64 s[0:1], vcc, s[0:1]
	s_waitcnt lgkmcnt(0)
	global_store_short v[4:5], v10, off
	s_andn2_b64 exec, exec, s[0:1]
	s_cbranch_execnz .LBB451_213
.LBB451_214:
	s_or_b64 exec, exec, s[2:3]
.LBB451_215:
	s_movk_i32 s0, 0xff
	v_cmp_eq_u32_e32 vcc, s0, v0
	s_and_b64 s[0:1], vcc, s[34:35]
	s_and_saveexec_b64 s[2:3], s[0:1]
	s_cbranch_execz .LBB451_218
; %bb.216:
	v_add_co_u32_e32 v0, vcc, v6, v8
	v_addc_co_u32_e64 v1, s[0:1], 0, 0, vcc
	v_add_co_u32_e32 v0, vcc, v0, v32
	v_mov_b32_e32 v7, 0
	v_addc_co_u32_e32 v1, vcc, v1, v33, vcc
	s_cmpk_lg_i32 s33, 0xf00
	global_store_dwordx2 v7, v[0:1], s[54:55]
	s_cbranch_scc1 .LBB451_218
; %bb.217:
	v_lshlrev_b64 v[0:1], 1, v[6:7]
	v_add_co_u32_e32 v0, vcc, v9, v0
	v_addc_co_u32_e32 v1, vcc, v14, v1, vcc
	global_store_short v[0:1], v30, off offset:-2
.LBB451_218:
	s_endpgm
.LBB451_219:
                                        ; implicit-def: $sgpr4_sgpr5
                                        ; implicit-def: $vgpr17
                                        ; implicit-def: $vgpr19
                                        ; implicit-def: $vgpr18
                                        ; implicit-def: $vgpr21
                                        ; implicit-def: $vgpr20
                                        ; implicit-def: $vgpr23
                                        ; implicit-def: $vgpr22
                                        ; implicit-def: $vgpr25
                                        ; implicit-def: $vgpr24
                                        ; implicit-def: $vgpr27
                                        ; implicit-def: $vgpr26
                                        ; implicit-def: $vgpr29
                                        ; implicit-def: $vgpr28
                                        ; implicit-def: $vgpr31
	s_cbranch_execz .LBB451_109
.LBB451_220:
	v_mad_u32_u24 v18, v0, 15, 14
	v_mov_b32_e32 v19, 0
	s_waitcnt vmcnt(0) lgkmcnt(0)
	v_lshlrev_b32_e32 v8, 1, v0
	v_lshrrev_b32_e32 v7, 16, v16
	v_mul_u32_u24_e32 v6, 15, v0
	v_cmp_gt_u64_e32 vcc, s[2:3], v[18:19]
	v_mov_b32_e32 v17, 0
	ds_write_b16 v8, v7
	s_and_saveexec_b64 s[4:5], vcc
; %bb.221:
	s_mov_b32 s7, 0xcccd
	v_mul_u32_u24_sdwa v9, v16, s7 dst_sel:DWORD dst_unused:UNUSED_PAD src0_sel:WORD_0 src1_sel:DWORD
	v_mul_u32_u24_sdwa v7, v7, s7 dst_sel:DWORD dst_unused:UNUSED_PAD src0_sel:WORD_0 src1_sel:DWORD
	v_lshrrev_b32_e32 v9, 19, v9
	v_lshrrev_b32_e32 v7, 19, v7
	v_cmp_ne_u16_e32 vcc, v9, v7
	v_cndmask_b32_e64 v17, 0, 1, vcc
; %bb.222:
	s_or_b64 exec, exec, s[4:5]
	v_add_u32_e32 v18, 13, v6
	v_cmp_gt_u64_e32 vcc, s[2:3], v[18:19]
	s_and_saveexec_b64 s[4:5], vcc
; %bb.223:
	s_mov_b32 s7, 0xcccd
	v_mul_u32_u24_sdwa v7, v15, s7 dst_sel:DWORD dst_unused:UNUSED_PAD src0_sel:WORD_1 src1_sel:DWORD
	v_mul_u32_u24_sdwa v9, v16, s7 dst_sel:DWORD dst_unused:UNUSED_PAD src0_sel:WORD_0 src1_sel:DWORD
	v_lshrrev_b32_e32 v7, 19, v7
	v_lshrrev_b32_e32 v9, 19, v9
	v_cmp_ne_u16_e32 vcc, v7, v9
	v_cndmask_b32_e64 v19, 0, 1, vcc
; %bb.224:
	s_or_b64 exec, exec, s[4:5]
	v_add_u32_e32 v20, 12, v6
	v_mov_b32_e32 v21, 0
	v_cmp_gt_u64_e32 vcc, s[2:3], v[20:21]
	v_mov_b32_e32 v18, 0
	s_and_saveexec_b64 s[4:5], vcc
; %bb.225:
	s_mov_b32 s7, 0xcccd
	v_mul_u32_u24_sdwa v7, v15, s7 dst_sel:DWORD dst_unused:UNUSED_PAD src0_sel:WORD_0 src1_sel:DWORD
	v_mul_u32_u24_sdwa v9, v15, s7 dst_sel:DWORD dst_unused:UNUSED_PAD src0_sel:WORD_1 src1_sel:DWORD
	v_lshrrev_b32_e32 v7, 19, v7
	v_lshrrev_b32_e32 v9, 19, v9
	v_cmp_ne_u16_e32 vcc, v7, v9
	v_cndmask_b32_e64 v18, 0, 1, vcc
; %bb.226:
	s_or_b64 exec, exec, s[4:5]
	v_add_u32_e32 v20, 11, v6
	v_cmp_gt_u64_e32 vcc, s[2:3], v[20:21]
	s_and_saveexec_b64 s[4:5], vcc
; %bb.227:
	s_mov_b32 s7, 0xcccd
	v_mul_u32_u24_sdwa v7, v14, s7 dst_sel:DWORD dst_unused:UNUSED_PAD src0_sel:WORD_1 src1_sel:DWORD
	v_mul_u32_u24_sdwa v9, v15, s7 dst_sel:DWORD dst_unused:UNUSED_PAD src0_sel:WORD_0 src1_sel:DWORD
	v_lshrrev_b32_e32 v7, 19, v7
	v_lshrrev_b32_e32 v9, 19, v9
	v_cmp_ne_u16_e32 vcc, v7, v9
	v_cndmask_b32_e64 v21, 0, 1, vcc
; %bb.228:
	s_or_b64 exec, exec, s[4:5]
	v_add_u32_e32 v22, 10, v6
	v_mov_b32_e32 v23, 0
	v_cmp_gt_u64_e32 vcc, s[2:3], v[22:23]
	v_mov_b32_e32 v20, 0
	s_and_saveexec_b64 s[4:5], vcc
; %bb.229:
	s_mov_b32 s7, 0xcccd
	v_mul_u32_u24_sdwa v7, v14, s7 dst_sel:DWORD dst_unused:UNUSED_PAD src0_sel:WORD_0 src1_sel:DWORD
	v_mul_u32_u24_sdwa v9, v14, s7 dst_sel:DWORD dst_unused:UNUSED_PAD src0_sel:WORD_1 src1_sel:DWORD
	;; [unrolled: 28-line block ×6, first 2 shown]
	v_lshrrev_b32_e32 v7, 19, v7
	v_lshrrev_b32_e32 v9, 19, v9
	v_cmp_ne_u16_e32 vcc, v7, v9
	v_cndmask_b32_e64 v28, 0, 1, vcc
; %bb.246:
	s_or_b64 exec, exec, s[4:5]
	v_add_u32_e32 v30, 1, v6
	v_cmp_gt_u64_e32 vcc, s[2:3], v[30:31]
	s_and_saveexec_b64 s[4:5], vcc
; %bb.247:
	s_mov_b32 s7, 0xcccd
	v_mul_u32_u24_sdwa v7, v1, s7 dst_sel:DWORD dst_unused:UNUSED_PAD src0_sel:WORD_0 src1_sel:DWORD
	v_mul_u32_u24_sdwa v9, v2, s7 dst_sel:DWORD dst_unused:UNUSED_PAD src0_sel:WORD_0 src1_sel:DWORD
	v_lshrrev_b32_e32 v7, 19, v7
	v_lshrrev_b32_e32 v9, 19, v9
	v_cmp_ne_u16_e32 vcc, v7, v9
	v_cndmask_b32_e64 v31, 0, 1, vcc
; %bb.248:
	s_or_b64 exec, exec, s[4:5]
	v_cmp_ne_u32_e32 vcc, 0, v0
	s_waitcnt lgkmcnt(0)
	s_barrier
	s_waitcnt lgkmcnt(0)
                                        ; implicit-def: $sgpr4_sgpr5
	s_and_saveexec_b64 s[8:9], vcc
	s_cbranch_execz .LBB451_252
; %bb.249:
	v_mov_b32_e32 v7, 0
	v_cmp_gt_u64_e32 vcc, s[2:3], v[6:7]
	s_mov_b64 s[4:5], 0
	s_and_saveexec_b64 s[2:3], vcc
	s_cbranch_execz .LBB451_251
; %bb.250:
	v_add_u32_e32 v6, -2, v8
	ds_read_u16 v6, v6
	s_mov_b32 s4, 0xcccd
	v_mul_u32_u24_sdwa v7, v1, s4 dst_sel:DWORD dst_unused:UNUSED_PAD src0_sel:WORD_0 src1_sel:DWORD
	v_lshrrev_b32_e32 v7, 19, v7
	s_waitcnt lgkmcnt(0)
	v_mul_u32_u24_e32 v6, 0xcccd, v6
	v_lshrrev_b32_e32 v6, 19, v6
	v_cmp_ne_u16_e32 vcc, v6, v7
	s_and_b64 s[4:5], vcc, exec
.LBB451_251:
	s_or_b64 exec, exec, s[2:3]
	s_and_b64 s[4:5], s[4:5], exec
	s_or_b64 s[0:1], s[0:1], exec
.LBB451_252:
	s_or_b64 exec, exec, s[8:9]
	s_mov_b32 s8, 1
	v_mov_b32_e32 v78, s8
	s_and_saveexec_b64 s[2:3], s[0:1]
	s_cbranch_execnz .LBB451_111
	s_branch .LBB451_112
.LBB451_253:
	s_and_saveexec_b64 s[40:41], s[28:29]
	s_cbranch_execnz .LBB451_321
; %bb.254:
	s_or_b64 exec, exec, s[40:41]
	s_and_saveexec_b64 s[40:41], s[26:27]
	s_cbranch_execnz .LBB451_322
.LBB451_255:
	s_or_b64 exec, exec, s[40:41]
	s_and_saveexec_b64 s[40:41], s[24:25]
	s_cbranch_execnz .LBB451_323
.LBB451_256:
	s_or_b64 exec, exec, s[40:41]
	s_and_saveexec_b64 s[40:41], s[22:23]
	s_cbranch_execnz .LBB451_324
.LBB451_257:
	s_or_b64 exec, exec, s[40:41]
	s_and_saveexec_b64 s[40:41], s[20:21]
	s_cbranch_execnz .LBB451_325
.LBB451_258:
	s_or_b64 exec, exec, s[40:41]
	s_and_saveexec_b64 s[40:41], s[18:19]
	s_cbranch_execnz .LBB451_326
.LBB451_259:
	s_or_b64 exec, exec, s[40:41]
	s_and_saveexec_b64 s[40:41], s[16:17]
	s_cbranch_execnz .LBB451_327
.LBB451_260:
	s_or_b64 exec, exec, s[40:41]
	s_and_saveexec_b64 s[40:41], s[14:15]
	s_cbranch_execnz .LBB451_328
.LBB451_261:
	s_or_b64 exec, exec, s[40:41]
	s_and_saveexec_b64 s[40:41], s[12:13]
	s_cbranch_execnz .LBB451_329
.LBB451_262:
	s_or_b64 exec, exec, s[40:41]
	s_and_saveexec_b64 s[40:41], s[10:11]
	s_cbranch_execnz .LBB451_330
.LBB451_263:
	s_or_b64 exec, exec, s[40:41]
	s_and_saveexec_b64 s[40:41], s[8:9]
	s_cbranch_execnz .LBB451_331
.LBB451_264:
	s_or_b64 exec, exec, s[40:41]
	s_and_saveexec_b64 s[40:41], s[6:7]
	s_cbranch_execnz .LBB451_332
.LBB451_265:
	s_or_b64 exec, exec, s[40:41]
	s_and_saveexec_b64 s[40:41], s[4:5]
	s_cbranch_execnz .LBB451_333
.LBB451_266:
	s_or_b64 exec, exec, s[40:41]
	s_and_saveexec_b64 s[40:41], s[2:3]
	s_cbranch_execz .LBB451_268
.LBB451_267:
	v_sub_u32_e32 v12, v36, v8
	v_mov_b32_e32 v13, 0
	v_lshlrev_b64 v[12:13], 1, v[12:13]
	v_add_co_u32_e32 v12, vcc, v7, v12
	v_addc_co_u32_e32 v13, vcc, v9, v13, vcc
	global_store_short v[12:13], v16, off
.LBB451_268:
	s_or_b64 exec, exec, s[40:41]
	s_and_b64 s[40:41], s[0:1], exec
	s_andn2_saveexec_b64 s[30:31], s[30:31]
	s_cbranch_execz .LBB451_161
.LBB451_269:
	v_sub_u32_e32 v12, v62, v8
	v_mov_b32_e32 v13, 0
	v_lshlrev_b64 v[68:69], 1, v[12:13]
	v_add_co_u32_e32 v68, vcc, v7, v68
	v_addc_co_u32_e32 v69, vcc, v9, v69, vcc
	v_sub_u32_e32 v12, v60, v8
	global_store_short v[68:69], v1, off
	v_lshlrev_b64 v[68:69], 1, v[12:13]
	v_add_co_u32_e32 v68, vcc, v7, v68
	v_addc_co_u32_e32 v69, vcc, v9, v69, vcc
	v_sub_u32_e32 v12, v58, v8
	global_store_short v[68:69], v2, off
	v_lshlrev_b64 v[68:69], 1, v[12:13]
	v_add_co_u32_e32 v68, vcc, v7, v68
	v_addc_co_u32_e32 v69, vcc, v9, v69, vcc
	v_sub_u32_e32 v12, v56, v8
	global_store_short_d16_hi v[68:69], v2, off
	v_lshlrev_b64 v[68:69], 1, v[12:13]
	v_add_co_u32_e32 v68, vcc, v7, v68
	v_addc_co_u32_e32 v69, vcc, v9, v69, vcc
	v_sub_u32_e32 v12, v54, v8
	global_store_short v[68:69], v3, off
	v_lshlrev_b64 v[68:69], 1, v[12:13]
	v_add_co_u32_e32 v68, vcc, v7, v68
	v_addc_co_u32_e32 v69, vcc, v9, v69, vcc
	v_sub_u32_e32 v12, v52, v8
	global_store_short_d16_hi v[68:69], v3, off
	;; [unrolled: 10-line block ×5, first 2 shown]
	v_lshlrev_b64 v[68:69], 1, v[12:13]
	v_add_co_u32_e32 v68, vcc, v7, v68
	v_addc_co_u32_e32 v69, vcc, v9, v69, vcc
	v_sub_u32_e32 v12, v38, v8
	global_store_short v[68:69], v15, off
	v_lshlrev_b64 v[68:69], 1, v[12:13]
	v_add_co_u32_e32 v68, vcc, v7, v68
	v_sub_u32_e32 v12, v36, v8
	v_addc_co_u32_e32 v69, vcc, v9, v69, vcc
	v_lshlrev_b64 v[12:13], 1, v[12:13]
	v_add_co_u32_e32 v12, vcc, v7, v12
	v_addc_co_u32_e32 v13, vcc, v9, v13, vcc
	s_or_b64 s[40:41], s[40:41], exec
	global_store_short_d16_hi v[68:69], v15, off
	global_store_short v[12:13], v16, off
	s_or_b64 exec, exec, s[30:31]
	s_and_b64 exec, exec, s[40:41]
	s_cbranch_execnz .LBB451_162
	s_branch .LBB451_163
.LBB451_270:
	s_and_saveexec_b64 s[40:41], s[28:29]
	s_cbranch_execnz .LBB451_334
; %bb.271:
	s_or_b64 exec, exec, s[40:41]
	s_and_saveexec_b64 s[28:29], s[26:27]
	s_cbranch_execnz .LBB451_335
.LBB451_272:
	s_or_b64 exec, exec, s[28:29]
	s_and_saveexec_b64 s[26:27], s[24:25]
	s_cbranch_execnz .LBB451_336
.LBB451_273:
	s_or_b64 exec, exec, s[26:27]
	s_and_saveexec_b64 s[24:25], s[22:23]
	s_cbranch_execnz .LBB451_337
.LBB451_274:
	s_or_b64 exec, exec, s[24:25]
	s_and_saveexec_b64 s[22:23], s[20:21]
	s_cbranch_execnz .LBB451_338
.LBB451_275:
	s_or_b64 exec, exec, s[22:23]
	s_and_saveexec_b64 s[20:21], s[18:19]
	s_cbranch_execnz .LBB451_339
.LBB451_276:
	s_or_b64 exec, exec, s[20:21]
	s_and_saveexec_b64 s[18:19], s[16:17]
	s_cbranch_execnz .LBB451_340
.LBB451_277:
	s_or_b64 exec, exec, s[18:19]
	s_and_saveexec_b64 s[16:17], s[14:15]
	s_cbranch_execnz .LBB451_341
.LBB451_278:
	s_or_b64 exec, exec, s[16:17]
	s_and_saveexec_b64 s[14:15], s[12:13]
	s_cbranch_execnz .LBB451_342
.LBB451_279:
	s_or_b64 exec, exec, s[14:15]
	s_and_saveexec_b64 s[12:13], s[10:11]
	s_cbranch_execnz .LBB451_343
.LBB451_280:
	s_or_b64 exec, exec, s[12:13]
	s_and_saveexec_b64 s[10:11], s[8:9]
	s_cbranch_execnz .LBB451_344
.LBB451_281:
	s_or_b64 exec, exec, s[10:11]
	s_and_saveexec_b64 s[8:9], s[6:7]
	s_cbranch_execnz .LBB451_345
.LBB451_282:
	s_or_b64 exec, exec, s[8:9]
	s_and_saveexec_b64 s[6:7], s[4:5]
	s_cbranch_execnz .LBB451_346
.LBB451_283:
	s_or_b64 exec, exec, s[6:7]
	s_and_saveexec_b64 s[4:5], s[2:3]
	s_cbranch_execz .LBB451_285
.LBB451_284:
	v_sub_u32_e32 v1, v36, v8
	v_lshlrev_b32_e32 v1, 1, v1
	ds_write_b16 v1, v16
.LBB451_285:
	s_or_b64 exec, exec, s[4:5]
	s_and_b64 s[40:41], s[0:1], exec
                                        ; implicit-def: $vgpr1
                                        ; implicit-def: $vgpr2
	s_andn2_saveexec_b64 s[0:1], s[38:39]
	s_cbranch_execz .LBB451_168
.LBB451_286:
	v_sub_u32_e32 v10, v62, v8
	v_lshlrev_b32_e32 v10, 1, v10
	ds_write_b16 v10, v1
	v_sub_u32_e32 v1, v60, v8
	v_lshlrev_b32_e32 v1, 1, v1
	ds_write_b16 v1, v2
	v_sub_u32_e32 v1, v58, v8
	v_lshlrev_b32_e32 v1, 1, v1
	ds_write_b16_d16_hi v1, v2
	v_sub_u32_e32 v1, v56, v8
	v_lshlrev_b32_e32 v1, 1, v1
	ds_write_b16 v1, v3
	v_sub_u32_e32 v1, v54, v8
	v_lshlrev_b32_e32 v1, 1, v1
	ds_write_b16_d16_hi v1, v3
	;; [unrolled: 6-line block ×6, first 2 shown]
	v_sub_u32_e32 v1, v36, v8
	v_lshlrev_b32_e32 v1, 1, v1
	s_or_b64 s[40:41], s[40:41], exec
	ds_write_b16 v1, v16
	s_or_b64 exec, exec, s[0:1]
	s_and_b64 exec, exec, s[40:41]
	s_cbranch_execnz .LBB451_169
	s_branch .LBB451_170
.LBB451_287:
	s_and_saveexec_b64 s[38:39], s[28:29]
	s_cbranch_execnz .LBB451_347
; %bb.288:
	s_or_b64 exec, exec, s[38:39]
	s_and_saveexec_b64 s[38:39], s[26:27]
	s_cbranch_execnz .LBB451_348
.LBB451_289:
	s_or_b64 exec, exec, s[38:39]
	s_and_saveexec_b64 s[38:39], s[24:25]
	s_cbranch_execnz .LBB451_349
.LBB451_290:
	s_or_b64 exec, exec, s[38:39]
	s_and_saveexec_b64 s[38:39], s[22:23]
	s_cbranch_execnz .LBB451_350
.LBB451_291:
	s_or_b64 exec, exec, s[38:39]
	s_and_saveexec_b64 s[38:39], s[20:21]
	s_cbranch_execnz .LBB451_351
.LBB451_292:
	s_or_b64 exec, exec, s[38:39]
	s_and_saveexec_b64 s[38:39], s[18:19]
	s_cbranch_execnz .LBB451_352
.LBB451_293:
	s_or_b64 exec, exec, s[38:39]
	s_and_saveexec_b64 s[38:39], s[16:17]
	s_cbranch_execnz .LBB451_353
.LBB451_294:
	s_or_b64 exec, exec, s[38:39]
	s_and_saveexec_b64 s[38:39], s[14:15]
	s_cbranch_execnz .LBB451_354
.LBB451_295:
	s_or_b64 exec, exec, s[38:39]
	s_and_saveexec_b64 s[38:39], s[12:13]
	s_cbranch_execnz .LBB451_355
.LBB451_296:
	s_or_b64 exec, exec, s[38:39]
	s_and_saveexec_b64 s[38:39], s[10:11]
	s_cbranch_execnz .LBB451_356
.LBB451_297:
	s_or_b64 exec, exec, s[38:39]
	s_and_saveexec_b64 s[38:39], s[8:9]
	s_cbranch_execnz .LBB451_357
.LBB451_298:
	s_or_b64 exec, exec, s[38:39]
	s_and_saveexec_b64 s[38:39], s[6:7]
	s_cbranch_execnz .LBB451_358
.LBB451_299:
	s_or_b64 exec, exec, s[38:39]
	s_and_saveexec_b64 s[38:39], s[4:5]
	s_cbranch_execnz .LBB451_359
.LBB451_300:
	s_or_b64 exec, exec, s[38:39]
	s_and_saveexec_b64 s[38:39], s[2:3]
	s_cbranch_execz .LBB451_302
.LBB451_301:
	v_sub_u32_e32 v10, v36, v3
	v_mov_b32_e32 v11, 0
	v_lshlrev_b64 v[10:11], 1, v[10:11]
	v_add_co_u32_e32 v10, vcc, v15, v10
	v_addc_co_u32_e32 v11, vcc, v16, v11, vcc
	global_store_short v[10:11], v37, off
.LBB451_302:
	s_or_b64 exec, exec, s[38:39]
	s_and_b64 s[38:39], s[0:1], exec
	s_andn2_saveexec_b64 s[30:31], s[30:31]
	s_cbranch_execz .LBB451_190
.LBB451_303:
	v_sub_u32_e32 v10, v62, v3
	v_mov_b32_e32 v11, 0
	v_lshlrev_b64 v[12:13], 1, v[10:11]
	v_add_co_u32_e32 v12, vcc, v15, v12
	v_addc_co_u32_e32 v13, vcc, v16, v13, vcc
	v_sub_u32_e32 v10, v60, v3
	global_store_short v[12:13], v63, off
	v_lshlrev_b64 v[12:13], 1, v[10:11]
	v_add_co_u32_e32 v12, vcc, v15, v12
	v_addc_co_u32_e32 v13, vcc, v16, v13, vcc
	v_sub_u32_e32 v10, v58, v3
	global_store_short v[12:13], v61, off
	v_lshlrev_b64 v[12:13], 1, v[10:11]
	v_add_co_u32_e32 v12, vcc, v15, v12
	v_addc_co_u32_e32 v13, vcc, v16, v13, vcc
	v_sub_u32_e32 v10, v56, v3
	global_store_short v[12:13], v59, off
	v_lshlrev_b64 v[12:13], 1, v[10:11]
	v_add_co_u32_e32 v12, vcc, v15, v12
	v_addc_co_u32_e32 v13, vcc, v16, v13, vcc
	v_sub_u32_e32 v10, v54, v3
	global_store_short v[12:13], v57, off
	v_lshlrev_b64 v[12:13], 1, v[10:11]
	v_add_co_u32_e32 v12, vcc, v15, v12
	v_addc_co_u32_e32 v13, vcc, v16, v13, vcc
	v_sub_u32_e32 v10, v52, v3
	global_store_short v[12:13], v55, off
	v_lshlrev_b64 v[12:13], 1, v[10:11]
	v_add_co_u32_e32 v12, vcc, v15, v12
	v_addc_co_u32_e32 v13, vcc, v16, v13, vcc
	v_sub_u32_e32 v10, v50, v3
	global_store_short v[12:13], v53, off
	v_lshlrev_b64 v[12:13], 1, v[10:11]
	v_add_co_u32_e32 v12, vcc, v15, v12
	v_addc_co_u32_e32 v13, vcc, v16, v13, vcc
	v_sub_u32_e32 v10, v48, v3
	global_store_short v[12:13], v51, off
	v_lshlrev_b64 v[12:13], 1, v[10:11]
	v_add_co_u32_e32 v12, vcc, v15, v12
	v_addc_co_u32_e32 v13, vcc, v16, v13, vcc
	v_sub_u32_e32 v10, v46, v3
	global_store_short v[12:13], v49, off
	v_lshlrev_b64 v[12:13], 1, v[10:11]
	v_add_co_u32_e32 v12, vcc, v15, v12
	v_addc_co_u32_e32 v13, vcc, v16, v13, vcc
	v_sub_u32_e32 v10, v44, v3
	global_store_short v[12:13], v47, off
	v_lshlrev_b64 v[12:13], 1, v[10:11]
	v_add_co_u32_e32 v12, vcc, v15, v12
	v_addc_co_u32_e32 v13, vcc, v16, v13, vcc
	v_sub_u32_e32 v10, v42, v3
	global_store_short v[12:13], v45, off
	v_lshlrev_b64 v[12:13], 1, v[10:11]
	v_add_co_u32_e32 v12, vcc, v15, v12
	v_addc_co_u32_e32 v13, vcc, v16, v13, vcc
	v_sub_u32_e32 v10, v40, v3
	global_store_short v[12:13], v43, off
	v_lshlrev_b64 v[12:13], 1, v[10:11]
	v_add_co_u32_e32 v12, vcc, v15, v12
	v_addc_co_u32_e32 v13, vcc, v16, v13, vcc
	v_sub_u32_e32 v10, v38, v3
	global_store_short v[12:13], v41, off
	v_lshlrev_b64 v[12:13], 1, v[10:11]
	v_add_co_u32_e32 v12, vcc, v15, v12
	v_sub_u32_e32 v10, v36, v3
	v_addc_co_u32_e32 v13, vcc, v16, v13, vcc
	v_lshlrev_b64 v[10:11], 1, v[10:11]
	v_add_co_u32_e32 v10, vcc, v15, v10
	v_addc_co_u32_e32 v11, vcc, v16, v11, vcc
	s_or_b64 s[38:39], s[38:39], exec
	global_store_short v[12:13], v39, off
	global_store_short v[10:11], v37, off
	s_or_b64 exec, exec, s[30:31]
	s_and_b64 exec, exec, s[38:39]
	s_cbranch_execnz .LBB451_191
	s_branch .LBB451_192
.LBB451_304:
	s_and_saveexec_b64 s[38:39], s[28:29]
	s_cbranch_execnz .LBB451_360
; %bb.305:
	s_or_b64 exec, exec, s[38:39]
	s_and_saveexec_b64 s[28:29], s[26:27]
	s_cbranch_execnz .LBB451_361
.LBB451_306:
	s_or_b64 exec, exec, s[28:29]
	s_and_saveexec_b64 s[26:27], s[24:25]
	s_cbranch_execnz .LBB451_362
.LBB451_307:
	s_or_b64 exec, exec, s[26:27]
	s_and_saveexec_b64 s[24:25], s[22:23]
	s_cbranch_execnz .LBB451_363
.LBB451_308:
	s_or_b64 exec, exec, s[24:25]
	s_and_saveexec_b64 s[22:23], s[20:21]
	s_cbranch_execnz .LBB451_364
.LBB451_309:
	s_or_b64 exec, exec, s[22:23]
	s_and_saveexec_b64 s[20:21], s[18:19]
	s_cbranch_execnz .LBB451_365
.LBB451_310:
	s_or_b64 exec, exec, s[20:21]
	s_and_saveexec_b64 s[18:19], s[16:17]
	s_cbranch_execnz .LBB451_366
.LBB451_311:
	s_or_b64 exec, exec, s[18:19]
	s_and_saveexec_b64 s[16:17], s[14:15]
	s_cbranch_execnz .LBB451_367
.LBB451_312:
	s_or_b64 exec, exec, s[16:17]
	s_and_saveexec_b64 s[14:15], s[12:13]
	s_cbranch_execnz .LBB451_368
.LBB451_313:
	s_or_b64 exec, exec, s[14:15]
	s_and_saveexec_b64 s[12:13], s[10:11]
	s_cbranch_execnz .LBB451_369
.LBB451_314:
	s_or_b64 exec, exec, s[12:13]
	s_and_saveexec_b64 s[10:11], s[8:9]
	s_cbranch_execnz .LBB451_370
.LBB451_315:
	s_or_b64 exec, exec, s[10:11]
	s_and_saveexec_b64 s[8:9], s[6:7]
	s_cbranch_execnz .LBB451_371
.LBB451_316:
	s_or_b64 exec, exec, s[8:9]
	s_and_saveexec_b64 s[6:7], s[4:5]
	s_cbranch_execnz .LBB451_372
.LBB451_317:
	s_or_b64 exec, exec, s[6:7]
	s_and_saveexec_b64 s[4:5], s[2:3]
	s_cbranch_execz .LBB451_319
.LBB451_318:
	v_sub_u32_e32 v4, v36, v3
	v_lshlrev_b32_e32 v4, 1, v4
	ds_write_b16 v4, v37
.LBB451_319:
	s_or_b64 exec, exec, s[4:5]
	s_and_b64 s[38:39], s[0:1], exec
                                        ; implicit-def: $vgpr62_vgpr63
                                        ; implicit-def: $vgpr60_vgpr61
                                        ; implicit-def: $vgpr58_vgpr59
                                        ; implicit-def: $vgpr56_vgpr57
                                        ; implicit-def: $vgpr54_vgpr55
                                        ; implicit-def: $vgpr52_vgpr53
                                        ; implicit-def: $vgpr50_vgpr51
                                        ; implicit-def: $vgpr48_vgpr49
                                        ; implicit-def: $vgpr46_vgpr47
                                        ; implicit-def: $vgpr44_vgpr45
                                        ; implicit-def: $vgpr42_vgpr43
                                        ; implicit-def: $vgpr40_vgpr41
                                        ; implicit-def: $vgpr38_vgpr39
                                        ; implicit-def: $vgpr36_vgpr37
	s_andn2_saveexec_b64 s[0:1], s[36:37]
	s_cbranch_execz .LBB451_197
.LBB451_320:
	v_sub_u32_e32 v4, v62, v3
	v_lshlrev_b32_e32 v4, 1, v4
	ds_write_b16 v4, v63
	v_sub_u32_e32 v4, v60, v3
	v_lshlrev_b32_e32 v4, 1, v4
	ds_write_b16 v4, v61
	;; [unrolled: 3-line block ×13, first 2 shown]
	v_sub_u32_e32 v4, v36, v3
	v_lshlrev_b32_e32 v4, 1, v4
	s_or_b64 s[38:39], s[38:39], exec
	ds_write_b16 v4, v37
	s_or_b64 exec, exec, s[0:1]
	s_and_b64 exec, exec, s[38:39]
	s_cbranch_execnz .LBB451_198
	s_branch .LBB451_199
.LBB451_321:
	v_sub_u32_e32 v12, v62, v8
	v_mov_b32_e32 v13, 0
	v_lshlrev_b64 v[12:13], 1, v[12:13]
	v_add_co_u32_e32 v12, vcc, v7, v12
	v_addc_co_u32_e32 v13, vcc, v9, v13, vcc
	global_store_short v[12:13], v1, off
	s_or_b64 exec, exec, s[40:41]
	s_and_saveexec_b64 s[40:41], s[26:27]
	s_cbranch_execz .LBB451_255
.LBB451_322:
	v_sub_u32_e32 v12, v60, v8
	v_mov_b32_e32 v13, 0
	v_lshlrev_b64 v[12:13], 1, v[12:13]
	v_add_co_u32_e32 v12, vcc, v7, v12
	v_addc_co_u32_e32 v13, vcc, v9, v13, vcc
	global_store_short v[12:13], v2, off
	s_or_b64 exec, exec, s[40:41]
	s_and_saveexec_b64 s[40:41], s[24:25]
	s_cbranch_execz .LBB451_256
.LBB451_323:
	v_sub_u32_e32 v12, v58, v8
	v_mov_b32_e32 v13, 0
	v_lshlrev_b64 v[12:13], 1, v[12:13]
	v_add_co_u32_e32 v12, vcc, v7, v12
	v_addc_co_u32_e32 v13, vcc, v9, v13, vcc
	global_store_short_d16_hi v[12:13], v2, off
	s_or_b64 exec, exec, s[40:41]
	s_and_saveexec_b64 s[40:41], s[22:23]
	s_cbranch_execz .LBB451_257
.LBB451_324:
	v_sub_u32_e32 v12, v56, v8
	v_mov_b32_e32 v13, 0
	v_lshlrev_b64 v[12:13], 1, v[12:13]
	v_add_co_u32_e32 v12, vcc, v7, v12
	v_addc_co_u32_e32 v13, vcc, v9, v13, vcc
	global_store_short v[12:13], v3, off
	s_or_b64 exec, exec, s[40:41]
	s_and_saveexec_b64 s[40:41], s[20:21]
	s_cbranch_execz .LBB451_258
.LBB451_325:
	v_sub_u32_e32 v12, v54, v8
	v_mov_b32_e32 v13, 0
	v_lshlrev_b64 v[12:13], 1, v[12:13]
	v_add_co_u32_e32 v12, vcc, v7, v12
	v_addc_co_u32_e32 v13, vcc, v9, v13, vcc
	global_store_short_d16_hi v[12:13], v3, off
	s_or_b64 exec, exec, s[40:41]
	s_and_saveexec_b64 s[40:41], s[18:19]
	s_cbranch_execz .LBB451_259
.LBB451_326:
	v_sub_u32_e32 v12, v52, v8
	v_mov_b32_e32 v13, 0
	v_lshlrev_b64 v[12:13], 1, v[12:13]
	v_add_co_u32_e32 v12, vcc, v7, v12
	v_addc_co_u32_e32 v13, vcc, v9, v13, vcc
	global_store_short v[12:13], v4, off
	s_or_b64 exec, exec, s[40:41]
	s_and_saveexec_b64 s[40:41], s[16:17]
	s_cbranch_execz .LBB451_260
.LBB451_327:
	v_sub_u32_e32 v12, v50, v8
	v_mov_b32_e32 v13, 0
	v_lshlrev_b64 v[12:13], 1, v[12:13]
	v_add_co_u32_e32 v12, vcc, v7, v12
	v_addc_co_u32_e32 v13, vcc, v9, v13, vcc
	global_store_short_d16_hi v[12:13], v4, off
	s_or_b64 exec, exec, s[40:41]
	s_and_saveexec_b64 s[40:41], s[14:15]
	s_cbranch_execz .LBB451_261
.LBB451_328:
	v_sub_u32_e32 v12, v48, v8
	v_mov_b32_e32 v13, 0
	v_lshlrev_b64 v[12:13], 1, v[12:13]
	v_add_co_u32_e32 v12, vcc, v7, v12
	v_addc_co_u32_e32 v13, vcc, v9, v13, vcc
	global_store_short v[12:13], v5, off
	s_or_b64 exec, exec, s[40:41]
	s_and_saveexec_b64 s[40:41], s[12:13]
	s_cbranch_execz .LBB451_262
.LBB451_329:
	v_sub_u32_e32 v12, v46, v8
	v_mov_b32_e32 v13, 0
	v_lshlrev_b64 v[12:13], 1, v[12:13]
	v_add_co_u32_e32 v12, vcc, v7, v12
	v_addc_co_u32_e32 v13, vcc, v9, v13, vcc
	global_store_short_d16_hi v[12:13], v5, off
	s_or_b64 exec, exec, s[40:41]
	s_and_saveexec_b64 s[40:41], s[10:11]
	s_cbranch_execz .LBB451_263
.LBB451_330:
	v_sub_u32_e32 v12, v44, v8
	v_mov_b32_e32 v13, 0
	v_lshlrev_b64 v[12:13], 1, v[12:13]
	v_add_co_u32_e32 v12, vcc, v7, v12
	v_addc_co_u32_e32 v13, vcc, v9, v13, vcc
	global_store_short v[12:13], v14, off
	s_or_b64 exec, exec, s[40:41]
	s_and_saveexec_b64 s[40:41], s[8:9]
	s_cbranch_execz .LBB451_264
.LBB451_331:
	v_sub_u32_e32 v12, v42, v8
	v_mov_b32_e32 v13, 0
	v_lshlrev_b64 v[12:13], 1, v[12:13]
	v_add_co_u32_e32 v12, vcc, v7, v12
	v_addc_co_u32_e32 v13, vcc, v9, v13, vcc
	global_store_short_d16_hi v[12:13], v14, off
	s_or_b64 exec, exec, s[40:41]
	s_and_saveexec_b64 s[40:41], s[6:7]
	s_cbranch_execz .LBB451_265
.LBB451_332:
	v_sub_u32_e32 v12, v40, v8
	v_mov_b32_e32 v13, 0
	v_lshlrev_b64 v[12:13], 1, v[12:13]
	v_add_co_u32_e32 v12, vcc, v7, v12
	v_addc_co_u32_e32 v13, vcc, v9, v13, vcc
	global_store_short v[12:13], v15, off
	s_or_b64 exec, exec, s[40:41]
	s_and_saveexec_b64 s[40:41], s[4:5]
	s_cbranch_execz .LBB451_266
.LBB451_333:
	v_sub_u32_e32 v12, v38, v8
	v_mov_b32_e32 v13, 0
	v_lshlrev_b64 v[12:13], 1, v[12:13]
	v_add_co_u32_e32 v12, vcc, v7, v12
	v_addc_co_u32_e32 v13, vcc, v9, v13, vcc
	global_store_short_d16_hi v[12:13], v15, off
	s_or_b64 exec, exec, s[40:41]
	s_and_saveexec_b64 s[40:41], s[2:3]
	s_cbranch_execnz .LBB451_267
	s_branch .LBB451_268
.LBB451_334:
	v_sub_u32_e32 v10, v62, v8
	v_lshlrev_b32_e32 v10, 1, v10
	ds_write_b16 v10, v1
	s_or_b64 exec, exec, s[40:41]
	s_and_saveexec_b64 s[28:29], s[26:27]
	s_cbranch_execz .LBB451_272
.LBB451_335:
	v_sub_u32_e32 v1, v60, v8
	v_lshlrev_b32_e32 v1, 1, v1
	ds_write_b16 v1, v2
	s_or_b64 exec, exec, s[28:29]
	s_and_saveexec_b64 s[26:27], s[24:25]
	s_cbranch_execz .LBB451_273
.LBB451_336:
	v_sub_u32_e32 v1, v58, v8
	v_lshlrev_b32_e32 v1, 1, v1
	ds_write_b16_d16_hi v1, v2
	s_or_b64 exec, exec, s[26:27]
	s_and_saveexec_b64 s[24:25], s[22:23]
	s_cbranch_execz .LBB451_274
.LBB451_337:
	v_sub_u32_e32 v1, v56, v8
	v_lshlrev_b32_e32 v1, 1, v1
	ds_write_b16 v1, v3
	s_or_b64 exec, exec, s[24:25]
	s_and_saveexec_b64 s[22:23], s[20:21]
	s_cbranch_execz .LBB451_275
.LBB451_338:
	v_sub_u32_e32 v1, v54, v8
	v_lshlrev_b32_e32 v1, 1, v1
	ds_write_b16_d16_hi v1, v3
	s_or_b64 exec, exec, s[22:23]
	s_and_saveexec_b64 s[20:21], s[18:19]
	s_cbranch_execz .LBB451_276
.LBB451_339:
	v_sub_u32_e32 v1, v52, v8
	v_lshlrev_b32_e32 v1, 1, v1
	ds_write_b16 v1, v4
	s_or_b64 exec, exec, s[20:21]
	s_and_saveexec_b64 s[18:19], s[16:17]
	s_cbranch_execz .LBB451_277
.LBB451_340:
	v_sub_u32_e32 v1, v50, v8
	v_lshlrev_b32_e32 v1, 1, v1
	ds_write_b16_d16_hi v1, v4
	s_or_b64 exec, exec, s[18:19]
	s_and_saveexec_b64 s[16:17], s[14:15]
	s_cbranch_execz .LBB451_278
.LBB451_341:
	v_sub_u32_e32 v1, v48, v8
	v_lshlrev_b32_e32 v1, 1, v1
	ds_write_b16 v1, v5
	s_or_b64 exec, exec, s[16:17]
	s_and_saveexec_b64 s[14:15], s[12:13]
	s_cbranch_execz .LBB451_279
.LBB451_342:
	v_sub_u32_e32 v1, v46, v8
	v_lshlrev_b32_e32 v1, 1, v1
	ds_write_b16_d16_hi v1, v5
	s_or_b64 exec, exec, s[14:15]
	s_and_saveexec_b64 s[12:13], s[10:11]
	s_cbranch_execz .LBB451_280
.LBB451_343:
	v_sub_u32_e32 v1, v44, v8
	v_lshlrev_b32_e32 v1, 1, v1
	ds_write_b16 v1, v14
	s_or_b64 exec, exec, s[12:13]
	s_and_saveexec_b64 s[10:11], s[8:9]
	s_cbranch_execz .LBB451_281
.LBB451_344:
	v_sub_u32_e32 v1, v42, v8
	v_lshlrev_b32_e32 v1, 1, v1
	ds_write_b16_d16_hi v1, v14
	s_or_b64 exec, exec, s[10:11]
	s_and_saveexec_b64 s[8:9], s[6:7]
	s_cbranch_execz .LBB451_282
.LBB451_345:
	v_sub_u32_e32 v1, v40, v8
	v_lshlrev_b32_e32 v1, 1, v1
	ds_write_b16 v1, v15
	s_or_b64 exec, exec, s[8:9]
	s_and_saveexec_b64 s[6:7], s[4:5]
	s_cbranch_execz .LBB451_283
.LBB451_346:
	v_sub_u32_e32 v1, v38, v8
	v_lshlrev_b32_e32 v1, 1, v1
	ds_write_b16_d16_hi v1, v15
	s_or_b64 exec, exec, s[6:7]
	s_and_saveexec_b64 s[4:5], s[2:3]
	s_cbranch_execnz .LBB451_284
	s_branch .LBB451_285
.LBB451_347:
	v_sub_u32_e32 v10, v62, v3
	v_mov_b32_e32 v11, 0
	v_lshlrev_b64 v[10:11], 1, v[10:11]
	v_add_co_u32_e32 v10, vcc, v15, v10
	v_addc_co_u32_e32 v11, vcc, v16, v11, vcc
	global_store_short v[10:11], v63, off
	s_or_b64 exec, exec, s[38:39]
	s_and_saveexec_b64 s[38:39], s[26:27]
	s_cbranch_execz .LBB451_289
.LBB451_348:
	v_sub_u32_e32 v10, v60, v3
	v_mov_b32_e32 v11, 0
	v_lshlrev_b64 v[10:11], 1, v[10:11]
	v_add_co_u32_e32 v10, vcc, v15, v10
	v_addc_co_u32_e32 v11, vcc, v16, v11, vcc
	global_store_short v[10:11], v61, off
	s_or_b64 exec, exec, s[38:39]
	s_and_saveexec_b64 s[38:39], s[24:25]
	s_cbranch_execz .LBB451_290
.LBB451_349:
	v_sub_u32_e32 v10, v58, v3
	v_mov_b32_e32 v11, 0
	v_lshlrev_b64 v[10:11], 1, v[10:11]
	v_add_co_u32_e32 v10, vcc, v15, v10
	v_addc_co_u32_e32 v11, vcc, v16, v11, vcc
	global_store_short v[10:11], v59, off
	s_or_b64 exec, exec, s[38:39]
	s_and_saveexec_b64 s[38:39], s[22:23]
	s_cbranch_execz .LBB451_291
.LBB451_350:
	v_sub_u32_e32 v10, v56, v3
	v_mov_b32_e32 v11, 0
	v_lshlrev_b64 v[10:11], 1, v[10:11]
	v_add_co_u32_e32 v10, vcc, v15, v10
	v_addc_co_u32_e32 v11, vcc, v16, v11, vcc
	global_store_short v[10:11], v57, off
	s_or_b64 exec, exec, s[38:39]
	s_and_saveexec_b64 s[38:39], s[20:21]
	s_cbranch_execz .LBB451_292
.LBB451_351:
	v_sub_u32_e32 v10, v54, v3
	v_mov_b32_e32 v11, 0
	v_lshlrev_b64 v[10:11], 1, v[10:11]
	v_add_co_u32_e32 v10, vcc, v15, v10
	v_addc_co_u32_e32 v11, vcc, v16, v11, vcc
	global_store_short v[10:11], v55, off
	s_or_b64 exec, exec, s[38:39]
	s_and_saveexec_b64 s[38:39], s[18:19]
	s_cbranch_execz .LBB451_293
.LBB451_352:
	v_sub_u32_e32 v10, v52, v3
	v_mov_b32_e32 v11, 0
	v_lshlrev_b64 v[10:11], 1, v[10:11]
	v_add_co_u32_e32 v10, vcc, v15, v10
	v_addc_co_u32_e32 v11, vcc, v16, v11, vcc
	global_store_short v[10:11], v53, off
	s_or_b64 exec, exec, s[38:39]
	s_and_saveexec_b64 s[38:39], s[16:17]
	s_cbranch_execz .LBB451_294
.LBB451_353:
	v_sub_u32_e32 v10, v50, v3
	v_mov_b32_e32 v11, 0
	v_lshlrev_b64 v[10:11], 1, v[10:11]
	v_add_co_u32_e32 v10, vcc, v15, v10
	v_addc_co_u32_e32 v11, vcc, v16, v11, vcc
	global_store_short v[10:11], v51, off
	s_or_b64 exec, exec, s[38:39]
	s_and_saveexec_b64 s[38:39], s[14:15]
	s_cbranch_execz .LBB451_295
.LBB451_354:
	v_sub_u32_e32 v10, v48, v3
	v_mov_b32_e32 v11, 0
	v_lshlrev_b64 v[10:11], 1, v[10:11]
	v_add_co_u32_e32 v10, vcc, v15, v10
	v_addc_co_u32_e32 v11, vcc, v16, v11, vcc
	global_store_short v[10:11], v49, off
	s_or_b64 exec, exec, s[38:39]
	s_and_saveexec_b64 s[38:39], s[12:13]
	s_cbranch_execz .LBB451_296
.LBB451_355:
	v_sub_u32_e32 v10, v46, v3
	v_mov_b32_e32 v11, 0
	v_lshlrev_b64 v[10:11], 1, v[10:11]
	v_add_co_u32_e32 v10, vcc, v15, v10
	v_addc_co_u32_e32 v11, vcc, v16, v11, vcc
	global_store_short v[10:11], v47, off
	s_or_b64 exec, exec, s[38:39]
	s_and_saveexec_b64 s[38:39], s[10:11]
	s_cbranch_execz .LBB451_297
.LBB451_356:
	v_sub_u32_e32 v10, v44, v3
	v_mov_b32_e32 v11, 0
	v_lshlrev_b64 v[10:11], 1, v[10:11]
	v_add_co_u32_e32 v10, vcc, v15, v10
	v_addc_co_u32_e32 v11, vcc, v16, v11, vcc
	global_store_short v[10:11], v45, off
	s_or_b64 exec, exec, s[38:39]
	s_and_saveexec_b64 s[38:39], s[8:9]
	s_cbranch_execz .LBB451_298
.LBB451_357:
	v_sub_u32_e32 v10, v42, v3
	v_mov_b32_e32 v11, 0
	v_lshlrev_b64 v[10:11], 1, v[10:11]
	v_add_co_u32_e32 v10, vcc, v15, v10
	v_addc_co_u32_e32 v11, vcc, v16, v11, vcc
	global_store_short v[10:11], v43, off
	s_or_b64 exec, exec, s[38:39]
	s_and_saveexec_b64 s[38:39], s[6:7]
	s_cbranch_execz .LBB451_299
.LBB451_358:
	v_sub_u32_e32 v10, v40, v3
	v_mov_b32_e32 v11, 0
	v_lshlrev_b64 v[10:11], 1, v[10:11]
	v_add_co_u32_e32 v10, vcc, v15, v10
	v_addc_co_u32_e32 v11, vcc, v16, v11, vcc
	global_store_short v[10:11], v41, off
	s_or_b64 exec, exec, s[38:39]
	s_and_saveexec_b64 s[38:39], s[4:5]
	s_cbranch_execz .LBB451_300
.LBB451_359:
	v_sub_u32_e32 v10, v38, v3
	v_mov_b32_e32 v11, 0
	v_lshlrev_b64 v[10:11], 1, v[10:11]
	v_add_co_u32_e32 v10, vcc, v15, v10
	v_addc_co_u32_e32 v11, vcc, v16, v11, vcc
	global_store_short v[10:11], v39, off
	s_or_b64 exec, exec, s[38:39]
	s_and_saveexec_b64 s[38:39], s[2:3]
	s_cbranch_execnz .LBB451_301
	s_branch .LBB451_302
.LBB451_360:
	v_sub_u32_e32 v4, v62, v3
	v_lshlrev_b32_e32 v4, 1, v4
	ds_write_b16 v4, v63
	s_or_b64 exec, exec, s[38:39]
	s_and_saveexec_b64 s[28:29], s[26:27]
	s_cbranch_execz .LBB451_306
.LBB451_361:
	v_sub_u32_e32 v4, v60, v3
	v_lshlrev_b32_e32 v4, 1, v4
	ds_write_b16 v4, v61
	s_or_b64 exec, exec, s[28:29]
	s_and_saveexec_b64 s[26:27], s[24:25]
	s_cbranch_execz .LBB451_307
.LBB451_362:
	v_sub_u32_e32 v4, v58, v3
	v_lshlrev_b32_e32 v4, 1, v4
	ds_write_b16 v4, v59
	s_or_b64 exec, exec, s[26:27]
	s_and_saveexec_b64 s[24:25], s[22:23]
	s_cbranch_execz .LBB451_308
.LBB451_363:
	v_sub_u32_e32 v4, v56, v3
	v_lshlrev_b32_e32 v4, 1, v4
	ds_write_b16 v4, v57
	s_or_b64 exec, exec, s[24:25]
	s_and_saveexec_b64 s[22:23], s[20:21]
	s_cbranch_execz .LBB451_309
.LBB451_364:
	v_sub_u32_e32 v4, v54, v3
	v_lshlrev_b32_e32 v4, 1, v4
	ds_write_b16 v4, v55
	s_or_b64 exec, exec, s[22:23]
	s_and_saveexec_b64 s[20:21], s[18:19]
	s_cbranch_execz .LBB451_310
.LBB451_365:
	v_sub_u32_e32 v4, v52, v3
	v_lshlrev_b32_e32 v4, 1, v4
	ds_write_b16 v4, v53
	s_or_b64 exec, exec, s[20:21]
	s_and_saveexec_b64 s[18:19], s[16:17]
	s_cbranch_execz .LBB451_311
.LBB451_366:
	v_sub_u32_e32 v4, v50, v3
	v_lshlrev_b32_e32 v4, 1, v4
	ds_write_b16 v4, v51
	s_or_b64 exec, exec, s[18:19]
	s_and_saveexec_b64 s[16:17], s[14:15]
	s_cbranch_execz .LBB451_312
.LBB451_367:
	v_sub_u32_e32 v4, v48, v3
	v_lshlrev_b32_e32 v4, 1, v4
	ds_write_b16 v4, v49
	s_or_b64 exec, exec, s[16:17]
	s_and_saveexec_b64 s[14:15], s[12:13]
	s_cbranch_execz .LBB451_313
.LBB451_368:
	v_sub_u32_e32 v4, v46, v3
	v_lshlrev_b32_e32 v4, 1, v4
	ds_write_b16 v4, v47
	s_or_b64 exec, exec, s[14:15]
	s_and_saveexec_b64 s[12:13], s[10:11]
	s_cbranch_execz .LBB451_314
.LBB451_369:
	v_sub_u32_e32 v4, v44, v3
	v_lshlrev_b32_e32 v4, 1, v4
	ds_write_b16 v4, v45
	s_or_b64 exec, exec, s[12:13]
	s_and_saveexec_b64 s[10:11], s[8:9]
	s_cbranch_execz .LBB451_315
.LBB451_370:
	v_sub_u32_e32 v4, v42, v3
	v_lshlrev_b32_e32 v4, 1, v4
	ds_write_b16 v4, v43
	s_or_b64 exec, exec, s[10:11]
	s_and_saveexec_b64 s[8:9], s[6:7]
	s_cbranch_execz .LBB451_316
.LBB451_371:
	v_sub_u32_e32 v4, v40, v3
	v_lshlrev_b32_e32 v4, 1, v4
	ds_write_b16 v4, v41
	s_or_b64 exec, exec, s[8:9]
	s_and_saveexec_b64 s[6:7], s[4:5]
	s_cbranch_execz .LBB451_317
.LBB451_372:
	v_sub_u32_e32 v4, v38, v3
	v_lshlrev_b32_e32 v4, 1, v4
	ds_write_b16 v4, v39
	s_or_b64 exec, exec, s[6:7]
	s_and_saveexec_b64 s[4:5], s[2:3]
	s_cbranch_execnz .LBB451_318
	s_branch .LBB451_319
	.section	.rodata,"a",@progbits
	.p2align	6, 0x0
	.amdhsa_kernel _ZN7rocprim17ROCPRIM_400000_NS6detail17trampoline_kernelINS0_14default_configENS1_29reduce_by_key_config_selectorIttN6thrust23THRUST_200600_302600_NS4plusItEEEEZZNS1_33reduce_by_key_impl_wrapped_configILNS1_25lookback_scan_determinismE0ES3_S9_NS6_6detail15normal_iteratorINS6_10device_ptrItEEEESG_SG_SG_PmS8_22is_equal_div_10_reduceItEEE10hipError_tPvRmT2_T3_mT4_T5_T6_T7_T8_P12ihipStream_tbENKUlT_T0_E_clISt17integral_constantIbLb1EES10_IbLb0EEEEDaSW_SX_EUlSW_E_NS1_11comp_targetILNS1_3genE4ELNS1_11target_archE910ELNS1_3gpuE8ELNS1_3repE0EEENS1_30default_config_static_selectorELNS0_4arch9wavefront6targetE1EEEvT1_
		.amdhsa_group_segment_fixed_size 7680
		.amdhsa_private_segment_fixed_size 0
		.amdhsa_kernarg_size 120
		.amdhsa_user_sgpr_count 6
		.amdhsa_user_sgpr_private_segment_buffer 1
		.amdhsa_user_sgpr_dispatch_ptr 0
		.amdhsa_user_sgpr_queue_ptr 0
		.amdhsa_user_sgpr_kernarg_segment_ptr 1
		.amdhsa_user_sgpr_dispatch_id 0
		.amdhsa_user_sgpr_flat_scratch_init 0
		.amdhsa_user_sgpr_kernarg_preload_length 0
		.amdhsa_user_sgpr_kernarg_preload_offset 0
		.amdhsa_user_sgpr_private_segment_size 0
		.amdhsa_uses_dynamic_stack 0
		.amdhsa_system_sgpr_private_segment_wavefront_offset 0
		.amdhsa_system_sgpr_workgroup_id_x 1
		.amdhsa_system_sgpr_workgroup_id_y 0
		.amdhsa_system_sgpr_workgroup_id_z 0
		.amdhsa_system_sgpr_workgroup_info 0
		.amdhsa_system_vgpr_workitem_id 0
		.amdhsa_next_free_vgpr 110
		.amdhsa_next_free_sgpr 63
		.amdhsa_accum_offset 112
		.amdhsa_reserve_vcc 1
		.amdhsa_reserve_flat_scratch 0
		.amdhsa_float_round_mode_32 0
		.amdhsa_float_round_mode_16_64 0
		.amdhsa_float_denorm_mode_32 3
		.amdhsa_float_denorm_mode_16_64 3
		.amdhsa_dx10_clamp 1
		.amdhsa_ieee_mode 1
		.amdhsa_fp16_overflow 0
		.amdhsa_tg_split 0
		.amdhsa_exception_fp_ieee_invalid_op 0
		.amdhsa_exception_fp_denorm_src 0
		.amdhsa_exception_fp_ieee_div_zero 0
		.amdhsa_exception_fp_ieee_overflow 0
		.amdhsa_exception_fp_ieee_underflow 0
		.amdhsa_exception_fp_ieee_inexact 0
		.amdhsa_exception_int_div_zero 0
	.end_amdhsa_kernel
	.section	.text._ZN7rocprim17ROCPRIM_400000_NS6detail17trampoline_kernelINS0_14default_configENS1_29reduce_by_key_config_selectorIttN6thrust23THRUST_200600_302600_NS4plusItEEEEZZNS1_33reduce_by_key_impl_wrapped_configILNS1_25lookback_scan_determinismE0ES3_S9_NS6_6detail15normal_iteratorINS6_10device_ptrItEEEESG_SG_SG_PmS8_22is_equal_div_10_reduceItEEE10hipError_tPvRmT2_T3_mT4_T5_T6_T7_T8_P12ihipStream_tbENKUlT_T0_E_clISt17integral_constantIbLb1EES10_IbLb0EEEEDaSW_SX_EUlSW_E_NS1_11comp_targetILNS1_3genE4ELNS1_11target_archE910ELNS1_3gpuE8ELNS1_3repE0EEENS1_30default_config_static_selectorELNS0_4arch9wavefront6targetE1EEEvT1_,"axG",@progbits,_ZN7rocprim17ROCPRIM_400000_NS6detail17trampoline_kernelINS0_14default_configENS1_29reduce_by_key_config_selectorIttN6thrust23THRUST_200600_302600_NS4plusItEEEEZZNS1_33reduce_by_key_impl_wrapped_configILNS1_25lookback_scan_determinismE0ES3_S9_NS6_6detail15normal_iteratorINS6_10device_ptrItEEEESG_SG_SG_PmS8_22is_equal_div_10_reduceItEEE10hipError_tPvRmT2_T3_mT4_T5_T6_T7_T8_P12ihipStream_tbENKUlT_T0_E_clISt17integral_constantIbLb1EES10_IbLb0EEEEDaSW_SX_EUlSW_E_NS1_11comp_targetILNS1_3genE4ELNS1_11target_archE910ELNS1_3gpuE8ELNS1_3repE0EEENS1_30default_config_static_selectorELNS0_4arch9wavefront6targetE1EEEvT1_,comdat
.Lfunc_end451:
	.size	_ZN7rocprim17ROCPRIM_400000_NS6detail17trampoline_kernelINS0_14default_configENS1_29reduce_by_key_config_selectorIttN6thrust23THRUST_200600_302600_NS4plusItEEEEZZNS1_33reduce_by_key_impl_wrapped_configILNS1_25lookback_scan_determinismE0ES3_S9_NS6_6detail15normal_iteratorINS6_10device_ptrItEEEESG_SG_SG_PmS8_22is_equal_div_10_reduceItEEE10hipError_tPvRmT2_T3_mT4_T5_T6_T7_T8_P12ihipStream_tbENKUlT_T0_E_clISt17integral_constantIbLb1EES10_IbLb0EEEEDaSW_SX_EUlSW_E_NS1_11comp_targetILNS1_3genE4ELNS1_11target_archE910ELNS1_3gpuE8ELNS1_3repE0EEENS1_30default_config_static_selectorELNS0_4arch9wavefront6targetE1EEEvT1_, .Lfunc_end451-_ZN7rocprim17ROCPRIM_400000_NS6detail17trampoline_kernelINS0_14default_configENS1_29reduce_by_key_config_selectorIttN6thrust23THRUST_200600_302600_NS4plusItEEEEZZNS1_33reduce_by_key_impl_wrapped_configILNS1_25lookback_scan_determinismE0ES3_S9_NS6_6detail15normal_iteratorINS6_10device_ptrItEEEESG_SG_SG_PmS8_22is_equal_div_10_reduceItEEE10hipError_tPvRmT2_T3_mT4_T5_T6_T7_T8_P12ihipStream_tbENKUlT_T0_E_clISt17integral_constantIbLb1EES10_IbLb0EEEEDaSW_SX_EUlSW_E_NS1_11comp_targetILNS1_3genE4ELNS1_11target_archE910ELNS1_3gpuE8ELNS1_3repE0EEENS1_30default_config_static_selectorELNS0_4arch9wavefront6targetE1EEEvT1_
                                        ; -- End function
	.section	.AMDGPU.csdata,"",@progbits
; Kernel info:
; codeLenInByte = 19412
; NumSgprs: 67
; NumVgprs: 110
; NumAgprs: 0
; TotalNumVgprs: 110
; ScratchSize: 0
; MemoryBound: 0
; FloatMode: 240
; IeeeMode: 1
; LDSByteSize: 7680 bytes/workgroup (compile time only)
; SGPRBlocks: 8
; VGPRBlocks: 13
; NumSGPRsForWavesPerEU: 67
; NumVGPRsForWavesPerEU: 110
; AccumOffset: 112
; Occupancy: 4
; WaveLimiterHint : 1
; COMPUTE_PGM_RSRC2:SCRATCH_EN: 0
; COMPUTE_PGM_RSRC2:USER_SGPR: 6
; COMPUTE_PGM_RSRC2:TRAP_HANDLER: 0
; COMPUTE_PGM_RSRC2:TGID_X_EN: 1
; COMPUTE_PGM_RSRC2:TGID_Y_EN: 0
; COMPUTE_PGM_RSRC2:TGID_Z_EN: 0
; COMPUTE_PGM_RSRC2:TIDIG_COMP_CNT: 0
; COMPUTE_PGM_RSRC3_GFX90A:ACCUM_OFFSET: 27
; COMPUTE_PGM_RSRC3_GFX90A:TG_SPLIT: 0
	.section	.text._ZN7rocprim17ROCPRIM_400000_NS6detail17trampoline_kernelINS0_14default_configENS1_29reduce_by_key_config_selectorIttN6thrust23THRUST_200600_302600_NS4plusItEEEEZZNS1_33reduce_by_key_impl_wrapped_configILNS1_25lookback_scan_determinismE0ES3_S9_NS6_6detail15normal_iteratorINS6_10device_ptrItEEEESG_SG_SG_PmS8_22is_equal_div_10_reduceItEEE10hipError_tPvRmT2_T3_mT4_T5_T6_T7_T8_P12ihipStream_tbENKUlT_T0_E_clISt17integral_constantIbLb1EES10_IbLb0EEEEDaSW_SX_EUlSW_E_NS1_11comp_targetILNS1_3genE3ELNS1_11target_archE908ELNS1_3gpuE7ELNS1_3repE0EEENS1_30default_config_static_selectorELNS0_4arch9wavefront6targetE1EEEvT1_,"axG",@progbits,_ZN7rocprim17ROCPRIM_400000_NS6detail17trampoline_kernelINS0_14default_configENS1_29reduce_by_key_config_selectorIttN6thrust23THRUST_200600_302600_NS4plusItEEEEZZNS1_33reduce_by_key_impl_wrapped_configILNS1_25lookback_scan_determinismE0ES3_S9_NS6_6detail15normal_iteratorINS6_10device_ptrItEEEESG_SG_SG_PmS8_22is_equal_div_10_reduceItEEE10hipError_tPvRmT2_T3_mT4_T5_T6_T7_T8_P12ihipStream_tbENKUlT_T0_E_clISt17integral_constantIbLb1EES10_IbLb0EEEEDaSW_SX_EUlSW_E_NS1_11comp_targetILNS1_3genE3ELNS1_11target_archE908ELNS1_3gpuE7ELNS1_3repE0EEENS1_30default_config_static_selectorELNS0_4arch9wavefront6targetE1EEEvT1_,comdat
	.protected	_ZN7rocprim17ROCPRIM_400000_NS6detail17trampoline_kernelINS0_14default_configENS1_29reduce_by_key_config_selectorIttN6thrust23THRUST_200600_302600_NS4plusItEEEEZZNS1_33reduce_by_key_impl_wrapped_configILNS1_25lookback_scan_determinismE0ES3_S9_NS6_6detail15normal_iteratorINS6_10device_ptrItEEEESG_SG_SG_PmS8_22is_equal_div_10_reduceItEEE10hipError_tPvRmT2_T3_mT4_T5_T6_T7_T8_P12ihipStream_tbENKUlT_T0_E_clISt17integral_constantIbLb1EES10_IbLb0EEEEDaSW_SX_EUlSW_E_NS1_11comp_targetILNS1_3genE3ELNS1_11target_archE908ELNS1_3gpuE7ELNS1_3repE0EEENS1_30default_config_static_selectorELNS0_4arch9wavefront6targetE1EEEvT1_ ; -- Begin function _ZN7rocprim17ROCPRIM_400000_NS6detail17trampoline_kernelINS0_14default_configENS1_29reduce_by_key_config_selectorIttN6thrust23THRUST_200600_302600_NS4plusItEEEEZZNS1_33reduce_by_key_impl_wrapped_configILNS1_25lookback_scan_determinismE0ES3_S9_NS6_6detail15normal_iteratorINS6_10device_ptrItEEEESG_SG_SG_PmS8_22is_equal_div_10_reduceItEEE10hipError_tPvRmT2_T3_mT4_T5_T6_T7_T8_P12ihipStream_tbENKUlT_T0_E_clISt17integral_constantIbLb1EES10_IbLb0EEEEDaSW_SX_EUlSW_E_NS1_11comp_targetILNS1_3genE3ELNS1_11target_archE908ELNS1_3gpuE7ELNS1_3repE0EEENS1_30default_config_static_selectorELNS0_4arch9wavefront6targetE1EEEvT1_
	.globl	_ZN7rocprim17ROCPRIM_400000_NS6detail17trampoline_kernelINS0_14default_configENS1_29reduce_by_key_config_selectorIttN6thrust23THRUST_200600_302600_NS4plusItEEEEZZNS1_33reduce_by_key_impl_wrapped_configILNS1_25lookback_scan_determinismE0ES3_S9_NS6_6detail15normal_iteratorINS6_10device_ptrItEEEESG_SG_SG_PmS8_22is_equal_div_10_reduceItEEE10hipError_tPvRmT2_T3_mT4_T5_T6_T7_T8_P12ihipStream_tbENKUlT_T0_E_clISt17integral_constantIbLb1EES10_IbLb0EEEEDaSW_SX_EUlSW_E_NS1_11comp_targetILNS1_3genE3ELNS1_11target_archE908ELNS1_3gpuE7ELNS1_3repE0EEENS1_30default_config_static_selectorELNS0_4arch9wavefront6targetE1EEEvT1_
	.p2align	8
	.type	_ZN7rocprim17ROCPRIM_400000_NS6detail17trampoline_kernelINS0_14default_configENS1_29reduce_by_key_config_selectorIttN6thrust23THRUST_200600_302600_NS4plusItEEEEZZNS1_33reduce_by_key_impl_wrapped_configILNS1_25lookback_scan_determinismE0ES3_S9_NS6_6detail15normal_iteratorINS6_10device_ptrItEEEESG_SG_SG_PmS8_22is_equal_div_10_reduceItEEE10hipError_tPvRmT2_T3_mT4_T5_T6_T7_T8_P12ihipStream_tbENKUlT_T0_E_clISt17integral_constantIbLb1EES10_IbLb0EEEEDaSW_SX_EUlSW_E_NS1_11comp_targetILNS1_3genE3ELNS1_11target_archE908ELNS1_3gpuE7ELNS1_3repE0EEENS1_30default_config_static_selectorELNS0_4arch9wavefront6targetE1EEEvT1_,@function
_ZN7rocprim17ROCPRIM_400000_NS6detail17trampoline_kernelINS0_14default_configENS1_29reduce_by_key_config_selectorIttN6thrust23THRUST_200600_302600_NS4plusItEEEEZZNS1_33reduce_by_key_impl_wrapped_configILNS1_25lookback_scan_determinismE0ES3_S9_NS6_6detail15normal_iteratorINS6_10device_ptrItEEEESG_SG_SG_PmS8_22is_equal_div_10_reduceItEEE10hipError_tPvRmT2_T3_mT4_T5_T6_T7_T8_P12ihipStream_tbENKUlT_T0_E_clISt17integral_constantIbLb1EES10_IbLb0EEEEDaSW_SX_EUlSW_E_NS1_11comp_targetILNS1_3genE3ELNS1_11target_archE908ELNS1_3gpuE7ELNS1_3repE0EEENS1_30default_config_static_selectorELNS0_4arch9wavefront6targetE1EEEvT1_: ; @_ZN7rocprim17ROCPRIM_400000_NS6detail17trampoline_kernelINS0_14default_configENS1_29reduce_by_key_config_selectorIttN6thrust23THRUST_200600_302600_NS4plusItEEEEZZNS1_33reduce_by_key_impl_wrapped_configILNS1_25lookback_scan_determinismE0ES3_S9_NS6_6detail15normal_iteratorINS6_10device_ptrItEEEESG_SG_SG_PmS8_22is_equal_div_10_reduceItEEE10hipError_tPvRmT2_T3_mT4_T5_T6_T7_T8_P12ihipStream_tbENKUlT_T0_E_clISt17integral_constantIbLb1EES10_IbLb0EEEEDaSW_SX_EUlSW_E_NS1_11comp_targetILNS1_3genE3ELNS1_11target_archE908ELNS1_3gpuE7ELNS1_3repE0EEENS1_30default_config_static_selectorELNS0_4arch9wavefront6targetE1EEEvT1_
; %bb.0:
	.section	.rodata,"a",@progbits
	.p2align	6, 0x0
	.amdhsa_kernel _ZN7rocprim17ROCPRIM_400000_NS6detail17trampoline_kernelINS0_14default_configENS1_29reduce_by_key_config_selectorIttN6thrust23THRUST_200600_302600_NS4plusItEEEEZZNS1_33reduce_by_key_impl_wrapped_configILNS1_25lookback_scan_determinismE0ES3_S9_NS6_6detail15normal_iteratorINS6_10device_ptrItEEEESG_SG_SG_PmS8_22is_equal_div_10_reduceItEEE10hipError_tPvRmT2_T3_mT4_T5_T6_T7_T8_P12ihipStream_tbENKUlT_T0_E_clISt17integral_constantIbLb1EES10_IbLb0EEEEDaSW_SX_EUlSW_E_NS1_11comp_targetILNS1_3genE3ELNS1_11target_archE908ELNS1_3gpuE7ELNS1_3repE0EEENS1_30default_config_static_selectorELNS0_4arch9wavefront6targetE1EEEvT1_
		.amdhsa_group_segment_fixed_size 0
		.amdhsa_private_segment_fixed_size 0
		.amdhsa_kernarg_size 120
		.amdhsa_user_sgpr_count 6
		.amdhsa_user_sgpr_private_segment_buffer 1
		.amdhsa_user_sgpr_dispatch_ptr 0
		.amdhsa_user_sgpr_queue_ptr 0
		.amdhsa_user_sgpr_kernarg_segment_ptr 1
		.amdhsa_user_sgpr_dispatch_id 0
		.amdhsa_user_sgpr_flat_scratch_init 0
		.amdhsa_user_sgpr_kernarg_preload_length 0
		.amdhsa_user_sgpr_kernarg_preload_offset 0
		.amdhsa_user_sgpr_private_segment_size 0
		.amdhsa_uses_dynamic_stack 0
		.amdhsa_system_sgpr_private_segment_wavefront_offset 0
		.amdhsa_system_sgpr_workgroup_id_x 1
		.amdhsa_system_sgpr_workgroup_id_y 0
		.amdhsa_system_sgpr_workgroup_id_z 0
		.amdhsa_system_sgpr_workgroup_info 0
		.amdhsa_system_vgpr_workitem_id 0
		.amdhsa_next_free_vgpr 1
		.amdhsa_next_free_sgpr 0
		.amdhsa_accum_offset 4
		.amdhsa_reserve_vcc 0
		.amdhsa_reserve_flat_scratch 0
		.amdhsa_float_round_mode_32 0
		.amdhsa_float_round_mode_16_64 0
		.amdhsa_float_denorm_mode_32 3
		.amdhsa_float_denorm_mode_16_64 3
		.amdhsa_dx10_clamp 1
		.amdhsa_ieee_mode 1
		.amdhsa_fp16_overflow 0
		.amdhsa_tg_split 0
		.amdhsa_exception_fp_ieee_invalid_op 0
		.amdhsa_exception_fp_denorm_src 0
		.amdhsa_exception_fp_ieee_div_zero 0
		.amdhsa_exception_fp_ieee_overflow 0
		.amdhsa_exception_fp_ieee_underflow 0
		.amdhsa_exception_fp_ieee_inexact 0
		.amdhsa_exception_int_div_zero 0
	.end_amdhsa_kernel
	.section	.text._ZN7rocprim17ROCPRIM_400000_NS6detail17trampoline_kernelINS0_14default_configENS1_29reduce_by_key_config_selectorIttN6thrust23THRUST_200600_302600_NS4plusItEEEEZZNS1_33reduce_by_key_impl_wrapped_configILNS1_25lookback_scan_determinismE0ES3_S9_NS6_6detail15normal_iteratorINS6_10device_ptrItEEEESG_SG_SG_PmS8_22is_equal_div_10_reduceItEEE10hipError_tPvRmT2_T3_mT4_T5_T6_T7_T8_P12ihipStream_tbENKUlT_T0_E_clISt17integral_constantIbLb1EES10_IbLb0EEEEDaSW_SX_EUlSW_E_NS1_11comp_targetILNS1_3genE3ELNS1_11target_archE908ELNS1_3gpuE7ELNS1_3repE0EEENS1_30default_config_static_selectorELNS0_4arch9wavefront6targetE1EEEvT1_,"axG",@progbits,_ZN7rocprim17ROCPRIM_400000_NS6detail17trampoline_kernelINS0_14default_configENS1_29reduce_by_key_config_selectorIttN6thrust23THRUST_200600_302600_NS4plusItEEEEZZNS1_33reduce_by_key_impl_wrapped_configILNS1_25lookback_scan_determinismE0ES3_S9_NS6_6detail15normal_iteratorINS6_10device_ptrItEEEESG_SG_SG_PmS8_22is_equal_div_10_reduceItEEE10hipError_tPvRmT2_T3_mT4_T5_T6_T7_T8_P12ihipStream_tbENKUlT_T0_E_clISt17integral_constantIbLb1EES10_IbLb0EEEEDaSW_SX_EUlSW_E_NS1_11comp_targetILNS1_3genE3ELNS1_11target_archE908ELNS1_3gpuE7ELNS1_3repE0EEENS1_30default_config_static_selectorELNS0_4arch9wavefront6targetE1EEEvT1_,comdat
.Lfunc_end452:
	.size	_ZN7rocprim17ROCPRIM_400000_NS6detail17trampoline_kernelINS0_14default_configENS1_29reduce_by_key_config_selectorIttN6thrust23THRUST_200600_302600_NS4plusItEEEEZZNS1_33reduce_by_key_impl_wrapped_configILNS1_25lookback_scan_determinismE0ES3_S9_NS6_6detail15normal_iteratorINS6_10device_ptrItEEEESG_SG_SG_PmS8_22is_equal_div_10_reduceItEEE10hipError_tPvRmT2_T3_mT4_T5_T6_T7_T8_P12ihipStream_tbENKUlT_T0_E_clISt17integral_constantIbLb1EES10_IbLb0EEEEDaSW_SX_EUlSW_E_NS1_11comp_targetILNS1_3genE3ELNS1_11target_archE908ELNS1_3gpuE7ELNS1_3repE0EEENS1_30default_config_static_selectorELNS0_4arch9wavefront6targetE1EEEvT1_, .Lfunc_end452-_ZN7rocprim17ROCPRIM_400000_NS6detail17trampoline_kernelINS0_14default_configENS1_29reduce_by_key_config_selectorIttN6thrust23THRUST_200600_302600_NS4plusItEEEEZZNS1_33reduce_by_key_impl_wrapped_configILNS1_25lookback_scan_determinismE0ES3_S9_NS6_6detail15normal_iteratorINS6_10device_ptrItEEEESG_SG_SG_PmS8_22is_equal_div_10_reduceItEEE10hipError_tPvRmT2_T3_mT4_T5_T6_T7_T8_P12ihipStream_tbENKUlT_T0_E_clISt17integral_constantIbLb1EES10_IbLb0EEEEDaSW_SX_EUlSW_E_NS1_11comp_targetILNS1_3genE3ELNS1_11target_archE908ELNS1_3gpuE7ELNS1_3repE0EEENS1_30default_config_static_selectorELNS0_4arch9wavefront6targetE1EEEvT1_
                                        ; -- End function
	.section	.AMDGPU.csdata,"",@progbits
; Kernel info:
; codeLenInByte = 0
; NumSgprs: 4
; NumVgprs: 0
; NumAgprs: 0
; TotalNumVgprs: 0
; ScratchSize: 0
; MemoryBound: 0
; FloatMode: 240
; IeeeMode: 1
; LDSByteSize: 0 bytes/workgroup (compile time only)
; SGPRBlocks: 0
; VGPRBlocks: 0
; NumSGPRsForWavesPerEU: 4
; NumVGPRsForWavesPerEU: 1
; AccumOffset: 4
; Occupancy: 8
; WaveLimiterHint : 0
; COMPUTE_PGM_RSRC2:SCRATCH_EN: 0
; COMPUTE_PGM_RSRC2:USER_SGPR: 6
; COMPUTE_PGM_RSRC2:TRAP_HANDLER: 0
; COMPUTE_PGM_RSRC2:TGID_X_EN: 1
; COMPUTE_PGM_RSRC2:TGID_Y_EN: 0
; COMPUTE_PGM_RSRC2:TGID_Z_EN: 0
; COMPUTE_PGM_RSRC2:TIDIG_COMP_CNT: 0
; COMPUTE_PGM_RSRC3_GFX90A:ACCUM_OFFSET: 0
; COMPUTE_PGM_RSRC3_GFX90A:TG_SPLIT: 0
	.section	.text._ZN7rocprim17ROCPRIM_400000_NS6detail17trampoline_kernelINS0_14default_configENS1_29reduce_by_key_config_selectorIttN6thrust23THRUST_200600_302600_NS4plusItEEEEZZNS1_33reduce_by_key_impl_wrapped_configILNS1_25lookback_scan_determinismE0ES3_S9_NS6_6detail15normal_iteratorINS6_10device_ptrItEEEESG_SG_SG_PmS8_22is_equal_div_10_reduceItEEE10hipError_tPvRmT2_T3_mT4_T5_T6_T7_T8_P12ihipStream_tbENKUlT_T0_E_clISt17integral_constantIbLb1EES10_IbLb0EEEEDaSW_SX_EUlSW_E_NS1_11comp_targetILNS1_3genE2ELNS1_11target_archE906ELNS1_3gpuE6ELNS1_3repE0EEENS1_30default_config_static_selectorELNS0_4arch9wavefront6targetE1EEEvT1_,"axG",@progbits,_ZN7rocprim17ROCPRIM_400000_NS6detail17trampoline_kernelINS0_14default_configENS1_29reduce_by_key_config_selectorIttN6thrust23THRUST_200600_302600_NS4plusItEEEEZZNS1_33reduce_by_key_impl_wrapped_configILNS1_25lookback_scan_determinismE0ES3_S9_NS6_6detail15normal_iteratorINS6_10device_ptrItEEEESG_SG_SG_PmS8_22is_equal_div_10_reduceItEEE10hipError_tPvRmT2_T3_mT4_T5_T6_T7_T8_P12ihipStream_tbENKUlT_T0_E_clISt17integral_constantIbLb1EES10_IbLb0EEEEDaSW_SX_EUlSW_E_NS1_11comp_targetILNS1_3genE2ELNS1_11target_archE906ELNS1_3gpuE6ELNS1_3repE0EEENS1_30default_config_static_selectorELNS0_4arch9wavefront6targetE1EEEvT1_,comdat
	.protected	_ZN7rocprim17ROCPRIM_400000_NS6detail17trampoline_kernelINS0_14default_configENS1_29reduce_by_key_config_selectorIttN6thrust23THRUST_200600_302600_NS4plusItEEEEZZNS1_33reduce_by_key_impl_wrapped_configILNS1_25lookback_scan_determinismE0ES3_S9_NS6_6detail15normal_iteratorINS6_10device_ptrItEEEESG_SG_SG_PmS8_22is_equal_div_10_reduceItEEE10hipError_tPvRmT2_T3_mT4_T5_T6_T7_T8_P12ihipStream_tbENKUlT_T0_E_clISt17integral_constantIbLb1EES10_IbLb0EEEEDaSW_SX_EUlSW_E_NS1_11comp_targetILNS1_3genE2ELNS1_11target_archE906ELNS1_3gpuE6ELNS1_3repE0EEENS1_30default_config_static_selectorELNS0_4arch9wavefront6targetE1EEEvT1_ ; -- Begin function _ZN7rocprim17ROCPRIM_400000_NS6detail17trampoline_kernelINS0_14default_configENS1_29reduce_by_key_config_selectorIttN6thrust23THRUST_200600_302600_NS4plusItEEEEZZNS1_33reduce_by_key_impl_wrapped_configILNS1_25lookback_scan_determinismE0ES3_S9_NS6_6detail15normal_iteratorINS6_10device_ptrItEEEESG_SG_SG_PmS8_22is_equal_div_10_reduceItEEE10hipError_tPvRmT2_T3_mT4_T5_T6_T7_T8_P12ihipStream_tbENKUlT_T0_E_clISt17integral_constantIbLb1EES10_IbLb0EEEEDaSW_SX_EUlSW_E_NS1_11comp_targetILNS1_3genE2ELNS1_11target_archE906ELNS1_3gpuE6ELNS1_3repE0EEENS1_30default_config_static_selectorELNS0_4arch9wavefront6targetE1EEEvT1_
	.globl	_ZN7rocprim17ROCPRIM_400000_NS6detail17trampoline_kernelINS0_14default_configENS1_29reduce_by_key_config_selectorIttN6thrust23THRUST_200600_302600_NS4plusItEEEEZZNS1_33reduce_by_key_impl_wrapped_configILNS1_25lookback_scan_determinismE0ES3_S9_NS6_6detail15normal_iteratorINS6_10device_ptrItEEEESG_SG_SG_PmS8_22is_equal_div_10_reduceItEEE10hipError_tPvRmT2_T3_mT4_T5_T6_T7_T8_P12ihipStream_tbENKUlT_T0_E_clISt17integral_constantIbLb1EES10_IbLb0EEEEDaSW_SX_EUlSW_E_NS1_11comp_targetILNS1_3genE2ELNS1_11target_archE906ELNS1_3gpuE6ELNS1_3repE0EEENS1_30default_config_static_selectorELNS0_4arch9wavefront6targetE1EEEvT1_
	.p2align	8
	.type	_ZN7rocprim17ROCPRIM_400000_NS6detail17trampoline_kernelINS0_14default_configENS1_29reduce_by_key_config_selectorIttN6thrust23THRUST_200600_302600_NS4plusItEEEEZZNS1_33reduce_by_key_impl_wrapped_configILNS1_25lookback_scan_determinismE0ES3_S9_NS6_6detail15normal_iteratorINS6_10device_ptrItEEEESG_SG_SG_PmS8_22is_equal_div_10_reduceItEEE10hipError_tPvRmT2_T3_mT4_T5_T6_T7_T8_P12ihipStream_tbENKUlT_T0_E_clISt17integral_constantIbLb1EES10_IbLb0EEEEDaSW_SX_EUlSW_E_NS1_11comp_targetILNS1_3genE2ELNS1_11target_archE906ELNS1_3gpuE6ELNS1_3repE0EEENS1_30default_config_static_selectorELNS0_4arch9wavefront6targetE1EEEvT1_,@function
_ZN7rocprim17ROCPRIM_400000_NS6detail17trampoline_kernelINS0_14default_configENS1_29reduce_by_key_config_selectorIttN6thrust23THRUST_200600_302600_NS4plusItEEEEZZNS1_33reduce_by_key_impl_wrapped_configILNS1_25lookback_scan_determinismE0ES3_S9_NS6_6detail15normal_iteratorINS6_10device_ptrItEEEESG_SG_SG_PmS8_22is_equal_div_10_reduceItEEE10hipError_tPvRmT2_T3_mT4_T5_T6_T7_T8_P12ihipStream_tbENKUlT_T0_E_clISt17integral_constantIbLb1EES10_IbLb0EEEEDaSW_SX_EUlSW_E_NS1_11comp_targetILNS1_3genE2ELNS1_11target_archE906ELNS1_3gpuE6ELNS1_3repE0EEENS1_30default_config_static_selectorELNS0_4arch9wavefront6targetE1EEEvT1_: ; @_ZN7rocprim17ROCPRIM_400000_NS6detail17trampoline_kernelINS0_14default_configENS1_29reduce_by_key_config_selectorIttN6thrust23THRUST_200600_302600_NS4plusItEEEEZZNS1_33reduce_by_key_impl_wrapped_configILNS1_25lookback_scan_determinismE0ES3_S9_NS6_6detail15normal_iteratorINS6_10device_ptrItEEEESG_SG_SG_PmS8_22is_equal_div_10_reduceItEEE10hipError_tPvRmT2_T3_mT4_T5_T6_T7_T8_P12ihipStream_tbENKUlT_T0_E_clISt17integral_constantIbLb1EES10_IbLb0EEEEDaSW_SX_EUlSW_E_NS1_11comp_targetILNS1_3genE2ELNS1_11target_archE906ELNS1_3gpuE6ELNS1_3repE0EEENS1_30default_config_static_selectorELNS0_4arch9wavefront6targetE1EEEvT1_
; %bb.0:
	.section	.rodata,"a",@progbits
	.p2align	6, 0x0
	.amdhsa_kernel _ZN7rocprim17ROCPRIM_400000_NS6detail17trampoline_kernelINS0_14default_configENS1_29reduce_by_key_config_selectorIttN6thrust23THRUST_200600_302600_NS4plusItEEEEZZNS1_33reduce_by_key_impl_wrapped_configILNS1_25lookback_scan_determinismE0ES3_S9_NS6_6detail15normal_iteratorINS6_10device_ptrItEEEESG_SG_SG_PmS8_22is_equal_div_10_reduceItEEE10hipError_tPvRmT2_T3_mT4_T5_T6_T7_T8_P12ihipStream_tbENKUlT_T0_E_clISt17integral_constantIbLb1EES10_IbLb0EEEEDaSW_SX_EUlSW_E_NS1_11comp_targetILNS1_3genE2ELNS1_11target_archE906ELNS1_3gpuE6ELNS1_3repE0EEENS1_30default_config_static_selectorELNS0_4arch9wavefront6targetE1EEEvT1_
		.amdhsa_group_segment_fixed_size 0
		.amdhsa_private_segment_fixed_size 0
		.amdhsa_kernarg_size 120
		.amdhsa_user_sgpr_count 6
		.amdhsa_user_sgpr_private_segment_buffer 1
		.amdhsa_user_sgpr_dispatch_ptr 0
		.amdhsa_user_sgpr_queue_ptr 0
		.amdhsa_user_sgpr_kernarg_segment_ptr 1
		.amdhsa_user_sgpr_dispatch_id 0
		.amdhsa_user_sgpr_flat_scratch_init 0
		.amdhsa_user_sgpr_kernarg_preload_length 0
		.amdhsa_user_sgpr_kernarg_preload_offset 0
		.amdhsa_user_sgpr_private_segment_size 0
		.amdhsa_uses_dynamic_stack 0
		.amdhsa_system_sgpr_private_segment_wavefront_offset 0
		.amdhsa_system_sgpr_workgroup_id_x 1
		.amdhsa_system_sgpr_workgroup_id_y 0
		.amdhsa_system_sgpr_workgroup_id_z 0
		.amdhsa_system_sgpr_workgroup_info 0
		.amdhsa_system_vgpr_workitem_id 0
		.amdhsa_next_free_vgpr 1
		.amdhsa_next_free_sgpr 0
		.amdhsa_accum_offset 4
		.amdhsa_reserve_vcc 0
		.amdhsa_reserve_flat_scratch 0
		.amdhsa_float_round_mode_32 0
		.amdhsa_float_round_mode_16_64 0
		.amdhsa_float_denorm_mode_32 3
		.amdhsa_float_denorm_mode_16_64 3
		.amdhsa_dx10_clamp 1
		.amdhsa_ieee_mode 1
		.amdhsa_fp16_overflow 0
		.amdhsa_tg_split 0
		.amdhsa_exception_fp_ieee_invalid_op 0
		.amdhsa_exception_fp_denorm_src 0
		.amdhsa_exception_fp_ieee_div_zero 0
		.amdhsa_exception_fp_ieee_overflow 0
		.amdhsa_exception_fp_ieee_underflow 0
		.amdhsa_exception_fp_ieee_inexact 0
		.amdhsa_exception_int_div_zero 0
	.end_amdhsa_kernel
	.section	.text._ZN7rocprim17ROCPRIM_400000_NS6detail17trampoline_kernelINS0_14default_configENS1_29reduce_by_key_config_selectorIttN6thrust23THRUST_200600_302600_NS4plusItEEEEZZNS1_33reduce_by_key_impl_wrapped_configILNS1_25lookback_scan_determinismE0ES3_S9_NS6_6detail15normal_iteratorINS6_10device_ptrItEEEESG_SG_SG_PmS8_22is_equal_div_10_reduceItEEE10hipError_tPvRmT2_T3_mT4_T5_T6_T7_T8_P12ihipStream_tbENKUlT_T0_E_clISt17integral_constantIbLb1EES10_IbLb0EEEEDaSW_SX_EUlSW_E_NS1_11comp_targetILNS1_3genE2ELNS1_11target_archE906ELNS1_3gpuE6ELNS1_3repE0EEENS1_30default_config_static_selectorELNS0_4arch9wavefront6targetE1EEEvT1_,"axG",@progbits,_ZN7rocprim17ROCPRIM_400000_NS6detail17trampoline_kernelINS0_14default_configENS1_29reduce_by_key_config_selectorIttN6thrust23THRUST_200600_302600_NS4plusItEEEEZZNS1_33reduce_by_key_impl_wrapped_configILNS1_25lookback_scan_determinismE0ES3_S9_NS6_6detail15normal_iteratorINS6_10device_ptrItEEEESG_SG_SG_PmS8_22is_equal_div_10_reduceItEEE10hipError_tPvRmT2_T3_mT4_T5_T6_T7_T8_P12ihipStream_tbENKUlT_T0_E_clISt17integral_constantIbLb1EES10_IbLb0EEEEDaSW_SX_EUlSW_E_NS1_11comp_targetILNS1_3genE2ELNS1_11target_archE906ELNS1_3gpuE6ELNS1_3repE0EEENS1_30default_config_static_selectorELNS0_4arch9wavefront6targetE1EEEvT1_,comdat
.Lfunc_end453:
	.size	_ZN7rocprim17ROCPRIM_400000_NS6detail17trampoline_kernelINS0_14default_configENS1_29reduce_by_key_config_selectorIttN6thrust23THRUST_200600_302600_NS4plusItEEEEZZNS1_33reduce_by_key_impl_wrapped_configILNS1_25lookback_scan_determinismE0ES3_S9_NS6_6detail15normal_iteratorINS6_10device_ptrItEEEESG_SG_SG_PmS8_22is_equal_div_10_reduceItEEE10hipError_tPvRmT2_T3_mT4_T5_T6_T7_T8_P12ihipStream_tbENKUlT_T0_E_clISt17integral_constantIbLb1EES10_IbLb0EEEEDaSW_SX_EUlSW_E_NS1_11comp_targetILNS1_3genE2ELNS1_11target_archE906ELNS1_3gpuE6ELNS1_3repE0EEENS1_30default_config_static_selectorELNS0_4arch9wavefront6targetE1EEEvT1_, .Lfunc_end453-_ZN7rocprim17ROCPRIM_400000_NS6detail17trampoline_kernelINS0_14default_configENS1_29reduce_by_key_config_selectorIttN6thrust23THRUST_200600_302600_NS4plusItEEEEZZNS1_33reduce_by_key_impl_wrapped_configILNS1_25lookback_scan_determinismE0ES3_S9_NS6_6detail15normal_iteratorINS6_10device_ptrItEEEESG_SG_SG_PmS8_22is_equal_div_10_reduceItEEE10hipError_tPvRmT2_T3_mT4_T5_T6_T7_T8_P12ihipStream_tbENKUlT_T0_E_clISt17integral_constantIbLb1EES10_IbLb0EEEEDaSW_SX_EUlSW_E_NS1_11comp_targetILNS1_3genE2ELNS1_11target_archE906ELNS1_3gpuE6ELNS1_3repE0EEENS1_30default_config_static_selectorELNS0_4arch9wavefront6targetE1EEEvT1_
                                        ; -- End function
	.section	.AMDGPU.csdata,"",@progbits
; Kernel info:
; codeLenInByte = 0
; NumSgprs: 4
; NumVgprs: 0
; NumAgprs: 0
; TotalNumVgprs: 0
; ScratchSize: 0
; MemoryBound: 0
; FloatMode: 240
; IeeeMode: 1
; LDSByteSize: 0 bytes/workgroup (compile time only)
; SGPRBlocks: 0
; VGPRBlocks: 0
; NumSGPRsForWavesPerEU: 4
; NumVGPRsForWavesPerEU: 1
; AccumOffset: 4
; Occupancy: 8
; WaveLimiterHint : 0
; COMPUTE_PGM_RSRC2:SCRATCH_EN: 0
; COMPUTE_PGM_RSRC2:USER_SGPR: 6
; COMPUTE_PGM_RSRC2:TRAP_HANDLER: 0
; COMPUTE_PGM_RSRC2:TGID_X_EN: 1
; COMPUTE_PGM_RSRC2:TGID_Y_EN: 0
; COMPUTE_PGM_RSRC2:TGID_Z_EN: 0
; COMPUTE_PGM_RSRC2:TIDIG_COMP_CNT: 0
; COMPUTE_PGM_RSRC3_GFX90A:ACCUM_OFFSET: 0
; COMPUTE_PGM_RSRC3_GFX90A:TG_SPLIT: 0
	.section	.text._ZN7rocprim17ROCPRIM_400000_NS6detail17trampoline_kernelINS0_14default_configENS1_29reduce_by_key_config_selectorIttN6thrust23THRUST_200600_302600_NS4plusItEEEEZZNS1_33reduce_by_key_impl_wrapped_configILNS1_25lookback_scan_determinismE0ES3_S9_NS6_6detail15normal_iteratorINS6_10device_ptrItEEEESG_SG_SG_PmS8_22is_equal_div_10_reduceItEEE10hipError_tPvRmT2_T3_mT4_T5_T6_T7_T8_P12ihipStream_tbENKUlT_T0_E_clISt17integral_constantIbLb1EES10_IbLb0EEEEDaSW_SX_EUlSW_E_NS1_11comp_targetILNS1_3genE10ELNS1_11target_archE1201ELNS1_3gpuE5ELNS1_3repE0EEENS1_30default_config_static_selectorELNS0_4arch9wavefront6targetE1EEEvT1_,"axG",@progbits,_ZN7rocprim17ROCPRIM_400000_NS6detail17trampoline_kernelINS0_14default_configENS1_29reduce_by_key_config_selectorIttN6thrust23THRUST_200600_302600_NS4plusItEEEEZZNS1_33reduce_by_key_impl_wrapped_configILNS1_25lookback_scan_determinismE0ES3_S9_NS6_6detail15normal_iteratorINS6_10device_ptrItEEEESG_SG_SG_PmS8_22is_equal_div_10_reduceItEEE10hipError_tPvRmT2_T3_mT4_T5_T6_T7_T8_P12ihipStream_tbENKUlT_T0_E_clISt17integral_constantIbLb1EES10_IbLb0EEEEDaSW_SX_EUlSW_E_NS1_11comp_targetILNS1_3genE10ELNS1_11target_archE1201ELNS1_3gpuE5ELNS1_3repE0EEENS1_30default_config_static_selectorELNS0_4arch9wavefront6targetE1EEEvT1_,comdat
	.protected	_ZN7rocprim17ROCPRIM_400000_NS6detail17trampoline_kernelINS0_14default_configENS1_29reduce_by_key_config_selectorIttN6thrust23THRUST_200600_302600_NS4plusItEEEEZZNS1_33reduce_by_key_impl_wrapped_configILNS1_25lookback_scan_determinismE0ES3_S9_NS6_6detail15normal_iteratorINS6_10device_ptrItEEEESG_SG_SG_PmS8_22is_equal_div_10_reduceItEEE10hipError_tPvRmT2_T3_mT4_T5_T6_T7_T8_P12ihipStream_tbENKUlT_T0_E_clISt17integral_constantIbLb1EES10_IbLb0EEEEDaSW_SX_EUlSW_E_NS1_11comp_targetILNS1_3genE10ELNS1_11target_archE1201ELNS1_3gpuE5ELNS1_3repE0EEENS1_30default_config_static_selectorELNS0_4arch9wavefront6targetE1EEEvT1_ ; -- Begin function _ZN7rocprim17ROCPRIM_400000_NS6detail17trampoline_kernelINS0_14default_configENS1_29reduce_by_key_config_selectorIttN6thrust23THRUST_200600_302600_NS4plusItEEEEZZNS1_33reduce_by_key_impl_wrapped_configILNS1_25lookback_scan_determinismE0ES3_S9_NS6_6detail15normal_iteratorINS6_10device_ptrItEEEESG_SG_SG_PmS8_22is_equal_div_10_reduceItEEE10hipError_tPvRmT2_T3_mT4_T5_T6_T7_T8_P12ihipStream_tbENKUlT_T0_E_clISt17integral_constantIbLb1EES10_IbLb0EEEEDaSW_SX_EUlSW_E_NS1_11comp_targetILNS1_3genE10ELNS1_11target_archE1201ELNS1_3gpuE5ELNS1_3repE0EEENS1_30default_config_static_selectorELNS0_4arch9wavefront6targetE1EEEvT1_
	.globl	_ZN7rocprim17ROCPRIM_400000_NS6detail17trampoline_kernelINS0_14default_configENS1_29reduce_by_key_config_selectorIttN6thrust23THRUST_200600_302600_NS4plusItEEEEZZNS1_33reduce_by_key_impl_wrapped_configILNS1_25lookback_scan_determinismE0ES3_S9_NS6_6detail15normal_iteratorINS6_10device_ptrItEEEESG_SG_SG_PmS8_22is_equal_div_10_reduceItEEE10hipError_tPvRmT2_T3_mT4_T5_T6_T7_T8_P12ihipStream_tbENKUlT_T0_E_clISt17integral_constantIbLb1EES10_IbLb0EEEEDaSW_SX_EUlSW_E_NS1_11comp_targetILNS1_3genE10ELNS1_11target_archE1201ELNS1_3gpuE5ELNS1_3repE0EEENS1_30default_config_static_selectorELNS0_4arch9wavefront6targetE1EEEvT1_
	.p2align	8
	.type	_ZN7rocprim17ROCPRIM_400000_NS6detail17trampoline_kernelINS0_14default_configENS1_29reduce_by_key_config_selectorIttN6thrust23THRUST_200600_302600_NS4plusItEEEEZZNS1_33reduce_by_key_impl_wrapped_configILNS1_25lookback_scan_determinismE0ES3_S9_NS6_6detail15normal_iteratorINS6_10device_ptrItEEEESG_SG_SG_PmS8_22is_equal_div_10_reduceItEEE10hipError_tPvRmT2_T3_mT4_T5_T6_T7_T8_P12ihipStream_tbENKUlT_T0_E_clISt17integral_constantIbLb1EES10_IbLb0EEEEDaSW_SX_EUlSW_E_NS1_11comp_targetILNS1_3genE10ELNS1_11target_archE1201ELNS1_3gpuE5ELNS1_3repE0EEENS1_30default_config_static_selectorELNS0_4arch9wavefront6targetE1EEEvT1_,@function
_ZN7rocprim17ROCPRIM_400000_NS6detail17trampoline_kernelINS0_14default_configENS1_29reduce_by_key_config_selectorIttN6thrust23THRUST_200600_302600_NS4plusItEEEEZZNS1_33reduce_by_key_impl_wrapped_configILNS1_25lookback_scan_determinismE0ES3_S9_NS6_6detail15normal_iteratorINS6_10device_ptrItEEEESG_SG_SG_PmS8_22is_equal_div_10_reduceItEEE10hipError_tPvRmT2_T3_mT4_T5_T6_T7_T8_P12ihipStream_tbENKUlT_T0_E_clISt17integral_constantIbLb1EES10_IbLb0EEEEDaSW_SX_EUlSW_E_NS1_11comp_targetILNS1_3genE10ELNS1_11target_archE1201ELNS1_3gpuE5ELNS1_3repE0EEENS1_30default_config_static_selectorELNS0_4arch9wavefront6targetE1EEEvT1_: ; @_ZN7rocprim17ROCPRIM_400000_NS6detail17trampoline_kernelINS0_14default_configENS1_29reduce_by_key_config_selectorIttN6thrust23THRUST_200600_302600_NS4plusItEEEEZZNS1_33reduce_by_key_impl_wrapped_configILNS1_25lookback_scan_determinismE0ES3_S9_NS6_6detail15normal_iteratorINS6_10device_ptrItEEEESG_SG_SG_PmS8_22is_equal_div_10_reduceItEEE10hipError_tPvRmT2_T3_mT4_T5_T6_T7_T8_P12ihipStream_tbENKUlT_T0_E_clISt17integral_constantIbLb1EES10_IbLb0EEEEDaSW_SX_EUlSW_E_NS1_11comp_targetILNS1_3genE10ELNS1_11target_archE1201ELNS1_3gpuE5ELNS1_3repE0EEENS1_30default_config_static_selectorELNS0_4arch9wavefront6targetE1EEEvT1_
; %bb.0:
	.section	.rodata,"a",@progbits
	.p2align	6, 0x0
	.amdhsa_kernel _ZN7rocprim17ROCPRIM_400000_NS6detail17trampoline_kernelINS0_14default_configENS1_29reduce_by_key_config_selectorIttN6thrust23THRUST_200600_302600_NS4plusItEEEEZZNS1_33reduce_by_key_impl_wrapped_configILNS1_25lookback_scan_determinismE0ES3_S9_NS6_6detail15normal_iteratorINS6_10device_ptrItEEEESG_SG_SG_PmS8_22is_equal_div_10_reduceItEEE10hipError_tPvRmT2_T3_mT4_T5_T6_T7_T8_P12ihipStream_tbENKUlT_T0_E_clISt17integral_constantIbLb1EES10_IbLb0EEEEDaSW_SX_EUlSW_E_NS1_11comp_targetILNS1_3genE10ELNS1_11target_archE1201ELNS1_3gpuE5ELNS1_3repE0EEENS1_30default_config_static_selectorELNS0_4arch9wavefront6targetE1EEEvT1_
		.amdhsa_group_segment_fixed_size 0
		.amdhsa_private_segment_fixed_size 0
		.amdhsa_kernarg_size 120
		.amdhsa_user_sgpr_count 6
		.amdhsa_user_sgpr_private_segment_buffer 1
		.amdhsa_user_sgpr_dispatch_ptr 0
		.amdhsa_user_sgpr_queue_ptr 0
		.amdhsa_user_sgpr_kernarg_segment_ptr 1
		.amdhsa_user_sgpr_dispatch_id 0
		.amdhsa_user_sgpr_flat_scratch_init 0
		.amdhsa_user_sgpr_kernarg_preload_length 0
		.amdhsa_user_sgpr_kernarg_preload_offset 0
		.amdhsa_user_sgpr_private_segment_size 0
		.amdhsa_uses_dynamic_stack 0
		.amdhsa_system_sgpr_private_segment_wavefront_offset 0
		.amdhsa_system_sgpr_workgroup_id_x 1
		.amdhsa_system_sgpr_workgroup_id_y 0
		.amdhsa_system_sgpr_workgroup_id_z 0
		.amdhsa_system_sgpr_workgroup_info 0
		.amdhsa_system_vgpr_workitem_id 0
		.amdhsa_next_free_vgpr 1
		.amdhsa_next_free_sgpr 0
		.amdhsa_accum_offset 4
		.amdhsa_reserve_vcc 0
		.amdhsa_reserve_flat_scratch 0
		.amdhsa_float_round_mode_32 0
		.amdhsa_float_round_mode_16_64 0
		.amdhsa_float_denorm_mode_32 3
		.amdhsa_float_denorm_mode_16_64 3
		.amdhsa_dx10_clamp 1
		.amdhsa_ieee_mode 1
		.amdhsa_fp16_overflow 0
		.amdhsa_tg_split 0
		.amdhsa_exception_fp_ieee_invalid_op 0
		.amdhsa_exception_fp_denorm_src 0
		.amdhsa_exception_fp_ieee_div_zero 0
		.amdhsa_exception_fp_ieee_overflow 0
		.amdhsa_exception_fp_ieee_underflow 0
		.amdhsa_exception_fp_ieee_inexact 0
		.amdhsa_exception_int_div_zero 0
	.end_amdhsa_kernel
	.section	.text._ZN7rocprim17ROCPRIM_400000_NS6detail17trampoline_kernelINS0_14default_configENS1_29reduce_by_key_config_selectorIttN6thrust23THRUST_200600_302600_NS4plusItEEEEZZNS1_33reduce_by_key_impl_wrapped_configILNS1_25lookback_scan_determinismE0ES3_S9_NS6_6detail15normal_iteratorINS6_10device_ptrItEEEESG_SG_SG_PmS8_22is_equal_div_10_reduceItEEE10hipError_tPvRmT2_T3_mT4_T5_T6_T7_T8_P12ihipStream_tbENKUlT_T0_E_clISt17integral_constantIbLb1EES10_IbLb0EEEEDaSW_SX_EUlSW_E_NS1_11comp_targetILNS1_3genE10ELNS1_11target_archE1201ELNS1_3gpuE5ELNS1_3repE0EEENS1_30default_config_static_selectorELNS0_4arch9wavefront6targetE1EEEvT1_,"axG",@progbits,_ZN7rocprim17ROCPRIM_400000_NS6detail17trampoline_kernelINS0_14default_configENS1_29reduce_by_key_config_selectorIttN6thrust23THRUST_200600_302600_NS4plusItEEEEZZNS1_33reduce_by_key_impl_wrapped_configILNS1_25lookback_scan_determinismE0ES3_S9_NS6_6detail15normal_iteratorINS6_10device_ptrItEEEESG_SG_SG_PmS8_22is_equal_div_10_reduceItEEE10hipError_tPvRmT2_T3_mT4_T5_T6_T7_T8_P12ihipStream_tbENKUlT_T0_E_clISt17integral_constantIbLb1EES10_IbLb0EEEEDaSW_SX_EUlSW_E_NS1_11comp_targetILNS1_3genE10ELNS1_11target_archE1201ELNS1_3gpuE5ELNS1_3repE0EEENS1_30default_config_static_selectorELNS0_4arch9wavefront6targetE1EEEvT1_,comdat
.Lfunc_end454:
	.size	_ZN7rocprim17ROCPRIM_400000_NS6detail17trampoline_kernelINS0_14default_configENS1_29reduce_by_key_config_selectorIttN6thrust23THRUST_200600_302600_NS4plusItEEEEZZNS1_33reduce_by_key_impl_wrapped_configILNS1_25lookback_scan_determinismE0ES3_S9_NS6_6detail15normal_iteratorINS6_10device_ptrItEEEESG_SG_SG_PmS8_22is_equal_div_10_reduceItEEE10hipError_tPvRmT2_T3_mT4_T5_T6_T7_T8_P12ihipStream_tbENKUlT_T0_E_clISt17integral_constantIbLb1EES10_IbLb0EEEEDaSW_SX_EUlSW_E_NS1_11comp_targetILNS1_3genE10ELNS1_11target_archE1201ELNS1_3gpuE5ELNS1_3repE0EEENS1_30default_config_static_selectorELNS0_4arch9wavefront6targetE1EEEvT1_, .Lfunc_end454-_ZN7rocprim17ROCPRIM_400000_NS6detail17trampoline_kernelINS0_14default_configENS1_29reduce_by_key_config_selectorIttN6thrust23THRUST_200600_302600_NS4plusItEEEEZZNS1_33reduce_by_key_impl_wrapped_configILNS1_25lookback_scan_determinismE0ES3_S9_NS6_6detail15normal_iteratorINS6_10device_ptrItEEEESG_SG_SG_PmS8_22is_equal_div_10_reduceItEEE10hipError_tPvRmT2_T3_mT4_T5_T6_T7_T8_P12ihipStream_tbENKUlT_T0_E_clISt17integral_constantIbLb1EES10_IbLb0EEEEDaSW_SX_EUlSW_E_NS1_11comp_targetILNS1_3genE10ELNS1_11target_archE1201ELNS1_3gpuE5ELNS1_3repE0EEENS1_30default_config_static_selectorELNS0_4arch9wavefront6targetE1EEEvT1_
                                        ; -- End function
	.section	.AMDGPU.csdata,"",@progbits
; Kernel info:
; codeLenInByte = 0
; NumSgprs: 4
; NumVgprs: 0
; NumAgprs: 0
; TotalNumVgprs: 0
; ScratchSize: 0
; MemoryBound: 0
; FloatMode: 240
; IeeeMode: 1
; LDSByteSize: 0 bytes/workgroup (compile time only)
; SGPRBlocks: 0
; VGPRBlocks: 0
; NumSGPRsForWavesPerEU: 4
; NumVGPRsForWavesPerEU: 1
; AccumOffset: 4
; Occupancy: 8
; WaveLimiterHint : 0
; COMPUTE_PGM_RSRC2:SCRATCH_EN: 0
; COMPUTE_PGM_RSRC2:USER_SGPR: 6
; COMPUTE_PGM_RSRC2:TRAP_HANDLER: 0
; COMPUTE_PGM_RSRC2:TGID_X_EN: 1
; COMPUTE_PGM_RSRC2:TGID_Y_EN: 0
; COMPUTE_PGM_RSRC2:TGID_Z_EN: 0
; COMPUTE_PGM_RSRC2:TIDIG_COMP_CNT: 0
; COMPUTE_PGM_RSRC3_GFX90A:ACCUM_OFFSET: 0
; COMPUTE_PGM_RSRC3_GFX90A:TG_SPLIT: 0
	.section	.text._ZN7rocprim17ROCPRIM_400000_NS6detail17trampoline_kernelINS0_14default_configENS1_29reduce_by_key_config_selectorIttN6thrust23THRUST_200600_302600_NS4plusItEEEEZZNS1_33reduce_by_key_impl_wrapped_configILNS1_25lookback_scan_determinismE0ES3_S9_NS6_6detail15normal_iteratorINS6_10device_ptrItEEEESG_SG_SG_PmS8_22is_equal_div_10_reduceItEEE10hipError_tPvRmT2_T3_mT4_T5_T6_T7_T8_P12ihipStream_tbENKUlT_T0_E_clISt17integral_constantIbLb1EES10_IbLb0EEEEDaSW_SX_EUlSW_E_NS1_11comp_targetILNS1_3genE10ELNS1_11target_archE1200ELNS1_3gpuE4ELNS1_3repE0EEENS1_30default_config_static_selectorELNS0_4arch9wavefront6targetE1EEEvT1_,"axG",@progbits,_ZN7rocprim17ROCPRIM_400000_NS6detail17trampoline_kernelINS0_14default_configENS1_29reduce_by_key_config_selectorIttN6thrust23THRUST_200600_302600_NS4plusItEEEEZZNS1_33reduce_by_key_impl_wrapped_configILNS1_25lookback_scan_determinismE0ES3_S9_NS6_6detail15normal_iteratorINS6_10device_ptrItEEEESG_SG_SG_PmS8_22is_equal_div_10_reduceItEEE10hipError_tPvRmT2_T3_mT4_T5_T6_T7_T8_P12ihipStream_tbENKUlT_T0_E_clISt17integral_constantIbLb1EES10_IbLb0EEEEDaSW_SX_EUlSW_E_NS1_11comp_targetILNS1_3genE10ELNS1_11target_archE1200ELNS1_3gpuE4ELNS1_3repE0EEENS1_30default_config_static_selectorELNS0_4arch9wavefront6targetE1EEEvT1_,comdat
	.protected	_ZN7rocprim17ROCPRIM_400000_NS6detail17trampoline_kernelINS0_14default_configENS1_29reduce_by_key_config_selectorIttN6thrust23THRUST_200600_302600_NS4plusItEEEEZZNS1_33reduce_by_key_impl_wrapped_configILNS1_25lookback_scan_determinismE0ES3_S9_NS6_6detail15normal_iteratorINS6_10device_ptrItEEEESG_SG_SG_PmS8_22is_equal_div_10_reduceItEEE10hipError_tPvRmT2_T3_mT4_T5_T6_T7_T8_P12ihipStream_tbENKUlT_T0_E_clISt17integral_constantIbLb1EES10_IbLb0EEEEDaSW_SX_EUlSW_E_NS1_11comp_targetILNS1_3genE10ELNS1_11target_archE1200ELNS1_3gpuE4ELNS1_3repE0EEENS1_30default_config_static_selectorELNS0_4arch9wavefront6targetE1EEEvT1_ ; -- Begin function _ZN7rocprim17ROCPRIM_400000_NS6detail17trampoline_kernelINS0_14default_configENS1_29reduce_by_key_config_selectorIttN6thrust23THRUST_200600_302600_NS4plusItEEEEZZNS1_33reduce_by_key_impl_wrapped_configILNS1_25lookback_scan_determinismE0ES3_S9_NS6_6detail15normal_iteratorINS6_10device_ptrItEEEESG_SG_SG_PmS8_22is_equal_div_10_reduceItEEE10hipError_tPvRmT2_T3_mT4_T5_T6_T7_T8_P12ihipStream_tbENKUlT_T0_E_clISt17integral_constantIbLb1EES10_IbLb0EEEEDaSW_SX_EUlSW_E_NS1_11comp_targetILNS1_3genE10ELNS1_11target_archE1200ELNS1_3gpuE4ELNS1_3repE0EEENS1_30default_config_static_selectorELNS0_4arch9wavefront6targetE1EEEvT1_
	.globl	_ZN7rocprim17ROCPRIM_400000_NS6detail17trampoline_kernelINS0_14default_configENS1_29reduce_by_key_config_selectorIttN6thrust23THRUST_200600_302600_NS4plusItEEEEZZNS1_33reduce_by_key_impl_wrapped_configILNS1_25lookback_scan_determinismE0ES3_S9_NS6_6detail15normal_iteratorINS6_10device_ptrItEEEESG_SG_SG_PmS8_22is_equal_div_10_reduceItEEE10hipError_tPvRmT2_T3_mT4_T5_T6_T7_T8_P12ihipStream_tbENKUlT_T0_E_clISt17integral_constantIbLb1EES10_IbLb0EEEEDaSW_SX_EUlSW_E_NS1_11comp_targetILNS1_3genE10ELNS1_11target_archE1200ELNS1_3gpuE4ELNS1_3repE0EEENS1_30default_config_static_selectorELNS0_4arch9wavefront6targetE1EEEvT1_
	.p2align	8
	.type	_ZN7rocprim17ROCPRIM_400000_NS6detail17trampoline_kernelINS0_14default_configENS1_29reduce_by_key_config_selectorIttN6thrust23THRUST_200600_302600_NS4plusItEEEEZZNS1_33reduce_by_key_impl_wrapped_configILNS1_25lookback_scan_determinismE0ES3_S9_NS6_6detail15normal_iteratorINS6_10device_ptrItEEEESG_SG_SG_PmS8_22is_equal_div_10_reduceItEEE10hipError_tPvRmT2_T3_mT4_T5_T6_T7_T8_P12ihipStream_tbENKUlT_T0_E_clISt17integral_constantIbLb1EES10_IbLb0EEEEDaSW_SX_EUlSW_E_NS1_11comp_targetILNS1_3genE10ELNS1_11target_archE1200ELNS1_3gpuE4ELNS1_3repE0EEENS1_30default_config_static_selectorELNS0_4arch9wavefront6targetE1EEEvT1_,@function
_ZN7rocprim17ROCPRIM_400000_NS6detail17trampoline_kernelINS0_14default_configENS1_29reduce_by_key_config_selectorIttN6thrust23THRUST_200600_302600_NS4plusItEEEEZZNS1_33reduce_by_key_impl_wrapped_configILNS1_25lookback_scan_determinismE0ES3_S9_NS6_6detail15normal_iteratorINS6_10device_ptrItEEEESG_SG_SG_PmS8_22is_equal_div_10_reduceItEEE10hipError_tPvRmT2_T3_mT4_T5_T6_T7_T8_P12ihipStream_tbENKUlT_T0_E_clISt17integral_constantIbLb1EES10_IbLb0EEEEDaSW_SX_EUlSW_E_NS1_11comp_targetILNS1_3genE10ELNS1_11target_archE1200ELNS1_3gpuE4ELNS1_3repE0EEENS1_30default_config_static_selectorELNS0_4arch9wavefront6targetE1EEEvT1_: ; @_ZN7rocprim17ROCPRIM_400000_NS6detail17trampoline_kernelINS0_14default_configENS1_29reduce_by_key_config_selectorIttN6thrust23THRUST_200600_302600_NS4plusItEEEEZZNS1_33reduce_by_key_impl_wrapped_configILNS1_25lookback_scan_determinismE0ES3_S9_NS6_6detail15normal_iteratorINS6_10device_ptrItEEEESG_SG_SG_PmS8_22is_equal_div_10_reduceItEEE10hipError_tPvRmT2_T3_mT4_T5_T6_T7_T8_P12ihipStream_tbENKUlT_T0_E_clISt17integral_constantIbLb1EES10_IbLb0EEEEDaSW_SX_EUlSW_E_NS1_11comp_targetILNS1_3genE10ELNS1_11target_archE1200ELNS1_3gpuE4ELNS1_3repE0EEENS1_30default_config_static_selectorELNS0_4arch9wavefront6targetE1EEEvT1_
; %bb.0:
	.section	.rodata,"a",@progbits
	.p2align	6, 0x0
	.amdhsa_kernel _ZN7rocprim17ROCPRIM_400000_NS6detail17trampoline_kernelINS0_14default_configENS1_29reduce_by_key_config_selectorIttN6thrust23THRUST_200600_302600_NS4plusItEEEEZZNS1_33reduce_by_key_impl_wrapped_configILNS1_25lookback_scan_determinismE0ES3_S9_NS6_6detail15normal_iteratorINS6_10device_ptrItEEEESG_SG_SG_PmS8_22is_equal_div_10_reduceItEEE10hipError_tPvRmT2_T3_mT4_T5_T6_T7_T8_P12ihipStream_tbENKUlT_T0_E_clISt17integral_constantIbLb1EES10_IbLb0EEEEDaSW_SX_EUlSW_E_NS1_11comp_targetILNS1_3genE10ELNS1_11target_archE1200ELNS1_3gpuE4ELNS1_3repE0EEENS1_30default_config_static_selectorELNS0_4arch9wavefront6targetE1EEEvT1_
		.amdhsa_group_segment_fixed_size 0
		.amdhsa_private_segment_fixed_size 0
		.amdhsa_kernarg_size 120
		.amdhsa_user_sgpr_count 6
		.amdhsa_user_sgpr_private_segment_buffer 1
		.amdhsa_user_sgpr_dispatch_ptr 0
		.amdhsa_user_sgpr_queue_ptr 0
		.amdhsa_user_sgpr_kernarg_segment_ptr 1
		.amdhsa_user_sgpr_dispatch_id 0
		.amdhsa_user_sgpr_flat_scratch_init 0
		.amdhsa_user_sgpr_kernarg_preload_length 0
		.amdhsa_user_sgpr_kernarg_preload_offset 0
		.amdhsa_user_sgpr_private_segment_size 0
		.amdhsa_uses_dynamic_stack 0
		.amdhsa_system_sgpr_private_segment_wavefront_offset 0
		.amdhsa_system_sgpr_workgroup_id_x 1
		.amdhsa_system_sgpr_workgroup_id_y 0
		.amdhsa_system_sgpr_workgroup_id_z 0
		.amdhsa_system_sgpr_workgroup_info 0
		.amdhsa_system_vgpr_workitem_id 0
		.amdhsa_next_free_vgpr 1
		.amdhsa_next_free_sgpr 0
		.amdhsa_accum_offset 4
		.amdhsa_reserve_vcc 0
		.amdhsa_reserve_flat_scratch 0
		.amdhsa_float_round_mode_32 0
		.amdhsa_float_round_mode_16_64 0
		.amdhsa_float_denorm_mode_32 3
		.amdhsa_float_denorm_mode_16_64 3
		.amdhsa_dx10_clamp 1
		.amdhsa_ieee_mode 1
		.amdhsa_fp16_overflow 0
		.amdhsa_tg_split 0
		.amdhsa_exception_fp_ieee_invalid_op 0
		.amdhsa_exception_fp_denorm_src 0
		.amdhsa_exception_fp_ieee_div_zero 0
		.amdhsa_exception_fp_ieee_overflow 0
		.amdhsa_exception_fp_ieee_underflow 0
		.amdhsa_exception_fp_ieee_inexact 0
		.amdhsa_exception_int_div_zero 0
	.end_amdhsa_kernel
	.section	.text._ZN7rocprim17ROCPRIM_400000_NS6detail17trampoline_kernelINS0_14default_configENS1_29reduce_by_key_config_selectorIttN6thrust23THRUST_200600_302600_NS4plusItEEEEZZNS1_33reduce_by_key_impl_wrapped_configILNS1_25lookback_scan_determinismE0ES3_S9_NS6_6detail15normal_iteratorINS6_10device_ptrItEEEESG_SG_SG_PmS8_22is_equal_div_10_reduceItEEE10hipError_tPvRmT2_T3_mT4_T5_T6_T7_T8_P12ihipStream_tbENKUlT_T0_E_clISt17integral_constantIbLb1EES10_IbLb0EEEEDaSW_SX_EUlSW_E_NS1_11comp_targetILNS1_3genE10ELNS1_11target_archE1200ELNS1_3gpuE4ELNS1_3repE0EEENS1_30default_config_static_selectorELNS0_4arch9wavefront6targetE1EEEvT1_,"axG",@progbits,_ZN7rocprim17ROCPRIM_400000_NS6detail17trampoline_kernelINS0_14default_configENS1_29reduce_by_key_config_selectorIttN6thrust23THRUST_200600_302600_NS4plusItEEEEZZNS1_33reduce_by_key_impl_wrapped_configILNS1_25lookback_scan_determinismE0ES3_S9_NS6_6detail15normal_iteratorINS6_10device_ptrItEEEESG_SG_SG_PmS8_22is_equal_div_10_reduceItEEE10hipError_tPvRmT2_T3_mT4_T5_T6_T7_T8_P12ihipStream_tbENKUlT_T0_E_clISt17integral_constantIbLb1EES10_IbLb0EEEEDaSW_SX_EUlSW_E_NS1_11comp_targetILNS1_3genE10ELNS1_11target_archE1200ELNS1_3gpuE4ELNS1_3repE0EEENS1_30default_config_static_selectorELNS0_4arch9wavefront6targetE1EEEvT1_,comdat
.Lfunc_end455:
	.size	_ZN7rocprim17ROCPRIM_400000_NS6detail17trampoline_kernelINS0_14default_configENS1_29reduce_by_key_config_selectorIttN6thrust23THRUST_200600_302600_NS4plusItEEEEZZNS1_33reduce_by_key_impl_wrapped_configILNS1_25lookback_scan_determinismE0ES3_S9_NS6_6detail15normal_iteratorINS6_10device_ptrItEEEESG_SG_SG_PmS8_22is_equal_div_10_reduceItEEE10hipError_tPvRmT2_T3_mT4_T5_T6_T7_T8_P12ihipStream_tbENKUlT_T0_E_clISt17integral_constantIbLb1EES10_IbLb0EEEEDaSW_SX_EUlSW_E_NS1_11comp_targetILNS1_3genE10ELNS1_11target_archE1200ELNS1_3gpuE4ELNS1_3repE0EEENS1_30default_config_static_selectorELNS0_4arch9wavefront6targetE1EEEvT1_, .Lfunc_end455-_ZN7rocprim17ROCPRIM_400000_NS6detail17trampoline_kernelINS0_14default_configENS1_29reduce_by_key_config_selectorIttN6thrust23THRUST_200600_302600_NS4plusItEEEEZZNS1_33reduce_by_key_impl_wrapped_configILNS1_25lookback_scan_determinismE0ES3_S9_NS6_6detail15normal_iteratorINS6_10device_ptrItEEEESG_SG_SG_PmS8_22is_equal_div_10_reduceItEEE10hipError_tPvRmT2_T3_mT4_T5_T6_T7_T8_P12ihipStream_tbENKUlT_T0_E_clISt17integral_constantIbLb1EES10_IbLb0EEEEDaSW_SX_EUlSW_E_NS1_11comp_targetILNS1_3genE10ELNS1_11target_archE1200ELNS1_3gpuE4ELNS1_3repE0EEENS1_30default_config_static_selectorELNS0_4arch9wavefront6targetE1EEEvT1_
                                        ; -- End function
	.section	.AMDGPU.csdata,"",@progbits
; Kernel info:
; codeLenInByte = 0
; NumSgprs: 4
; NumVgprs: 0
; NumAgprs: 0
; TotalNumVgprs: 0
; ScratchSize: 0
; MemoryBound: 0
; FloatMode: 240
; IeeeMode: 1
; LDSByteSize: 0 bytes/workgroup (compile time only)
; SGPRBlocks: 0
; VGPRBlocks: 0
; NumSGPRsForWavesPerEU: 4
; NumVGPRsForWavesPerEU: 1
; AccumOffset: 4
; Occupancy: 8
; WaveLimiterHint : 0
; COMPUTE_PGM_RSRC2:SCRATCH_EN: 0
; COMPUTE_PGM_RSRC2:USER_SGPR: 6
; COMPUTE_PGM_RSRC2:TRAP_HANDLER: 0
; COMPUTE_PGM_RSRC2:TGID_X_EN: 1
; COMPUTE_PGM_RSRC2:TGID_Y_EN: 0
; COMPUTE_PGM_RSRC2:TGID_Z_EN: 0
; COMPUTE_PGM_RSRC2:TIDIG_COMP_CNT: 0
; COMPUTE_PGM_RSRC3_GFX90A:ACCUM_OFFSET: 0
; COMPUTE_PGM_RSRC3_GFX90A:TG_SPLIT: 0
	.section	.text._ZN7rocprim17ROCPRIM_400000_NS6detail17trampoline_kernelINS0_14default_configENS1_29reduce_by_key_config_selectorIttN6thrust23THRUST_200600_302600_NS4plusItEEEEZZNS1_33reduce_by_key_impl_wrapped_configILNS1_25lookback_scan_determinismE0ES3_S9_NS6_6detail15normal_iteratorINS6_10device_ptrItEEEESG_SG_SG_PmS8_22is_equal_div_10_reduceItEEE10hipError_tPvRmT2_T3_mT4_T5_T6_T7_T8_P12ihipStream_tbENKUlT_T0_E_clISt17integral_constantIbLb1EES10_IbLb0EEEEDaSW_SX_EUlSW_E_NS1_11comp_targetILNS1_3genE9ELNS1_11target_archE1100ELNS1_3gpuE3ELNS1_3repE0EEENS1_30default_config_static_selectorELNS0_4arch9wavefront6targetE1EEEvT1_,"axG",@progbits,_ZN7rocprim17ROCPRIM_400000_NS6detail17trampoline_kernelINS0_14default_configENS1_29reduce_by_key_config_selectorIttN6thrust23THRUST_200600_302600_NS4plusItEEEEZZNS1_33reduce_by_key_impl_wrapped_configILNS1_25lookback_scan_determinismE0ES3_S9_NS6_6detail15normal_iteratorINS6_10device_ptrItEEEESG_SG_SG_PmS8_22is_equal_div_10_reduceItEEE10hipError_tPvRmT2_T3_mT4_T5_T6_T7_T8_P12ihipStream_tbENKUlT_T0_E_clISt17integral_constantIbLb1EES10_IbLb0EEEEDaSW_SX_EUlSW_E_NS1_11comp_targetILNS1_3genE9ELNS1_11target_archE1100ELNS1_3gpuE3ELNS1_3repE0EEENS1_30default_config_static_selectorELNS0_4arch9wavefront6targetE1EEEvT1_,comdat
	.protected	_ZN7rocprim17ROCPRIM_400000_NS6detail17trampoline_kernelINS0_14default_configENS1_29reduce_by_key_config_selectorIttN6thrust23THRUST_200600_302600_NS4plusItEEEEZZNS1_33reduce_by_key_impl_wrapped_configILNS1_25lookback_scan_determinismE0ES3_S9_NS6_6detail15normal_iteratorINS6_10device_ptrItEEEESG_SG_SG_PmS8_22is_equal_div_10_reduceItEEE10hipError_tPvRmT2_T3_mT4_T5_T6_T7_T8_P12ihipStream_tbENKUlT_T0_E_clISt17integral_constantIbLb1EES10_IbLb0EEEEDaSW_SX_EUlSW_E_NS1_11comp_targetILNS1_3genE9ELNS1_11target_archE1100ELNS1_3gpuE3ELNS1_3repE0EEENS1_30default_config_static_selectorELNS0_4arch9wavefront6targetE1EEEvT1_ ; -- Begin function _ZN7rocprim17ROCPRIM_400000_NS6detail17trampoline_kernelINS0_14default_configENS1_29reduce_by_key_config_selectorIttN6thrust23THRUST_200600_302600_NS4plusItEEEEZZNS1_33reduce_by_key_impl_wrapped_configILNS1_25lookback_scan_determinismE0ES3_S9_NS6_6detail15normal_iteratorINS6_10device_ptrItEEEESG_SG_SG_PmS8_22is_equal_div_10_reduceItEEE10hipError_tPvRmT2_T3_mT4_T5_T6_T7_T8_P12ihipStream_tbENKUlT_T0_E_clISt17integral_constantIbLb1EES10_IbLb0EEEEDaSW_SX_EUlSW_E_NS1_11comp_targetILNS1_3genE9ELNS1_11target_archE1100ELNS1_3gpuE3ELNS1_3repE0EEENS1_30default_config_static_selectorELNS0_4arch9wavefront6targetE1EEEvT1_
	.globl	_ZN7rocprim17ROCPRIM_400000_NS6detail17trampoline_kernelINS0_14default_configENS1_29reduce_by_key_config_selectorIttN6thrust23THRUST_200600_302600_NS4plusItEEEEZZNS1_33reduce_by_key_impl_wrapped_configILNS1_25lookback_scan_determinismE0ES3_S9_NS6_6detail15normal_iteratorINS6_10device_ptrItEEEESG_SG_SG_PmS8_22is_equal_div_10_reduceItEEE10hipError_tPvRmT2_T3_mT4_T5_T6_T7_T8_P12ihipStream_tbENKUlT_T0_E_clISt17integral_constantIbLb1EES10_IbLb0EEEEDaSW_SX_EUlSW_E_NS1_11comp_targetILNS1_3genE9ELNS1_11target_archE1100ELNS1_3gpuE3ELNS1_3repE0EEENS1_30default_config_static_selectorELNS0_4arch9wavefront6targetE1EEEvT1_
	.p2align	8
	.type	_ZN7rocprim17ROCPRIM_400000_NS6detail17trampoline_kernelINS0_14default_configENS1_29reduce_by_key_config_selectorIttN6thrust23THRUST_200600_302600_NS4plusItEEEEZZNS1_33reduce_by_key_impl_wrapped_configILNS1_25lookback_scan_determinismE0ES3_S9_NS6_6detail15normal_iteratorINS6_10device_ptrItEEEESG_SG_SG_PmS8_22is_equal_div_10_reduceItEEE10hipError_tPvRmT2_T3_mT4_T5_T6_T7_T8_P12ihipStream_tbENKUlT_T0_E_clISt17integral_constantIbLb1EES10_IbLb0EEEEDaSW_SX_EUlSW_E_NS1_11comp_targetILNS1_3genE9ELNS1_11target_archE1100ELNS1_3gpuE3ELNS1_3repE0EEENS1_30default_config_static_selectorELNS0_4arch9wavefront6targetE1EEEvT1_,@function
_ZN7rocprim17ROCPRIM_400000_NS6detail17trampoline_kernelINS0_14default_configENS1_29reduce_by_key_config_selectorIttN6thrust23THRUST_200600_302600_NS4plusItEEEEZZNS1_33reduce_by_key_impl_wrapped_configILNS1_25lookback_scan_determinismE0ES3_S9_NS6_6detail15normal_iteratorINS6_10device_ptrItEEEESG_SG_SG_PmS8_22is_equal_div_10_reduceItEEE10hipError_tPvRmT2_T3_mT4_T5_T6_T7_T8_P12ihipStream_tbENKUlT_T0_E_clISt17integral_constantIbLb1EES10_IbLb0EEEEDaSW_SX_EUlSW_E_NS1_11comp_targetILNS1_3genE9ELNS1_11target_archE1100ELNS1_3gpuE3ELNS1_3repE0EEENS1_30default_config_static_selectorELNS0_4arch9wavefront6targetE1EEEvT1_: ; @_ZN7rocprim17ROCPRIM_400000_NS6detail17trampoline_kernelINS0_14default_configENS1_29reduce_by_key_config_selectorIttN6thrust23THRUST_200600_302600_NS4plusItEEEEZZNS1_33reduce_by_key_impl_wrapped_configILNS1_25lookback_scan_determinismE0ES3_S9_NS6_6detail15normal_iteratorINS6_10device_ptrItEEEESG_SG_SG_PmS8_22is_equal_div_10_reduceItEEE10hipError_tPvRmT2_T3_mT4_T5_T6_T7_T8_P12ihipStream_tbENKUlT_T0_E_clISt17integral_constantIbLb1EES10_IbLb0EEEEDaSW_SX_EUlSW_E_NS1_11comp_targetILNS1_3genE9ELNS1_11target_archE1100ELNS1_3gpuE3ELNS1_3repE0EEENS1_30default_config_static_selectorELNS0_4arch9wavefront6targetE1EEEvT1_
; %bb.0:
	.section	.rodata,"a",@progbits
	.p2align	6, 0x0
	.amdhsa_kernel _ZN7rocprim17ROCPRIM_400000_NS6detail17trampoline_kernelINS0_14default_configENS1_29reduce_by_key_config_selectorIttN6thrust23THRUST_200600_302600_NS4plusItEEEEZZNS1_33reduce_by_key_impl_wrapped_configILNS1_25lookback_scan_determinismE0ES3_S9_NS6_6detail15normal_iteratorINS6_10device_ptrItEEEESG_SG_SG_PmS8_22is_equal_div_10_reduceItEEE10hipError_tPvRmT2_T3_mT4_T5_T6_T7_T8_P12ihipStream_tbENKUlT_T0_E_clISt17integral_constantIbLb1EES10_IbLb0EEEEDaSW_SX_EUlSW_E_NS1_11comp_targetILNS1_3genE9ELNS1_11target_archE1100ELNS1_3gpuE3ELNS1_3repE0EEENS1_30default_config_static_selectorELNS0_4arch9wavefront6targetE1EEEvT1_
		.amdhsa_group_segment_fixed_size 0
		.amdhsa_private_segment_fixed_size 0
		.amdhsa_kernarg_size 120
		.amdhsa_user_sgpr_count 6
		.amdhsa_user_sgpr_private_segment_buffer 1
		.amdhsa_user_sgpr_dispatch_ptr 0
		.amdhsa_user_sgpr_queue_ptr 0
		.amdhsa_user_sgpr_kernarg_segment_ptr 1
		.amdhsa_user_sgpr_dispatch_id 0
		.amdhsa_user_sgpr_flat_scratch_init 0
		.amdhsa_user_sgpr_kernarg_preload_length 0
		.amdhsa_user_sgpr_kernarg_preload_offset 0
		.amdhsa_user_sgpr_private_segment_size 0
		.amdhsa_uses_dynamic_stack 0
		.amdhsa_system_sgpr_private_segment_wavefront_offset 0
		.amdhsa_system_sgpr_workgroup_id_x 1
		.amdhsa_system_sgpr_workgroup_id_y 0
		.amdhsa_system_sgpr_workgroup_id_z 0
		.amdhsa_system_sgpr_workgroup_info 0
		.amdhsa_system_vgpr_workitem_id 0
		.amdhsa_next_free_vgpr 1
		.amdhsa_next_free_sgpr 0
		.amdhsa_accum_offset 4
		.amdhsa_reserve_vcc 0
		.amdhsa_reserve_flat_scratch 0
		.amdhsa_float_round_mode_32 0
		.amdhsa_float_round_mode_16_64 0
		.amdhsa_float_denorm_mode_32 3
		.amdhsa_float_denorm_mode_16_64 3
		.amdhsa_dx10_clamp 1
		.amdhsa_ieee_mode 1
		.amdhsa_fp16_overflow 0
		.amdhsa_tg_split 0
		.amdhsa_exception_fp_ieee_invalid_op 0
		.amdhsa_exception_fp_denorm_src 0
		.amdhsa_exception_fp_ieee_div_zero 0
		.amdhsa_exception_fp_ieee_overflow 0
		.amdhsa_exception_fp_ieee_underflow 0
		.amdhsa_exception_fp_ieee_inexact 0
		.amdhsa_exception_int_div_zero 0
	.end_amdhsa_kernel
	.section	.text._ZN7rocprim17ROCPRIM_400000_NS6detail17trampoline_kernelINS0_14default_configENS1_29reduce_by_key_config_selectorIttN6thrust23THRUST_200600_302600_NS4plusItEEEEZZNS1_33reduce_by_key_impl_wrapped_configILNS1_25lookback_scan_determinismE0ES3_S9_NS6_6detail15normal_iteratorINS6_10device_ptrItEEEESG_SG_SG_PmS8_22is_equal_div_10_reduceItEEE10hipError_tPvRmT2_T3_mT4_T5_T6_T7_T8_P12ihipStream_tbENKUlT_T0_E_clISt17integral_constantIbLb1EES10_IbLb0EEEEDaSW_SX_EUlSW_E_NS1_11comp_targetILNS1_3genE9ELNS1_11target_archE1100ELNS1_3gpuE3ELNS1_3repE0EEENS1_30default_config_static_selectorELNS0_4arch9wavefront6targetE1EEEvT1_,"axG",@progbits,_ZN7rocprim17ROCPRIM_400000_NS6detail17trampoline_kernelINS0_14default_configENS1_29reduce_by_key_config_selectorIttN6thrust23THRUST_200600_302600_NS4plusItEEEEZZNS1_33reduce_by_key_impl_wrapped_configILNS1_25lookback_scan_determinismE0ES3_S9_NS6_6detail15normal_iteratorINS6_10device_ptrItEEEESG_SG_SG_PmS8_22is_equal_div_10_reduceItEEE10hipError_tPvRmT2_T3_mT4_T5_T6_T7_T8_P12ihipStream_tbENKUlT_T0_E_clISt17integral_constantIbLb1EES10_IbLb0EEEEDaSW_SX_EUlSW_E_NS1_11comp_targetILNS1_3genE9ELNS1_11target_archE1100ELNS1_3gpuE3ELNS1_3repE0EEENS1_30default_config_static_selectorELNS0_4arch9wavefront6targetE1EEEvT1_,comdat
.Lfunc_end456:
	.size	_ZN7rocprim17ROCPRIM_400000_NS6detail17trampoline_kernelINS0_14default_configENS1_29reduce_by_key_config_selectorIttN6thrust23THRUST_200600_302600_NS4plusItEEEEZZNS1_33reduce_by_key_impl_wrapped_configILNS1_25lookback_scan_determinismE0ES3_S9_NS6_6detail15normal_iteratorINS6_10device_ptrItEEEESG_SG_SG_PmS8_22is_equal_div_10_reduceItEEE10hipError_tPvRmT2_T3_mT4_T5_T6_T7_T8_P12ihipStream_tbENKUlT_T0_E_clISt17integral_constantIbLb1EES10_IbLb0EEEEDaSW_SX_EUlSW_E_NS1_11comp_targetILNS1_3genE9ELNS1_11target_archE1100ELNS1_3gpuE3ELNS1_3repE0EEENS1_30default_config_static_selectorELNS0_4arch9wavefront6targetE1EEEvT1_, .Lfunc_end456-_ZN7rocprim17ROCPRIM_400000_NS6detail17trampoline_kernelINS0_14default_configENS1_29reduce_by_key_config_selectorIttN6thrust23THRUST_200600_302600_NS4plusItEEEEZZNS1_33reduce_by_key_impl_wrapped_configILNS1_25lookback_scan_determinismE0ES3_S9_NS6_6detail15normal_iteratorINS6_10device_ptrItEEEESG_SG_SG_PmS8_22is_equal_div_10_reduceItEEE10hipError_tPvRmT2_T3_mT4_T5_T6_T7_T8_P12ihipStream_tbENKUlT_T0_E_clISt17integral_constantIbLb1EES10_IbLb0EEEEDaSW_SX_EUlSW_E_NS1_11comp_targetILNS1_3genE9ELNS1_11target_archE1100ELNS1_3gpuE3ELNS1_3repE0EEENS1_30default_config_static_selectorELNS0_4arch9wavefront6targetE1EEEvT1_
                                        ; -- End function
	.section	.AMDGPU.csdata,"",@progbits
; Kernel info:
; codeLenInByte = 0
; NumSgprs: 4
; NumVgprs: 0
; NumAgprs: 0
; TotalNumVgprs: 0
; ScratchSize: 0
; MemoryBound: 0
; FloatMode: 240
; IeeeMode: 1
; LDSByteSize: 0 bytes/workgroup (compile time only)
; SGPRBlocks: 0
; VGPRBlocks: 0
; NumSGPRsForWavesPerEU: 4
; NumVGPRsForWavesPerEU: 1
; AccumOffset: 4
; Occupancy: 8
; WaveLimiterHint : 0
; COMPUTE_PGM_RSRC2:SCRATCH_EN: 0
; COMPUTE_PGM_RSRC2:USER_SGPR: 6
; COMPUTE_PGM_RSRC2:TRAP_HANDLER: 0
; COMPUTE_PGM_RSRC2:TGID_X_EN: 1
; COMPUTE_PGM_RSRC2:TGID_Y_EN: 0
; COMPUTE_PGM_RSRC2:TGID_Z_EN: 0
; COMPUTE_PGM_RSRC2:TIDIG_COMP_CNT: 0
; COMPUTE_PGM_RSRC3_GFX90A:ACCUM_OFFSET: 0
; COMPUTE_PGM_RSRC3_GFX90A:TG_SPLIT: 0
	.section	.text._ZN7rocprim17ROCPRIM_400000_NS6detail17trampoline_kernelINS0_14default_configENS1_29reduce_by_key_config_selectorIttN6thrust23THRUST_200600_302600_NS4plusItEEEEZZNS1_33reduce_by_key_impl_wrapped_configILNS1_25lookback_scan_determinismE0ES3_S9_NS6_6detail15normal_iteratorINS6_10device_ptrItEEEESG_SG_SG_PmS8_22is_equal_div_10_reduceItEEE10hipError_tPvRmT2_T3_mT4_T5_T6_T7_T8_P12ihipStream_tbENKUlT_T0_E_clISt17integral_constantIbLb1EES10_IbLb0EEEEDaSW_SX_EUlSW_E_NS1_11comp_targetILNS1_3genE8ELNS1_11target_archE1030ELNS1_3gpuE2ELNS1_3repE0EEENS1_30default_config_static_selectorELNS0_4arch9wavefront6targetE1EEEvT1_,"axG",@progbits,_ZN7rocprim17ROCPRIM_400000_NS6detail17trampoline_kernelINS0_14default_configENS1_29reduce_by_key_config_selectorIttN6thrust23THRUST_200600_302600_NS4plusItEEEEZZNS1_33reduce_by_key_impl_wrapped_configILNS1_25lookback_scan_determinismE0ES3_S9_NS6_6detail15normal_iteratorINS6_10device_ptrItEEEESG_SG_SG_PmS8_22is_equal_div_10_reduceItEEE10hipError_tPvRmT2_T3_mT4_T5_T6_T7_T8_P12ihipStream_tbENKUlT_T0_E_clISt17integral_constantIbLb1EES10_IbLb0EEEEDaSW_SX_EUlSW_E_NS1_11comp_targetILNS1_3genE8ELNS1_11target_archE1030ELNS1_3gpuE2ELNS1_3repE0EEENS1_30default_config_static_selectorELNS0_4arch9wavefront6targetE1EEEvT1_,comdat
	.protected	_ZN7rocprim17ROCPRIM_400000_NS6detail17trampoline_kernelINS0_14default_configENS1_29reduce_by_key_config_selectorIttN6thrust23THRUST_200600_302600_NS4plusItEEEEZZNS1_33reduce_by_key_impl_wrapped_configILNS1_25lookback_scan_determinismE0ES3_S9_NS6_6detail15normal_iteratorINS6_10device_ptrItEEEESG_SG_SG_PmS8_22is_equal_div_10_reduceItEEE10hipError_tPvRmT2_T3_mT4_T5_T6_T7_T8_P12ihipStream_tbENKUlT_T0_E_clISt17integral_constantIbLb1EES10_IbLb0EEEEDaSW_SX_EUlSW_E_NS1_11comp_targetILNS1_3genE8ELNS1_11target_archE1030ELNS1_3gpuE2ELNS1_3repE0EEENS1_30default_config_static_selectorELNS0_4arch9wavefront6targetE1EEEvT1_ ; -- Begin function _ZN7rocprim17ROCPRIM_400000_NS6detail17trampoline_kernelINS0_14default_configENS1_29reduce_by_key_config_selectorIttN6thrust23THRUST_200600_302600_NS4plusItEEEEZZNS1_33reduce_by_key_impl_wrapped_configILNS1_25lookback_scan_determinismE0ES3_S9_NS6_6detail15normal_iteratorINS6_10device_ptrItEEEESG_SG_SG_PmS8_22is_equal_div_10_reduceItEEE10hipError_tPvRmT2_T3_mT4_T5_T6_T7_T8_P12ihipStream_tbENKUlT_T0_E_clISt17integral_constantIbLb1EES10_IbLb0EEEEDaSW_SX_EUlSW_E_NS1_11comp_targetILNS1_3genE8ELNS1_11target_archE1030ELNS1_3gpuE2ELNS1_3repE0EEENS1_30default_config_static_selectorELNS0_4arch9wavefront6targetE1EEEvT1_
	.globl	_ZN7rocprim17ROCPRIM_400000_NS6detail17trampoline_kernelINS0_14default_configENS1_29reduce_by_key_config_selectorIttN6thrust23THRUST_200600_302600_NS4plusItEEEEZZNS1_33reduce_by_key_impl_wrapped_configILNS1_25lookback_scan_determinismE0ES3_S9_NS6_6detail15normal_iteratorINS6_10device_ptrItEEEESG_SG_SG_PmS8_22is_equal_div_10_reduceItEEE10hipError_tPvRmT2_T3_mT4_T5_T6_T7_T8_P12ihipStream_tbENKUlT_T0_E_clISt17integral_constantIbLb1EES10_IbLb0EEEEDaSW_SX_EUlSW_E_NS1_11comp_targetILNS1_3genE8ELNS1_11target_archE1030ELNS1_3gpuE2ELNS1_3repE0EEENS1_30default_config_static_selectorELNS0_4arch9wavefront6targetE1EEEvT1_
	.p2align	8
	.type	_ZN7rocprim17ROCPRIM_400000_NS6detail17trampoline_kernelINS0_14default_configENS1_29reduce_by_key_config_selectorIttN6thrust23THRUST_200600_302600_NS4plusItEEEEZZNS1_33reduce_by_key_impl_wrapped_configILNS1_25lookback_scan_determinismE0ES3_S9_NS6_6detail15normal_iteratorINS6_10device_ptrItEEEESG_SG_SG_PmS8_22is_equal_div_10_reduceItEEE10hipError_tPvRmT2_T3_mT4_T5_T6_T7_T8_P12ihipStream_tbENKUlT_T0_E_clISt17integral_constantIbLb1EES10_IbLb0EEEEDaSW_SX_EUlSW_E_NS1_11comp_targetILNS1_3genE8ELNS1_11target_archE1030ELNS1_3gpuE2ELNS1_3repE0EEENS1_30default_config_static_selectorELNS0_4arch9wavefront6targetE1EEEvT1_,@function
_ZN7rocprim17ROCPRIM_400000_NS6detail17trampoline_kernelINS0_14default_configENS1_29reduce_by_key_config_selectorIttN6thrust23THRUST_200600_302600_NS4plusItEEEEZZNS1_33reduce_by_key_impl_wrapped_configILNS1_25lookback_scan_determinismE0ES3_S9_NS6_6detail15normal_iteratorINS6_10device_ptrItEEEESG_SG_SG_PmS8_22is_equal_div_10_reduceItEEE10hipError_tPvRmT2_T3_mT4_T5_T6_T7_T8_P12ihipStream_tbENKUlT_T0_E_clISt17integral_constantIbLb1EES10_IbLb0EEEEDaSW_SX_EUlSW_E_NS1_11comp_targetILNS1_3genE8ELNS1_11target_archE1030ELNS1_3gpuE2ELNS1_3repE0EEENS1_30default_config_static_selectorELNS0_4arch9wavefront6targetE1EEEvT1_: ; @_ZN7rocprim17ROCPRIM_400000_NS6detail17trampoline_kernelINS0_14default_configENS1_29reduce_by_key_config_selectorIttN6thrust23THRUST_200600_302600_NS4plusItEEEEZZNS1_33reduce_by_key_impl_wrapped_configILNS1_25lookback_scan_determinismE0ES3_S9_NS6_6detail15normal_iteratorINS6_10device_ptrItEEEESG_SG_SG_PmS8_22is_equal_div_10_reduceItEEE10hipError_tPvRmT2_T3_mT4_T5_T6_T7_T8_P12ihipStream_tbENKUlT_T0_E_clISt17integral_constantIbLb1EES10_IbLb0EEEEDaSW_SX_EUlSW_E_NS1_11comp_targetILNS1_3genE8ELNS1_11target_archE1030ELNS1_3gpuE2ELNS1_3repE0EEENS1_30default_config_static_selectorELNS0_4arch9wavefront6targetE1EEEvT1_
; %bb.0:
	.section	.rodata,"a",@progbits
	.p2align	6, 0x0
	.amdhsa_kernel _ZN7rocprim17ROCPRIM_400000_NS6detail17trampoline_kernelINS0_14default_configENS1_29reduce_by_key_config_selectorIttN6thrust23THRUST_200600_302600_NS4plusItEEEEZZNS1_33reduce_by_key_impl_wrapped_configILNS1_25lookback_scan_determinismE0ES3_S9_NS6_6detail15normal_iteratorINS6_10device_ptrItEEEESG_SG_SG_PmS8_22is_equal_div_10_reduceItEEE10hipError_tPvRmT2_T3_mT4_T5_T6_T7_T8_P12ihipStream_tbENKUlT_T0_E_clISt17integral_constantIbLb1EES10_IbLb0EEEEDaSW_SX_EUlSW_E_NS1_11comp_targetILNS1_3genE8ELNS1_11target_archE1030ELNS1_3gpuE2ELNS1_3repE0EEENS1_30default_config_static_selectorELNS0_4arch9wavefront6targetE1EEEvT1_
		.amdhsa_group_segment_fixed_size 0
		.amdhsa_private_segment_fixed_size 0
		.amdhsa_kernarg_size 120
		.amdhsa_user_sgpr_count 6
		.amdhsa_user_sgpr_private_segment_buffer 1
		.amdhsa_user_sgpr_dispatch_ptr 0
		.amdhsa_user_sgpr_queue_ptr 0
		.amdhsa_user_sgpr_kernarg_segment_ptr 1
		.amdhsa_user_sgpr_dispatch_id 0
		.amdhsa_user_sgpr_flat_scratch_init 0
		.amdhsa_user_sgpr_kernarg_preload_length 0
		.amdhsa_user_sgpr_kernarg_preload_offset 0
		.amdhsa_user_sgpr_private_segment_size 0
		.amdhsa_uses_dynamic_stack 0
		.amdhsa_system_sgpr_private_segment_wavefront_offset 0
		.amdhsa_system_sgpr_workgroup_id_x 1
		.amdhsa_system_sgpr_workgroup_id_y 0
		.amdhsa_system_sgpr_workgroup_id_z 0
		.amdhsa_system_sgpr_workgroup_info 0
		.amdhsa_system_vgpr_workitem_id 0
		.amdhsa_next_free_vgpr 1
		.amdhsa_next_free_sgpr 0
		.amdhsa_accum_offset 4
		.amdhsa_reserve_vcc 0
		.amdhsa_reserve_flat_scratch 0
		.amdhsa_float_round_mode_32 0
		.amdhsa_float_round_mode_16_64 0
		.amdhsa_float_denorm_mode_32 3
		.amdhsa_float_denorm_mode_16_64 3
		.amdhsa_dx10_clamp 1
		.amdhsa_ieee_mode 1
		.amdhsa_fp16_overflow 0
		.amdhsa_tg_split 0
		.amdhsa_exception_fp_ieee_invalid_op 0
		.amdhsa_exception_fp_denorm_src 0
		.amdhsa_exception_fp_ieee_div_zero 0
		.amdhsa_exception_fp_ieee_overflow 0
		.amdhsa_exception_fp_ieee_underflow 0
		.amdhsa_exception_fp_ieee_inexact 0
		.amdhsa_exception_int_div_zero 0
	.end_amdhsa_kernel
	.section	.text._ZN7rocprim17ROCPRIM_400000_NS6detail17trampoline_kernelINS0_14default_configENS1_29reduce_by_key_config_selectorIttN6thrust23THRUST_200600_302600_NS4plusItEEEEZZNS1_33reduce_by_key_impl_wrapped_configILNS1_25lookback_scan_determinismE0ES3_S9_NS6_6detail15normal_iteratorINS6_10device_ptrItEEEESG_SG_SG_PmS8_22is_equal_div_10_reduceItEEE10hipError_tPvRmT2_T3_mT4_T5_T6_T7_T8_P12ihipStream_tbENKUlT_T0_E_clISt17integral_constantIbLb1EES10_IbLb0EEEEDaSW_SX_EUlSW_E_NS1_11comp_targetILNS1_3genE8ELNS1_11target_archE1030ELNS1_3gpuE2ELNS1_3repE0EEENS1_30default_config_static_selectorELNS0_4arch9wavefront6targetE1EEEvT1_,"axG",@progbits,_ZN7rocprim17ROCPRIM_400000_NS6detail17trampoline_kernelINS0_14default_configENS1_29reduce_by_key_config_selectorIttN6thrust23THRUST_200600_302600_NS4plusItEEEEZZNS1_33reduce_by_key_impl_wrapped_configILNS1_25lookback_scan_determinismE0ES3_S9_NS6_6detail15normal_iteratorINS6_10device_ptrItEEEESG_SG_SG_PmS8_22is_equal_div_10_reduceItEEE10hipError_tPvRmT2_T3_mT4_T5_T6_T7_T8_P12ihipStream_tbENKUlT_T0_E_clISt17integral_constantIbLb1EES10_IbLb0EEEEDaSW_SX_EUlSW_E_NS1_11comp_targetILNS1_3genE8ELNS1_11target_archE1030ELNS1_3gpuE2ELNS1_3repE0EEENS1_30default_config_static_selectorELNS0_4arch9wavefront6targetE1EEEvT1_,comdat
.Lfunc_end457:
	.size	_ZN7rocprim17ROCPRIM_400000_NS6detail17trampoline_kernelINS0_14default_configENS1_29reduce_by_key_config_selectorIttN6thrust23THRUST_200600_302600_NS4plusItEEEEZZNS1_33reduce_by_key_impl_wrapped_configILNS1_25lookback_scan_determinismE0ES3_S9_NS6_6detail15normal_iteratorINS6_10device_ptrItEEEESG_SG_SG_PmS8_22is_equal_div_10_reduceItEEE10hipError_tPvRmT2_T3_mT4_T5_T6_T7_T8_P12ihipStream_tbENKUlT_T0_E_clISt17integral_constantIbLb1EES10_IbLb0EEEEDaSW_SX_EUlSW_E_NS1_11comp_targetILNS1_3genE8ELNS1_11target_archE1030ELNS1_3gpuE2ELNS1_3repE0EEENS1_30default_config_static_selectorELNS0_4arch9wavefront6targetE1EEEvT1_, .Lfunc_end457-_ZN7rocprim17ROCPRIM_400000_NS6detail17trampoline_kernelINS0_14default_configENS1_29reduce_by_key_config_selectorIttN6thrust23THRUST_200600_302600_NS4plusItEEEEZZNS1_33reduce_by_key_impl_wrapped_configILNS1_25lookback_scan_determinismE0ES3_S9_NS6_6detail15normal_iteratorINS6_10device_ptrItEEEESG_SG_SG_PmS8_22is_equal_div_10_reduceItEEE10hipError_tPvRmT2_T3_mT4_T5_T6_T7_T8_P12ihipStream_tbENKUlT_T0_E_clISt17integral_constantIbLb1EES10_IbLb0EEEEDaSW_SX_EUlSW_E_NS1_11comp_targetILNS1_3genE8ELNS1_11target_archE1030ELNS1_3gpuE2ELNS1_3repE0EEENS1_30default_config_static_selectorELNS0_4arch9wavefront6targetE1EEEvT1_
                                        ; -- End function
	.section	.AMDGPU.csdata,"",@progbits
; Kernel info:
; codeLenInByte = 0
; NumSgprs: 4
; NumVgprs: 0
; NumAgprs: 0
; TotalNumVgprs: 0
; ScratchSize: 0
; MemoryBound: 0
; FloatMode: 240
; IeeeMode: 1
; LDSByteSize: 0 bytes/workgroup (compile time only)
; SGPRBlocks: 0
; VGPRBlocks: 0
; NumSGPRsForWavesPerEU: 4
; NumVGPRsForWavesPerEU: 1
; AccumOffset: 4
; Occupancy: 8
; WaveLimiterHint : 0
; COMPUTE_PGM_RSRC2:SCRATCH_EN: 0
; COMPUTE_PGM_RSRC2:USER_SGPR: 6
; COMPUTE_PGM_RSRC2:TRAP_HANDLER: 0
; COMPUTE_PGM_RSRC2:TGID_X_EN: 1
; COMPUTE_PGM_RSRC2:TGID_Y_EN: 0
; COMPUTE_PGM_RSRC2:TGID_Z_EN: 0
; COMPUTE_PGM_RSRC2:TIDIG_COMP_CNT: 0
; COMPUTE_PGM_RSRC3_GFX90A:ACCUM_OFFSET: 0
; COMPUTE_PGM_RSRC3_GFX90A:TG_SPLIT: 0
	.section	.text._ZN7rocprim17ROCPRIM_400000_NS6detail17trampoline_kernelINS0_14default_configENS1_29reduce_by_key_config_selectorIttN6thrust23THRUST_200600_302600_NS4plusItEEEEZZNS1_33reduce_by_key_impl_wrapped_configILNS1_25lookback_scan_determinismE0ES3_S9_NS6_6detail15normal_iteratorINS6_10device_ptrItEEEESG_SG_SG_PmS8_22is_equal_div_10_reduceItEEE10hipError_tPvRmT2_T3_mT4_T5_T6_T7_T8_P12ihipStream_tbENKUlT_T0_E_clISt17integral_constantIbLb0EES10_IbLb1EEEEDaSW_SX_EUlSW_E_NS1_11comp_targetILNS1_3genE0ELNS1_11target_archE4294967295ELNS1_3gpuE0ELNS1_3repE0EEENS1_30default_config_static_selectorELNS0_4arch9wavefront6targetE1EEEvT1_,"axG",@progbits,_ZN7rocprim17ROCPRIM_400000_NS6detail17trampoline_kernelINS0_14default_configENS1_29reduce_by_key_config_selectorIttN6thrust23THRUST_200600_302600_NS4plusItEEEEZZNS1_33reduce_by_key_impl_wrapped_configILNS1_25lookback_scan_determinismE0ES3_S9_NS6_6detail15normal_iteratorINS6_10device_ptrItEEEESG_SG_SG_PmS8_22is_equal_div_10_reduceItEEE10hipError_tPvRmT2_T3_mT4_T5_T6_T7_T8_P12ihipStream_tbENKUlT_T0_E_clISt17integral_constantIbLb0EES10_IbLb1EEEEDaSW_SX_EUlSW_E_NS1_11comp_targetILNS1_3genE0ELNS1_11target_archE4294967295ELNS1_3gpuE0ELNS1_3repE0EEENS1_30default_config_static_selectorELNS0_4arch9wavefront6targetE1EEEvT1_,comdat
	.protected	_ZN7rocprim17ROCPRIM_400000_NS6detail17trampoline_kernelINS0_14default_configENS1_29reduce_by_key_config_selectorIttN6thrust23THRUST_200600_302600_NS4plusItEEEEZZNS1_33reduce_by_key_impl_wrapped_configILNS1_25lookback_scan_determinismE0ES3_S9_NS6_6detail15normal_iteratorINS6_10device_ptrItEEEESG_SG_SG_PmS8_22is_equal_div_10_reduceItEEE10hipError_tPvRmT2_T3_mT4_T5_T6_T7_T8_P12ihipStream_tbENKUlT_T0_E_clISt17integral_constantIbLb0EES10_IbLb1EEEEDaSW_SX_EUlSW_E_NS1_11comp_targetILNS1_3genE0ELNS1_11target_archE4294967295ELNS1_3gpuE0ELNS1_3repE0EEENS1_30default_config_static_selectorELNS0_4arch9wavefront6targetE1EEEvT1_ ; -- Begin function _ZN7rocprim17ROCPRIM_400000_NS6detail17trampoline_kernelINS0_14default_configENS1_29reduce_by_key_config_selectorIttN6thrust23THRUST_200600_302600_NS4plusItEEEEZZNS1_33reduce_by_key_impl_wrapped_configILNS1_25lookback_scan_determinismE0ES3_S9_NS6_6detail15normal_iteratorINS6_10device_ptrItEEEESG_SG_SG_PmS8_22is_equal_div_10_reduceItEEE10hipError_tPvRmT2_T3_mT4_T5_T6_T7_T8_P12ihipStream_tbENKUlT_T0_E_clISt17integral_constantIbLb0EES10_IbLb1EEEEDaSW_SX_EUlSW_E_NS1_11comp_targetILNS1_3genE0ELNS1_11target_archE4294967295ELNS1_3gpuE0ELNS1_3repE0EEENS1_30default_config_static_selectorELNS0_4arch9wavefront6targetE1EEEvT1_
	.globl	_ZN7rocprim17ROCPRIM_400000_NS6detail17trampoline_kernelINS0_14default_configENS1_29reduce_by_key_config_selectorIttN6thrust23THRUST_200600_302600_NS4plusItEEEEZZNS1_33reduce_by_key_impl_wrapped_configILNS1_25lookback_scan_determinismE0ES3_S9_NS6_6detail15normal_iteratorINS6_10device_ptrItEEEESG_SG_SG_PmS8_22is_equal_div_10_reduceItEEE10hipError_tPvRmT2_T3_mT4_T5_T6_T7_T8_P12ihipStream_tbENKUlT_T0_E_clISt17integral_constantIbLb0EES10_IbLb1EEEEDaSW_SX_EUlSW_E_NS1_11comp_targetILNS1_3genE0ELNS1_11target_archE4294967295ELNS1_3gpuE0ELNS1_3repE0EEENS1_30default_config_static_selectorELNS0_4arch9wavefront6targetE1EEEvT1_
	.p2align	8
	.type	_ZN7rocprim17ROCPRIM_400000_NS6detail17trampoline_kernelINS0_14default_configENS1_29reduce_by_key_config_selectorIttN6thrust23THRUST_200600_302600_NS4plusItEEEEZZNS1_33reduce_by_key_impl_wrapped_configILNS1_25lookback_scan_determinismE0ES3_S9_NS6_6detail15normal_iteratorINS6_10device_ptrItEEEESG_SG_SG_PmS8_22is_equal_div_10_reduceItEEE10hipError_tPvRmT2_T3_mT4_T5_T6_T7_T8_P12ihipStream_tbENKUlT_T0_E_clISt17integral_constantIbLb0EES10_IbLb1EEEEDaSW_SX_EUlSW_E_NS1_11comp_targetILNS1_3genE0ELNS1_11target_archE4294967295ELNS1_3gpuE0ELNS1_3repE0EEENS1_30default_config_static_selectorELNS0_4arch9wavefront6targetE1EEEvT1_,@function
_ZN7rocprim17ROCPRIM_400000_NS6detail17trampoline_kernelINS0_14default_configENS1_29reduce_by_key_config_selectorIttN6thrust23THRUST_200600_302600_NS4plusItEEEEZZNS1_33reduce_by_key_impl_wrapped_configILNS1_25lookback_scan_determinismE0ES3_S9_NS6_6detail15normal_iteratorINS6_10device_ptrItEEEESG_SG_SG_PmS8_22is_equal_div_10_reduceItEEE10hipError_tPvRmT2_T3_mT4_T5_T6_T7_T8_P12ihipStream_tbENKUlT_T0_E_clISt17integral_constantIbLb0EES10_IbLb1EEEEDaSW_SX_EUlSW_E_NS1_11comp_targetILNS1_3genE0ELNS1_11target_archE4294967295ELNS1_3gpuE0ELNS1_3repE0EEENS1_30default_config_static_selectorELNS0_4arch9wavefront6targetE1EEEvT1_: ; @_ZN7rocprim17ROCPRIM_400000_NS6detail17trampoline_kernelINS0_14default_configENS1_29reduce_by_key_config_selectorIttN6thrust23THRUST_200600_302600_NS4plusItEEEEZZNS1_33reduce_by_key_impl_wrapped_configILNS1_25lookback_scan_determinismE0ES3_S9_NS6_6detail15normal_iteratorINS6_10device_ptrItEEEESG_SG_SG_PmS8_22is_equal_div_10_reduceItEEE10hipError_tPvRmT2_T3_mT4_T5_T6_T7_T8_P12ihipStream_tbENKUlT_T0_E_clISt17integral_constantIbLb0EES10_IbLb1EEEEDaSW_SX_EUlSW_E_NS1_11comp_targetILNS1_3genE0ELNS1_11target_archE4294967295ELNS1_3gpuE0ELNS1_3repE0EEENS1_30default_config_static_selectorELNS0_4arch9wavefront6targetE1EEEvT1_
; %bb.0:
	.section	.rodata,"a",@progbits
	.p2align	6, 0x0
	.amdhsa_kernel _ZN7rocprim17ROCPRIM_400000_NS6detail17trampoline_kernelINS0_14default_configENS1_29reduce_by_key_config_selectorIttN6thrust23THRUST_200600_302600_NS4plusItEEEEZZNS1_33reduce_by_key_impl_wrapped_configILNS1_25lookback_scan_determinismE0ES3_S9_NS6_6detail15normal_iteratorINS6_10device_ptrItEEEESG_SG_SG_PmS8_22is_equal_div_10_reduceItEEE10hipError_tPvRmT2_T3_mT4_T5_T6_T7_T8_P12ihipStream_tbENKUlT_T0_E_clISt17integral_constantIbLb0EES10_IbLb1EEEEDaSW_SX_EUlSW_E_NS1_11comp_targetILNS1_3genE0ELNS1_11target_archE4294967295ELNS1_3gpuE0ELNS1_3repE0EEENS1_30default_config_static_selectorELNS0_4arch9wavefront6targetE1EEEvT1_
		.amdhsa_group_segment_fixed_size 0
		.amdhsa_private_segment_fixed_size 0
		.amdhsa_kernarg_size 120
		.amdhsa_user_sgpr_count 6
		.amdhsa_user_sgpr_private_segment_buffer 1
		.amdhsa_user_sgpr_dispatch_ptr 0
		.amdhsa_user_sgpr_queue_ptr 0
		.amdhsa_user_sgpr_kernarg_segment_ptr 1
		.amdhsa_user_sgpr_dispatch_id 0
		.amdhsa_user_sgpr_flat_scratch_init 0
		.amdhsa_user_sgpr_kernarg_preload_length 0
		.amdhsa_user_sgpr_kernarg_preload_offset 0
		.amdhsa_user_sgpr_private_segment_size 0
		.amdhsa_uses_dynamic_stack 0
		.amdhsa_system_sgpr_private_segment_wavefront_offset 0
		.amdhsa_system_sgpr_workgroup_id_x 1
		.amdhsa_system_sgpr_workgroup_id_y 0
		.amdhsa_system_sgpr_workgroup_id_z 0
		.amdhsa_system_sgpr_workgroup_info 0
		.amdhsa_system_vgpr_workitem_id 0
		.amdhsa_next_free_vgpr 1
		.amdhsa_next_free_sgpr 0
		.amdhsa_accum_offset 4
		.amdhsa_reserve_vcc 0
		.amdhsa_reserve_flat_scratch 0
		.amdhsa_float_round_mode_32 0
		.amdhsa_float_round_mode_16_64 0
		.amdhsa_float_denorm_mode_32 3
		.amdhsa_float_denorm_mode_16_64 3
		.amdhsa_dx10_clamp 1
		.amdhsa_ieee_mode 1
		.amdhsa_fp16_overflow 0
		.amdhsa_tg_split 0
		.amdhsa_exception_fp_ieee_invalid_op 0
		.amdhsa_exception_fp_denorm_src 0
		.amdhsa_exception_fp_ieee_div_zero 0
		.amdhsa_exception_fp_ieee_overflow 0
		.amdhsa_exception_fp_ieee_underflow 0
		.amdhsa_exception_fp_ieee_inexact 0
		.amdhsa_exception_int_div_zero 0
	.end_amdhsa_kernel
	.section	.text._ZN7rocprim17ROCPRIM_400000_NS6detail17trampoline_kernelINS0_14default_configENS1_29reduce_by_key_config_selectorIttN6thrust23THRUST_200600_302600_NS4plusItEEEEZZNS1_33reduce_by_key_impl_wrapped_configILNS1_25lookback_scan_determinismE0ES3_S9_NS6_6detail15normal_iteratorINS6_10device_ptrItEEEESG_SG_SG_PmS8_22is_equal_div_10_reduceItEEE10hipError_tPvRmT2_T3_mT4_T5_T6_T7_T8_P12ihipStream_tbENKUlT_T0_E_clISt17integral_constantIbLb0EES10_IbLb1EEEEDaSW_SX_EUlSW_E_NS1_11comp_targetILNS1_3genE0ELNS1_11target_archE4294967295ELNS1_3gpuE0ELNS1_3repE0EEENS1_30default_config_static_selectorELNS0_4arch9wavefront6targetE1EEEvT1_,"axG",@progbits,_ZN7rocprim17ROCPRIM_400000_NS6detail17trampoline_kernelINS0_14default_configENS1_29reduce_by_key_config_selectorIttN6thrust23THRUST_200600_302600_NS4plusItEEEEZZNS1_33reduce_by_key_impl_wrapped_configILNS1_25lookback_scan_determinismE0ES3_S9_NS6_6detail15normal_iteratorINS6_10device_ptrItEEEESG_SG_SG_PmS8_22is_equal_div_10_reduceItEEE10hipError_tPvRmT2_T3_mT4_T5_T6_T7_T8_P12ihipStream_tbENKUlT_T0_E_clISt17integral_constantIbLb0EES10_IbLb1EEEEDaSW_SX_EUlSW_E_NS1_11comp_targetILNS1_3genE0ELNS1_11target_archE4294967295ELNS1_3gpuE0ELNS1_3repE0EEENS1_30default_config_static_selectorELNS0_4arch9wavefront6targetE1EEEvT1_,comdat
.Lfunc_end458:
	.size	_ZN7rocprim17ROCPRIM_400000_NS6detail17trampoline_kernelINS0_14default_configENS1_29reduce_by_key_config_selectorIttN6thrust23THRUST_200600_302600_NS4plusItEEEEZZNS1_33reduce_by_key_impl_wrapped_configILNS1_25lookback_scan_determinismE0ES3_S9_NS6_6detail15normal_iteratorINS6_10device_ptrItEEEESG_SG_SG_PmS8_22is_equal_div_10_reduceItEEE10hipError_tPvRmT2_T3_mT4_T5_T6_T7_T8_P12ihipStream_tbENKUlT_T0_E_clISt17integral_constantIbLb0EES10_IbLb1EEEEDaSW_SX_EUlSW_E_NS1_11comp_targetILNS1_3genE0ELNS1_11target_archE4294967295ELNS1_3gpuE0ELNS1_3repE0EEENS1_30default_config_static_selectorELNS0_4arch9wavefront6targetE1EEEvT1_, .Lfunc_end458-_ZN7rocprim17ROCPRIM_400000_NS6detail17trampoline_kernelINS0_14default_configENS1_29reduce_by_key_config_selectorIttN6thrust23THRUST_200600_302600_NS4plusItEEEEZZNS1_33reduce_by_key_impl_wrapped_configILNS1_25lookback_scan_determinismE0ES3_S9_NS6_6detail15normal_iteratorINS6_10device_ptrItEEEESG_SG_SG_PmS8_22is_equal_div_10_reduceItEEE10hipError_tPvRmT2_T3_mT4_T5_T6_T7_T8_P12ihipStream_tbENKUlT_T0_E_clISt17integral_constantIbLb0EES10_IbLb1EEEEDaSW_SX_EUlSW_E_NS1_11comp_targetILNS1_3genE0ELNS1_11target_archE4294967295ELNS1_3gpuE0ELNS1_3repE0EEENS1_30default_config_static_selectorELNS0_4arch9wavefront6targetE1EEEvT1_
                                        ; -- End function
	.section	.AMDGPU.csdata,"",@progbits
; Kernel info:
; codeLenInByte = 0
; NumSgprs: 4
; NumVgprs: 0
; NumAgprs: 0
; TotalNumVgprs: 0
; ScratchSize: 0
; MemoryBound: 0
; FloatMode: 240
; IeeeMode: 1
; LDSByteSize: 0 bytes/workgroup (compile time only)
; SGPRBlocks: 0
; VGPRBlocks: 0
; NumSGPRsForWavesPerEU: 4
; NumVGPRsForWavesPerEU: 1
; AccumOffset: 4
; Occupancy: 8
; WaveLimiterHint : 0
; COMPUTE_PGM_RSRC2:SCRATCH_EN: 0
; COMPUTE_PGM_RSRC2:USER_SGPR: 6
; COMPUTE_PGM_RSRC2:TRAP_HANDLER: 0
; COMPUTE_PGM_RSRC2:TGID_X_EN: 1
; COMPUTE_PGM_RSRC2:TGID_Y_EN: 0
; COMPUTE_PGM_RSRC2:TGID_Z_EN: 0
; COMPUTE_PGM_RSRC2:TIDIG_COMP_CNT: 0
; COMPUTE_PGM_RSRC3_GFX90A:ACCUM_OFFSET: 0
; COMPUTE_PGM_RSRC3_GFX90A:TG_SPLIT: 0
	.section	.text._ZN7rocprim17ROCPRIM_400000_NS6detail17trampoline_kernelINS0_14default_configENS1_29reduce_by_key_config_selectorIttN6thrust23THRUST_200600_302600_NS4plusItEEEEZZNS1_33reduce_by_key_impl_wrapped_configILNS1_25lookback_scan_determinismE0ES3_S9_NS6_6detail15normal_iteratorINS6_10device_ptrItEEEESG_SG_SG_PmS8_22is_equal_div_10_reduceItEEE10hipError_tPvRmT2_T3_mT4_T5_T6_T7_T8_P12ihipStream_tbENKUlT_T0_E_clISt17integral_constantIbLb0EES10_IbLb1EEEEDaSW_SX_EUlSW_E_NS1_11comp_targetILNS1_3genE5ELNS1_11target_archE942ELNS1_3gpuE9ELNS1_3repE0EEENS1_30default_config_static_selectorELNS0_4arch9wavefront6targetE1EEEvT1_,"axG",@progbits,_ZN7rocprim17ROCPRIM_400000_NS6detail17trampoline_kernelINS0_14default_configENS1_29reduce_by_key_config_selectorIttN6thrust23THRUST_200600_302600_NS4plusItEEEEZZNS1_33reduce_by_key_impl_wrapped_configILNS1_25lookback_scan_determinismE0ES3_S9_NS6_6detail15normal_iteratorINS6_10device_ptrItEEEESG_SG_SG_PmS8_22is_equal_div_10_reduceItEEE10hipError_tPvRmT2_T3_mT4_T5_T6_T7_T8_P12ihipStream_tbENKUlT_T0_E_clISt17integral_constantIbLb0EES10_IbLb1EEEEDaSW_SX_EUlSW_E_NS1_11comp_targetILNS1_3genE5ELNS1_11target_archE942ELNS1_3gpuE9ELNS1_3repE0EEENS1_30default_config_static_selectorELNS0_4arch9wavefront6targetE1EEEvT1_,comdat
	.protected	_ZN7rocprim17ROCPRIM_400000_NS6detail17trampoline_kernelINS0_14default_configENS1_29reduce_by_key_config_selectorIttN6thrust23THRUST_200600_302600_NS4plusItEEEEZZNS1_33reduce_by_key_impl_wrapped_configILNS1_25lookback_scan_determinismE0ES3_S9_NS6_6detail15normal_iteratorINS6_10device_ptrItEEEESG_SG_SG_PmS8_22is_equal_div_10_reduceItEEE10hipError_tPvRmT2_T3_mT4_T5_T6_T7_T8_P12ihipStream_tbENKUlT_T0_E_clISt17integral_constantIbLb0EES10_IbLb1EEEEDaSW_SX_EUlSW_E_NS1_11comp_targetILNS1_3genE5ELNS1_11target_archE942ELNS1_3gpuE9ELNS1_3repE0EEENS1_30default_config_static_selectorELNS0_4arch9wavefront6targetE1EEEvT1_ ; -- Begin function _ZN7rocprim17ROCPRIM_400000_NS6detail17trampoline_kernelINS0_14default_configENS1_29reduce_by_key_config_selectorIttN6thrust23THRUST_200600_302600_NS4plusItEEEEZZNS1_33reduce_by_key_impl_wrapped_configILNS1_25lookback_scan_determinismE0ES3_S9_NS6_6detail15normal_iteratorINS6_10device_ptrItEEEESG_SG_SG_PmS8_22is_equal_div_10_reduceItEEE10hipError_tPvRmT2_T3_mT4_T5_T6_T7_T8_P12ihipStream_tbENKUlT_T0_E_clISt17integral_constantIbLb0EES10_IbLb1EEEEDaSW_SX_EUlSW_E_NS1_11comp_targetILNS1_3genE5ELNS1_11target_archE942ELNS1_3gpuE9ELNS1_3repE0EEENS1_30default_config_static_selectorELNS0_4arch9wavefront6targetE1EEEvT1_
	.globl	_ZN7rocprim17ROCPRIM_400000_NS6detail17trampoline_kernelINS0_14default_configENS1_29reduce_by_key_config_selectorIttN6thrust23THRUST_200600_302600_NS4plusItEEEEZZNS1_33reduce_by_key_impl_wrapped_configILNS1_25lookback_scan_determinismE0ES3_S9_NS6_6detail15normal_iteratorINS6_10device_ptrItEEEESG_SG_SG_PmS8_22is_equal_div_10_reduceItEEE10hipError_tPvRmT2_T3_mT4_T5_T6_T7_T8_P12ihipStream_tbENKUlT_T0_E_clISt17integral_constantIbLb0EES10_IbLb1EEEEDaSW_SX_EUlSW_E_NS1_11comp_targetILNS1_3genE5ELNS1_11target_archE942ELNS1_3gpuE9ELNS1_3repE0EEENS1_30default_config_static_selectorELNS0_4arch9wavefront6targetE1EEEvT1_
	.p2align	8
	.type	_ZN7rocprim17ROCPRIM_400000_NS6detail17trampoline_kernelINS0_14default_configENS1_29reduce_by_key_config_selectorIttN6thrust23THRUST_200600_302600_NS4plusItEEEEZZNS1_33reduce_by_key_impl_wrapped_configILNS1_25lookback_scan_determinismE0ES3_S9_NS6_6detail15normal_iteratorINS6_10device_ptrItEEEESG_SG_SG_PmS8_22is_equal_div_10_reduceItEEE10hipError_tPvRmT2_T3_mT4_T5_T6_T7_T8_P12ihipStream_tbENKUlT_T0_E_clISt17integral_constantIbLb0EES10_IbLb1EEEEDaSW_SX_EUlSW_E_NS1_11comp_targetILNS1_3genE5ELNS1_11target_archE942ELNS1_3gpuE9ELNS1_3repE0EEENS1_30default_config_static_selectorELNS0_4arch9wavefront6targetE1EEEvT1_,@function
_ZN7rocprim17ROCPRIM_400000_NS6detail17trampoline_kernelINS0_14default_configENS1_29reduce_by_key_config_selectorIttN6thrust23THRUST_200600_302600_NS4plusItEEEEZZNS1_33reduce_by_key_impl_wrapped_configILNS1_25lookback_scan_determinismE0ES3_S9_NS6_6detail15normal_iteratorINS6_10device_ptrItEEEESG_SG_SG_PmS8_22is_equal_div_10_reduceItEEE10hipError_tPvRmT2_T3_mT4_T5_T6_T7_T8_P12ihipStream_tbENKUlT_T0_E_clISt17integral_constantIbLb0EES10_IbLb1EEEEDaSW_SX_EUlSW_E_NS1_11comp_targetILNS1_3genE5ELNS1_11target_archE942ELNS1_3gpuE9ELNS1_3repE0EEENS1_30default_config_static_selectorELNS0_4arch9wavefront6targetE1EEEvT1_: ; @_ZN7rocprim17ROCPRIM_400000_NS6detail17trampoline_kernelINS0_14default_configENS1_29reduce_by_key_config_selectorIttN6thrust23THRUST_200600_302600_NS4plusItEEEEZZNS1_33reduce_by_key_impl_wrapped_configILNS1_25lookback_scan_determinismE0ES3_S9_NS6_6detail15normal_iteratorINS6_10device_ptrItEEEESG_SG_SG_PmS8_22is_equal_div_10_reduceItEEE10hipError_tPvRmT2_T3_mT4_T5_T6_T7_T8_P12ihipStream_tbENKUlT_T0_E_clISt17integral_constantIbLb0EES10_IbLb1EEEEDaSW_SX_EUlSW_E_NS1_11comp_targetILNS1_3genE5ELNS1_11target_archE942ELNS1_3gpuE9ELNS1_3repE0EEENS1_30default_config_static_selectorELNS0_4arch9wavefront6targetE1EEEvT1_
; %bb.0:
	.section	.rodata,"a",@progbits
	.p2align	6, 0x0
	.amdhsa_kernel _ZN7rocprim17ROCPRIM_400000_NS6detail17trampoline_kernelINS0_14default_configENS1_29reduce_by_key_config_selectorIttN6thrust23THRUST_200600_302600_NS4plusItEEEEZZNS1_33reduce_by_key_impl_wrapped_configILNS1_25lookback_scan_determinismE0ES3_S9_NS6_6detail15normal_iteratorINS6_10device_ptrItEEEESG_SG_SG_PmS8_22is_equal_div_10_reduceItEEE10hipError_tPvRmT2_T3_mT4_T5_T6_T7_T8_P12ihipStream_tbENKUlT_T0_E_clISt17integral_constantIbLb0EES10_IbLb1EEEEDaSW_SX_EUlSW_E_NS1_11comp_targetILNS1_3genE5ELNS1_11target_archE942ELNS1_3gpuE9ELNS1_3repE0EEENS1_30default_config_static_selectorELNS0_4arch9wavefront6targetE1EEEvT1_
		.amdhsa_group_segment_fixed_size 0
		.amdhsa_private_segment_fixed_size 0
		.amdhsa_kernarg_size 120
		.amdhsa_user_sgpr_count 6
		.amdhsa_user_sgpr_private_segment_buffer 1
		.amdhsa_user_sgpr_dispatch_ptr 0
		.amdhsa_user_sgpr_queue_ptr 0
		.amdhsa_user_sgpr_kernarg_segment_ptr 1
		.amdhsa_user_sgpr_dispatch_id 0
		.amdhsa_user_sgpr_flat_scratch_init 0
		.amdhsa_user_sgpr_kernarg_preload_length 0
		.amdhsa_user_sgpr_kernarg_preload_offset 0
		.amdhsa_user_sgpr_private_segment_size 0
		.amdhsa_uses_dynamic_stack 0
		.amdhsa_system_sgpr_private_segment_wavefront_offset 0
		.amdhsa_system_sgpr_workgroup_id_x 1
		.amdhsa_system_sgpr_workgroup_id_y 0
		.amdhsa_system_sgpr_workgroup_id_z 0
		.amdhsa_system_sgpr_workgroup_info 0
		.amdhsa_system_vgpr_workitem_id 0
		.amdhsa_next_free_vgpr 1
		.amdhsa_next_free_sgpr 0
		.amdhsa_accum_offset 4
		.amdhsa_reserve_vcc 0
		.amdhsa_reserve_flat_scratch 0
		.amdhsa_float_round_mode_32 0
		.amdhsa_float_round_mode_16_64 0
		.amdhsa_float_denorm_mode_32 3
		.amdhsa_float_denorm_mode_16_64 3
		.amdhsa_dx10_clamp 1
		.amdhsa_ieee_mode 1
		.amdhsa_fp16_overflow 0
		.amdhsa_tg_split 0
		.amdhsa_exception_fp_ieee_invalid_op 0
		.amdhsa_exception_fp_denorm_src 0
		.amdhsa_exception_fp_ieee_div_zero 0
		.amdhsa_exception_fp_ieee_overflow 0
		.amdhsa_exception_fp_ieee_underflow 0
		.amdhsa_exception_fp_ieee_inexact 0
		.amdhsa_exception_int_div_zero 0
	.end_amdhsa_kernel
	.section	.text._ZN7rocprim17ROCPRIM_400000_NS6detail17trampoline_kernelINS0_14default_configENS1_29reduce_by_key_config_selectorIttN6thrust23THRUST_200600_302600_NS4plusItEEEEZZNS1_33reduce_by_key_impl_wrapped_configILNS1_25lookback_scan_determinismE0ES3_S9_NS6_6detail15normal_iteratorINS6_10device_ptrItEEEESG_SG_SG_PmS8_22is_equal_div_10_reduceItEEE10hipError_tPvRmT2_T3_mT4_T5_T6_T7_T8_P12ihipStream_tbENKUlT_T0_E_clISt17integral_constantIbLb0EES10_IbLb1EEEEDaSW_SX_EUlSW_E_NS1_11comp_targetILNS1_3genE5ELNS1_11target_archE942ELNS1_3gpuE9ELNS1_3repE0EEENS1_30default_config_static_selectorELNS0_4arch9wavefront6targetE1EEEvT1_,"axG",@progbits,_ZN7rocprim17ROCPRIM_400000_NS6detail17trampoline_kernelINS0_14default_configENS1_29reduce_by_key_config_selectorIttN6thrust23THRUST_200600_302600_NS4plusItEEEEZZNS1_33reduce_by_key_impl_wrapped_configILNS1_25lookback_scan_determinismE0ES3_S9_NS6_6detail15normal_iteratorINS6_10device_ptrItEEEESG_SG_SG_PmS8_22is_equal_div_10_reduceItEEE10hipError_tPvRmT2_T3_mT4_T5_T6_T7_T8_P12ihipStream_tbENKUlT_T0_E_clISt17integral_constantIbLb0EES10_IbLb1EEEEDaSW_SX_EUlSW_E_NS1_11comp_targetILNS1_3genE5ELNS1_11target_archE942ELNS1_3gpuE9ELNS1_3repE0EEENS1_30default_config_static_selectorELNS0_4arch9wavefront6targetE1EEEvT1_,comdat
.Lfunc_end459:
	.size	_ZN7rocprim17ROCPRIM_400000_NS6detail17trampoline_kernelINS0_14default_configENS1_29reduce_by_key_config_selectorIttN6thrust23THRUST_200600_302600_NS4plusItEEEEZZNS1_33reduce_by_key_impl_wrapped_configILNS1_25lookback_scan_determinismE0ES3_S9_NS6_6detail15normal_iteratorINS6_10device_ptrItEEEESG_SG_SG_PmS8_22is_equal_div_10_reduceItEEE10hipError_tPvRmT2_T3_mT4_T5_T6_T7_T8_P12ihipStream_tbENKUlT_T0_E_clISt17integral_constantIbLb0EES10_IbLb1EEEEDaSW_SX_EUlSW_E_NS1_11comp_targetILNS1_3genE5ELNS1_11target_archE942ELNS1_3gpuE9ELNS1_3repE0EEENS1_30default_config_static_selectorELNS0_4arch9wavefront6targetE1EEEvT1_, .Lfunc_end459-_ZN7rocprim17ROCPRIM_400000_NS6detail17trampoline_kernelINS0_14default_configENS1_29reduce_by_key_config_selectorIttN6thrust23THRUST_200600_302600_NS4plusItEEEEZZNS1_33reduce_by_key_impl_wrapped_configILNS1_25lookback_scan_determinismE0ES3_S9_NS6_6detail15normal_iteratorINS6_10device_ptrItEEEESG_SG_SG_PmS8_22is_equal_div_10_reduceItEEE10hipError_tPvRmT2_T3_mT4_T5_T6_T7_T8_P12ihipStream_tbENKUlT_T0_E_clISt17integral_constantIbLb0EES10_IbLb1EEEEDaSW_SX_EUlSW_E_NS1_11comp_targetILNS1_3genE5ELNS1_11target_archE942ELNS1_3gpuE9ELNS1_3repE0EEENS1_30default_config_static_selectorELNS0_4arch9wavefront6targetE1EEEvT1_
                                        ; -- End function
	.section	.AMDGPU.csdata,"",@progbits
; Kernel info:
; codeLenInByte = 0
; NumSgprs: 4
; NumVgprs: 0
; NumAgprs: 0
; TotalNumVgprs: 0
; ScratchSize: 0
; MemoryBound: 0
; FloatMode: 240
; IeeeMode: 1
; LDSByteSize: 0 bytes/workgroup (compile time only)
; SGPRBlocks: 0
; VGPRBlocks: 0
; NumSGPRsForWavesPerEU: 4
; NumVGPRsForWavesPerEU: 1
; AccumOffset: 4
; Occupancy: 8
; WaveLimiterHint : 0
; COMPUTE_PGM_RSRC2:SCRATCH_EN: 0
; COMPUTE_PGM_RSRC2:USER_SGPR: 6
; COMPUTE_PGM_RSRC2:TRAP_HANDLER: 0
; COMPUTE_PGM_RSRC2:TGID_X_EN: 1
; COMPUTE_PGM_RSRC2:TGID_Y_EN: 0
; COMPUTE_PGM_RSRC2:TGID_Z_EN: 0
; COMPUTE_PGM_RSRC2:TIDIG_COMP_CNT: 0
; COMPUTE_PGM_RSRC3_GFX90A:ACCUM_OFFSET: 0
; COMPUTE_PGM_RSRC3_GFX90A:TG_SPLIT: 0
	.section	.text._ZN7rocprim17ROCPRIM_400000_NS6detail17trampoline_kernelINS0_14default_configENS1_29reduce_by_key_config_selectorIttN6thrust23THRUST_200600_302600_NS4plusItEEEEZZNS1_33reduce_by_key_impl_wrapped_configILNS1_25lookback_scan_determinismE0ES3_S9_NS6_6detail15normal_iteratorINS6_10device_ptrItEEEESG_SG_SG_PmS8_22is_equal_div_10_reduceItEEE10hipError_tPvRmT2_T3_mT4_T5_T6_T7_T8_P12ihipStream_tbENKUlT_T0_E_clISt17integral_constantIbLb0EES10_IbLb1EEEEDaSW_SX_EUlSW_E_NS1_11comp_targetILNS1_3genE4ELNS1_11target_archE910ELNS1_3gpuE8ELNS1_3repE0EEENS1_30default_config_static_selectorELNS0_4arch9wavefront6targetE1EEEvT1_,"axG",@progbits,_ZN7rocprim17ROCPRIM_400000_NS6detail17trampoline_kernelINS0_14default_configENS1_29reduce_by_key_config_selectorIttN6thrust23THRUST_200600_302600_NS4plusItEEEEZZNS1_33reduce_by_key_impl_wrapped_configILNS1_25lookback_scan_determinismE0ES3_S9_NS6_6detail15normal_iteratorINS6_10device_ptrItEEEESG_SG_SG_PmS8_22is_equal_div_10_reduceItEEE10hipError_tPvRmT2_T3_mT4_T5_T6_T7_T8_P12ihipStream_tbENKUlT_T0_E_clISt17integral_constantIbLb0EES10_IbLb1EEEEDaSW_SX_EUlSW_E_NS1_11comp_targetILNS1_3genE4ELNS1_11target_archE910ELNS1_3gpuE8ELNS1_3repE0EEENS1_30default_config_static_selectorELNS0_4arch9wavefront6targetE1EEEvT1_,comdat
	.protected	_ZN7rocprim17ROCPRIM_400000_NS6detail17trampoline_kernelINS0_14default_configENS1_29reduce_by_key_config_selectorIttN6thrust23THRUST_200600_302600_NS4plusItEEEEZZNS1_33reduce_by_key_impl_wrapped_configILNS1_25lookback_scan_determinismE0ES3_S9_NS6_6detail15normal_iteratorINS6_10device_ptrItEEEESG_SG_SG_PmS8_22is_equal_div_10_reduceItEEE10hipError_tPvRmT2_T3_mT4_T5_T6_T7_T8_P12ihipStream_tbENKUlT_T0_E_clISt17integral_constantIbLb0EES10_IbLb1EEEEDaSW_SX_EUlSW_E_NS1_11comp_targetILNS1_3genE4ELNS1_11target_archE910ELNS1_3gpuE8ELNS1_3repE0EEENS1_30default_config_static_selectorELNS0_4arch9wavefront6targetE1EEEvT1_ ; -- Begin function _ZN7rocprim17ROCPRIM_400000_NS6detail17trampoline_kernelINS0_14default_configENS1_29reduce_by_key_config_selectorIttN6thrust23THRUST_200600_302600_NS4plusItEEEEZZNS1_33reduce_by_key_impl_wrapped_configILNS1_25lookback_scan_determinismE0ES3_S9_NS6_6detail15normal_iteratorINS6_10device_ptrItEEEESG_SG_SG_PmS8_22is_equal_div_10_reduceItEEE10hipError_tPvRmT2_T3_mT4_T5_T6_T7_T8_P12ihipStream_tbENKUlT_T0_E_clISt17integral_constantIbLb0EES10_IbLb1EEEEDaSW_SX_EUlSW_E_NS1_11comp_targetILNS1_3genE4ELNS1_11target_archE910ELNS1_3gpuE8ELNS1_3repE0EEENS1_30default_config_static_selectorELNS0_4arch9wavefront6targetE1EEEvT1_
	.globl	_ZN7rocprim17ROCPRIM_400000_NS6detail17trampoline_kernelINS0_14default_configENS1_29reduce_by_key_config_selectorIttN6thrust23THRUST_200600_302600_NS4plusItEEEEZZNS1_33reduce_by_key_impl_wrapped_configILNS1_25lookback_scan_determinismE0ES3_S9_NS6_6detail15normal_iteratorINS6_10device_ptrItEEEESG_SG_SG_PmS8_22is_equal_div_10_reduceItEEE10hipError_tPvRmT2_T3_mT4_T5_T6_T7_T8_P12ihipStream_tbENKUlT_T0_E_clISt17integral_constantIbLb0EES10_IbLb1EEEEDaSW_SX_EUlSW_E_NS1_11comp_targetILNS1_3genE4ELNS1_11target_archE910ELNS1_3gpuE8ELNS1_3repE0EEENS1_30default_config_static_selectorELNS0_4arch9wavefront6targetE1EEEvT1_
	.p2align	8
	.type	_ZN7rocprim17ROCPRIM_400000_NS6detail17trampoline_kernelINS0_14default_configENS1_29reduce_by_key_config_selectorIttN6thrust23THRUST_200600_302600_NS4plusItEEEEZZNS1_33reduce_by_key_impl_wrapped_configILNS1_25lookback_scan_determinismE0ES3_S9_NS6_6detail15normal_iteratorINS6_10device_ptrItEEEESG_SG_SG_PmS8_22is_equal_div_10_reduceItEEE10hipError_tPvRmT2_T3_mT4_T5_T6_T7_T8_P12ihipStream_tbENKUlT_T0_E_clISt17integral_constantIbLb0EES10_IbLb1EEEEDaSW_SX_EUlSW_E_NS1_11comp_targetILNS1_3genE4ELNS1_11target_archE910ELNS1_3gpuE8ELNS1_3repE0EEENS1_30default_config_static_selectorELNS0_4arch9wavefront6targetE1EEEvT1_,@function
_ZN7rocprim17ROCPRIM_400000_NS6detail17trampoline_kernelINS0_14default_configENS1_29reduce_by_key_config_selectorIttN6thrust23THRUST_200600_302600_NS4plusItEEEEZZNS1_33reduce_by_key_impl_wrapped_configILNS1_25lookback_scan_determinismE0ES3_S9_NS6_6detail15normal_iteratorINS6_10device_ptrItEEEESG_SG_SG_PmS8_22is_equal_div_10_reduceItEEE10hipError_tPvRmT2_T3_mT4_T5_T6_T7_T8_P12ihipStream_tbENKUlT_T0_E_clISt17integral_constantIbLb0EES10_IbLb1EEEEDaSW_SX_EUlSW_E_NS1_11comp_targetILNS1_3genE4ELNS1_11target_archE910ELNS1_3gpuE8ELNS1_3repE0EEENS1_30default_config_static_selectorELNS0_4arch9wavefront6targetE1EEEvT1_: ; @_ZN7rocprim17ROCPRIM_400000_NS6detail17trampoline_kernelINS0_14default_configENS1_29reduce_by_key_config_selectorIttN6thrust23THRUST_200600_302600_NS4plusItEEEEZZNS1_33reduce_by_key_impl_wrapped_configILNS1_25lookback_scan_determinismE0ES3_S9_NS6_6detail15normal_iteratorINS6_10device_ptrItEEEESG_SG_SG_PmS8_22is_equal_div_10_reduceItEEE10hipError_tPvRmT2_T3_mT4_T5_T6_T7_T8_P12ihipStream_tbENKUlT_T0_E_clISt17integral_constantIbLb0EES10_IbLb1EEEEDaSW_SX_EUlSW_E_NS1_11comp_targetILNS1_3genE4ELNS1_11target_archE910ELNS1_3gpuE8ELNS1_3repE0EEENS1_30default_config_static_selectorELNS0_4arch9wavefront6targetE1EEEvT1_
; %bb.0:
	s_load_dwordx8 s[36:43], s[4:5], 0x0
	s_load_dwordx4 s[52:55], s[4:5], 0x20
	s_load_dwordx8 s[44:51], s[4:5], 0x38
	s_load_dwordx2 s[60:61], s[4:5], 0x68
	s_load_dwordx4 s[56:59], s[4:5], 0x58
	v_cmp_ne_u32_e64 s[2:3], 0, v0
	v_cmp_eq_u32_e64 s[0:1], 0, v0
	s_and_saveexec_b64 s[6:7], s[0:1]
	s_cbranch_execz .LBB460_4
; %bb.1:
	s_mov_b64 s[10:11], exec
	v_mbcnt_lo_u32_b32 v1, s10, 0
	v_mbcnt_hi_u32_b32 v1, s11, v1
	v_cmp_eq_u32_e32 vcc, 0, v1
                                        ; implicit-def: $vgpr2
	s_and_saveexec_b64 s[8:9], vcc
	s_cbranch_execz .LBB460_3
; %bb.2:
	s_load_dwordx2 s[4:5], s[4:5], 0x70
	s_bcnt1_i32_b64 s10, s[10:11]
	v_mov_b32_e32 v2, 0
	v_mov_b32_e32 v3, s10
	s_waitcnt lgkmcnt(0)
	global_atomic_add v2, v2, v3, s[4:5] glc
.LBB460_3:
	s_or_b64 exec, exec, s[8:9]
	s_waitcnt vmcnt(0)
	v_readfirstlane_b32 s4, v2
	v_add_u32_e32 v1, s4, v1
	v_mov_b32_e32 v2, 0
	ds_write_b32 v2, v1
.LBB460_4:
	s_or_b64 exec, exec, s[6:7]
	v_mov_b32_e32 v3, 0
	s_waitcnt lgkmcnt(0)
	s_lshl_b64 s[4:5], s[38:39], 1
	s_barrier
	ds_read_b32 v1, v3
	s_add_u32 s6, s36, s4
	s_addc_u32 s7, s37, s5
	s_add_u32 s4, s40, s4
	s_mul_i32 s8, s48, s47
	s_mul_hi_u32 s9, s48, s46
	s_addc_u32 s5, s41, s5
	s_add_i32 s8, s9, s8
	s_mul_i32 s9, s49, s46
	s_add_i32 s8, s8, s9
	s_mul_i32 s9, s48, s46
	s_waitcnt lgkmcnt(0)
	v_readfirstlane_b32 s62, v1
	s_movk_i32 s10, 0xf00
	v_mul_lo_u32 v2, v1, s10
	s_add_u32 s40, s9, s62
	v_lshlrev_b64 v[2:3], 1, v[2:3]
	s_addc_u32 s41, s8, 0
	v_mov_b32_e32 v1, s7
	v_add_co_u32_e32 v7, vcc, s6, v2
	s_add_u32 s6, s50, -1
	v_addc_co_u32_e32 v8, vcc, v1, v3, vcc
	s_addc_u32 s7, s51, -1
	v_mov_b32_e32 v1, s5
	v_add_co_u32_e32 v9, vcc, s4, v2
	s_cmp_eq_u64 s[40:41], s[6:7]
	v_addc_co_u32_e32 v10, vcc, v1, v3, vcc
	s_cselect_b64 s[36:37], -1, 0
	s_cmp_lg_u64 s[40:41], s[6:7]
	s_mov_b64 s[4:5], -1
	s_cselect_b64 s[48:49], -1, 0
	s_mul_i32 s33, s6, 0xfffff100
	s_and_b64 vcc, exec, s[36:37]
	v_mul_u32_u24_e32 v6, 15, v0
	s_barrier
	s_cbranch_vccnz .LBB460_6
; %bb.5:
	v_lshlrev_b32_e32 v17, 1, v0
	v_add_co_u32_e32 v2, vcc, v7, v17
	v_addc_co_u32_e32 v3, vcc, 0, v8, vcc
	flat_load_ushort v1, v[2:3]
	flat_load_ushort v4, v[2:3] offset:512
	flat_load_ushort v5, v[2:3] offset:1024
	flat_load_ushort v14, v[2:3] offset:1536
	flat_load_ushort v15, v[2:3] offset:2048
	flat_load_ushort v16, v[2:3] offset:2560
	flat_load_ushort v20, v[2:3] offset:3072
	flat_load_ushort v21, v[2:3] offset:3584
	v_add_co_u32_e32 v2, vcc, 0x1000, v2
	v_addc_co_u32_e32 v3, vcc, 0, v3, vcc
	flat_load_ushort v22, v[2:3]
	flat_load_ushort v23, v[2:3] offset:512
	flat_load_ushort v24, v[2:3] offset:1024
	;; [unrolled: 1-line block ×6, first 2 shown]
	v_add_co_u32_e32 v12, vcc, v9, v17
	s_movk_i32 s4, 0x1000
	v_addc_co_u32_e32 v13, vcc, 0, v10, vcc
	v_mad_u32_u24 v11, v0, 28, v17
	v_add_co_u32_e32 v18, vcc, s4, v12
	v_addc_co_u32_e32 v19, vcc, 0, v13, vcc
	s_waitcnt vmcnt(0) lgkmcnt(0)
	ds_write_b16 v17, v1
	ds_write_b16 v17, v4 offset:512
	ds_write_b16 v17, v5 offset:1024
	;; [unrolled: 1-line block ×14, first 2 shown]
	s_waitcnt lgkmcnt(0)
	s_barrier
	ds_read_u16 v1, v11
	ds_read_b128 v[2:5], v11 offset:2
	ds_read_b96 v[14:16], v11 offset:18
	s_waitcnt lgkmcnt(0)
	s_barrier
	flat_load_ushort v20, v[12:13]
	flat_load_ushort v21, v[12:13] offset:512
	flat_load_ushort v22, v[12:13] offset:1024
	;; [unrolled: 1-line block ×7, first 2 shown]
	flat_load_ushort v28, v[18:19]
	flat_load_ushort v29, v[18:19] offset:512
	flat_load_ushort v30, v[18:19] offset:1024
	;; [unrolled: 1-line block ×6, first 2 shown]
	v_mul_u32_u24_e32 v12, 15, v0
	s_waitcnt vmcnt(0) lgkmcnt(0)
	ds_write_b16 v17, v20
	ds_write_b16 v17, v21 offset:512
	ds_write_b16 v17, v22 offset:1024
	;; [unrolled: 1-line block ×14, first 2 shown]
	s_waitcnt lgkmcnt(0)
	s_barrier
	s_add_i32 s33, s33, s56
	s_cbranch_execz .LBB460_7
	s_branch .LBB460_54
.LBB460_6:
                                        ; implicit-def: $vgpr2
                                        ; implicit-def: $vgpr14
                                        ; implicit-def: $vgpr12
                                        ; implicit-def: $vgpr11
                                        ; implicit-def: $vgpr1
	s_andn2_b64 vcc, exec, s[4:5]
	s_add_i32 s33, s33, s56
	s_cbranch_vccnz .LBB460_54
.LBB460_7:
	v_cmp_gt_u32_e32 vcc, s33, v0
                                        ; implicit-def: $vgpr1
	s_and_saveexec_b64 s[6:7], vcc
	s_cbranch_execz .LBB460_9
; %bb.8:
	v_lshlrev_b32_e32 v1, 1, v0
	v_add_co_u32_e64 v2, s[4:5], v7, v1
	v_addc_co_u32_e64 v3, s[4:5], 0, v8, s[4:5]
	flat_load_ushort v1, v[2:3]
.LBB460_9:
	s_or_b64 exec, exec, s[6:7]
	v_or_b32_e32 v2, 0x100, v0
	v_cmp_gt_u32_e64 s[4:5], s33, v2
                                        ; implicit-def: $vgpr2
	s_and_saveexec_b64 s[8:9], s[4:5]
	s_cbranch_execz .LBB460_11
; %bb.10:
	v_lshlrev_b32_e32 v2, 1, v0
	v_add_co_u32_e64 v2, s[6:7], v7, v2
	v_addc_co_u32_e64 v3, s[6:7], 0, v8, s[6:7]
	flat_load_ushort v2, v[2:3] offset:512
.LBB460_11:
	s_or_b64 exec, exec, s[8:9]
	v_or_b32_e32 v3, 0x200, v0
	v_cmp_gt_u32_e64 s[6:7], s33, v3
                                        ; implicit-def: $vgpr3
	s_and_saveexec_b64 s[10:11], s[6:7]
	s_cbranch_execz .LBB460_13
; %bb.12:
	v_lshlrev_b32_e32 v3, 1, v0
	v_add_co_u32_e64 v4, s[8:9], v7, v3
	v_addc_co_u32_e64 v5, s[8:9], 0, v8, s[8:9]
	flat_load_ushort v3, v[4:5] offset:1024
.LBB460_13:
	s_or_b64 exec, exec, s[10:11]
	v_or_b32_e32 v4, 0x300, v0
	v_cmp_gt_u32_e64 s[8:9], s33, v4
                                        ; implicit-def: $vgpr4
	s_and_saveexec_b64 s[12:13], s[8:9]
	s_cbranch_execz .LBB460_15
; %bb.14:
	v_lshlrev_b32_e32 v4, 1, v0
	v_add_co_u32_e64 v4, s[10:11], v7, v4
	v_addc_co_u32_e64 v5, s[10:11], 0, v8, s[10:11]
	flat_load_ushort v4, v[4:5] offset:1536
.LBB460_15:
	s_or_b64 exec, exec, s[12:13]
	v_or_b32_e32 v5, 0x400, v0
	v_cmp_gt_u32_e64 s[10:11], s33, v5
                                        ; implicit-def: $vgpr5
	s_and_saveexec_b64 s[14:15], s[10:11]
	s_cbranch_execz .LBB460_17
; %bb.16:
	v_lshlrev_b32_e32 v5, 1, v0
	v_add_co_u32_e64 v12, s[12:13], v7, v5
	v_addc_co_u32_e64 v13, s[12:13], 0, v8, s[12:13]
	flat_load_ushort v5, v[12:13] offset:2048
.LBB460_17:
	s_or_b64 exec, exec, s[14:15]
	v_or_b32_e32 v11, 0x500, v0
	v_cmp_gt_u32_e64 s[12:13], s33, v11
                                        ; implicit-def: $vgpr11
	s_and_saveexec_b64 s[16:17], s[12:13]
	s_cbranch_execz .LBB460_19
; %bb.18:
	v_lshlrev_b32_e32 v11, 1, v0
	v_add_co_u32_e64 v12, s[14:15], v7, v11
	v_addc_co_u32_e64 v13, s[14:15], 0, v8, s[14:15]
	flat_load_ushort v11, v[12:13] offset:2560
.LBB460_19:
	s_or_b64 exec, exec, s[16:17]
	v_or_b32_e32 v12, 0x600, v0
	v_cmp_gt_u32_e64 s[14:15], s33, v12
                                        ; implicit-def: $vgpr14
	s_and_saveexec_b64 s[18:19], s[14:15]
	s_cbranch_execz .LBB460_21
; %bb.20:
	v_lshlrev_b32_e32 v12, 1, v0
	v_add_co_u32_e64 v12, s[16:17], v7, v12
	v_addc_co_u32_e64 v13, s[16:17], 0, v8, s[16:17]
	flat_load_ushort v14, v[12:13] offset:3072
.LBB460_21:
	s_or_b64 exec, exec, s[18:19]
	v_or_b32_e32 v12, 0x700, v0
	v_cmp_gt_u32_e64 s[16:17], s33, v12
                                        ; implicit-def: $vgpr15
	s_and_saveexec_b64 s[20:21], s[16:17]
	s_cbranch_execz .LBB460_23
; %bb.22:
	v_lshlrev_b32_e32 v12, 1, v0
	v_add_co_u32_e64 v12, s[18:19], v7, v12
	v_addc_co_u32_e64 v13, s[18:19], 0, v8, s[18:19]
	flat_load_ushort v15, v[12:13] offset:3584
.LBB460_23:
	s_or_b64 exec, exec, s[20:21]
	v_or_b32_e32 v12, 0x800, v0
	v_cmp_gt_u32_e64 s[18:19], s33, v12
	v_lshlrev_b32_e32 v12, 1, v12
                                        ; implicit-def: $vgpr16
	s_and_saveexec_b64 s[22:23], s[18:19]
	s_cbranch_execz .LBB460_25
; %bb.24:
	v_add_co_u32_e64 v16, s[20:21], v7, v12
	v_addc_co_u32_e64 v17, s[20:21], 0, v8, s[20:21]
	flat_load_ushort v16, v[16:17]
.LBB460_25:
	s_or_b64 exec, exec, s[22:23]
	v_or_b32_e32 v13, 0x900, v0
	v_cmp_gt_u32_e64 s[20:21], s33, v13
	v_lshlrev_b32_e32 v13, 1, v13
                                        ; implicit-def: $vgpr23
	s_and_saveexec_b64 s[24:25], s[20:21]
	s_cbranch_execz .LBB460_27
; %bb.26:
	v_add_co_u32_e64 v18, s[22:23], v7, v13
	v_addc_co_u32_e64 v19, s[22:23], 0, v8, s[22:23]
	flat_load_ushort v23, v[18:19]
.LBB460_27:
	s_or_b64 exec, exec, s[24:25]
	v_or_b32_e32 v17, 0xa00, v0
	v_cmp_gt_u32_e64 s[22:23], s33, v17
	v_lshlrev_b32_e32 v18, 1, v17
                                        ; implicit-def: $vgpr24
	s_and_saveexec_b64 s[26:27], s[22:23]
	s_cbranch_execz .LBB460_29
; %bb.28:
	v_add_co_u32_e64 v20, s[24:25], v7, v18
	v_addc_co_u32_e64 v21, s[24:25], 0, v8, s[24:25]
	flat_load_ushort v24, v[20:21]
.LBB460_29:
	s_or_b64 exec, exec, s[26:27]
	v_or_b32_e32 v17, 0xb00, v0
	v_cmp_gt_u32_e64 s[24:25], s33, v17
	v_lshlrev_b32_e32 v19, 1, v17
                                        ; implicit-def: $vgpr25
	s_and_saveexec_b64 s[28:29], s[24:25]
	s_cbranch_execz .LBB460_31
; %bb.30:
	v_add_co_u32_e64 v20, s[26:27], v7, v19
	v_addc_co_u32_e64 v21, s[26:27], 0, v8, s[26:27]
	flat_load_ushort v25, v[20:21]
.LBB460_31:
	s_or_b64 exec, exec, s[28:29]
	v_or_b32_e32 v17, 0xc00, v0
	v_cmp_gt_u32_e64 s[26:27], s33, v17
	v_lshlrev_b32_e32 v20, 1, v17
                                        ; implicit-def: $vgpr26
	s_and_saveexec_b64 s[30:31], s[26:27]
	s_cbranch_execz .LBB460_33
; %bb.32:
	v_add_co_u32_e64 v26, s[28:29], v7, v20
	v_addc_co_u32_e64 v27, s[28:29], 0, v8, s[28:29]
	flat_load_ushort v26, v[26:27]
.LBB460_33:
	s_or_b64 exec, exec, s[30:31]
	v_or_b32_e32 v17, 0xd00, v0
	v_cmp_gt_u32_e64 s[28:29], s33, v17
	v_lshlrev_b32_e32 v21, 1, v17
                                        ; implicit-def: $vgpr27
	s_and_saveexec_b64 s[34:35], s[28:29]
	s_cbranch_execz .LBB460_35
; %bb.34:
	v_add_co_u32_e64 v28, s[30:31], v7, v21
	v_addc_co_u32_e64 v29, s[30:31], 0, v8, s[30:31]
	flat_load_ushort v27, v[28:29]
.LBB460_35:
	s_or_b64 exec, exec, s[34:35]
	v_or_b32_e32 v17, 0xe00, v0
	v_cmp_gt_u32_e64 s[30:31], s33, v17
	v_lshlrev_b32_e32 v22, 1, v17
                                        ; implicit-def: $vgpr28
	s_and_saveexec_b64 s[38:39], s[30:31]
	s_cbranch_execz .LBB460_37
; %bb.36:
	v_add_co_u32_e64 v28, s[34:35], v7, v22
	v_addc_co_u32_e64 v29, s[34:35], 0, v8, s[34:35]
	flat_load_ushort v28, v[28:29]
.LBB460_37:
	s_or_b64 exec, exec, s[38:39]
	v_lshlrev_b32_e32 v17, 1, v0
	s_waitcnt vmcnt(0) lgkmcnt(0)
	ds_write_b16 v17, v1
	ds_write_b16 v17, v2 offset:512
	ds_write_b16 v17, v3 offset:1024
	;; [unrolled: 1-line block ×14, first 2 shown]
	v_mad_u32_u24 v11, v0, 28, v17
	s_waitcnt lgkmcnt(0)
	s_barrier
	ds_read_u16 v1, v11
	ds_read_b128 v[2:5], v11 offset:2
	ds_read_b96 v[14:16], v11 offset:18
	s_waitcnt lgkmcnt(0)
	s_barrier
	s_waitcnt lgkmcnt(0)
                                        ; implicit-def: $vgpr23
	s_and_saveexec_b64 s[34:35], vcc
	s_cbranch_execnz .LBB460_61
; %bb.38:
	s_or_b64 exec, exec, s[34:35]
                                        ; implicit-def: $vgpr24
	s_and_saveexec_b64 s[34:35], s[4:5]
	s_cbranch_execnz .LBB460_62
.LBB460_39:
	s_or_b64 exec, exec, s[34:35]
                                        ; implicit-def: $vgpr25
	s_and_saveexec_b64 s[4:5], s[6:7]
	s_cbranch_execnz .LBB460_63
.LBB460_40:
	s_or_b64 exec, exec, s[4:5]
                                        ; implicit-def: $vgpr26
	s_and_saveexec_b64 s[4:5], s[8:9]
	s_cbranch_execnz .LBB460_64
.LBB460_41:
	s_or_b64 exec, exec, s[4:5]
                                        ; implicit-def: $vgpr27
	s_and_saveexec_b64 s[4:5], s[10:11]
	s_cbranch_execnz .LBB460_65
.LBB460_42:
	s_or_b64 exec, exec, s[4:5]
                                        ; implicit-def: $vgpr28
	s_and_saveexec_b64 s[4:5], s[12:13]
	s_cbranch_execnz .LBB460_66
.LBB460_43:
	s_or_b64 exec, exec, s[4:5]
                                        ; implicit-def: $vgpr29
	s_and_saveexec_b64 s[4:5], s[14:15]
	s_cbranch_execnz .LBB460_67
.LBB460_44:
	s_or_b64 exec, exec, s[4:5]
                                        ; implicit-def: $vgpr30
	s_and_saveexec_b64 s[4:5], s[16:17]
	s_cbranch_execnz .LBB460_68
.LBB460_45:
	s_or_b64 exec, exec, s[4:5]
                                        ; implicit-def: $vgpr31
	s_and_saveexec_b64 s[4:5], s[18:19]
	s_cbranch_execnz .LBB460_69
.LBB460_46:
	s_or_b64 exec, exec, s[4:5]
                                        ; implicit-def: $vgpr12
	s_and_saveexec_b64 s[4:5], s[20:21]
	s_cbranch_execnz .LBB460_70
.LBB460_47:
	s_or_b64 exec, exec, s[4:5]
                                        ; implicit-def: $vgpr13
	s_and_saveexec_b64 s[4:5], s[22:23]
	s_cbranch_execnz .LBB460_71
.LBB460_48:
	s_or_b64 exec, exec, s[4:5]
                                        ; implicit-def: $vgpr18
	s_and_saveexec_b64 s[4:5], s[24:25]
	s_cbranch_execnz .LBB460_72
.LBB460_49:
	s_or_b64 exec, exec, s[4:5]
                                        ; implicit-def: $vgpr19
	s_and_saveexec_b64 s[4:5], s[26:27]
	s_cbranch_execnz .LBB460_73
.LBB460_50:
	s_or_b64 exec, exec, s[4:5]
                                        ; implicit-def: $vgpr20
	s_and_saveexec_b64 s[4:5], s[28:29]
	s_cbranch_execnz .LBB460_74
.LBB460_51:
	s_or_b64 exec, exec, s[4:5]
                                        ; implicit-def: $vgpr21
	s_and_saveexec_b64 s[4:5], s[30:31]
	s_cbranch_execz .LBB460_53
.LBB460_52:
	v_add_co_u32_e32 v32, vcc, v9, v22
	v_addc_co_u32_e32 v33, vcc, 0, v10, vcc
	flat_load_ushort v21, v[32:33]
.LBB460_53:
	s_or_b64 exec, exec, s[4:5]
	s_waitcnt vmcnt(0) lgkmcnt(0)
	ds_write_b16 v17, v23
	ds_write_b16 v17, v24 offset:512
	ds_write_b16 v17, v25 offset:1024
	;; [unrolled: 1-line block ×14, first 2 shown]
	v_mov_b32_e32 v12, v6
	s_waitcnt lgkmcnt(0)
	s_barrier
.LBB460_54:
	v_lshlrev_b32_e32 v9, 1, v12
	ds_read_u16 v77, v11
	ds_read_u16 v76, v11 offset:2
	ds_read_u16 v74, v11 offset:6
	;; [unrolled: 1-line block ×14, first 2 shown]
	s_cmp_eq_u64 s[40:41], 0
	s_cselect_b64 s[38:39], -1, 0
	s_cmp_lg_u64 s[40:41], 0
	s_mov_b64 s[4:5], 0
	s_cselect_b64 s[30:31], -1, 0
	s_and_b64 vcc, exec, s[48:49]
	s_waitcnt lgkmcnt(0)
	s_barrier
	s_cbranch_vccz .LBB460_60
; %bb.55:
	s_and_b64 vcc, exec, s[30:31]
	s_cbranch_vccz .LBB460_75
; %bb.56:
	v_add_co_u32_e32 v10, vcc, -2, v7
	v_addc_co_u32_e32 v11, vcc, -1, v8, vcc
	flat_load_ushort v10, v[10:11]
	v_lshlrev_b32_e32 v9, 1, v0
	v_lshrrev_b32_e32 v11, 16, v16
	s_mov_b32 s48, 0xcccd
	ds_write_b16 v9, v11
	v_mul_u32_u24_sdwa v12, v16, s48 dst_sel:DWORD dst_unused:UNUSED_PAD src0_sel:WORD_0 src1_sel:DWORD
	v_mul_u32_u24_e32 v11, 0xcccd, v11
	v_lshrrev_b32_e32 v12, 19, v12
	v_lshrrev_b32_e32 v11, 19, v11
	v_cmp_ne_u16_e32 vcc, v12, v11
	v_mul_u32_u24_sdwa v11, v15, s48 dst_sel:DWORD dst_unused:UNUSED_PAD src0_sel:WORD_1 src1_sel:DWORD
	v_lshrrev_b32_e32 v11, 19, v11
	v_cmp_ne_u16_e64 s[4:5], v11, v12
	v_mul_u32_u24_sdwa v12, v15, s48 dst_sel:DWORD dst_unused:UNUSED_PAD src0_sel:WORD_0 src1_sel:DWORD
	v_lshrrev_b32_e32 v12, 19, v12
	v_cmp_ne_u16_e64 s[6:7], v12, v11
	v_mul_u32_u24_sdwa v11, v14, s48 dst_sel:DWORD dst_unused:UNUSED_PAD src0_sel:WORD_1 src1_sel:DWORD
	v_lshrrev_b32_e32 v11, 19, v11
	v_cmp_ne_u16_e64 s[8:9], v11, v12
	v_mul_u32_u24_sdwa v12, v14, s48 dst_sel:DWORD dst_unused:UNUSED_PAD src0_sel:WORD_0 src1_sel:DWORD
	v_lshrrev_b32_e32 v12, 19, v12
	v_cmp_ne_u16_e64 s[10:11], v12, v11
	;; [unrolled: 6-line block ×6, first 2 shown]
	v_mul_u32_u24_sdwa v11, v1, s48 dst_sel:DWORD dst_unused:UNUSED_PAD src0_sel:WORD_0 src1_sel:DWORD
	v_lshrrev_b32_e32 v11, 19, v11
	v_cmp_ne_u16_e64 s[28:29], v11, v12
	s_waitcnt lgkmcnt(0)
	s_barrier
	s_and_saveexec_b64 s[34:35], s[2:3]
	s_cbranch_execz .LBB460_58
; %bb.57:
	v_add_u32_e32 v9, -2, v9
	s_waitcnt vmcnt(0)
	ds_read_u16 v10, v9
.LBB460_58:
	s_or_b64 exec, exec, s[34:35]
	s_waitcnt vmcnt(0) lgkmcnt(0)
	v_mul_u32_u24_sdwa v10, v10, s48 dst_sel:DWORD dst_unused:UNUSED_PAD src0_sel:WORD_0 src1_sel:DWORD
	v_lshrrev_b32_e32 v10, 19, v10
	v_cndmask_b32_e64 v17, 0, 1, vcc
	v_cndmask_b32_e64 v9, 0, 1, s[4:5]
	v_cndmask_b32_e64 v68, 0, 1, s[6:7]
	;; [unrolled: 1-line block ×13, first 2 shown]
	v_cmp_ne_u16_e64 s[8:9], v10, v11
	s_mov_b64 s[4:5], -1
.LBB460_59:
                                        ; implicit-def: $sgpr10
	s_branch .LBB460_79
.LBB460_60:
                                        ; implicit-def: $sgpr8_sgpr9
                                        ; implicit-def: $vgpr17
                                        ; implicit-def: $vgpr9
                                        ; implicit-def: $vgpr68
                                        ; implicit-def: $vgpr19
                                        ; implicit-def: $vgpr18
                                        ; implicit-def: $vgpr21
                                        ; implicit-def: $vgpr20
                                        ; implicit-def: $vgpr23
                                        ; implicit-def: $vgpr22
                                        ; implicit-def: $vgpr27
                                        ; implicit-def: $vgpr26
                                        ; implicit-def: $vgpr29
                                        ; implicit-def: $vgpr28
                                        ; implicit-def: $vgpr31
                                        ; implicit-def: $vgpr25
                                        ; implicit-def: $sgpr10
	s_cbranch_execnz .LBB460_80
	s_branch .LBB460_115
.LBB460_61:
	v_add_co_u32_e32 v24, vcc, v9, v17
	v_addc_co_u32_e32 v25, vcc, 0, v10, vcc
	flat_load_ushort v23, v[24:25]
	s_or_b64 exec, exec, s[34:35]
                                        ; implicit-def: $vgpr24
	s_and_saveexec_b64 s[34:35], s[4:5]
	s_cbranch_execz .LBB460_39
.LBB460_62:
	v_add_co_u32_e32 v24, vcc, v9, v17
	v_addc_co_u32_e32 v25, vcc, 0, v10, vcc
	flat_load_ushort v24, v[24:25] offset:512
	s_or_b64 exec, exec, s[34:35]
                                        ; implicit-def: $vgpr25
	s_and_saveexec_b64 s[4:5], s[6:7]
	s_cbranch_execz .LBB460_40
.LBB460_63:
	v_add_co_u32_e32 v26, vcc, v9, v17
	v_addc_co_u32_e32 v27, vcc, 0, v10, vcc
	flat_load_ushort v25, v[26:27] offset:1024
	s_or_b64 exec, exec, s[4:5]
                                        ; implicit-def: $vgpr26
	s_and_saveexec_b64 s[4:5], s[8:9]
	s_cbranch_execz .LBB460_41
.LBB460_64:
	v_add_co_u32_e32 v26, vcc, v9, v17
	v_addc_co_u32_e32 v27, vcc, 0, v10, vcc
	flat_load_ushort v26, v[26:27] offset:1536
	s_or_b64 exec, exec, s[4:5]
                                        ; implicit-def: $vgpr27
	s_and_saveexec_b64 s[4:5], s[10:11]
	s_cbranch_execz .LBB460_42
.LBB460_65:
	v_add_co_u32_e32 v28, vcc, v9, v17
	v_addc_co_u32_e32 v29, vcc, 0, v10, vcc
	flat_load_ushort v27, v[28:29] offset:2048
	s_or_b64 exec, exec, s[4:5]
                                        ; implicit-def: $vgpr28
	s_and_saveexec_b64 s[4:5], s[12:13]
	s_cbranch_execz .LBB460_43
.LBB460_66:
	v_add_co_u32_e32 v28, vcc, v9, v17
	v_addc_co_u32_e32 v29, vcc, 0, v10, vcc
	flat_load_ushort v28, v[28:29] offset:2560
	s_or_b64 exec, exec, s[4:5]
                                        ; implicit-def: $vgpr29
	s_and_saveexec_b64 s[4:5], s[14:15]
	s_cbranch_execz .LBB460_44
.LBB460_67:
	v_add_co_u32_e32 v30, vcc, v9, v17
	v_addc_co_u32_e32 v31, vcc, 0, v10, vcc
	flat_load_ushort v29, v[30:31] offset:3072
	s_or_b64 exec, exec, s[4:5]
                                        ; implicit-def: $vgpr30
	s_and_saveexec_b64 s[4:5], s[16:17]
	s_cbranch_execz .LBB460_45
.LBB460_68:
	v_add_co_u32_e32 v30, vcc, v9, v17
	v_addc_co_u32_e32 v31, vcc, 0, v10, vcc
	flat_load_ushort v30, v[30:31] offset:3584
	s_or_b64 exec, exec, s[4:5]
                                        ; implicit-def: $vgpr31
	s_and_saveexec_b64 s[4:5], s[18:19]
	s_cbranch_execz .LBB460_46
.LBB460_69:
	v_add_co_u32_e32 v32, vcc, v9, v12
	v_addc_co_u32_e32 v33, vcc, 0, v10, vcc
	flat_load_ushort v31, v[32:33]
	s_or_b64 exec, exec, s[4:5]
                                        ; implicit-def: $vgpr12
	s_and_saveexec_b64 s[4:5], s[20:21]
	s_cbranch_execz .LBB460_47
.LBB460_70:
	v_add_co_u32_e32 v12, vcc, v9, v13
	v_addc_co_u32_e32 v13, vcc, 0, v10, vcc
	flat_load_ushort v12, v[12:13]
	s_or_b64 exec, exec, s[4:5]
                                        ; implicit-def: $vgpr13
	s_and_saveexec_b64 s[4:5], s[22:23]
	s_cbranch_execz .LBB460_48
.LBB460_71:
	v_add_co_u32_e32 v32, vcc, v9, v18
	v_addc_co_u32_e32 v33, vcc, 0, v10, vcc
	flat_load_ushort v13, v[32:33]
	s_or_b64 exec, exec, s[4:5]
                                        ; implicit-def: $vgpr18
	s_and_saveexec_b64 s[4:5], s[24:25]
	s_cbranch_execz .LBB460_49
.LBB460_72:
	v_add_co_u32_e32 v18, vcc, v9, v19
	v_addc_co_u32_e32 v19, vcc, 0, v10, vcc
	flat_load_ushort v18, v[18:19]
	s_or_b64 exec, exec, s[4:5]
                                        ; implicit-def: $vgpr19
	s_and_saveexec_b64 s[4:5], s[26:27]
	s_cbranch_execz .LBB460_50
.LBB460_73:
	v_add_co_u32_e32 v32, vcc, v9, v20
	v_addc_co_u32_e32 v33, vcc, 0, v10, vcc
	flat_load_ushort v19, v[32:33]
	s_or_b64 exec, exec, s[4:5]
                                        ; implicit-def: $vgpr20
	s_and_saveexec_b64 s[4:5], s[28:29]
	s_cbranch_execz .LBB460_51
.LBB460_74:
	v_add_co_u32_e32 v20, vcc, v9, v21
	v_addc_co_u32_e32 v21, vcc, 0, v10, vcc
	flat_load_ushort v20, v[20:21]
	s_or_b64 exec, exec, s[4:5]
                                        ; implicit-def: $vgpr21
	s_and_saveexec_b64 s[4:5], s[30:31]
	s_cbranch_execnz .LBB460_52
	s_branch .LBB460_53
.LBB460_75:
                                        ; implicit-def: $sgpr8_sgpr9
                                        ; implicit-def: $vgpr17
                                        ; implicit-def: $vgpr9
                                        ; implicit-def: $vgpr68
                                        ; implicit-def: $vgpr19
                                        ; implicit-def: $vgpr18
                                        ; implicit-def: $vgpr21
                                        ; implicit-def: $vgpr20
                                        ; implicit-def: $vgpr23
                                        ; implicit-def: $vgpr22
                                        ; implicit-def: $vgpr27
                                        ; implicit-def: $vgpr26
                                        ; implicit-def: $vgpr29
                                        ; implicit-def: $vgpr28
                                        ; implicit-def: $vgpr31
	s_cbranch_execz .LBB460_59
; %bb.76:
	v_lshlrev_b32_e32 v10, 1, v0
	v_lshrrev_b32_e32 v9, 16, v16
	s_mov_b32 s6, 0xcccd
	ds_write_b16 v10, v9
	v_mul_u32_u24_sdwa v11, v16, s6 dst_sel:DWORD dst_unused:UNUSED_PAD src0_sel:WORD_0 src1_sel:DWORD
	v_mul_u32_u24_e32 v9, 0xcccd, v9
	v_lshrrev_b32_e32 v11, 19, v11
	v_lshrrev_b32_e32 v9, 19, v9
	v_cmp_ne_u16_e32 vcc, v11, v9
	v_mul_u32_u24_sdwa v9, v15, s6 dst_sel:DWORD dst_unused:UNUSED_PAD src0_sel:WORD_1 src1_sel:DWORD
	v_lshrrev_b32_e32 v12, 19, v9
	v_cndmask_b32_e64 v17, 0, 1, vcc
	v_cmp_ne_u16_e32 vcc, v12, v11
	v_mul_u32_u24_sdwa v11, v15, s6 dst_sel:DWORD dst_unused:UNUSED_PAD src0_sel:WORD_0 src1_sel:DWORD
	v_lshrrev_b32_e32 v11, 19, v11
	v_cndmask_b32_e64 v9, 0, 1, vcc
	v_cmp_ne_u16_e32 vcc, v11, v12
	v_mul_u32_u24_sdwa v12, v14, s6 dst_sel:DWORD dst_unused:UNUSED_PAD src0_sel:WORD_1 src1_sel:DWORD
	v_lshrrev_b32_e32 v12, 19, v12
	v_cndmask_b32_e64 v68, 0, 1, vcc
	v_cmp_ne_u16_e32 vcc, v12, v11
	v_mul_u32_u24_sdwa v11, v14, s6 dst_sel:DWORD dst_unused:UNUSED_PAD src0_sel:WORD_0 src1_sel:DWORD
	v_lshrrev_b32_e32 v11, 19, v11
	v_cndmask_b32_e64 v19, 0, 1, vcc
	;; [unrolled: 8-line block ×5, first 2 shown]
	v_cmp_ne_u16_e32 vcc, v11, v12
	v_mul_u32_u24_sdwa v12, v2, s6 dst_sel:DWORD dst_unused:UNUSED_PAD src0_sel:WORD_1 src1_sel:DWORD
	v_lshrrev_b32_e32 v12, 19, v12
	v_cndmask_b32_e64 v26, 0, 1, vcc
	v_cmp_ne_u16_e32 vcc, v12, v11
	v_mul_u32_u24_sdwa v11, v2, s6 dst_sel:DWORD dst_unused:UNUSED_PAD src0_sel:WORD_0 src1_sel:DWORD
	v_lshrrev_b32_e32 v13, 19, v11
	v_mul_u32_u24_sdwa v11, v1, s6 dst_sel:DWORD dst_unused:UNUSED_PAD src0_sel:WORD_0 src1_sel:DWORD
	v_cndmask_b32_e64 v29, 0, 1, vcc
	v_cmp_ne_u16_e32 vcc, v13, v12
	v_lshrrev_b32_e32 v11, 19, v11
	v_cndmask_b32_e64 v28, 0, 1, vcc
	v_cmp_ne_u16_e32 vcc, v11, v13
	s_mov_b32 s10, 1
	v_cndmask_b32_e64 v31, 0, 1, vcc
	s_waitcnt lgkmcnt(0)
	s_barrier
	s_waitcnt lgkmcnt(0)
                                        ; implicit-def: $sgpr8_sgpr9
	s_and_saveexec_b64 s[6:7], s[2:3]
	s_xor_b64 s[6:7], exec, s[6:7]
	s_cbranch_execz .LBB460_78
; %bb.77:
	v_add_u32_e32 v10, -2, v10
	ds_read_u16 v10, v10
	s_or_b64 s[4:5], s[4:5], exec
	s_waitcnt lgkmcnt(0)
	v_mul_u32_u24_e32 v10, 0xcccd, v10
	v_lshrrev_b32_e32 v10, 19, v10
	v_cmp_ne_u16_e32 vcc, v10, v11
	s_and_b64 s[8:9], vcc, exec
.LBB460_78:
	s_or_b64 exec, exec, s[6:7]
.LBB460_79:
	v_mov_b32_e32 v25, v9
	s_branch .LBB460_115
.LBB460_80:
	s_mul_hi_u32 s7, s40, 0xfffff100
	s_mul_i32 s6, s41, 0xfffff100
	s_sub_i32 s7, s7, s40
	s_add_i32 s7, s7, s6
	s_mul_i32 s6, s40, 0xfffff100
	s_add_u32 s6, s6, s56
	s_addc_u32 s7, s7, s57
	s_and_b64 vcc, exec, s[30:31]
	v_lshrrev_b32_e32 v10, 16, v16
	v_mad_u32_u24 v24, v0, 15, 14
	s_cbranch_vccz .LBB460_220
; %bb.81:
	v_add_co_u32_e32 v12, vcc, -2, v7
	v_addc_co_u32_e32 v13, vcc, -1, v8, vcc
	flat_load_ushort v11, v[12:13]
	v_mov_b32_e32 v9, 0
	v_mov_b32_e32 v25, v9
	v_lshlrev_b32_e32 v7, 1, v0
	v_cmp_gt_u64_e32 vcc, s[6:7], v[24:25]
	v_mov_b32_e32 v17, 0
	ds_write_b16 v7, v10
	s_and_saveexec_b64 s[4:5], vcc
; %bb.82:
	s_mov_b32 s8, 0xcccd
	v_mul_u32_u24_sdwa v8, v16, s8 dst_sel:DWORD dst_unused:UNUSED_PAD src0_sel:WORD_0 src1_sel:DWORD
	v_mul_u32_u24_sdwa v12, v10, s8 dst_sel:DWORD dst_unused:UNUSED_PAD src0_sel:WORD_0 src1_sel:DWORD
	v_lshrrev_b32_e32 v8, 19, v8
	v_lshrrev_b32_e32 v12, 19, v12
	v_cmp_ne_u16_e32 vcc, v8, v12
	v_cndmask_b32_e64 v17, 0, 1, vcc
; %bb.83:
	s_or_b64 exec, exec, s[4:5]
	v_add_u32_e32 v8, 13, v6
	v_cmp_gt_u64_e32 vcc, s[6:7], v[8:9]
	s_and_saveexec_b64 s[4:5], vcc
; %bb.84:
	s_mov_b32 s8, 0xcccd
	v_mul_u32_u24_sdwa v8, v15, s8 dst_sel:DWORD dst_unused:UNUSED_PAD src0_sel:WORD_1 src1_sel:DWORD
	v_mul_u32_u24_sdwa v9, v16, s8 dst_sel:DWORD dst_unused:UNUSED_PAD src0_sel:WORD_0 src1_sel:DWORD
	v_lshrrev_b32_e32 v8, 19, v8
	v_lshrrev_b32_e32 v9, 19, v9
	v_cmp_ne_u16_e32 vcc, v8, v9
	v_cndmask_b32_e64 v9, 0, 1, vcc
; %bb.85:
	s_or_b64 exec, exec, s[4:5]
	v_add_u32_e32 v18, 12, v6
	v_mov_b32_e32 v19, 0
	v_cmp_gt_u64_e32 vcc, s[6:7], v[18:19]
	v_mov_b32_e32 v68, 0
	s_and_saveexec_b64 s[4:5], vcc
; %bb.86:
	s_mov_b32 s8, 0xcccd
	v_mul_u32_u24_sdwa v8, v15, s8 dst_sel:DWORD dst_unused:UNUSED_PAD src0_sel:WORD_0 src1_sel:DWORD
	v_mul_u32_u24_sdwa v12, v15, s8 dst_sel:DWORD dst_unused:UNUSED_PAD src0_sel:WORD_1 src1_sel:DWORD
	v_lshrrev_b32_e32 v8, 19, v8
	v_lshrrev_b32_e32 v12, 19, v12
	v_cmp_ne_u16_e32 vcc, v8, v12
	v_cndmask_b32_e64 v68, 0, 1, vcc
; %bb.87:
	s_or_b64 exec, exec, s[4:5]
	v_add_u32_e32 v18, 11, v6
	v_cmp_gt_u64_e32 vcc, s[6:7], v[18:19]
	s_and_saveexec_b64 s[4:5], vcc
; %bb.88:
	s_mov_b32 s8, 0xcccd
	v_mul_u32_u24_sdwa v8, v14, s8 dst_sel:DWORD dst_unused:UNUSED_PAD src0_sel:WORD_1 src1_sel:DWORD
	v_mul_u32_u24_sdwa v12, v15, s8 dst_sel:DWORD dst_unused:UNUSED_PAD src0_sel:WORD_0 src1_sel:DWORD
	v_lshrrev_b32_e32 v8, 19, v8
	v_lshrrev_b32_e32 v12, 19, v12
	v_cmp_ne_u16_e32 vcc, v8, v12
	v_cndmask_b32_e64 v19, 0, 1, vcc
; %bb.89:
	s_or_b64 exec, exec, s[4:5]
	v_add_u32_e32 v20, 10, v6
	v_mov_b32_e32 v21, 0
	v_cmp_gt_u64_e32 vcc, s[6:7], v[20:21]
	v_mov_b32_e32 v18, 0
	s_and_saveexec_b64 s[4:5], vcc
; %bb.90:
	s_mov_b32 s8, 0xcccd
	v_mul_u32_u24_sdwa v8, v14, s8 dst_sel:DWORD dst_unused:UNUSED_PAD src0_sel:WORD_0 src1_sel:DWORD
	v_mul_u32_u24_sdwa v12, v14, s8 dst_sel:DWORD dst_unused:UNUSED_PAD src0_sel:WORD_1 src1_sel:DWORD
	;; [unrolled: 28-line block ×6, first 2 shown]
	v_lshrrev_b32_e32 v8, 19, v8
	v_lshrrev_b32_e32 v12, 19, v12
	v_cmp_ne_u16_e32 vcc, v8, v12
	v_cndmask_b32_e64 v28, 0, 1, vcc
; %bb.107:
	s_or_b64 exec, exec, s[4:5]
	v_add_u32_e32 v30, 1, v6
	v_cmp_gt_u64_e32 vcc, s[6:7], v[30:31]
	s_and_saveexec_b64 s[4:5], vcc
; %bb.108:
	s_mov_b32 s8, 0xcccd
	v_mul_u32_u24_sdwa v8, v1, s8 dst_sel:DWORD dst_unused:UNUSED_PAD src0_sel:WORD_0 src1_sel:DWORD
	v_mul_u32_u24_sdwa v12, v2, s8 dst_sel:DWORD dst_unused:UNUSED_PAD src0_sel:WORD_0 src1_sel:DWORD
	v_lshrrev_b32_e32 v8, 19, v8
	v_lshrrev_b32_e32 v12, 19, v12
	v_cmp_ne_u16_e32 vcc, v8, v12
	v_cndmask_b32_e64 v31, 0, 1, vcc
; %bb.109:
	s_or_b64 exec, exec, s[4:5]
	s_waitcnt lgkmcnt(0)
	s_barrier
	s_and_saveexec_b64 s[4:5], s[2:3]
	s_cbranch_execz .LBB460_111
; %bb.110:
	v_add_u32_e32 v7, -2, v7
	s_waitcnt vmcnt(0)
	ds_read_u16 v11, v7
.LBB460_111:
	s_or_b64 exec, exec, s[4:5]
	v_mov_b32_e32 v7, 0
	v_cmp_gt_u64_e32 vcc, s[6:7], v[6:7]
	s_mov_b64 s[10:11], 0
	s_mov_b64 s[8:9], 0
	s_and_saveexec_b64 s[4:5], vcc
	s_cbranch_execz .LBB460_113
; %bb.112:
	s_mov_b32 s8, 0xcccd
	s_waitcnt vmcnt(0) lgkmcnt(0)
	v_mul_u32_u24_sdwa v7, v11, s8 dst_sel:DWORD dst_unused:UNUSED_PAD src0_sel:WORD_0 src1_sel:DWORD
	v_mul_u32_u24_sdwa v8, v1, s8 dst_sel:DWORD dst_unused:UNUSED_PAD src0_sel:WORD_0 src1_sel:DWORD
	v_lshrrev_b32_e32 v7, 19, v7
	v_lshrrev_b32_e32 v8, 19, v8
	v_cmp_ne_u16_e32 vcc, v7, v8
	s_and_b64 s[8:9], vcc, exec
.LBB460_113:
	s_or_b64 exec, exec, s[4:5]
	s_mov_b64 s[4:5], -1
	s_and_b64 vcc, exec, s[10:11]
	s_cbranch_vccnz .LBB460_221
.LBB460_114:
                                        ; implicit-def: $vgpr25
                                        ; implicit-def: $sgpr10
.LBB460_115:
	v_mov_b32_e32 v30, s10
	s_and_saveexec_b64 s[2:3], s[4:5]
.LBB460_116:
	v_cndmask_b32_e64 v30, 0, 1, s[8:9]
	v_mov_b32_e32 v25, v9
.LBB460_117:
	s_or_b64 exec, exec, s[2:3]
	s_cmp_eq_u64 s[46:47], 0
	v_add3_u32 v6, v31, v30, v28
	s_cselect_b64 s[30:31], -1, 0
	s_cmp_lg_u32 s62, 0
	v_cmp_eq_u32_e64 s[26:27], 0, v31
	v_cmp_eq_u32_e64 s[24:25], 0, v28
	;; [unrolled: 1-line block ×3, first 2 shown]
	v_add3_u32 v83, v6, v29, v26
	v_cmp_eq_u32_e64 s[20:21], 0, v26
	v_cmp_eq_u32_e64 s[18:19], 0, v27
	;; [unrolled: 1-line block ×10, first 2 shown]
	v_cmp_eq_u32_e32 vcc, 0, v17
	v_mbcnt_lo_u32_b32 v82, -1, 0
	v_lshrrev_b32_e32 v80, 6, v0
	v_or_b32_e32 v81, 63, v0
	s_cbranch_scc0 .LBB460_144
; %bb.118:
	v_cndmask_b32_e64 v6, 0, v77, s[26:27]
	v_add_u16_e32 v6, v6, v76
	v_cndmask_b32_e64 v6, 0, v6, s[24:25]
	v_add_u16_e32 v6, v6, v78
	;; [unrolled: 2-line block ×11, first 2 shown]
	v_cndmask_b32_e64 v6, 0, v6, s[4:5]
	v_add3_u32 v7, v83, v27, v22
	v_add_u16_e32 v6, v6, v66
	v_add3_u32 v7, v7, v23, v20
	v_cndmask_b32_e64 v6, 0, v6, s[2:3]
	v_add3_u32 v7, v7, v21, v18
	v_add_u16_e32 v6, v6, v64
	v_add3_u32 v7, v7, v19, v68
	v_cndmask_b32_e32 v6, 0, v6, vcc
	v_add3_u32 v7, v7, v25, v17
	v_add_u16_e32 v6, v6, v79
	v_mbcnt_hi_u32_b32 v33, -1, v82
	v_and_b32_e32 v8, 15, v33
	v_mov_b32_dpp v10, v6 row_shr:1 row_mask:0xf bank_mask:0xf
	v_cmp_eq_u32_e32 vcc, 0, v7
	v_mov_b32_dpp v9, v7 row_shr:1 row_mask:0xf bank_mask:0xf
	v_cndmask_b32_e32 v10, 0, v10, vcc
	v_cmp_eq_u32_e32 vcc, 0, v8
	v_add_u16_e32 v10, v10, v6
	v_cndmask_b32_e64 v9, v9, 0, vcc
	v_add_u32_e32 v7, v9, v7
	v_cndmask_b32_e32 v6, v10, v6, vcc
	v_cmp_eq_u32_e32 vcc, 0, v7
	v_mov_b32_dpp v9, v7 row_shr:2 row_mask:0xf bank_mask:0xf
	v_mov_b32_dpp v10, v6 row_shr:2 row_mask:0xf bank_mask:0xf
	v_cndmask_b32_e32 v10, 0, v10, vcc
	v_cmp_lt_u32_e32 vcc, 1, v8
	v_add_u16_e32 v10, v10, v6
	v_cndmask_b32_e32 v9, 0, v9, vcc
	v_cndmask_b32_e32 v6, v6, v10, vcc
	v_add_u32_e32 v7, v7, v9
	v_cmp_eq_u32_e32 vcc, 0, v7
	v_mov_b32_dpp v10, v6 row_shr:4 row_mask:0xf bank_mask:0xf
	v_mov_b32_dpp v9, v7 row_shr:4 row_mask:0xf bank_mask:0xf
	v_cndmask_b32_e32 v10, 0, v10, vcc
	v_cmp_lt_u32_e32 vcc, 3, v8
	v_add_u16_e32 v10, v10, v6
	v_cndmask_b32_e32 v9, 0, v9, vcc
	v_cndmask_b32_e32 v6, v6, v10, vcc
	v_add_u32_e32 v7, v9, v7
	;; [unrolled: 9-line block ×3, first 2 shown]
	v_bfe_i32 v10, v33, 4, 1
	v_mov_b32_dpp v9, v6 row_bcast:15 row_mask:0xf bank_mask:0xf
	v_mov_b32_dpp v8, v7 row_bcast:15 row_mask:0xf bank_mask:0xf
	v_cmp_eq_u32_e32 vcc, 0, v7
	s_waitcnt vmcnt(0) lgkmcnt(0)
	v_and_b32_e32 v11, 16, v33
	v_cndmask_b32_e32 v9, 0, v9, vcc
	v_and_b32_e32 v8, v10, v8
	v_add_u16_e32 v9, v9, v6
	v_add_u32_e32 v7, v8, v7
	v_cmp_eq_u32_e32 vcc, 0, v11
	v_cndmask_b32_e32 v8, v9, v6, vcc
	v_mov_b32_dpp v6, v7 row_bcast:31 row_mask:0xf bank_mask:0xf
	v_cmp_eq_u32_e32 vcc, 0, v7
	v_cmp_lt_u32_e64 s[28:29], 31, v33
	v_mov_b32_dpp v9, v8 row_bcast:31 row_mask:0xf bank_mask:0xf
	v_cndmask_b32_e64 v6, 0, v6, s[28:29]
	s_and_b64 vcc, s[28:29], vcc
	v_add_u32_e32 v6, v6, v7
	v_cndmask_b32_e32 v7, 0, v9, vcc
	v_add_u16_e32 v7, v7, v8
	v_cmp_eq_u32_e32 vcc, v81, v0
	v_lshlrev_b32_e32 v8, 3, v80
	s_and_saveexec_b64 s[28:29], vcc
	s_cbranch_execz .LBB460_120
; %bb.119:
	ds_write_b32 v8, v6 offset:1040
	ds_write_b16 v8, v7 offset:1044
.LBB460_120:
	s_or_b64 exec, exec, s[28:29]
	v_cmp_gt_u32_e32 vcc, 4, v0
	s_waitcnt lgkmcnt(0)
	s_barrier
	s_and_saveexec_b64 s[34:35], vcc
	s_cbranch_execz .LBB460_122
; %bb.121:
	v_lshlrev_b32_e32 v9, 3, v0
	ds_read_b64 v[10:11], v9 offset:1040
	v_and_b32_e32 v12, 3, v33
	s_mov_b32 s28, 0xffff0000
	s_waitcnt lgkmcnt(0)
	v_mov_b32_dpp v24, v11 row_shr:1 row_mask:0xf bank_mask:0xf
	v_cmp_eq_u32_e32 vcc, 0, v10
	v_mov_b32_dpp v13, v10 row_shr:1 row_mask:0xf bank_mask:0xf
	v_cndmask_b32_e32 v24, 0, v24, vcc
	v_cmp_eq_u32_e32 vcc, 0, v12
	v_add_u16_e32 v24, v24, v11
	v_cndmask_b32_e64 v13, v13, 0, vcc
	v_and_or_b32 v32, v11, s28, v24
	v_add_u32_e32 v10, v13, v10
	v_cndmask_b32_e32 v13, v24, v11, vcc
	v_cndmask_b32_e32 v11, v32, v11, vcc
	v_mov_b32_dpp v24, v10 row_shr:2 row_mask:0xf bank_mask:0xf
	v_cmp_eq_u32_e32 vcc, 0, v10
	v_cmp_lt_u32_e64 s[28:29], 1, v12
	v_mov_b32_dpp v11, v11 row_shr:2 row_mask:0xf bank_mask:0xf
	v_cndmask_b32_e64 v12, 0, v24, s[28:29]
	s_and_b64 vcc, s[28:29], vcc
	v_add_u32_e32 v10, v12, v10
	v_cndmask_b32_e32 v11, 0, v11, vcc
	v_add_u16_e32 v11, v13, v11
	ds_write_b32 v9, v10 offset:1040
	ds_write_b16 v9, v11 offset:1044
.LBB460_122:
	s_or_b64 exec, exec, s[34:35]
	v_cmp_gt_u32_e32 vcc, 64, v0
	v_cmp_lt_u32_e64 s[28:29], 63, v0
	v_mov_b32_e32 v24, 0
	v_mov_b32_e32 v36, 0
	s_waitcnt lgkmcnt(0)
	s_barrier
	s_and_saveexec_b64 s[34:35], s[28:29]
	s_cbranch_execz .LBB460_124
; %bb.123:
	ds_read_b32 v24, v8 offset:1032
	ds_read_u16 v36, v8 offset:1036
	v_cmp_eq_u32_e64 s[28:29], 0, v6
	s_waitcnt lgkmcnt(1)
	v_add_u32_e32 v8, v24, v6
	s_waitcnt lgkmcnt(0)
	v_cndmask_b32_e64 v6, 0, v36, s[28:29]
	v_add_u16_e32 v7, v6, v7
	v_mov_b32_e32 v6, v8
.LBB460_124:
	s_or_b64 exec, exec, s[34:35]
	v_add_u32_e32 v8, -1, v33
	v_and_b32_e32 v9, 64, v33
	v_cmp_lt_i32_e64 s[28:29], v8, v9
	v_cndmask_b32_e64 v8, v8, v33, s[28:29]
	v_and_b32_e32 v7, 0xffff, v7
	v_lshlrev_b32_e32 v8, 2, v8
	ds_bpermute_b32 v37, v8, v6
	ds_bpermute_b32 v38, v8, v7
	v_cmp_eq_u32_e64 s[28:29], 0, v33
	s_and_saveexec_b64 s[34:35], vcc
	s_cbranch_execz .LBB460_143
; %bb.125:
	v_mov_b32_e32 v9, 0
	ds_read_b64 v[6:7], v9 offset:1064
	s_waitcnt lgkmcnt(0)
	v_readfirstlane_b32 s48, v7
	s_and_saveexec_b64 s[40:41], s[28:29]
	s_cbranch_execz .LBB460_127
; %bb.126:
	s_add_i32 s46, s62, 64
	s_mov_b32 s47, 0
	s_lshl_b64 s[50:51], s[46:47], 4
	s_add_u32 s50, s44, s50
	s_addc_u32 s51, s45, s51
	s_and_b32 s57, s48, 0xff000000
	s_mov_b32 s56, s47
	s_and_b32 s65, s48, 0xff0000
	s_mov_b32 s64, s47
	s_or_b64 s[56:57], s[64:65], s[56:57]
	s_and_b32 s65, s48, 0xff00
	s_or_b64 s[56:57], s[56:57], s[64:65]
	s_and_b32 s65, s48, 0xff
	s_or_b64 s[46:47], s[56:57], s[64:65]
	v_mov_b32_e32 v7, s47
	v_mov_b32_e32 v8, 1
	v_pk_mov_b32 v[10:11], s[50:51], s[50:51] op_sel:[0,1]
	;;#ASMSTART
	global_store_dwordx4 v[10:11], v[6:9] off	
s_waitcnt vmcnt(0)
	;;#ASMEND
.LBB460_127:
	s_or_b64 exec, exec, s[40:41]
	v_xad_u32 v32, v33, -1, s62
	v_add_u32_e32 v8, 64, v32
	v_lshlrev_b64 v[10:11], 4, v[8:9]
	v_mov_b32_e32 v7, s45
	v_add_co_u32_e32 v34, vcc, s44, v10
	v_addc_co_u32_e32 v35, vcc, v7, v11, vcc
	;;#ASMSTART
	global_load_dwordx4 v[10:13], v[34:35] off glc	
s_waitcnt vmcnt(0)
	;;#ASMEND
	v_and_b32_e32 v7, 0xffffff, v10
	v_and_b32_e32 v8, 0xff000000, v10
	v_or_b32_e32 v7, v7, v8
	v_and_b32_e32 v8, 0xff, v11
	v_and_b32_e32 v10, 0xff00, v11
	v_or3_b32 v11, 0, v8, v10
	v_or3_b32 v10, v7, 0, 0
	v_cmp_eq_u16_sdwa s[46:47], v12, v9 src0_sel:BYTE_0 src1_sel:DWORD
	s_and_saveexec_b64 s[40:41], s[46:47]
	s_cbranch_execz .LBB460_131
; %bb.128:
	s_mov_b64 s[46:47], 0
	v_mov_b32_e32 v7, 0
.LBB460_129:                            ; =>This Inner Loop Header: Depth=1
	;;#ASMSTART
	global_load_dwordx4 v[10:13], v[34:35] off glc	
s_waitcnt vmcnt(0)
	;;#ASMEND
	v_cmp_ne_u16_sdwa s[50:51], v12, v7 src0_sel:BYTE_0 src1_sel:DWORD
	s_or_b64 s[46:47], s[50:51], s[46:47]
	s_andn2_b64 exec, exec, s[46:47]
	s_cbranch_execnz .LBB460_129
; %bb.130:
	s_or_b64 exec, exec, s[46:47]
	v_and_b32_e32 v11, 0xffff, v11
.LBB460_131:
	s_or_b64 exec, exec, s[40:41]
	v_mov_b32_e32 v7, 2
	v_and_b32_e32 v39, 63, v33
	v_cmp_eq_u16_sdwa s[40:41], v12, v7 src0_sel:BYTE_0 src1_sel:DWORD
	v_lshlrev_b64 v[8:9], v33, -1
	v_cmp_ne_u32_e32 vcc, 63, v39
	v_and_b32_e32 v13, s41, v9
	v_addc_co_u32_e32 v35, vcc, 0, v33, vcc
	v_or_b32_e32 v13, 0x80000000, v13
	v_lshlrev_b32_e32 v40, 2, v35
	v_and_b32_e32 v34, s40, v8
	v_ffbl_b32_e32 v13, v13
	ds_bpermute_b32 v35, v40, v11
	v_add_u32_e32 v13, 32, v13
	v_ffbl_b32_e32 v34, v34
	v_min_u32_e32 v13, v34, v13
	ds_bpermute_b32 v34, v40, v10
	v_cmp_eq_u32_e32 vcc, 0, v10
	s_waitcnt lgkmcnt(1)
	v_cndmask_b32_e32 v35, 0, v35, vcc
	v_add_u16_e32 v35, v35, v11
	v_cmp_lt_u32_e32 vcc, v39, v13
	v_cndmask_b32_e32 v11, v11, v35, vcc
	s_waitcnt lgkmcnt(0)
	v_cndmask_b32_e32 v34, 0, v34, vcc
	v_cmp_gt_u32_e32 vcc, 62, v39
	v_cndmask_b32_e64 v35, 0, 1, vcc
	v_lshlrev_b32_e32 v35, 1, v35
	v_add_lshl_u32 v41, v35, v33, 2
	ds_bpermute_b32 v35, v41, v11
	v_add_u32_e32 v10, v34, v10
	ds_bpermute_b32 v34, v41, v10
	v_cmp_eq_u32_e32 vcc, 0, v10
	v_add_u32_e32 v42, 2, v39
	s_waitcnt lgkmcnt(1)
	v_cndmask_b32_e32 v35, 0, v35, vcc
	v_add_u16_e32 v35, v35, v11
	v_cmp_gt_u32_e32 vcc, v42, v13
	v_cndmask_b32_e32 v11, v35, v11, vcc
	s_waitcnt lgkmcnt(0)
	v_cndmask_b32_e64 v34, v34, 0, vcc
	v_cmp_gt_u32_e32 vcc, 60, v39
	v_cndmask_b32_e64 v35, 0, 1, vcc
	v_lshlrev_b32_e32 v35, 2, v35
	v_add_lshl_u32 v43, v35, v33, 2
	ds_bpermute_b32 v35, v43, v11
	v_add_u32_e32 v10, v10, v34
	ds_bpermute_b32 v34, v43, v10
	v_cmp_eq_u32_e32 vcc, 0, v10
	v_add_u32_e32 v44, 4, v39
	s_waitcnt lgkmcnt(1)
	v_cndmask_b32_e32 v35, 0, v35, vcc
	v_add_u16_e32 v35, v11, v35
	v_cmp_gt_u32_e32 vcc, v44, v13
	v_cndmask_b32_e32 v11, v35, v11, vcc
	s_waitcnt lgkmcnt(0)
	v_cndmask_b32_e64 v34, v34, 0, vcc
	;; [unrolled: 16-line block ×4, first 2 shown]
	v_cmp_gt_u32_e32 vcc, 32, v39
	v_cndmask_b32_e64 v35, 0, 1, vcc
	v_lshlrev_b32_e32 v35, 5, v35
	v_add_lshl_u32 v51, v35, v33, 2
	ds_bpermute_b32 v33, v51, v11
	v_add_u32_e32 v10, v10, v34
	ds_bpermute_b32 v34, v51, v10
	v_add_u32_e32 v52, 32, v39
	v_cmp_eq_u32_e32 vcc, 0, v10
	s_waitcnt lgkmcnt(1)
	v_cndmask_b32_e32 v33, 0, v33, vcc
	v_cmp_gt_u32_e32 vcc, v52, v13
	v_cndmask_b32_e64 v13, v33, 0, vcc
	v_add_u16_e32 v11, v11, v13
	s_waitcnt lgkmcnt(0)
	v_cndmask_b32_e64 v13, v34, 0, vcc
	v_add_u32_e32 v10, v13, v10
	v_mov_b32_e32 v33, 0
	s_branch .LBB460_133
.LBB460_132:                            ;   in Loop: Header=BB460_133 Depth=1
	s_or_b64 exec, exec, s[40:41]
	v_cmp_eq_u16_sdwa s[40:41], v12, v7 src0_sel:BYTE_0 src1_sel:DWORD
	ds_bpermute_b32 v35, v40, v11
	v_and_b32_e32 v13, s41, v9
	v_or_b32_e32 v13, 0x80000000, v13
	v_and_b32_e32 v34, s40, v8
	v_ffbl_b32_e32 v13, v13
	v_add_u32_e32 v13, 32, v13
	v_ffbl_b32_e32 v34, v34
	v_cmp_eq_u32_e32 vcc, 0, v10
	v_min_u32_e32 v13, v34, v13
	ds_bpermute_b32 v34, v40, v10
	s_waitcnt lgkmcnt(1)
	v_cndmask_b32_e32 v35, 0, v35, vcc
	v_add_u16_e32 v35, v35, v11
	v_cmp_lt_u32_e32 vcc, v39, v13
	v_cndmask_b32_e32 v11, v11, v35, vcc
	ds_bpermute_b32 v35, v41, v11
	s_waitcnt lgkmcnt(1)
	v_cndmask_b32_e32 v34, 0, v34, vcc
	v_add_u32_e32 v10, v34, v10
	v_cmp_eq_u32_e32 vcc, 0, v10
	ds_bpermute_b32 v34, v41, v10
	s_waitcnt lgkmcnt(1)
	v_cndmask_b32_e32 v35, 0, v35, vcc
	v_add_u16_e32 v35, v35, v11
	v_cmp_gt_u32_e32 vcc, v42, v13
	v_cndmask_b32_e32 v11, v35, v11, vcc
	ds_bpermute_b32 v35, v43, v11
	s_waitcnt lgkmcnt(1)
	v_cndmask_b32_e64 v34, v34, 0, vcc
	v_add_u32_e32 v10, v10, v34
	v_cmp_eq_u32_e32 vcc, 0, v10
	ds_bpermute_b32 v34, v43, v10
	s_waitcnt lgkmcnt(1)
	v_cndmask_b32_e32 v35, 0, v35, vcc
	v_add_u16_e32 v35, v11, v35
	v_cmp_gt_u32_e32 vcc, v44, v13
	v_cndmask_b32_e32 v11, v35, v11, vcc
	ds_bpermute_b32 v35, v45, v11
	s_waitcnt lgkmcnt(1)
	v_cndmask_b32_e64 v34, v34, 0, vcc
	v_add_u32_e32 v10, v10, v34
	ds_bpermute_b32 v34, v45, v10
	v_cmp_eq_u32_e32 vcc, 0, v10
	s_waitcnt lgkmcnt(1)
	v_cndmask_b32_e32 v35, 0, v35, vcc
	v_add_u16_e32 v35, v11, v35
	v_cmp_gt_u32_e32 vcc, v46, v13
	v_cndmask_b32_e32 v11, v35, v11, vcc
	ds_bpermute_b32 v35, v48, v11
	s_waitcnt lgkmcnt(1)
	v_cndmask_b32_e64 v34, v34, 0, vcc
	v_add_u32_e32 v10, v10, v34
	ds_bpermute_b32 v34, v48, v10
	v_cmp_eq_u32_e32 vcc, 0, v10
	;; [unrolled: 11-line block ×3, first 2 shown]
	s_waitcnt lgkmcnt(1)
	v_cndmask_b32_e32 v35, 0, v35, vcc
	v_cmp_gt_u32_e32 vcc, v52, v13
	v_cndmask_b32_e64 v13, v35, 0, vcc
	v_add_u16_e32 v11, v11, v13
	s_waitcnt lgkmcnt(0)
	v_cndmask_b32_e64 v13, v34, 0, vcc
	v_cmp_eq_u32_e32 vcc, 0, v49
	v_cndmask_b32_e32 v11, 0, v11, vcc
	v_subrev_u32_e32 v32, 64, v32
	v_add3_u32 v10, v10, v49, v13
	v_add_u16_e32 v11, v11, v47
.LBB460_133:                            ; =>This Loop Header: Depth=1
                                        ;     Child Loop BB460_136 Depth 2
	v_cmp_ne_u16_sdwa s[40:41], v12, v7 src0_sel:BYTE_0 src1_sel:DWORD
	v_mov_b32_e32 v47, v11
	v_cndmask_b32_e64 v11, 0, 1, s[40:41]
	;;#ASMSTART
	;;#ASMEND
	v_cmp_ne_u32_e32 vcc, 0, v11
	s_cmp_lg_u64 vcc, exec
	v_mov_b32_e32 v49, v10
	s_cbranch_scc1 .LBB460_138
; %bb.134:                              ;   in Loop: Header=BB460_133 Depth=1
	v_lshlrev_b64 v[10:11], 4, v[32:33]
	v_mov_b32_e32 v12, s45
	v_add_co_u32_e32 v34, vcc, s44, v10
	v_addc_co_u32_e32 v35, vcc, v12, v11, vcc
	;;#ASMSTART
	global_load_dwordx4 v[10:13], v[34:35] off glc	
s_waitcnt vmcnt(0)
	;;#ASMEND
	v_and_b32_e32 v13, 0xffffff, v10
	v_and_b32_e32 v10, 0xff000000, v10
	v_or_b32_e32 v10, v13, v10
	v_and_b32_e32 v13, 0xff, v11
	v_and_b32_e32 v11, 0xff00, v11
	v_or3_b32 v11, 0, v13, v11
	v_or3_b32 v10, v10, 0, 0
	v_cmp_eq_u16_sdwa s[46:47], v12, v33 src0_sel:BYTE_0 src1_sel:DWORD
	s_and_saveexec_b64 s[40:41], s[46:47]
	s_cbranch_execz .LBB460_132
; %bb.135:                              ;   in Loop: Header=BB460_133 Depth=1
	s_mov_b64 s[46:47], 0
.LBB460_136:                            ;   Parent Loop BB460_133 Depth=1
                                        ; =>  This Inner Loop Header: Depth=2
	;;#ASMSTART
	global_load_dwordx4 v[10:13], v[34:35] off glc	
s_waitcnt vmcnt(0)
	;;#ASMEND
	v_cmp_ne_u16_sdwa s[50:51], v12, v33 src0_sel:BYTE_0 src1_sel:DWORD
	s_or_b64 s[46:47], s[50:51], s[46:47]
	s_andn2_b64 exec, exec, s[46:47]
	s_cbranch_execnz .LBB460_136
; %bb.137:                              ;   in Loop: Header=BB460_133 Depth=1
	s_or_b64 exec, exec, s[46:47]
	v_and_b32_e32 v11, 0xffff, v11
	s_branch .LBB460_132
.LBB460_138:                            ;   in Loop: Header=BB460_133 Depth=1
                                        ; implicit-def: $vgpr11
                                        ; implicit-def: $vgpr10
                                        ; implicit-def: $vgpr12
	s_cbranch_execz .LBB460_133
; %bb.139:
	s_and_saveexec_b64 s[40:41], s[28:29]
	s_cbranch_execz .LBB460_141
; %bb.140:
	s_mov_b32 s47, 0
	v_cmp_eq_u32_e32 vcc, 0, v6
	s_add_i32 s46, s62, 64
	v_cndmask_b32_e32 v7, 0, v47, vcc
	s_lshl_b64 s[46:47], s[46:47], 4
	v_add_u16_e32 v7, s48, v7
	s_add_u32 s46, s44, s46
	s_addc_u32 s47, s45, s47
	v_and_b32_e32 v9, 0xff00, v7
	v_add_u32_e32 v8, v49, v6
	v_mov_b32_e32 v11, 0
	v_or_b32_sdwa v9, v9, v7 dst_sel:DWORD dst_unused:UNUSED_PAD src0_sel:DWORD src1_sel:BYTE_0
	v_mov_b32_e32 v10, 2
	v_pk_mov_b32 v[12:13], s[46:47], s[46:47] op_sel:[0,1]
	;;#ASMSTART
	global_store_dwordx4 v[12:13], v[8:11] off	
s_waitcnt vmcnt(0)
	;;#ASMEND
	v_mov_b32_e32 v7, s48
	s_movk_i32 s46, 0x400
	ds_write_b16 v11, v7 offset:1028
	v_add_u32_e64 v7, s46, 0
	ds_write2_b32 v7, v6, v49 offset1:2
	ds_write_b16 v11, v47 offset:1036
.LBB460_141:
	s_or_b64 exec, exec, s[40:41]
	s_and_b64 exec, exec, s[0:1]
	s_cbranch_execz .LBB460_143
; %bb.142:
	v_mov_b32_e32 v6, 0
	ds_write_b32 v6, v49 offset:1064
	ds_write_b16 v6, v47 offset:1068
.LBB460_143:
	s_or_b64 exec, exec, s[34:35]
	v_mov_b32_e32 v8, 0
	s_waitcnt lgkmcnt(0)
	s_barrier
	ds_read_b64 v[6:7], v8 offset:1064
	v_cndmask_b32_e64 v10, v37, v24, s[28:29]
	v_cmp_eq_u32_e32 vcc, 0, v10
	v_cndmask_b32_e64 v9, v38, v36, s[28:29]
	s_waitcnt lgkmcnt(0)
	v_cndmask_b32_e32 v11, 0, v7, vcc
	v_add_u16_e32 v9, v11, v9
	v_cndmask_b32_e64 v7, v9, v7, s[0:1]
	v_cndmask_b32_e64 v9, v10, 0, s[0:1]
	v_cmp_eq_u32_e32 vcc, 0, v30
	v_add_u32_e32 v62, v6, v9
	v_cndmask_b32_e32 v6, 0, v7, vcc
	v_add_u16_e32 v61, v6, v77
	v_cndmask_b32_e64 v6, 0, v61, s[26:27]
	v_add_u16_e32 v59, v6, v76
	v_cndmask_b32_e64 v6, 0, v59, s[24:25]
	;; [unrolled: 2-line block ×8, first 2 shown]
	v_add_u32_e32 v60, v62, v30
	v_add_u16_e32 v45, v6, v71
	v_add_u32_e32 v58, v60, v31
	v_cndmask_b32_e64 v6, 0, v45, s[10:11]
	v_add_u32_e32 v56, v58, v28
	v_add_u16_e32 v43, v6, v67
	v_add_u32_e32 v54, v56, v29
	v_cndmask_b32_e64 v6, 0, v43, s[8:9]
	;; [unrolled: 4-line block ×3, first 2 shown]
	v_and_b32_e32 v63, 0xffff, v7
	v_add_u32_e32 v48, v50, v22
	v_add_u16_e32 v39, v6, v65
	s_barrier
	ds_read_b128 v[6:9], v8 offset:1024
	v_add_u32_e32 v46, v48, v23
	v_add_u32_e32 v44, v46, v20
	;; [unrolled: 1-line block ×4, first 2 shown]
	v_cndmask_b32_e64 v10, 0, v39, s[4:5]
	v_add_u32_e32 v38, v40, v19
	v_add_u16_e32 v37, v10, v66
	s_waitcnt lgkmcnt(0)
	v_cmp_eq_u32_e32 vcc, 0, v6
	v_add_u32_e32 v36, v38, v68
	v_cndmask_b32_e64 v10, 0, v37, s[2:3]
	v_cndmask_b32_e32 v9, 0, v9, vcc
	v_add_u32_e32 v34, v36, v25
	v_add_u16_e32 v35, v10, v64
	v_add_u32_e32 v24, v9, v7
	s_branch .LBB460_156
.LBB460_144:
                                        ; implicit-def: $vgpr6
                                        ; implicit-def: $vgpr24
                                        ; implicit-def: $vgpr62_vgpr63
                                        ; implicit-def: $vgpr60_vgpr61
                                        ; implicit-def: $vgpr58_vgpr59
                                        ; implicit-def: $vgpr56_vgpr57
                                        ; implicit-def: $vgpr54_vgpr55
                                        ; implicit-def: $vgpr52_vgpr53
                                        ; implicit-def: $vgpr50_vgpr51
                                        ; implicit-def: $vgpr48_vgpr49
                                        ; implicit-def: $vgpr46_vgpr47
                                        ; implicit-def: $vgpr44_vgpr45
                                        ; implicit-def: $vgpr42_vgpr43
                                        ; implicit-def: $vgpr40_vgpr41
                                        ; implicit-def: $vgpr38_vgpr39
                                        ; implicit-def: $vgpr36_vgpr37
                                        ; implicit-def: $vgpr34_vgpr35
	s_cbranch_execz .LBB460_156
; %bb.145:
	s_and_b64 s[2:3], s[30:31], exec
	s_cselect_b32 s3, 0, s61
	s_cselect_b32 s2, 0, s60
	s_cmp_eq_u64 s[2:3], 0
	v_mov_b32_e32 v7, v77
	s_cbranch_scc1 .LBB460_147
; %bb.146:
	v_mov_b32_e32 v6, 0
	global_load_ushort v7, v6, s[2:3]
.LBB460_147:
	v_cmp_eq_u32_e64 s[2:3], 0, v31
	v_cndmask_b32_e64 v6, 0, v77, s[2:3]
	v_add_u16_e32 v6, v6, v76
	v_cmp_eq_u32_e64 s[4:5], 0, v28
	v_cndmask_b32_e64 v6, 0, v6, s[4:5]
	v_add_u16_e32 v6, v6, v78
	;; [unrolled: 3-line block ×11, first 2 shown]
	v_cmp_eq_u32_e64 s[24:25], 0, v68
	v_cndmask_b32_e64 v6, 0, v6, s[24:25]
	v_add3_u32 v8, v83, v27, v22
	v_add_u16_e32 v6, v6, v66
	v_cmp_eq_u32_e32 vcc, 0, v25
	v_add3_u32 v8, v8, v23, v20
	v_cndmask_b32_e32 v6, 0, v6, vcc
	v_add3_u32 v8, v8, v21, v18
	v_add_u16_e32 v6, v6, v64
	v_cmp_eq_u32_e64 s[26:27], 0, v17
	v_add3_u32 v8, v8, v19, v68
	v_cndmask_b32_e64 v6, 0, v6, s[26:27]
	v_add3_u32 v8, v8, v25, v17
	v_add_u16_e32 v9, v6, v79
	v_mbcnt_hi_u32_b32 v6, -1, v82
	v_and_b32_e32 v10, 15, v6
	v_mov_b32_dpp v12, v9 row_shr:1 row_mask:0xf bank_mask:0xf
	v_cmp_eq_u32_e64 s[26:27], 0, v8
	s_waitcnt vmcnt(0) lgkmcnt(0)
	v_mov_b32_dpp v11, v8 row_shr:1 row_mask:0xf bank_mask:0xf
	v_cndmask_b32_e64 v12, 0, v12, s[26:27]
	v_cmp_eq_u32_e64 s[26:27], 0, v10
	v_add_u16_e32 v12, v12, v9
	v_cndmask_b32_e64 v11, v11, 0, s[26:27]
	v_add_u32_e32 v8, v11, v8
	v_cndmask_b32_e64 v9, v12, v9, s[26:27]
	v_cmp_eq_u32_e64 s[26:27], 0, v8
	v_mov_b32_dpp v11, v8 row_shr:2 row_mask:0xf bank_mask:0xf
	v_mov_b32_dpp v12, v9 row_shr:2 row_mask:0xf bank_mask:0xf
	v_cndmask_b32_e64 v12, 0, v12, s[26:27]
	v_cmp_lt_u32_e64 s[26:27], 1, v10
	v_add_u16_e32 v12, v12, v9
	v_cndmask_b32_e64 v11, 0, v11, s[26:27]
	v_cndmask_b32_e64 v9, v9, v12, s[26:27]
	v_add_u32_e32 v8, v8, v11
	v_cmp_eq_u32_e64 s[26:27], 0, v8
	v_mov_b32_dpp v12, v9 row_shr:4 row_mask:0xf bank_mask:0xf
	v_mov_b32_dpp v11, v8 row_shr:4 row_mask:0xf bank_mask:0xf
	v_cndmask_b32_e64 v12, 0, v12, s[26:27]
	v_cmp_lt_u32_e64 s[26:27], 3, v10
	v_add_u16_e32 v12, v12, v9
	v_cndmask_b32_e64 v11, 0, v11, s[26:27]
	v_cndmask_b32_e64 v9, v9, v12, s[26:27]
	v_add_u32_e32 v8, v11, v8
	;; [unrolled: 9-line block ×3, first 2 shown]
	v_bfe_i32 v12, v6, 4, 1
	v_mov_b32_dpp v11, v9 row_bcast:15 row_mask:0xf bank_mask:0xf
	v_mov_b32_dpp v10, v8 row_bcast:15 row_mask:0xf bank_mask:0xf
	v_cmp_eq_u32_e64 s[26:27], 0, v8
	v_and_b32_e32 v13, 16, v6
	v_cndmask_b32_e64 v11, 0, v11, s[26:27]
	v_and_b32_e32 v10, v12, v10
	v_add_u16_e32 v11, v11, v9
	v_add_u32_e32 v8, v10, v8
	v_cmp_eq_u32_e64 s[26:27], 0, v13
	v_cndmask_b32_e64 v9, v11, v9, s[26:27]
	v_mov_b32_dpp v10, v8 row_bcast:31 row_mask:0xf bank_mask:0xf
	v_cmp_eq_u32_e64 s[26:27], 0, v8
	v_cmp_lt_u32_e64 s[28:29], 31, v6
	v_mov_b32_dpp v11, v9 row_bcast:31 row_mask:0xf bank_mask:0xf
	v_cndmask_b32_e64 v10, 0, v10, s[28:29]
	s_and_b64 s[26:27], s[28:29], s[26:27]
	v_add_u32_e32 v8, v10, v8
	v_cndmask_b32_e64 v10, 0, v11, s[26:27]
	v_add_u16_e32 v9, v10, v9
	v_cmp_eq_u32_e64 s[26:27], v81, v0
	v_lshlrev_b32_e32 v11, 3, v80
	s_and_saveexec_b64 s[28:29], s[26:27]
	s_cbranch_execz .LBB460_149
; %bb.148:
	ds_write_b32 v11, v8 offset:1040
	ds_write_b16 v11, v9 offset:1044
.LBB460_149:
	s_or_b64 exec, exec, s[28:29]
	v_cmp_gt_u32_e64 s[26:27], 4, v0
	s_waitcnt lgkmcnt(0)
	s_barrier
	s_and_saveexec_b64 s[34:35], s[26:27]
	s_cbranch_execz .LBB460_151
; %bb.150:
	v_lshlrev_b32_e32 v10, 3, v0
	ds_read_b64 v[12:13], v10 offset:1040
	v_and_b32_e32 v24, 3, v6
	s_mov_b32 s28, 0xffff0000
	s_waitcnt lgkmcnt(0)
	v_mov_b32_dpp v33, v13 row_shr:1 row_mask:0xf bank_mask:0xf
	v_cmp_eq_u32_e64 s[26:27], 0, v12
	v_mov_b32_dpp v32, v12 row_shr:1 row_mask:0xf bank_mask:0xf
	v_cndmask_b32_e64 v33, 0, v33, s[26:27]
	v_cmp_eq_u32_e64 s[26:27], 0, v24
	v_add_u16_e32 v33, v33, v13
	v_cndmask_b32_e64 v32, v32, 0, s[26:27]
	v_and_or_b32 v34, v13, s28, v33
	v_add_u32_e32 v12, v32, v12
	v_cndmask_b32_e64 v32, v33, v13, s[26:27]
	v_cndmask_b32_e64 v13, v34, v13, s[26:27]
	v_mov_b32_dpp v33, v12 row_shr:2 row_mask:0xf bank_mask:0xf
	v_cmp_eq_u32_e64 s[26:27], 0, v12
	v_cmp_lt_u32_e64 s[28:29], 1, v24
	v_mov_b32_dpp v13, v13 row_shr:2 row_mask:0xf bank_mask:0xf
	v_cndmask_b32_e64 v24, 0, v33, s[28:29]
	s_and_b64 s[26:27], s[28:29], s[26:27]
	v_add_u32_e32 v12, v24, v12
	v_cndmask_b32_e64 v13, 0, v13, s[26:27]
	v_add_u16_e32 v13, v32, v13
	ds_write_b32 v10, v12 offset:1040
	ds_write_b16 v10, v13 offset:1044
.LBB460_151:
	s_or_b64 exec, exec, s[34:35]
	v_cmp_lt_u32_e64 s[26:27], 63, v0
	v_mov_b32_e32 v10, 0
	v_mov_b32_e32 v12, 0
	;; [unrolled: 1-line block ×3, first 2 shown]
	s_waitcnt lgkmcnt(0)
	s_barrier
	s_and_saveexec_b64 s[28:29], s[26:27]
	s_cbranch_execz .LBB460_153
; %bb.152:
	ds_read_b32 v12, v11 offset:1032
	ds_read_u16 v11, v11 offset:1036
	s_waitcnt lgkmcnt(1)
	v_cmp_eq_u32_e64 s[26:27], 0, v12
	v_cndmask_b32_e64 v13, 0, v7, s[26:27]
	s_waitcnt lgkmcnt(0)
	v_add_u16_e32 v13, v13, v11
.LBB460_153:
	s_or_b64 exec, exec, s[28:29]
	v_cmp_eq_u32_e64 s[26:27], 0, v8
	v_add_u32_e32 v11, v12, v8
	v_cndmask_b32_e64 v8, 0, v13, s[26:27]
	v_add_u16_e32 v8, v8, v9
	v_add_u32_e32 v9, -1, v6
	v_and_b32_e32 v24, 64, v6
	v_cmp_lt_i32_e64 s[26:27], v9, v24
	v_cndmask_b32_e64 v9, v9, v6, s[26:27]
	v_lshlrev_b32_e32 v9, 2, v9
	ds_bpermute_b32 v8, v9, v8
	ds_bpermute_b32 v11, v9, v11
	v_cmp_eq_u32_e64 s[26:27], 0, v6
	s_waitcnt lgkmcnt(1)
	v_cndmask_b32_e64 v8, v8, v13, s[26:27]
	s_waitcnt lgkmcnt(0)
	v_cndmask_b32_e64 v6, v11, v12, s[26:27]
	v_cndmask_b32_e64 v8, v8, v7, s[0:1]
	v_cmp_eq_u32_e64 s[26:27], 0, v30
	v_cndmask_b32_e64 v62, v6, 0, s[0:1]
	v_cndmask_b32_e64 v6, 0, v8, s[26:27]
	v_add_u16_e32 v61, v6, v77
	v_cndmask_b32_e64 v6, 0, v61, s[2:3]
	v_add_u16_e32 v59, v6, v76
	;; [unrolled: 2-line block ×9, first 2 shown]
	v_cndmask_b32_e64 v6, 0, v45, s[18:19]
	v_add_u32_e32 v60, v62, v30
	v_add_u16_e32 v43, v6, v67
	v_add_u32_e32 v58, v60, v31
	v_cndmask_b32_e64 v6, 0, v43, s[20:21]
	v_add_u32_e32 v56, v58, v28
	v_add_u16_e32 v41, v6, v69
	v_add_u32_e32 v54, v56, v29
	;; [unrolled: 4-line block ×3, first 2 shown]
	v_cndmask_b32_e64 v6, 0, v39, s[24:25]
	v_add_u32_e32 v48, v50, v22
	v_add_u16_e32 v37, v6, v66
	ds_read_b32 v6, v10 offset:1064
	v_add_u32_e32 v46, v48, v23
	v_and_b32_e32 v63, 0xffff, v8
	ds_read_u16 v8, v10 offset:1068
	v_add_u32_e32 v44, v46, v20
	v_add_u32_e32 v42, v44, v21
	;; [unrolled: 1-line block ×4, first 2 shown]
	v_cndmask_b32_e32 v9, 0, v37, vcc
	s_waitcnt lgkmcnt(1)
	v_cmp_eq_u32_e32 vcc, 0, v6
	v_add_u32_e32 v36, v38, v68
	v_cndmask_b32_e32 v7, 0, v7, vcc
	v_add_u32_e32 v34, v36, v25
	v_add_u16_e32 v35, v9, v64
	s_waitcnt lgkmcnt(0)
	v_add_u16_e32 v24, v7, v8
	s_and_saveexec_b64 s[2:3], s[0:1]
	s_cbranch_execz .LBB460_155
; %bb.154:
	s_add_u32 s4, s44, 0x400
	s_addc_u32 s5, s45, 0
	v_and_b32_e32 v7, 0xff00, v24
	v_mov_b32_e32 v9, 0
	v_or_b32_sdwa v7, v7, v24 dst_sel:DWORD dst_unused:UNUSED_PAD src0_sel:DWORD src1_sel:BYTE_0
	v_mov_b32_e32 v8, 2
	v_pk_mov_b32 v[10:11], s[4:5], s[4:5] op_sel:[0,1]
	;;#ASMSTART
	global_store_dwordx4 v[10:11], v[6:9] off	
s_waitcnt vmcnt(0)
	;;#ASMEND
.LBB460_155:
	s_or_b64 exec, exec, s[2:3]
	v_mov_b32_e32 v8, 0
.LBB460_156:
	s_and_b64 s[2:3], s[30:31], exec
	s_cselect_b32 s3, 0, s59
	s_cselect_b32 s2, 0, s58
	s_cmp_eq_u64 s[2:3], 0
	v_pk_mov_b32 v[32:33], 0, 0
	s_waitcnt lgkmcnt(0)
	s_barrier
	s_cbranch_scc1 .LBB460_158
; %bb.157:
	v_mov_b32_e32 v7, 0
	global_load_dwordx2 v[32:33], v7, s[2:3]
.LBB460_158:
	s_waitcnt vmcnt(0)
	v_lshlrev_b64 v[64:65], 1, v[32:33]
	v_mov_b32_e32 v7, s43
	v_add_co_u32_e32 v10, vcc, s42, v64
	v_mov_b32_e32 v9, 0
	v_addc_co_u32_e32 v11, vcc, v7, v65, vcc
	v_lshlrev_b64 v[66:67], 1, v[8:9]
	v_add_co_u32_e32 v7, vcc, v10, v66
	v_addc_co_u32_e32 v9, vcc, v11, v67, vcc
	v_cmp_eq_u32_e32 vcc, 0, v30
	v_cndmask_b32_e64 v10, 1, 2, vcc
	v_cmp_eq_u32_e32 vcc, 0, v31
	v_cndmask_b32_e64 v11, 1, 2, vcc
	v_cmp_eq_u32_e32 vcc, 0, v28
	v_and_b32_e32 v10, v11, v10
	v_cndmask_b32_e64 v11, 1, 2, vcc
	v_cmp_eq_u32_e32 vcc, 0, v29
	v_and_b32_e32 v10, v10, v11
	v_cndmask_b32_e64 v11, 1, 2, vcc
	v_cmp_eq_u32_e32 vcc, 0, v26
	v_and_b32_e32 v10, v10, v11
	v_cndmask_b32_e64 v11, 1, 2, vcc
	v_cmp_eq_u32_e32 vcc, 0, v27
	v_and_b32_e32 v10, v10, v11
	v_cndmask_b32_e64 v11, 1, 2, vcc
	v_cmp_eq_u32_e32 vcc, 0, v22
	v_and_b32_e32 v10, v10, v11
	v_cndmask_b32_e64 v11, 1, 2, vcc
	v_cmp_eq_u32_e32 vcc, 0, v23
	v_and_b32_e32 v10, v10, v11
	v_cndmask_b32_e64 v11, 1, 2, vcc
	v_cmp_eq_u32_e32 vcc, 0, v20
	v_and_b32_e32 v10, v10, v11
	v_cndmask_b32_e64 v11, 1, 2, vcc
	v_cmp_eq_u32_e32 vcc, 0, v21
	v_and_b32_e32 v10, v10, v11
	v_cndmask_b32_e64 v11, 1, 2, vcc
	v_cmp_eq_u32_e32 vcc, 0, v18
	v_and_b32_e32 v10, v10, v11
	v_cndmask_b32_e64 v11, 1, 2, vcc
	v_cmp_eq_u32_e32 vcc, 0, v19
	v_and_b32_e32 v10, v10, v11
	v_cndmask_b32_e64 v11, 1, 2, vcc
	v_cmp_eq_u32_e32 vcc, 0, v68
	v_and_b32_e32 v10, v10, v11
	v_cndmask_b32_e64 v11, 1, 2, vcc
	v_cmp_eq_u32_e32 vcc, 0, v25
	v_and_b32_e32 v10, v10, v11
	v_cndmask_b32_e64 v11, 1, 2, vcc
	v_cmp_eq_u32_e32 vcc, 0, v17
	v_and_b32_e32 v10, v10, v11
	v_cndmask_b32_e64 v11, 1, 2, vcc
	s_movk_i32 s34, 0x100
	v_and_b32_e32 v10, v10, v11
	v_cmp_gt_u32_e32 vcc, s34, v6
	v_cmp_ne_u32_e64 s[30:31], 0, v30
	v_cmp_ne_u32_e64 s[28:29], 0, v31
	;; [unrolled: 1-line block ×15, first 2 shown]
	s_mov_b64 s[40:41], -1
	v_cmp_gt_i16_e64 s[34:35], 2, v10
	s_cbranch_vccz .LBB460_165
; %bb.159:
	s_and_saveexec_b64 s[40:41], s[34:35]
	s_cbranch_execz .LBB460_164
; %bb.160:
	v_cmp_ne_u16_e32 vcc, 1, v10
	s_mov_b64 s[42:43], 0
	s_and_saveexec_b64 s[34:35], vcc
	s_xor_b64 s[34:35], exec, s[34:35]
	s_cbranch_execnz .LBB460_254
; %bb.161:
	s_andn2_saveexec_b64 s[34:35], s[34:35]
	s_cbranch_execnz .LBB460_270
.LBB460_162:
	s_or_b64 exec, exec, s[34:35]
	s_and_b64 exec, exec, s[42:43]
	s_cbranch_execz .LBB460_164
.LBB460_163:
	v_sub_u32_e32 v12, v34, v8
	v_mov_b32_e32 v13, 0
	v_lshlrev_b64 v[12:13], 1, v[12:13]
	v_add_co_u32_e32 v12, vcc, v7, v12
	v_addc_co_u32_e32 v13, vcc, v9, v13, vcc
	global_store_short_d16_hi v[12:13], v16, off
.LBB460_164:
	s_or_b64 exec, exec, s[40:41]
	s_mov_b64 s[40:41], 0
.LBB460_165:
	s_and_b64 vcc, exec, s[40:41]
	s_cbranch_vccz .LBB460_187
; %bb.166:
	v_cmp_gt_i16_e32 vcc, 2, v10
	s_and_saveexec_b64 s[34:35], vcc
	s_cbranch_execz .LBB460_171
; %bb.167:
	v_cmp_ne_u16_e32 vcc, 1, v10
	s_mov_b64 s[42:43], 0
	s_and_saveexec_b64 s[40:41], vcc
	s_xor_b64 s[40:41], exec, s[40:41]
	s_cbranch_execnz .LBB460_271
; %bb.168:
	s_andn2_saveexec_b64 s[2:3], s[40:41]
	s_cbranch_execnz .LBB460_287
.LBB460_169:
	s_or_b64 exec, exec, s[2:3]
	s_and_b64 exec, exec, s[42:43]
	s_cbranch_execz .LBB460_171
.LBB460_170:
	v_sub_u32_e32 v1, v34, v8
	v_lshlrev_b32_e32 v1, 1, v1
	ds_write_b16_d16_hi v1, v16
.LBB460_171:
	s_or_b64 exec, exec, s[34:35]
	v_cmp_lt_u32_e32 vcc, v0, v6
	s_waitcnt lgkmcnt(0)
	s_barrier
	s_and_saveexec_b64 s[4:5], vcc
	s_cbranch_execz .LBB460_186
; %bb.172:
	v_xad_u32 v1, v0, -1, v6
	s_movk_i32 s2, 0x1700
	v_cmp_gt_u32_e64 s[6:7], s2, v1
	s_movk_i32 s2, 0x16ff
	v_cmp_lt_u32_e32 vcc, s2, v1
	v_mov_b32_e32 v2, v0
	s_and_saveexec_b64 s[8:9], vcc
	s_cbranch_execz .LBB460_183
; %bb.173:
	v_sub_u32_e32 v2, v0, v6
	v_or_b32_e32 v2, 0xff, v2
	v_cmp_ge_u32_e32 vcc, v2, v0
	s_mov_b64 s[2:3], -1
	v_mov_b32_e32 v2, v0
	s_and_saveexec_b64 s[10:11], vcc
	s_cbranch_execz .LBB460_182
; %bb.174:
	v_lshrrev_b32_e32 v14, 8, v1
	v_or_b32_e32 v3, 0x300, v0
	v_or_b32_e32 v2, 0x200, v0
	v_add_u32_e32 v4, -3, v14
	v_or_b32_e32 v1, 0x100, v0
	v_lshrrev_b32_e32 v5, 2, v4
	v_pk_mov_b32 v[12:13], v[2:3], v[2:3] op_sel:[0,1]
	v_add_u32_e32 v15, 1, v5
	v_cmp_lt_u32_e32 vcc, 11, v4
	v_mov_b32_e32 v70, 0
	v_pk_mov_b32 v[10:11], v[0:1], v[0:1] op_sel:[0,1]
	s_and_saveexec_b64 s[12:13], vcc
	s_cbranch_execz .LBB460_178
; %bb.175:
	v_pk_mov_b32 v[12:13], v[2:3], v[2:3] op_sel:[0,1]
	v_and_b32_e32 v16, 0x7ffffffc, v15
	v_lshlrev_b32_e32 v69, 1, v0
	s_mov_b32 s16, 0
	s_mov_b64 s[14:15], 0
	v_mov_b32_e32 v5, 0
	v_pk_mov_b32 v[10:11], v[0:1], v[0:1] op_sel:[0,1]
.LBB460_176:                            ; =>This Inner Loop Header: Depth=1
	v_mov_b32_e32 v4, v10
	v_lshlrev_b64 v[86:87], 1, v[4:5]
	v_add_u32_e32 v72, 0x400, v11
	v_mov_b32_e32 v73, v5
	v_add_co_u32_e64 v86, s[2:3], v7, v86
	v_lshlrev_b64 v[72:73], 1, v[72:73]
	v_addc_co_u32_e64 v87, s[2:3], v9, v87, s[2:3]
	v_add_u32_e32 v70, 0x400, v12
	v_mov_b32_e32 v71, v5
	v_add_co_u32_e64 v72, s[2:3], v7, v72
	v_lshlrev_b64 v[88:89], 1, v[70:71]
	v_addc_co_u32_e64 v73, s[2:3], v9, v73, s[2:3]
	v_add_u32_e32 v2, 0x400, v13
	v_mov_b32_e32 v3, v5
	v_add_co_u32_e64 v88, s[2:3], v7, v88
	v_add_u32_e32 v16, -4, v16
	v_mov_b32_e32 v4, v11
	v_lshlrev_b64 v[2:3], 1, v[2:3]
	v_addc_co_u32_e64 v89, s[2:3], v9, v89, s[2:3]
	v_add_u32_e32 v78, 0x800, v11
	v_mov_b32_e32 v79, v5
	s_add_i32 s16, s16, 16
	v_cmp_eq_u32_e32 vcc, 0, v16
	v_lshlrev_b64 v[90:91], 1, v[4:5]
	v_add_co_u32_e64 v2, s[2:3], v7, v2
	v_lshlrev_b64 v[78:79], 1, v[78:79]
	v_mov_b32_e32 v4, v12
	v_addc_co_u32_e64 v3, s[2:3], v9, v3, s[2:3]
	s_or_b64 s[14:15], vcc, s[14:15]
	v_add_co_u32_e32 v90, vcc, v7, v90
	v_add_u32_e32 v76, 0x800, v12
	v_mov_b32_e32 v77, v5
	v_add_co_u32_e64 v78, s[2:3], v7, v78
	v_addc_co_u32_e32 v91, vcc, v9, v91, vcc
	v_lshlrev_b64 v[92:93], 1, v[4:5]
	v_lshlrev_b64 v[76:77], 1, v[76:77]
	v_addc_co_u32_e64 v79, s[2:3], v9, v79, s[2:3]
	v_mov_b32_e32 v4, v13
	v_add_co_u32_e32 v92, vcc, v7, v92
	ds_read_u16 v1, v69
	ds_read_u16 v96, v69 offset:512
	ds_read_u16 v97, v69 offset:1024
	;; [unrolled: 1-line block ×7, first 2 shown]
	v_add_u32_e32 v74, 0x800, v13
	v_mov_b32_e32 v75, v5
	v_add_co_u32_e64 v76, s[2:3], v7, v76
	v_addc_co_u32_e32 v93, vcc, v9, v93, vcc
	v_lshlrev_b64 v[94:95], 1, v[4:5]
	v_lshlrev_b64 v[74:75], 1, v[74:75]
	v_addc_co_u32_e64 v77, s[2:3], v9, v77, s[2:3]
	v_add_u32_e32 v4, 0x400, v10
	v_add_co_u32_e32 v94, vcc, v7, v94
	v_add_u32_e32 v84, 0xc00, v11
	v_mov_b32_e32 v85, v5
	ds_read_u16 v103, v69 offset:4096
	ds_read_u16 v104, v69 offset:4608
	;; [unrolled: 1-line block ×8, first 2 shown]
	v_add_co_u32_e64 v74, s[2:3], v7, v74
	v_addc_co_u32_e32 v95, vcc, v9, v95, vcc
	s_waitcnt lgkmcnt(14)
	global_store_short v[86:87], v1, off
	global_store_short v[90:91], v96, off
	s_waitcnt lgkmcnt(13)
	global_store_short v[92:93], v97, off
	v_lshlrev_b64 v[86:87], 1, v[4:5]
	v_lshlrev_b64 v[84:85], 1, v[84:85]
	v_addc_co_u32_e64 v75, s[2:3], v9, v75, s[2:3]
	v_add_u32_e32 v4, 0x800, v10
	v_add_co_u32_e32 v86, vcc, v7, v86
	v_add_u32_e32 v82, 0xc00, v12
	v_mov_b32_e32 v83, v5
	v_add_co_u32_e64 v84, s[2:3], v7, v84
	v_addc_co_u32_e32 v87, vcc, v9, v87, vcc
	v_lshlrev_b64 v[90:91], 1, v[4:5]
	v_lshlrev_b64 v[82:83], 1, v[82:83]
	v_addc_co_u32_e64 v85, s[2:3], v9, v85, s[2:3]
	s_waitcnt lgkmcnt(12)
	global_store_short v[94:95], v98, off
	v_add_u32_e32 v4, 0xc00, v10
	s_waitcnt lgkmcnt(11)
	global_store_short v[86:87], v99, off
	s_waitcnt lgkmcnt(10)
	global_store_short v[72:73], v100, off
	s_waitcnt lgkmcnt(9)
	global_store_short v[88:89], v101, off
	s_waitcnt lgkmcnt(8)
	global_store_short v[2:3], v102, off
	v_add_co_u32_e32 v2, vcc, v7, v90
	v_add_u32_e32 v80, 0xc00, v13
	v_mov_b32_e32 v81, v5
	v_add_co_u32_e64 v82, s[2:3], v7, v82
	v_addc_co_u32_e32 v3, vcc, v9, v91, vcc
	v_lshlrev_b64 v[72:73], 1, v[4:5]
	v_lshlrev_b64 v[80:81], 1, v[80:81]
	v_addc_co_u32_e64 v83, s[2:3], v9, v83, s[2:3]
	s_waitcnt lgkmcnt(7)
	global_store_short v[2:3], v103, off
	s_waitcnt lgkmcnt(6)
	global_store_short v[78:79], v104, off
	;; [unrolled: 2-line block ×4, first 2 shown]
	v_add_co_u32_e32 v2, vcc, v7, v72
	v_add_u32_e32 v69, 0x2000, v69
	v_add_u32_e32 v11, 0x1000, v11
	v_mov_b32_e32 v70, s16
	v_add_co_u32_e64 v80, s[2:3], v7, v80
	v_add_u32_e32 v12, 0x1000, v12
	v_add_u32_e32 v13, 0x1000, v13
	;; [unrolled: 1-line block ×3, first 2 shown]
	v_addc_co_u32_e32 v3, vcc, v9, v73, vcc
	v_addc_co_u32_e64 v81, s[2:3], v9, v81, s[2:3]
	s_waitcnt lgkmcnt(3)
	global_store_short v[2:3], v107, off
	s_waitcnt lgkmcnt(2)
	global_store_short v[84:85], v108, off
	;; [unrolled: 2-line block ×4, first 2 shown]
	s_andn2_b64 exec, exec, s[14:15]
	s_cbranch_execnz .LBB460_176
; %bb.177:
	s_or_b64 exec, exec, s[14:15]
.LBB460_178:
	s_or_b64 exec, exec, s[12:13]
	v_and_b32_e32 v1, 3, v15
	v_cmp_ne_u32_e32 vcc, 0, v1
	s_and_saveexec_b64 s[12:13], vcc
	s_cbranch_execz .LBB460_181
; %bb.179:
	v_lshlrev_b32_e32 v2, 1, v0
	v_lshl_or_b32 v4, v70, 9, v2
	s_mov_b64 s[14:15], 0
	v_mov_b32_e32 v3, 0
.LBB460_180:                            ; =>This Inner Loop Header: Depth=1
	v_mov_b32_e32 v2, v10
	v_add_u32_e32 v1, -1, v1
	v_lshlrev_b64 v[70:71], 1, v[2:3]
	v_mov_b32_e32 v2, v11
	v_cmp_eq_u32_e32 vcc, 0, v1
	v_lshlrev_b64 v[72:73], 1, v[2:3]
	ds_read_u16 v5, v4
	ds_read_u16 v15, v4 offset:512
	ds_read_u16 v16, v4 offset:1024
	;; [unrolled: 1-line block ×3, first 2 shown]
	v_mov_b32_e32 v2, v12
	s_or_b64 s[14:15], vcc, s[14:15]
	v_add_co_u32_e32 v72, vcc, v7, v72
	v_addc_co_u32_e32 v73, vcc, v9, v73, vcc
	v_lshlrev_b64 v[74:75], 1, v[2:3]
	v_mov_b32_e32 v2, v13
	v_add_co_u32_e32 v74, vcc, v7, v74
	v_add_co_u32_e64 v70, s[2:3], v7, v70
	v_addc_co_u32_e32 v75, vcc, v9, v75, vcc
	v_lshlrev_b64 v[76:77], 1, v[2:3]
	v_add_u32_e32 v10, 0x400, v10
	v_add_u32_e32 v4, 0x800, v4
	;; [unrolled: 1-line block ×3, first 2 shown]
	v_addc_co_u32_e64 v71, s[2:3], v9, v71, s[2:3]
	v_add_u32_e32 v12, 0x400, v12
	v_add_u32_e32 v13, 0x400, v13
	v_add_co_u32_e32 v76, vcc, v7, v76
	v_addc_co_u32_e32 v77, vcc, v9, v77, vcc
	s_waitcnt lgkmcnt(3)
	global_store_short v[70:71], v5, off
	s_waitcnt lgkmcnt(2)
	global_store_short v[72:73], v15, off
	;; [unrolled: 2-line block ×4, first 2 shown]
	s_andn2_b64 exec, exec, s[14:15]
	s_cbranch_execnz .LBB460_180
.LBB460_181:
	s_or_b64 exec, exec, s[12:13]
	v_add_u32_e32 v1, 1, v14
	v_and_b32_e32 v3, 0x1fffffc, v1
	v_cmp_ne_u32_e32 vcc, v1, v3
	v_lshl_or_b32 v2, v3, 8, v0
	s_orn2_b64 s[2:3], vcc, exec
.LBB460_182:
	s_or_b64 exec, exec, s[10:11]
	s_andn2_b64 s[6:7], s[6:7], exec
	s_and_b64 s[2:3], s[2:3], exec
	s_or_b64 s[6:7], s[6:7], s[2:3]
.LBB460_183:
	s_or_b64 exec, exec, s[8:9]
	s_and_b64 exec, exec, s[6:7]
	s_cbranch_execz .LBB460_186
; %bb.184:
	v_lshlrev_b32_e32 v1, 1, v2
	s_mov_b64 s[2:3], 0
	v_mov_b32_e32 v3, 0
.LBB460_185:                            ; =>This Inner Loop Header: Depth=1
	v_lshlrev_b64 v[4:5], 1, v[2:3]
	ds_read_u16 v10, v1
	v_add_co_u32_e32 v4, vcc, v7, v4
	v_add_u32_e32 v2, 0x100, v2
	v_addc_co_u32_e32 v5, vcc, v9, v5, vcc
	v_cmp_ge_u32_e32 vcc, v2, v6
	v_add_u32_e32 v1, 0x200, v1
	s_or_b64 s[2:3], vcc, s[2:3]
	s_waitcnt lgkmcnt(0)
	global_store_short v[4:5], v10, off
	s_andn2_b64 exec, exec, s[2:3]
	s_cbranch_execnz .LBB460_185
.LBB460_186:
	s_or_b64 exec, exec, s[4:5]
.LBB460_187:
	s_cmpk_lg_i32 s33, 0xf00
	s_cselect_b64 s[2:3], -1, 0
	v_cndmask_b32_e64 v1, 0, 1, s[38:39]
	s_and_b64 s[2:3], s[2:3], s[36:37]
	v_sub_u32_e32 v3, v6, v1
	v_cndmask_b32_e64 v2, 0, 1, s[2:3]
	s_and_b64 s[0:1], s[0:1], s[38:39]
	v_add_u32_e32 v7, v3, v2
	v_cndmask_b32_e64 v3, v30, 0, s[0:1]
	s_mul_hi_u32 s0, s33, 0x88888889
	s_lshr_b32 s0, s0, 3
	v_mad_i32_i24 v4, v0, -15, s33
	v_cmp_eq_u32_e32 vcc, s0, v0
	v_cmp_ne_u32_e64 s[0:1], 0, v4
	v_cndmask_b32_e64 v5, 1, v3, s[0:1]
	v_cmp_ne_u32_e64 s[0:1], 1, v4
	v_cndmask_b32_e64 v9, 1, v31, s[0:1]
	;; [unrolled: 2-line block ×15, first 2 shown]
	s_and_b64 vcc, vcc, s[36:37]
	v_cndmask_b32_e32 v4, v17, v4, vcc
	v_cndmask_b32_e32 v17, v25, v72, vcc
	;; [unrolled: 1-line block ×15, first 2 shown]
	v_mov_b32_e32 v3, s53
	v_add_co_u32_e32 v9, vcc, s52, v64
	v_addc_co_u32_e32 v3, vcc, v3, v65, vcc
	v_add_co_u32_e32 v9, vcc, v9, v66
	v_addc_co_u32_e32 v14, vcc, v3, v67, vcc
	v_lshlrev_b32_e32 v3, 1, v1
	v_add_co_u32_e32 v3, vcc, v3, v9
	v_addc_co_u32_e32 v16, vcc, 0, v14, vcc
	v_add_co_u32_e32 v15, vcc, -2, v3
	v_addc_co_u32_e32 v16, vcc, -1, v16, vcc
	v_cmp_eq_u32_e32 vcc, 0, v5
	v_cmp_ne_u32_e64 s[28:29], 0, v5
	v_cndmask_b32_e64 v5, 1, 2, vcc
	v_cmp_eq_u32_e32 vcc, 0, v26
	v_cmp_ne_u32_e64 s[26:27], 0, v26
	v_cndmask_b32_e64 v26, 1, 2, vcc
	v_cmp_eq_u32_e32 vcc, 0, v10
	v_and_b32_e32 v5, v26, v5
	v_cmp_ne_u32_e64 s[24:25], 0, v10
	v_cndmask_b32_e64 v10, 1, 2, vcc
	v_cmp_eq_u32_e32 vcc, 0, v11
	v_and_b32_e32 v5, v5, v10
	v_cndmask_b32_e64 v10, 1, 2, vcc
	v_cmp_eq_u32_e32 vcc, 0, v12
	v_and_b32_e32 v5, v5, v10
	;; [unrolled: 3-line block ×12, first 2 shown]
	v_cmp_ne_u32_e64 s[0:1], 0, v4
	v_cndmask_b32_e64 v4, 1, 2, vcc
	s_movk_i32 s30, 0x100
	v_and_b32_e32 v4, v5, v4
	v_cmp_gt_u32_e32 vcc, s30, v7
	v_add_u32_e32 v3, v8, v1
	v_cmp_ne_u32_e64 s[22:23], 0, v11
	v_cmp_ne_u32_e64 s[20:21], 0, v12
	v_cmp_ne_u32_e64 s[18:19], 0, v13
	v_cmp_ne_u32_e64 s[16:17], 0, v22
	v_cmp_ne_u32_e64 s[14:15], 0, v23
	v_cmp_ne_u32_e64 s[12:13], 0, v20
	v_cmp_ne_u32_e64 s[10:11], 0, v21
	v_cmp_ne_u32_e64 s[8:9], 0, v18
	v_cmp_ne_u32_e64 s[6:7], 0, v19
	v_cmp_ne_u32_e64 s[4:5], 0, v25
	v_cmp_ne_u32_e64 s[2:3], 0, v17
	s_mov_b64 s[34:35], -1
	v_cmp_gt_i16_e64 s[30:31], 2, v4
	s_barrier
	s_cbranch_vccz .LBB460_194
; %bb.188:
	s_and_saveexec_b64 s[34:35], s[30:31]
	s_cbranch_execz .LBB460_193
; %bb.189:
	v_cmp_ne_u16_e32 vcc, 1, v4
	s_mov_b64 s[38:39], 0
	s_and_saveexec_b64 s[30:31], vcc
	s_xor_b64 s[30:31], exec, s[30:31]
	s_cbranch_execnz .LBB460_288
; %bb.190:
	s_andn2_saveexec_b64 s[30:31], s[30:31]
	s_cbranch_execnz .LBB460_304
.LBB460_191:
	s_or_b64 exec, exec, s[30:31]
	s_and_b64 exec, exec, s[38:39]
	s_cbranch_execz .LBB460_193
.LBB460_192:
	v_sub_u32_e32 v10, v34, v3
	v_mov_b32_e32 v11, 0
	v_lshlrev_b64 v[10:11], 1, v[10:11]
	v_add_co_u32_e32 v10, vcc, v15, v10
	v_addc_co_u32_e32 v11, vcc, v16, v11, vcc
	global_store_short v[10:11], v35, off
.LBB460_193:
	s_or_b64 exec, exec, s[34:35]
	s_mov_b64 s[34:35], 0
.LBB460_194:
	s_and_b64 vcc, exec, s[34:35]
	s_cbranch_vccz .LBB460_216
; %bb.195:
	v_cmp_gt_i16_e32 vcc, 2, v4
	s_and_saveexec_b64 s[30:31], vcc
	s_cbranch_execz .LBB460_200
; %bb.196:
	v_cmp_ne_u16_e32 vcc, 1, v4
	s_mov_b64 s[38:39], 0
	s_and_saveexec_b64 s[34:35], vcc
	s_xor_b64 s[34:35], exec, s[34:35]
	s_cbranch_execnz .LBB460_305
; %bb.197:
	s_andn2_saveexec_b64 s[0:1], s[34:35]
	s_cbranch_execnz .LBB460_321
.LBB460_198:
	s_or_b64 exec, exec, s[0:1]
	s_and_b64 exec, exec, s[38:39]
	s_cbranch_execz .LBB460_200
.LBB460_199:
	v_sub_u32_e32 v3, v34, v3
	v_lshlrev_b32_e32 v3, 1, v3
	ds_write_b16 v3, v35
.LBB460_200:
	s_or_b64 exec, exec, s[30:31]
	v_cmp_lt_u32_e32 vcc, v0, v7
	s_waitcnt lgkmcnt(0)
	s_barrier
	s_and_saveexec_b64 s[2:3], vcc
	s_cbranch_execz .LBB460_215
; %bb.201:
	v_add_u32_e32 v4, v6, v2
	v_xad_u32 v2, v0, -1, v4
	v_sub_u32_e32 v3, v2, v1
	s_movk_i32 s0, 0x1b00
	v_cmp_gt_u32_e64 s[4:5], s0, v3
	s_movk_i32 s0, 0x1aff
	v_cmp_lt_u32_e32 vcc, s0, v3
	v_mov_b32_e32 v2, v0
	s_and_saveexec_b64 s[6:7], vcc
	s_cbranch_execz .LBB460_212
; %bb.202:
	v_sub_u32_e32 v2, v0, v4
	v_add_u32_e32 v1, v2, v1
	v_or_b32_e32 v1, 0xff, v1
	v_cmp_ge_u32_e32 vcc, v1, v0
	s_mov_b64 s[0:1], -1
	v_mov_b32_e32 v2, v0
	s_and_saveexec_b64 s[8:9], vcc
	s_cbranch_execz .LBB460_211
; %bb.203:
	v_lshrrev_b32_e32 v17, 8, v3
	v_or_b32_e32 v3, 0x300, v0
	v_or_b32_e32 v2, 0x200, v0
	v_add_u32_e32 v4, -3, v17
	v_or_b32_e32 v1, 0x100, v0
	v_lshrrev_b32_e32 v5, 2, v4
	v_pk_mov_b32 v[12:13], v[2:3], v[2:3] op_sel:[0,1]
	v_add_u32_e32 v19, 1, v5
	v_cmp_lt_u32_e32 vcc, 11, v4
	v_mov_b32_e32 v22, 0
	v_lshlrev_b32_e32 v18, 1, v0
	v_pk_mov_b32 v[10:11], v[0:1], v[0:1] op_sel:[0,1]
	s_and_saveexec_b64 s[10:11], vcc
	s_cbranch_execz .LBB460_207
; %bb.204:
	v_pk_mov_b32 v[12:13], v[2:3], v[2:3] op_sel:[0,1]
	v_and_b32_e32 v20, 0x7ffffffc, v19
	s_mov_b32 s14, 0
	s_mov_b64 s[12:13], 0
	v_mov_b32_e32 v5, 0
	v_mov_b32_e32 v21, v18
	v_pk_mov_b32 v[10:11], v[0:1], v[0:1] op_sel:[0,1]
.LBB460_205:                            ; =>This Inner Loop Header: Depth=1
	v_mov_b32_e32 v4, v10
	v_lshlrev_b64 v[42:43], 1, v[4:5]
	v_add_u32_e32 v26, 0x400, v11
	v_mov_b32_e32 v27, v5
	v_add_co_u32_e64 v42, s[0:1], v15, v42
	v_lshlrev_b64 v[26:27], 1, v[26:27]
	v_addc_co_u32_e64 v43, s[0:1], v16, v43, s[0:1]
	v_add_u32_e32 v22, 0x400, v12
	v_mov_b32_e32 v23, v5
	v_add_co_u32_e64 v26, s[0:1], v15, v26
	v_lshlrev_b64 v[44:45], 1, v[22:23]
	v_addc_co_u32_e64 v27, s[0:1], v16, v27, s[0:1]
	v_add_u32_e32 v2, 0x400, v13
	v_mov_b32_e32 v3, v5
	v_add_co_u32_e64 v44, s[0:1], v15, v44
	v_add_u32_e32 v20, -4, v20
	v_mov_b32_e32 v4, v11
	v_lshlrev_b64 v[2:3], 1, v[2:3]
	v_addc_co_u32_e64 v45, s[0:1], v16, v45, s[0:1]
	v_add_u32_e32 v34, 0x800, v11
	v_mov_b32_e32 v35, v5
	s_add_i32 s14, s14, 16
	v_cmp_eq_u32_e32 vcc, 0, v20
	v_lshlrev_b64 v[46:47], 1, v[4:5]
	v_add_co_u32_e64 v2, s[0:1], v15, v2
	v_lshlrev_b64 v[34:35], 1, v[34:35]
	v_mov_b32_e32 v4, v12
	v_addc_co_u32_e64 v3, s[0:1], v16, v3, s[0:1]
	s_or_b64 s[12:13], vcc, s[12:13]
	v_add_co_u32_e32 v46, vcc, v15, v46
	v_add_u32_e32 v30, 0x800, v12
	v_mov_b32_e32 v31, v5
	v_add_co_u32_e64 v34, s[0:1], v15, v34
	v_addc_co_u32_e32 v47, vcc, v16, v47, vcc
	v_lshlrev_b64 v[48:49], 1, v[4:5]
	v_lshlrev_b64 v[30:31], 1, v[30:31]
	v_addc_co_u32_e64 v35, s[0:1], v16, v35, s[0:1]
	v_mov_b32_e32 v4, v13
	v_add_co_u32_e32 v48, vcc, v15, v48
	ds_read_u16 v1, v21
	ds_read_u16 v25, v21 offset:512
	ds_read_u16 v52, v21 offset:1024
	;; [unrolled: 1-line block ×7, first 2 shown]
	v_add_u32_e32 v28, 0x800, v13
	v_mov_b32_e32 v29, v5
	v_add_co_u32_e64 v30, s[0:1], v15, v30
	v_addc_co_u32_e32 v49, vcc, v16, v49, vcc
	v_lshlrev_b64 v[50:51], 1, v[4:5]
	v_lshlrev_b64 v[28:29], 1, v[28:29]
	v_addc_co_u32_e64 v31, s[0:1], v16, v31, s[0:1]
	v_add_u32_e32 v4, 0x400, v10
	v_add_co_u32_e32 v50, vcc, v15, v50
	v_add_u32_e32 v40, 0xc00, v11
	v_mov_b32_e32 v41, v5
	ds_read_u16 v58, v21 offset:4096
	ds_read_u16 v59, v21 offset:4608
	ds_read_u16 v60, v21 offset:5120
	ds_read_u16 v61, v21 offset:5632
	ds_read_u16 v62, v21 offset:6144
	ds_read_u16 v63, v21 offset:6656
	ds_read_u16 v64, v21 offset:7168
	ds_read_u16 v65, v21 offset:7680
	v_add_co_u32_e64 v28, s[0:1], v15, v28
	v_addc_co_u32_e32 v51, vcc, v16, v51, vcc
	s_waitcnt lgkmcnt(14)
	global_store_short v[42:43], v1, off
	global_store_short v[46:47], v25, off
	s_waitcnt lgkmcnt(13)
	global_store_short v[48:49], v52, off
	v_lshlrev_b64 v[42:43], 1, v[4:5]
	v_lshlrev_b64 v[40:41], 1, v[40:41]
	v_addc_co_u32_e64 v29, s[0:1], v16, v29, s[0:1]
	v_add_u32_e32 v4, 0x800, v10
	v_add_co_u32_e32 v42, vcc, v15, v42
	v_add_u32_e32 v38, 0xc00, v12
	v_mov_b32_e32 v39, v5
	v_add_co_u32_e64 v40, s[0:1], v15, v40
	v_addc_co_u32_e32 v43, vcc, v16, v43, vcc
	v_lshlrev_b64 v[46:47], 1, v[4:5]
	v_lshlrev_b64 v[38:39], 1, v[38:39]
	v_addc_co_u32_e64 v41, s[0:1], v16, v41, s[0:1]
	s_waitcnt lgkmcnt(12)
	global_store_short v[50:51], v53, off
	v_add_u32_e32 v4, 0xc00, v10
	s_waitcnt lgkmcnt(11)
	global_store_short v[42:43], v54, off
	s_waitcnt lgkmcnt(10)
	global_store_short v[26:27], v55, off
	;; [unrolled: 2-line block ×4, first 2 shown]
	v_add_co_u32_e32 v2, vcc, v15, v46
	v_add_u32_e32 v36, 0xc00, v13
	v_mov_b32_e32 v37, v5
	v_add_co_u32_e64 v38, s[0:1], v15, v38
	v_addc_co_u32_e32 v3, vcc, v16, v47, vcc
	v_lshlrev_b64 v[26:27], 1, v[4:5]
	v_lshlrev_b64 v[36:37], 1, v[36:37]
	v_addc_co_u32_e64 v39, s[0:1], v16, v39, s[0:1]
	s_waitcnt lgkmcnt(7)
	global_store_short v[2:3], v58, off
	s_waitcnt lgkmcnt(6)
	global_store_short v[34:35], v59, off
	;; [unrolled: 2-line block ×4, first 2 shown]
	v_add_co_u32_e32 v2, vcc, v15, v26
	v_add_u32_e32 v21, 0x2000, v21
	v_add_u32_e32 v11, 0x1000, v11
	v_mov_b32_e32 v22, s14
	v_add_co_u32_e64 v36, s[0:1], v15, v36
	v_add_u32_e32 v12, 0x1000, v12
	v_add_u32_e32 v13, 0x1000, v13
	;; [unrolled: 1-line block ×3, first 2 shown]
	v_addc_co_u32_e32 v3, vcc, v16, v27, vcc
	v_addc_co_u32_e64 v37, s[0:1], v16, v37, s[0:1]
	s_waitcnt lgkmcnt(3)
	global_store_short v[2:3], v62, off
	s_waitcnt lgkmcnt(2)
	global_store_short v[40:41], v63, off
	;; [unrolled: 2-line block ×4, first 2 shown]
	s_andn2_b64 exec, exec, s[12:13]
	s_cbranch_execnz .LBB460_205
; %bb.206:
	s_or_b64 exec, exec, s[12:13]
.LBB460_207:
	s_or_b64 exec, exec, s[10:11]
	v_and_b32_e32 v1, 3, v19
	v_cmp_ne_u32_e32 vcc, 0, v1
	s_and_saveexec_b64 s[10:11], vcc
	s_cbranch_execz .LBB460_210
; %bb.208:
	v_lshl_or_b32 v4, v22, 9, v18
	s_mov_b64 s[12:13], 0
	v_mov_b32_e32 v3, 0
.LBB460_209:                            ; =>This Inner Loop Header: Depth=1
	v_mov_b32_e32 v2, v10
	v_add_u32_e32 v1, -1, v1
	v_lshlrev_b64 v[18:19], 1, v[2:3]
	v_mov_b32_e32 v2, v11
	v_cmp_eq_u32_e32 vcc, 0, v1
	v_lshlrev_b64 v[20:21], 1, v[2:3]
	ds_read_u16 v5, v4
	ds_read_u16 v25, v4 offset:512
	ds_read_u16 v28, v4 offset:1024
	;; [unrolled: 1-line block ×3, first 2 shown]
	v_mov_b32_e32 v2, v12
	s_or_b64 s[12:13], vcc, s[12:13]
	v_add_co_u32_e32 v20, vcc, v15, v20
	v_addc_co_u32_e32 v21, vcc, v16, v21, vcc
	v_lshlrev_b64 v[22:23], 1, v[2:3]
	v_mov_b32_e32 v2, v13
	v_add_co_u32_e32 v22, vcc, v15, v22
	v_add_co_u32_e64 v18, s[0:1], v15, v18
	v_addc_co_u32_e32 v23, vcc, v16, v23, vcc
	v_lshlrev_b64 v[26:27], 1, v[2:3]
	v_add_u32_e32 v10, 0x400, v10
	v_add_u32_e32 v4, 0x800, v4
	;; [unrolled: 1-line block ×3, first 2 shown]
	v_addc_co_u32_e64 v19, s[0:1], v16, v19, s[0:1]
	v_add_u32_e32 v12, 0x400, v12
	v_add_u32_e32 v13, 0x400, v13
	v_add_co_u32_e32 v26, vcc, v15, v26
	v_addc_co_u32_e32 v27, vcc, v16, v27, vcc
	s_waitcnt lgkmcnt(3)
	global_store_short v[18:19], v5, off
	s_waitcnt lgkmcnt(2)
	global_store_short v[20:21], v25, off
	;; [unrolled: 2-line block ×4, first 2 shown]
	s_andn2_b64 exec, exec, s[12:13]
	s_cbranch_execnz .LBB460_209
.LBB460_210:
	s_or_b64 exec, exec, s[10:11]
	v_add_u32_e32 v1, 1, v17
	v_and_b32_e32 v3, 0x1fffffc, v1
	v_cmp_ne_u32_e32 vcc, v1, v3
	v_lshl_or_b32 v2, v3, 8, v0
	s_orn2_b64 s[0:1], vcc, exec
.LBB460_211:
	s_or_b64 exec, exec, s[8:9]
	s_andn2_b64 s[4:5], s[4:5], exec
	s_and_b64 s[0:1], s[0:1], exec
	s_or_b64 s[4:5], s[4:5], s[0:1]
.LBB460_212:
	s_or_b64 exec, exec, s[6:7]
	s_and_b64 exec, exec, s[4:5]
	s_cbranch_execz .LBB460_215
; %bb.213:
	v_lshlrev_b32_e32 v1, 1, v2
	s_mov_b64 s[0:1], 0
	v_mov_b32_e32 v3, 0
.LBB460_214:                            ; =>This Inner Loop Header: Depth=1
	v_lshlrev_b64 v[4:5], 1, v[2:3]
	ds_read_u16 v10, v1
	v_add_co_u32_e32 v4, vcc, v15, v4
	v_add_u32_e32 v2, 0x100, v2
	v_addc_co_u32_e32 v5, vcc, v16, v5, vcc
	v_cmp_ge_u32_e32 vcc, v2, v7
	v_add_u32_e32 v1, 0x200, v1
	s_or_b64 s[0:1], vcc, s[0:1]
	s_waitcnt lgkmcnt(0)
	global_store_short v[4:5], v10, off
	s_andn2_b64 exec, exec, s[0:1]
	s_cbranch_execnz .LBB460_214
.LBB460_215:
	s_or_b64 exec, exec, s[2:3]
.LBB460_216:
	s_movk_i32 s0, 0xff
	v_cmp_eq_u32_e32 vcc, s0, v0
	s_and_b64 s[0:1], vcc, s[36:37]
	s_and_saveexec_b64 s[2:3], s[0:1]
	s_cbranch_execz .LBB460_219
; %bb.217:
	v_add_co_u32_e32 v0, vcc, v6, v8
	v_addc_co_u32_e64 v1, s[0:1], 0, 0, vcc
	v_add_co_u32_e32 v0, vcc, v0, v32
	v_mov_b32_e32 v7, 0
	v_addc_co_u32_e32 v1, vcc, v1, v33, vcc
	s_cmpk_lg_i32 s33, 0xf00
	global_store_dwordx2 v7, v[0:1], s[54:55]
	s_cbranch_scc1 .LBB460_219
; %bb.218:
	v_lshlrev_b64 v[0:1], 1, v[6:7]
	v_add_co_u32_e32 v0, vcc, v9, v0
	v_addc_co_u32_e32 v1, vcc, v14, v1, vcc
	global_store_short v[0:1], v24, off offset:-2
.LBB460_219:
	s_endpgm
.LBB460_220:
                                        ; implicit-def: $sgpr8_sgpr9
                                        ; implicit-def: $vgpr17
                                        ; implicit-def: $vgpr9
                                        ; implicit-def: $vgpr68
                                        ; implicit-def: $vgpr19
                                        ; implicit-def: $vgpr18
                                        ; implicit-def: $vgpr21
                                        ; implicit-def: $vgpr20
                                        ; implicit-def: $vgpr23
                                        ; implicit-def: $vgpr22
                                        ; implicit-def: $vgpr27
                                        ; implicit-def: $vgpr26
                                        ; implicit-def: $vgpr29
                                        ; implicit-def: $vgpr28
                                        ; implicit-def: $vgpr31
	s_cbranch_execz .LBB460_114
.LBB460_221:
	v_mov_b32_e32 v25, 0
	v_lshlrev_b32_e32 v8, 1, v0
	v_cmp_gt_u64_e32 vcc, s[6:7], v[24:25]
	v_mov_b32_e32 v17, 0
	ds_write_b16 v8, v10
	s_and_saveexec_b64 s[8:9], vcc
; %bb.222:
	s_mov_b32 s10, 0xcccd
	v_mul_u32_u24_sdwa v7, v16, s10 dst_sel:DWORD dst_unused:UNUSED_PAD src0_sel:WORD_0 src1_sel:DWORD
	v_mul_u32_u24_sdwa v9, v10, s10 dst_sel:DWORD dst_unused:UNUSED_PAD src0_sel:WORD_0 src1_sel:DWORD
	v_lshrrev_b32_e32 v7, 19, v7
	v_lshrrev_b32_e32 v9, 19, v9
	v_cmp_ne_u16_e32 vcc, v7, v9
	v_cndmask_b32_e64 v17, 0, 1, vcc
; %bb.223:
	s_or_b64 exec, exec, s[8:9]
	v_add_u32_e32 v24, 13, v6
	v_cmp_gt_u64_e32 vcc, s[6:7], v[24:25]
	s_and_saveexec_b64 s[8:9], vcc
; %bb.224:
	s_mov_b32 s10, 0xcccd
	v_mul_u32_u24_sdwa v7, v15, s10 dst_sel:DWORD dst_unused:UNUSED_PAD src0_sel:WORD_1 src1_sel:DWORD
	v_mul_u32_u24_sdwa v9, v16, s10 dst_sel:DWORD dst_unused:UNUSED_PAD src0_sel:WORD_0 src1_sel:DWORD
	v_lshrrev_b32_e32 v7, 19, v7
	v_lshrrev_b32_e32 v9, 19, v9
	v_cmp_ne_u16_e32 vcc, v7, v9
	v_cndmask_b32_e64 v25, 0, 1, vcc
; %bb.225:
	s_or_b64 exec, exec, s[8:9]
	v_add_u32_e32 v18, 12, v6
	v_mov_b32_e32 v19, 0
	v_cmp_gt_u64_e32 vcc, s[6:7], v[18:19]
	v_mov_b32_e32 v68, 0
	s_and_saveexec_b64 s[8:9], vcc
; %bb.226:
	s_mov_b32 s10, 0xcccd
	v_mul_u32_u24_sdwa v7, v15, s10 dst_sel:DWORD dst_unused:UNUSED_PAD src0_sel:WORD_0 src1_sel:DWORD
	v_mul_u32_u24_sdwa v9, v15, s10 dst_sel:DWORD dst_unused:UNUSED_PAD src0_sel:WORD_1 src1_sel:DWORD
	v_lshrrev_b32_e32 v7, 19, v7
	v_lshrrev_b32_e32 v9, 19, v9
	v_cmp_ne_u16_e32 vcc, v7, v9
	v_cndmask_b32_e64 v68, 0, 1, vcc
; %bb.227:
	s_or_b64 exec, exec, s[8:9]
	v_add_u32_e32 v18, 11, v6
	v_cmp_gt_u64_e32 vcc, s[6:7], v[18:19]
	s_and_saveexec_b64 s[8:9], vcc
; %bb.228:
	s_mov_b32 s10, 0xcccd
	v_mul_u32_u24_sdwa v7, v14, s10 dst_sel:DWORD dst_unused:UNUSED_PAD src0_sel:WORD_1 src1_sel:DWORD
	v_mul_u32_u24_sdwa v9, v15, s10 dst_sel:DWORD dst_unused:UNUSED_PAD src0_sel:WORD_0 src1_sel:DWORD
	v_lshrrev_b32_e32 v7, 19, v7
	v_lshrrev_b32_e32 v9, 19, v9
	v_cmp_ne_u16_e32 vcc, v7, v9
	v_cndmask_b32_e64 v19, 0, 1, vcc
; %bb.229:
	s_or_b64 exec, exec, s[8:9]
	v_add_u32_e32 v20, 10, v6
	v_mov_b32_e32 v21, 0
	v_cmp_gt_u64_e32 vcc, s[6:7], v[20:21]
	v_mov_b32_e32 v18, 0
	s_and_saveexec_b64 s[8:9], vcc
; %bb.230:
	s_mov_b32 s10, 0xcccd
	v_mul_u32_u24_sdwa v7, v14, s10 dst_sel:DWORD dst_unused:UNUSED_PAD src0_sel:WORD_0 src1_sel:DWORD
	v_mul_u32_u24_sdwa v9, v14, s10 dst_sel:DWORD dst_unused:UNUSED_PAD src0_sel:WORD_1 src1_sel:DWORD
	;; [unrolled: 28-line block ×6, first 2 shown]
	v_lshrrev_b32_e32 v7, 19, v7
	v_lshrrev_b32_e32 v9, 19, v9
	v_cmp_ne_u16_e32 vcc, v7, v9
	v_cndmask_b32_e64 v28, 0, 1, vcc
; %bb.247:
	s_or_b64 exec, exec, s[8:9]
	v_add_u32_e32 v30, 1, v6
	v_cmp_gt_u64_e32 vcc, s[6:7], v[30:31]
	s_and_saveexec_b64 s[8:9], vcc
; %bb.248:
	s_mov_b32 s10, 0xcccd
	v_mul_u32_u24_sdwa v7, v1, s10 dst_sel:DWORD dst_unused:UNUSED_PAD src0_sel:WORD_0 src1_sel:DWORD
	v_mul_u32_u24_sdwa v9, v2, s10 dst_sel:DWORD dst_unused:UNUSED_PAD src0_sel:WORD_0 src1_sel:DWORD
	v_lshrrev_b32_e32 v7, 19, v7
	v_lshrrev_b32_e32 v9, 19, v9
	v_cmp_ne_u16_e32 vcc, v7, v9
	v_cndmask_b32_e64 v31, 0, 1, vcc
; %bb.249:
	s_or_b64 exec, exec, s[8:9]
	s_waitcnt lgkmcnt(0)
	s_barrier
	s_waitcnt lgkmcnt(0)
                                        ; implicit-def: $sgpr8_sgpr9
	s_and_saveexec_b64 s[10:11], s[2:3]
	s_cbranch_execz .LBB460_253
; %bb.250:
	v_mov_b32_e32 v7, 0
	v_cmp_gt_u64_e32 vcc, s[6:7], v[6:7]
	s_mov_b64 s[6:7], 0
	s_and_saveexec_b64 s[2:3], vcc
	s_cbranch_execz .LBB460_252
; %bb.251:
	v_add_u32_e32 v6, -2, v8
	ds_read_u16 v6, v6
	s_mov_b32 s6, 0xcccd
	v_mul_u32_u24_sdwa v7, v1, s6 dst_sel:DWORD dst_unused:UNUSED_PAD src0_sel:WORD_0 src1_sel:DWORD
	v_lshrrev_b32_e32 v7, 19, v7
	s_waitcnt lgkmcnt(0)
	v_mul_u32_u24_e32 v6, 0xcccd, v6
	v_lshrrev_b32_e32 v6, 19, v6
	v_cmp_ne_u16_e32 vcc, v6, v7
	s_and_b64 s[6:7], vcc, exec
.LBB460_252:
	s_or_b64 exec, exec, s[2:3]
	s_and_b64 s[8:9], s[6:7], exec
	s_or_b64 s[4:5], s[4:5], exec
.LBB460_253:
	s_or_b64 exec, exec, s[10:11]
	s_mov_b32 s10, 1
	v_mov_b32_e32 v9, v25
	v_mov_b32_e32 v30, s10
	s_and_saveexec_b64 s[2:3], s[4:5]
	s_cbranch_execnz .LBB460_116
	s_branch .LBB460_117
.LBB460_254:
	s_and_saveexec_b64 s[42:43], s[30:31]
	s_cbranch_execnz .LBB460_322
; %bb.255:
	s_or_b64 exec, exec, s[42:43]
	s_and_saveexec_b64 s[42:43], s[28:29]
	s_cbranch_execnz .LBB460_323
.LBB460_256:
	s_or_b64 exec, exec, s[42:43]
	s_and_saveexec_b64 s[42:43], s[26:27]
	s_cbranch_execnz .LBB460_324
.LBB460_257:
	s_or_b64 exec, exec, s[42:43]
	s_and_saveexec_b64 s[42:43], s[24:25]
	s_cbranch_execnz .LBB460_325
.LBB460_258:
	s_or_b64 exec, exec, s[42:43]
	s_and_saveexec_b64 s[42:43], s[22:23]
	s_cbranch_execnz .LBB460_326
.LBB460_259:
	s_or_b64 exec, exec, s[42:43]
	s_and_saveexec_b64 s[42:43], s[20:21]
	s_cbranch_execnz .LBB460_327
.LBB460_260:
	s_or_b64 exec, exec, s[42:43]
	s_and_saveexec_b64 s[42:43], s[18:19]
	s_cbranch_execnz .LBB460_328
.LBB460_261:
	s_or_b64 exec, exec, s[42:43]
	s_and_saveexec_b64 s[42:43], s[16:17]
	s_cbranch_execnz .LBB460_329
.LBB460_262:
	s_or_b64 exec, exec, s[42:43]
	s_and_saveexec_b64 s[42:43], s[14:15]
	s_cbranch_execnz .LBB460_330
.LBB460_263:
	s_or_b64 exec, exec, s[42:43]
	s_and_saveexec_b64 s[42:43], s[12:13]
	s_cbranch_execnz .LBB460_331
.LBB460_264:
	s_or_b64 exec, exec, s[42:43]
	s_and_saveexec_b64 s[42:43], s[10:11]
	s_cbranch_execnz .LBB460_332
.LBB460_265:
	s_or_b64 exec, exec, s[42:43]
	s_and_saveexec_b64 s[42:43], s[8:9]
	s_cbranch_execnz .LBB460_333
.LBB460_266:
	s_or_b64 exec, exec, s[42:43]
	s_and_saveexec_b64 s[42:43], s[6:7]
	s_cbranch_execnz .LBB460_334
.LBB460_267:
	s_or_b64 exec, exec, s[42:43]
	s_and_saveexec_b64 s[42:43], s[4:5]
	s_cbranch_execz .LBB460_269
.LBB460_268:
	v_sub_u32_e32 v12, v36, v8
	v_mov_b32_e32 v13, 0
	v_lshlrev_b64 v[12:13], 1, v[12:13]
	v_add_co_u32_e32 v12, vcc, v7, v12
	v_addc_co_u32_e32 v13, vcc, v9, v13, vcc
	global_store_short v[12:13], v16, off
.LBB460_269:
	s_or_b64 exec, exec, s[42:43]
	s_and_b64 s[42:43], s[2:3], exec
	s_andn2_saveexec_b64 s[34:35], s[34:35]
	s_cbranch_execz .LBB460_162
.LBB460_270:
	v_sub_u32_e32 v12, v62, v8
	v_mov_b32_e32 v13, 0
	v_lshlrev_b64 v[70:71], 1, v[12:13]
	v_add_co_u32_e32 v70, vcc, v7, v70
	v_addc_co_u32_e32 v71, vcc, v9, v71, vcc
	v_sub_u32_e32 v12, v60, v8
	global_store_short v[70:71], v1, off
	v_lshlrev_b64 v[70:71], 1, v[12:13]
	v_add_co_u32_e32 v70, vcc, v7, v70
	v_addc_co_u32_e32 v71, vcc, v9, v71, vcc
	v_sub_u32_e32 v12, v58, v8
	global_store_short v[70:71], v2, off
	v_lshlrev_b64 v[70:71], 1, v[12:13]
	v_add_co_u32_e32 v70, vcc, v7, v70
	v_addc_co_u32_e32 v71, vcc, v9, v71, vcc
	v_sub_u32_e32 v12, v56, v8
	global_store_short_d16_hi v[70:71], v2, off
	v_lshlrev_b64 v[70:71], 1, v[12:13]
	v_add_co_u32_e32 v70, vcc, v7, v70
	v_addc_co_u32_e32 v71, vcc, v9, v71, vcc
	v_sub_u32_e32 v12, v54, v8
	global_store_short v[70:71], v3, off
	v_lshlrev_b64 v[70:71], 1, v[12:13]
	v_add_co_u32_e32 v70, vcc, v7, v70
	v_addc_co_u32_e32 v71, vcc, v9, v71, vcc
	v_sub_u32_e32 v12, v52, v8
	global_store_short_d16_hi v[70:71], v3, off
	;; [unrolled: 10-line block ×5, first 2 shown]
	v_lshlrev_b64 v[70:71], 1, v[12:13]
	v_add_co_u32_e32 v70, vcc, v7, v70
	v_addc_co_u32_e32 v71, vcc, v9, v71, vcc
	v_sub_u32_e32 v12, v38, v8
	global_store_short v[70:71], v15, off
	v_lshlrev_b64 v[70:71], 1, v[12:13]
	v_add_co_u32_e32 v70, vcc, v7, v70
	v_sub_u32_e32 v12, v36, v8
	v_addc_co_u32_e32 v71, vcc, v9, v71, vcc
	v_lshlrev_b64 v[12:13], 1, v[12:13]
	v_add_co_u32_e32 v12, vcc, v7, v12
	v_addc_co_u32_e32 v13, vcc, v9, v13, vcc
	s_or_b64 s[42:43], s[42:43], exec
	global_store_short_d16_hi v[70:71], v15, off
	global_store_short v[12:13], v16, off
	s_or_b64 exec, exec, s[34:35]
	s_and_b64 exec, exec, s[42:43]
	s_cbranch_execnz .LBB460_163
	s_branch .LBB460_164
.LBB460_271:
	s_and_saveexec_b64 s[42:43], s[30:31]
	s_cbranch_execnz .LBB460_335
; %bb.272:
	s_or_b64 exec, exec, s[42:43]
	s_and_saveexec_b64 s[30:31], s[28:29]
	s_cbranch_execnz .LBB460_336
.LBB460_273:
	s_or_b64 exec, exec, s[30:31]
	s_and_saveexec_b64 s[28:29], s[26:27]
	s_cbranch_execnz .LBB460_337
.LBB460_274:
	s_or_b64 exec, exec, s[28:29]
	s_and_saveexec_b64 s[26:27], s[24:25]
	s_cbranch_execnz .LBB460_338
.LBB460_275:
	s_or_b64 exec, exec, s[26:27]
	s_and_saveexec_b64 s[24:25], s[22:23]
	s_cbranch_execnz .LBB460_339
.LBB460_276:
	s_or_b64 exec, exec, s[24:25]
	s_and_saveexec_b64 s[22:23], s[20:21]
	s_cbranch_execnz .LBB460_340
.LBB460_277:
	s_or_b64 exec, exec, s[22:23]
	s_and_saveexec_b64 s[20:21], s[18:19]
	s_cbranch_execnz .LBB460_341
.LBB460_278:
	s_or_b64 exec, exec, s[20:21]
	s_and_saveexec_b64 s[18:19], s[16:17]
	s_cbranch_execnz .LBB460_342
.LBB460_279:
	s_or_b64 exec, exec, s[18:19]
	s_and_saveexec_b64 s[16:17], s[14:15]
	s_cbranch_execnz .LBB460_343
.LBB460_280:
	s_or_b64 exec, exec, s[16:17]
	s_and_saveexec_b64 s[14:15], s[12:13]
	s_cbranch_execnz .LBB460_344
.LBB460_281:
	s_or_b64 exec, exec, s[14:15]
	s_and_saveexec_b64 s[12:13], s[10:11]
	s_cbranch_execnz .LBB460_345
.LBB460_282:
	s_or_b64 exec, exec, s[12:13]
	s_and_saveexec_b64 s[10:11], s[8:9]
	s_cbranch_execnz .LBB460_346
.LBB460_283:
	s_or_b64 exec, exec, s[10:11]
	s_and_saveexec_b64 s[8:9], s[6:7]
	s_cbranch_execnz .LBB460_347
.LBB460_284:
	s_or_b64 exec, exec, s[8:9]
	s_and_saveexec_b64 s[6:7], s[4:5]
	s_cbranch_execz .LBB460_286
.LBB460_285:
	v_sub_u32_e32 v1, v36, v8
	v_lshlrev_b32_e32 v1, 1, v1
	ds_write_b16 v1, v16
.LBB460_286:
	s_or_b64 exec, exec, s[6:7]
	s_and_b64 s[42:43], s[2:3], exec
                                        ; implicit-def: $vgpr1
                                        ; implicit-def: $vgpr2
	s_andn2_saveexec_b64 s[2:3], s[40:41]
	s_cbranch_execz .LBB460_169
.LBB460_287:
	v_sub_u32_e32 v10, v62, v8
	v_lshlrev_b32_e32 v10, 1, v10
	ds_write_b16 v10, v1
	v_sub_u32_e32 v1, v60, v8
	v_lshlrev_b32_e32 v1, 1, v1
	ds_write_b16 v1, v2
	v_sub_u32_e32 v1, v58, v8
	v_lshlrev_b32_e32 v1, 1, v1
	ds_write_b16_d16_hi v1, v2
	v_sub_u32_e32 v1, v56, v8
	v_lshlrev_b32_e32 v1, 1, v1
	ds_write_b16 v1, v3
	v_sub_u32_e32 v1, v54, v8
	v_lshlrev_b32_e32 v1, 1, v1
	ds_write_b16_d16_hi v1, v3
	;; [unrolled: 6-line block ×6, first 2 shown]
	v_sub_u32_e32 v1, v36, v8
	v_lshlrev_b32_e32 v1, 1, v1
	s_or_b64 s[42:43], s[42:43], exec
	ds_write_b16 v1, v16
	s_or_b64 exec, exec, s[2:3]
	s_and_b64 exec, exec, s[42:43]
	s_cbranch_execnz .LBB460_170
	s_branch .LBB460_171
.LBB460_288:
	s_and_saveexec_b64 s[38:39], s[28:29]
	s_cbranch_execnz .LBB460_348
; %bb.289:
	s_or_b64 exec, exec, s[38:39]
	s_and_saveexec_b64 s[38:39], s[26:27]
	s_cbranch_execnz .LBB460_349
.LBB460_290:
	s_or_b64 exec, exec, s[38:39]
	s_and_saveexec_b64 s[38:39], s[24:25]
	s_cbranch_execnz .LBB460_350
.LBB460_291:
	s_or_b64 exec, exec, s[38:39]
	s_and_saveexec_b64 s[38:39], s[22:23]
	s_cbranch_execnz .LBB460_351
.LBB460_292:
	s_or_b64 exec, exec, s[38:39]
	s_and_saveexec_b64 s[38:39], s[20:21]
	s_cbranch_execnz .LBB460_352
.LBB460_293:
	s_or_b64 exec, exec, s[38:39]
	s_and_saveexec_b64 s[38:39], s[18:19]
	s_cbranch_execnz .LBB460_353
.LBB460_294:
	s_or_b64 exec, exec, s[38:39]
	s_and_saveexec_b64 s[38:39], s[16:17]
	s_cbranch_execnz .LBB460_354
.LBB460_295:
	s_or_b64 exec, exec, s[38:39]
	s_and_saveexec_b64 s[38:39], s[14:15]
	s_cbranch_execnz .LBB460_355
.LBB460_296:
	s_or_b64 exec, exec, s[38:39]
	s_and_saveexec_b64 s[38:39], s[12:13]
	s_cbranch_execnz .LBB460_356
.LBB460_297:
	s_or_b64 exec, exec, s[38:39]
	s_and_saveexec_b64 s[38:39], s[10:11]
	s_cbranch_execnz .LBB460_357
.LBB460_298:
	s_or_b64 exec, exec, s[38:39]
	s_and_saveexec_b64 s[38:39], s[8:9]
	s_cbranch_execnz .LBB460_358
.LBB460_299:
	s_or_b64 exec, exec, s[38:39]
	s_and_saveexec_b64 s[38:39], s[6:7]
	s_cbranch_execnz .LBB460_359
.LBB460_300:
	s_or_b64 exec, exec, s[38:39]
	s_and_saveexec_b64 s[38:39], s[4:5]
	s_cbranch_execnz .LBB460_360
.LBB460_301:
	s_or_b64 exec, exec, s[38:39]
	s_and_saveexec_b64 s[38:39], s[2:3]
	s_cbranch_execz .LBB460_303
.LBB460_302:
	v_sub_u32_e32 v10, v36, v3
	v_mov_b32_e32 v11, 0
	v_lshlrev_b64 v[10:11], 1, v[10:11]
	v_add_co_u32_e32 v10, vcc, v15, v10
	v_addc_co_u32_e32 v11, vcc, v16, v11, vcc
	global_store_short v[10:11], v37, off
.LBB460_303:
	s_or_b64 exec, exec, s[38:39]
	s_and_b64 s[38:39], s[0:1], exec
	s_andn2_saveexec_b64 s[30:31], s[30:31]
	s_cbranch_execz .LBB460_191
.LBB460_304:
	v_sub_u32_e32 v10, v62, v3
	v_mov_b32_e32 v11, 0
	v_lshlrev_b64 v[12:13], 1, v[10:11]
	v_add_co_u32_e32 v12, vcc, v15, v12
	v_addc_co_u32_e32 v13, vcc, v16, v13, vcc
	v_sub_u32_e32 v10, v60, v3
	global_store_short v[12:13], v63, off
	v_lshlrev_b64 v[12:13], 1, v[10:11]
	v_add_co_u32_e32 v12, vcc, v15, v12
	v_addc_co_u32_e32 v13, vcc, v16, v13, vcc
	v_sub_u32_e32 v10, v58, v3
	global_store_short v[12:13], v61, off
	;; [unrolled: 5-line block ×12, first 2 shown]
	v_lshlrev_b64 v[12:13], 1, v[10:11]
	v_add_co_u32_e32 v12, vcc, v15, v12
	v_sub_u32_e32 v10, v36, v3
	v_addc_co_u32_e32 v13, vcc, v16, v13, vcc
	v_lshlrev_b64 v[10:11], 1, v[10:11]
	v_add_co_u32_e32 v10, vcc, v15, v10
	v_addc_co_u32_e32 v11, vcc, v16, v11, vcc
	s_or_b64 s[38:39], s[38:39], exec
	global_store_short v[12:13], v39, off
	global_store_short v[10:11], v37, off
	s_or_b64 exec, exec, s[30:31]
	s_and_b64 exec, exec, s[38:39]
	s_cbranch_execnz .LBB460_192
	s_branch .LBB460_193
.LBB460_305:
	s_and_saveexec_b64 s[38:39], s[28:29]
	s_cbranch_execnz .LBB460_361
; %bb.306:
	s_or_b64 exec, exec, s[38:39]
	s_and_saveexec_b64 s[28:29], s[26:27]
	s_cbranch_execnz .LBB460_362
.LBB460_307:
	s_or_b64 exec, exec, s[28:29]
	s_and_saveexec_b64 s[26:27], s[24:25]
	s_cbranch_execnz .LBB460_363
.LBB460_308:
	s_or_b64 exec, exec, s[26:27]
	s_and_saveexec_b64 s[24:25], s[22:23]
	s_cbranch_execnz .LBB460_364
.LBB460_309:
	s_or_b64 exec, exec, s[24:25]
	s_and_saveexec_b64 s[22:23], s[20:21]
	s_cbranch_execnz .LBB460_365
.LBB460_310:
	s_or_b64 exec, exec, s[22:23]
	s_and_saveexec_b64 s[20:21], s[18:19]
	s_cbranch_execnz .LBB460_366
.LBB460_311:
	s_or_b64 exec, exec, s[20:21]
	s_and_saveexec_b64 s[18:19], s[16:17]
	s_cbranch_execnz .LBB460_367
.LBB460_312:
	s_or_b64 exec, exec, s[18:19]
	s_and_saveexec_b64 s[16:17], s[14:15]
	s_cbranch_execnz .LBB460_368
.LBB460_313:
	s_or_b64 exec, exec, s[16:17]
	s_and_saveexec_b64 s[14:15], s[12:13]
	s_cbranch_execnz .LBB460_369
.LBB460_314:
	s_or_b64 exec, exec, s[14:15]
	s_and_saveexec_b64 s[12:13], s[10:11]
	s_cbranch_execnz .LBB460_370
.LBB460_315:
	s_or_b64 exec, exec, s[12:13]
	s_and_saveexec_b64 s[10:11], s[8:9]
	s_cbranch_execnz .LBB460_371
.LBB460_316:
	s_or_b64 exec, exec, s[10:11]
	s_and_saveexec_b64 s[8:9], s[6:7]
	s_cbranch_execnz .LBB460_372
.LBB460_317:
	s_or_b64 exec, exec, s[8:9]
	s_and_saveexec_b64 s[6:7], s[4:5]
	s_cbranch_execnz .LBB460_373
.LBB460_318:
	s_or_b64 exec, exec, s[6:7]
	s_and_saveexec_b64 s[4:5], s[2:3]
	s_cbranch_execz .LBB460_320
.LBB460_319:
	v_sub_u32_e32 v4, v36, v3
	v_lshlrev_b32_e32 v4, 1, v4
	ds_write_b16 v4, v37
.LBB460_320:
	s_or_b64 exec, exec, s[4:5]
	s_and_b64 s[38:39], s[0:1], exec
                                        ; implicit-def: $vgpr62_vgpr63
                                        ; implicit-def: $vgpr60_vgpr61
                                        ; implicit-def: $vgpr58_vgpr59
                                        ; implicit-def: $vgpr56_vgpr57
                                        ; implicit-def: $vgpr54_vgpr55
                                        ; implicit-def: $vgpr52_vgpr53
                                        ; implicit-def: $vgpr50_vgpr51
                                        ; implicit-def: $vgpr48_vgpr49
                                        ; implicit-def: $vgpr46_vgpr47
                                        ; implicit-def: $vgpr44_vgpr45
                                        ; implicit-def: $vgpr42_vgpr43
                                        ; implicit-def: $vgpr40_vgpr41
                                        ; implicit-def: $vgpr38_vgpr39
                                        ; implicit-def: $vgpr36_vgpr37
	s_andn2_saveexec_b64 s[0:1], s[34:35]
	s_cbranch_execz .LBB460_198
.LBB460_321:
	v_sub_u32_e32 v4, v62, v3
	v_lshlrev_b32_e32 v4, 1, v4
	ds_write_b16 v4, v63
	v_sub_u32_e32 v4, v60, v3
	v_lshlrev_b32_e32 v4, 1, v4
	ds_write_b16 v4, v61
	;; [unrolled: 3-line block ×13, first 2 shown]
	v_sub_u32_e32 v4, v36, v3
	v_lshlrev_b32_e32 v4, 1, v4
	s_or_b64 s[38:39], s[38:39], exec
	ds_write_b16 v4, v37
	s_or_b64 exec, exec, s[0:1]
	s_and_b64 exec, exec, s[38:39]
	s_cbranch_execnz .LBB460_199
	s_branch .LBB460_200
.LBB460_322:
	v_sub_u32_e32 v12, v62, v8
	v_mov_b32_e32 v13, 0
	v_lshlrev_b64 v[12:13], 1, v[12:13]
	v_add_co_u32_e32 v12, vcc, v7, v12
	v_addc_co_u32_e32 v13, vcc, v9, v13, vcc
	global_store_short v[12:13], v1, off
	s_or_b64 exec, exec, s[42:43]
	s_and_saveexec_b64 s[42:43], s[28:29]
	s_cbranch_execz .LBB460_256
.LBB460_323:
	v_sub_u32_e32 v12, v60, v8
	v_mov_b32_e32 v13, 0
	v_lshlrev_b64 v[12:13], 1, v[12:13]
	v_add_co_u32_e32 v12, vcc, v7, v12
	v_addc_co_u32_e32 v13, vcc, v9, v13, vcc
	global_store_short v[12:13], v2, off
	s_or_b64 exec, exec, s[42:43]
	s_and_saveexec_b64 s[42:43], s[26:27]
	s_cbranch_execz .LBB460_257
.LBB460_324:
	v_sub_u32_e32 v12, v58, v8
	v_mov_b32_e32 v13, 0
	v_lshlrev_b64 v[12:13], 1, v[12:13]
	v_add_co_u32_e32 v12, vcc, v7, v12
	v_addc_co_u32_e32 v13, vcc, v9, v13, vcc
	global_store_short_d16_hi v[12:13], v2, off
	s_or_b64 exec, exec, s[42:43]
	s_and_saveexec_b64 s[42:43], s[24:25]
	s_cbranch_execz .LBB460_258
.LBB460_325:
	v_sub_u32_e32 v12, v56, v8
	v_mov_b32_e32 v13, 0
	v_lshlrev_b64 v[12:13], 1, v[12:13]
	v_add_co_u32_e32 v12, vcc, v7, v12
	v_addc_co_u32_e32 v13, vcc, v9, v13, vcc
	global_store_short v[12:13], v3, off
	s_or_b64 exec, exec, s[42:43]
	s_and_saveexec_b64 s[42:43], s[22:23]
	s_cbranch_execz .LBB460_259
.LBB460_326:
	v_sub_u32_e32 v12, v54, v8
	v_mov_b32_e32 v13, 0
	v_lshlrev_b64 v[12:13], 1, v[12:13]
	v_add_co_u32_e32 v12, vcc, v7, v12
	v_addc_co_u32_e32 v13, vcc, v9, v13, vcc
	global_store_short_d16_hi v[12:13], v3, off
	s_or_b64 exec, exec, s[42:43]
	s_and_saveexec_b64 s[42:43], s[20:21]
	s_cbranch_execz .LBB460_260
.LBB460_327:
	v_sub_u32_e32 v12, v52, v8
	v_mov_b32_e32 v13, 0
	v_lshlrev_b64 v[12:13], 1, v[12:13]
	v_add_co_u32_e32 v12, vcc, v7, v12
	v_addc_co_u32_e32 v13, vcc, v9, v13, vcc
	global_store_short v[12:13], v4, off
	s_or_b64 exec, exec, s[42:43]
	s_and_saveexec_b64 s[42:43], s[18:19]
	s_cbranch_execz .LBB460_261
.LBB460_328:
	v_sub_u32_e32 v12, v50, v8
	v_mov_b32_e32 v13, 0
	v_lshlrev_b64 v[12:13], 1, v[12:13]
	v_add_co_u32_e32 v12, vcc, v7, v12
	v_addc_co_u32_e32 v13, vcc, v9, v13, vcc
	global_store_short_d16_hi v[12:13], v4, off
	s_or_b64 exec, exec, s[42:43]
	s_and_saveexec_b64 s[42:43], s[16:17]
	s_cbranch_execz .LBB460_262
.LBB460_329:
	v_sub_u32_e32 v12, v48, v8
	v_mov_b32_e32 v13, 0
	v_lshlrev_b64 v[12:13], 1, v[12:13]
	v_add_co_u32_e32 v12, vcc, v7, v12
	v_addc_co_u32_e32 v13, vcc, v9, v13, vcc
	global_store_short v[12:13], v5, off
	s_or_b64 exec, exec, s[42:43]
	s_and_saveexec_b64 s[42:43], s[14:15]
	s_cbranch_execz .LBB460_263
.LBB460_330:
	v_sub_u32_e32 v12, v46, v8
	v_mov_b32_e32 v13, 0
	v_lshlrev_b64 v[12:13], 1, v[12:13]
	v_add_co_u32_e32 v12, vcc, v7, v12
	v_addc_co_u32_e32 v13, vcc, v9, v13, vcc
	global_store_short_d16_hi v[12:13], v5, off
	s_or_b64 exec, exec, s[42:43]
	s_and_saveexec_b64 s[42:43], s[12:13]
	s_cbranch_execz .LBB460_264
.LBB460_331:
	v_sub_u32_e32 v12, v44, v8
	v_mov_b32_e32 v13, 0
	v_lshlrev_b64 v[12:13], 1, v[12:13]
	v_add_co_u32_e32 v12, vcc, v7, v12
	v_addc_co_u32_e32 v13, vcc, v9, v13, vcc
	global_store_short v[12:13], v14, off
	s_or_b64 exec, exec, s[42:43]
	s_and_saveexec_b64 s[42:43], s[10:11]
	s_cbranch_execz .LBB460_265
.LBB460_332:
	v_sub_u32_e32 v12, v42, v8
	v_mov_b32_e32 v13, 0
	v_lshlrev_b64 v[12:13], 1, v[12:13]
	v_add_co_u32_e32 v12, vcc, v7, v12
	v_addc_co_u32_e32 v13, vcc, v9, v13, vcc
	global_store_short_d16_hi v[12:13], v14, off
	s_or_b64 exec, exec, s[42:43]
	s_and_saveexec_b64 s[42:43], s[8:9]
	s_cbranch_execz .LBB460_266
.LBB460_333:
	v_sub_u32_e32 v12, v40, v8
	v_mov_b32_e32 v13, 0
	v_lshlrev_b64 v[12:13], 1, v[12:13]
	v_add_co_u32_e32 v12, vcc, v7, v12
	v_addc_co_u32_e32 v13, vcc, v9, v13, vcc
	global_store_short v[12:13], v15, off
	s_or_b64 exec, exec, s[42:43]
	s_and_saveexec_b64 s[42:43], s[6:7]
	s_cbranch_execz .LBB460_267
.LBB460_334:
	v_sub_u32_e32 v12, v38, v8
	v_mov_b32_e32 v13, 0
	v_lshlrev_b64 v[12:13], 1, v[12:13]
	v_add_co_u32_e32 v12, vcc, v7, v12
	v_addc_co_u32_e32 v13, vcc, v9, v13, vcc
	global_store_short_d16_hi v[12:13], v15, off
	s_or_b64 exec, exec, s[42:43]
	s_and_saveexec_b64 s[42:43], s[4:5]
	s_cbranch_execnz .LBB460_268
	s_branch .LBB460_269
.LBB460_335:
	v_sub_u32_e32 v10, v62, v8
	v_lshlrev_b32_e32 v10, 1, v10
	ds_write_b16 v10, v1
	s_or_b64 exec, exec, s[42:43]
	s_and_saveexec_b64 s[30:31], s[28:29]
	s_cbranch_execz .LBB460_273
.LBB460_336:
	v_sub_u32_e32 v1, v60, v8
	v_lshlrev_b32_e32 v1, 1, v1
	ds_write_b16 v1, v2
	s_or_b64 exec, exec, s[30:31]
	s_and_saveexec_b64 s[28:29], s[26:27]
	s_cbranch_execz .LBB460_274
.LBB460_337:
	v_sub_u32_e32 v1, v58, v8
	v_lshlrev_b32_e32 v1, 1, v1
	ds_write_b16_d16_hi v1, v2
	s_or_b64 exec, exec, s[28:29]
	s_and_saveexec_b64 s[26:27], s[24:25]
	s_cbranch_execz .LBB460_275
.LBB460_338:
	v_sub_u32_e32 v1, v56, v8
	v_lshlrev_b32_e32 v1, 1, v1
	ds_write_b16 v1, v3
	s_or_b64 exec, exec, s[26:27]
	s_and_saveexec_b64 s[24:25], s[22:23]
	s_cbranch_execz .LBB460_276
.LBB460_339:
	v_sub_u32_e32 v1, v54, v8
	v_lshlrev_b32_e32 v1, 1, v1
	ds_write_b16_d16_hi v1, v3
	s_or_b64 exec, exec, s[24:25]
	s_and_saveexec_b64 s[22:23], s[20:21]
	s_cbranch_execz .LBB460_277
.LBB460_340:
	v_sub_u32_e32 v1, v52, v8
	v_lshlrev_b32_e32 v1, 1, v1
	ds_write_b16 v1, v4
	s_or_b64 exec, exec, s[22:23]
	s_and_saveexec_b64 s[20:21], s[18:19]
	s_cbranch_execz .LBB460_278
.LBB460_341:
	v_sub_u32_e32 v1, v50, v8
	v_lshlrev_b32_e32 v1, 1, v1
	ds_write_b16_d16_hi v1, v4
	s_or_b64 exec, exec, s[20:21]
	s_and_saveexec_b64 s[18:19], s[16:17]
	s_cbranch_execz .LBB460_279
.LBB460_342:
	v_sub_u32_e32 v1, v48, v8
	v_lshlrev_b32_e32 v1, 1, v1
	ds_write_b16 v1, v5
	s_or_b64 exec, exec, s[18:19]
	s_and_saveexec_b64 s[16:17], s[14:15]
	s_cbranch_execz .LBB460_280
.LBB460_343:
	v_sub_u32_e32 v1, v46, v8
	v_lshlrev_b32_e32 v1, 1, v1
	ds_write_b16_d16_hi v1, v5
	s_or_b64 exec, exec, s[16:17]
	s_and_saveexec_b64 s[14:15], s[12:13]
	s_cbranch_execz .LBB460_281
.LBB460_344:
	v_sub_u32_e32 v1, v44, v8
	v_lshlrev_b32_e32 v1, 1, v1
	ds_write_b16 v1, v14
	s_or_b64 exec, exec, s[14:15]
	s_and_saveexec_b64 s[12:13], s[10:11]
	s_cbranch_execz .LBB460_282
.LBB460_345:
	v_sub_u32_e32 v1, v42, v8
	v_lshlrev_b32_e32 v1, 1, v1
	ds_write_b16_d16_hi v1, v14
	s_or_b64 exec, exec, s[12:13]
	s_and_saveexec_b64 s[10:11], s[8:9]
	s_cbranch_execz .LBB460_283
.LBB460_346:
	v_sub_u32_e32 v1, v40, v8
	v_lshlrev_b32_e32 v1, 1, v1
	ds_write_b16 v1, v15
	s_or_b64 exec, exec, s[10:11]
	s_and_saveexec_b64 s[8:9], s[6:7]
	s_cbranch_execz .LBB460_284
.LBB460_347:
	v_sub_u32_e32 v1, v38, v8
	v_lshlrev_b32_e32 v1, 1, v1
	ds_write_b16_d16_hi v1, v15
	s_or_b64 exec, exec, s[8:9]
	s_and_saveexec_b64 s[6:7], s[4:5]
	s_cbranch_execnz .LBB460_285
	s_branch .LBB460_286
.LBB460_348:
	v_sub_u32_e32 v10, v62, v3
	v_mov_b32_e32 v11, 0
	v_lshlrev_b64 v[10:11], 1, v[10:11]
	v_add_co_u32_e32 v10, vcc, v15, v10
	v_addc_co_u32_e32 v11, vcc, v16, v11, vcc
	global_store_short v[10:11], v63, off
	s_or_b64 exec, exec, s[38:39]
	s_and_saveexec_b64 s[38:39], s[26:27]
	s_cbranch_execz .LBB460_290
.LBB460_349:
	v_sub_u32_e32 v10, v60, v3
	v_mov_b32_e32 v11, 0
	v_lshlrev_b64 v[10:11], 1, v[10:11]
	v_add_co_u32_e32 v10, vcc, v15, v10
	v_addc_co_u32_e32 v11, vcc, v16, v11, vcc
	global_store_short v[10:11], v61, off
	s_or_b64 exec, exec, s[38:39]
	s_and_saveexec_b64 s[38:39], s[24:25]
	s_cbranch_execz .LBB460_291
.LBB460_350:
	v_sub_u32_e32 v10, v58, v3
	v_mov_b32_e32 v11, 0
	v_lshlrev_b64 v[10:11], 1, v[10:11]
	v_add_co_u32_e32 v10, vcc, v15, v10
	v_addc_co_u32_e32 v11, vcc, v16, v11, vcc
	global_store_short v[10:11], v59, off
	s_or_b64 exec, exec, s[38:39]
	s_and_saveexec_b64 s[38:39], s[22:23]
	s_cbranch_execz .LBB460_292
.LBB460_351:
	v_sub_u32_e32 v10, v56, v3
	v_mov_b32_e32 v11, 0
	v_lshlrev_b64 v[10:11], 1, v[10:11]
	v_add_co_u32_e32 v10, vcc, v15, v10
	v_addc_co_u32_e32 v11, vcc, v16, v11, vcc
	global_store_short v[10:11], v57, off
	s_or_b64 exec, exec, s[38:39]
	s_and_saveexec_b64 s[38:39], s[20:21]
	s_cbranch_execz .LBB460_293
.LBB460_352:
	v_sub_u32_e32 v10, v54, v3
	v_mov_b32_e32 v11, 0
	v_lshlrev_b64 v[10:11], 1, v[10:11]
	v_add_co_u32_e32 v10, vcc, v15, v10
	v_addc_co_u32_e32 v11, vcc, v16, v11, vcc
	global_store_short v[10:11], v55, off
	s_or_b64 exec, exec, s[38:39]
	s_and_saveexec_b64 s[38:39], s[18:19]
	s_cbranch_execz .LBB460_294
.LBB460_353:
	v_sub_u32_e32 v10, v52, v3
	v_mov_b32_e32 v11, 0
	v_lshlrev_b64 v[10:11], 1, v[10:11]
	v_add_co_u32_e32 v10, vcc, v15, v10
	v_addc_co_u32_e32 v11, vcc, v16, v11, vcc
	global_store_short v[10:11], v53, off
	s_or_b64 exec, exec, s[38:39]
	s_and_saveexec_b64 s[38:39], s[16:17]
	s_cbranch_execz .LBB460_295
.LBB460_354:
	v_sub_u32_e32 v10, v50, v3
	v_mov_b32_e32 v11, 0
	v_lshlrev_b64 v[10:11], 1, v[10:11]
	v_add_co_u32_e32 v10, vcc, v15, v10
	v_addc_co_u32_e32 v11, vcc, v16, v11, vcc
	global_store_short v[10:11], v51, off
	s_or_b64 exec, exec, s[38:39]
	s_and_saveexec_b64 s[38:39], s[14:15]
	s_cbranch_execz .LBB460_296
.LBB460_355:
	v_sub_u32_e32 v10, v48, v3
	v_mov_b32_e32 v11, 0
	v_lshlrev_b64 v[10:11], 1, v[10:11]
	v_add_co_u32_e32 v10, vcc, v15, v10
	v_addc_co_u32_e32 v11, vcc, v16, v11, vcc
	global_store_short v[10:11], v49, off
	s_or_b64 exec, exec, s[38:39]
	s_and_saveexec_b64 s[38:39], s[12:13]
	s_cbranch_execz .LBB460_297
.LBB460_356:
	v_sub_u32_e32 v10, v46, v3
	v_mov_b32_e32 v11, 0
	v_lshlrev_b64 v[10:11], 1, v[10:11]
	v_add_co_u32_e32 v10, vcc, v15, v10
	v_addc_co_u32_e32 v11, vcc, v16, v11, vcc
	global_store_short v[10:11], v47, off
	s_or_b64 exec, exec, s[38:39]
	s_and_saveexec_b64 s[38:39], s[10:11]
	s_cbranch_execz .LBB460_298
.LBB460_357:
	v_sub_u32_e32 v10, v44, v3
	v_mov_b32_e32 v11, 0
	v_lshlrev_b64 v[10:11], 1, v[10:11]
	v_add_co_u32_e32 v10, vcc, v15, v10
	v_addc_co_u32_e32 v11, vcc, v16, v11, vcc
	global_store_short v[10:11], v45, off
	s_or_b64 exec, exec, s[38:39]
	s_and_saveexec_b64 s[38:39], s[8:9]
	s_cbranch_execz .LBB460_299
.LBB460_358:
	v_sub_u32_e32 v10, v42, v3
	v_mov_b32_e32 v11, 0
	v_lshlrev_b64 v[10:11], 1, v[10:11]
	v_add_co_u32_e32 v10, vcc, v15, v10
	v_addc_co_u32_e32 v11, vcc, v16, v11, vcc
	global_store_short v[10:11], v43, off
	s_or_b64 exec, exec, s[38:39]
	s_and_saveexec_b64 s[38:39], s[6:7]
	s_cbranch_execz .LBB460_300
.LBB460_359:
	v_sub_u32_e32 v10, v40, v3
	v_mov_b32_e32 v11, 0
	v_lshlrev_b64 v[10:11], 1, v[10:11]
	v_add_co_u32_e32 v10, vcc, v15, v10
	v_addc_co_u32_e32 v11, vcc, v16, v11, vcc
	global_store_short v[10:11], v41, off
	s_or_b64 exec, exec, s[38:39]
	s_and_saveexec_b64 s[38:39], s[4:5]
	s_cbranch_execz .LBB460_301
.LBB460_360:
	v_sub_u32_e32 v10, v38, v3
	v_mov_b32_e32 v11, 0
	v_lshlrev_b64 v[10:11], 1, v[10:11]
	v_add_co_u32_e32 v10, vcc, v15, v10
	v_addc_co_u32_e32 v11, vcc, v16, v11, vcc
	global_store_short v[10:11], v39, off
	s_or_b64 exec, exec, s[38:39]
	s_and_saveexec_b64 s[38:39], s[2:3]
	s_cbranch_execnz .LBB460_302
	s_branch .LBB460_303
.LBB460_361:
	v_sub_u32_e32 v4, v62, v3
	v_lshlrev_b32_e32 v4, 1, v4
	ds_write_b16 v4, v63
	s_or_b64 exec, exec, s[38:39]
	s_and_saveexec_b64 s[28:29], s[26:27]
	s_cbranch_execz .LBB460_307
.LBB460_362:
	v_sub_u32_e32 v4, v60, v3
	v_lshlrev_b32_e32 v4, 1, v4
	ds_write_b16 v4, v61
	s_or_b64 exec, exec, s[28:29]
	s_and_saveexec_b64 s[26:27], s[24:25]
	s_cbranch_execz .LBB460_308
.LBB460_363:
	v_sub_u32_e32 v4, v58, v3
	v_lshlrev_b32_e32 v4, 1, v4
	ds_write_b16 v4, v59
	s_or_b64 exec, exec, s[26:27]
	s_and_saveexec_b64 s[24:25], s[22:23]
	s_cbranch_execz .LBB460_309
.LBB460_364:
	v_sub_u32_e32 v4, v56, v3
	v_lshlrev_b32_e32 v4, 1, v4
	ds_write_b16 v4, v57
	s_or_b64 exec, exec, s[24:25]
	s_and_saveexec_b64 s[22:23], s[20:21]
	s_cbranch_execz .LBB460_310
.LBB460_365:
	v_sub_u32_e32 v4, v54, v3
	v_lshlrev_b32_e32 v4, 1, v4
	ds_write_b16 v4, v55
	s_or_b64 exec, exec, s[22:23]
	s_and_saveexec_b64 s[20:21], s[18:19]
	s_cbranch_execz .LBB460_311
.LBB460_366:
	v_sub_u32_e32 v4, v52, v3
	v_lshlrev_b32_e32 v4, 1, v4
	ds_write_b16 v4, v53
	s_or_b64 exec, exec, s[20:21]
	s_and_saveexec_b64 s[18:19], s[16:17]
	s_cbranch_execz .LBB460_312
.LBB460_367:
	v_sub_u32_e32 v4, v50, v3
	v_lshlrev_b32_e32 v4, 1, v4
	ds_write_b16 v4, v51
	s_or_b64 exec, exec, s[18:19]
	s_and_saveexec_b64 s[16:17], s[14:15]
	s_cbranch_execz .LBB460_313
.LBB460_368:
	v_sub_u32_e32 v4, v48, v3
	v_lshlrev_b32_e32 v4, 1, v4
	ds_write_b16 v4, v49
	s_or_b64 exec, exec, s[16:17]
	s_and_saveexec_b64 s[14:15], s[12:13]
	s_cbranch_execz .LBB460_314
.LBB460_369:
	v_sub_u32_e32 v4, v46, v3
	v_lshlrev_b32_e32 v4, 1, v4
	ds_write_b16 v4, v47
	s_or_b64 exec, exec, s[14:15]
	s_and_saveexec_b64 s[12:13], s[10:11]
	s_cbranch_execz .LBB460_315
.LBB460_370:
	v_sub_u32_e32 v4, v44, v3
	v_lshlrev_b32_e32 v4, 1, v4
	ds_write_b16 v4, v45
	s_or_b64 exec, exec, s[12:13]
	s_and_saveexec_b64 s[10:11], s[8:9]
	s_cbranch_execz .LBB460_316
.LBB460_371:
	v_sub_u32_e32 v4, v42, v3
	v_lshlrev_b32_e32 v4, 1, v4
	ds_write_b16 v4, v43
	s_or_b64 exec, exec, s[10:11]
	s_and_saveexec_b64 s[8:9], s[6:7]
	s_cbranch_execz .LBB460_317
.LBB460_372:
	v_sub_u32_e32 v4, v40, v3
	v_lshlrev_b32_e32 v4, 1, v4
	ds_write_b16 v4, v41
	s_or_b64 exec, exec, s[8:9]
	s_and_saveexec_b64 s[6:7], s[4:5]
	s_cbranch_execz .LBB460_318
.LBB460_373:
	v_sub_u32_e32 v4, v38, v3
	v_lshlrev_b32_e32 v4, 1, v4
	ds_write_b16 v4, v39
	s_or_b64 exec, exec, s[6:7]
	s_and_saveexec_b64 s[4:5], s[2:3]
	s_cbranch_execnz .LBB460_319
	s_branch .LBB460_320
	.section	.rodata,"a",@progbits
	.p2align	6, 0x0
	.amdhsa_kernel _ZN7rocprim17ROCPRIM_400000_NS6detail17trampoline_kernelINS0_14default_configENS1_29reduce_by_key_config_selectorIttN6thrust23THRUST_200600_302600_NS4plusItEEEEZZNS1_33reduce_by_key_impl_wrapped_configILNS1_25lookback_scan_determinismE0ES3_S9_NS6_6detail15normal_iteratorINS6_10device_ptrItEEEESG_SG_SG_PmS8_22is_equal_div_10_reduceItEEE10hipError_tPvRmT2_T3_mT4_T5_T6_T7_T8_P12ihipStream_tbENKUlT_T0_E_clISt17integral_constantIbLb0EES10_IbLb1EEEEDaSW_SX_EUlSW_E_NS1_11comp_targetILNS1_3genE4ELNS1_11target_archE910ELNS1_3gpuE8ELNS1_3repE0EEENS1_30default_config_static_selectorELNS0_4arch9wavefront6targetE1EEEvT1_
		.amdhsa_group_segment_fixed_size 7680
		.amdhsa_private_segment_fixed_size 0
		.amdhsa_kernarg_size 120
		.amdhsa_user_sgpr_count 6
		.amdhsa_user_sgpr_private_segment_buffer 1
		.amdhsa_user_sgpr_dispatch_ptr 0
		.amdhsa_user_sgpr_queue_ptr 0
		.amdhsa_user_sgpr_kernarg_segment_ptr 1
		.amdhsa_user_sgpr_dispatch_id 0
		.amdhsa_user_sgpr_flat_scratch_init 0
		.amdhsa_user_sgpr_kernarg_preload_length 0
		.amdhsa_user_sgpr_kernarg_preload_offset 0
		.amdhsa_user_sgpr_private_segment_size 0
		.amdhsa_uses_dynamic_stack 0
		.amdhsa_system_sgpr_private_segment_wavefront_offset 0
		.amdhsa_system_sgpr_workgroup_id_x 1
		.amdhsa_system_sgpr_workgroup_id_y 0
		.amdhsa_system_sgpr_workgroup_id_z 0
		.amdhsa_system_sgpr_workgroup_info 0
		.amdhsa_system_vgpr_workitem_id 0
		.amdhsa_next_free_vgpr 111
		.amdhsa_next_free_sgpr 66
		.amdhsa_accum_offset 112
		.amdhsa_reserve_vcc 1
		.amdhsa_reserve_flat_scratch 0
		.amdhsa_float_round_mode_32 0
		.amdhsa_float_round_mode_16_64 0
		.amdhsa_float_denorm_mode_32 3
		.amdhsa_float_denorm_mode_16_64 3
		.amdhsa_dx10_clamp 1
		.amdhsa_ieee_mode 1
		.amdhsa_fp16_overflow 0
		.amdhsa_tg_split 0
		.amdhsa_exception_fp_ieee_invalid_op 0
		.amdhsa_exception_fp_denorm_src 0
		.amdhsa_exception_fp_ieee_div_zero 0
		.amdhsa_exception_fp_ieee_overflow 0
		.amdhsa_exception_fp_ieee_underflow 0
		.amdhsa_exception_fp_ieee_inexact 0
		.amdhsa_exception_int_div_zero 0
	.end_amdhsa_kernel
	.section	.text._ZN7rocprim17ROCPRIM_400000_NS6detail17trampoline_kernelINS0_14default_configENS1_29reduce_by_key_config_selectorIttN6thrust23THRUST_200600_302600_NS4plusItEEEEZZNS1_33reduce_by_key_impl_wrapped_configILNS1_25lookback_scan_determinismE0ES3_S9_NS6_6detail15normal_iteratorINS6_10device_ptrItEEEESG_SG_SG_PmS8_22is_equal_div_10_reduceItEEE10hipError_tPvRmT2_T3_mT4_T5_T6_T7_T8_P12ihipStream_tbENKUlT_T0_E_clISt17integral_constantIbLb0EES10_IbLb1EEEEDaSW_SX_EUlSW_E_NS1_11comp_targetILNS1_3genE4ELNS1_11target_archE910ELNS1_3gpuE8ELNS1_3repE0EEENS1_30default_config_static_selectorELNS0_4arch9wavefront6targetE1EEEvT1_,"axG",@progbits,_ZN7rocprim17ROCPRIM_400000_NS6detail17trampoline_kernelINS0_14default_configENS1_29reduce_by_key_config_selectorIttN6thrust23THRUST_200600_302600_NS4plusItEEEEZZNS1_33reduce_by_key_impl_wrapped_configILNS1_25lookback_scan_determinismE0ES3_S9_NS6_6detail15normal_iteratorINS6_10device_ptrItEEEESG_SG_SG_PmS8_22is_equal_div_10_reduceItEEE10hipError_tPvRmT2_T3_mT4_T5_T6_T7_T8_P12ihipStream_tbENKUlT_T0_E_clISt17integral_constantIbLb0EES10_IbLb1EEEEDaSW_SX_EUlSW_E_NS1_11comp_targetILNS1_3genE4ELNS1_11target_archE910ELNS1_3gpuE8ELNS1_3repE0EEENS1_30default_config_static_selectorELNS0_4arch9wavefront6targetE1EEEvT1_,comdat
.Lfunc_end460:
	.size	_ZN7rocprim17ROCPRIM_400000_NS6detail17trampoline_kernelINS0_14default_configENS1_29reduce_by_key_config_selectorIttN6thrust23THRUST_200600_302600_NS4plusItEEEEZZNS1_33reduce_by_key_impl_wrapped_configILNS1_25lookback_scan_determinismE0ES3_S9_NS6_6detail15normal_iteratorINS6_10device_ptrItEEEESG_SG_SG_PmS8_22is_equal_div_10_reduceItEEE10hipError_tPvRmT2_T3_mT4_T5_T6_T7_T8_P12ihipStream_tbENKUlT_T0_E_clISt17integral_constantIbLb0EES10_IbLb1EEEEDaSW_SX_EUlSW_E_NS1_11comp_targetILNS1_3genE4ELNS1_11target_archE910ELNS1_3gpuE8ELNS1_3repE0EEENS1_30default_config_static_selectorELNS0_4arch9wavefront6targetE1EEEvT1_, .Lfunc_end460-_ZN7rocprim17ROCPRIM_400000_NS6detail17trampoline_kernelINS0_14default_configENS1_29reduce_by_key_config_selectorIttN6thrust23THRUST_200600_302600_NS4plusItEEEEZZNS1_33reduce_by_key_impl_wrapped_configILNS1_25lookback_scan_determinismE0ES3_S9_NS6_6detail15normal_iteratorINS6_10device_ptrItEEEESG_SG_SG_PmS8_22is_equal_div_10_reduceItEEE10hipError_tPvRmT2_T3_mT4_T5_T6_T7_T8_P12ihipStream_tbENKUlT_T0_E_clISt17integral_constantIbLb0EES10_IbLb1EEEEDaSW_SX_EUlSW_E_NS1_11comp_targetILNS1_3genE4ELNS1_11target_archE910ELNS1_3gpuE8ELNS1_3repE0EEENS1_30default_config_static_selectorELNS0_4arch9wavefront6targetE1EEEvT1_
                                        ; -- End function
	.section	.AMDGPU.csdata,"",@progbits
; Kernel info:
; codeLenInByte = 19276
; NumSgprs: 70
; NumVgprs: 111
; NumAgprs: 0
; TotalNumVgprs: 111
; ScratchSize: 0
; MemoryBound: 0
; FloatMode: 240
; IeeeMode: 1
; LDSByteSize: 7680 bytes/workgroup (compile time only)
; SGPRBlocks: 8
; VGPRBlocks: 13
; NumSGPRsForWavesPerEU: 70
; NumVGPRsForWavesPerEU: 111
; AccumOffset: 112
; Occupancy: 4
; WaveLimiterHint : 1
; COMPUTE_PGM_RSRC2:SCRATCH_EN: 0
; COMPUTE_PGM_RSRC2:USER_SGPR: 6
; COMPUTE_PGM_RSRC2:TRAP_HANDLER: 0
; COMPUTE_PGM_RSRC2:TGID_X_EN: 1
; COMPUTE_PGM_RSRC2:TGID_Y_EN: 0
; COMPUTE_PGM_RSRC2:TGID_Z_EN: 0
; COMPUTE_PGM_RSRC2:TIDIG_COMP_CNT: 0
; COMPUTE_PGM_RSRC3_GFX90A:ACCUM_OFFSET: 27
; COMPUTE_PGM_RSRC3_GFX90A:TG_SPLIT: 0
	.section	.text._ZN7rocprim17ROCPRIM_400000_NS6detail17trampoline_kernelINS0_14default_configENS1_29reduce_by_key_config_selectorIttN6thrust23THRUST_200600_302600_NS4plusItEEEEZZNS1_33reduce_by_key_impl_wrapped_configILNS1_25lookback_scan_determinismE0ES3_S9_NS6_6detail15normal_iteratorINS6_10device_ptrItEEEESG_SG_SG_PmS8_22is_equal_div_10_reduceItEEE10hipError_tPvRmT2_T3_mT4_T5_T6_T7_T8_P12ihipStream_tbENKUlT_T0_E_clISt17integral_constantIbLb0EES10_IbLb1EEEEDaSW_SX_EUlSW_E_NS1_11comp_targetILNS1_3genE3ELNS1_11target_archE908ELNS1_3gpuE7ELNS1_3repE0EEENS1_30default_config_static_selectorELNS0_4arch9wavefront6targetE1EEEvT1_,"axG",@progbits,_ZN7rocprim17ROCPRIM_400000_NS6detail17trampoline_kernelINS0_14default_configENS1_29reduce_by_key_config_selectorIttN6thrust23THRUST_200600_302600_NS4plusItEEEEZZNS1_33reduce_by_key_impl_wrapped_configILNS1_25lookback_scan_determinismE0ES3_S9_NS6_6detail15normal_iteratorINS6_10device_ptrItEEEESG_SG_SG_PmS8_22is_equal_div_10_reduceItEEE10hipError_tPvRmT2_T3_mT4_T5_T6_T7_T8_P12ihipStream_tbENKUlT_T0_E_clISt17integral_constantIbLb0EES10_IbLb1EEEEDaSW_SX_EUlSW_E_NS1_11comp_targetILNS1_3genE3ELNS1_11target_archE908ELNS1_3gpuE7ELNS1_3repE0EEENS1_30default_config_static_selectorELNS0_4arch9wavefront6targetE1EEEvT1_,comdat
	.protected	_ZN7rocprim17ROCPRIM_400000_NS6detail17trampoline_kernelINS0_14default_configENS1_29reduce_by_key_config_selectorIttN6thrust23THRUST_200600_302600_NS4plusItEEEEZZNS1_33reduce_by_key_impl_wrapped_configILNS1_25lookback_scan_determinismE0ES3_S9_NS6_6detail15normal_iteratorINS6_10device_ptrItEEEESG_SG_SG_PmS8_22is_equal_div_10_reduceItEEE10hipError_tPvRmT2_T3_mT4_T5_T6_T7_T8_P12ihipStream_tbENKUlT_T0_E_clISt17integral_constantIbLb0EES10_IbLb1EEEEDaSW_SX_EUlSW_E_NS1_11comp_targetILNS1_3genE3ELNS1_11target_archE908ELNS1_3gpuE7ELNS1_3repE0EEENS1_30default_config_static_selectorELNS0_4arch9wavefront6targetE1EEEvT1_ ; -- Begin function _ZN7rocprim17ROCPRIM_400000_NS6detail17trampoline_kernelINS0_14default_configENS1_29reduce_by_key_config_selectorIttN6thrust23THRUST_200600_302600_NS4plusItEEEEZZNS1_33reduce_by_key_impl_wrapped_configILNS1_25lookback_scan_determinismE0ES3_S9_NS6_6detail15normal_iteratorINS6_10device_ptrItEEEESG_SG_SG_PmS8_22is_equal_div_10_reduceItEEE10hipError_tPvRmT2_T3_mT4_T5_T6_T7_T8_P12ihipStream_tbENKUlT_T0_E_clISt17integral_constantIbLb0EES10_IbLb1EEEEDaSW_SX_EUlSW_E_NS1_11comp_targetILNS1_3genE3ELNS1_11target_archE908ELNS1_3gpuE7ELNS1_3repE0EEENS1_30default_config_static_selectorELNS0_4arch9wavefront6targetE1EEEvT1_
	.globl	_ZN7rocprim17ROCPRIM_400000_NS6detail17trampoline_kernelINS0_14default_configENS1_29reduce_by_key_config_selectorIttN6thrust23THRUST_200600_302600_NS4plusItEEEEZZNS1_33reduce_by_key_impl_wrapped_configILNS1_25lookback_scan_determinismE0ES3_S9_NS6_6detail15normal_iteratorINS6_10device_ptrItEEEESG_SG_SG_PmS8_22is_equal_div_10_reduceItEEE10hipError_tPvRmT2_T3_mT4_T5_T6_T7_T8_P12ihipStream_tbENKUlT_T0_E_clISt17integral_constantIbLb0EES10_IbLb1EEEEDaSW_SX_EUlSW_E_NS1_11comp_targetILNS1_3genE3ELNS1_11target_archE908ELNS1_3gpuE7ELNS1_3repE0EEENS1_30default_config_static_selectorELNS0_4arch9wavefront6targetE1EEEvT1_
	.p2align	8
	.type	_ZN7rocprim17ROCPRIM_400000_NS6detail17trampoline_kernelINS0_14default_configENS1_29reduce_by_key_config_selectorIttN6thrust23THRUST_200600_302600_NS4plusItEEEEZZNS1_33reduce_by_key_impl_wrapped_configILNS1_25lookback_scan_determinismE0ES3_S9_NS6_6detail15normal_iteratorINS6_10device_ptrItEEEESG_SG_SG_PmS8_22is_equal_div_10_reduceItEEE10hipError_tPvRmT2_T3_mT4_T5_T6_T7_T8_P12ihipStream_tbENKUlT_T0_E_clISt17integral_constantIbLb0EES10_IbLb1EEEEDaSW_SX_EUlSW_E_NS1_11comp_targetILNS1_3genE3ELNS1_11target_archE908ELNS1_3gpuE7ELNS1_3repE0EEENS1_30default_config_static_selectorELNS0_4arch9wavefront6targetE1EEEvT1_,@function
_ZN7rocprim17ROCPRIM_400000_NS6detail17trampoline_kernelINS0_14default_configENS1_29reduce_by_key_config_selectorIttN6thrust23THRUST_200600_302600_NS4plusItEEEEZZNS1_33reduce_by_key_impl_wrapped_configILNS1_25lookback_scan_determinismE0ES3_S9_NS6_6detail15normal_iteratorINS6_10device_ptrItEEEESG_SG_SG_PmS8_22is_equal_div_10_reduceItEEE10hipError_tPvRmT2_T3_mT4_T5_T6_T7_T8_P12ihipStream_tbENKUlT_T0_E_clISt17integral_constantIbLb0EES10_IbLb1EEEEDaSW_SX_EUlSW_E_NS1_11comp_targetILNS1_3genE3ELNS1_11target_archE908ELNS1_3gpuE7ELNS1_3repE0EEENS1_30default_config_static_selectorELNS0_4arch9wavefront6targetE1EEEvT1_: ; @_ZN7rocprim17ROCPRIM_400000_NS6detail17trampoline_kernelINS0_14default_configENS1_29reduce_by_key_config_selectorIttN6thrust23THRUST_200600_302600_NS4plusItEEEEZZNS1_33reduce_by_key_impl_wrapped_configILNS1_25lookback_scan_determinismE0ES3_S9_NS6_6detail15normal_iteratorINS6_10device_ptrItEEEESG_SG_SG_PmS8_22is_equal_div_10_reduceItEEE10hipError_tPvRmT2_T3_mT4_T5_T6_T7_T8_P12ihipStream_tbENKUlT_T0_E_clISt17integral_constantIbLb0EES10_IbLb1EEEEDaSW_SX_EUlSW_E_NS1_11comp_targetILNS1_3genE3ELNS1_11target_archE908ELNS1_3gpuE7ELNS1_3repE0EEENS1_30default_config_static_selectorELNS0_4arch9wavefront6targetE1EEEvT1_
; %bb.0:
	.section	.rodata,"a",@progbits
	.p2align	6, 0x0
	.amdhsa_kernel _ZN7rocprim17ROCPRIM_400000_NS6detail17trampoline_kernelINS0_14default_configENS1_29reduce_by_key_config_selectorIttN6thrust23THRUST_200600_302600_NS4plusItEEEEZZNS1_33reduce_by_key_impl_wrapped_configILNS1_25lookback_scan_determinismE0ES3_S9_NS6_6detail15normal_iteratorINS6_10device_ptrItEEEESG_SG_SG_PmS8_22is_equal_div_10_reduceItEEE10hipError_tPvRmT2_T3_mT4_T5_T6_T7_T8_P12ihipStream_tbENKUlT_T0_E_clISt17integral_constantIbLb0EES10_IbLb1EEEEDaSW_SX_EUlSW_E_NS1_11comp_targetILNS1_3genE3ELNS1_11target_archE908ELNS1_3gpuE7ELNS1_3repE0EEENS1_30default_config_static_selectorELNS0_4arch9wavefront6targetE1EEEvT1_
		.amdhsa_group_segment_fixed_size 0
		.amdhsa_private_segment_fixed_size 0
		.amdhsa_kernarg_size 120
		.amdhsa_user_sgpr_count 6
		.amdhsa_user_sgpr_private_segment_buffer 1
		.amdhsa_user_sgpr_dispatch_ptr 0
		.amdhsa_user_sgpr_queue_ptr 0
		.amdhsa_user_sgpr_kernarg_segment_ptr 1
		.amdhsa_user_sgpr_dispatch_id 0
		.amdhsa_user_sgpr_flat_scratch_init 0
		.amdhsa_user_sgpr_kernarg_preload_length 0
		.amdhsa_user_sgpr_kernarg_preload_offset 0
		.amdhsa_user_sgpr_private_segment_size 0
		.amdhsa_uses_dynamic_stack 0
		.amdhsa_system_sgpr_private_segment_wavefront_offset 0
		.amdhsa_system_sgpr_workgroup_id_x 1
		.amdhsa_system_sgpr_workgroup_id_y 0
		.amdhsa_system_sgpr_workgroup_id_z 0
		.amdhsa_system_sgpr_workgroup_info 0
		.amdhsa_system_vgpr_workitem_id 0
		.amdhsa_next_free_vgpr 1
		.amdhsa_next_free_sgpr 0
		.amdhsa_accum_offset 4
		.amdhsa_reserve_vcc 0
		.amdhsa_reserve_flat_scratch 0
		.amdhsa_float_round_mode_32 0
		.amdhsa_float_round_mode_16_64 0
		.amdhsa_float_denorm_mode_32 3
		.amdhsa_float_denorm_mode_16_64 3
		.amdhsa_dx10_clamp 1
		.amdhsa_ieee_mode 1
		.amdhsa_fp16_overflow 0
		.amdhsa_tg_split 0
		.amdhsa_exception_fp_ieee_invalid_op 0
		.amdhsa_exception_fp_denorm_src 0
		.amdhsa_exception_fp_ieee_div_zero 0
		.amdhsa_exception_fp_ieee_overflow 0
		.amdhsa_exception_fp_ieee_underflow 0
		.amdhsa_exception_fp_ieee_inexact 0
		.amdhsa_exception_int_div_zero 0
	.end_amdhsa_kernel
	.section	.text._ZN7rocprim17ROCPRIM_400000_NS6detail17trampoline_kernelINS0_14default_configENS1_29reduce_by_key_config_selectorIttN6thrust23THRUST_200600_302600_NS4plusItEEEEZZNS1_33reduce_by_key_impl_wrapped_configILNS1_25lookback_scan_determinismE0ES3_S9_NS6_6detail15normal_iteratorINS6_10device_ptrItEEEESG_SG_SG_PmS8_22is_equal_div_10_reduceItEEE10hipError_tPvRmT2_T3_mT4_T5_T6_T7_T8_P12ihipStream_tbENKUlT_T0_E_clISt17integral_constantIbLb0EES10_IbLb1EEEEDaSW_SX_EUlSW_E_NS1_11comp_targetILNS1_3genE3ELNS1_11target_archE908ELNS1_3gpuE7ELNS1_3repE0EEENS1_30default_config_static_selectorELNS0_4arch9wavefront6targetE1EEEvT1_,"axG",@progbits,_ZN7rocprim17ROCPRIM_400000_NS6detail17trampoline_kernelINS0_14default_configENS1_29reduce_by_key_config_selectorIttN6thrust23THRUST_200600_302600_NS4plusItEEEEZZNS1_33reduce_by_key_impl_wrapped_configILNS1_25lookback_scan_determinismE0ES3_S9_NS6_6detail15normal_iteratorINS6_10device_ptrItEEEESG_SG_SG_PmS8_22is_equal_div_10_reduceItEEE10hipError_tPvRmT2_T3_mT4_T5_T6_T7_T8_P12ihipStream_tbENKUlT_T0_E_clISt17integral_constantIbLb0EES10_IbLb1EEEEDaSW_SX_EUlSW_E_NS1_11comp_targetILNS1_3genE3ELNS1_11target_archE908ELNS1_3gpuE7ELNS1_3repE0EEENS1_30default_config_static_selectorELNS0_4arch9wavefront6targetE1EEEvT1_,comdat
.Lfunc_end461:
	.size	_ZN7rocprim17ROCPRIM_400000_NS6detail17trampoline_kernelINS0_14default_configENS1_29reduce_by_key_config_selectorIttN6thrust23THRUST_200600_302600_NS4plusItEEEEZZNS1_33reduce_by_key_impl_wrapped_configILNS1_25lookback_scan_determinismE0ES3_S9_NS6_6detail15normal_iteratorINS6_10device_ptrItEEEESG_SG_SG_PmS8_22is_equal_div_10_reduceItEEE10hipError_tPvRmT2_T3_mT4_T5_T6_T7_T8_P12ihipStream_tbENKUlT_T0_E_clISt17integral_constantIbLb0EES10_IbLb1EEEEDaSW_SX_EUlSW_E_NS1_11comp_targetILNS1_3genE3ELNS1_11target_archE908ELNS1_3gpuE7ELNS1_3repE0EEENS1_30default_config_static_selectorELNS0_4arch9wavefront6targetE1EEEvT1_, .Lfunc_end461-_ZN7rocprim17ROCPRIM_400000_NS6detail17trampoline_kernelINS0_14default_configENS1_29reduce_by_key_config_selectorIttN6thrust23THRUST_200600_302600_NS4plusItEEEEZZNS1_33reduce_by_key_impl_wrapped_configILNS1_25lookback_scan_determinismE0ES3_S9_NS6_6detail15normal_iteratorINS6_10device_ptrItEEEESG_SG_SG_PmS8_22is_equal_div_10_reduceItEEE10hipError_tPvRmT2_T3_mT4_T5_T6_T7_T8_P12ihipStream_tbENKUlT_T0_E_clISt17integral_constantIbLb0EES10_IbLb1EEEEDaSW_SX_EUlSW_E_NS1_11comp_targetILNS1_3genE3ELNS1_11target_archE908ELNS1_3gpuE7ELNS1_3repE0EEENS1_30default_config_static_selectorELNS0_4arch9wavefront6targetE1EEEvT1_
                                        ; -- End function
	.section	.AMDGPU.csdata,"",@progbits
; Kernel info:
; codeLenInByte = 0
; NumSgprs: 4
; NumVgprs: 0
; NumAgprs: 0
; TotalNumVgprs: 0
; ScratchSize: 0
; MemoryBound: 0
; FloatMode: 240
; IeeeMode: 1
; LDSByteSize: 0 bytes/workgroup (compile time only)
; SGPRBlocks: 0
; VGPRBlocks: 0
; NumSGPRsForWavesPerEU: 4
; NumVGPRsForWavesPerEU: 1
; AccumOffset: 4
; Occupancy: 8
; WaveLimiterHint : 0
; COMPUTE_PGM_RSRC2:SCRATCH_EN: 0
; COMPUTE_PGM_RSRC2:USER_SGPR: 6
; COMPUTE_PGM_RSRC2:TRAP_HANDLER: 0
; COMPUTE_PGM_RSRC2:TGID_X_EN: 1
; COMPUTE_PGM_RSRC2:TGID_Y_EN: 0
; COMPUTE_PGM_RSRC2:TGID_Z_EN: 0
; COMPUTE_PGM_RSRC2:TIDIG_COMP_CNT: 0
; COMPUTE_PGM_RSRC3_GFX90A:ACCUM_OFFSET: 0
; COMPUTE_PGM_RSRC3_GFX90A:TG_SPLIT: 0
	.section	.text._ZN7rocprim17ROCPRIM_400000_NS6detail17trampoline_kernelINS0_14default_configENS1_29reduce_by_key_config_selectorIttN6thrust23THRUST_200600_302600_NS4plusItEEEEZZNS1_33reduce_by_key_impl_wrapped_configILNS1_25lookback_scan_determinismE0ES3_S9_NS6_6detail15normal_iteratorINS6_10device_ptrItEEEESG_SG_SG_PmS8_22is_equal_div_10_reduceItEEE10hipError_tPvRmT2_T3_mT4_T5_T6_T7_T8_P12ihipStream_tbENKUlT_T0_E_clISt17integral_constantIbLb0EES10_IbLb1EEEEDaSW_SX_EUlSW_E_NS1_11comp_targetILNS1_3genE2ELNS1_11target_archE906ELNS1_3gpuE6ELNS1_3repE0EEENS1_30default_config_static_selectorELNS0_4arch9wavefront6targetE1EEEvT1_,"axG",@progbits,_ZN7rocprim17ROCPRIM_400000_NS6detail17trampoline_kernelINS0_14default_configENS1_29reduce_by_key_config_selectorIttN6thrust23THRUST_200600_302600_NS4plusItEEEEZZNS1_33reduce_by_key_impl_wrapped_configILNS1_25lookback_scan_determinismE0ES3_S9_NS6_6detail15normal_iteratorINS6_10device_ptrItEEEESG_SG_SG_PmS8_22is_equal_div_10_reduceItEEE10hipError_tPvRmT2_T3_mT4_T5_T6_T7_T8_P12ihipStream_tbENKUlT_T0_E_clISt17integral_constantIbLb0EES10_IbLb1EEEEDaSW_SX_EUlSW_E_NS1_11comp_targetILNS1_3genE2ELNS1_11target_archE906ELNS1_3gpuE6ELNS1_3repE0EEENS1_30default_config_static_selectorELNS0_4arch9wavefront6targetE1EEEvT1_,comdat
	.protected	_ZN7rocprim17ROCPRIM_400000_NS6detail17trampoline_kernelINS0_14default_configENS1_29reduce_by_key_config_selectorIttN6thrust23THRUST_200600_302600_NS4plusItEEEEZZNS1_33reduce_by_key_impl_wrapped_configILNS1_25lookback_scan_determinismE0ES3_S9_NS6_6detail15normal_iteratorINS6_10device_ptrItEEEESG_SG_SG_PmS8_22is_equal_div_10_reduceItEEE10hipError_tPvRmT2_T3_mT4_T5_T6_T7_T8_P12ihipStream_tbENKUlT_T0_E_clISt17integral_constantIbLb0EES10_IbLb1EEEEDaSW_SX_EUlSW_E_NS1_11comp_targetILNS1_3genE2ELNS1_11target_archE906ELNS1_3gpuE6ELNS1_3repE0EEENS1_30default_config_static_selectorELNS0_4arch9wavefront6targetE1EEEvT1_ ; -- Begin function _ZN7rocprim17ROCPRIM_400000_NS6detail17trampoline_kernelINS0_14default_configENS1_29reduce_by_key_config_selectorIttN6thrust23THRUST_200600_302600_NS4plusItEEEEZZNS1_33reduce_by_key_impl_wrapped_configILNS1_25lookback_scan_determinismE0ES3_S9_NS6_6detail15normal_iteratorINS6_10device_ptrItEEEESG_SG_SG_PmS8_22is_equal_div_10_reduceItEEE10hipError_tPvRmT2_T3_mT4_T5_T6_T7_T8_P12ihipStream_tbENKUlT_T0_E_clISt17integral_constantIbLb0EES10_IbLb1EEEEDaSW_SX_EUlSW_E_NS1_11comp_targetILNS1_3genE2ELNS1_11target_archE906ELNS1_3gpuE6ELNS1_3repE0EEENS1_30default_config_static_selectorELNS0_4arch9wavefront6targetE1EEEvT1_
	.globl	_ZN7rocprim17ROCPRIM_400000_NS6detail17trampoline_kernelINS0_14default_configENS1_29reduce_by_key_config_selectorIttN6thrust23THRUST_200600_302600_NS4plusItEEEEZZNS1_33reduce_by_key_impl_wrapped_configILNS1_25lookback_scan_determinismE0ES3_S9_NS6_6detail15normal_iteratorINS6_10device_ptrItEEEESG_SG_SG_PmS8_22is_equal_div_10_reduceItEEE10hipError_tPvRmT2_T3_mT4_T5_T6_T7_T8_P12ihipStream_tbENKUlT_T0_E_clISt17integral_constantIbLb0EES10_IbLb1EEEEDaSW_SX_EUlSW_E_NS1_11comp_targetILNS1_3genE2ELNS1_11target_archE906ELNS1_3gpuE6ELNS1_3repE0EEENS1_30default_config_static_selectorELNS0_4arch9wavefront6targetE1EEEvT1_
	.p2align	8
	.type	_ZN7rocprim17ROCPRIM_400000_NS6detail17trampoline_kernelINS0_14default_configENS1_29reduce_by_key_config_selectorIttN6thrust23THRUST_200600_302600_NS4plusItEEEEZZNS1_33reduce_by_key_impl_wrapped_configILNS1_25lookback_scan_determinismE0ES3_S9_NS6_6detail15normal_iteratorINS6_10device_ptrItEEEESG_SG_SG_PmS8_22is_equal_div_10_reduceItEEE10hipError_tPvRmT2_T3_mT4_T5_T6_T7_T8_P12ihipStream_tbENKUlT_T0_E_clISt17integral_constantIbLb0EES10_IbLb1EEEEDaSW_SX_EUlSW_E_NS1_11comp_targetILNS1_3genE2ELNS1_11target_archE906ELNS1_3gpuE6ELNS1_3repE0EEENS1_30default_config_static_selectorELNS0_4arch9wavefront6targetE1EEEvT1_,@function
_ZN7rocprim17ROCPRIM_400000_NS6detail17trampoline_kernelINS0_14default_configENS1_29reduce_by_key_config_selectorIttN6thrust23THRUST_200600_302600_NS4plusItEEEEZZNS1_33reduce_by_key_impl_wrapped_configILNS1_25lookback_scan_determinismE0ES3_S9_NS6_6detail15normal_iteratorINS6_10device_ptrItEEEESG_SG_SG_PmS8_22is_equal_div_10_reduceItEEE10hipError_tPvRmT2_T3_mT4_T5_T6_T7_T8_P12ihipStream_tbENKUlT_T0_E_clISt17integral_constantIbLb0EES10_IbLb1EEEEDaSW_SX_EUlSW_E_NS1_11comp_targetILNS1_3genE2ELNS1_11target_archE906ELNS1_3gpuE6ELNS1_3repE0EEENS1_30default_config_static_selectorELNS0_4arch9wavefront6targetE1EEEvT1_: ; @_ZN7rocprim17ROCPRIM_400000_NS6detail17trampoline_kernelINS0_14default_configENS1_29reduce_by_key_config_selectorIttN6thrust23THRUST_200600_302600_NS4plusItEEEEZZNS1_33reduce_by_key_impl_wrapped_configILNS1_25lookback_scan_determinismE0ES3_S9_NS6_6detail15normal_iteratorINS6_10device_ptrItEEEESG_SG_SG_PmS8_22is_equal_div_10_reduceItEEE10hipError_tPvRmT2_T3_mT4_T5_T6_T7_T8_P12ihipStream_tbENKUlT_T0_E_clISt17integral_constantIbLb0EES10_IbLb1EEEEDaSW_SX_EUlSW_E_NS1_11comp_targetILNS1_3genE2ELNS1_11target_archE906ELNS1_3gpuE6ELNS1_3repE0EEENS1_30default_config_static_selectorELNS0_4arch9wavefront6targetE1EEEvT1_
; %bb.0:
	.section	.rodata,"a",@progbits
	.p2align	6, 0x0
	.amdhsa_kernel _ZN7rocprim17ROCPRIM_400000_NS6detail17trampoline_kernelINS0_14default_configENS1_29reduce_by_key_config_selectorIttN6thrust23THRUST_200600_302600_NS4plusItEEEEZZNS1_33reduce_by_key_impl_wrapped_configILNS1_25lookback_scan_determinismE0ES3_S9_NS6_6detail15normal_iteratorINS6_10device_ptrItEEEESG_SG_SG_PmS8_22is_equal_div_10_reduceItEEE10hipError_tPvRmT2_T3_mT4_T5_T6_T7_T8_P12ihipStream_tbENKUlT_T0_E_clISt17integral_constantIbLb0EES10_IbLb1EEEEDaSW_SX_EUlSW_E_NS1_11comp_targetILNS1_3genE2ELNS1_11target_archE906ELNS1_3gpuE6ELNS1_3repE0EEENS1_30default_config_static_selectorELNS0_4arch9wavefront6targetE1EEEvT1_
		.amdhsa_group_segment_fixed_size 0
		.amdhsa_private_segment_fixed_size 0
		.amdhsa_kernarg_size 120
		.amdhsa_user_sgpr_count 6
		.amdhsa_user_sgpr_private_segment_buffer 1
		.amdhsa_user_sgpr_dispatch_ptr 0
		.amdhsa_user_sgpr_queue_ptr 0
		.amdhsa_user_sgpr_kernarg_segment_ptr 1
		.amdhsa_user_sgpr_dispatch_id 0
		.amdhsa_user_sgpr_flat_scratch_init 0
		.amdhsa_user_sgpr_kernarg_preload_length 0
		.amdhsa_user_sgpr_kernarg_preload_offset 0
		.amdhsa_user_sgpr_private_segment_size 0
		.amdhsa_uses_dynamic_stack 0
		.amdhsa_system_sgpr_private_segment_wavefront_offset 0
		.amdhsa_system_sgpr_workgroup_id_x 1
		.amdhsa_system_sgpr_workgroup_id_y 0
		.amdhsa_system_sgpr_workgroup_id_z 0
		.amdhsa_system_sgpr_workgroup_info 0
		.amdhsa_system_vgpr_workitem_id 0
		.amdhsa_next_free_vgpr 1
		.amdhsa_next_free_sgpr 0
		.amdhsa_accum_offset 4
		.amdhsa_reserve_vcc 0
		.amdhsa_reserve_flat_scratch 0
		.amdhsa_float_round_mode_32 0
		.amdhsa_float_round_mode_16_64 0
		.amdhsa_float_denorm_mode_32 3
		.amdhsa_float_denorm_mode_16_64 3
		.amdhsa_dx10_clamp 1
		.amdhsa_ieee_mode 1
		.amdhsa_fp16_overflow 0
		.amdhsa_tg_split 0
		.amdhsa_exception_fp_ieee_invalid_op 0
		.amdhsa_exception_fp_denorm_src 0
		.amdhsa_exception_fp_ieee_div_zero 0
		.amdhsa_exception_fp_ieee_overflow 0
		.amdhsa_exception_fp_ieee_underflow 0
		.amdhsa_exception_fp_ieee_inexact 0
		.amdhsa_exception_int_div_zero 0
	.end_amdhsa_kernel
	.section	.text._ZN7rocprim17ROCPRIM_400000_NS6detail17trampoline_kernelINS0_14default_configENS1_29reduce_by_key_config_selectorIttN6thrust23THRUST_200600_302600_NS4plusItEEEEZZNS1_33reduce_by_key_impl_wrapped_configILNS1_25lookback_scan_determinismE0ES3_S9_NS6_6detail15normal_iteratorINS6_10device_ptrItEEEESG_SG_SG_PmS8_22is_equal_div_10_reduceItEEE10hipError_tPvRmT2_T3_mT4_T5_T6_T7_T8_P12ihipStream_tbENKUlT_T0_E_clISt17integral_constantIbLb0EES10_IbLb1EEEEDaSW_SX_EUlSW_E_NS1_11comp_targetILNS1_3genE2ELNS1_11target_archE906ELNS1_3gpuE6ELNS1_3repE0EEENS1_30default_config_static_selectorELNS0_4arch9wavefront6targetE1EEEvT1_,"axG",@progbits,_ZN7rocprim17ROCPRIM_400000_NS6detail17trampoline_kernelINS0_14default_configENS1_29reduce_by_key_config_selectorIttN6thrust23THRUST_200600_302600_NS4plusItEEEEZZNS1_33reduce_by_key_impl_wrapped_configILNS1_25lookback_scan_determinismE0ES3_S9_NS6_6detail15normal_iteratorINS6_10device_ptrItEEEESG_SG_SG_PmS8_22is_equal_div_10_reduceItEEE10hipError_tPvRmT2_T3_mT4_T5_T6_T7_T8_P12ihipStream_tbENKUlT_T0_E_clISt17integral_constantIbLb0EES10_IbLb1EEEEDaSW_SX_EUlSW_E_NS1_11comp_targetILNS1_3genE2ELNS1_11target_archE906ELNS1_3gpuE6ELNS1_3repE0EEENS1_30default_config_static_selectorELNS0_4arch9wavefront6targetE1EEEvT1_,comdat
.Lfunc_end462:
	.size	_ZN7rocprim17ROCPRIM_400000_NS6detail17trampoline_kernelINS0_14default_configENS1_29reduce_by_key_config_selectorIttN6thrust23THRUST_200600_302600_NS4plusItEEEEZZNS1_33reduce_by_key_impl_wrapped_configILNS1_25lookback_scan_determinismE0ES3_S9_NS6_6detail15normal_iteratorINS6_10device_ptrItEEEESG_SG_SG_PmS8_22is_equal_div_10_reduceItEEE10hipError_tPvRmT2_T3_mT4_T5_T6_T7_T8_P12ihipStream_tbENKUlT_T0_E_clISt17integral_constantIbLb0EES10_IbLb1EEEEDaSW_SX_EUlSW_E_NS1_11comp_targetILNS1_3genE2ELNS1_11target_archE906ELNS1_3gpuE6ELNS1_3repE0EEENS1_30default_config_static_selectorELNS0_4arch9wavefront6targetE1EEEvT1_, .Lfunc_end462-_ZN7rocprim17ROCPRIM_400000_NS6detail17trampoline_kernelINS0_14default_configENS1_29reduce_by_key_config_selectorIttN6thrust23THRUST_200600_302600_NS4plusItEEEEZZNS1_33reduce_by_key_impl_wrapped_configILNS1_25lookback_scan_determinismE0ES3_S9_NS6_6detail15normal_iteratorINS6_10device_ptrItEEEESG_SG_SG_PmS8_22is_equal_div_10_reduceItEEE10hipError_tPvRmT2_T3_mT4_T5_T6_T7_T8_P12ihipStream_tbENKUlT_T0_E_clISt17integral_constantIbLb0EES10_IbLb1EEEEDaSW_SX_EUlSW_E_NS1_11comp_targetILNS1_3genE2ELNS1_11target_archE906ELNS1_3gpuE6ELNS1_3repE0EEENS1_30default_config_static_selectorELNS0_4arch9wavefront6targetE1EEEvT1_
                                        ; -- End function
	.section	.AMDGPU.csdata,"",@progbits
; Kernel info:
; codeLenInByte = 0
; NumSgprs: 4
; NumVgprs: 0
; NumAgprs: 0
; TotalNumVgprs: 0
; ScratchSize: 0
; MemoryBound: 0
; FloatMode: 240
; IeeeMode: 1
; LDSByteSize: 0 bytes/workgroup (compile time only)
; SGPRBlocks: 0
; VGPRBlocks: 0
; NumSGPRsForWavesPerEU: 4
; NumVGPRsForWavesPerEU: 1
; AccumOffset: 4
; Occupancy: 8
; WaveLimiterHint : 0
; COMPUTE_PGM_RSRC2:SCRATCH_EN: 0
; COMPUTE_PGM_RSRC2:USER_SGPR: 6
; COMPUTE_PGM_RSRC2:TRAP_HANDLER: 0
; COMPUTE_PGM_RSRC2:TGID_X_EN: 1
; COMPUTE_PGM_RSRC2:TGID_Y_EN: 0
; COMPUTE_PGM_RSRC2:TGID_Z_EN: 0
; COMPUTE_PGM_RSRC2:TIDIG_COMP_CNT: 0
; COMPUTE_PGM_RSRC3_GFX90A:ACCUM_OFFSET: 0
; COMPUTE_PGM_RSRC3_GFX90A:TG_SPLIT: 0
	.section	.text._ZN7rocprim17ROCPRIM_400000_NS6detail17trampoline_kernelINS0_14default_configENS1_29reduce_by_key_config_selectorIttN6thrust23THRUST_200600_302600_NS4plusItEEEEZZNS1_33reduce_by_key_impl_wrapped_configILNS1_25lookback_scan_determinismE0ES3_S9_NS6_6detail15normal_iteratorINS6_10device_ptrItEEEESG_SG_SG_PmS8_22is_equal_div_10_reduceItEEE10hipError_tPvRmT2_T3_mT4_T5_T6_T7_T8_P12ihipStream_tbENKUlT_T0_E_clISt17integral_constantIbLb0EES10_IbLb1EEEEDaSW_SX_EUlSW_E_NS1_11comp_targetILNS1_3genE10ELNS1_11target_archE1201ELNS1_3gpuE5ELNS1_3repE0EEENS1_30default_config_static_selectorELNS0_4arch9wavefront6targetE1EEEvT1_,"axG",@progbits,_ZN7rocprim17ROCPRIM_400000_NS6detail17trampoline_kernelINS0_14default_configENS1_29reduce_by_key_config_selectorIttN6thrust23THRUST_200600_302600_NS4plusItEEEEZZNS1_33reduce_by_key_impl_wrapped_configILNS1_25lookback_scan_determinismE0ES3_S9_NS6_6detail15normal_iteratorINS6_10device_ptrItEEEESG_SG_SG_PmS8_22is_equal_div_10_reduceItEEE10hipError_tPvRmT2_T3_mT4_T5_T6_T7_T8_P12ihipStream_tbENKUlT_T0_E_clISt17integral_constantIbLb0EES10_IbLb1EEEEDaSW_SX_EUlSW_E_NS1_11comp_targetILNS1_3genE10ELNS1_11target_archE1201ELNS1_3gpuE5ELNS1_3repE0EEENS1_30default_config_static_selectorELNS0_4arch9wavefront6targetE1EEEvT1_,comdat
	.protected	_ZN7rocprim17ROCPRIM_400000_NS6detail17trampoline_kernelINS0_14default_configENS1_29reduce_by_key_config_selectorIttN6thrust23THRUST_200600_302600_NS4plusItEEEEZZNS1_33reduce_by_key_impl_wrapped_configILNS1_25lookback_scan_determinismE0ES3_S9_NS6_6detail15normal_iteratorINS6_10device_ptrItEEEESG_SG_SG_PmS8_22is_equal_div_10_reduceItEEE10hipError_tPvRmT2_T3_mT4_T5_T6_T7_T8_P12ihipStream_tbENKUlT_T0_E_clISt17integral_constantIbLb0EES10_IbLb1EEEEDaSW_SX_EUlSW_E_NS1_11comp_targetILNS1_3genE10ELNS1_11target_archE1201ELNS1_3gpuE5ELNS1_3repE0EEENS1_30default_config_static_selectorELNS0_4arch9wavefront6targetE1EEEvT1_ ; -- Begin function _ZN7rocprim17ROCPRIM_400000_NS6detail17trampoline_kernelINS0_14default_configENS1_29reduce_by_key_config_selectorIttN6thrust23THRUST_200600_302600_NS4plusItEEEEZZNS1_33reduce_by_key_impl_wrapped_configILNS1_25lookback_scan_determinismE0ES3_S9_NS6_6detail15normal_iteratorINS6_10device_ptrItEEEESG_SG_SG_PmS8_22is_equal_div_10_reduceItEEE10hipError_tPvRmT2_T3_mT4_T5_T6_T7_T8_P12ihipStream_tbENKUlT_T0_E_clISt17integral_constantIbLb0EES10_IbLb1EEEEDaSW_SX_EUlSW_E_NS1_11comp_targetILNS1_3genE10ELNS1_11target_archE1201ELNS1_3gpuE5ELNS1_3repE0EEENS1_30default_config_static_selectorELNS0_4arch9wavefront6targetE1EEEvT1_
	.globl	_ZN7rocprim17ROCPRIM_400000_NS6detail17trampoline_kernelINS0_14default_configENS1_29reduce_by_key_config_selectorIttN6thrust23THRUST_200600_302600_NS4plusItEEEEZZNS1_33reduce_by_key_impl_wrapped_configILNS1_25lookback_scan_determinismE0ES3_S9_NS6_6detail15normal_iteratorINS6_10device_ptrItEEEESG_SG_SG_PmS8_22is_equal_div_10_reduceItEEE10hipError_tPvRmT2_T3_mT4_T5_T6_T7_T8_P12ihipStream_tbENKUlT_T0_E_clISt17integral_constantIbLb0EES10_IbLb1EEEEDaSW_SX_EUlSW_E_NS1_11comp_targetILNS1_3genE10ELNS1_11target_archE1201ELNS1_3gpuE5ELNS1_3repE0EEENS1_30default_config_static_selectorELNS0_4arch9wavefront6targetE1EEEvT1_
	.p2align	8
	.type	_ZN7rocprim17ROCPRIM_400000_NS6detail17trampoline_kernelINS0_14default_configENS1_29reduce_by_key_config_selectorIttN6thrust23THRUST_200600_302600_NS4plusItEEEEZZNS1_33reduce_by_key_impl_wrapped_configILNS1_25lookback_scan_determinismE0ES3_S9_NS6_6detail15normal_iteratorINS6_10device_ptrItEEEESG_SG_SG_PmS8_22is_equal_div_10_reduceItEEE10hipError_tPvRmT2_T3_mT4_T5_T6_T7_T8_P12ihipStream_tbENKUlT_T0_E_clISt17integral_constantIbLb0EES10_IbLb1EEEEDaSW_SX_EUlSW_E_NS1_11comp_targetILNS1_3genE10ELNS1_11target_archE1201ELNS1_3gpuE5ELNS1_3repE0EEENS1_30default_config_static_selectorELNS0_4arch9wavefront6targetE1EEEvT1_,@function
_ZN7rocprim17ROCPRIM_400000_NS6detail17trampoline_kernelINS0_14default_configENS1_29reduce_by_key_config_selectorIttN6thrust23THRUST_200600_302600_NS4plusItEEEEZZNS1_33reduce_by_key_impl_wrapped_configILNS1_25lookback_scan_determinismE0ES3_S9_NS6_6detail15normal_iteratorINS6_10device_ptrItEEEESG_SG_SG_PmS8_22is_equal_div_10_reduceItEEE10hipError_tPvRmT2_T3_mT4_T5_T6_T7_T8_P12ihipStream_tbENKUlT_T0_E_clISt17integral_constantIbLb0EES10_IbLb1EEEEDaSW_SX_EUlSW_E_NS1_11comp_targetILNS1_3genE10ELNS1_11target_archE1201ELNS1_3gpuE5ELNS1_3repE0EEENS1_30default_config_static_selectorELNS0_4arch9wavefront6targetE1EEEvT1_: ; @_ZN7rocprim17ROCPRIM_400000_NS6detail17trampoline_kernelINS0_14default_configENS1_29reduce_by_key_config_selectorIttN6thrust23THRUST_200600_302600_NS4plusItEEEEZZNS1_33reduce_by_key_impl_wrapped_configILNS1_25lookback_scan_determinismE0ES3_S9_NS6_6detail15normal_iteratorINS6_10device_ptrItEEEESG_SG_SG_PmS8_22is_equal_div_10_reduceItEEE10hipError_tPvRmT2_T3_mT4_T5_T6_T7_T8_P12ihipStream_tbENKUlT_T0_E_clISt17integral_constantIbLb0EES10_IbLb1EEEEDaSW_SX_EUlSW_E_NS1_11comp_targetILNS1_3genE10ELNS1_11target_archE1201ELNS1_3gpuE5ELNS1_3repE0EEENS1_30default_config_static_selectorELNS0_4arch9wavefront6targetE1EEEvT1_
; %bb.0:
	.section	.rodata,"a",@progbits
	.p2align	6, 0x0
	.amdhsa_kernel _ZN7rocprim17ROCPRIM_400000_NS6detail17trampoline_kernelINS0_14default_configENS1_29reduce_by_key_config_selectorIttN6thrust23THRUST_200600_302600_NS4plusItEEEEZZNS1_33reduce_by_key_impl_wrapped_configILNS1_25lookback_scan_determinismE0ES3_S9_NS6_6detail15normal_iteratorINS6_10device_ptrItEEEESG_SG_SG_PmS8_22is_equal_div_10_reduceItEEE10hipError_tPvRmT2_T3_mT4_T5_T6_T7_T8_P12ihipStream_tbENKUlT_T0_E_clISt17integral_constantIbLb0EES10_IbLb1EEEEDaSW_SX_EUlSW_E_NS1_11comp_targetILNS1_3genE10ELNS1_11target_archE1201ELNS1_3gpuE5ELNS1_3repE0EEENS1_30default_config_static_selectorELNS0_4arch9wavefront6targetE1EEEvT1_
		.amdhsa_group_segment_fixed_size 0
		.amdhsa_private_segment_fixed_size 0
		.amdhsa_kernarg_size 120
		.amdhsa_user_sgpr_count 6
		.amdhsa_user_sgpr_private_segment_buffer 1
		.amdhsa_user_sgpr_dispatch_ptr 0
		.amdhsa_user_sgpr_queue_ptr 0
		.amdhsa_user_sgpr_kernarg_segment_ptr 1
		.amdhsa_user_sgpr_dispatch_id 0
		.amdhsa_user_sgpr_flat_scratch_init 0
		.amdhsa_user_sgpr_kernarg_preload_length 0
		.amdhsa_user_sgpr_kernarg_preload_offset 0
		.amdhsa_user_sgpr_private_segment_size 0
		.amdhsa_uses_dynamic_stack 0
		.amdhsa_system_sgpr_private_segment_wavefront_offset 0
		.amdhsa_system_sgpr_workgroup_id_x 1
		.amdhsa_system_sgpr_workgroup_id_y 0
		.amdhsa_system_sgpr_workgroup_id_z 0
		.amdhsa_system_sgpr_workgroup_info 0
		.amdhsa_system_vgpr_workitem_id 0
		.amdhsa_next_free_vgpr 1
		.amdhsa_next_free_sgpr 0
		.amdhsa_accum_offset 4
		.amdhsa_reserve_vcc 0
		.amdhsa_reserve_flat_scratch 0
		.amdhsa_float_round_mode_32 0
		.amdhsa_float_round_mode_16_64 0
		.amdhsa_float_denorm_mode_32 3
		.amdhsa_float_denorm_mode_16_64 3
		.amdhsa_dx10_clamp 1
		.amdhsa_ieee_mode 1
		.amdhsa_fp16_overflow 0
		.amdhsa_tg_split 0
		.amdhsa_exception_fp_ieee_invalid_op 0
		.amdhsa_exception_fp_denorm_src 0
		.amdhsa_exception_fp_ieee_div_zero 0
		.amdhsa_exception_fp_ieee_overflow 0
		.amdhsa_exception_fp_ieee_underflow 0
		.amdhsa_exception_fp_ieee_inexact 0
		.amdhsa_exception_int_div_zero 0
	.end_amdhsa_kernel
	.section	.text._ZN7rocprim17ROCPRIM_400000_NS6detail17trampoline_kernelINS0_14default_configENS1_29reduce_by_key_config_selectorIttN6thrust23THRUST_200600_302600_NS4plusItEEEEZZNS1_33reduce_by_key_impl_wrapped_configILNS1_25lookback_scan_determinismE0ES3_S9_NS6_6detail15normal_iteratorINS6_10device_ptrItEEEESG_SG_SG_PmS8_22is_equal_div_10_reduceItEEE10hipError_tPvRmT2_T3_mT4_T5_T6_T7_T8_P12ihipStream_tbENKUlT_T0_E_clISt17integral_constantIbLb0EES10_IbLb1EEEEDaSW_SX_EUlSW_E_NS1_11comp_targetILNS1_3genE10ELNS1_11target_archE1201ELNS1_3gpuE5ELNS1_3repE0EEENS1_30default_config_static_selectorELNS0_4arch9wavefront6targetE1EEEvT1_,"axG",@progbits,_ZN7rocprim17ROCPRIM_400000_NS6detail17trampoline_kernelINS0_14default_configENS1_29reduce_by_key_config_selectorIttN6thrust23THRUST_200600_302600_NS4plusItEEEEZZNS1_33reduce_by_key_impl_wrapped_configILNS1_25lookback_scan_determinismE0ES3_S9_NS6_6detail15normal_iteratorINS6_10device_ptrItEEEESG_SG_SG_PmS8_22is_equal_div_10_reduceItEEE10hipError_tPvRmT2_T3_mT4_T5_T6_T7_T8_P12ihipStream_tbENKUlT_T0_E_clISt17integral_constantIbLb0EES10_IbLb1EEEEDaSW_SX_EUlSW_E_NS1_11comp_targetILNS1_3genE10ELNS1_11target_archE1201ELNS1_3gpuE5ELNS1_3repE0EEENS1_30default_config_static_selectorELNS0_4arch9wavefront6targetE1EEEvT1_,comdat
.Lfunc_end463:
	.size	_ZN7rocprim17ROCPRIM_400000_NS6detail17trampoline_kernelINS0_14default_configENS1_29reduce_by_key_config_selectorIttN6thrust23THRUST_200600_302600_NS4plusItEEEEZZNS1_33reduce_by_key_impl_wrapped_configILNS1_25lookback_scan_determinismE0ES3_S9_NS6_6detail15normal_iteratorINS6_10device_ptrItEEEESG_SG_SG_PmS8_22is_equal_div_10_reduceItEEE10hipError_tPvRmT2_T3_mT4_T5_T6_T7_T8_P12ihipStream_tbENKUlT_T0_E_clISt17integral_constantIbLb0EES10_IbLb1EEEEDaSW_SX_EUlSW_E_NS1_11comp_targetILNS1_3genE10ELNS1_11target_archE1201ELNS1_3gpuE5ELNS1_3repE0EEENS1_30default_config_static_selectorELNS0_4arch9wavefront6targetE1EEEvT1_, .Lfunc_end463-_ZN7rocprim17ROCPRIM_400000_NS6detail17trampoline_kernelINS0_14default_configENS1_29reduce_by_key_config_selectorIttN6thrust23THRUST_200600_302600_NS4plusItEEEEZZNS1_33reduce_by_key_impl_wrapped_configILNS1_25lookback_scan_determinismE0ES3_S9_NS6_6detail15normal_iteratorINS6_10device_ptrItEEEESG_SG_SG_PmS8_22is_equal_div_10_reduceItEEE10hipError_tPvRmT2_T3_mT4_T5_T6_T7_T8_P12ihipStream_tbENKUlT_T0_E_clISt17integral_constantIbLb0EES10_IbLb1EEEEDaSW_SX_EUlSW_E_NS1_11comp_targetILNS1_3genE10ELNS1_11target_archE1201ELNS1_3gpuE5ELNS1_3repE0EEENS1_30default_config_static_selectorELNS0_4arch9wavefront6targetE1EEEvT1_
                                        ; -- End function
	.section	.AMDGPU.csdata,"",@progbits
; Kernel info:
; codeLenInByte = 0
; NumSgprs: 4
; NumVgprs: 0
; NumAgprs: 0
; TotalNumVgprs: 0
; ScratchSize: 0
; MemoryBound: 0
; FloatMode: 240
; IeeeMode: 1
; LDSByteSize: 0 bytes/workgroup (compile time only)
; SGPRBlocks: 0
; VGPRBlocks: 0
; NumSGPRsForWavesPerEU: 4
; NumVGPRsForWavesPerEU: 1
; AccumOffset: 4
; Occupancy: 8
; WaveLimiterHint : 0
; COMPUTE_PGM_RSRC2:SCRATCH_EN: 0
; COMPUTE_PGM_RSRC2:USER_SGPR: 6
; COMPUTE_PGM_RSRC2:TRAP_HANDLER: 0
; COMPUTE_PGM_RSRC2:TGID_X_EN: 1
; COMPUTE_PGM_RSRC2:TGID_Y_EN: 0
; COMPUTE_PGM_RSRC2:TGID_Z_EN: 0
; COMPUTE_PGM_RSRC2:TIDIG_COMP_CNT: 0
; COMPUTE_PGM_RSRC3_GFX90A:ACCUM_OFFSET: 0
; COMPUTE_PGM_RSRC3_GFX90A:TG_SPLIT: 0
	.section	.text._ZN7rocprim17ROCPRIM_400000_NS6detail17trampoline_kernelINS0_14default_configENS1_29reduce_by_key_config_selectorIttN6thrust23THRUST_200600_302600_NS4plusItEEEEZZNS1_33reduce_by_key_impl_wrapped_configILNS1_25lookback_scan_determinismE0ES3_S9_NS6_6detail15normal_iteratorINS6_10device_ptrItEEEESG_SG_SG_PmS8_22is_equal_div_10_reduceItEEE10hipError_tPvRmT2_T3_mT4_T5_T6_T7_T8_P12ihipStream_tbENKUlT_T0_E_clISt17integral_constantIbLb0EES10_IbLb1EEEEDaSW_SX_EUlSW_E_NS1_11comp_targetILNS1_3genE10ELNS1_11target_archE1200ELNS1_3gpuE4ELNS1_3repE0EEENS1_30default_config_static_selectorELNS0_4arch9wavefront6targetE1EEEvT1_,"axG",@progbits,_ZN7rocprim17ROCPRIM_400000_NS6detail17trampoline_kernelINS0_14default_configENS1_29reduce_by_key_config_selectorIttN6thrust23THRUST_200600_302600_NS4plusItEEEEZZNS1_33reduce_by_key_impl_wrapped_configILNS1_25lookback_scan_determinismE0ES3_S9_NS6_6detail15normal_iteratorINS6_10device_ptrItEEEESG_SG_SG_PmS8_22is_equal_div_10_reduceItEEE10hipError_tPvRmT2_T3_mT4_T5_T6_T7_T8_P12ihipStream_tbENKUlT_T0_E_clISt17integral_constantIbLb0EES10_IbLb1EEEEDaSW_SX_EUlSW_E_NS1_11comp_targetILNS1_3genE10ELNS1_11target_archE1200ELNS1_3gpuE4ELNS1_3repE0EEENS1_30default_config_static_selectorELNS0_4arch9wavefront6targetE1EEEvT1_,comdat
	.protected	_ZN7rocprim17ROCPRIM_400000_NS6detail17trampoline_kernelINS0_14default_configENS1_29reduce_by_key_config_selectorIttN6thrust23THRUST_200600_302600_NS4plusItEEEEZZNS1_33reduce_by_key_impl_wrapped_configILNS1_25lookback_scan_determinismE0ES3_S9_NS6_6detail15normal_iteratorINS6_10device_ptrItEEEESG_SG_SG_PmS8_22is_equal_div_10_reduceItEEE10hipError_tPvRmT2_T3_mT4_T5_T6_T7_T8_P12ihipStream_tbENKUlT_T0_E_clISt17integral_constantIbLb0EES10_IbLb1EEEEDaSW_SX_EUlSW_E_NS1_11comp_targetILNS1_3genE10ELNS1_11target_archE1200ELNS1_3gpuE4ELNS1_3repE0EEENS1_30default_config_static_selectorELNS0_4arch9wavefront6targetE1EEEvT1_ ; -- Begin function _ZN7rocprim17ROCPRIM_400000_NS6detail17trampoline_kernelINS0_14default_configENS1_29reduce_by_key_config_selectorIttN6thrust23THRUST_200600_302600_NS4plusItEEEEZZNS1_33reduce_by_key_impl_wrapped_configILNS1_25lookback_scan_determinismE0ES3_S9_NS6_6detail15normal_iteratorINS6_10device_ptrItEEEESG_SG_SG_PmS8_22is_equal_div_10_reduceItEEE10hipError_tPvRmT2_T3_mT4_T5_T6_T7_T8_P12ihipStream_tbENKUlT_T0_E_clISt17integral_constantIbLb0EES10_IbLb1EEEEDaSW_SX_EUlSW_E_NS1_11comp_targetILNS1_3genE10ELNS1_11target_archE1200ELNS1_3gpuE4ELNS1_3repE0EEENS1_30default_config_static_selectorELNS0_4arch9wavefront6targetE1EEEvT1_
	.globl	_ZN7rocprim17ROCPRIM_400000_NS6detail17trampoline_kernelINS0_14default_configENS1_29reduce_by_key_config_selectorIttN6thrust23THRUST_200600_302600_NS4plusItEEEEZZNS1_33reduce_by_key_impl_wrapped_configILNS1_25lookback_scan_determinismE0ES3_S9_NS6_6detail15normal_iteratorINS6_10device_ptrItEEEESG_SG_SG_PmS8_22is_equal_div_10_reduceItEEE10hipError_tPvRmT2_T3_mT4_T5_T6_T7_T8_P12ihipStream_tbENKUlT_T0_E_clISt17integral_constantIbLb0EES10_IbLb1EEEEDaSW_SX_EUlSW_E_NS1_11comp_targetILNS1_3genE10ELNS1_11target_archE1200ELNS1_3gpuE4ELNS1_3repE0EEENS1_30default_config_static_selectorELNS0_4arch9wavefront6targetE1EEEvT1_
	.p2align	8
	.type	_ZN7rocprim17ROCPRIM_400000_NS6detail17trampoline_kernelINS0_14default_configENS1_29reduce_by_key_config_selectorIttN6thrust23THRUST_200600_302600_NS4plusItEEEEZZNS1_33reduce_by_key_impl_wrapped_configILNS1_25lookback_scan_determinismE0ES3_S9_NS6_6detail15normal_iteratorINS6_10device_ptrItEEEESG_SG_SG_PmS8_22is_equal_div_10_reduceItEEE10hipError_tPvRmT2_T3_mT4_T5_T6_T7_T8_P12ihipStream_tbENKUlT_T0_E_clISt17integral_constantIbLb0EES10_IbLb1EEEEDaSW_SX_EUlSW_E_NS1_11comp_targetILNS1_3genE10ELNS1_11target_archE1200ELNS1_3gpuE4ELNS1_3repE0EEENS1_30default_config_static_selectorELNS0_4arch9wavefront6targetE1EEEvT1_,@function
_ZN7rocprim17ROCPRIM_400000_NS6detail17trampoline_kernelINS0_14default_configENS1_29reduce_by_key_config_selectorIttN6thrust23THRUST_200600_302600_NS4plusItEEEEZZNS1_33reduce_by_key_impl_wrapped_configILNS1_25lookback_scan_determinismE0ES3_S9_NS6_6detail15normal_iteratorINS6_10device_ptrItEEEESG_SG_SG_PmS8_22is_equal_div_10_reduceItEEE10hipError_tPvRmT2_T3_mT4_T5_T6_T7_T8_P12ihipStream_tbENKUlT_T0_E_clISt17integral_constantIbLb0EES10_IbLb1EEEEDaSW_SX_EUlSW_E_NS1_11comp_targetILNS1_3genE10ELNS1_11target_archE1200ELNS1_3gpuE4ELNS1_3repE0EEENS1_30default_config_static_selectorELNS0_4arch9wavefront6targetE1EEEvT1_: ; @_ZN7rocprim17ROCPRIM_400000_NS6detail17trampoline_kernelINS0_14default_configENS1_29reduce_by_key_config_selectorIttN6thrust23THRUST_200600_302600_NS4plusItEEEEZZNS1_33reduce_by_key_impl_wrapped_configILNS1_25lookback_scan_determinismE0ES3_S9_NS6_6detail15normal_iteratorINS6_10device_ptrItEEEESG_SG_SG_PmS8_22is_equal_div_10_reduceItEEE10hipError_tPvRmT2_T3_mT4_T5_T6_T7_T8_P12ihipStream_tbENKUlT_T0_E_clISt17integral_constantIbLb0EES10_IbLb1EEEEDaSW_SX_EUlSW_E_NS1_11comp_targetILNS1_3genE10ELNS1_11target_archE1200ELNS1_3gpuE4ELNS1_3repE0EEENS1_30default_config_static_selectorELNS0_4arch9wavefront6targetE1EEEvT1_
; %bb.0:
	.section	.rodata,"a",@progbits
	.p2align	6, 0x0
	.amdhsa_kernel _ZN7rocprim17ROCPRIM_400000_NS6detail17trampoline_kernelINS0_14default_configENS1_29reduce_by_key_config_selectorIttN6thrust23THRUST_200600_302600_NS4plusItEEEEZZNS1_33reduce_by_key_impl_wrapped_configILNS1_25lookback_scan_determinismE0ES3_S9_NS6_6detail15normal_iteratorINS6_10device_ptrItEEEESG_SG_SG_PmS8_22is_equal_div_10_reduceItEEE10hipError_tPvRmT2_T3_mT4_T5_T6_T7_T8_P12ihipStream_tbENKUlT_T0_E_clISt17integral_constantIbLb0EES10_IbLb1EEEEDaSW_SX_EUlSW_E_NS1_11comp_targetILNS1_3genE10ELNS1_11target_archE1200ELNS1_3gpuE4ELNS1_3repE0EEENS1_30default_config_static_selectorELNS0_4arch9wavefront6targetE1EEEvT1_
		.amdhsa_group_segment_fixed_size 0
		.amdhsa_private_segment_fixed_size 0
		.amdhsa_kernarg_size 120
		.amdhsa_user_sgpr_count 6
		.amdhsa_user_sgpr_private_segment_buffer 1
		.amdhsa_user_sgpr_dispatch_ptr 0
		.amdhsa_user_sgpr_queue_ptr 0
		.amdhsa_user_sgpr_kernarg_segment_ptr 1
		.amdhsa_user_sgpr_dispatch_id 0
		.amdhsa_user_sgpr_flat_scratch_init 0
		.amdhsa_user_sgpr_kernarg_preload_length 0
		.amdhsa_user_sgpr_kernarg_preload_offset 0
		.amdhsa_user_sgpr_private_segment_size 0
		.amdhsa_uses_dynamic_stack 0
		.amdhsa_system_sgpr_private_segment_wavefront_offset 0
		.amdhsa_system_sgpr_workgroup_id_x 1
		.amdhsa_system_sgpr_workgroup_id_y 0
		.amdhsa_system_sgpr_workgroup_id_z 0
		.amdhsa_system_sgpr_workgroup_info 0
		.amdhsa_system_vgpr_workitem_id 0
		.amdhsa_next_free_vgpr 1
		.amdhsa_next_free_sgpr 0
		.amdhsa_accum_offset 4
		.amdhsa_reserve_vcc 0
		.amdhsa_reserve_flat_scratch 0
		.amdhsa_float_round_mode_32 0
		.amdhsa_float_round_mode_16_64 0
		.amdhsa_float_denorm_mode_32 3
		.amdhsa_float_denorm_mode_16_64 3
		.amdhsa_dx10_clamp 1
		.amdhsa_ieee_mode 1
		.amdhsa_fp16_overflow 0
		.amdhsa_tg_split 0
		.amdhsa_exception_fp_ieee_invalid_op 0
		.amdhsa_exception_fp_denorm_src 0
		.amdhsa_exception_fp_ieee_div_zero 0
		.amdhsa_exception_fp_ieee_overflow 0
		.amdhsa_exception_fp_ieee_underflow 0
		.amdhsa_exception_fp_ieee_inexact 0
		.amdhsa_exception_int_div_zero 0
	.end_amdhsa_kernel
	.section	.text._ZN7rocprim17ROCPRIM_400000_NS6detail17trampoline_kernelINS0_14default_configENS1_29reduce_by_key_config_selectorIttN6thrust23THRUST_200600_302600_NS4plusItEEEEZZNS1_33reduce_by_key_impl_wrapped_configILNS1_25lookback_scan_determinismE0ES3_S9_NS6_6detail15normal_iteratorINS6_10device_ptrItEEEESG_SG_SG_PmS8_22is_equal_div_10_reduceItEEE10hipError_tPvRmT2_T3_mT4_T5_T6_T7_T8_P12ihipStream_tbENKUlT_T0_E_clISt17integral_constantIbLb0EES10_IbLb1EEEEDaSW_SX_EUlSW_E_NS1_11comp_targetILNS1_3genE10ELNS1_11target_archE1200ELNS1_3gpuE4ELNS1_3repE0EEENS1_30default_config_static_selectorELNS0_4arch9wavefront6targetE1EEEvT1_,"axG",@progbits,_ZN7rocprim17ROCPRIM_400000_NS6detail17trampoline_kernelINS0_14default_configENS1_29reduce_by_key_config_selectorIttN6thrust23THRUST_200600_302600_NS4plusItEEEEZZNS1_33reduce_by_key_impl_wrapped_configILNS1_25lookback_scan_determinismE0ES3_S9_NS6_6detail15normal_iteratorINS6_10device_ptrItEEEESG_SG_SG_PmS8_22is_equal_div_10_reduceItEEE10hipError_tPvRmT2_T3_mT4_T5_T6_T7_T8_P12ihipStream_tbENKUlT_T0_E_clISt17integral_constantIbLb0EES10_IbLb1EEEEDaSW_SX_EUlSW_E_NS1_11comp_targetILNS1_3genE10ELNS1_11target_archE1200ELNS1_3gpuE4ELNS1_3repE0EEENS1_30default_config_static_selectorELNS0_4arch9wavefront6targetE1EEEvT1_,comdat
.Lfunc_end464:
	.size	_ZN7rocprim17ROCPRIM_400000_NS6detail17trampoline_kernelINS0_14default_configENS1_29reduce_by_key_config_selectorIttN6thrust23THRUST_200600_302600_NS4plusItEEEEZZNS1_33reduce_by_key_impl_wrapped_configILNS1_25lookback_scan_determinismE0ES3_S9_NS6_6detail15normal_iteratorINS6_10device_ptrItEEEESG_SG_SG_PmS8_22is_equal_div_10_reduceItEEE10hipError_tPvRmT2_T3_mT4_T5_T6_T7_T8_P12ihipStream_tbENKUlT_T0_E_clISt17integral_constantIbLb0EES10_IbLb1EEEEDaSW_SX_EUlSW_E_NS1_11comp_targetILNS1_3genE10ELNS1_11target_archE1200ELNS1_3gpuE4ELNS1_3repE0EEENS1_30default_config_static_selectorELNS0_4arch9wavefront6targetE1EEEvT1_, .Lfunc_end464-_ZN7rocprim17ROCPRIM_400000_NS6detail17trampoline_kernelINS0_14default_configENS1_29reduce_by_key_config_selectorIttN6thrust23THRUST_200600_302600_NS4plusItEEEEZZNS1_33reduce_by_key_impl_wrapped_configILNS1_25lookback_scan_determinismE0ES3_S9_NS6_6detail15normal_iteratorINS6_10device_ptrItEEEESG_SG_SG_PmS8_22is_equal_div_10_reduceItEEE10hipError_tPvRmT2_T3_mT4_T5_T6_T7_T8_P12ihipStream_tbENKUlT_T0_E_clISt17integral_constantIbLb0EES10_IbLb1EEEEDaSW_SX_EUlSW_E_NS1_11comp_targetILNS1_3genE10ELNS1_11target_archE1200ELNS1_3gpuE4ELNS1_3repE0EEENS1_30default_config_static_selectorELNS0_4arch9wavefront6targetE1EEEvT1_
                                        ; -- End function
	.section	.AMDGPU.csdata,"",@progbits
; Kernel info:
; codeLenInByte = 0
; NumSgprs: 4
; NumVgprs: 0
; NumAgprs: 0
; TotalNumVgprs: 0
; ScratchSize: 0
; MemoryBound: 0
; FloatMode: 240
; IeeeMode: 1
; LDSByteSize: 0 bytes/workgroup (compile time only)
; SGPRBlocks: 0
; VGPRBlocks: 0
; NumSGPRsForWavesPerEU: 4
; NumVGPRsForWavesPerEU: 1
; AccumOffset: 4
; Occupancy: 8
; WaveLimiterHint : 0
; COMPUTE_PGM_RSRC2:SCRATCH_EN: 0
; COMPUTE_PGM_RSRC2:USER_SGPR: 6
; COMPUTE_PGM_RSRC2:TRAP_HANDLER: 0
; COMPUTE_PGM_RSRC2:TGID_X_EN: 1
; COMPUTE_PGM_RSRC2:TGID_Y_EN: 0
; COMPUTE_PGM_RSRC2:TGID_Z_EN: 0
; COMPUTE_PGM_RSRC2:TIDIG_COMP_CNT: 0
; COMPUTE_PGM_RSRC3_GFX90A:ACCUM_OFFSET: 0
; COMPUTE_PGM_RSRC3_GFX90A:TG_SPLIT: 0
	.section	.text._ZN7rocprim17ROCPRIM_400000_NS6detail17trampoline_kernelINS0_14default_configENS1_29reduce_by_key_config_selectorIttN6thrust23THRUST_200600_302600_NS4plusItEEEEZZNS1_33reduce_by_key_impl_wrapped_configILNS1_25lookback_scan_determinismE0ES3_S9_NS6_6detail15normal_iteratorINS6_10device_ptrItEEEESG_SG_SG_PmS8_22is_equal_div_10_reduceItEEE10hipError_tPvRmT2_T3_mT4_T5_T6_T7_T8_P12ihipStream_tbENKUlT_T0_E_clISt17integral_constantIbLb0EES10_IbLb1EEEEDaSW_SX_EUlSW_E_NS1_11comp_targetILNS1_3genE9ELNS1_11target_archE1100ELNS1_3gpuE3ELNS1_3repE0EEENS1_30default_config_static_selectorELNS0_4arch9wavefront6targetE1EEEvT1_,"axG",@progbits,_ZN7rocprim17ROCPRIM_400000_NS6detail17trampoline_kernelINS0_14default_configENS1_29reduce_by_key_config_selectorIttN6thrust23THRUST_200600_302600_NS4plusItEEEEZZNS1_33reduce_by_key_impl_wrapped_configILNS1_25lookback_scan_determinismE0ES3_S9_NS6_6detail15normal_iteratorINS6_10device_ptrItEEEESG_SG_SG_PmS8_22is_equal_div_10_reduceItEEE10hipError_tPvRmT2_T3_mT4_T5_T6_T7_T8_P12ihipStream_tbENKUlT_T0_E_clISt17integral_constantIbLb0EES10_IbLb1EEEEDaSW_SX_EUlSW_E_NS1_11comp_targetILNS1_3genE9ELNS1_11target_archE1100ELNS1_3gpuE3ELNS1_3repE0EEENS1_30default_config_static_selectorELNS0_4arch9wavefront6targetE1EEEvT1_,comdat
	.protected	_ZN7rocprim17ROCPRIM_400000_NS6detail17trampoline_kernelINS0_14default_configENS1_29reduce_by_key_config_selectorIttN6thrust23THRUST_200600_302600_NS4plusItEEEEZZNS1_33reduce_by_key_impl_wrapped_configILNS1_25lookback_scan_determinismE0ES3_S9_NS6_6detail15normal_iteratorINS6_10device_ptrItEEEESG_SG_SG_PmS8_22is_equal_div_10_reduceItEEE10hipError_tPvRmT2_T3_mT4_T5_T6_T7_T8_P12ihipStream_tbENKUlT_T0_E_clISt17integral_constantIbLb0EES10_IbLb1EEEEDaSW_SX_EUlSW_E_NS1_11comp_targetILNS1_3genE9ELNS1_11target_archE1100ELNS1_3gpuE3ELNS1_3repE0EEENS1_30default_config_static_selectorELNS0_4arch9wavefront6targetE1EEEvT1_ ; -- Begin function _ZN7rocprim17ROCPRIM_400000_NS6detail17trampoline_kernelINS0_14default_configENS1_29reduce_by_key_config_selectorIttN6thrust23THRUST_200600_302600_NS4plusItEEEEZZNS1_33reduce_by_key_impl_wrapped_configILNS1_25lookback_scan_determinismE0ES3_S9_NS6_6detail15normal_iteratorINS6_10device_ptrItEEEESG_SG_SG_PmS8_22is_equal_div_10_reduceItEEE10hipError_tPvRmT2_T3_mT4_T5_T6_T7_T8_P12ihipStream_tbENKUlT_T0_E_clISt17integral_constantIbLb0EES10_IbLb1EEEEDaSW_SX_EUlSW_E_NS1_11comp_targetILNS1_3genE9ELNS1_11target_archE1100ELNS1_3gpuE3ELNS1_3repE0EEENS1_30default_config_static_selectorELNS0_4arch9wavefront6targetE1EEEvT1_
	.globl	_ZN7rocprim17ROCPRIM_400000_NS6detail17trampoline_kernelINS0_14default_configENS1_29reduce_by_key_config_selectorIttN6thrust23THRUST_200600_302600_NS4plusItEEEEZZNS1_33reduce_by_key_impl_wrapped_configILNS1_25lookback_scan_determinismE0ES3_S9_NS6_6detail15normal_iteratorINS6_10device_ptrItEEEESG_SG_SG_PmS8_22is_equal_div_10_reduceItEEE10hipError_tPvRmT2_T3_mT4_T5_T6_T7_T8_P12ihipStream_tbENKUlT_T0_E_clISt17integral_constantIbLb0EES10_IbLb1EEEEDaSW_SX_EUlSW_E_NS1_11comp_targetILNS1_3genE9ELNS1_11target_archE1100ELNS1_3gpuE3ELNS1_3repE0EEENS1_30default_config_static_selectorELNS0_4arch9wavefront6targetE1EEEvT1_
	.p2align	8
	.type	_ZN7rocprim17ROCPRIM_400000_NS6detail17trampoline_kernelINS0_14default_configENS1_29reduce_by_key_config_selectorIttN6thrust23THRUST_200600_302600_NS4plusItEEEEZZNS1_33reduce_by_key_impl_wrapped_configILNS1_25lookback_scan_determinismE0ES3_S9_NS6_6detail15normal_iteratorINS6_10device_ptrItEEEESG_SG_SG_PmS8_22is_equal_div_10_reduceItEEE10hipError_tPvRmT2_T3_mT4_T5_T6_T7_T8_P12ihipStream_tbENKUlT_T0_E_clISt17integral_constantIbLb0EES10_IbLb1EEEEDaSW_SX_EUlSW_E_NS1_11comp_targetILNS1_3genE9ELNS1_11target_archE1100ELNS1_3gpuE3ELNS1_3repE0EEENS1_30default_config_static_selectorELNS0_4arch9wavefront6targetE1EEEvT1_,@function
_ZN7rocprim17ROCPRIM_400000_NS6detail17trampoline_kernelINS0_14default_configENS1_29reduce_by_key_config_selectorIttN6thrust23THRUST_200600_302600_NS4plusItEEEEZZNS1_33reduce_by_key_impl_wrapped_configILNS1_25lookback_scan_determinismE0ES3_S9_NS6_6detail15normal_iteratorINS6_10device_ptrItEEEESG_SG_SG_PmS8_22is_equal_div_10_reduceItEEE10hipError_tPvRmT2_T3_mT4_T5_T6_T7_T8_P12ihipStream_tbENKUlT_T0_E_clISt17integral_constantIbLb0EES10_IbLb1EEEEDaSW_SX_EUlSW_E_NS1_11comp_targetILNS1_3genE9ELNS1_11target_archE1100ELNS1_3gpuE3ELNS1_3repE0EEENS1_30default_config_static_selectorELNS0_4arch9wavefront6targetE1EEEvT1_: ; @_ZN7rocprim17ROCPRIM_400000_NS6detail17trampoline_kernelINS0_14default_configENS1_29reduce_by_key_config_selectorIttN6thrust23THRUST_200600_302600_NS4plusItEEEEZZNS1_33reduce_by_key_impl_wrapped_configILNS1_25lookback_scan_determinismE0ES3_S9_NS6_6detail15normal_iteratorINS6_10device_ptrItEEEESG_SG_SG_PmS8_22is_equal_div_10_reduceItEEE10hipError_tPvRmT2_T3_mT4_T5_T6_T7_T8_P12ihipStream_tbENKUlT_T0_E_clISt17integral_constantIbLb0EES10_IbLb1EEEEDaSW_SX_EUlSW_E_NS1_11comp_targetILNS1_3genE9ELNS1_11target_archE1100ELNS1_3gpuE3ELNS1_3repE0EEENS1_30default_config_static_selectorELNS0_4arch9wavefront6targetE1EEEvT1_
; %bb.0:
	.section	.rodata,"a",@progbits
	.p2align	6, 0x0
	.amdhsa_kernel _ZN7rocprim17ROCPRIM_400000_NS6detail17trampoline_kernelINS0_14default_configENS1_29reduce_by_key_config_selectorIttN6thrust23THRUST_200600_302600_NS4plusItEEEEZZNS1_33reduce_by_key_impl_wrapped_configILNS1_25lookback_scan_determinismE0ES3_S9_NS6_6detail15normal_iteratorINS6_10device_ptrItEEEESG_SG_SG_PmS8_22is_equal_div_10_reduceItEEE10hipError_tPvRmT2_T3_mT4_T5_T6_T7_T8_P12ihipStream_tbENKUlT_T0_E_clISt17integral_constantIbLb0EES10_IbLb1EEEEDaSW_SX_EUlSW_E_NS1_11comp_targetILNS1_3genE9ELNS1_11target_archE1100ELNS1_3gpuE3ELNS1_3repE0EEENS1_30default_config_static_selectorELNS0_4arch9wavefront6targetE1EEEvT1_
		.amdhsa_group_segment_fixed_size 0
		.amdhsa_private_segment_fixed_size 0
		.amdhsa_kernarg_size 120
		.amdhsa_user_sgpr_count 6
		.amdhsa_user_sgpr_private_segment_buffer 1
		.amdhsa_user_sgpr_dispatch_ptr 0
		.amdhsa_user_sgpr_queue_ptr 0
		.amdhsa_user_sgpr_kernarg_segment_ptr 1
		.amdhsa_user_sgpr_dispatch_id 0
		.amdhsa_user_sgpr_flat_scratch_init 0
		.amdhsa_user_sgpr_kernarg_preload_length 0
		.amdhsa_user_sgpr_kernarg_preload_offset 0
		.amdhsa_user_sgpr_private_segment_size 0
		.amdhsa_uses_dynamic_stack 0
		.amdhsa_system_sgpr_private_segment_wavefront_offset 0
		.amdhsa_system_sgpr_workgroup_id_x 1
		.amdhsa_system_sgpr_workgroup_id_y 0
		.amdhsa_system_sgpr_workgroup_id_z 0
		.amdhsa_system_sgpr_workgroup_info 0
		.amdhsa_system_vgpr_workitem_id 0
		.amdhsa_next_free_vgpr 1
		.amdhsa_next_free_sgpr 0
		.amdhsa_accum_offset 4
		.amdhsa_reserve_vcc 0
		.amdhsa_reserve_flat_scratch 0
		.amdhsa_float_round_mode_32 0
		.amdhsa_float_round_mode_16_64 0
		.amdhsa_float_denorm_mode_32 3
		.amdhsa_float_denorm_mode_16_64 3
		.amdhsa_dx10_clamp 1
		.amdhsa_ieee_mode 1
		.amdhsa_fp16_overflow 0
		.amdhsa_tg_split 0
		.amdhsa_exception_fp_ieee_invalid_op 0
		.amdhsa_exception_fp_denorm_src 0
		.amdhsa_exception_fp_ieee_div_zero 0
		.amdhsa_exception_fp_ieee_overflow 0
		.amdhsa_exception_fp_ieee_underflow 0
		.amdhsa_exception_fp_ieee_inexact 0
		.amdhsa_exception_int_div_zero 0
	.end_amdhsa_kernel
	.section	.text._ZN7rocprim17ROCPRIM_400000_NS6detail17trampoline_kernelINS0_14default_configENS1_29reduce_by_key_config_selectorIttN6thrust23THRUST_200600_302600_NS4plusItEEEEZZNS1_33reduce_by_key_impl_wrapped_configILNS1_25lookback_scan_determinismE0ES3_S9_NS6_6detail15normal_iteratorINS6_10device_ptrItEEEESG_SG_SG_PmS8_22is_equal_div_10_reduceItEEE10hipError_tPvRmT2_T3_mT4_T5_T6_T7_T8_P12ihipStream_tbENKUlT_T0_E_clISt17integral_constantIbLb0EES10_IbLb1EEEEDaSW_SX_EUlSW_E_NS1_11comp_targetILNS1_3genE9ELNS1_11target_archE1100ELNS1_3gpuE3ELNS1_3repE0EEENS1_30default_config_static_selectorELNS0_4arch9wavefront6targetE1EEEvT1_,"axG",@progbits,_ZN7rocprim17ROCPRIM_400000_NS6detail17trampoline_kernelINS0_14default_configENS1_29reduce_by_key_config_selectorIttN6thrust23THRUST_200600_302600_NS4plusItEEEEZZNS1_33reduce_by_key_impl_wrapped_configILNS1_25lookback_scan_determinismE0ES3_S9_NS6_6detail15normal_iteratorINS6_10device_ptrItEEEESG_SG_SG_PmS8_22is_equal_div_10_reduceItEEE10hipError_tPvRmT2_T3_mT4_T5_T6_T7_T8_P12ihipStream_tbENKUlT_T0_E_clISt17integral_constantIbLb0EES10_IbLb1EEEEDaSW_SX_EUlSW_E_NS1_11comp_targetILNS1_3genE9ELNS1_11target_archE1100ELNS1_3gpuE3ELNS1_3repE0EEENS1_30default_config_static_selectorELNS0_4arch9wavefront6targetE1EEEvT1_,comdat
.Lfunc_end465:
	.size	_ZN7rocprim17ROCPRIM_400000_NS6detail17trampoline_kernelINS0_14default_configENS1_29reduce_by_key_config_selectorIttN6thrust23THRUST_200600_302600_NS4plusItEEEEZZNS1_33reduce_by_key_impl_wrapped_configILNS1_25lookback_scan_determinismE0ES3_S9_NS6_6detail15normal_iteratorINS6_10device_ptrItEEEESG_SG_SG_PmS8_22is_equal_div_10_reduceItEEE10hipError_tPvRmT2_T3_mT4_T5_T6_T7_T8_P12ihipStream_tbENKUlT_T0_E_clISt17integral_constantIbLb0EES10_IbLb1EEEEDaSW_SX_EUlSW_E_NS1_11comp_targetILNS1_3genE9ELNS1_11target_archE1100ELNS1_3gpuE3ELNS1_3repE0EEENS1_30default_config_static_selectorELNS0_4arch9wavefront6targetE1EEEvT1_, .Lfunc_end465-_ZN7rocprim17ROCPRIM_400000_NS6detail17trampoline_kernelINS0_14default_configENS1_29reduce_by_key_config_selectorIttN6thrust23THRUST_200600_302600_NS4plusItEEEEZZNS1_33reduce_by_key_impl_wrapped_configILNS1_25lookback_scan_determinismE0ES3_S9_NS6_6detail15normal_iteratorINS6_10device_ptrItEEEESG_SG_SG_PmS8_22is_equal_div_10_reduceItEEE10hipError_tPvRmT2_T3_mT4_T5_T6_T7_T8_P12ihipStream_tbENKUlT_T0_E_clISt17integral_constantIbLb0EES10_IbLb1EEEEDaSW_SX_EUlSW_E_NS1_11comp_targetILNS1_3genE9ELNS1_11target_archE1100ELNS1_3gpuE3ELNS1_3repE0EEENS1_30default_config_static_selectorELNS0_4arch9wavefront6targetE1EEEvT1_
                                        ; -- End function
	.section	.AMDGPU.csdata,"",@progbits
; Kernel info:
; codeLenInByte = 0
; NumSgprs: 4
; NumVgprs: 0
; NumAgprs: 0
; TotalNumVgprs: 0
; ScratchSize: 0
; MemoryBound: 0
; FloatMode: 240
; IeeeMode: 1
; LDSByteSize: 0 bytes/workgroup (compile time only)
; SGPRBlocks: 0
; VGPRBlocks: 0
; NumSGPRsForWavesPerEU: 4
; NumVGPRsForWavesPerEU: 1
; AccumOffset: 4
; Occupancy: 8
; WaveLimiterHint : 0
; COMPUTE_PGM_RSRC2:SCRATCH_EN: 0
; COMPUTE_PGM_RSRC2:USER_SGPR: 6
; COMPUTE_PGM_RSRC2:TRAP_HANDLER: 0
; COMPUTE_PGM_RSRC2:TGID_X_EN: 1
; COMPUTE_PGM_RSRC2:TGID_Y_EN: 0
; COMPUTE_PGM_RSRC2:TGID_Z_EN: 0
; COMPUTE_PGM_RSRC2:TIDIG_COMP_CNT: 0
; COMPUTE_PGM_RSRC3_GFX90A:ACCUM_OFFSET: 0
; COMPUTE_PGM_RSRC3_GFX90A:TG_SPLIT: 0
	.section	.text._ZN7rocprim17ROCPRIM_400000_NS6detail17trampoline_kernelINS0_14default_configENS1_29reduce_by_key_config_selectorIttN6thrust23THRUST_200600_302600_NS4plusItEEEEZZNS1_33reduce_by_key_impl_wrapped_configILNS1_25lookback_scan_determinismE0ES3_S9_NS6_6detail15normal_iteratorINS6_10device_ptrItEEEESG_SG_SG_PmS8_22is_equal_div_10_reduceItEEE10hipError_tPvRmT2_T3_mT4_T5_T6_T7_T8_P12ihipStream_tbENKUlT_T0_E_clISt17integral_constantIbLb0EES10_IbLb1EEEEDaSW_SX_EUlSW_E_NS1_11comp_targetILNS1_3genE8ELNS1_11target_archE1030ELNS1_3gpuE2ELNS1_3repE0EEENS1_30default_config_static_selectorELNS0_4arch9wavefront6targetE1EEEvT1_,"axG",@progbits,_ZN7rocprim17ROCPRIM_400000_NS6detail17trampoline_kernelINS0_14default_configENS1_29reduce_by_key_config_selectorIttN6thrust23THRUST_200600_302600_NS4plusItEEEEZZNS1_33reduce_by_key_impl_wrapped_configILNS1_25lookback_scan_determinismE0ES3_S9_NS6_6detail15normal_iteratorINS6_10device_ptrItEEEESG_SG_SG_PmS8_22is_equal_div_10_reduceItEEE10hipError_tPvRmT2_T3_mT4_T5_T6_T7_T8_P12ihipStream_tbENKUlT_T0_E_clISt17integral_constantIbLb0EES10_IbLb1EEEEDaSW_SX_EUlSW_E_NS1_11comp_targetILNS1_3genE8ELNS1_11target_archE1030ELNS1_3gpuE2ELNS1_3repE0EEENS1_30default_config_static_selectorELNS0_4arch9wavefront6targetE1EEEvT1_,comdat
	.protected	_ZN7rocprim17ROCPRIM_400000_NS6detail17trampoline_kernelINS0_14default_configENS1_29reduce_by_key_config_selectorIttN6thrust23THRUST_200600_302600_NS4plusItEEEEZZNS1_33reduce_by_key_impl_wrapped_configILNS1_25lookback_scan_determinismE0ES3_S9_NS6_6detail15normal_iteratorINS6_10device_ptrItEEEESG_SG_SG_PmS8_22is_equal_div_10_reduceItEEE10hipError_tPvRmT2_T3_mT4_T5_T6_T7_T8_P12ihipStream_tbENKUlT_T0_E_clISt17integral_constantIbLb0EES10_IbLb1EEEEDaSW_SX_EUlSW_E_NS1_11comp_targetILNS1_3genE8ELNS1_11target_archE1030ELNS1_3gpuE2ELNS1_3repE0EEENS1_30default_config_static_selectorELNS0_4arch9wavefront6targetE1EEEvT1_ ; -- Begin function _ZN7rocprim17ROCPRIM_400000_NS6detail17trampoline_kernelINS0_14default_configENS1_29reduce_by_key_config_selectorIttN6thrust23THRUST_200600_302600_NS4plusItEEEEZZNS1_33reduce_by_key_impl_wrapped_configILNS1_25lookback_scan_determinismE0ES3_S9_NS6_6detail15normal_iteratorINS6_10device_ptrItEEEESG_SG_SG_PmS8_22is_equal_div_10_reduceItEEE10hipError_tPvRmT2_T3_mT4_T5_T6_T7_T8_P12ihipStream_tbENKUlT_T0_E_clISt17integral_constantIbLb0EES10_IbLb1EEEEDaSW_SX_EUlSW_E_NS1_11comp_targetILNS1_3genE8ELNS1_11target_archE1030ELNS1_3gpuE2ELNS1_3repE0EEENS1_30default_config_static_selectorELNS0_4arch9wavefront6targetE1EEEvT1_
	.globl	_ZN7rocprim17ROCPRIM_400000_NS6detail17trampoline_kernelINS0_14default_configENS1_29reduce_by_key_config_selectorIttN6thrust23THRUST_200600_302600_NS4plusItEEEEZZNS1_33reduce_by_key_impl_wrapped_configILNS1_25lookback_scan_determinismE0ES3_S9_NS6_6detail15normal_iteratorINS6_10device_ptrItEEEESG_SG_SG_PmS8_22is_equal_div_10_reduceItEEE10hipError_tPvRmT2_T3_mT4_T5_T6_T7_T8_P12ihipStream_tbENKUlT_T0_E_clISt17integral_constantIbLb0EES10_IbLb1EEEEDaSW_SX_EUlSW_E_NS1_11comp_targetILNS1_3genE8ELNS1_11target_archE1030ELNS1_3gpuE2ELNS1_3repE0EEENS1_30default_config_static_selectorELNS0_4arch9wavefront6targetE1EEEvT1_
	.p2align	8
	.type	_ZN7rocprim17ROCPRIM_400000_NS6detail17trampoline_kernelINS0_14default_configENS1_29reduce_by_key_config_selectorIttN6thrust23THRUST_200600_302600_NS4plusItEEEEZZNS1_33reduce_by_key_impl_wrapped_configILNS1_25lookback_scan_determinismE0ES3_S9_NS6_6detail15normal_iteratorINS6_10device_ptrItEEEESG_SG_SG_PmS8_22is_equal_div_10_reduceItEEE10hipError_tPvRmT2_T3_mT4_T5_T6_T7_T8_P12ihipStream_tbENKUlT_T0_E_clISt17integral_constantIbLb0EES10_IbLb1EEEEDaSW_SX_EUlSW_E_NS1_11comp_targetILNS1_3genE8ELNS1_11target_archE1030ELNS1_3gpuE2ELNS1_3repE0EEENS1_30default_config_static_selectorELNS0_4arch9wavefront6targetE1EEEvT1_,@function
_ZN7rocprim17ROCPRIM_400000_NS6detail17trampoline_kernelINS0_14default_configENS1_29reduce_by_key_config_selectorIttN6thrust23THRUST_200600_302600_NS4plusItEEEEZZNS1_33reduce_by_key_impl_wrapped_configILNS1_25lookback_scan_determinismE0ES3_S9_NS6_6detail15normal_iteratorINS6_10device_ptrItEEEESG_SG_SG_PmS8_22is_equal_div_10_reduceItEEE10hipError_tPvRmT2_T3_mT4_T5_T6_T7_T8_P12ihipStream_tbENKUlT_T0_E_clISt17integral_constantIbLb0EES10_IbLb1EEEEDaSW_SX_EUlSW_E_NS1_11comp_targetILNS1_3genE8ELNS1_11target_archE1030ELNS1_3gpuE2ELNS1_3repE0EEENS1_30default_config_static_selectorELNS0_4arch9wavefront6targetE1EEEvT1_: ; @_ZN7rocprim17ROCPRIM_400000_NS6detail17trampoline_kernelINS0_14default_configENS1_29reduce_by_key_config_selectorIttN6thrust23THRUST_200600_302600_NS4plusItEEEEZZNS1_33reduce_by_key_impl_wrapped_configILNS1_25lookback_scan_determinismE0ES3_S9_NS6_6detail15normal_iteratorINS6_10device_ptrItEEEESG_SG_SG_PmS8_22is_equal_div_10_reduceItEEE10hipError_tPvRmT2_T3_mT4_T5_T6_T7_T8_P12ihipStream_tbENKUlT_T0_E_clISt17integral_constantIbLb0EES10_IbLb1EEEEDaSW_SX_EUlSW_E_NS1_11comp_targetILNS1_3genE8ELNS1_11target_archE1030ELNS1_3gpuE2ELNS1_3repE0EEENS1_30default_config_static_selectorELNS0_4arch9wavefront6targetE1EEEvT1_
; %bb.0:
	.section	.rodata,"a",@progbits
	.p2align	6, 0x0
	.amdhsa_kernel _ZN7rocprim17ROCPRIM_400000_NS6detail17trampoline_kernelINS0_14default_configENS1_29reduce_by_key_config_selectorIttN6thrust23THRUST_200600_302600_NS4plusItEEEEZZNS1_33reduce_by_key_impl_wrapped_configILNS1_25lookback_scan_determinismE0ES3_S9_NS6_6detail15normal_iteratorINS6_10device_ptrItEEEESG_SG_SG_PmS8_22is_equal_div_10_reduceItEEE10hipError_tPvRmT2_T3_mT4_T5_T6_T7_T8_P12ihipStream_tbENKUlT_T0_E_clISt17integral_constantIbLb0EES10_IbLb1EEEEDaSW_SX_EUlSW_E_NS1_11comp_targetILNS1_3genE8ELNS1_11target_archE1030ELNS1_3gpuE2ELNS1_3repE0EEENS1_30default_config_static_selectorELNS0_4arch9wavefront6targetE1EEEvT1_
		.amdhsa_group_segment_fixed_size 0
		.amdhsa_private_segment_fixed_size 0
		.amdhsa_kernarg_size 120
		.amdhsa_user_sgpr_count 6
		.amdhsa_user_sgpr_private_segment_buffer 1
		.amdhsa_user_sgpr_dispatch_ptr 0
		.amdhsa_user_sgpr_queue_ptr 0
		.amdhsa_user_sgpr_kernarg_segment_ptr 1
		.amdhsa_user_sgpr_dispatch_id 0
		.amdhsa_user_sgpr_flat_scratch_init 0
		.amdhsa_user_sgpr_kernarg_preload_length 0
		.amdhsa_user_sgpr_kernarg_preload_offset 0
		.amdhsa_user_sgpr_private_segment_size 0
		.amdhsa_uses_dynamic_stack 0
		.amdhsa_system_sgpr_private_segment_wavefront_offset 0
		.amdhsa_system_sgpr_workgroup_id_x 1
		.amdhsa_system_sgpr_workgroup_id_y 0
		.amdhsa_system_sgpr_workgroup_id_z 0
		.amdhsa_system_sgpr_workgroup_info 0
		.amdhsa_system_vgpr_workitem_id 0
		.amdhsa_next_free_vgpr 1
		.amdhsa_next_free_sgpr 0
		.amdhsa_accum_offset 4
		.amdhsa_reserve_vcc 0
		.amdhsa_reserve_flat_scratch 0
		.amdhsa_float_round_mode_32 0
		.amdhsa_float_round_mode_16_64 0
		.amdhsa_float_denorm_mode_32 3
		.amdhsa_float_denorm_mode_16_64 3
		.amdhsa_dx10_clamp 1
		.amdhsa_ieee_mode 1
		.amdhsa_fp16_overflow 0
		.amdhsa_tg_split 0
		.amdhsa_exception_fp_ieee_invalid_op 0
		.amdhsa_exception_fp_denorm_src 0
		.amdhsa_exception_fp_ieee_div_zero 0
		.amdhsa_exception_fp_ieee_overflow 0
		.amdhsa_exception_fp_ieee_underflow 0
		.amdhsa_exception_fp_ieee_inexact 0
		.amdhsa_exception_int_div_zero 0
	.end_amdhsa_kernel
	.section	.text._ZN7rocprim17ROCPRIM_400000_NS6detail17trampoline_kernelINS0_14default_configENS1_29reduce_by_key_config_selectorIttN6thrust23THRUST_200600_302600_NS4plusItEEEEZZNS1_33reduce_by_key_impl_wrapped_configILNS1_25lookback_scan_determinismE0ES3_S9_NS6_6detail15normal_iteratorINS6_10device_ptrItEEEESG_SG_SG_PmS8_22is_equal_div_10_reduceItEEE10hipError_tPvRmT2_T3_mT4_T5_T6_T7_T8_P12ihipStream_tbENKUlT_T0_E_clISt17integral_constantIbLb0EES10_IbLb1EEEEDaSW_SX_EUlSW_E_NS1_11comp_targetILNS1_3genE8ELNS1_11target_archE1030ELNS1_3gpuE2ELNS1_3repE0EEENS1_30default_config_static_selectorELNS0_4arch9wavefront6targetE1EEEvT1_,"axG",@progbits,_ZN7rocprim17ROCPRIM_400000_NS6detail17trampoline_kernelINS0_14default_configENS1_29reduce_by_key_config_selectorIttN6thrust23THRUST_200600_302600_NS4plusItEEEEZZNS1_33reduce_by_key_impl_wrapped_configILNS1_25lookback_scan_determinismE0ES3_S9_NS6_6detail15normal_iteratorINS6_10device_ptrItEEEESG_SG_SG_PmS8_22is_equal_div_10_reduceItEEE10hipError_tPvRmT2_T3_mT4_T5_T6_T7_T8_P12ihipStream_tbENKUlT_T0_E_clISt17integral_constantIbLb0EES10_IbLb1EEEEDaSW_SX_EUlSW_E_NS1_11comp_targetILNS1_3genE8ELNS1_11target_archE1030ELNS1_3gpuE2ELNS1_3repE0EEENS1_30default_config_static_selectorELNS0_4arch9wavefront6targetE1EEEvT1_,comdat
.Lfunc_end466:
	.size	_ZN7rocprim17ROCPRIM_400000_NS6detail17trampoline_kernelINS0_14default_configENS1_29reduce_by_key_config_selectorIttN6thrust23THRUST_200600_302600_NS4plusItEEEEZZNS1_33reduce_by_key_impl_wrapped_configILNS1_25lookback_scan_determinismE0ES3_S9_NS6_6detail15normal_iteratorINS6_10device_ptrItEEEESG_SG_SG_PmS8_22is_equal_div_10_reduceItEEE10hipError_tPvRmT2_T3_mT4_T5_T6_T7_T8_P12ihipStream_tbENKUlT_T0_E_clISt17integral_constantIbLb0EES10_IbLb1EEEEDaSW_SX_EUlSW_E_NS1_11comp_targetILNS1_3genE8ELNS1_11target_archE1030ELNS1_3gpuE2ELNS1_3repE0EEENS1_30default_config_static_selectorELNS0_4arch9wavefront6targetE1EEEvT1_, .Lfunc_end466-_ZN7rocprim17ROCPRIM_400000_NS6detail17trampoline_kernelINS0_14default_configENS1_29reduce_by_key_config_selectorIttN6thrust23THRUST_200600_302600_NS4plusItEEEEZZNS1_33reduce_by_key_impl_wrapped_configILNS1_25lookback_scan_determinismE0ES3_S9_NS6_6detail15normal_iteratorINS6_10device_ptrItEEEESG_SG_SG_PmS8_22is_equal_div_10_reduceItEEE10hipError_tPvRmT2_T3_mT4_T5_T6_T7_T8_P12ihipStream_tbENKUlT_T0_E_clISt17integral_constantIbLb0EES10_IbLb1EEEEDaSW_SX_EUlSW_E_NS1_11comp_targetILNS1_3genE8ELNS1_11target_archE1030ELNS1_3gpuE2ELNS1_3repE0EEENS1_30default_config_static_selectorELNS0_4arch9wavefront6targetE1EEEvT1_
                                        ; -- End function
	.section	.AMDGPU.csdata,"",@progbits
; Kernel info:
; codeLenInByte = 0
; NumSgprs: 4
; NumVgprs: 0
; NumAgprs: 0
; TotalNumVgprs: 0
; ScratchSize: 0
; MemoryBound: 0
; FloatMode: 240
; IeeeMode: 1
; LDSByteSize: 0 bytes/workgroup (compile time only)
; SGPRBlocks: 0
; VGPRBlocks: 0
; NumSGPRsForWavesPerEU: 4
; NumVGPRsForWavesPerEU: 1
; AccumOffset: 4
; Occupancy: 8
; WaveLimiterHint : 0
; COMPUTE_PGM_RSRC2:SCRATCH_EN: 0
; COMPUTE_PGM_RSRC2:USER_SGPR: 6
; COMPUTE_PGM_RSRC2:TRAP_HANDLER: 0
; COMPUTE_PGM_RSRC2:TGID_X_EN: 1
; COMPUTE_PGM_RSRC2:TGID_Y_EN: 0
; COMPUTE_PGM_RSRC2:TGID_Z_EN: 0
; COMPUTE_PGM_RSRC2:TIDIG_COMP_CNT: 0
; COMPUTE_PGM_RSRC3_GFX90A:ACCUM_OFFSET: 0
; COMPUTE_PGM_RSRC3_GFX90A:TG_SPLIT: 0
	.section	.text._ZN6thrust23THRUST_200600_302600_NS11hip_rocprim14__parallel_for6kernelILj256ENS1_20__uninitialized_fill7functorINS0_10device_ptrIxEExEEmLj1EEEvT0_T1_SA_,"axG",@progbits,_ZN6thrust23THRUST_200600_302600_NS11hip_rocprim14__parallel_for6kernelILj256ENS1_20__uninitialized_fill7functorINS0_10device_ptrIxEExEEmLj1EEEvT0_T1_SA_,comdat
	.protected	_ZN6thrust23THRUST_200600_302600_NS11hip_rocprim14__parallel_for6kernelILj256ENS1_20__uninitialized_fill7functorINS0_10device_ptrIxEExEEmLj1EEEvT0_T1_SA_ ; -- Begin function _ZN6thrust23THRUST_200600_302600_NS11hip_rocprim14__parallel_for6kernelILj256ENS1_20__uninitialized_fill7functorINS0_10device_ptrIxEExEEmLj1EEEvT0_T1_SA_
	.globl	_ZN6thrust23THRUST_200600_302600_NS11hip_rocprim14__parallel_for6kernelILj256ENS1_20__uninitialized_fill7functorINS0_10device_ptrIxEExEEmLj1EEEvT0_T1_SA_
	.p2align	8
	.type	_ZN6thrust23THRUST_200600_302600_NS11hip_rocprim14__parallel_for6kernelILj256ENS1_20__uninitialized_fill7functorINS0_10device_ptrIxEExEEmLj1EEEvT0_T1_SA_,@function
_ZN6thrust23THRUST_200600_302600_NS11hip_rocprim14__parallel_for6kernelILj256ENS1_20__uninitialized_fill7functorINS0_10device_ptrIxEExEEmLj1EEEvT0_T1_SA_: ; @_ZN6thrust23THRUST_200600_302600_NS11hip_rocprim14__parallel_for6kernelILj256ENS1_20__uninitialized_fill7functorINS0_10device_ptrIxEExEEmLj1EEEvT0_T1_SA_
; %bb.0:
	s_load_dwordx8 s[8:15], s[4:5], 0x0
	s_lshl_b32 s0, s6, 8
	v_mov_b32_e32 v2, 0x100
	v_mov_b32_e32 v3, 0
	s_waitcnt lgkmcnt(0)
	s_add_u32 s0, s0, s14
	s_addc_u32 s1, 0, s15
	s_sub_u32 s2, s12, s0
	s_subb_u32 s3, s13, s1
	v_cmp_lt_u64_e32 vcc, s[2:3], v[2:3]
	s_cbranch_vccz .LBB467_2
; %bb.1:
	v_cmp_gt_u32_e32 vcc, s2, v0
	s_and_b64 s[2:3], vcc, exec
	s_cbranch_execz .LBB467_3
	s_branch .LBB467_4
.LBB467_2:
	s_mov_b64 s[2:3], 0
.LBB467_3:
	s_or_b64 s[2:3], s[2:3], exec
.LBB467_4:
	s_and_saveexec_b64 s[4:5], s[2:3]
	s_cbranch_execnz .LBB467_6
; %bb.5:
	s_endpgm
.LBB467_6:
	s_lshl_b64 s[0:1], s[0:1], 3
	v_mov_b32_e32 v1, 0
	s_add_u32 s0, s8, s0
	s_addc_u32 s1, s9, s1
	v_lshlrev_b64 v[0:1], 3, v[0:1]
	v_mov_b32_e32 v4, s1
	v_add_co_u32_e32 v0, vcc, s0, v0
	v_mov_b32_e32 v2, s10
	v_mov_b32_e32 v3, s11
	v_addc_co_u32_e32 v1, vcc, v4, v1, vcc
	flat_store_dwordx2 v[0:1], v[2:3]
	s_endpgm
	.section	.rodata,"a",@progbits
	.p2align	6, 0x0
	.amdhsa_kernel _ZN6thrust23THRUST_200600_302600_NS11hip_rocprim14__parallel_for6kernelILj256ENS1_20__uninitialized_fill7functorINS0_10device_ptrIxEExEEmLj1EEEvT0_T1_SA_
		.amdhsa_group_segment_fixed_size 0
		.amdhsa_private_segment_fixed_size 0
		.amdhsa_kernarg_size 32
		.amdhsa_user_sgpr_count 6
		.amdhsa_user_sgpr_private_segment_buffer 1
		.amdhsa_user_sgpr_dispatch_ptr 0
		.amdhsa_user_sgpr_queue_ptr 0
		.amdhsa_user_sgpr_kernarg_segment_ptr 1
		.amdhsa_user_sgpr_dispatch_id 0
		.amdhsa_user_sgpr_flat_scratch_init 0
		.amdhsa_user_sgpr_kernarg_preload_length 0
		.amdhsa_user_sgpr_kernarg_preload_offset 0
		.amdhsa_user_sgpr_private_segment_size 0
		.amdhsa_uses_dynamic_stack 0
		.amdhsa_system_sgpr_private_segment_wavefront_offset 0
		.amdhsa_system_sgpr_workgroup_id_x 1
		.amdhsa_system_sgpr_workgroup_id_y 0
		.amdhsa_system_sgpr_workgroup_id_z 0
		.amdhsa_system_sgpr_workgroup_info 0
		.amdhsa_system_vgpr_workitem_id 0
		.amdhsa_next_free_vgpr 5
		.amdhsa_next_free_sgpr 16
		.amdhsa_accum_offset 8
		.amdhsa_reserve_vcc 1
		.amdhsa_reserve_flat_scratch 0
		.amdhsa_float_round_mode_32 0
		.amdhsa_float_round_mode_16_64 0
		.amdhsa_float_denorm_mode_32 3
		.amdhsa_float_denorm_mode_16_64 3
		.amdhsa_dx10_clamp 1
		.amdhsa_ieee_mode 1
		.amdhsa_fp16_overflow 0
		.amdhsa_tg_split 0
		.amdhsa_exception_fp_ieee_invalid_op 0
		.amdhsa_exception_fp_denorm_src 0
		.amdhsa_exception_fp_ieee_div_zero 0
		.amdhsa_exception_fp_ieee_overflow 0
		.amdhsa_exception_fp_ieee_underflow 0
		.amdhsa_exception_fp_ieee_inexact 0
		.amdhsa_exception_int_div_zero 0
	.end_amdhsa_kernel
	.section	.text._ZN6thrust23THRUST_200600_302600_NS11hip_rocprim14__parallel_for6kernelILj256ENS1_20__uninitialized_fill7functorINS0_10device_ptrIxEExEEmLj1EEEvT0_T1_SA_,"axG",@progbits,_ZN6thrust23THRUST_200600_302600_NS11hip_rocprim14__parallel_for6kernelILj256ENS1_20__uninitialized_fill7functorINS0_10device_ptrIxEExEEmLj1EEEvT0_T1_SA_,comdat
.Lfunc_end467:
	.size	_ZN6thrust23THRUST_200600_302600_NS11hip_rocprim14__parallel_for6kernelILj256ENS1_20__uninitialized_fill7functorINS0_10device_ptrIxEExEEmLj1EEEvT0_T1_SA_, .Lfunc_end467-_ZN6thrust23THRUST_200600_302600_NS11hip_rocprim14__parallel_for6kernelILj256ENS1_20__uninitialized_fill7functorINS0_10device_ptrIxEExEEmLj1EEEvT0_T1_SA_
                                        ; -- End function
	.section	.AMDGPU.csdata,"",@progbits
; Kernel info:
; codeLenInByte = 144
; NumSgprs: 20
; NumVgprs: 5
; NumAgprs: 0
; TotalNumVgprs: 5
; ScratchSize: 0
; MemoryBound: 0
; FloatMode: 240
; IeeeMode: 1
; LDSByteSize: 0 bytes/workgroup (compile time only)
; SGPRBlocks: 2
; VGPRBlocks: 0
; NumSGPRsForWavesPerEU: 20
; NumVGPRsForWavesPerEU: 5
; AccumOffset: 8
; Occupancy: 8
; WaveLimiterHint : 0
; COMPUTE_PGM_RSRC2:SCRATCH_EN: 0
; COMPUTE_PGM_RSRC2:USER_SGPR: 6
; COMPUTE_PGM_RSRC2:TRAP_HANDLER: 0
; COMPUTE_PGM_RSRC2:TGID_X_EN: 1
; COMPUTE_PGM_RSRC2:TGID_Y_EN: 0
; COMPUTE_PGM_RSRC2:TGID_Z_EN: 0
; COMPUTE_PGM_RSRC2:TIDIG_COMP_CNT: 0
; COMPUTE_PGM_RSRC3_GFX90A:ACCUM_OFFSET: 1
; COMPUTE_PGM_RSRC3_GFX90A:TG_SPLIT: 0
	.section	.text._ZN7rocprim17ROCPRIM_400000_NS6detail25reduce_by_key_init_kernelINS1_19lookback_scan_stateINS0_5tupleIJjxEEELb0ELb0EEExNS1_16block_id_wrapperIjLb0EEEEEvT_jbjPmPT0_T1_,"axG",@progbits,_ZN7rocprim17ROCPRIM_400000_NS6detail25reduce_by_key_init_kernelINS1_19lookback_scan_stateINS0_5tupleIJjxEEELb0ELb0EEExNS1_16block_id_wrapperIjLb0EEEEEvT_jbjPmPT0_T1_,comdat
	.protected	_ZN7rocprim17ROCPRIM_400000_NS6detail25reduce_by_key_init_kernelINS1_19lookback_scan_stateINS0_5tupleIJjxEEELb0ELb0EEExNS1_16block_id_wrapperIjLb0EEEEEvT_jbjPmPT0_T1_ ; -- Begin function _ZN7rocprim17ROCPRIM_400000_NS6detail25reduce_by_key_init_kernelINS1_19lookback_scan_stateINS0_5tupleIJjxEEELb0ELb0EEExNS1_16block_id_wrapperIjLb0EEEEEvT_jbjPmPT0_T1_
	.globl	_ZN7rocprim17ROCPRIM_400000_NS6detail25reduce_by_key_init_kernelINS1_19lookback_scan_stateINS0_5tupleIJjxEEELb0ELb0EEExNS1_16block_id_wrapperIjLb0EEEEEvT_jbjPmPT0_T1_
	.p2align	8
	.type	_ZN7rocprim17ROCPRIM_400000_NS6detail25reduce_by_key_init_kernelINS1_19lookback_scan_stateINS0_5tupleIJjxEEELb0ELb0EEExNS1_16block_id_wrapperIjLb0EEEEEvT_jbjPmPT0_T1_,@function
_ZN7rocprim17ROCPRIM_400000_NS6detail25reduce_by_key_init_kernelINS1_19lookback_scan_stateINS0_5tupleIJjxEEELb0ELb0EEExNS1_16block_id_wrapperIjLb0EEEEEvT_jbjPmPT0_T1_: ; @_ZN7rocprim17ROCPRIM_400000_NS6detail25reduce_by_key_init_kernelINS1_19lookback_scan_stateINS0_5tupleIJjxEEELb0ELb0EEExNS1_16block_id_wrapperIjLb0EEEEEvT_jbjPmPT0_T1_
; %bb.0:
	s_load_dwordx8 s[8:15], s[4:5], 0x18
	s_load_dword s0, s[4:5], 0x4c
	s_load_dwordx2 s[16:17], s[4:5], 0x10
	s_waitcnt lgkmcnt(0)
	s_and_b32 s1, s9, 1
	s_and_b32 s0, s0, 0xffff
	s_mul_i32 s6, s6, s0
	s_cmp_eq_u32 s1, 0
	v_add_u32_e32 v0, s6, v0
	s_mov_b64 s[0:1], -1
	s_cbranch_scc1 .LBB468_5
; %bb.1:
	s_andn2_b64 vcc, exec, s[0:1]
	s_cbranch_vccz .LBB468_11
.LBB468_2:
	v_cmp_gt_u32_e32 vcc, s8, v0
	s_and_saveexec_b64 s[0:1], vcc
	s_cbranch_execnz .LBB468_14
.LBB468_3:
	s_or_b64 exec, exec, s[0:1]
	v_cmp_gt_u32_e32 vcc, 64, v0
	s_and_saveexec_b64 s[0:1], vcc
	s_cbranch_execnz .LBB468_15
.LBB468_4:
	s_endpgm
.LBB468_5:
	s_cmp_lt_u32 s10, s8
	s_cselect_b32 s0, s10, 0
	v_cmp_eq_u32_e32 vcc, s0, v0
	s_and_saveexec_b64 s[6:7], vcc
	s_cbranch_execz .LBB468_10
; %bb.6:
	s_add_i32 s10, s10, 64
	v_mov_b32_e32 v1, s10
	global_load_ubyte v1, v1, s[16:17] glc
	s_load_dwordx4 s[0:3], s[4:5], 0x0
	s_add_u32 s4, s16, s10
	s_mov_b32 s11, 0
	s_addc_u32 s5, s17, 0
	s_waitcnt vmcnt(0)
	v_cmp_ne_u16_e32 vcc, 0, v1
	v_readfirstlane_b32 s9, v1
	s_cbranch_vccnz .LBB468_9
; %bb.7:
	v_mov_b32_e32 v1, 0
.LBB468_8:                              ; =>This Inner Loop Header: Depth=1
	global_load_ubyte v2, v1, s[4:5] glc
	s_waitcnt vmcnt(0)
	v_cmp_eq_u16_e32 vcc, 0, v2
	v_readfirstlane_b32 s9, v2
	s_cbranch_vccnz .LBB468_8
.LBB468_9:
	s_and_b32 s4, 0xffff, s9
	s_cmp_eq_u32 s4, 1
	s_waitcnt lgkmcnt(0)
	s_cselect_b32 s3, s1, s3
	s_cselect_b32 s2, s0, s2
	s_lshl_b64 s[0:1], s[10:11], 4
	v_mov_b32_e32 v1, 0
	s_add_u32 s0, s2, s0
	buffer_wbinvl1_vol
	s_addc_u32 s1, s3, s1
	global_load_dwordx2 v[2:3], v1, s[12:13]
	global_load_dword v6, v1, s[0:1]
	global_load_dwordx2 v[4:5], v1, s[0:1] offset:8
	s_waitcnt vmcnt(1)
	v_add_co_u32_e32 v2, vcc, v2, v6
	v_addc_co_u32_e32 v3, vcc, 0, v3, vcc
	global_store_dwordx2 v1, v[2:3], s[12:13]
	s_waitcnt vmcnt(1)
	global_store_dwordx2 v1, v[4:5], s[14:15]
.LBB468_10:
	s_or_b64 exec, exec, s[6:7]
	s_cbranch_execnz .LBB468_2
.LBB468_11:
	s_cmp_lg_u64 s[12:13], 0
	s_cselect_b64 s[0:1], -1, 0
	v_cmp_eq_u32_e32 vcc, 0, v0
	s_and_b64 s[2:3], s[0:1], vcc
	s_and_saveexec_b64 s[0:1], s[2:3]
	s_cbranch_execz .LBB468_13
; %bb.12:
	v_mov_b32_e32 v2, 0
	v_mov_b32_e32 v3, v2
	global_store_dwordx2 v2, v[2:3], s[12:13]
.LBB468_13:
	s_or_b64 exec, exec, s[0:1]
	v_cmp_gt_u32_e32 vcc, s8, v0
	s_and_saveexec_b64 s[0:1], vcc
	s_cbranch_execz .LBB468_3
.LBB468_14:
	v_add_u32_e32 v1, 64, v0
	v_mov_b32_e32 v2, 0
	global_store_byte v1, v2, s[16:17]
	s_or_b64 exec, exec, s[0:1]
	v_cmp_gt_u32_e32 vcc, 64, v0
	s_and_saveexec_b64 s[0:1], vcc
	s_cbranch_execz .LBB468_4
.LBB468_15:
	v_mov_b32_e32 v1, 0xff
	global_store_byte v0, v1, s[16:17]
	s_endpgm
	.section	.rodata,"a",@progbits
	.p2align	6, 0x0
	.amdhsa_kernel _ZN7rocprim17ROCPRIM_400000_NS6detail25reduce_by_key_init_kernelINS1_19lookback_scan_stateINS0_5tupleIJjxEEELb0ELb0EEExNS1_16block_id_wrapperIjLb0EEEEEvT_jbjPmPT0_T1_
		.amdhsa_group_segment_fixed_size 0
		.amdhsa_private_segment_fixed_size 0
		.amdhsa_kernarg_size 320
		.amdhsa_user_sgpr_count 6
		.amdhsa_user_sgpr_private_segment_buffer 1
		.amdhsa_user_sgpr_dispatch_ptr 0
		.amdhsa_user_sgpr_queue_ptr 0
		.amdhsa_user_sgpr_kernarg_segment_ptr 1
		.amdhsa_user_sgpr_dispatch_id 0
		.amdhsa_user_sgpr_flat_scratch_init 0
		.amdhsa_user_sgpr_kernarg_preload_length 0
		.amdhsa_user_sgpr_kernarg_preload_offset 0
		.amdhsa_user_sgpr_private_segment_size 0
		.amdhsa_uses_dynamic_stack 0
		.amdhsa_system_sgpr_private_segment_wavefront_offset 0
		.amdhsa_system_sgpr_workgroup_id_x 1
		.amdhsa_system_sgpr_workgroup_id_y 0
		.amdhsa_system_sgpr_workgroup_id_z 0
		.amdhsa_system_sgpr_workgroup_info 0
		.amdhsa_system_vgpr_workitem_id 0
		.amdhsa_next_free_vgpr 7
		.amdhsa_next_free_sgpr 18
		.amdhsa_accum_offset 8
		.amdhsa_reserve_vcc 1
		.amdhsa_reserve_flat_scratch 0
		.amdhsa_float_round_mode_32 0
		.amdhsa_float_round_mode_16_64 0
		.amdhsa_float_denorm_mode_32 3
		.amdhsa_float_denorm_mode_16_64 3
		.amdhsa_dx10_clamp 1
		.amdhsa_ieee_mode 1
		.amdhsa_fp16_overflow 0
		.amdhsa_tg_split 0
		.amdhsa_exception_fp_ieee_invalid_op 0
		.amdhsa_exception_fp_denorm_src 0
		.amdhsa_exception_fp_ieee_div_zero 0
		.amdhsa_exception_fp_ieee_overflow 0
		.amdhsa_exception_fp_ieee_underflow 0
		.amdhsa_exception_fp_ieee_inexact 0
		.amdhsa_exception_int_div_zero 0
	.end_amdhsa_kernel
	.section	.text._ZN7rocprim17ROCPRIM_400000_NS6detail25reduce_by_key_init_kernelINS1_19lookback_scan_stateINS0_5tupleIJjxEEELb0ELb0EEExNS1_16block_id_wrapperIjLb0EEEEEvT_jbjPmPT0_T1_,"axG",@progbits,_ZN7rocprim17ROCPRIM_400000_NS6detail25reduce_by_key_init_kernelINS1_19lookback_scan_stateINS0_5tupleIJjxEEELb0ELb0EEExNS1_16block_id_wrapperIjLb0EEEEEvT_jbjPmPT0_T1_,comdat
.Lfunc_end468:
	.size	_ZN7rocprim17ROCPRIM_400000_NS6detail25reduce_by_key_init_kernelINS1_19lookback_scan_stateINS0_5tupleIJjxEEELb0ELb0EEExNS1_16block_id_wrapperIjLb0EEEEEvT_jbjPmPT0_T1_, .Lfunc_end468-_ZN7rocprim17ROCPRIM_400000_NS6detail25reduce_by_key_init_kernelINS1_19lookback_scan_stateINS0_5tupleIJjxEEELb0ELb0EEExNS1_16block_id_wrapperIjLb0EEEEEvT_jbjPmPT0_T1_
                                        ; -- End function
	.section	.AMDGPU.csdata,"",@progbits
; Kernel info:
; codeLenInByte = 420
; NumSgprs: 22
; NumVgprs: 7
; NumAgprs: 0
; TotalNumVgprs: 7
; ScratchSize: 0
; MemoryBound: 0
; FloatMode: 240
; IeeeMode: 1
; LDSByteSize: 0 bytes/workgroup (compile time only)
; SGPRBlocks: 2
; VGPRBlocks: 0
; NumSGPRsForWavesPerEU: 22
; NumVGPRsForWavesPerEU: 7
; AccumOffset: 8
; Occupancy: 8
; WaveLimiterHint : 0
; COMPUTE_PGM_RSRC2:SCRATCH_EN: 0
; COMPUTE_PGM_RSRC2:USER_SGPR: 6
; COMPUTE_PGM_RSRC2:TRAP_HANDLER: 0
; COMPUTE_PGM_RSRC2:TGID_X_EN: 1
; COMPUTE_PGM_RSRC2:TGID_Y_EN: 0
; COMPUTE_PGM_RSRC2:TGID_Z_EN: 0
; COMPUTE_PGM_RSRC2:TIDIG_COMP_CNT: 0
; COMPUTE_PGM_RSRC3_GFX90A:ACCUM_OFFSET: 1
; COMPUTE_PGM_RSRC3_GFX90A:TG_SPLIT: 0
	.section	.text._ZN7rocprim17ROCPRIM_400000_NS6detail17trampoline_kernelINS0_14default_configENS1_29reduce_by_key_config_selectorIxxN6thrust23THRUST_200600_302600_NS4plusIxEEEEZZNS1_33reduce_by_key_impl_wrapped_configILNS1_25lookback_scan_determinismE0ES3_S9_NS6_6detail15normal_iteratorINS6_10device_ptrIxEEEESG_SG_SG_PmS8_NS6_8equal_toIxEEEE10hipError_tPvRmT2_T3_mT4_T5_T6_T7_T8_P12ihipStream_tbENKUlT_T0_E_clISt17integral_constantIbLb0EES11_EEDaSW_SX_EUlSW_E_NS1_11comp_targetILNS1_3genE0ELNS1_11target_archE4294967295ELNS1_3gpuE0ELNS1_3repE0EEENS1_30default_config_static_selectorELNS0_4arch9wavefront6targetE1EEEvT1_,"axG",@progbits,_ZN7rocprim17ROCPRIM_400000_NS6detail17trampoline_kernelINS0_14default_configENS1_29reduce_by_key_config_selectorIxxN6thrust23THRUST_200600_302600_NS4plusIxEEEEZZNS1_33reduce_by_key_impl_wrapped_configILNS1_25lookback_scan_determinismE0ES3_S9_NS6_6detail15normal_iteratorINS6_10device_ptrIxEEEESG_SG_SG_PmS8_NS6_8equal_toIxEEEE10hipError_tPvRmT2_T3_mT4_T5_T6_T7_T8_P12ihipStream_tbENKUlT_T0_E_clISt17integral_constantIbLb0EES11_EEDaSW_SX_EUlSW_E_NS1_11comp_targetILNS1_3genE0ELNS1_11target_archE4294967295ELNS1_3gpuE0ELNS1_3repE0EEENS1_30default_config_static_selectorELNS0_4arch9wavefront6targetE1EEEvT1_,comdat
	.protected	_ZN7rocprim17ROCPRIM_400000_NS6detail17trampoline_kernelINS0_14default_configENS1_29reduce_by_key_config_selectorIxxN6thrust23THRUST_200600_302600_NS4plusIxEEEEZZNS1_33reduce_by_key_impl_wrapped_configILNS1_25lookback_scan_determinismE0ES3_S9_NS6_6detail15normal_iteratorINS6_10device_ptrIxEEEESG_SG_SG_PmS8_NS6_8equal_toIxEEEE10hipError_tPvRmT2_T3_mT4_T5_T6_T7_T8_P12ihipStream_tbENKUlT_T0_E_clISt17integral_constantIbLb0EES11_EEDaSW_SX_EUlSW_E_NS1_11comp_targetILNS1_3genE0ELNS1_11target_archE4294967295ELNS1_3gpuE0ELNS1_3repE0EEENS1_30default_config_static_selectorELNS0_4arch9wavefront6targetE1EEEvT1_ ; -- Begin function _ZN7rocprim17ROCPRIM_400000_NS6detail17trampoline_kernelINS0_14default_configENS1_29reduce_by_key_config_selectorIxxN6thrust23THRUST_200600_302600_NS4plusIxEEEEZZNS1_33reduce_by_key_impl_wrapped_configILNS1_25lookback_scan_determinismE0ES3_S9_NS6_6detail15normal_iteratorINS6_10device_ptrIxEEEESG_SG_SG_PmS8_NS6_8equal_toIxEEEE10hipError_tPvRmT2_T3_mT4_T5_T6_T7_T8_P12ihipStream_tbENKUlT_T0_E_clISt17integral_constantIbLb0EES11_EEDaSW_SX_EUlSW_E_NS1_11comp_targetILNS1_3genE0ELNS1_11target_archE4294967295ELNS1_3gpuE0ELNS1_3repE0EEENS1_30default_config_static_selectorELNS0_4arch9wavefront6targetE1EEEvT1_
	.globl	_ZN7rocprim17ROCPRIM_400000_NS6detail17trampoline_kernelINS0_14default_configENS1_29reduce_by_key_config_selectorIxxN6thrust23THRUST_200600_302600_NS4plusIxEEEEZZNS1_33reduce_by_key_impl_wrapped_configILNS1_25lookback_scan_determinismE0ES3_S9_NS6_6detail15normal_iteratorINS6_10device_ptrIxEEEESG_SG_SG_PmS8_NS6_8equal_toIxEEEE10hipError_tPvRmT2_T3_mT4_T5_T6_T7_T8_P12ihipStream_tbENKUlT_T0_E_clISt17integral_constantIbLb0EES11_EEDaSW_SX_EUlSW_E_NS1_11comp_targetILNS1_3genE0ELNS1_11target_archE4294967295ELNS1_3gpuE0ELNS1_3repE0EEENS1_30default_config_static_selectorELNS0_4arch9wavefront6targetE1EEEvT1_
	.p2align	8
	.type	_ZN7rocprim17ROCPRIM_400000_NS6detail17trampoline_kernelINS0_14default_configENS1_29reduce_by_key_config_selectorIxxN6thrust23THRUST_200600_302600_NS4plusIxEEEEZZNS1_33reduce_by_key_impl_wrapped_configILNS1_25lookback_scan_determinismE0ES3_S9_NS6_6detail15normal_iteratorINS6_10device_ptrIxEEEESG_SG_SG_PmS8_NS6_8equal_toIxEEEE10hipError_tPvRmT2_T3_mT4_T5_T6_T7_T8_P12ihipStream_tbENKUlT_T0_E_clISt17integral_constantIbLb0EES11_EEDaSW_SX_EUlSW_E_NS1_11comp_targetILNS1_3genE0ELNS1_11target_archE4294967295ELNS1_3gpuE0ELNS1_3repE0EEENS1_30default_config_static_selectorELNS0_4arch9wavefront6targetE1EEEvT1_,@function
_ZN7rocprim17ROCPRIM_400000_NS6detail17trampoline_kernelINS0_14default_configENS1_29reduce_by_key_config_selectorIxxN6thrust23THRUST_200600_302600_NS4plusIxEEEEZZNS1_33reduce_by_key_impl_wrapped_configILNS1_25lookback_scan_determinismE0ES3_S9_NS6_6detail15normal_iteratorINS6_10device_ptrIxEEEESG_SG_SG_PmS8_NS6_8equal_toIxEEEE10hipError_tPvRmT2_T3_mT4_T5_T6_T7_T8_P12ihipStream_tbENKUlT_T0_E_clISt17integral_constantIbLb0EES11_EEDaSW_SX_EUlSW_E_NS1_11comp_targetILNS1_3genE0ELNS1_11target_archE4294967295ELNS1_3gpuE0ELNS1_3repE0EEENS1_30default_config_static_selectorELNS0_4arch9wavefront6targetE1EEEvT1_: ; @_ZN7rocprim17ROCPRIM_400000_NS6detail17trampoline_kernelINS0_14default_configENS1_29reduce_by_key_config_selectorIxxN6thrust23THRUST_200600_302600_NS4plusIxEEEEZZNS1_33reduce_by_key_impl_wrapped_configILNS1_25lookback_scan_determinismE0ES3_S9_NS6_6detail15normal_iteratorINS6_10device_ptrIxEEEESG_SG_SG_PmS8_NS6_8equal_toIxEEEE10hipError_tPvRmT2_T3_mT4_T5_T6_T7_T8_P12ihipStream_tbENKUlT_T0_E_clISt17integral_constantIbLb0EES11_EEDaSW_SX_EUlSW_E_NS1_11comp_targetILNS1_3genE0ELNS1_11target_archE4294967295ELNS1_3gpuE0ELNS1_3repE0EEENS1_30default_config_static_selectorELNS0_4arch9wavefront6targetE1EEEvT1_
; %bb.0:
	.section	.rodata,"a",@progbits
	.p2align	6, 0x0
	.amdhsa_kernel _ZN7rocprim17ROCPRIM_400000_NS6detail17trampoline_kernelINS0_14default_configENS1_29reduce_by_key_config_selectorIxxN6thrust23THRUST_200600_302600_NS4plusIxEEEEZZNS1_33reduce_by_key_impl_wrapped_configILNS1_25lookback_scan_determinismE0ES3_S9_NS6_6detail15normal_iteratorINS6_10device_ptrIxEEEESG_SG_SG_PmS8_NS6_8equal_toIxEEEE10hipError_tPvRmT2_T3_mT4_T5_T6_T7_T8_P12ihipStream_tbENKUlT_T0_E_clISt17integral_constantIbLb0EES11_EEDaSW_SX_EUlSW_E_NS1_11comp_targetILNS1_3genE0ELNS1_11target_archE4294967295ELNS1_3gpuE0ELNS1_3repE0EEENS1_30default_config_static_selectorELNS0_4arch9wavefront6targetE1EEEvT1_
		.amdhsa_group_segment_fixed_size 0
		.amdhsa_private_segment_fixed_size 0
		.amdhsa_kernarg_size 136
		.amdhsa_user_sgpr_count 6
		.amdhsa_user_sgpr_private_segment_buffer 1
		.amdhsa_user_sgpr_dispatch_ptr 0
		.amdhsa_user_sgpr_queue_ptr 0
		.amdhsa_user_sgpr_kernarg_segment_ptr 1
		.amdhsa_user_sgpr_dispatch_id 0
		.amdhsa_user_sgpr_flat_scratch_init 0
		.amdhsa_user_sgpr_kernarg_preload_length 0
		.amdhsa_user_sgpr_kernarg_preload_offset 0
		.amdhsa_user_sgpr_private_segment_size 0
		.amdhsa_uses_dynamic_stack 0
		.amdhsa_system_sgpr_private_segment_wavefront_offset 0
		.amdhsa_system_sgpr_workgroup_id_x 1
		.amdhsa_system_sgpr_workgroup_id_y 0
		.amdhsa_system_sgpr_workgroup_id_z 0
		.amdhsa_system_sgpr_workgroup_info 0
		.amdhsa_system_vgpr_workitem_id 0
		.amdhsa_next_free_vgpr 1
		.amdhsa_next_free_sgpr 0
		.amdhsa_accum_offset 4
		.amdhsa_reserve_vcc 0
		.amdhsa_reserve_flat_scratch 0
		.amdhsa_float_round_mode_32 0
		.amdhsa_float_round_mode_16_64 0
		.amdhsa_float_denorm_mode_32 3
		.amdhsa_float_denorm_mode_16_64 3
		.amdhsa_dx10_clamp 1
		.amdhsa_ieee_mode 1
		.amdhsa_fp16_overflow 0
		.amdhsa_tg_split 0
		.amdhsa_exception_fp_ieee_invalid_op 0
		.amdhsa_exception_fp_denorm_src 0
		.amdhsa_exception_fp_ieee_div_zero 0
		.amdhsa_exception_fp_ieee_overflow 0
		.amdhsa_exception_fp_ieee_underflow 0
		.amdhsa_exception_fp_ieee_inexact 0
		.amdhsa_exception_int_div_zero 0
	.end_amdhsa_kernel
	.section	.text._ZN7rocprim17ROCPRIM_400000_NS6detail17trampoline_kernelINS0_14default_configENS1_29reduce_by_key_config_selectorIxxN6thrust23THRUST_200600_302600_NS4plusIxEEEEZZNS1_33reduce_by_key_impl_wrapped_configILNS1_25lookback_scan_determinismE0ES3_S9_NS6_6detail15normal_iteratorINS6_10device_ptrIxEEEESG_SG_SG_PmS8_NS6_8equal_toIxEEEE10hipError_tPvRmT2_T3_mT4_T5_T6_T7_T8_P12ihipStream_tbENKUlT_T0_E_clISt17integral_constantIbLb0EES11_EEDaSW_SX_EUlSW_E_NS1_11comp_targetILNS1_3genE0ELNS1_11target_archE4294967295ELNS1_3gpuE0ELNS1_3repE0EEENS1_30default_config_static_selectorELNS0_4arch9wavefront6targetE1EEEvT1_,"axG",@progbits,_ZN7rocprim17ROCPRIM_400000_NS6detail17trampoline_kernelINS0_14default_configENS1_29reduce_by_key_config_selectorIxxN6thrust23THRUST_200600_302600_NS4plusIxEEEEZZNS1_33reduce_by_key_impl_wrapped_configILNS1_25lookback_scan_determinismE0ES3_S9_NS6_6detail15normal_iteratorINS6_10device_ptrIxEEEESG_SG_SG_PmS8_NS6_8equal_toIxEEEE10hipError_tPvRmT2_T3_mT4_T5_T6_T7_T8_P12ihipStream_tbENKUlT_T0_E_clISt17integral_constantIbLb0EES11_EEDaSW_SX_EUlSW_E_NS1_11comp_targetILNS1_3genE0ELNS1_11target_archE4294967295ELNS1_3gpuE0ELNS1_3repE0EEENS1_30default_config_static_selectorELNS0_4arch9wavefront6targetE1EEEvT1_,comdat
.Lfunc_end469:
	.size	_ZN7rocprim17ROCPRIM_400000_NS6detail17trampoline_kernelINS0_14default_configENS1_29reduce_by_key_config_selectorIxxN6thrust23THRUST_200600_302600_NS4plusIxEEEEZZNS1_33reduce_by_key_impl_wrapped_configILNS1_25lookback_scan_determinismE0ES3_S9_NS6_6detail15normal_iteratorINS6_10device_ptrIxEEEESG_SG_SG_PmS8_NS6_8equal_toIxEEEE10hipError_tPvRmT2_T3_mT4_T5_T6_T7_T8_P12ihipStream_tbENKUlT_T0_E_clISt17integral_constantIbLb0EES11_EEDaSW_SX_EUlSW_E_NS1_11comp_targetILNS1_3genE0ELNS1_11target_archE4294967295ELNS1_3gpuE0ELNS1_3repE0EEENS1_30default_config_static_selectorELNS0_4arch9wavefront6targetE1EEEvT1_, .Lfunc_end469-_ZN7rocprim17ROCPRIM_400000_NS6detail17trampoline_kernelINS0_14default_configENS1_29reduce_by_key_config_selectorIxxN6thrust23THRUST_200600_302600_NS4plusIxEEEEZZNS1_33reduce_by_key_impl_wrapped_configILNS1_25lookback_scan_determinismE0ES3_S9_NS6_6detail15normal_iteratorINS6_10device_ptrIxEEEESG_SG_SG_PmS8_NS6_8equal_toIxEEEE10hipError_tPvRmT2_T3_mT4_T5_T6_T7_T8_P12ihipStream_tbENKUlT_T0_E_clISt17integral_constantIbLb0EES11_EEDaSW_SX_EUlSW_E_NS1_11comp_targetILNS1_3genE0ELNS1_11target_archE4294967295ELNS1_3gpuE0ELNS1_3repE0EEENS1_30default_config_static_selectorELNS0_4arch9wavefront6targetE1EEEvT1_
                                        ; -- End function
	.section	.AMDGPU.csdata,"",@progbits
; Kernel info:
; codeLenInByte = 0
; NumSgprs: 4
; NumVgprs: 0
; NumAgprs: 0
; TotalNumVgprs: 0
; ScratchSize: 0
; MemoryBound: 0
; FloatMode: 240
; IeeeMode: 1
; LDSByteSize: 0 bytes/workgroup (compile time only)
; SGPRBlocks: 0
; VGPRBlocks: 0
; NumSGPRsForWavesPerEU: 4
; NumVGPRsForWavesPerEU: 1
; AccumOffset: 4
; Occupancy: 8
; WaveLimiterHint : 0
; COMPUTE_PGM_RSRC2:SCRATCH_EN: 0
; COMPUTE_PGM_RSRC2:USER_SGPR: 6
; COMPUTE_PGM_RSRC2:TRAP_HANDLER: 0
; COMPUTE_PGM_RSRC2:TGID_X_EN: 1
; COMPUTE_PGM_RSRC2:TGID_Y_EN: 0
; COMPUTE_PGM_RSRC2:TGID_Z_EN: 0
; COMPUTE_PGM_RSRC2:TIDIG_COMP_CNT: 0
; COMPUTE_PGM_RSRC3_GFX90A:ACCUM_OFFSET: 0
; COMPUTE_PGM_RSRC3_GFX90A:TG_SPLIT: 0
	.section	.text._ZN7rocprim17ROCPRIM_400000_NS6detail17trampoline_kernelINS0_14default_configENS1_29reduce_by_key_config_selectorIxxN6thrust23THRUST_200600_302600_NS4plusIxEEEEZZNS1_33reduce_by_key_impl_wrapped_configILNS1_25lookback_scan_determinismE0ES3_S9_NS6_6detail15normal_iteratorINS6_10device_ptrIxEEEESG_SG_SG_PmS8_NS6_8equal_toIxEEEE10hipError_tPvRmT2_T3_mT4_T5_T6_T7_T8_P12ihipStream_tbENKUlT_T0_E_clISt17integral_constantIbLb0EES11_EEDaSW_SX_EUlSW_E_NS1_11comp_targetILNS1_3genE5ELNS1_11target_archE942ELNS1_3gpuE9ELNS1_3repE0EEENS1_30default_config_static_selectorELNS0_4arch9wavefront6targetE1EEEvT1_,"axG",@progbits,_ZN7rocprim17ROCPRIM_400000_NS6detail17trampoline_kernelINS0_14default_configENS1_29reduce_by_key_config_selectorIxxN6thrust23THRUST_200600_302600_NS4plusIxEEEEZZNS1_33reduce_by_key_impl_wrapped_configILNS1_25lookback_scan_determinismE0ES3_S9_NS6_6detail15normal_iteratorINS6_10device_ptrIxEEEESG_SG_SG_PmS8_NS6_8equal_toIxEEEE10hipError_tPvRmT2_T3_mT4_T5_T6_T7_T8_P12ihipStream_tbENKUlT_T0_E_clISt17integral_constantIbLb0EES11_EEDaSW_SX_EUlSW_E_NS1_11comp_targetILNS1_3genE5ELNS1_11target_archE942ELNS1_3gpuE9ELNS1_3repE0EEENS1_30default_config_static_selectorELNS0_4arch9wavefront6targetE1EEEvT1_,comdat
	.protected	_ZN7rocprim17ROCPRIM_400000_NS6detail17trampoline_kernelINS0_14default_configENS1_29reduce_by_key_config_selectorIxxN6thrust23THRUST_200600_302600_NS4plusIxEEEEZZNS1_33reduce_by_key_impl_wrapped_configILNS1_25lookback_scan_determinismE0ES3_S9_NS6_6detail15normal_iteratorINS6_10device_ptrIxEEEESG_SG_SG_PmS8_NS6_8equal_toIxEEEE10hipError_tPvRmT2_T3_mT4_T5_T6_T7_T8_P12ihipStream_tbENKUlT_T0_E_clISt17integral_constantIbLb0EES11_EEDaSW_SX_EUlSW_E_NS1_11comp_targetILNS1_3genE5ELNS1_11target_archE942ELNS1_3gpuE9ELNS1_3repE0EEENS1_30default_config_static_selectorELNS0_4arch9wavefront6targetE1EEEvT1_ ; -- Begin function _ZN7rocprim17ROCPRIM_400000_NS6detail17trampoline_kernelINS0_14default_configENS1_29reduce_by_key_config_selectorIxxN6thrust23THRUST_200600_302600_NS4plusIxEEEEZZNS1_33reduce_by_key_impl_wrapped_configILNS1_25lookback_scan_determinismE0ES3_S9_NS6_6detail15normal_iteratorINS6_10device_ptrIxEEEESG_SG_SG_PmS8_NS6_8equal_toIxEEEE10hipError_tPvRmT2_T3_mT4_T5_T6_T7_T8_P12ihipStream_tbENKUlT_T0_E_clISt17integral_constantIbLb0EES11_EEDaSW_SX_EUlSW_E_NS1_11comp_targetILNS1_3genE5ELNS1_11target_archE942ELNS1_3gpuE9ELNS1_3repE0EEENS1_30default_config_static_selectorELNS0_4arch9wavefront6targetE1EEEvT1_
	.globl	_ZN7rocprim17ROCPRIM_400000_NS6detail17trampoline_kernelINS0_14default_configENS1_29reduce_by_key_config_selectorIxxN6thrust23THRUST_200600_302600_NS4plusIxEEEEZZNS1_33reduce_by_key_impl_wrapped_configILNS1_25lookback_scan_determinismE0ES3_S9_NS6_6detail15normal_iteratorINS6_10device_ptrIxEEEESG_SG_SG_PmS8_NS6_8equal_toIxEEEE10hipError_tPvRmT2_T3_mT4_T5_T6_T7_T8_P12ihipStream_tbENKUlT_T0_E_clISt17integral_constantIbLb0EES11_EEDaSW_SX_EUlSW_E_NS1_11comp_targetILNS1_3genE5ELNS1_11target_archE942ELNS1_3gpuE9ELNS1_3repE0EEENS1_30default_config_static_selectorELNS0_4arch9wavefront6targetE1EEEvT1_
	.p2align	8
	.type	_ZN7rocprim17ROCPRIM_400000_NS6detail17trampoline_kernelINS0_14default_configENS1_29reduce_by_key_config_selectorIxxN6thrust23THRUST_200600_302600_NS4plusIxEEEEZZNS1_33reduce_by_key_impl_wrapped_configILNS1_25lookback_scan_determinismE0ES3_S9_NS6_6detail15normal_iteratorINS6_10device_ptrIxEEEESG_SG_SG_PmS8_NS6_8equal_toIxEEEE10hipError_tPvRmT2_T3_mT4_T5_T6_T7_T8_P12ihipStream_tbENKUlT_T0_E_clISt17integral_constantIbLb0EES11_EEDaSW_SX_EUlSW_E_NS1_11comp_targetILNS1_3genE5ELNS1_11target_archE942ELNS1_3gpuE9ELNS1_3repE0EEENS1_30default_config_static_selectorELNS0_4arch9wavefront6targetE1EEEvT1_,@function
_ZN7rocprim17ROCPRIM_400000_NS6detail17trampoline_kernelINS0_14default_configENS1_29reduce_by_key_config_selectorIxxN6thrust23THRUST_200600_302600_NS4plusIxEEEEZZNS1_33reduce_by_key_impl_wrapped_configILNS1_25lookback_scan_determinismE0ES3_S9_NS6_6detail15normal_iteratorINS6_10device_ptrIxEEEESG_SG_SG_PmS8_NS6_8equal_toIxEEEE10hipError_tPvRmT2_T3_mT4_T5_T6_T7_T8_P12ihipStream_tbENKUlT_T0_E_clISt17integral_constantIbLb0EES11_EEDaSW_SX_EUlSW_E_NS1_11comp_targetILNS1_3genE5ELNS1_11target_archE942ELNS1_3gpuE9ELNS1_3repE0EEENS1_30default_config_static_selectorELNS0_4arch9wavefront6targetE1EEEvT1_: ; @_ZN7rocprim17ROCPRIM_400000_NS6detail17trampoline_kernelINS0_14default_configENS1_29reduce_by_key_config_selectorIxxN6thrust23THRUST_200600_302600_NS4plusIxEEEEZZNS1_33reduce_by_key_impl_wrapped_configILNS1_25lookback_scan_determinismE0ES3_S9_NS6_6detail15normal_iteratorINS6_10device_ptrIxEEEESG_SG_SG_PmS8_NS6_8equal_toIxEEEE10hipError_tPvRmT2_T3_mT4_T5_T6_T7_T8_P12ihipStream_tbENKUlT_T0_E_clISt17integral_constantIbLb0EES11_EEDaSW_SX_EUlSW_E_NS1_11comp_targetILNS1_3genE5ELNS1_11target_archE942ELNS1_3gpuE9ELNS1_3repE0EEENS1_30default_config_static_selectorELNS0_4arch9wavefront6targetE1EEEvT1_
; %bb.0:
	.section	.rodata,"a",@progbits
	.p2align	6, 0x0
	.amdhsa_kernel _ZN7rocprim17ROCPRIM_400000_NS6detail17trampoline_kernelINS0_14default_configENS1_29reduce_by_key_config_selectorIxxN6thrust23THRUST_200600_302600_NS4plusIxEEEEZZNS1_33reduce_by_key_impl_wrapped_configILNS1_25lookback_scan_determinismE0ES3_S9_NS6_6detail15normal_iteratorINS6_10device_ptrIxEEEESG_SG_SG_PmS8_NS6_8equal_toIxEEEE10hipError_tPvRmT2_T3_mT4_T5_T6_T7_T8_P12ihipStream_tbENKUlT_T0_E_clISt17integral_constantIbLb0EES11_EEDaSW_SX_EUlSW_E_NS1_11comp_targetILNS1_3genE5ELNS1_11target_archE942ELNS1_3gpuE9ELNS1_3repE0EEENS1_30default_config_static_selectorELNS0_4arch9wavefront6targetE1EEEvT1_
		.amdhsa_group_segment_fixed_size 0
		.amdhsa_private_segment_fixed_size 0
		.amdhsa_kernarg_size 136
		.amdhsa_user_sgpr_count 6
		.amdhsa_user_sgpr_private_segment_buffer 1
		.amdhsa_user_sgpr_dispatch_ptr 0
		.amdhsa_user_sgpr_queue_ptr 0
		.amdhsa_user_sgpr_kernarg_segment_ptr 1
		.amdhsa_user_sgpr_dispatch_id 0
		.amdhsa_user_sgpr_flat_scratch_init 0
		.amdhsa_user_sgpr_kernarg_preload_length 0
		.amdhsa_user_sgpr_kernarg_preload_offset 0
		.amdhsa_user_sgpr_private_segment_size 0
		.amdhsa_uses_dynamic_stack 0
		.amdhsa_system_sgpr_private_segment_wavefront_offset 0
		.amdhsa_system_sgpr_workgroup_id_x 1
		.amdhsa_system_sgpr_workgroup_id_y 0
		.amdhsa_system_sgpr_workgroup_id_z 0
		.amdhsa_system_sgpr_workgroup_info 0
		.amdhsa_system_vgpr_workitem_id 0
		.amdhsa_next_free_vgpr 1
		.amdhsa_next_free_sgpr 0
		.amdhsa_accum_offset 4
		.amdhsa_reserve_vcc 0
		.amdhsa_reserve_flat_scratch 0
		.amdhsa_float_round_mode_32 0
		.amdhsa_float_round_mode_16_64 0
		.amdhsa_float_denorm_mode_32 3
		.amdhsa_float_denorm_mode_16_64 3
		.amdhsa_dx10_clamp 1
		.amdhsa_ieee_mode 1
		.amdhsa_fp16_overflow 0
		.amdhsa_tg_split 0
		.amdhsa_exception_fp_ieee_invalid_op 0
		.amdhsa_exception_fp_denorm_src 0
		.amdhsa_exception_fp_ieee_div_zero 0
		.amdhsa_exception_fp_ieee_overflow 0
		.amdhsa_exception_fp_ieee_underflow 0
		.amdhsa_exception_fp_ieee_inexact 0
		.amdhsa_exception_int_div_zero 0
	.end_amdhsa_kernel
	.section	.text._ZN7rocprim17ROCPRIM_400000_NS6detail17trampoline_kernelINS0_14default_configENS1_29reduce_by_key_config_selectorIxxN6thrust23THRUST_200600_302600_NS4plusIxEEEEZZNS1_33reduce_by_key_impl_wrapped_configILNS1_25lookback_scan_determinismE0ES3_S9_NS6_6detail15normal_iteratorINS6_10device_ptrIxEEEESG_SG_SG_PmS8_NS6_8equal_toIxEEEE10hipError_tPvRmT2_T3_mT4_T5_T6_T7_T8_P12ihipStream_tbENKUlT_T0_E_clISt17integral_constantIbLb0EES11_EEDaSW_SX_EUlSW_E_NS1_11comp_targetILNS1_3genE5ELNS1_11target_archE942ELNS1_3gpuE9ELNS1_3repE0EEENS1_30default_config_static_selectorELNS0_4arch9wavefront6targetE1EEEvT1_,"axG",@progbits,_ZN7rocprim17ROCPRIM_400000_NS6detail17trampoline_kernelINS0_14default_configENS1_29reduce_by_key_config_selectorIxxN6thrust23THRUST_200600_302600_NS4plusIxEEEEZZNS1_33reduce_by_key_impl_wrapped_configILNS1_25lookback_scan_determinismE0ES3_S9_NS6_6detail15normal_iteratorINS6_10device_ptrIxEEEESG_SG_SG_PmS8_NS6_8equal_toIxEEEE10hipError_tPvRmT2_T3_mT4_T5_T6_T7_T8_P12ihipStream_tbENKUlT_T0_E_clISt17integral_constantIbLb0EES11_EEDaSW_SX_EUlSW_E_NS1_11comp_targetILNS1_3genE5ELNS1_11target_archE942ELNS1_3gpuE9ELNS1_3repE0EEENS1_30default_config_static_selectorELNS0_4arch9wavefront6targetE1EEEvT1_,comdat
.Lfunc_end470:
	.size	_ZN7rocprim17ROCPRIM_400000_NS6detail17trampoline_kernelINS0_14default_configENS1_29reduce_by_key_config_selectorIxxN6thrust23THRUST_200600_302600_NS4plusIxEEEEZZNS1_33reduce_by_key_impl_wrapped_configILNS1_25lookback_scan_determinismE0ES3_S9_NS6_6detail15normal_iteratorINS6_10device_ptrIxEEEESG_SG_SG_PmS8_NS6_8equal_toIxEEEE10hipError_tPvRmT2_T3_mT4_T5_T6_T7_T8_P12ihipStream_tbENKUlT_T0_E_clISt17integral_constantIbLb0EES11_EEDaSW_SX_EUlSW_E_NS1_11comp_targetILNS1_3genE5ELNS1_11target_archE942ELNS1_3gpuE9ELNS1_3repE0EEENS1_30default_config_static_selectorELNS0_4arch9wavefront6targetE1EEEvT1_, .Lfunc_end470-_ZN7rocprim17ROCPRIM_400000_NS6detail17trampoline_kernelINS0_14default_configENS1_29reduce_by_key_config_selectorIxxN6thrust23THRUST_200600_302600_NS4plusIxEEEEZZNS1_33reduce_by_key_impl_wrapped_configILNS1_25lookback_scan_determinismE0ES3_S9_NS6_6detail15normal_iteratorINS6_10device_ptrIxEEEESG_SG_SG_PmS8_NS6_8equal_toIxEEEE10hipError_tPvRmT2_T3_mT4_T5_T6_T7_T8_P12ihipStream_tbENKUlT_T0_E_clISt17integral_constantIbLb0EES11_EEDaSW_SX_EUlSW_E_NS1_11comp_targetILNS1_3genE5ELNS1_11target_archE942ELNS1_3gpuE9ELNS1_3repE0EEENS1_30default_config_static_selectorELNS0_4arch9wavefront6targetE1EEEvT1_
                                        ; -- End function
	.section	.AMDGPU.csdata,"",@progbits
; Kernel info:
; codeLenInByte = 0
; NumSgprs: 4
; NumVgprs: 0
; NumAgprs: 0
; TotalNumVgprs: 0
; ScratchSize: 0
; MemoryBound: 0
; FloatMode: 240
; IeeeMode: 1
; LDSByteSize: 0 bytes/workgroup (compile time only)
; SGPRBlocks: 0
; VGPRBlocks: 0
; NumSGPRsForWavesPerEU: 4
; NumVGPRsForWavesPerEU: 1
; AccumOffset: 4
; Occupancy: 8
; WaveLimiterHint : 0
; COMPUTE_PGM_RSRC2:SCRATCH_EN: 0
; COMPUTE_PGM_RSRC2:USER_SGPR: 6
; COMPUTE_PGM_RSRC2:TRAP_HANDLER: 0
; COMPUTE_PGM_RSRC2:TGID_X_EN: 1
; COMPUTE_PGM_RSRC2:TGID_Y_EN: 0
; COMPUTE_PGM_RSRC2:TGID_Z_EN: 0
; COMPUTE_PGM_RSRC2:TIDIG_COMP_CNT: 0
; COMPUTE_PGM_RSRC3_GFX90A:ACCUM_OFFSET: 0
; COMPUTE_PGM_RSRC3_GFX90A:TG_SPLIT: 0
	.section	.text._ZN7rocprim17ROCPRIM_400000_NS6detail17trampoline_kernelINS0_14default_configENS1_29reduce_by_key_config_selectorIxxN6thrust23THRUST_200600_302600_NS4plusIxEEEEZZNS1_33reduce_by_key_impl_wrapped_configILNS1_25lookback_scan_determinismE0ES3_S9_NS6_6detail15normal_iteratorINS6_10device_ptrIxEEEESG_SG_SG_PmS8_NS6_8equal_toIxEEEE10hipError_tPvRmT2_T3_mT4_T5_T6_T7_T8_P12ihipStream_tbENKUlT_T0_E_clISt17integral_constantIbLb0EES11_EEDaSW_SX_EUlSW_E_NS1_11comp_targetILNS1_3genE4ELNS1_11target_archE910ELNS1_3gpuE8ELNS1_3repE0EEENS1_30default_config_static_selectorELNS0_4arch9wavefront6targetE1EEEvT1_,"axG",@progbits,_ZN7rocprim17ROCPRIM_400000_NS6detail17trampoline_kernelINS0_14default_configENS1_29reduce_by_key_config_selectorIxxN6thrust23THRUST_200600_302600_NS4plusIxEEEEZZNS1_33reduce_by_key_impl_wrapped_configILNS1_25lookback_scan_determinismE0ES3_S9_NS6_6detail15normal_iteratorINS6_10device_ptrIxEEEESG_SG_SG_PmS8_NS6_8equal_toIxEEEE10hipError_tPvRmT2_T3_mT4_T5_T6_T7_T8_P12ihipStream_tbENKUlT_T0_E_clISt17integral_constantIbLb0EES11_EEDaSW_SX_EUlSW_E_NS1_11comp_targetILNS1_3genE4ELNS1_11target_archE910ELNS1_3gpuE8ELNS1_3repE0EEENS1_30default_config_static_selectorELNS0_4arch9wavefront6targetE1EEEvT1_,comdat
	.protected	_ZN7rocprim17ROCPRIM_400000_NS6detail17trampoline_kernelINS0_14default_configENS1_29reduce_by_key_config_selectorIxxN6thrust23THRUST_200600_302600_NS4plusIxEEEEZZNS1_33reduce_by_key_impl_wrapped_configILNS1_25lookback_scan_determinismE0ES3_S9_NS6_6detail15normal_iteratorINS6_10device_ptrIxEEEESG_SG_SG_PmS8_NS6_8equal_toIxEEEE10hipError_tPvRmT2_T3_mT4_T5_T6_T7_T8_P12ihipStream_tbENKUlT_T0_E_clISt17integral_constantIbLb0EES11_EEDaSW_SX_EUlSW_E_NS1_11comp_targetILNS1_3genE4ELNS1_11target_archE910ELNS1_3gpuE8ELNS1_3repE0EEENS1_30default_config_static_selectorELNS0_4arch9wavefront6targetE1EEEvT1_ ; -- Begin function _ZN7rocprim17ROCPRIM_400000_NS6detail17trampoline_kernelINS0_14default_configENS1_29reduce_by_key_config_selectorIxxN6thrust23THRUST_200600_302600_NS4plusIxEEEEZZNS1_33reduce_by_key_impl_wrapped_configILNS1_25lookback_scan_determinismE0ES3_S9_NS6_6detail15normal_iteratorINS6_10device_ptrIxEEEESG_SG_SG_PmS8_NS6_8equal_toIxEEEE10hipError_tPvRmT2_T3_mT4_T5_T6_T7_T8_P12ihipStream_tbENKUlT_T0_E_clISt17integral_constantIbLb0EES11_EEDaSW_SX_EUlSW_E_NS1_11comp_targetILNS1_3genE4ELNS1_11target_archE910ELNS1_3gpuE8ELNS1_3repE0EEENS1_30default_config_static_selectorELNS0_4arch9wavefront6targetE1EEEvT1_
	.globl	_ZN7rocprim17ROCPRIM_400000_NS6detail17trampoline_kernelINS0_14default_configENS1_29reduce_by_key_config_selectorIxxN6thrust23THRUST_200600_302600_NS4plusIxEEEEZZNS1_33reduce_by_key_impl_wrapped_configILNS1_25lookback_scan_determinismE0ES3_S9_NS6_6detail15normal_iteratorINS6_10device_ptrIxEEEESG_SG_SG_PmS8_NS6_8equal_toIxEEEE10hipError_tPvRmT2_T3_mT4_T5_T6_T7_T8_P12ihipStream_tbENKUlT_T0_E_clISt17integral_constantIbLb0EES11_EEDaSW_SX_EUlSW_E_NS1_11comp_targetILNS1_3genE4ELNS1_11target_archE910ELNS1_3gpuE8ELNS1_3repE0EEENS1_30default_config_static_selectorELNS0_4arch9wavefront6targetE1EEEvT1_
	.p2align	8
	.type	_ZN7rocprim17ROCPRIM_400000_NS6detail17trampoline_kernelINS0_14default_configENS1_29reduce_by_key_config_selectorIxxN6thrust23THRUST_200600_302600_NS4plusIxEEEEZZNS1_33reduce_by_key_impl_wrapped_configILNS1_25lookback_scan_determinismE0ES3_S9_NS6_6detail15normal_iteratorINS6_10device_ptrIxEEEESG_SG_SG_PmS8_NS6_8equal_toIxEEEE10hipError_tPvRmT2_T3_mT4_T5_T6_T7_T8_P12ihipStream_tbENKUlT_T0_E_clISt17integral_constantIbLb0EES11_EEDaSW_SX_EUlSW_E_NS1_11comp_targetILNS1_3genE4ELNS1_11target_archE910ELNS1_3gpuE8ELNS1_3repE0EEENS1_30default_config_static_selectorELNS0_4arch9wavefront6targetE1EEEvT1_,@function
_ZN7rocprim17ROCPRIM_400000_NS6detail17trampoline_kernelINS0_14default_configENS1_29reduce_by_key_config_selectorIxxN6thrust23THRUST_200600_302600_NS4plusIxEEEEZZNS1_33reduce_by_key_impl_wrapped_configILNS1_25lookback_scan_determinismE0ES3_S9_NS6_6detail15normal_iteratorINS6_10device_ptrIxEEEESG_SG_SG_PmS8_NS6_8equal_toIxEEEE10hipError_tPvRmT2_T3_mT4_T5_T6_T7_T8_P12ihipStream_tbENKUlT_T0_E_clISt17integral_constantIbLb0EES11_EEDaSW_SX_EUlSW_E_NS1_11comp_targetILNS1_3genE4ELNS1_11target_archE910ELNS1_3gpuE8ELNS1_3repE0EEENS1_30default_config_static_selectorELNS0_4arch9wavefront6targetE1EEEvT1_: ; @_ZN7rocprim17ROCPRIM_400000_NS6detail17trampoline_kernelINS0_14default_configENS1_29reduce_by_key_config_selectorIxxN6thrust23THRUST_200600_302600_NS4plusIxEEEEZZNS1_33reduce_by_key_impl_wrapped_configILNS1_25lookback_scan_determinismE0ES3_S9_NS6_6detail15normal_iteratorINS6_10device_ptrIxEEEESG_SG_SG_PmS8_NS6_8equal_toIxEEEE10hipError_tPvRmT2_T3_mT4_T5_T6_T7_T8_P12ihipStream_tbENKUlT_T0_E_clISt17integral_constantIbLb0EES11_EEDaSW_SX_EUlSW_E_NS1_11comp_targetILNS1_3genE4ELNS1_11target_archE910ELNS1_3gpuE8ELNS1_3repE0EEENS1_30default_config_static_selectorELNS0_4arch9wavefront6targetE1EEEvT1_
; %bb.0:
	s_load_dwordx8 s[52:59], s[4:5], 0x0
	s_load_dwordx4 s[60:63], s[4:5], 0x20
	s_load_dwordx16 s[36:51], s[4:5], 0x38
	s_waitcnt lgkmcnt(0)
	s_lshl_b64 s[0:1], s[54:55], 3
	s_add_u32 s2, s52, s0
	s_addc_u32 s3, s53, s1
	s_add_u32 s8, s56, s0
	s_addc_u32 s9, s57, s1
	s_mul_i32 s0, s44, s43
	s_mul_hi_u32 s1, s44, s42
	s_add_i32 s0, s1, s0
	s_mul_i32 s1, s45, s42
	s_add_i32 s10, s0, s1
	s_mul_i32 s0, s6, 0xf00
	s_mov_b32 s1, 0
	s_lshl_b64 s[0:1], s[0:1], 3
	s_add_u32 s7, s2, s0
	s_addc_u32 s64, s3, s1
	s_add_u32 s56, s8, s0
	s_mul_i32 s11, s44, s42
	s_addc_u32 s57, s9, s1
	s_add_u32 s52, s11, s6
	s_addc_u32 s53, s10, 0
	s_add_u32 s2, s46, -1
	s_addc_u32 s3, s47, -1
	s_cmp_eq_u64 s[52:53], s[2:3]
	s_cselect_b64 s[34:35], -1, 0
	s_cmp_lg_u64 s[52:53], s[2:3]
	s_mov_b64 s[0:1], -1
	s_cselect_b64 s[54:55], -1, 0
	s_mul_i32 s33, s2, 0xfffff100
	s_and_b64 vcc, exec, s[34:35]
	s_cbranch_vccnz .LBB471_2
; %bb.1:
	v_lshlrev_b32_e32 v80, 3, v0
	v_mov_b32_e32 v1, s64
	v_add_co_u32_e32 v2, vcc, s7, v80
	v_addc_co_u32_e32 v3, vcc, 0, v1, vcc
	v_add_co_u32_e32 v4, vcc, 0x1000, v2
	v_addc_co_u32_e32 v5, vcc, 0, v3, vcc
	flat_load_dwordx2 v[6:7], v[2:3]
	flat_load_dwordx2 v[8:9], v[2:3] offset:2048
	flat_load_dwordx2 v[10:11], v[4:5]
	flat_load_dwordx2 v[12:13], v[4:5] offset:2048
	v_add_co_u32_e32 v4, vcc, 0x2000, v2
	v_addc_co_u32_e32 v5, vcc, 0, v3, vcc
	v_add_co_u32_e32 v14, vcc, 0x3000, v2
	v_addc_co_u32_e32 v15, vcc, 0, v3, vcc
	flat_load_dwordx2 v[16:17], v[4:5]
	flat_load_dwordx2 v[18:19], v[4:5] offset:2048
	flat_load_dwordx2 v[20:21], v[14:15]
	flat_load_dwordx2 v[22:23], v[14:15] offset:2048
	;; [unrolled: 8-line block ×3, first 2 shown]
	v_add_co_u32_e32 v4, vcc, 0x6000, v2
	v_addc_co_u32_e32 v5, vcc, 0, v3, vcc
	v_add_co_u32_e32 v2, vcc, 0x7000, v2
	v_addc_co_u32_e32 v3, vcc, 0, v3, vcc
	flat_load_dwordx2 v[14:15], v[4:5]
	flat_load_dwordx2 v[32:33], v[4:5] offset:2048
	flat_load_dwordx2 v[34:35], v[2:3]
	v_mov_b32_e32 v36, s57
	s_movk_i32 s0, 0x1000
	s_movk_i32 s11, 0x70
	;; [unrolled: 1-line block ×3, first 2 shown]
	v_mad_u32_u24 v1, v0, s11, v80
	s_movk_i32 s2, 0x3000
	s_movk_i32 s3, 0x4000
	;; [unrolled: 1-line block ×5, first 2 shown]
	s_waitcnt vmcnt(0) lgkmcnt(0)
	ds_write2st64_b64 v80, v[6:7], v[8:9] offset1:4
	ds_write2st64_b64 v80, v[10:11], v[12:13] offset0:8 offset1:12
	ds_write2st64_b64 v80, v[16:17], v[18:19] offset0:16 offset1:20
	;; [unrolled: 1-line block ×6, first 2 shown]
	ds_write_b64 v80, v[34:35] offset:28672
	v_add_co_u32_e32 v30, vcc, s56, v80
	v_addc_co_u32_e32 v31, vcc, 0, v36, vcc
	v_add_co_u32_e32 v32, vcc, s0, v30
	v_addc_co_u32_e32 v33, vcc, 0, v31, vcc
	s_waitcnt lgkmcnt(0)
	s_barrier
	ds_read2_b64 v[26:29], v1 offset1:1
	ds_read2_b64 v[22:25], v1 offset0:2 offset1:3
	ds_read2_b64 v[18:21], v1 offset0:4 offset1:5
	;; [unrolled: 1-line block ×6, first 2 shown]
	ds_read_b64 v[74:75], v1 offset:112
	s_waitcnt lgkmcnt(0)
	s_barrier
	flat_load_dwordx2 v[34:35], v[30:31]
	flat_load_dwordx2 v[36:37], v[30:31] offset:2048
	flat_load_dwordx2 v[38:39], v[32:33]
	flat_load_dwordx2 v[40:41], v[32:33] offset:2048
	v_add_co_u32_e32 v32, vcc, s1, v30
	v_addc_co_u32_e32 v33, vcc, 0, v31, vcc
	v_add_co_u32_e32 v42, vcc, s2, v30
	v_addc_co_u32_e32 v43, vcc, 0, v31, vcc
	flat_load_dwordx2 v[44:45], v[32:33]
	flat_load_dwordx2 v[46:47], v[32:33] offset:2048
	flat_load_dwordx2 v[48:49], v[42:43]
	flat_load_dwordx2 v[50:51], v[42:43] offset:2048
	v_add_co_u32_e32 v32, vcc, s3, v30
	v_addc_co_u32_e32 v33, vcc, 0, v31, vcc
	v_add_co_u32_e32 v42, vcc, s8, v30
	v_addc_co_u32_e32 v43, vcc, 0, v31, vcc
	;; [unrolled: 8-line block ×3, first 2 shown]
	flat_load_dwordx2 v[42:43], v[32:33]
	flat_load_dwordx2 v[76:77], v[32:33] offset:2048
	flat_load_dwordx2 v[78:79], v[30:31]
	v_mov_b32_e32 v58, v26
	v_mov_b32_e32 v59, v27
	;; [unrolled: 1-line block ×14, first 2 shown]
	s_waitcnt vmcnt(0) lgkmcnt(0)
	ds_write2st64_b64 v80, v[34:35], v[36:37] offset1:4
	ds_write2st64_b64 v80, v[38:39], v[40:41] offset0:8 offset1:12
	ds_write2st64_b64 v80, v[44:45], v[46:47] offset0:16 offset1:20
	;; [unrolled: 1-line block ×6, first 2 shown]
	ds_write_b64 v80, v[78:79] offset:28672
	s_waitcnt lgkmcnt(0)
	s_barrier
	s_load_dwordx2 s[46:47], s[4:5], 0x78
	s_add_i32 s33, s33, s48
	s_cbranch_execz .LBB471_3
	s_branch .LBB471_50
.LBB471_2:
                                        ; implicit-def: $vgpr74_vgpr75
                                        ; implicit-def: $vgpr2_vgpr3
                                        ; implicit-def: $vgpr6_vgpr7
                                        ; implicit-def: $vgpr10_vgpr11
                                        ; implicit-def: $vgpr14_vgpr15
                                        ; implicit-def: $vgpr18_vgpr19
                                        ; implicit-def: $vgpr22_vgpr23
                                        ; implicit-def: $vgpr26_vgpr27
                                        ; implicit-def: $vgpr1
                                        ; implicit-def: $vgpr66_vgpr67_vgpr68_vgpr69
                                        ; implicit-def: $vgpr62_vgpr63_vgpr64_vgpr65
                                        ; implicit-def: $vgpr58_vgpr59_vgpr60_vgpr61
                                        ; implicit-def: $vgpr70_vgpr71_vgpr72_vgpr73
	s_load_dwordx2 s[46:47], s[4:5], 0x78
	s_andn2_b64 vcc, exec, s[0:1]
	s_add_i32 s33, s33, s48
	s_cbranch_vccnz .LBB471_50
.LBB471_3:
	v_cmp_gt_u32_e32 vcc, s33, v0
                                        ; implicit-def: $vgpr2_vgpr3
	s_and_saveexec_b64 s[2:3], vcc
	s_cbranch_execz .LBB471_5
; %bb.4:
	v_lshlrev_b32_e32 v1, 3, v0
	v_mov_b32_e32 v3, s64
	v_add_co_u32_e64 v2, s[0:1], s7, v1
	v_addc_co_u32_e64 v3, s[0:1], 0, v3, s[0:1]
	flat_load_dwordx2 v[2:3], v[2:3]
.LBB471_5:
	s_or_b64 exec, exec, s[2:3]
	v_or_b32_e32 v1, 0x100, v0
	v_cmp_gt_u32_e64 s[0:1], s33, v1
                                        ; implicit-def: $vgpr4_vgpr5
	s_and_saveexec_b64 s[4:5], s[0:1]
	s_cbranch_execz .LBB471_7
; %bb.6:
	v_lshlrev_b32_e32 v1, 3, v0
	v_mov_b32_e32 v5, s64
	v_add_co_u32_e64 v4, s[2:3], s7, v1
	v_addc_co_u32_e64 v5, s[2:3], 0, v5, s[2:3]
	flat_load_dwordx2 v[4:5], v[4:5] offset:2048
.LBB471_7:
	s_or_b64 exec, exec, s[4:5]
	v_or_b32_e32 v1, 0x200, v0
	v_cmp_gt_u32_e64 s[2:3], s33, v1
	v_lshlrev_b32_e32 v36, 3, v1
                                        ; implicit-def: $vgpr6_vgpr7
	s_and_saveexec_b64 s[8:9], s[2:3]
	s_cbranch_execz .LBB471_9
; %bb.8:
	v_mov_b32_e32 v1, s64
	v_add_co_u32_e64 v6, s[4:5], s7, v36
	v_addc_co_u32_e64 v7, s[4:5], 0, v1, s[4:5]
	flat_load_dwordx2 v[6:7], v[6:7]
.LBB471_9:
	s_or_b64 exec, exec, s[8:9]
	v_or_b32_e32 v1, 0x300, v0
	v_cmp_gt_u32_e64 s[4:5], s33, v1
	v_lshlrev_b32_e32 v38, 3, v1
                                        ; implicit-def: $vgpr8_vgpr9
	s_and_saveexec_b64 s[10:11], s[4:5]
	s_cbranch_execz .LBB471_11
; %bb.10:
	v_mov_b32_e32 v1, s64
	v_add_co_u32_e64 v8, s[8:9], s7, v38
	v_addc_co_u32_e64 v9, s[8:9], 0, v1, s[8:9]
	flat_load_dwordx2 v[8:9], v[8:9]
.LBB471_11:
	s_or_b64 exec, exec, s[10:11]
	v_or_b32_e32 v1, 0x400, v0
	v_cmp_gt_u32_e64 s[28:29], s33, v1
	v_lshlrev_b32_e32 v40, 3, v1
                                        ; implicit-def: $vgpr10_vgpr11
	s_and_saveexec_b64 s[10:11], s[28:29]
	s_cbranch_execz .LBB471_13
; %bb.12:
	v_mov_b32_e32 v1, s64
	v_add_co_u32_e64 v10, s[8:9], s7, v40
	v_addc_co_u32_e64 v11, s[8:9], 0, v1, s[8:9]
	flat_load_dwordx2 v[10:11], v[10:11]
.LBB471_13:
	s_or_b64 exec, exec, s[10:11]
	v_or_b32_e32 v1, 0x500, v0
	v_cmp_gt_u32_e64 s[8:9], s33, v1
	v_lshlrev_b32_e32 v42, 3, v1
                                        ; implicit-def: $vgpr12_vgpr13
	s_and_saveexec_b64 s[12:13], s[8:9]
	s_cbranch_execz .LBB471_15
; %bb.14:
	v_mov_b32_e32 v1, s64
	v_add_co_u32_e64 v12, s[10:11], s7, v42
	v_addc_co_u32_e64 v13, s[10:11], 0, v1, s[10:11]
	flat_load_dwordx2 v[12:13], v[12:13]
.LBB471_15:
	s_or_b64 exec, exec, s[12:13]
	v_or_b32_e32 v1, 0x600, v0
	v_cmp_gt_u32_e64 s[10:11], s33, v1
	v_lshlrev_b32_e32 v44, 3, v1
                                        ; implicit-def: $vgpr14_vgpr15
	s_and_saveexec_b64 s[14:15], s[10:11]
	s_cbranch_execz .LBB471_17
; %bb.16:
	v_mov_b32_e32 v1, s64
	v_add_co_u32_e64 v14, s[12:13], s7, v44
	v_addc_co_u32_e64 v15, s[12:13], 0, v1, s[12:13]
	flat_load_dwordx2 v[14:15], v[14:15]
.LBB471_17:
	s_or_b64 exec, exec, s[14:15]
	v_or_b32_e32 v1, 0x700, v0
	v_cmp_gt_u32_e64 s[12:13], s33, v1
	v_lshlrev_b32_e32 v46, 3, v1
                                        ; implicit-def: $vgpr16_vgpr17
	s_and_saveexec_b64 s[16:17], s[12:13]
	s_cbranch_execz .LBB471_19
; %bb.18:
	v_mov_b32_e32 v1, s64
	v_add_co_u32_e64 v16, s[14:15], s7, v46
	v_addc_co_u32_e64 v17, s[14:15], 0, v1, s[14:15]
	flat_load_dwordx2 v[16:17], v[16:17]
.LBB471_19:
	s_or_b64 exec, exec, s[16:17]
	v_or_b32_e32 v1, 0x800, v0
	v_cmp_gt_u32_e64 s[14:15], s33, v1
	v_lshlrev_b32_e32 v48, 3, v1
                                        ; implicit-def: $vgpr18_vgpr19
	s_and_saveexec_b64 s[18:19], s[14:15]
	s_cbranch_execz .LBB471_21
; %bb.20:
	v_mov_b32_e32 v1, s64
	v_add_co_u32_e64 v18, s[16:17], s7, v48
	v_addc_co_u32_e64 v19, s[16:17], 0, v1, s[16:17]
	flat_load_dwordx2 v[18:19], v[18:19]
.LBB471_21:
	s_or_b64 exec, exec, s[18:19]
	v_or_b32_e32 v1, 0x900, v0
	v_cmp_gt_u32_e64 s[16:17], s33, v1
	v_lshlrev_b32_e32 v50, 3, v1
                                        ; implicit-def: $vgpr20_vgpr21
	s_and_saveexec_b64 s[20:21], s[16:17]
	s_cbranch_execz .LBB471_23
; %bb.22:
	v_mov_b32_e32 v1, s64
	v_add_co_u32_e64 v20, s[18:19], s7, v50
	v_addc_co_u32_e64 v21, s[18:19], 0, v1, s[18:19]
	flat_load_dwordx2 v[20:21], v[20:21]
.LBB471_23:
	s_or_b64 exec, exec, s[20:21]
	v_or_b32_e32 v1, 0xa00, v0
	v_cmp_gt_u32_e64 s[18:19], s33, v1
	v_lshlrev_b32_e32 v52, 3, v1
                                        ; implicit-def: $vgpr22_vgpr23
	s_and_saveexec_b64 s[22:23], s[18:19]
	s_cbranch_execz .LBB471_25
; %bb.24:
	v_mov_b32_e32 v1, s64
	v_add_co_u32_e64 v22, s[20:21], s7, v52
	v_addc_co_u32_e64 v23, s[20:21], 0, v1, s[20:21]
	flat_load_dwordx2 v[22:23], v[22:23]
.LBB471_25:
	s_or_b64 exec, exec, s[22:23]
	v_or_b32_e32 v1, 0xb00, v0
	v_cmp_gt_u32_e64 s[20:21], s33, v1
	v_lshlrev_b32_e32 v54, 3, v1
                                        ; implicit-def: $vgpr24_vgpr25
	s_and_saveexec_b64 s[24:25], s[20:21]
	s_cbranch_execz .LBB471_27
; %bb.26:
	v_mov_b32_e32 v1, s64
	v_add_co_u32_e64 v24, s[22:23], s7, v54
	v_addc_co_u32_e64 v25, s[22:23], 0, v1, s[22:23]
	flat_load_dwordx2 v[24:25], v[24:25]
.LBB471_27:
	s_or_b64 exec, exec, s[24:25]
	v_or_b32_e32 v1, 0xc00, v0
	v_cmp_gt_u32_e64 s[22:23], s33, v1
	v_lshlrev_b32_e32 v56, 3, v1
                                        ; implicit-def: $vgpr26_vgpr27
	s_and_saveexec_b64 s[26:27], s[22:23]
	s_cbranch_execz .LBB471_29
; %bb.28:
	v_mov_b32_e32 v1, s64
	v_add_co_u32_e64 v26, s[24:25], s7, v56
	v_addc_co_u32_e64 v27, s[24:25], 0, v1, s[24:25]
	flat_load_dwordx2 v[26:27], v[26:27]
.LBB471_29:
	s_or_b64 exec, exec, s[26:27]
	v_or_b32_e32 v1, 0xd00, v0
	v_cmp_gt_u32_e64 s[24:25], s33, v1
	v_lshlrev_b32_e32 v58, 3, v1
                                        ; implicit-def: $vgpr28_vgpr29
	s_and_saveexec_b64 s[30:31], s[24:25]
	s_cbranch_execz .LBB471_31
; %bb.30:
	v_mov_b32_e32 v1, s64
	v_add_co_u32_e64 v28, s[26:27], s7, v58
	v_addc_co_u32_e64 v29, s[26:27], 0, v1, s[26:27]
	flat_load_dwordx2 v[28:29], v[28:29]
.LBB471_31:
	s_or_b64 exec, exec, s[30:31]
	v_or_b32_e32 v1, 0xe00, v0
	v_cmp_gt_u32_e64 s[26:27], s33, v1
	v_lshlrev_b32_e32 v61, 3, v1
                                        ; implicit-def: $vgpr30_vgpr31
	s_and_saveexec_b64 s[44:45], s[26:27]
	s_cbranch_execz .LBB471_33
; %bb.32:
	v_mov_b32_e32 v1, s64
	v_add_co_u32_e64 v30, s[30:31], s7, v61
	v_addc_co_u32_e64 v31, s[30:31], 0, v1, s[30:31]
	flat_load_dwordx2 v[30:31], v[30:31]
.LBB471_33:
	s_or_b64 exec, exec, s[44:45]
	v_lshlrev_b32_e32 v60, 3, v0
	s_movk_i32 s30, 0x70
	v_mad_u32_u24 v1, v0, s30, v60
	s_waitcnt vmcnt(0) lgkmcnt(0)
	ds_write2st64_b64 v60, v[2:3], v[4:5] offset1:4
	ds_write2st64_b64 v60, v[6:7], v[8:9] offset0:8 offset1:12
	ds_write2st64_b64 v60, v[10:11], v[12:13] offset0:16 offset1:20
	;; [unrolled: 1-line block ×6, first 2 shown]
	ds_write_b64 v60, v[30:31] offset:28672
	s_waitcnt lgkmcnt(0)
	s_barrier
	ds_read2_b64 v[26:29], v1 offset1:1
	ds_read2_b64 v[22:25], v1 offset0:2 offset1:3
	ds_read2_b64 v[18:21], v1 offset0:4 offset1:5
	ds_read2_b64 v[14:17], v1 offset0:6 offset1:7
	ds_read2_b64 v[10:13], v1 offset0:8 offset1:9
	ds_read2_b64 v[6:9], v1 offset0:10 offset1:11
	ds_read2_b64 v[2:5], v1 offset0:12 offset1:13
	ds_read_b64 v[74:75], v1 offset:112
	s_waitcnt lgkmcnt(0)
	s_barrier
	s_waitcnt lgkmcnt(0)
                                        ; implicit-def: $vgpr30_vgpr31
	s_and_saveexec_b64 s[30:31], vcc
	s_cbranch_execnz .LBB471_57
; %bb.34:
	s_or_b64 exec, exec, s[30:31]
                                        ; implicit-def: $vgpr32_vgpr33
	s_and_saveexec_b64 s[30:31], s[0:1]
	s_cbranch_execnz .LBB471_58
.LBB471_35:
	s_or_b64 exec, exec, s[30:31]
                                        ; implicit-def: $vgpr34_vgpr35
	s_and_saveexec_b64 s[0:1], s[2:3]
	s_cbranch_execnz .LBB471_59
.LBB471_36:
	s_or_b64 exec, exec, s[0:1]
                                        ; implicit-def: $vgpr36_vgpr37
	s_and_saveexec_b64 s[0:1], s[4:5]
	s_cbranch_execnz .LBB471_60
.LBB471_37:
	s_or_b64 exec, exec, s[0:1]
                                        ; implicit-def: $vgpr38_vgpr39
	s_and_saveexec_b64 s[0:1], s[28:29]
	s_cbranch_execnz .LBB471_61
.LBB471_38:
	s_or_b64 exec, exec, s[0:1]
                                        ; implicit-def: $vgpr40_vgpr41
	s_and_saveexec_b64 s[0:1], s[8:9]
	s_cbranch_execnz .LBB471_62
.LBB471_39:
	s_or_b64 exec, exec, s[0:1]
                                        ; implicit-def: $vgpr42_vgpr43
	s_and_saveexec_b64 s[0:1], s[10:11]
	s_cbranch_execnz .LBB471_63
.LBB471_40:
	s_or_b64 exec, exec, s[0:1]
                                        ; implicit-def: $vgpr44_vgpr45
	s_and_saveexec_b64 s[0:1], s[12:13]
	s_cbranch_execnz .LBB471_64
.LBB471_41:
	s_or_b64 exec, exec, s[0:1]
                                        ; implicit-def: $vgpr46_vgpr47
	s_and_saveexec_b64 s[0:1], s[14:15]
	s_cbranch_execnz .LBB471_65
.LBB471_42:
	s_or_b64 exec, exec, s[0:1]
                                        ; implicit-def: $vgpr48_vgpr49
	s_and_saveexec_b64 s[0:1], s[16:17]
	s_cbranch_execnz .LBB471_66
.LBB471_43:
	s_or_b64 exec, exec, s[0:1]
                                        ; implicit-def: $vgpr50_vgpr51
	s_and_saveexec_b64 s[0:1], s[18:19]
	s_cbranch_execnz .LBB471_67
.LBB471_44:
	s_or_b64 exec, exec, s[0:1]
                                        ; implicit-def: $vgpr52_vgpr53
	s_and_saveexec_b64 s[0:1], s[20:21]
	s_cbranch_execnz .LBB471_68
.LBB471_45:
	s_or_b64 exec, exec, s[0:1]
                                        ; implicit-def: $vgpr54_vgpr55
	s_and_saveexec_b64 s[0:1], s[22:23]
	s_cbranch_execnz .LBB471_69
.LBB471_46:
	s_or_b64 exec, exec, s[0:1]
                                        ; implicit-def: $vgpr56_vgpr57
	s_and_saveexec_b64 s[0:1], s[24:25]
	s_cbranch_execnz .LBB471_70
.LBB471_47:
	s_or_b64 exec, exec, s[0:1]
                                        ; implicit-def: $vgpr58_vgpr59
	s_and_saveexec_b64 s[0:1], s[26:27]
	s_cbranch_execz .LBB471_49
.LBB471_48:
	v_mov_b32_e32 v59, s57
	v_add_co_u32_e32 v58, vcc, s56, v61
	v_addc_co_u32_e32 v59, vcc, 0, v59, vcc
	flat_load_dwordx2 v[58:59], v[58:59]
.LBB471_49:
	s_or_b64 exec, exec, s[0:1]
	s_waitcnt vmcnt(0) lgkmcnt(0)
	ds_write2st64_b64 v60, v[30:31], v[32:33] offset1:4
	ds_write2st64_b64 v60, v[34:35], v[36:37] offset0:8 offset1:12
	ds_write2st64_b64 v60, v[38:39], v[40:41] offset0:16 offset1:20
	;; [unrolled: 1-line block ×6, first 2 shown]
	ds_write_b64 v60, v[58:59] offset:28672
	v_mov_b32_e32 v58, v26
	v_mov_b32_e32 v59, v27
	;; [unrolled: 1-line block ×14, first 2 shown]
	s_waitcnt lgkmcnt(0)
	s_barrier
.LBB471_50:
	s_waitcnt lgkmcnt(0)
	ds_read2_b64 v[54:57], v1 offset1:1
	ds_read2_b64 v[50:53], v1 offset0:2 offset1:3
	ds_read2_b64 v[46:49], v1 offset0:4 offset1:5
	;; [unrolled: 1-line block ×6, first 2 shown]
	ds_read_b64 v[72:73], v1 offset:112
	s_cmp_eq_u64 s[52:53], 0
	s_cselect_b64 s[44:45], -1, 0
	s_cmp_lg_u64 s[52:53], 0
	s_mov_b64 s[56:57], 0
	s_cselect_b64 s[30:31], -1, 0
	s_and_b64 vcc, exec, s[54:55]
	s_waitcnt lgkmcnt(0)
	s_barrier
	s_cbranch_vccz .LBB471_56
; %bb.51:
	s_and_b64 vcc, exec, s[30:31]
	s_cbranch_vccz .LBB471_71
; %bb.52:
	v_mov_b32_e32 v1, s64
	v_add_co_u32_e64 v76, vcc, -8, s7
	v_addc_co_u32_e32 v77, vcc, -1, v1, vcc
	flat_load_dwordx2 v[76:77], v[76:77]
	v_lshlrev_b32_e32 v1, 3, v0
	v_cmp_ne_u64_e32 vcc, v[4:5], v[74:75]
	v_cmp_ne_u64_e64 s[0:1], v[2:3], v[4:5]
	v_cmp_ne_u64_e64 s[2:3], v[8:9], v[2:3]
	;; [unrolled: 1-line block ×13, first 2 shown]
	v_cmp_ne_u32_e64 s[28:29], 0, v0
	ds_write_b64 v1, v[74:75]
	s_waitcnt lgkmcnt(0)
	s_barrier
	s_and_saveexec_b64 s[54:55], s[28:29]
	s_cbranch_execz .LBB471_54
; %bb.53:
	v_add_u32_e32 v1, -8, v1
	s_waitcnt vmcnt(0)
	ds_read_b64 v[76:77], v1
.LBB471_54:
	s_or_b64 exec, exec, s[54:55]
	v_cndmask_b32_e64 v1, 0, 1, vcc
	v_cndmask_b32_e64 v100, 0, 1, s[0:1]
	v_cndmask_b32_e64 v101, 0, 1, s[2:3]
	;; [unrolled: 1-line block ×13, first 2 shown]
	s_waitcnt vmcnt(0) lgkmcnt(0)
	v_cmp_ne_u64_e64 s[0:1], v[76:77], v[26:27]
	s_mov_b64 s[56:57], -1
.LBB471_55:
                                        ; implicit-def: $sgpr4
	s_branch .LBB471_83
.LBB471_56:
                                        ; implicit-def: $sgpr0_sgpr1
                                        ; implicit-def: $vgpr1
                                        ; implicit-def: $vgpr100
                                        ; implicit-def: $vgpr101
                                        ; implicit-def: $vgpr102
                                        ; implicit-def: $vgpr103
                                        ; implicit-def: $vgpr104
                                        ; implicit-def: $vgpr105
                                        ; implicit-def: $vgpr106
                                        ; implicit-def: $vgpr107
                                        ; implicit-def: $vgpr108
                                        ; implicit-def: $vgpr109
                                        ; implicit-def: $vgpr110
                                        ; implicit-def: $vgpr111
                                        ; implicit-def: $vgpr112
                                        ; implicit-def: $sgpr4
	s_cbranch_execnz .LBB471_75
	s_branch .LBB471_83
.LBB471_57:
	v_mov_b32_e32 v31, s57
	v_add_co_u32_e32 v30, vcc, s56, v60
	v_addc_co_u32_e32 v31, vcc, 0, v31, vcc
	flat_load_dwordx2 v[30:31], v[30:31]
	s_or_b64 exec, exec, s[30:31]
                                        ; implicit-def: $vgpr32_vgpr33
	s_and_saveexec_b64 s[30:31], s[0:1]
	s_cbranch_execz .LBB471_35
.LBB471_58:
	v_mov_b32_e32 v33, s57
	v_add_co_u32_e32 v32, vcc, s56, v60
	v_addc_co_u32_e32 v33, vcc, 0, v33, vcc
	flat_load_dwordx2 v[32:33], v[32:33] offset:2048
	s_or_b64 exec, exec, s[30:31]
                                        ; implicit-def: $vgpr34_vgpr35
	s_and_saveexec_b64 s[0:1], s[2:3]
	s_cbranch_execz .LBB471_36
.LBB471_59:
	v_mov_b32_e32 v35, s57
	v_add_co_u32_e32 v34, vcc, s56, v36
	v_addc_co_u32_e32 v35, vcc, 0, v35, vcc
	flat_load_dwordx2 v[34:35], v[34:35]
	s_or_b64 exec, exec, s[0:1]
                                        ; implicit-def: $vgpr36_vgpr37
	s_and_saveexec_b64 s[0:1], s[4:5]
	s_cbranch_execz .LBB471_37
.LBB471_60:
	v_mov_b32_e32 v37, s57
	v_add_co_u32_e32 v36, vcc, s56, v38
	v_addc_co_u32_e32 v37, vcc, 0, v37, vcc
	flat_load_dwordx2 v[36:37], v[36:37]
	s_or_b64 exec, exec, s[0:1]
                                        ; implicit-def: $vgpr38_vgpr39
	s_and_saveexec_b64 s[0:1], s[28:29]
	s_cbranch_execz .LBB471_38
.LBB471_61:
	v_mov_b32_e32 v39, s57
	v_add_co_u32_e32 v38, vcc, s56, v40
	v_addc_co_u32_e32 v39, vcc, 0, v39, vcc
	flat_load_dwordx2 v[38:39], v[38:39]
	s_or_b64 exec, exec, s[0:1]
                                        ; implicit-def: $vgpr40_vgpr41
	s_and_saveexec_b64 s[0:1], s[8:9]
	s_cbranch_execz .LBB471_39
.LBB471_62:
	v_mov_b32_e32 v41, s57
	v_add_co_u32_e32 v40, vcc, s56, v42
	v_addc_co_u32_e32 v41, vcc, 0, v41, vcc
	flat_load_dwordx2 v[40:41], v[40:41]
	s_or_b64 exec, exec, s[0:1]
                                        ; implicit-def: $vgpr42_vgpr43
	s_and_saveexec_b64 s[0:1], s[10:11]
	s_cbranch_execz .LBB471_40
.LBB471_63:
	v_mov_b32_e32 v43, s57
	v_add_co_u32_e32 v42, vcc, s56, v44
	v_addc_co_u32_e32 v43, vcc, 0, v43, vcc
	flat_load_dwordx2 v[42:43], v[42:43]
	s_or_b64 exec, exec, s[0:1]
                                        ; implicit-def: $vgpr44_vgpr45
	s_and_saveexec_b64 s[0:1], s[12:13]
	s_cbranch_execz .LBB471_41
.LBB471_64:
	v_mov_b32_e32 v45, s57
	v_add_co_u32_e32 v44, vcc, s56, v46
	v_addc_co_u32_e32 v45, vcc, 0, v45, vcc
	flat_load_dwordx2 v[44:45], v[44:45]
	s_or_b64 exec, exec, s[0:1]
                                        ; implicit-def: $vgpr46_vgpr47
	s_and_saveexec_b64 s[0:1], s[14:15]
	s_cbranch_execz .LBB471_42
.LBB471_65:
	v_mov_b32_e32 v47, s57
	v_add_co_u32_e32 v46, vcc, s56, v48
	v_addc_co_u32_e32 v47, vcc, 0, v47, vcc
	flat_load_dwordx2 v[46:47], v[46:47]
	s_or_b64 exec, exec, s[0:1]
                                        ; implicit-def: $vgpr48_vgpr49
	s_and_saveexec_b64 s[0:1], s[16:17]
	s_cbranch_execz .LBB471_43
.LBB471_66:
	v_mov_b32_e32 v49, s57
	v_add_co_u32_e32 v48, vcc, s56, v50
	v_addc_co_u32_e32 v49, vcc, 0, v49, vcc
	flat_load_dwordx2 v[48:49], v[48:49]
	s_or_b64 exec, exec, s[0:1]
                                        ; implicit-def: $vgpr50_vgpr51
	s_and_saveexec_b64 s[0:1], s[18:19]
	s_cbranch_execz .LBB471_44
.LBB471_67:
	v_mov_b32_e32 v51, s57
	v_add_co_u32_e32 v50, vcc, s56, v52
	v_addc_co_u32_e32 v51, vcc, 0, v51, vcc
	flat_load_dwordx2 v[50:51], v[50:51]
	s_or_b64 exec, exec, s[0:1]
                                        ; implicit-def: $vgpr52_vgpr53
	s_and_saveexec_b64 s[0:1], s[20:21]
	s_cbranch_execz .LBB471_45
.LBB471_68:
	v_mov_b32_e32 v53, s57
	v_add_co_u32_e32 v52, vcc, s56, v54
	v_addc_co_u32_e32 v53, vcc, 0, v53, vcc
	flat_load_dwordx2 v[52:53], v[52:53]
	s_or_b64 exec, exec, s[0:1]
                                        ; implicit-def: $vgpr54_vgpr55
	s_and_saveexec_b64 s[0:1], s[22:23]
	s_cbranch_execz .LBB471_46
.LBB471_69:
	v_mov_b32_e32 v55, s57
	v_add_co_u32_e32 v54, vcc, s56, v56
	v_addc_co_u32_e32 v55, vcc, 0, v55, vcc
	flat_load_dwordx2 v[54:55], v[54:55]
	s_or_b64 exec, exec, s[0:1]
                                        ; implicit-def: $vgpr56_vgpr57
	s_and_saveexec_b64 s[0:1], s[24:25]
	s_cbranch_execz .LBB471_47
.LBB471_70:
	v_mov_b32_e32 v57, s57
	v_add_co_u32_e32 v56, vcc, s56, v58
	v_addc_co_u32_e32 v57, vcc, 0, v57, vcc
	flat_load_dwordx2 v[56:57], v[56:57]
	s_or_b64 exec, exec, s[0:1]
                                        ; implicit-def: $vgpr58_vgpr59
	s_and_saveexec_b64 s[0:1], s[26:27]
	s_cbranch_execnz .LBB471_48
	s_branch .LBB471_49
.LBB471_71:
                                        ; implicit-def: $sgpr0_sgpr1
                                        ; implicit-def: $vgpr1
                                        ; implicit-def: $vgpr100
                                        ; implicit-def: $vgpr101
                                        ; implicit-def: $vgpr102
                                        ; implicit-def: $vgpr103
                                        ; implicit-def: $vgpr104
                                        ; implicit-def: $vgpr105
                                        ; implicit-def: $vgpr106
                                        ; implicit-def: $vgpr107
                                        ; implicit-def: $vgpr108
                                        ; implicit-def: $vgpr109
                                        ; implicit-def: $vgpr110
                                        ; implicit-def: $vgpr111
                                        ; implicit-def: $vgpr112
	s_cbranch_execz .LBB471_55
; %bb.72:
	v_cmp_ne_u64_e32 vcc, v[28:29], v[58:59]
	v_cndmask_b32_e64 v112, 0, 1, vcc
	v_cmp_ne_u64_e32 vcc, v[28:29], v[60:61]
	v_cndmask_b32_e64 v111, 0, 1, vcc
	;; [unrolled: 2-line block ×13, first 2 shown]
	v_cmp_ne_u64_e32 vcc, v[4:5], v[74:75]
	v_lshlrev_b32_e32 v76, 3, v0
	v_cndmask_b32_e64 v1, 0, 1, vcc
	v_cmp_ne_u32_e32 vcc, 0, v0
	ds_write_b64 v76, v[74:75]
	s_waitcnt lgkmcnt(0)
	s_barrier
	s_waitcnt lgkmcnt(0)
                                        ; implicit-def: $sgpr0_sgpr1
	s_and_saveexec_b64 s[2:3], vcc
	s_xor_b64 s[2:3], exec, s[2:3]
	s_cbranch_execz .LBB471_74
; %bb.73:
	v_add_u32_e32 v58, -8, v76
	ds_read_b64 v[58:59], v58
	s_or_b64 s[56:57], s[56:57], exec
	s_waitcnt lgkmcnt(0)
	v_cmp_ne_u64_e32 vcc, v[58:59], v[26:27]
	s_and_b64 s[0:1], vcc, exec
.LBB471_74:
	s_or_b64 exec, exec, s[2:3]
	s_mov_b32 s4, 1
	s_branch .LBB471_83
.LBB471_75:
	s_mul_hi_u32 s1, s52, 0xfffff100
	s_mul_i32 s0, s53, 0xfffff100
	s_sub_i32 s1, s1, s52
	s_add_i32 s1, s1, s0
	s_mul_i32 s0, s52, 0xfffff100
	s_add_u32 s48, s0, s48
	s_addc_u32 s49, s1, s49
	s_and_b64 vcc, exec, s[30:31]
	v_cmp_ne_u64_e64 s[28:29], v[4:5], v[74:75]
	v_cmp_ne_u64_e64 s[26:27], v[2:3], v[4:5]
	;; [unrolled: 1-line block ×14, first 2 shown]
	v_mad_u32_u24 v58, v0, 15, 14
	v_mad_u32_u24 v88, v0, 15, 13
	;; [unrolled: 1-line block ×14, first 2 shown]
	v_cmp_ne_u32_e64 s[8:9], 0, v0
	s_cbranch_vccz .LBB471_80
; %bb.76:
	v_mov_b32_e32 v1, s64
	v_add_co_u32_e64 v90, vcc, -8, s7
	v_addc_co_u32_e32 v91, vcc, -1, v1, vcc
	flat_load_dwordx2 v[90:91], v[90:91]
	v_mov_b32_e32 v59, 0
	v_cmp_gt_u64_e32 vcc, s[48:49], v[58:59]
	v_mov_b32_e32 v89, v59
	s_and_b64 s[28:29], vcc, s[28:29]
	v_cmp_gt_u64_e32 vcc, s[48:49], v[88:89]
	v_mov_b32_e32 v87, v59
	s_and_b64 s[26:27], vcc, s[26:27]
	;; [unrolled: 3-line block ×13, first 2 shown]
	v_cmp_gt_u64_e32 vcc, s[48:49], v[60:61]
	v_lshlrev_b32_e32 v1, 3, v0
	v_mul_u32_u24_e32 v92, 15, v0
	s_and_b64 s[0:1], vcc, s[0:1]
	ds_write_b64 v1, v[74:75]
	s_waitcnt lgkmcnt(0)
	s_barrier
	s_and_saveexec_b64 s[52:53], s[8:9]
	s_cbranch_execz .LBB471_78
; %bb.77:
	v_add_u32_e32 v1, -8, v1
	s_waitcnt vmcnt(0)
	ds_read_b64 v[90:91], v1
.LBB471_78:
	s_or_b64 exec, exec, s[52:53]
	v_mov_b32_e32 v93, v59
	v_cndmask_b32_e64 v112, 0, 1, s[0:1]
	v_cmp_gt_u64_e32 vcc, s[48:49], v[92:93]
	s_waitcnt vmcnt(0) lgkmcnt(0)
	v_cmp_ne_u64_e64 s[0:1], v[90:91], v[26:27]
	v_cndmask_b32_e64 v1, 0, 1, s[28:29]
	v_cndmask_b32_e64 v100, 0, 1, s[26:27]
	;; [unrolled: 1-line block ×13, first 2 shown]
	s_and_b64 s[0:1], vcc, s[0:1]
	s_mov_b64 s[56:57], -1
.LBB471_79:
                                        ; implicit-def: $sgpr4
	v_mov_b32_e32 v113, s4
	s_and_saveexec_b64 s[2:3], s[56:57]
	s_cbranch_execnz .LBB471_84
	s_branch .LBB471_85
.LBB471_80:
                                        ; implicit-def: $sgpr0_sgpr1
                                        ; implicit-def: $vgpr1
                                        ; implicit-def: $vgpr100
                                        ; implicit-def: $vgpr101
                                        ; implicit-def: $vgpr102
                                        ; implicit-def: $vgpr103
                                        ; implicit-def: $vgpr104
                                        ; implicit-def: $vgpr105
                                        ; implicit-def: $vgpr106
                                        ; implicit-def: $vgpr107
                                        ; implicit-def: $vgpr108
                                        ; implicit-def: $vgpr109
                                        ; implicit-def: $vgpr110
                                        ; implicit-def: $vgpr111
                                        ; implicit-def: $vgpr112
	s_cbranch_execz .LBB471_79
; %bb.81:
	v_mov_b32_e32 v59, 0
	v_cmp_gt_u64_e32 vcc, s[48:49], v[58:59]
	v_cmp_ne_u64_e64 s[0:1], v[4:5], v[74:75]
	s_and_b64 s[0:1], vcc, s[0:1]
	v_mov_b32_e32 v89, v59
	v_cndmask_b32_e64 v1, 0, 1, s[0:1]
	v_cmp_gt_u64_e32 vcc, s[48:49], v[88:89]
	v_cmp_ne_u64_e64 s[0:1], v[2:3], v[4:5]
	s_and_b64 s[0:1], vcc, s[0:1]
	v_mov_b32_e32 v87, v59
	v_cndmask_b32_e64 v100, 0, 1, s[0:1]
	;; [unrolled: 5-line block ×13, first 2 shown]
	v_cmp_gt_u64_e32 vcc, s[48:49], v[60:61]
	v_cmp_ne_u64_e64 s[0:1], v[26:27], v[28:29]
	s_and_b64 s[0:1], vcc, s[0:1]
	v_lshlrev_b32_e32 v90, 3, v0
	s_mov_b32 s4, 1
	v_cndmask_b32_e64 v112, 0, 1, s[0:1]
	v_cmp_ne_u32_e32 vcc, 0, v0
	ds_write_b64 v90, v[74:75]
	s_waitcnt lgkmcnt(0)
	s_barrier
	s_waitcnt lgkmcnt(0)
                                        ; implicit-def: $sgpr0_sgpr1
	s_and_saveexec_b64 s[2:3], vcc
	s_cbranch_execz .LBB471_220
; %bb.82:
	v_add_u32_e32 v58, -8, v90
	ds_read_b64 v[60:61], v58
	v_mul_u32_u24_e32 v58, 15, v0
	v_cmp_gt_u64_e32 vcc, s[48:49], v[58:59]
	s_or_b64 s[56:57], s[56:57], exec
	s_waitcnt lgkmcnt(0)
	v_cmp_ne_u64_e64 s[0:1], v[60:61], v[26:27]
	s_and_b64 s[0:1], vcc, s[0:1]
	s_and_b64 s[0:1], s[0:1], exec
	s_or_b64 exec, exec, s[2:3]
.LBB471_83:
	v_mov_b32_e32 v113, s4
	s_and_saveexec_b64 s[2:3], s[56:57]
.LBB471_84:
	v_cndmask_b32_e64 v113, 0, 1, s[0:1]
.LBB471_85:
	s_or_b64 exec, exec, s[2:3]
	s_cmp_eq_u64 s[42:43], 0
	v_add3_u32 v58, v112, v113, v111
	v_mov_b32_e32 v96, v54
	v_mov_b32_e32 v97, v55
	s_cselect_b64 s[30:31], -1, 0
	s_cmp_lg_u32 s6, 0
	v_cmp_eq_u32_e64 s[24:25], 0, v112
	v_cmp_eq_u32_e64 s[22:23], 0, v111
	v_cmp_eq_u32_e64 s[20:21], 0, v110
	v_add3_u32 v115, v58, v110, v109
	v_cmp_eq_u32_e64 s[18:19], 0, v109
	v_cmp_eq_u32_e64 s[16:17], 0, v108
	;; [unrolled: 1-line block ×10, first 2 shown]
	v_cmp_eq_u32_e32 vcc, 0, v1
	v_mbcnt_lo_u32_b32 v114, -1, 0
	s_cbranch_scc0 .LBB471_152
; %bb.86:
	v_cndmask_b32_e64 v59, 0, v54, s[24:25]
	v_cndmask_b32_e64 v58, 0, v55, s[24:25]
	v_add_co_u32_e64 v59, s[26:27], v59, v56
	v_addc_co_u32_e64 v58, s[26:27], v58, v57, s[26:27]
	v_cndmask_b32_e64 v59, 0, v59, s[22:23]
	v_cndmask_b32_e64 v58, 0, v58, s[22:23]
	v_add_co_u32_e64 v59, s[26:27], v59, v50
	v_addc_co_u32_e64 v58, s[26:27], v58, v51, s[26:27]
	;; [unrolled: 4-line block ×11, first 2 shown]
	v_cndmask_b32_e64 v59, 0, v59, s[2:3]
	v_add3_u32 v60, v115, v108, v107
	v_cndmask_b32_e64 v58, 0, v58, s[2:3]
	v_add_co_u32_e64 v59, s[26:27], v59, v30
	v_add3_u32 v60, v60, v106, v105
	v_addc_co_u32_e64 v58, s[26:27], v58, v31, s[26:27]
	v_cndmask_b32_e64 v59, 0, v59, s[0:1]
	v_add3_u32 v60, v60, v104, v103
	v_cndmask_b32_e64 v58, 0, v58, s[0:1]
	v_add_co_u32_e64 v59, s[26:27], v59, v32
	v_add3_u32 v60, v60, v102, v101
	v_addc_co_u32_e64 v58, s[26:27], v58, v33, s[26:27]
	v_cndmask_b32_e32 v59, 0, v59, vcc
	v_add3_u32 v62, v60, v100, v1
	v_cndmask_b32_e32 v58, 0, v58, vcc
	v_add_co_u32_e32 v60, vcc, v59, v72
	v_mbcnt_hi_u32_b32 v63, -1, v114
	v_addc_co_u32_e32 v61, vcc, v58, v73, vcc
	v_and_b32_e32 v58, 15, v63
	v_mov_b32_dpp v64, v62 row_shr:1 row_mask:0xf bank_mask:0xf
	v_mov_b32_dpp v59, v60 row_shr:1 row_mask:0xf bank_mask:0xf
	;; [unrolled: 1-line block ×3, first 2 shown]
	v_cmp_ne_u32_e32 vcc, 0, v58
	s_and_saveexec_b64 s[26:27], vcc
; %bb.87:
	v_cmp_eq_u32_e32 vcc, 0, v62
	v_cndmask_b32_e32 v59, 0, v59, vcc
	v_add_u32_e32 v64, v64, v62
	v_cndmask_b32_e32 v62, 0, v65, vcc
	v_add_co_u32_e32 v60, vcc, v59, v60
	v_addc_co_u32_e32 v61, vcc, v62, v61, vcc
	v_mov_b32_e32 v62, v64
; %bb.88:
	s_or_b64 exec, exec, s[26:27]
	s_nop 0
	v_mov_b32_dpp v64, v62 row_shr:2 row_mask:0xf bank_mask:0xf
	v_mov_b32_dpp v59, v60 row_shr:2 row_mask:0xf bank_mask:0xf
	v_mov_b32_dpp v65, v61 row_shr:2 row_mask:0xf bank_mask:0xf
	v_cmp_lt_u32_e32 vcc, 1, v58
	s_and_saveexec_b64 s[26:27], vcc
; %bb.89:
	v_cmp_eq_u32_e32 vcc, 0, v62
	v_cndmask_b32_e32 v59, 0, v59, vcc
	v_add_u32_e32 v64, v64, v62
	v_cndmask_b32_e32 v62, 0, v65, vcc
	v_add_co_u32_e32 v60, vcc, v59, v60
	v_addc_co_u32_e32 v61, vcc, v62, v61, vcc
	v_mov_b32_e32 v62, v64
; %bb.90:
	s_or_b64 exec, exec, s[26:27]
	s_nop 0
	v_mov_b32_dpp v64, v62 row_shr:4 row_mask:0xf bank_mask:0xf
	v_mov_b32_dpp v59, v60 row_shr:4 row_mask:0xf bank_mask:0xf
	v_mov_b32_dpp v65, v61 row_shr:4 row_mask:0xf bank_mask:0xf
	v_cmp_lt_u32_e32 vcc, 3, v58
	;; [unrolled: 16-line block ×3, first 2 shown]
	s_and_saveexec_b64 s[26:27], vcc
; %bb.93:
	v_cmp_eq_u32_e32 vcc, 0, v62
	v_cndmask_b32_e32 v59, 0, v59, vcc
	v_add_u32_e32 v58, v64, v62
	v_cndmask_b32_e32 v62, 0, v65, vcc
	v_add_co_u32_e32 v60, vcc, v59, v60
	v_addc_co_u32_e32 v61, vcc, v62, v61, vcc
	v_mov_b32_e32 v62, v58
; %bb.94:
	s_or_b64 exec, exec, s[26:27]
	v_and_b32_e32 v65, 16, v63
	v_mov_b32_dpp v59, v62 row_bcast:15 row_mask:0xf bank_mask:0xf
	v_mov_b32_dpp v58, v60 row_bcast:15 row_mask:0xf bank_mask:0xf
	;; [unrolled: 1-line block ×3, first 2 shown]
	v_cmp_ne_u32_e32 vcc, 0, v65
	s_and_saveexec_b64 s[26:27], vcc
; %bb.95:
	v_cmp_eq_u32_e32 vcc, 0, v62
	v_cndmask_b32_e32 v58, 0, v58, vcc
	v_add_u32_e32 v59, v59, v62
	v_cndmask_b32_e32 v62, 0, v64, vcc
	v_add_co_u32_e32 v60, vcc, v58, v60
	v_addc_co_u32_e32 v61, vcc, v62, v61, vcc
	v_mov_b32_e32 v62, v59
; %bb.96:
	s_or_b64 exec, exec, s[26:27]
	s_nop 0
	v_mov_b32_dpp v59, v62 row_bcast:31 row_mask:0xf bank_mask:0xf
	v_mov_b32_dpp v58, v60 row_bcast:31 row_mask:0xf bank_mask:0xf
	;; [unrolled: 1-line block ×3, first 2 shown]
	v_cmp_lt_u32_e32 vcc, 31, v63
	s_and_saveexec_b64 s[26:27], vcc
; %bb.97:
	v_cmp_eq_u32_e32 vcc, 0, v62
	v_cndmask_b32_e32 v58, 0, v58, vcc
	v_add_u32_e32 v59, v59, v62
	v_cndmask_b32_e32 v62, 0, v64, vcc
	v_add_co_u32_e32 v60, vcc, v58, v60
	v_addc_co_u32_e32 v61, vcc, v62, v61, vcc
	v_mov_b32_e32 v62, v59
; %bb.98:
	s_or_b64 exec, exec, s[26:27]
	v_lshrrev_b32_e32 v58, 6, v0
	v_or_b32_e32 v59, 63, v0
	v_cmp_eq_u32_e32 vcc, v59, v0
	v_lshlrev_b32_e32 v64, 4, v58
	s_and_saveexec_b64 s[26:27], vcc
	s_cbranch_execz .LBB471_100
; %bb.99:
	ds_write_b32 v64, v62 offset:4128
	ds_write_b64 v64, v[60:61] offset:4136
.LBB471_100:
	s_or_b64 exec, exec, s[26:27]
	v_cmp_gt_u32_e32 vcc, 4, v0
	s_waitcnt lgkmcnt(0)
	s_barrier
	s_and_saveexec_b64 s[26:27], vcc
	s_cbranch_execz .LBB471_106
; %bb.101:
	v_lshlrev_b32_e32 v65, 4, v0
	ds_read_b32 v66, v65 offset:4128
	ds_read_b64 v[58:59], v65 offset:4136
	v_and_b32_e32 v67, 3, v63
	v_cmp_ne_u32_e32 vcc, 0, v67
	s_waitcnt lgkmcnt(1)
	v_mov_b32_dpp v69, v66 row_shr:1 row_mask:0xf bank_mask:0xf
	s_waitcnt lgkmcnt(0)
	v_mov_b32_dpp v68, v58 row_shr:1 row_mask:0xf bank_mask:0xf
	v_mov_b32_dpp v70, v59 row_shr:1 row_mask:0xf bank_mask:0xf
	s_and_saveexec_b64 s[42:43], vcc
; %bb.102:
	v_cmp_eq_u32_e32 vcc, 0, v66
	v_cndmask_b32_e32 v68, 0, v68, vcc
	v_add_u32_e32 v69, v69, v66
	v_cndmask_b32_e32 v66, 0, v70, vcc
	v_add_co_u32_e32 v58, vcc, v68, v58
	v_addc_co_u32_e32 v59, vcc, v66, v59, vcc
	v_mov_b32_e32 v66, v69
; %bb.103:
	s_or_b64 exec, exec, s[42:43]
	s_nop 0
	v_mov_b32_dpp v69, v66 row_shr:2 row_mask:0xf bank_mask:0xf
	v_mov_b32_dpp v68, v58 row_shr:2 row_mask:0xf bank_mask:0xf
	;; [unrolled: 1-line block ×3, first 2 shown]
	v_cmp_lt_u32_e32 vcc, 1, v67
	s_and_saveexec_b64 s[42:43], vcc
; %bb.104:
	v_cmp_eq_u32_e32 vcc, 0, v66
	v_cndmask_b32_e32 v68, 0, v68, vcc
	v_add_u32_e32 v67, v69, v66
	v_cndmask_b32_e32 v66, 0, v70, vcc
	v_add_co_u32_e32 v58, vcc, v68, v58
	v_addc_co_u32_e32 v59, vcc, v66, v59, vcc
	v_mov_b32_e32 v66, v67
; %bb.105:
	s_or_b64 exec, exec, s[42:43]
	ds_write_b32 v65, v66 offset:4128
	ds_write_b64 v65, v[58:59] offset:4136
.LBB471_106:
	s_or_b64 exec, exec, s[26:27]
	v_cmp_gt_u32_e32 vcc, 64, v0
	v_cmp_lt_u32_e64 s[26:27], 63, v0
	v_pk_mov_b32 v[58:59], 0, 0
	v_mov_b32_e32 v70, 0
	s_waitcnt lgkmcnt(0)
	s_barrier
	s_and_saveexec_b64 s[42:43], s[26:27]
	s_cbranch_execz .LBB471_108
; %bb.107:
	ds_read_b32 v70, v64 offset:4112
	ds_read_b64 v[58:59], v64 offset:4120
	v_cmp_eq_u32_e64 s[26:27], 0, v62
	s_waitcnt lgkmcnt(1)
	v_add_u32_e32 v64, v70, v62
	s_waitcnt lgkmcnt(0)
	v_cndmask_b32_e64 v65, 0, v58, s[26:27]
	v_cndmask_b32_e64 v62, 0, v59, s[26:27]
	v_add_co_u32_e64 v60, s[26:27], v65, v60
	v_addc_co_u32_e64 v61, s[26:27], v62, v61, s[26:27]
	v_mov_b32_e32 v62, v64
.LBB471_108:
	s_or_b64 exec, exec, s[42:43]
	v_add_u32_e32 v64, -1, v63
	v_and_b32_e32 v65, 64, v63
	v_cmp_lt_i32_e64 s[26:27], v64, v65
	v_cndmask_b32_e64 v64, v64, v63, s[26:27]
	v_lshlrev_b32_e32 v64, 2, v64
	ds_bpermute_b32 v71, v64, v62
	ds_bpermute_b32 v76, v64, v60
	;; [unrolled: 1-line block ×3, first 2 shown]
	v_cmp_eq_u32_e64 s[26:27], 0, v63
	s_and_saveexec_b64 s[42:43], vcc
	s_cbranch_execz .LBB471_151
; %bb.109:
	v_mov_b32_e32 v65, 0
	ds_read_b32 v78, v65 offset:4176
	ds_read_b64 v[60:61], v65 offset:4184
	s_and_saveexec_b64 s[48:49], s[26:27]
	s_cbranch_execz .LBB471_111
; %bb.110:
	s_add_i32 s52, s6, 64
	s_mov_b32 s53, 0
	s_lshl_b64 s[54:55], s[52:53], 4
	s_add_u32 s54, s36, s54
	s_addc_u32 s55, s37, s55
	v_mov_b32_e32 v62, s52
	v_mov_b32_e32 v64, 1
	s_waitcnt lgkmcnt(1)
	global_store_dword v65, v78, s[54:55]
	s_waitcnt lgkmcnt(0)
	global_store_dwordx2 v65, v[60:61], s[54:55] offset:8
	s_waitcnt vmcnt(0)
	buffer_wbinvl1_vol
	global_store_byte v62, v64, s[40:41]
.LBB471_111:
	s_or_b64 exec, exec, s[48:49]
	v_xad_u32 v62, v63, -1, s6
	v_add_u32_e32 v64, 64, v62
	global_load_ubyte v79, v64, s[40:41] glc
	s_waitcnt vmcnt(0)
	v_cmp_eq_u16_e32 vcc, 0, v79
	s_and_saveexec_b64 s[48:49], vcc
	s_cbranch_execz .LBB471_115
; %bb.112:
	v_mov_b32_e32 v67, s41
	v_add_co_u32_e32 v66, vcc, s40, v64
	v_addc_co_u32_e32 v67, vcc, 0, v67, vcc
	s_mov_b64 s[52:53], 0
.LBB471_113:                            ; =>This Inner Loop Header: Depth=1
	global_load_ubyte v79, v[66:67], off glc
	s_waitcnt vmcnt(0)
	v_cmp_ne_u16_e32 vcc, 0, v79
	s_or_b64 s[52:53], vcc, s[52:53]
	s_andn2_b64 exec, exec, s[52:53]
	s_cbranch_execnz .LBB471_113
; %bb.114:
	s_or_b64 exec, exec, s[52:53]
.LBB471_115:
	s_or_b64 exec, exec, s[48:49]
	v_mov_b32_e32 v66, s39
	v_mov_b32_e32 v67, s37
	v_cmp_eq_u16_e32 vcc, 1, v79
	v_cndmask_b32_e32 v66, v66, v67, vcc
	v_mov_b32_e32 v67, s38
	v_mov_b32_e32 v68, s36
	v_cndmask_b32_e32 v67, v67, v68, vcc
	v_lshlrev_b64 v[64:65], 4, v[64:65]
	v_add_co_u32_e32 v64, vcc, v67, v64
	v_addc_co_u32_e32 v65, vcc, v66, v65, vcc
	s_waitcnt lgkmcnt(0)
	buffer_wbinvl1_vol
	global_load_dword v94, v[64:65], off
	global_load_dwordx2 v[68:69], v[64:65], off offset:8
	v_cmp_eq_u16_e32 vcc, 2, v79
	v_lshlrev_b64 v[64:65], v63, -1
	v_and_b32_e32 v80, 63, v63
	v_and_b32_e32 v66, vcc_hi, v65
	v_and_b32_e32 v84, vcc_lo, v64
	v_cmp_ne_u32_e32 vcc, 63, v80
	v_addc_co_u32_e32 v67, vcc, 0, v63, vcc
	v_lshlrev_b32_e32 v81, 2, v67
	v_or_b32_e32 v66, 0x80000000, v66
	v_ffbl_b32_e32 v66, v66
	v_add_u32_e32 v66, 32, v66
	v_ffbl_b32_e32 v84, v84
	v_min_u32_e32 v66, v84, v66
	v_cmp_lt_u32_e32 vcc, v80, v66
	s_waitcnt vmcnt(1)
	ds_bpermute_b32 v82, v81, v94
	s_waitcnt vmcnt(0)
	ds_bpermute_b32 v67, v81, v68
	ds_bpermute_b32 v83, v81, v69
	s_and_saveexec_b64 s[48:49], vcc
	s_cbranch_execz .LBB471_117
; %bb.116:
	v_cmp_eq_u32_e32 vcc, 0, v94
	s_waitcnt lgkmcnt(1)
	v_cndmask_b32_e32 v67, 0, v67, vcc
	v_add_u32_e32 v82, v82, v94
	s_waitcnt lgkmcnt(0)
	v_cndmask_b32_e32 v83, 0, v83, vcc
	v_add_co_u32_e32 v68, vcc, v67, v68
	v_addc_co_u32_e32 v69, vcc, v83, v69, vcc
	v_mov_b32_e32 v94, v82
.LBB471_117:
	s_or_b64 exec, exec, s[48:49]
	v_cmp_gt_u32_e32 vcc, 62, v80
	s_waitcnt lgkmcnt(1)
	v_cndmask_b32_e64 v67, 0, 1, vcc
	v_lshlrev_b32_e32 v67, 1, v67
	v_add_lshl_u32 v82, v67, v63, 2
	ds_bpermute_b32 v84, v82, v94
	ds_bpermute_b32 v67, v82, v68
	ds_bpermute_b32 v85, v82, v69
	s_waitcnt lgkmcnt(3)
	v_add_u32_e32 v83, 2, v80
	v_cmp_le_u32_e32 vcc, v83, v66
	s_and_saveexec_b64 s[48:49], vcc
	s_cbranch_execz .LBB471_119
; %bb.118:
	v_cmp_eq_u32_e32 vcc, 0, v94
	s_waitcnt lgkmcnt(1)
	v_cndmask_b32_e32 v67, 0, v67, vcc
	v_add_u32_e32 v84, v84, v94
	s_waitcnt lgkmcnt(0)
	v_cndmask_b32_e32 v85, 0, v85, vcc
	v_add_co_u32_e32 v68, vcc, v67, v68
	v_addc_co_u32_e32 v69, vcc, v85, v69, vcc
	v_mov_b32_e32 v94, v84
.LBB471_119:
	s_or_b64 exec, exec, s[48:49]
	v_cmp_gt_u32_e32 vcc, 60, v80
	s_waitcnt lgkmcnt(1)
	v_cndmask_b32_e64 v67, 0, 1, vcc
	v_lshlrev_b32_e32 v67, 2, v67
	v_add_lshl_u32 v84, v67, v63, 2
	ds_bpermute_b32 v86, v84, v94
	ds_bpermute_b32 v67, v84, v68
	ds_bpermute_b32 v87, v84, v69
	s_waitcnt lgkmcnt(3)
	v_add_u32_e32 v85, 4, v80
	v_cmp_le_u32_e32 vcc, v85, v66
	;; [unrolled: 25-line block ×4, first 2 shown]
	s_and_saveexec_b64 s[48:49], vcc
	s_cbranch_execz .LBB471_125
; %bb.124:
	v_cmp_eq_u32_e32 vcc, 0, v94
	s_waitcnt lgkmcnt(1)
	v_cndmask_b32_e32 v67, 0, v67, vcc
	v_add_u32_e32 v90, v90, v94
	s_waitcnt lgkmcnt(0)
	v_cndmask_b32_e32 v91, 0, v91, vcc
	v_add_co_u32_e32 v68, vcc, v67, v68
	v_addc_co_u32_e32 v69, vcc, v91, v69, vcc
	v_mov_b32_e32 v94, v90
.LBB471_125:
	s_or_b64 exec, exec, s[48:49]
	v_cmp_gt_u32_e32 vcc, 32, v80
	s_waitcnt lgkmcnt(1)
	v_cndmask_b32_e64 v67, 0, 1, vcc
	v_lshlrev_b32_e32 v67, 5, v67
	v_add_lshl_u32 v90, v67, v63, 2
	ds_bpermute_b32 v67, v90, v94
	ds_bpermute_b32 v63, v90, v68
	s_waitcnt lgkmcnt(2)
	ds_bpermute_b32 v91, v90, v69
	v_add_u32_e32 v92, 32, v80
	v_cmp_le_u32_e32 vcc, v92, v66
	s_and_saveexec_b64 s[48:49], vcc
	s_cbranch_execz .LBB471_127
; %bb.126:
	v_cmp_eq_u32_e32 vcc, 0, v94
	s_waitcnt lgkmcnt(1)
	v_cndmask_b32_e32 v63, 0, v63, vcc
	v_add_u32_e32 v66, v67, v94
	s_waitcnt lgkmcnt(0)
	v_cndmask_b32_e32 v67, 0, v91, vcc
	v_add_co_u32_e32 v68, vcc, v63, v68
	v_addc_co_u32_e32 v69, vcc, v67, v69, vcc
	v_mov_b32_e32 v94, v66
.LBB471_127:
	s_or_b64 exec, exec, s[48:49]
	s_waitcnt lgkmcnt(1)
	v_mov_b32_e32 v63, 0
	v_mov_b32_e32 v93, 2
	s_branch .LBB471_129
.LBB471_128:                            ;   in Loop: Header=BB471_129 Depth=1
	s_or_b64 exec, exec, s[48:49]
	v_cmp_eq_u32_e32 vcc, 0, v91
	v_cndmask_b32_e32 v68, 0, v68, vcc
	v_cndmask_b32_e32 v69, 0, v69, vcc
	v_add_co_u32_e32 v68, vcc, v68, v66
	v_subrev_u32_e32 v62, 64, v62
	v_add_u32_e32 v94, v95, v91
	v_addc_co_u32_e32 v69, vcc, v69, v67, vcc
.LBB471_129:                            ; =>This Loop Header: Depth=1
                                        ;     Child Loop BB471_132 Depth 2
	v_cmp_ne_u16_sdwa s[48:49], v79, v93 src0_sel:BYTE_0 src1_sel:DWORD
	v_pk_mov_b32 v[66:67], v[68:69], v[68:69] op_sel:[0,1]
	v_cndmask_b32_e64 v68, 0, 1, s[48:49]
	;;#ASMSTART
	;;#ASMEND
	v_cmp_ne_u32_e32 vcc, 0, v68
	s_cmp_lg_u64 vcc, exec
	s_waitcnt lgkmcnt(0)
	v_mov_b32_e32 v91, v94
	s_cbranch_scc1 .LBB471_146
; %bb.130:                              ;   in Loop: Header=BB471_129 Depth=1
	global_load_ubyte v79, v62, s[40:41] glc
	s_waitcnt vmcnt(0)
	v_cmp_eq_u16_e32 vcc, 0, v79
	s_and_saveexec_b64 s[48:49], vcc
	s_cbranch_execz .LBB471_134
; %bb.131:                              ;   in Loop: Header=BB471_129 Depth=1
	v_mov_b32_e32 v69, s41
	v_add_co_u32_e32 v68, vcc, s40, v62
	v_addc_co_u32_e32 v69, vcc, 0, v69, vcc
	s_mov_b64 s[52:53], 0
.LBB471_132:                            ;   Parent Loop BB471_129 Depth=1
                                        ; =>  This Inner Loop Header: Depth=2
	global_load_ubyte v79, v[68:69], off glc
	s_waitcnt vmcnt(0)
	v_cmp_ne_u16_e32 vcc, 0, v79
	s_or_b64 s[52:53], vcc, s[52:53]
	s_andn2_b64 exec, exec, s[52:53]
	s_cbranch_execnz .LBB471_132
; %bb.133:                              ;   in Loop: Header=BB471_129 Depth=1
	s_or_b64 exec, exec, s[52:53]
.LBB471_134:                            ;   in Loop: Header=BB471_129 Depth=1
	s_or_b64 exec, exec, s[48:49]
	v_mov_b32_e32 v68, s39
	v_mov_b32_e32 v69, s37
	v_cmp_eq_u16_e32 vcc, 1, v79
	v_cndmask_b32_e32 v94, v68, v69, vcc
	v_mov_b32_e32 v68, s38
	v_mov_b32_e32 v69, s36
	v_cndmask_b32_e32 v95, v68, v69, vcc
	v_lshlrev_b64 v[68:69], 4, v[62:63]
	v_add_co_u32_e32 v68, vcc, v95, v68
	v_addc_co_u32_e32 v69, vcc, v94, v69, vcc
	buffer_wbinvl1_vol
	global_load_dword v95, v[68:69], off
	s_nop 0
	global_load_dwordx2 v[68:69], v[68:69], off offset:8
	v_cmp_eq_u16_e32 vcc, 2, v79
	v_and_b32_e32 v94, vcc_hi, v65
	v_or_b32_e32 v94, 0x80000000, v94
	v_and_b32_e32 v117, vcc_lo, v64
	v_ffbl_b32_e32 v94, v94
	v_add_u32_e32 v94, 32, v94
	v_ffbl_b32_e32 v117, v117
	v_min_u32_e32 v94, v117, v94
	v_cmp_lt_u32_e32 vcc, v80, v94
	s_waitcnt vmcnt(1)
	ds_bpermute_b32 v99, v81, v95
	s_waitcnt vmcnt(0)
	ds_bpermute_b32 v98, v81, v68
	ds_bpermute_b32 v116, v81, v69
	s_and_saveexec_b64 s[48:49], vcc
	s_cbranch_execz .LBB471_136
; %bb.135:                              ;   in Loop: Header=BB471_129 Depth=1
	v_cmp_eq_u32_e32 vcc, 0, v95
	s_waitcnt lgkmcnt(1)
	v_cndmask_b32_e32 v98, 0, v98, vcc
	v_add_u32_e32 v99, v99, v95
	s_waitcnt lgkmcnt(0)
	v_cndmask_b32_e32 v95, 0, v116, vcc
	v_add_co_u32_e32 v68, vcc, v98, v68
	v_addc_co_u32_e32 v69, vcc, v95, v69, vcc
	v_mov_b32_e32 v95, v99
.LBB471_136:                            ;   in Loop: Header=BB471_129 Depth=1
	s_or_b64 exec, exec, s[48:49]
	s_waitcnt lgkmcnt(2)
	ds_bpermute_b32 v99, v82, v95
	s_waitcnt lgkmcnt(2)
	ds_bpermute_b32 v98, v82, v68
	s_waitcnt lgkmcnt(2)
	ds_bpermute_b32 v116, v82, v69
	v_cmp_le_u32_e32 vcc, v83, v94
	s_and_saveexec_b64 s[48:49], vcc
	s_cbranch_execz .LBB471_138
; %bb.137:                              ;   in Loop: Header=BB471_129 Depth=1
	v_cmp_eq_u32_e32 vcc, 0, v95
	s_waitcnt lgkmcnt(1)
	v_cndmask_b32_e32 v98, 0, v98, vcc
	v_add_u32_e32 v99, v99, v95
	s_waitcnt lgkmcnt(0)
	v_cndmask_b32_e32 v95, 0, v116, vcc
	v_add_co_u32_e32 v68, vcc, v98, v68
	v_addc_co_u32_e32 v69, vcc, v95, v69, vcc
	v_mov_b32_e32 v95, v99
.LBB471_138:                            ;   in Loop: Header=BB471_129 Depth=1
	s_or_b64 exec, exec, s[48:49]
	s_waitcnt lgkmcnt(2)
	ds_bpermute_b32 v99, v84, v95
	s_waitcnt lgkmcnt(2)
	ds_bpermute_b32 v98, v84, v68
	s_waitcnt lgkmcnt(2)
	ds_bpermute_b32 v116, v84, v69
	v_cmp_le_u32_e32 vcc, v85, v94
	;; [unrolled: 21-line block ×5, first 2 shown]
	s_and_saveexec_b64 s[48:49], vcc
	s_cbranch_execz .LBB471_128
; %bb.145:                              ;   in Loop: Header=BB471_129 Depth=1
	v_cmp_eq_u32_e32 vcc, 0, v95
	s_waitcnt lgkmcnt(1)
	v_cndmask_b32_e32 v98, 0, v98, vcc
	v_add_u32_e32 v94, v99, v95
	s_waitcnt lgkmcnt(0)
	v_cndmask_b32_e32 v95, 0, v116, vcc
	v_add_co_u32_e32 v68, vcc, v98, v68
	v_addc_co_u32_e32 v69, vcc, v95, v69, vcc
	v_mov_b32_e32 v95, v94
	s_branch .LBB471_128
.LBB471_146:                            ;   in Loop: Header=BB471_129 Depth=1
                                        ; implicit-def: $vgpr68_vgpr69
                                        ; implicit-def: $vgpr94
                                        ; implicit-def: $vgpr79
	s_cbranch_execz .LBB471_129
; %bb.147:
	s_and_saveexec_b64 s[36:37], s[26:27]
	s_cbranch_execz .LBB471_149
; %bb.148:
	s_mov_b32 s7, 0
	v_cmp_eq_u32_e32 vcc, 0, v78
	s_add_i32 s6, s6, 64
	v_cndmask_b32_e32 v62, 0, v66, vcc
	s_lshl_b64 s[48:49], s[6:7], 4
	v_cndmask_b32_e32 v63, 0, v67, vcc
	v_add_co_u32_e32 v62, vcc, v62, v60
	s_add_u32 s48, s38, s48
	v_add_u32_e32 v64, v91, v78
	v_addc_co_u32_e32 v63, vcc, v63, v61, vcc
	s_addc_u32 s49, s39, s49
	v_mov_b32_e32 v65, 0
	global_store_dword v65, v64, s[48:49]
	global_store_dwordx2 v65, v[62:63], s[48:49] offset:8
	v_mov_b32_e32 v62, s6
	v_mov_b32_e32 v63, 2
	s_waitcnt vmcnt(0) lgkmcnt(0)
	buffer_wbinvl1_vol
	global_store_byte v62, v63, s[40:41]
	ds_write_b32 v65, v78 offset:4096
	ds_write_b64 v65, v[60:61] offset:4104
	ds_write_b32 v65, v91 offset:4112
	ds_write_b64 v65, v[66:67] offset:4120
.LBB471_149:
	s_or_b64 exec, exec, s[36:37]
	v_cmp_eq_u32_e32 vcc, 0, v0
	s_and_b64 exec, exec, vcc
	s_cbranch_execz .LBB471_151
; %bb.150:
	v_mov_b32_e32 v60, 0
	ds_write_b32 v60, v91 offset:4176
	ds_write_b64 v60, v[66:67] offset:4184
.LBB471_151:
	s_or_b64 exec, exec, s[42:43]
	v_mov_b32_e32 v63, 0
	s_waitcnt lgkmcnt(0)
	s_barrier
	ds_read_b32 v62, v63 offset:4176
	ds_read_b64 v[60:61], v63 offset:4184
	v_cndmask_b32_e64 v64, v71, v70, s[26:27]
	v_cmp_eq_u32_e32 vcc, 0, v64
	v_cndmask_b32_e64 v58, v76, v58, s[26:27]
	v_cndmask_b32_e64 v59, v77, v59, s[26:27]
	s_waitcnt lgkmcnt(0)
	v_cndmask_b32_e32 v66, 0, v60, vcc
	v_cndmask_b32_e32 v65, 0, v61, vcc
	v_add_co_u32_e32 v58, vcc, v66, v58
	v_addc_co_u32_e32 v65, vcc, v65, v59, vcc
	v_cmp_eq_u32_e32 vcc, 0, v0
	v_cndmask_b32_e64 v59, v64, 0, vcc
	v_cndmask_b32_e32 v93, v65, v61, vcc
	v_cndmask_b32_e32 v92, v58, v60, vcc
	v_cmp_eq_u32_e32 vcc, 0, v113
	v_cndmask_b32_e32 v60, 0, v92, vcc
	v_cndmask_b32_e32 v58, 0, v93, vcc
	v_add_co_u32_e32 v64, vcc, v60, v54
	v_addc_co_u32_e32 v65, vcc, v58, v55, vcc
	v_cndmask_b32_e64 v60, 0, v64, s[24:25]
	v_cndmask_b32_e64 v58, 0, v65, s[24:25]
	v_add_co_u32_e32 v66, vcc, v60, v56
	v_addc_co_u32_e32 v67, vcc, v58, v57, vcc
	v_cndmask_b32_e64 v60, 0, v66, s[22:23]
	v_cndmask_b32_e64 v58, 0, v67, s[22:23]
	;; [unrolled: 4-line block ×11, first 2 shown]
	v_add_co_u32_e32 v90, vcc, v60, v36
	v_add_u32_e32 v59, v62, v59
	v_addc_co_u32_e32 v91, vcc, v58, v37, vcc
	s_barrier
	ds_read_b32 v58, v63 offset:4096
	ds_read_b64 v[60:61], v63 offset:4104
	ds_read_b32 v62, v63 offset:4112
	ds_read_b64 v[116:117], v63 offset:4120
	v_cndmask_b32_e64 v94, 0, v90, s[2:3]
	v_cndmask_b32_e64 v95, 0, v91, s[2:3]
	v_add_co_u32_e32 v94, vcc, v94, v30
	v_addc_co_u32_e32 v95, vcc, v95, v31, vcc
	s_waitcnt lgkmcnt(3)
	v_cmp_eq_u32_e32 vcc, 0, v58
	s_waitcnt lgkmcnt(0)
	v_cndmask_b32_e32 v116, 0, v116, vcc
	v_cndmask_b32_e32 v63, 0, v117, vcc
	v_add_co_u32_e32 v60, vcc, v116, v60
	v_cndmask_b32_e64 v99, 0, v95, s[0:1]
	v_cndmask_b32_e64 v98, 0, v94, s[0:1]
	v_addc_co_u32_e32 v61, vcc, v63, v61, vcc
	s_branch .LBB471_180
.LBB471_152:
                                        ; implicit-def: $vgpr58
                                        ; implicit-def: $vgpr60_vgpr61
                                        ; implicit-def: $vgpr62
                                        ; implicit-def: $vgpr92_vgpr93
                                        ; implicit-def: $vgpr64_vgpr65
                                        ; implicit-def: $vgpr66_vgpr67
                                        ; implicit-def: $vgpr68_vgpr69
                                        ; implicit-def: $vgpr70_vgpr71
                                        ; implicit-def: $vgpr76_vgpr77
                                        ; implicit-def: $vgpr78_vgpr79
                                        ; implicit-def: $vgpr80_vgpr81
                                        ; implicit-def: $vgpr82_vgpr83
                                        ; implicit-def: $vgpr84_vgpr85
                                        ; implicit-def: $vgpr86_vgpr87
                                        ; implicit-def: $vgpr88_vgpr89
                                        ; implicit-def: $vgpr90_vgpr91
                                        ; implicit-def: $vgpr94_vgpr95
                                        ; implicit-def: $vgpr98_vgpr99
                                        ; implicit-def: $vgpr59
	s_cbranch_execz .LBB471_180
; %bb.153:
	s_and_b64 s[0:1], s[30:31], exec
	s_cselect_b32 s1, 0, s47
	s_cselect_b32 s0, 0, s46
	s_cmp_eq_u64 s[0:1], 0
	s_cbranch_scc1 .LBB471_155
; %bb.154:
	v_mov_b32_e32 v58, 0
	global_load_dwordx2 v[96:97], v58, s[0:1]
.LBB471_155:
	v_cmp_eq_u32_e64 s[22:23], 0, v112
	v_cndmask_b32_e64 v59, 0, v54, s[22:23]
	v_cndmask_b32_e64 v58, 0, v55, s[22:23]
	v_add_co_u32_e32 v59, vcc, v59, v56
	v_cmp_eq_u32_e64 s[20:21], 0, v111
	v_addc_co_u32_e32 v58, vcc, v58, v57, vcc
	v_cndmask_b32_e64 v59, 0, v59, s[20:21]
	v_cndmask_b32_e64 v58, 0, v58, s[20:21]
	v_add_co_u32_e32 v59, vcc, v59, v50
	v_cmp_eq_u32_e64 s[18:19], 0, v110
	v_addc_co_u32_e32 v58, vcc, v58, v51, vcc
	;; [unrolled: 5-line block ×11, first 2 shown]
	v_cndmask_b32_e64 v59, 0, v59, s[2:3]
	v_cndmask_b32_e64 v58, 0, v58, s[2:3]
	v_add_co_u32_e32 v59, vcc, v59, v30
	v_addc_co_u32_e32 v58, vcc, v58, v31, vcc
	v_cmp_eq_u32_e32 vcc, 0, v100
	v_add3_u32 v60, v115, v108, v107
	v_cndmask_b32_e32 v59, 0, v59, vcc
	v_add3_u32 v60, v60, v106, v105
	v_cndmask_b32_e32 v58, 0, v58, vcc
	v_add_co_u32_e64 v59, s[24:25], v59, v32
	v_add3_u32 v60, v60, v104, v103
	v_addc_co_u32_e64 v58, s[24:25], v58, v33, s[24:25]
	v_add3_u32 v60, v60, v102, v101
	v_cmp_eq_u32_e64 s[24:25], 0, v1
	v_add3_u32 v63, v60, v100, v1
	v_cndmask_b32_e64 v60, 0, v58, s[24:25]
	v_cndmask_b32_e64 v58, 0, v59, s[24:25]
	v_add_co_u32_e64 v58, s[24:25], v58, v72
	v_mbcnt_hi_u32_b32 v62, -1, v114
	v_addc_co_u32_e64 v59, s[24:25], v60, v73, s[24:25]
	v_and_b32_e32 v60, 15, v62
	v_mov_b32_dpp v64, v63 row_shr:1 row_mask:0xf bank_mask:0xf
	v_mov_b32_dpp v61, v58 row_shr:1 row_mask:0xf bank_mask:0xf
	;; [unrolled: 1-line block ×3, first 2 shown]
	v_cmp_ne_u32_e64 s[24:25], 0, v60
	s_and_saveexec_b64 s[26:27], s[24:25]
; %bb.156:
	v_cmp_eq_u32_e64 s[24:25], 0, v63
	v_cndmask_b32_e64 v61, 0, v61, s[24:25]
	v_add_u32_e32 v64, v64, v63
	v_cndmask_b32_e64 v63, 0, v65, s[24:25]
	v_add_co_u32_e64 v58, s[24:25], v61, v58
	v_addc_co_u32_e64 v59, s[24:25], v63, v59, s[24:25]
	v_mov_b32_e32 v63, v64
; %bb.157:
	s_or_b64 exec, exec, s[26:27]
	s_nop 0
	v_mov_b32_dpp v64, v63 row_shr:2 row_mask:0xf bank_mask:0xf
	v_mov_b32_dpp v61, v58 row_shr:2 row_mask:0xf bank_mask:0xf
	v_mov_b32_dpp v65, v59 row_shr:2 row_mask:0xf bank_mask:0xf
	v_cmp_lt_u32_e64 s[24:25], 1, v60
	s_and_saveexec_b64 s[26:27], s[24:25]
; %bb.158:
	v_cmp_eq_u32_e64 s[24:25], 0, v63
	v_cndmask_b32_e64 v61, 0, v61, s[24:25]
	v_add_u32_e32 v64, v64, v63
	v_cndmask_b32_e64 v63, 0, v65, s[24:25]
	v_add_co_u32_e64 v58, s[24:25], v61, v58
	v_addc_co_u32_e64 v59, s[24:25], v63, v59, s[24:25]
	v_mov_b32_e32 v63, v64
; %bb.159:
	s_or_b64 exec, exec, s[26:27]
	s_nop 0
	v_mov_b32_dpp v64, v63 row_shr:4 row_mask:0xf bank_mask:0xf
	v_mov_b32_dpp v61, v58 row_shr:4 row_mask:0xf bank_mask:0xf
	v_mov_b32_dpp v65, v59 row_shr:4 row_mask:0xf bank_mask:0xf
	v_cmp_lt_u32_e64 s[24:25], 3, v60
	;; [unrolled: 16-line block ×3, first 2 shown]
	s_and_saveexec_b64 s[26:27], s[24:25]
; %bb.162:
	v_cmp_eq_u32_e64 s[24:25], 0, v63
	v_cndmask_b32_e64 v61, 0, v61, s[24:25]
	v_add_u32_e32 v60, v64, v63
	v_cndmask_b32_e64 v63, 0, v65, s[24:25]
	v_add_co_u32_e64 v58, s[24:25], v61, v58
	v_addc_co_u32_e64 v59, s[24:25], v63, v59, s[24:25]
	v_mov_b32_e32 v63, v60
; %bb.163:
	s_or_b64 exec, exec, s[26:27]
	v_and_b32_e32 v65, 16, v62
	v_mov_b32_dpp v61, v63 row_bcast:15 row_mask:0xf bank_mask:0xf
	v_mov_b32_dpp v60, v58 row_bcast:15 row_mask:0xf bank_mask:0xf
	;; [unrolled: 1-line block ×3, first 2 shown]
	v_cmp_ne_u32_e64 s[24:25], 0, v65
	s_and_saveexec_b64 s[26:27], s[24:25]
; %bb.164:
	v_cmp_eq_u32_e64 s[24:25], 0, v63
	v_cndmask_b32_e64 v60, 0, v60, s[24:25]
	v_add_u32_e32 v61, v61, v63
	v_cndmask_b32_e64 v63, 0, v64, s[24:25]
	v_add_co_u32_e64 v58, s[24:25], v60, v58
	v_addc_co_u32_e64 v59, s[24:25], v63, v59, s[24:25]
	v_mov_b32_e32 v63, v61
; %bb.165:
	s_or_b64 exec, exec, s[26:27]
	s_nop 0
	v_mov_b32_dpp v61, v63 row_bcast:31 row_mask:0xf bank_mask:0xf
	v_mov_b32_dpp v60, v58 row_bcast:31 row_mask:0xf bank_mask:0xf
	;; [unrolled: 1-line block ×3, first 2 shown]
	v_cmp_lt_u32_e64 s[24:25], 31, v62
	s_and_saveexec_b64 s[26:27], s[24:25]
; %bb.166:
	v_cmp_eq_u32_e64 s[24:25], 0, v63
	v_cndmask_b32_e64 v60, 0, v60, s[24:25]
	v_add_u32_e32 v61, v61, v63
	v_cndmask_b32_e64 v63, 0, v64, s[24:25]
	v_add_co_u32_e64 v58, s[24:25], v60, v58
	v_addc_co_u32_e64 v59, s[24:25], v63, v59, s[24:25]
	v_mov_b32_e32 v63, v61
; %bb.167:
	s_or_b64 exec, exec, s[26:27]
	v_lshrrev_b32_e32 v60, 6, v0
	v_or_b32_e32 v61, 63, v0
	v_cmp_eq_u32_e64 s[24:25], v61, v0
	v_lshlrev_b32_e32 v64, 4, v60
	s_and_saveexec_b64 s[26:27], s[24:25]
	s_cbranch_execz .LBB471_169
; %bb.168:
	ds_write_b32 v64, v63 offset:4128
	ds_write_b64 v64, v[58:59] offset:4136
.LBB471_169:
	s_or_b64 exec, exec, s[26:27]
	v_cmp_gt_u32_e64 s[24:25], 4, v0
	s_waitcnt lgkmcnt(0)
	s_barrier
	s_and_saveexec_b64 s[26:27], s[24:25]
	s_cbranch_execz .LBB471_175
; %bb.170:
	v_lshlrev_b32_e32 v65, 4, v0
	ds_read_b32 v66, v65 offset:4128
	ds_read_b64 v[60:61], v65 offset:4136
	v_and_b32_e32 v67, 3, v62
	v_cmp_ne_u32_e64 s[24:25], 0, v67
	s_waitcnt lgkmcnt(1)
	v_mov_b32_dpp v69, v66 row_shr:1 row_mask:0xf bank_mask:0xf
	s_waitcnt lgkmcnt(0)
	v_mov_b32_dpp v68, v60 row_shr:1 row_mask:0xf bank_mask:0xf
	v_mov_b32_dpp v70, v61 row_shr:1 row_mask:0xf bank_mask:0xf
	s_and_saveexec_b64 s[28:29], s[24:25]
; %bb.171:
	v_cmp_eq_u32_e64 s[24:25], 0, v66
	v_cndmask_b32_e64 v68, 0, v68, s[24:25]
	v_add_u32_e32 v69, v69, v66
	v_cndmask_b32_e64 v66, 0, v70, s[24:25]
	v_add_co_u32_e64 v60, s[24:25], v68, v60
	v_addc_co_u32_e64 v61, s[24:25], v66, v61, s[24:25]
	v_mov_b32_e32 v66, v69
; %bb.172:
	s_or_b64 exec, exec, s[28:29]
	s_nop 0
	v_mov_b32_dpp v69, v66 row_shr:2 row_mask:0xf bank_mask:0xf
	v_mov_b32_dpp v68, v60 row_shr:2 row_mask:0xf bank_mask:0xf
	;; [unrolled: 1-line block ×3, first 2 shown]
	v_cmp_lt_u32_e64 s[24:25], 1, v67
	s_and_saveexec_b64 s[28:29], s[24:25]
; %bb.173:
	v_cmp_eq_u32_e64 s[24:25], 0, v66
	v_cndmask_b32_e64 v68, 0, v68, s[24:25]
	v_add_u32_e32 v67, v69, v66
	v_cndmask_b32_e64 v66, 0, v70, s[24:25]
	v_add_co_u32_e64 v60, s[24:25], v68, v60
	v_addc_co_u32_e64 v61, s[24:25], v66, v61, s[24:25]
	v_mov_b32_e32 v66, v67
; %bb.174:
	s_or_b64 exec, exec, s[28:29]
	ds_write_b32 v65, v66 offset:4128
	ds_write_b64 v65, v[60:61] offset:4136
.LBB471_175:
	s_or_b64 exec, exec, s[26:27]
	v_cmp_lt_u32_e64 s[24:25], 63, v0
	v_mov_b32_e32 v72, 0
	v_mov_b32_e32 v65, 0
	s_waitcnt vmcnt(0)
	v_pk_mov_b32 v[60:61], v[96:97], v[96:97] op_sel:[0,1]
	s_waitcnt lgkmcnt(0)
	s_barrier
	s_and_saveexec_b64 s[26:27], s[24:25]
	s_cbranch_execz .LBB471_177
; %bb.176:
	ds_read_b32 v65, v64 offset:4112
	ds_read_b64 v[60:61], v64 offset:4120
	s_waitcnt lgkmcnt(1)
	v_cmp_eq_u32_e64 s[24:25], 0, v65
	v_cndmask_b32_e64 v66, 0, v96, s[24:25]
	v_cndmask_b32_e64 v64, 0, v97, s[24:25]
	s_waitcnt lgkmcnt(0)
	v_add_co_u32_e64 v60, s[24:25], v66, v60
	v_addc_co_u32_e64 v61, s[24:25], v64, v61, s[24:25]
.LBB471_177:
	s_or_b64 exec, exec, s[26:27]
	v_cmp_eq_u32_e64 s[24:25], 0, v63
	v_cndmask_b32_e64 v66, 0, v60, s[24:25]
	v_add_u32_e32 v64, v65, v63
	v_cndmask_b32_e64 v63, 0, v61, s[24:25]
	v_add_co_u32_e64 v58, s[24:25], v66, v58
	v_addc_co_u32_e64 v59, s[24:25], v63, v59, s[24:25]
	v_add_u32_e32 v63, -1, v62
	v_and_b32_e32 v66, 64, v62
	v_cmp_lt_i32_e64 s[24:25], v63, v66
	v_cndmask_b32_e64 v63, v63, v62, s[24:25]
	v_lshlrev_b32_e32 v63, 2, v63
	ds_bpermute_b32 v64, v63, v64
	ds_bpermute_b32 v66, v63, v59
	;; [unrolled: 1-line block ×3, first 2 shown]
	v_cmp_eq_u32_e64 s[24:25], 0, v62
	v_cmp_eq_u32_e64 s[26:27], 0, v113
	s_waitcnt lgkmcnt(2)
	v_cndmask_b32_e64 v59, v64, v65, s[24:25]
	s_waitcnt lgkmcnt(1)
	v_cndmask_b32_e64 v93, v66, v61, s[24:25]
	;; [unrolled: 2-line block ×3, first 2 shown]
	v_cmp_eq_u32_e64 s[24:25], 0, v0
	v_cndmask_b32_e64 v58, v92, v96, s[24:25]
	v_cndmask_b32_e64 v60, v93, v97, s[24:25]
	;; [unrolled: 1-line block ×4, first 2 shown]
	v_add_co_u32_e64 v64, s[26:27], v58, v54
	v_addc_co_u32_e64 v65, s[26:27], v60, v55, s[26:27]
	v_cndmask_b32_e64 v55, 0, v64, s[22:23]
	v_cndmask_b32_e64 v54, 0, v65, s[22:23]
	v_add_co_u32_e64 v66, s[22:23], v55, v56
	v_addc_co_u32_e64 v67, s[22:23], v54, v57, s[22:23]
	v_cndmask_b32_e64 v55, 0, v66, s[20:21]
	v_cndmask_b32_e64 v54, 0, v67, s[20:21]
	;; [unrolled: 4-line block ×11, first 2 shown]
	v_add_co_u32_e64 v90, s[0:1], v35, v36
	v_addc_co_u32_e64 v91, s[0:1], v34, v37, s[0:1]
	v_cndmask_b32_e64 v35, 0, v90, s[2:3]
	ds_read_b32 v58, v72 offset:4176
	v_cndmask_b32_e64 v34, 0, v91, s[2:3]
	v_add_co_u32_e64 v94, s[0:1], v35, v30
	v_addc_co_u32_e64 v95, s[0:1], v34, v31, s[0:1]
	ds_read_b64 v[30:31], v72 offset:4184
	v_cndmask_b32_e32 v99, 0, v95, vcc
	v_cndmask_b32_e32 v98, 0, v94, vcc
	s_waitcnt lgkmcnt(1)
	v_cmp_eq_u32_e32 vcc, 0, v58
	v_cndmask_b32_e32 v35, 0, v96, vcc
	v_cndmask_b32_e32 v34, 0, v97, vcc
	s_waitcnt lgkmcnt(0)
	v_add_co_u32_e32 v60, vcc, v35, v30
	v_addc_co_u32_e32 v61, vcc, v34, v31, vcc
	s_and_saveexec_b64 s[0:1], s[24:25]
	s_cbranch_execz .LBB471_179
; %bb.178:
	v_mov_b32_e32 v59, 0
	v_mov_b32_e32 v30, 2
	v_pk_mov_b32 v[92:93], v[96:97], v[96:97] op_sel:[0,1]
	global_store_dword v59, v58, s[38:39] offset:1024
	global_store_dwordx2 v59, v[60:61], s[38:39] offset:1032
	s_waitcnt vmcnt(0)
	buffer_wbinvl1_vol
	global_store_byte v59, v30, s[40:41] offset:64
.LBB471_179:
	s_or_b64 exec, exec, s[0:1]
	v_mov_b32_e32 v62, 0
.LBB471_180:
	s_and_b64 s[0:1], s[30:31], exec
	s_cselect_b32 s1, 0, s51
	s_cselect_b32 s0, 0, s50
	s_cmp_eq_u64 s[0:1], 0
	v_pk_mov_b32 v[30:31], 0, 0
	s_barrier
	s_cbranch_scc1 .LBB471_182
; %bb.181:
	v_mov_b32_e32 v30, 0
	global_load_dwordx2 v[30:31], v30, s[0:1]
.LBB471_182:
	s_waitcnt vmcnt(0)
	v_lshlrev_b64 v[34:35], 3, v[30:31]
	v_mov_b32_e32 v36, s59
	v_add_co_u32_e32 v52, vcc, s58, v34
	v_mov_b32_e32 v63, 0
	v_addc_co_u32_e32 v53, vcc, v36, v35, vcc
	v_lshlrev_b64 v[36:37], 3, v[62:63]
	v_add_co_u32_e32 v52, vcc, v52, v36
	v_addc_co_u32_e32 v53, vcc, v53, v37, vcc
	v_cmp_eq_u32_e32 vcc, 0, v113
	v_cndmask_b32_e64 v54, 1, 2, vcc
	v_cmp_eq_u32_e32 vcc, 0, v112
	v_cndmask_b32_e64 v55, 1, 2, vcc
	v_cmp_eq_u32_e32 vcc, 0, v111
	v_and_b32_e32 v54, v55, v54
	v_cndmask_b32_e64 v55, 1, 2, vcc
	v_cmp_eq_u32_e32 vcc, 0, v110
	v_add_u32_e32 v51, v59, v113
	v_and_b32_e32 v54, v54, v55
	v_cndmask_b32_e64 v55, 1, 2, vcc
	v_cmp_eq_u32_e32 vcc, 0, v109
	v_add_u32_e32 v50, v51, v112
	;; [unrolled: 4-line block ×12, first 2 shown]
	v_and_b32_e32 v54, v54, v55
	v_cndmask_b32_e64 v55, 1, 2, vcc
	s_movk_i32 s30, 0x100
	v_add_u32_e32 v39, v40, v101
	v_and_b32_e32 v54, v54, v55
	v_cmp_gt_u32_e32 vcc, s30, v58
	v_add_u32_e32 v38, v39, v100
	v_cmp_ne_u32_e64 s[28:29], 0, v113
	v_cmp_ne_u32_e64 s[26:27], 0, v112
	;; [unrolled: 1-line block ×15, first 2 shown]
	s_mov_b64 s[36:37], -1
	v_cmp_gt_i16_e64 s[30:31], 2, v54
	s_cbranch_vccz .LBB471_189
; %bb.183:
	s_and_saveexec_b64 s[36:37], s[30:31]
	s_cbranch_execz .LBB471_188
; %bb.184:
	v_cmp_ne_u16_e32 vcc, 1, v54
	s_mov_b64 s[38:39], 0
	s_and_saveexec_b64 s[30:31], vcc
	s_xor_b64 s[30:31], exec, s[30:31]
	s_cbranch_execnz .LBB471_221
; %bb.185:
	s_andn2_saveexec_b64 s[30:31], s[30:31]
	s_cbranch_execnz .LBB471_237
.LBB471_186:
	s_or_b64 exec, exec, s[30:31]
	s_and_b64 exec, exec, s[38:39]
	s_cbranch_execz .LBB471_188
.LBB471_187:
	v_sub_u32_e32 v56, v38, v62
	v_mov_b32_e32 v57, 0
	v_lshlrev_b64 v[56:57], 3, v[56:57]
	v_add_co_u32_e32 v56, vcc, v52, v56
	v_addc_co_u32_e32 v57, vcc, v53, v57, vcc
	global_store_dwordx2 v[56:57], v[74:75], off
.LBB471_188:
	s_or_b64 exec, exec, s[36:37]
	s_mov_b64 s[36:37], 0
.LBB471_189:
	s_and_b64 vcc, exec, s[36:37]
	s_cbranch_vccz .LBB471_199
; %bb.190:
	v_cmp_gt_i16_e32 vcc, 2, v54
	s_and_saveexec_b64 s[30:31], vcc
	s_cbranch_execz .LBB471_195
; %bb.191:
	v_cmp_ne_u16_e32 vcc, 1, v54
	s_mov_b64 s[38:39], 0
	s_and_saveexec_b64 s[36:37], vcc
	s_xor_b64 s[36:37], exec, s[36:37]
	s_cbranch_execnz .LBB471_238
; %bb.192:
	s_andn2_saveexec_b64 s[0:1], s[36:37]
	s_cbranch_execnz .LBB471_254
.LBB471_193:
	s_or_b64 exec, exec, s[0:1]
	s_and_b64 exec, exec, s[38:39]
	s_cbranch_execz .LBB471_195
.LBB471_194:
	v_sub_u32_e32 v2, v38, v62
	v_lshlrev_b32_e32 v2, 3, v2
	ds_write_b64 v2, v[74:75]
.LBB471_195:
	s_or_b64 exec, exec, s[30:31]
	v_cmp_lt_u32_e32 vcc, v0, v58
	s_waitcnt lgkmcnt(0)
	s_barrier
	s_and_saveexec_b64 s[0:1], vcc
	s_cbranch_execz .LBB471_198
; %bb.196:
	v_lshlrev_b32_e32 v4, 3, v0
	s_mov_b64 s[2:3], 0
	v_mov_b32_e32 v3, 0
	v_mov_b32_e32 v2, v0
.LBB471_197:                            ; =>This Inner Loop Header: Depth=1
	v_lshlrev_b64 v[6:7], 3, v[2:3]
	ds_read_b64 v[8:9], v4
	v_add_co_u32_e32 v6, vcc, v52, v6
	v_add_u32_e32 v2, 0x100, v2
	v_addc_co_u32_e32 v7, vcc, v53, v7, vcc
	v_cmp_ge_u32_e32 vcc, v2, v58
	v_add_u32_e32 v4, 0x800, v4
	s_or_b64 s[2:3], vcc, s[2:3]
	s_waitcnt lgkmcnt(0)
	global_store_dwordx2 v[6:7], v[8:9], off
	s_andn2_b64 exec, exec, s[2:3]
	s_cbranch_execnz .LBB471_197
.LBB471_198:
	s_or_b64 exec, exec, s[0:1]
.LBB471_199:
	v_add_co_u32_e32 v2, vcc, v98, v32
	s_cmpk_lg_i32 s33, 0xf00
	v_addc_co_u32_e32 v3, vcc, v99, v33, vcc
	s_cselect_b64 s[0:1], -1, 0
	v_cndmask_b32_e64 v8, 0, 1, s[44:45]
	s_and_b64 s[0:1], s[34:35], s[0:1]
	v_cmp_eq_u32_e32 vcc, 0, v0
	v_sub_u32_e32 v4, v58, v8
	v_cndmask_b32_e64 v5, 0, 1, s[0:1]
	s_and_b64 s[0:1], vcc, s[44:45]
	v_add_u32_e32 v4, v4, v5
	v_cndmask_b32_e64 v5, v113, 0, s[0:1]
	s_mul_hi_u32 s0, s33, 0x88888889
	s_lshr_b32 s0, s0, 3
	v_mad_i32_i24 v6, v0, -15, s33
	v_cmp_eq_u32_e32 vcc, s0, v0
	v_cmp_ne_u32_e64 s[0:1], 0, v6
	v_cndmask_b32_e64 v7, 1, v5, s[0:1]
	v_cmp_ne_u32_e64 s[0:1], 1, v6
	v_cndmask_b32_e64 v9, 1, v112, s[0:1]
	;; [unrolled: 2-line block ×15, first 2 shown]
	s_and_b64 vcc, s[34:35], vcc
	v_cndmask_b32_e32 v22, v1, v6, vcc
	v_cndmask_b32_e32 v21, v100, v21, vcc
	;; [unrolled: 1-line block ×15, first 2 shown]
	v_mov_b32_e32 v1, s61
	v_add_co_u32_e32 v5, vcc, s60, v34
	v_addc_co_u32_e32 v6, vcc, v1, v35, vcc
	v_add_co_u32_e32 v1, vcc, v5, v36
	v_addc_co_u32_e32 v5, vcc, v6, v37, vcc
	v_lshlrev_b32_e32 v6, 3, v8
	v_add_co_u32_e32 v6, vcc, v6, v1
	v_addc_co_u32_e32 v7, vcc, 0, v5, vcc
	v_add_co_u32_e32 v6, vcc, -8, v6
	v_addc_co_u32_e32 v7, vcc, -1, v7, vcc
	v_cmp_eq_u32_e32 vcc, 0, v23
	v_cmp_ne_u32_e64 s[28:29], 0, v23
	v_cndmask_b32_e64 v23, 1, 2, vcc
	v_cmp_eq_u32_e32 vcc, 0, v9
	v_cmp_ne_u32_e64 s[26:27], 0, v9
	v_cndmask_b32_e64 v9, 1, 2, vcc
	v_cmp_eq_u32_e32 vcc, 0, v10
	v_and_b32_e32 v9, v9, v23
	v_cmp_ne_u32_e64 s[24:25], 0, v10
	v_cndmask_b32_e64 v10, 1, 2, vcc
	v_cmp_eq_u32_e32 vcc, 0, v11
	v_and_b32_e32 v9, v9, v10
	v_cndmask_b32_e64 v10, 1, 2, vcc
	v_cmp_eq_u32_e32 vcc, 0, v12
	v_and_b32_e32 v9, v9, v10
	;; [unrolled: 3-line block ×12, first 2 shown]
	v_cndmask_b32_e64 v10, 1, 2, vcc
	s_movk_i32 s30, 0x100
	v_and_b32_e32 v9, v9, v10
	v_cmp_gt_u32_e32 vcc, s30, v4
	v_add_u32_e32 v8, v62, v8
	v_cmp_ne_u32_e64 s[22:23], 0, v11
	v_cmp_ne_u32_e64 s[20:21], 0, v12
	;; [unrolled: 1-line block ×12, first 2 shown]
	s_mov_b64 s[36:37], -1
	v_cmp_gt_i16_e64 s[30:31], 2, v9
	s_barrier
	s_cbranch_vccz .LBB471_206
; %bb.200:
	s_and_saveexec_b64 s[36:37], s[30:31]
	s_cbranch_execz .LBB471_205
; %bb.201:
	v_cmp_ne_u16_e32 vcc, 1, v9
	s_mov_b64 s[38:39], 0
	s_and_saveexec_b64 s[30:31], vcc
	s_xor_b64 s[30:31], exec, s[30:31]
	s_cbranch_execnz .LBB471_255
; %bb.202:
	s_andn2_saveexec_b64 s[30:31], s[30:31]
	s_cbranch_execnz .LBB471_271
.LBB471_203:
	s_or_b64 exec, exec, s[30:31]
	s_and_b64 exec, exec, s[38:39]
	s_cbranch_execz .LBB471_205
.LBB471_204:
	v_sub_u32_e32 v10, v38, v8
	v_mov_b32_e32 v11, 0
	v_lshlrev_b64 v[10:11], 3, v[10:11]
	v_add_co_u32_e32 v10, vcc, v6, v10
	v_addc_co_u32_e32 v11, vcc, v7, v11, vcc
	global_store_dwordx2 v[10:11], v[2:3], off
.LBB471_205:
	s_or_b64 exec, exec, s[36:37]
	s_mov_b64 s[36:37], 0
.LBB471_206:
	s_and_b64 vcc, exec, s[36:37]
	s_cbranch_vccz .LBB471_216
; %bb.207:
	v_cmp_gt_i16_e32 vcc, 2, v9
	s_and_saveexec_b64 s[30:31], vcc
	s_cbranch_execz .LBB471_212
; %bb.208:
	v_cmp_ne_u16_e32 vcc, 1, v9
	s_mov_b64 s[38:39], 0
	s_and_saveexec_b64 s[36:37], vcc
	s_xor_b64 s[36:37], exec, s[36:37]
	s_cbranch_execnz .LBB471_272
; %bb.209:
	s_andn2_saveexec_b64 s[0:1], s[36:37]
	s_cbranch_execnz .LBB471_288
.LBB471_210:
	s_or_b64 exec, exec, s[0:1]
	s_and_b64 exec, exec, s[38:39]
	s_cbranch_execz .LBB471_212
.LBB471_211:
	v_sub_u32_e32 v8, v38, v8
	v_lshlrev_b32_e32 v8, 3, v8
	ds_write_b64 v8, v[2:3]
.LBB471_212:
	s_or_b64 exec, exec, s[30:31]
	v_cmp_lt_u32_e32 vcc, v0, v4
	s_waitcnt lgkmcnt(0)
	s_barrier
	s_and_saveexec_b64 s[0:1], vcc
	s_cbranch_execz .LBB471_215
; %bb.213:
	v_lshlrev_b32_e32 v8, 3, v0
	s_mov_b64 s[2:3], 0
	v_mov_b32_e32 v3, 0
	v_mov_b32_e32 v2, v0
.LBB471_214:                            ; =>This Inner Loop Header: Depth=1
	v_lshlrev_b64 v[10:11], 3, v[2:3]
	ds_read_b64 v[12:13], v8
	v_add_co_u32_e32 v10, vcc, v6, v10
	v_add_u32_e32 v2, 0x100, v2
	v_addc_co_u32_e32 v11, vcc, v7, v11, vcc
	v_cmp_ge_u32_e32 vcc, v2, v4
	v_add_u32_e32 v8, 0x800, v8
	s_or_b64 s[2:3], vcc, s[2:3]
	s_waitcnt lgkmcnt(0)
	global_store_dwordx2 v[10:11], v[12:13], off
	s_andn2_b64 exec, exec, s[2:3]
	s_cbranch_execnz .LBB471_214
.LBB471_215:
	s_or_b64 exec, exec, s[0:1]
.LBB471_216:
	s_movk_i32 s0, 0xff
	v_cmp_eq_u32_e32 vcc, s0, v0
	s_and_b64 s[0:1], vcc, s[34:35]
	s_and_saveexec_b64 s[2:3], s[0:1]
	s_cbranch_execz .LBB471_219
; %bb.217:
	v_add_co_u32_e32 v0, vcc, v58, v62
	v_addc_co_u32_e64 v3, s[0:1], 0, 0, vcc
	v_add_co_u32_e32 v2, vcc, v0, v30
	v_mov_b32_e32 v59, 0
	v_addc_co_u32_e32 v3, vcc, v3, v31, vcc
	s_cmpk_lg_i32 s33, 0xf00
	global_store_dwordx2 v59, v[2:3], s[62:63]
	s_cbranch_scc1 .LBB471_219
; %bb.218:
	v_lshlrev_b64 v[2:3], 3, v[58:59]
	v_add_co_u32_e32 v0, vcc, v1, v2
	v_addc_co_u32_e32 v1, vcc, v5, v3, vcc
	global_store_dwordx2 v[0:1], v[60:61], off offset:-8
.LBB471_219:
	s_endpgm
.LBB471_220:
	s_or_b64 exec, exec, s[2:3]
	v_mov_b32_e32 v113, s4
	s_and_saveexec_b64 s[2:3], s[56:57]
	s_cbranch_execnz .LBB471_84
	s_branch .LBB471_85
.LBB471_221:
	s_and_saveexec_b64 s[38:39], s[28:29]
	s_cbranch_execnz .LBB471_289
; %bb.222:
	s_or_b64 exec, exec, s[38:39]
	s_and_saveexec_b64 s[38:39], s[26:27]
	s_cbranch_execnz .LBB471_290
.LBB471_223:
	s_or_b64 exec, exec, s[38:39]
	s_and_saveexec_b64 s[38:39], s[24:25]
	s_cbranch_execnz .LBB471_291
.LBB471_224:
	s_or_b64 exec, exec, s[38:39]
	s_and_saveexec_b64 s[38:39], s[22:23]
	s_cbranch_execnz .LBB471_292
.LBB471_225:
	s_or_b64 exec, exec, s[38:39]
	s_and_saveexec_b64 s[38:39], s[20:21]
	s_cbranch_execnz .LBB471_293
.LBB471_226:
	s_or_b64 exec, exec, s[38:39]
	s_and_saveexec_b64 s[38:39], s[18:19]
	s_cbranch_execnz .LBB471_294
.LBB471_227:
	s_or_b64 exec, exec, s[38:39]
	s_and_saveexec_b64 s[38:39], s[16:17]
	s_cbranch_execnz .LBB471_295
.LBB471_228:
	s_or_b64 exec, exec, s[38:39]
	s_and_saveexec_b64 s[38:39], s[14:15]
	s_cbranch_execnz .LBB471_296
.LBB471_229:
	s_or_b64 exec, exec, s[38:39]
	s_and_saveexec_b64 s[38:39], s[12:13]
	s_cbranch_execnz .LBB471_297
.LBB471_230:
	s_or_b64 exec, exec, s[38:39]
	s_and_saveexec_b64 s[38:39], s[10:11]
	s_cbranch_execnz .LBB471_298
.LBB471_231:
	s_or_b64 exec, exec, s[38:39]
	s_and_saveexec_b64 s[38:39], s[8:9]
	s_cbranch_execnz .LBB471_299
.LBB471_232:
	s_or_b64 exec, exec, s[38:39]
	s_and_saveexec_b64 s[38:39], s[6:7]
	s_cbranch_execnz .LBB471_300
.LBB471_233:
	s_or_b64 exec, exec, s[38:39]
	s_and_saveexec_b64 s[38:39], s[4:5]
	s_cbranch_execnz .LBB471_301
.LBB471_234:
	s_or_b64 exec, exec, s[38:39]
	s_and_saveexec_b64 s[38:39], s[2:3]
	s_cbranch_execz .LBB471_236
.LBB471_235:
	v_sub_u32_e32 v56, v39, v62
	v_mov_b32_e32 v57, 0
	v_lshlrev_b64 v[56:57], 3, v[56:57]
	v_add_co_u32_e32 v56, vcc, v52, v56
	v_addc_co_u32_e32 v57, vcc, v53, v57, vcc
	global_store_dwordx2 v[56:57], v[4:5], off
.LBB471_236:
	s_or_b64 exec, exec, s[38:39]
	s_and_b64 s[38:39], s[0:1], exec
	s_andn2_saveexec_b64 s[30:31], s[30:31]
	s_cbranch_execz .LBB471_186
.LBB471_237:
	v_sub_u32_e32 v56, v59, v62
	v_mov_b32_e32 v57, 0
	v_lshlrev_b64 v[72:73], 3, v[56:57]
	v_add_co_u32_e32 v72, vcc, v52, v72
	v_addc_co_u32_e32 v73, vcc, v53, v73, vcc
	v_sub_u32_e32 v56, v51, v62
	global_store_dwordx2 v[72:73], v[26:27], off
	v_lshlrev_b64 v[72:73], 3, v[56:57]
	v_add_co_u32_e32 v72, vcc, v52, v72
	v_addc_co_u32_e32 v73, vcc, v53, v73, vcc
	v_sub_u32_e32 v56, v50, v62
	global_store_dwordx2 v[72:73], v[28:29], off
	;; [unrolled: 5-line block ×12, first 2 shown]
	v_lshlrev_b64 v[72:73], 3, v[56:57]
	v_add_co_u32_e32 v72, vcc, v52, v72
	v_sub_u32_e32 v56, v39, v62
	v_addc_co_u32_e32 v73, vcc, v53, v73, vcc
	v_lshlrev_b64 v[56:57], 3, v[56:57]
	v_add_co_u32_e32 v56, vcc, v52, v56
	v_addc_co_u32_e32 v57, vcc, v53, v57, vcc
	s_or_b64 s[38:39], s[38:39], exec
	global_store_dwordx2 v[72:73], v[2:3], off
	global_store_dwordx2 v[56:57], v[4:5], off
	s_or_b64 exec, exec, s[30:31]
	s_and_b64 exec, exec, s[38:39]
	s_cbranch_execnz .LBB471_187
	s_branch .LBB471_188
.LBB471_238:
	s_and_saveexec_b64 s[38:39], s[28:29]
	s_cbranch_execnz .LBB471_302
; %bb.239:
	s_or_b64 exec, exec, s[38:39]
	s_and_saveexec_b64 s[28:29], s[26:27]
	s_cbranch_execnz .LBB471_303
.LBB471_240:
	s_or_b64 exec, exec, s[28:29]
	s_and_saveexec_b64 s[26:27], s[24:25]
	s_cbranch_execnz .LBB471_304
.LBB471_241:
	s_or_b64 exec, exec, s[26:27]
	s_and_saveexec_b64 s[24:25], s[22:23]
	s_cbranch_execnz .LBB471_305
.LBB471_242:
	s_or_b64 exec, exec, s[24:25]
	s_and_saveexec_b64 s[22:23], s[20:21]
	s_cbranch_execnz .LBB471_306
.LBB471_243:
	s_or_b64 exec, exec, s[22:23]
	s_and_saveexec_b64 s[20:21], s[18:19]
	s_cbranch_execnz .LBB471_307
.LBB471_244:
	s_or_b64 exec, exec, s[20:21]
	s_and_saveexec_b64 s[18:19], s[16:17]
	s_cbranch_execnz .LBB471_308
.LBB471_245:
	s_or_b64 exec, exec, s[18:19]
	s_and_saveexec_b64 s[16:17], s[14:15]
	s_cbranch_execnz .LBB471_309
.LBB471_246:
	s_or_b64 exec, exec, s[16:17]
	s_and_saveexec_b64 s[14:15], s[12:13]
	s_cbranch_execnz .LBB471_310
.LBB471_247:
	s_or_b64 exec, exec, s[14:15]
	s_and_saveexec_b64 s[12:13], s[10:11]
	s_cbranch_execnz .LBB471_311
.LBB471_248:
	s_or_b64 exec, exec, s[12:13]
	s_and_saveexec_b64 s[10:11], s[8:9]
	s_cbranch_execnz .LBB471_312
.LBB471_249:
	s_or_b64 exec, exec, s[10:11]
	s_and_saveexec_b64 s[8:9], s[6:7]
	s_cbranch_execnz .LBB471_313
.LBB471_250:
	s_or_b64 exec, exec, s[8:9]
	s_and_saveexec_b64 s[6:7], s[4:5]
	s_cbranch_execnz .LBB471_314
.LBB471_251:
	s_or_b64 exec, exec, s[6:7]
	s_and_saveexec_b64 s[4:5], s[2:3]
	s_cbranch_execz .LBB471_253
.LBB471_252:
	v_sub_u32_e32 v2, v39, v62
	v_lshlrev_b32_e32 v2, 3, v2
	ds_write_b64 v2, v[4:5]
.LBB471_253:
	s_or_b64 exec, exec, s[4:5]
	s_and_b64 s[38:39], s[0:1], exec
                                        ; implicit-def: $vgpr2_vgpr3
                                        ; implicit-def: $vgpr6_vgpr7
                                        ; implicit-def: $vgpr10_vgpr11
                                        ; implicit-def: $vgpr14_vgpr15
                                        ; implicit-def: $vgpr18_vgpr19
                                        ; implicit-def: $vgpr22_vgpr23
                                        ; implicit-def: $vgpr26_vgpr27
	s_andn2_saveexec_b64 s[0:1], s[36:37]
	s_cbranch_execz .LBB471_193
.LBB471_254:
	v_sub_u32_e32 v54, v59, v62
	v_lshlrev_b32_e32 v54, 3, v54
	ds_write_b64 v54, v[26:27]
	v_sub_u32_e32 v26, v51, v62
	v_lshlrev_b32_e32 v26, 3, v26
	ds_write_b64 v26, v[28:29]
	;; [unrolled: 3-line block ×13, first 2 shown]
	v_sub_u32_e32 v2, v39, v62
	v_lshlrev_b32_e32 v2, 3, v2
	s_or_b64 s[38:39], s[38:39], exec
	ds_write_b64 v2, v[4:5]
	s_or_b64 exec, exec, s[0:1]
	s_and_b64 exec, exec, s[38:39]
	s_cbranch_execnz .LBB471_194
	s_branch .LBB471_195
.LBB471_255:
	s_and_saveexec_b64 s[38:39], s[28:29]
	s_cbranch_execnz .LBB471_315
; %bb.256:
	s_or_b64 exec, exec, s[38:39]
	s_and_saveexec_b64 s[38:39], s[26:27]
	s_cbranch_execnz .LBB471_316
.LBB471_257:
	s_or_b64 exec, exec, s[38:39]
	s_and_saveexec_b64 s[38:39], s[24:25]
	s_cbranch_execnz .LBB471_317
.LBB471_258:
	s_or_b64 exec, exec, s[38:39]
	s_and_saveexec_b64 s[38:39], s[22:23]
	s_cbranch_execnz .LBB471_318
.LBB471_259:
	s_or_b64 exec, exec, s[38:39]
	s_and_saveexec_b64 s[38:39], s[20:21]
	s_cbranch_execnz .LBB471_319
.LBB471_260:
	s_or_b64 exec, exec, s[38:39]
	s_and_saveexec_b64 s[38:39], s[18:19]
	s_cbranch_execnz .LBB471_320
.LBB471_261:
	s_or_b64 exec, exec, s[38:39]
	s_and_saveexec_b64 s[38:39], s[16:17]
	s_cbranch_execnz .LBB471_321
.LBB471_262:
	s_or_b64 exec, exec, s[38:39]
	s_and_saveexec_b64 s[38:39], s[14:15]
	s_cbranch_execnz .LBB471_322
.LBB471_263:
	s_or_b64 exec, exec, s[38:39]
	s_and_saveexec_b64 s[38:39], s[12:13]
	s_cbranch_execnz .LBB471_323
.LBB471_264:
	s_or_b64 exec, exec, s[38:39]
	s_and_saveexec_b64 s[38:39], s[10:11]
	s_cbranch_execnz .LBB471_324
.LBB471_265:
	s_or_b64 exec, exec, s[38:39]
	s_and_saveexec_b64 s[38:39], s[8:9]
	s_cbranch_execnz .LBB471_325
.LBB471_266:
	s_or_b64 exec, exec, s[38:39]
	s_and_saveexec_b64 s[38:39], s[6:7]
	s_cbranch_execnz .LBB471_326
.LBB471_267:
	s_or_b64 exec, exec, s[38:39]
	s_and_saveexec_b64 s[38:39], s[4:5]
	s_cbranch_execnz .LBB471_327
.LBB471_268:
	s_or_b64 exec, exec, s[38:39]
	s_and_saveexec_b64 s[38:39], s[2:3]
	s_cbranch_execz .LBB471_270
.LBB471_269:
	v_sub_u32_e32 v10, v39, v8
	v_mov_b32_e32 v11, 0
	v_lshlrev_b64 v[10:11], 3, v[10:11]
	v_add_co_u32_e32 v10, vcc, v6, v10
	v_addc_co_u32_e32 v11, vcc, v7, v11, vcc
	global_store_dwordx2 v[10:11], v[94:95], off
.LBB471_270:
	s_or_b64 exec, exec, s[38:39]
	s_and_b64 s[38:39], s[0:1], exec
	s_andn2_saveexec_b64 s[30:31], s[30:31]
	s_cbranch_execz .LBB471_203
.LBB471_271:
	v_sub_u32_e32 v10, v59, v8
	v_mov_b32_e32 v11, 0
	v_lshlrev_b64 v[12:13], 3, v[10:11]
	v_add_co_u32_e32 v12, vcc, v6, v12
	v_addc_co_u32_e32 v13, vcc, v7, v13, vcc
	v_sub_u32_e32 v10, v51, v8
	global_store_dwordx2 v[12:13], v[92:93], off
	v_lshlrev_b64 v[12:13], 3, v[10:11]
	v_add_co_u32_e32 v12, vcc, v6, v12
	v_addc_co_u32_e32 v13, vcc, v7, v13, vcc
	v_sub_u32_e32 v10, v50, v8
	global_store_dwordx2 v[12:13], v[64:65], off
	;; [unrolled: 5-line block ×12, first 2 shown]
	v_lshlrev_b64 v[12:13], 3, v[10:11]
	v_add_co_u32_e32 v12, vcc, v6, v12
	v_sub_u32_e32 v10, v39, v8
	v_addc_co_u32_e32 v13, vcc, v7, v13, vcc
	v_lshlrev_b64 v[10:11], 3, v[10:11]
	v_add_co_u32_e32 v10, vcc, v6, v10
	v_addc_co_u32_e32 v11, vcc, v7, v11, vcc
	s_or_b64 s[38:39], s[38:39], exec
	global_store_dwordx2 v[12:13], v[90:91], off
	global_store_dwordx2 v[10:11], v[94:95], off
	s_or_b64 exec, exec, s[30:31]
	s_and_b64 exec, exec, s[38:39]
	s_cbranch_execnz .LBB471_204
	s_branch .LBB471_205
.LBB471_272:
	s_and_saveexec_b64 s[38:39], s[28:29]
	s_cbranch_execnz .LBB471_328
; %bb.273:
	s_or_b64 exec, exec, s[38:39]
	s_and_saveexec_b64 s[28:29], s[26:27]
	s_cbranch_execnz .LBB471_329
.LBB471_274:
	s_or_b64 exec, exec, s[28:29]
	s_and_saveexec_b64 s[26:27], s[24:25]
	s_cbranch_execnz .LBB471_330
.LBB471_275:
	s_or_b64 exec, exec, s[26:27]
	s_and_saveexec_b64 s[24:25], s[22:23]
	s_cbranch_execnz .LBB471_331
.LBB471_276:
	s_or_b64 exec, exec, s[24:25]
	s_and_saveexec_b64 s[22:23], s[20:21]
	s_cbranch_execnz .LBB471_332
.LBB471_277:
	s_or_b64 exec, exec, s[22:23]
	s_and_saveexec_b64 s[20:21], s[18:19]
	s_cbranch_execnz .LBB471_333
.LBB471_278:
	s_or_b64 exec, exec, s[20:21]
	s_and_saveexec_b64 s[18:19], s[16:17]
	s_cbranch_execnz .LBB471_334
.LBB471_279:
	s_or_b64 exec, exec, s[18:19]
	s_and_saveexec_b64 s[16:17], s[14:15]
	s_cbranch_execnz .LBB471_335
.LBB471_280:
	s_or_b64 exec, exec, s[16:17]
	s_and_saveexec_b64 s[14:15], s[12:13]
	s_cbranch_execnz .LBB471_336
.LBB471_281:
	s_or_b64 exec, exec, s[14:15]
	s_and_saveexec_b64 s[12:13], s[10:11]
	s_cbranch_execnz .LBB471_337
.LBB471_282:
	s_or_b64 exec, exec, s[12:13]
	s_and_saveexec_b64 s[10:11], s[8:9]
	s_cbranch_execnz .LBB471_338
.LBB471_283:
	s_or_b64 exec, exec, s[10:11]
	s_and_saveexec_b64 s[8:9], s[6:7]
	s_cbranch_execnz .LBB471_339
.LBB471_284:
	s_or_b64 exec, exec, s[8:9]
	s_and_saveexec_b64 s[6:7], s[4:5]
	s_cbranch_execnz .LBB471_340
.LBB471_285:
	s_or_b64 exec, exec, s[6:7]
	s_and_saveexec_b64 s[4:5], s[2:3]
	s_cbranch_execz .LBB471_287
.LBB471_286:
	v_sub_u32_e32 v9, v39, v8
	v_lshlrev_b32_e32 v9, 3, v9
	ds_write_b64 v9, v[94:95]
.LBB471_287:
	s_or_b64 exec, exec, s[4:5]
	s_and_b64 s[38:39], s[0:1], exec
                                        ; implicit-def: $vgpr92_vgpr93
                                        ; implicit-def: $vgpr64_vgpr65
                                        ; implicit-def: $vgpr66_vgpr67
                                        ; implicit-def: $vgpr68_vgpr69
                                        ; implicit-def: $vgpr70_vgpr71
                                        ; implicit-def: $vgpr76_vgpr77
                                        ; implicit-def: $vgpr78_vgpr79
                                        ; implicit-def: $vgpr80_vgpr81
                                        ; implicit-def: $vgpr82_vgpr83
                                        ; implicit-def: $vgpr84_vgpr85
                                        ; implicit-def: $vgpr86_vgpr87
                                        ; implicit-def: $vgpr88_vgpr89
                                        ; implicit-def: $vgpr90_vgpr91
                                        ; implicit-def: $vgpr94_vgpr95
                                        ; implicit-def: $vgpr59
                                        ; implicit-def: $vgpr51
                                        ; implicit-def: $vgpr50
                                        ; implicit-def: $vgpr49
                                        ; implicit-def: $vgpr48
                                        ; implicit-def: $vgpr47
                                        ; implicit-def: $vgpr46
                                        ; implicit-def: $vgpr45
                                        ; implicit-def: $vgpr44
                                        ; implicit-def: $vgpr43
                                        ; implicit-def: $vgpr42
                                        ; implicit-def: $vgpr41
                                        ; implicit-def: $vgpr40
                                        ; implicit-def: $vgpr39
	s_andn2_saveexec_b64 s[0:1], s[36:37]
	s_cbranch_execz .LBB471_210
.LBB471_288:
	v_sub_u32_e32 v9, v59, v8
	v_lshlrev_b32_e32 v9, 3, v9
	ds_write_b64 v9, v[92:93]
	v_sub_u32_e32 v9, v51, v8
	v_lshlrev_b32_e32 v9, 3, v9
	ds_write_b64 v9, v[64:65]
	;; [unrolled: 3-line block ×13, first 2 shown]
	v_sub_u32_e32 v9, v39, v8
	v_lshlrev_b32_e32 v9, 3, v9
	s_or_b64 s[38:39], s[38:39], exec
	ds_write_b64 v9, v[94:95]
	s_or_b64 exec, exec, s[0:1]
	s_and_b64 exec, exec, s[38:39]
	s_cbranch_execnz .LBB471_211
	s_branch .LBB471_212
.LBB471_289:
	v_sub_u32_e32 v56, v59, v62
	v_mov_b32_e32 v57, 0
	v_lshlrev_b64 v[56:57], 3, v[56:57]
	v_add_co_u32_e32 v56, vcc, v52, v56
	v_addc_co_u32_e32 v57, vcc, v53, v57, vcc
	global_store_dwordx2 v[56:57], v[26:27], off
	s_or_b64 exec, exec, s[38:39]
	s_and_saveexec_b64 s[38:39], s[26:27]
	s_cbranch_execz .LBB471_223
.LBB471_290:
	v_sub_u32_e32 v56, v51, v62
	v_mov_b32_e32 v57, 0
	v_lshlrev_b64 v[56:57], 3, v[56:57]
	v_add_co_u32_e32 v56, vcc, v52, v56
	v_addc_co_u32_e32 v57, vcc, v53, v57, vcc
	global_store_dwordx2 v[56:57], v[28:29], off
	s_or_b64 exec, exec, s[38:39]
	s_and_saveexec_b64 s[38:39], s[24:25]
	s_cbranch_execz .LBB471_224
.LBB471_291:
	v_sub_u32_e32 v56, v50, v62
	v_mov_b32_e32 v57, 0
	v_lshlrev_b64 v[56:57], 3, v[56:57]
	v_add_co_u32_e32 v56, vcc, v52, v56
	v_addc_co_u32_e32 v57, vcc, v53, v57, vcc
	global_store_dwordx2 v[56:57], v[22:23], off
	s_or_b64 exec, exec, s[38:39]
	s_and_saveexec_b64 s[38:39], s[22:23]
	s_cbranch_execz .LBB471_225
.LBB471_292:
	v_sub_u32_e32 v56, v49, v62
	v_mov_b32_e32 v57, 0
	v_lshlrev_b64 v[56:57], 3, v[56:57]
	v_add_co_u32_e32 v56, vcc, v52, v56
	v_addc_co_u32_e32 v57, vcc, v53, v57, vcc
	global_store_dwordx2 v[56:57], v[24:25], off
	s_or_b64 exec, exec, s[38:39]
	s_and_saveexec_b64 s[38:39], s[20:21]
	s_cbranch_execz .LBB471_226
.LBB471_293:
	v_sub_u32_e32 v56, v48, v62
	v_mov_b32_e32 v57, 0
	v_lshlrev_b64 v[56:57], 3, v[56:57]
	v_add_co_u32_e32 v56, vcc, v52, v56
	v_addc_co_u32_e32 v57, vcc, v53, v57, vcc
	global_store_dwordx2 v[56:57], v[18:19], off
	s_or_b64 exec, exec, s[38:39]
	s_and_saveexec_b64 s[38:39], s[18:19]
	s_cbranch_execz .LBB471_227
.LBB471_294:
	v_sub_u32_e32 v56, v47, v62
	v_mov_b32_e32 v57, 0
	v_lshlrev_b64 v[56:57], 3, v[56:57]
	v_add_co_u32_e32 v56, vcc, v52, v56
	v_addc_co_u32_e32 v57, vcc, v53, v57, vcc
	global_store_dwordx2 v[56:57], v[20:21], off
	s_or_b64 exec, exec, s[38:39]
	s_and_saveexec_b64 s[38:39], s[16:17]
	s_cbranch_execz .LBB471_228
.LBB471_295:
	v_sub_u32_e32 v56, v46, v62
	v_mov_b32_e32 v57, 0
	v_lshlrev_b64 v[56:57], 3, v[56:57]
	v_add_co_u32_e32 v56, vcc, v52, v56
	v_addc_co_u32_e32 v57, vcc, v53, v57, vcc
	global_store_dwordx2 v[56:57], v[14:15], off
	s_or_b64 exec, exec, s[38:39]
	s_and_saveexec_b64 s[38:39], s[14:15]
	s_cbranch_execz .LBB471_229
.LBB471_296:
	v_sub_u32_e32 v56, v45, v62
	v_mov_b32_e32 v57, 0
	v_lshlrev_b64 v[56:57], 3, v[56:57]
	v_add_co_u32_e32 v56, vcc, v52, v56
	v_addc_co_u32_e32 v57, vcc, v53, v57, vcc
	global_store_dwordx2 v[56:57], v[16:17], off
	s_or_b64 exec, exec, s[38:39]
	s_and_saveexec_b64 s[38:39], s[12:13]
	s_cbranch_execz .LBB471_230
.LBB471_297:
	v_sub_u32_e32 v56, v44, v62
	v_mov_b32_e32 v57, 0
	v_lshlrev_b64 v[56:57], 3, v[56:57]
	v_add_co_u32_e32 v56, vcc, v52, v56
	v_addc_co_u32_e32 v57, vcc, v53, v57, vcc
	global_store_dwordx2 v[56:57], v[10:11], off
	s_or_b64 exec, exec, s[38:39]
	s_and_saveexec_b64 s[38:39], s[10:11]
	s_cbranch_execz .LBB471_231
.LBB471_298:
	v_sub_u32_e32 v56, v43, v62
	v_mov_b32_e32 v57, 0
	v_lshlrev_b64 v[56:57], 3, v[56:57]
	v_add_co_u32_e32 v56, vcc, v52, v56
	v_addc_co_u32_e32 v57, vcc, v53, v57, vcc
	global_store_dwordx2 v[56:57], v[12:13], off
	s_or_b64 exec, exec, s[38:39]
	s_and_saveexec_b64 s[38:39], s[8:9]
	s_cbranch_execz .LBB471_232
.LBB471_299:
	v_sub_u32_e32 v56, v42, v62
	v_mov_b32_e32 v57, 0
	v_lshlrev_b64 v[56:57], 3, v[56:57]
	v_add_co_u32_e32 v56, vcc, v52, v56
	v_addc_co_u32_e32 v57, vcc, v53, v57, vcc
	global_store_dwordx2 v[56:57], v[6:7], off
	s_or_b64 exec, exec, s[38:39]
	s_and_saveexec_b64 s[38:39], s[6:7]
	s_cbranch_execz .LBB471_233
.LBB471_300:
	v_sub_u32_e32 v56, v41, v62
	v_mov_b32_e32 v57, 0
	v_lshlrev_b64 v[56:57], 3, v[56:57]
	v_add_co_u32_e32 v56, vcc, v52, v56
	v_addc_co_u32_e32 v57, vcc, v53, v57, vcc
	global_store_dwordx2 v[56:57], v[8:9], off
	s_or_b64 exec, exec, s[38:39]
	s_and_saveexec_b64 s[38:39], s[4:5]
	s_cbranch_execz .LBB471_234
.LBB471_301:
	v_sub_u32_e32 v56, v40, v62
	v_mov_b32_e32 v57, 0
	v_lshlrev_b64 v[56:57], 3, v[56:57]
	v_add_co_u32_e32 v56, vcc, v52, v56
	v_addc_co_u32_e32 v57, vcc, v53, v57, vcc
	global_store_dwordx2 v[56:57], v[2:3], off
	s_or_b64 exec, exec, s[38:39]
	s_and_saveexec_b64 s[38:39], s[2:3]
	s_cbranch_execnz .LBB471_235
	s_branch .LBB471_236
.LBB471_302:
	v_sub_u32_e32 v54, v59, v62
	v_lshlrev_b32_e32 v54, 3, v54
	ds_write_b64 v54, v[26:27]
	s_or_b64 exec, exec, s[38:39]
	s_and_saveexec_b64 s[28:29], s[26:27]
	s_cbranch_execz .LBB471_240
.LBB471_303:
	v_sub_u32_e32 v26, v51, v62
	v_lshlrev_b32_e32 v26, 3, v26
	ds_write_b64 v26, v[28:29]
	s_or_b64 exec, exec, s[28:29]
	s_and_saveexec_b64 s[26:27], s[24:25]
	s_cbranch_execz .LBB471_241
.LBB471_304:
	v_sub_u32_e32 v26, v50, v62
	v_lshlrev_b32_e32 v26, 3, v26
	ds_write_b64 v26, v[22:23]
	s_or_b64 exec, exec, s[26:27]
	s_and_saveexec_b64 s[24:25], s[22:23]
	s_cbranch_execz .LBB471_242
.LBB471_305:
	v_sub_u32_e32 v22, v49, v62
	v_lshlrev_b32_e32 v22, 3, v22
	ds_write_b64 v22, v[24:25]
	s_or_b64 exec, exec, s[24:25]
	s_and_saveexec_b64 s[22:23], s[20:21]
	s_cbranch_execz .LBB471_243
.LBB471_306:
	v_sub_u32_e32 v22, v48, v62
	v_lshlrev_b32_e32 v22, 3, v22
	ds_write_b64 v22, v[18:19]
	s_or_b64 exec, exec, s[22:23]
	s_and_saveexec_b64 s[20:21], s[18:19]
	s_cbranch_execz .LBB471_244
.LBB471_307:
	v_sub_u32_e32 v18, v47, v62
	v_lshlrev_b32_e32 v18, 3, v18
	ds_write_b64 v18, v[20:21]
	s_or_b64 exec, exec, s[20:21]
	s_and_saveexec_b64 s[18:19], s[16:17]
	s_cbranch_execz .LBB471_245
.LBB471_308:
	v_sub_u32_e32 v18, v46, v62
	v_lshlrev_b32_e32 v18, 3, v18
	ds_write_b64 v18, v[14:15]
	s_or_b64 exec, exec, s[18:19]
	s_and_saveexec_b64 s[16:17], s[14:15]
	s_cbranch_execz .LBB471_246
.LBB471_309:
	v_sub_u32_e32 v14, v45, v62
	v_lshlrev_b32_e32 v14, 3, v14
	ds_write_b64 v14, v[16:17]
	s_or_b64 exec, exec, s[16:17]
	s_and_saveexec_b64 s[14:15], s[12:13]
	s_cbranch_execz .LBB471_247
.LBB471_310:
	v_sub_u32_e32 v14, v44, v62
	v_lshlrev_b32_e32 v14, 3, v14
	ds_write_b64 v14, v[10:11]
	s_or_b64 exec, exec, s[14:15]
	s_and_saveexec_b64 s[12:13], s[10:11]
	s_cbranch_execz .LBB471_248
.LBB471_311:
	v_sub_u32_e32 v10, v43, v62
	v_lshlrev_b32_e32 v10, 3, v10
	ds_write_b64 v10, v[12:13]
	s_or_b64 exec, exec, s[12:13]
	s_and_saveexec_b64 s[10:11], s[8:9]
	s_cbranch_execz .LBB471_249
.LBB471_312:
	v_sub_u32_e32 v10, v42, v62
	v_lshlrev_b32_e32 v10, 3, v10
	ds_write_b64 v10, v[6:7]
	s_or_b64 exec, exec, s[10:11]
	s_and_saveexec_b64 s[8:9], s[6:7]
	s_cbranch_execz .LBB471_250
.LBB471_313:
	v_sub_u32_e32 v6, v41, v62
	v_lshlrev_b32_e32 v6, 3, v6
	ds_write_b64 v6, v[8:9]
	s_or_b64 exec, exec, s[8:9]
	s_and_saveexec_b64 s[6:7], s[4:5]
	s_cbranch_execz .LBB471_251
.LBB471_314:
	v_sub_u32_e32 v6, v40, v62
	v_lshlrev_b32_e32 v6, 3, v6
	ds_write_b64 v6, v[2:3]
	s_or_b64 exec, exec, s[6:7]
	s_and_saveexec_b64 s[4:5], s[2:3]
	s_cbranch_execnz .LBB471_252
	s_branch .LBB471_253
.LBB471_315:
	v_sub_u32_e32 v10, v59, v8
	v_mov_b32_e32 v11, 0
	v_lshlrev_b64 v[10:11], 3, v[10:11]
	v_add_co_u32_e32 v10, vcc, v6, v10
	v_addc_co_u32_e32 v11, vcc, v7, v11, vcc
	global_store_dwordx2 v[10:11], v[92:93], off
	s_or_b64 exec, exec, s[38:39]
	s_and_saveexec_b64 s[38:39], s[26:27]
	s_cbranch_execz .LBB471_257
.LBB471_316:
	v_sub_u32_e32 v10, v51, v8
	v_mov_b32_e32 v11, 0
	v_lshlrev_b64 v[10:11], 3, v[10:11]
	v_add_co_u32_e32 v10, vcc, v6, v10
	v_addc_co_u32_e32 v11, vcc, v7, v11, vcc
	global_store_dwordx2 v[10:11], v[64:65], off
	s_or_b64 exec, exec, s[38:39]
	s_and_saveexec_b64 s[38:39], s[24:25]
	s_cbranch_execz .LBB471_258
.LBB471_317:
	v_sub_u32_e32 v10, v50, v8
	v_mov_b32_e32 v11, 0
	v_lshlrev_b64 v[10:11], 3, v[10:11]
	v_add_co_u32_e32 v10, vcc, v6, v10
	v_addc_co_u32_e32 v11, vcc, v7, v11, vcc
	global_store_dwordx2 v[10:11], v[66:67], off
	s_or_b64 exec, exec, s[38:39]
	s_and_saveexec_b64 s[38:39], s[22:23]
	s_cbranch_execz .LBB471_259
.LBB471_318:
	v_sub_u32_e32 v10, v49, v8
	v_mov_b32_e32 v11, 0
	v_lshlrev_b64 v[10:11], 3, v[10:11]
	v_add_co_u32_e32 v10, vcc, v6, v10
	v_addc_co_u32_e32 v11, vcc, v7, v11, vcc
	global_store_dwordx2 v[10:11], v[68:69], off
	s_or_b64 exec, exec, s[38:39]
	s_and_saveexec_b64 s[38:39], s[20:21]
	s_cbranch_execz .LBB471_260
.LBB471_319:
	v_sub_u32_e32 v10, v48, v8
	v_mov_b32_e32 v11, 0
	v_lshlrev_b64 v[10:11], 3, v[10:11]
	v_add_co_u32_e32 v10, vcc, v6, v10
	v_addc_co_u32_e32 v11, vcc, v7, v11, vcc
	global_store_dwordx2 v[10:11], v[70:71], off
	s_or_b64 exec, exec, s[38:39]
	s_and_saveexec_b64 s[38:39], s[18:19]
	s_cbranch_execz .LBB471_261
.LBB471_320:
	v_sub_u32_e32 v10, v47, v8
	v_mov_b32_e32 v11, 0
	v_lshlrev_b64 v[10:11], 3, v[10:11]
	v_add_co_u32_e32 v10, vcc, v6, v10
	v_addc_co_u32_e32 v11, vcc, v7, v11, vcc
	global_store_dwordx2 v[10:11], v[76:77], off
	s_or_b64 exec, exec, s[38:39]
	s_and_saveexec_b64 s[38:39], s[16:17]
	s_cbranch_execz .LBB471_262
.LBB471_321:
	v_sub_u32_e32 v10, v46, v8
	v_mov_b32_e32 v11, 0
	v_lshlrev_b64 v[10:11], 3, v[10:11]
	v_add_co_u32_e32 v10, vcc, v6, v10
	v_addc_co_u32_e32 v11, vcc, v7, v11, vcc
	global_store_dwordx2 v[10:11], v[78:79], off
	s_or_b64 exec, exec, s[38:39]
	s_and_saveexec_b64 s[38:39], s[14:15]
	s_cbranch_execz .LBB471_263
.LBB471_322:
	v_sub_u32_e32 v10, v45, v8
	v_mov_b32_e32 v11, 0
	v_lshlrev_b64 v[10:11], 3, v[10:11]
	v_add_co_u32_e32 v10, vcc, v6, v10
	v_addc_co_u32_e32 v11, vcc, v7, v11, vcc
	global_store_dwordx2 v[10:11], v[80:81], off
	s_or_b64 exec, exec, s[38:39]
	s_and_saveexec_b64 s[38:39], s[12:13]
	s_cbranch_execz .LBB471_264
.LBB471_323:
	v_sub_u32_e32 v10, v44, v8
	v_mov_b32_e32 v11, 0
	v_lshlrev_b64 v[10:11], 3, v[10:11]
	v_add_co_u32_e32 v10, vcc, v6, v10
	v_addc_co_u32_e32 v11, vcc, v7, v11, vcc
	global_store_dwordx2 v[10:11], v[82:83], off
	s_or_b64 exec, exec, s[38:39]
	s_and_saveexec_b64 s[38:39], s[10:11]
	s_cbranch_execz .LBB471_265
.LBB471_324:
	v_sub_u32_e32 v10, v43, v8
	v_mov_b32_e32 v11, 0
	v_lshlrev_b64 v[10:11], 3, v[10:11]
	v_add_co_u32_e32 v10, vcc, v6, v10
	v_addc_co_u32_e32 v11, vcc, v7, v11, vcc
	global_store_dwordx2 v[10:11], v[84:85], off
	s_or_b64 exec, exec, s[38:39]
	s_and_saveexec_b64 s[38:39], s[8:9]
	s_cbranch_execz .LBB471_266
.LBB471_325:
	v_sub_u32_e32 v10, v42, v8
	v_mov_b32_e32 v11, 0
	v_lshlrev_b64 v[10:11], 3, v[10:11]
	v_add_co_u32_e32 v10, vcc, v6, v10
	v_addc_co_u32_e32 v11, vcc, v7, v11, vcc
	global_store_dwordx2 v[10:11], v[86:87], off
	s_or_b64 exec, exec, s[38:39]
	s_and_saveexec_b64 s[38:39], s[6:7]
	s_cbranch_execz .LBB471_267
.LBB471_326:
	v_sub_u32_e32 v10, v41, v8
	v_mov_b32_e32 v11, 0
	v_lshlrev_b64 v[10:11], 3, v[10:11]
	v_add_co_u32_e32 v10, vcc, v6, v10
	v_addc_co_u32_e32 v11, vcc, v7, v11, vcc
	global_store_dwordx2 v[10:11], v[88:89], off
	s_or_b64 exec, exec, s[38:39]
	s_and_saveexec_b64 s[38:39], s[4:5]
	s_cbranch_execz .LBB471_268
.LBB471_327:
	v_sub_u32_e32 v10, v40, v8
	v_mov_b32_e32 v11, 0
	v_lshlrev_b64 v[10:11], 3, v[10:11]
	v_add_co_u32_e32 v10, vcc, v6, v10
	v_addc_co_u32_e32 v11, vcc, v7, v11, vcc
	global_store_dwordx2 v[10:11], v[90:91], off
	s_or_b64 exec, exec, s[38:39]
	s_and_saveexec_b64 s[38:39], s[2:3]
	s_cbranch_execnz .LBB471_269
	s_branch .LBB471_270
.LBB471_328:
	v_sub_u32_e32 v9, v59, v8
	v_lshlrev_b32_e32 v9, 3, v9
	ds_write_b64 v9, v[92:93]
	s_or_b64 exec, exec, s[38:39]
	s_and_saveexec_b64 s[28:29], s[26:27]
	s_cbranch_execz .LBB471_274
.LBB471_329:
	v_sub_u32_e32 v9, v51, v8
	v_lshlrev_b32_e32 v9, 3, v9
	ds_write_b64 v9, v[64:65]
	s_or_b64 exec, exec, s[28:29]
	s_and_saveexec_b64 s[26:27], s[24:25]
	s_cbranch_execz .LBB471_275
.LBB471_330:
	v_sub_u32_e32 v9, v50, v8
	v_lshlrev_b32_e32 v9, 3, v9
	ds_write_b64 v9, v[66:67]
	s_or_b64 exec, exec, s[26:27]
	s_and_saveexec_b64 s[24:25], s[22:23]
	s_cbranch_execz .LBB471_276
.LBB471_331:
	v_sub_u32_e32 v9, v49, v8
	v_lshlrev_b32_e32 v9, 3, v9
	ds_write_b64 v9, v[68:69]
	s_or_b64 exec, exec, s[24:25]
	s_and_saveexec_b64 s[22:23], s[20:21]
	s_cbranch_execz .LBB471_277
.LBB471_332:
	v_sub_u32_e32 v9, v48, v8
	v_lshlrev_b32_e32 v9, 3, v9
	ds_write_b64 v9, v[70:71]
	s_or_b64 exec, exec, s[22:23]
	s_and_saveexec_b64 s[20:21], s[18:19]
	s_cbranch_execz .LBB471_278
.LBB471_333:
	v_sub_u32_e32 v9, v47, v8
	v_lshlrev_b32_e32 v9, 3, v9
	ds_write_b64 v9, v[76:77]
	s_or_b64 exec, exec, s[20:21]
	s_and_saveexec_b64 s[18:19], s[16:17]
	s_cbranch_execz .LBB471_279
.LBB471_334:
	v_sub_u32_e32 v9, v46, v8
	v_lshlrev_b32_e32 v9, 3, v9
	ds_write_b64 v9, v[78:79]
	s_or_b64 exec, exec, s[18:19]
	s_and_saveexec_b64 s[16:17], s[14:15]
	s_cbranch_execz .LBB471_280
.LBB471_335:
	v_sub_u32_e32 v9, v45, v8
	v_lshlrev_b32_e32 v9, 3, v9
	ds_write_b64 v9, v[80:81]
	s_or_b64 exec, exec, s[16:17]
	s_and_saveexec_b64 s[14:15], s[12:13]
	s_cbranch_execz .LBB471_281
.LBB471_336:
	v_sub_u32_e32 v9, v44, v8
	v_lshlrev_b32_e32 v9, 3, v9
	ds_write_b64 v9, v[82:83]
	s_or_b64 exec, exec, s[14:15]
	s_and_saveexec_b64 s[12:13], s[10:11]
	s_cbranch_execz .LBB471_282
.LBB471_337:
	v_sub_u32_e32 v9, v43, v8
	v_lshlrev_b32_e32 v9, 3, v9
	ds_write_b64 v9, v[84:85]
	s_or_b64 exec, exec, s[12:13]
	s_and_saveexec_b64 s[10:11], s[8:9]
	s_cbranch_execz .LBB471_283
.LBB471_338:
	v_sub_u32_e32 v9, v42, v8
	v_lshlrev_b32_e32 v9, 3, v9
	ds_write_b64 v9, v[86:87]
	s_or_b64 exec, exec, s[10:11]
	s_and_saveexec_b64 s[8:9], s[6:7]
	s_cbranch_execz .LBB471_284
.LBB471_339:
	v_sub_u32_e32 v9, v41, v8
	v_lshlrev_b32_e32 v9, 3, v9
	ds_write_b64 v9, v[88:89]
	s_or_b64 exec, exec, s[8:9]
	s_and_saveexec_b64 s[6:7], s[4:5]
	s_cbranch_execz .LBB471_285
.LBB471_340:
	v_sub_u32_e32 v9, v40, v8
	v_lshlrev_b32_e32 v9, 3, v9
	ds_write_b64 v9, v[90:91]
	s_or_b64 exec, exec, s[6:7]
	s_and_saveexec_b64 s[4:5], s[2:3]
	s_cbranch_execnz .LBB471_286
	s_branch .LBB471_287
	.section	.rodata,"a",@progbits
	.p2align	6, 0x0
	.amdhsa_kernel _ZN7rocprim17ROCPRIM_400000_NS6detail17trampoline_kernelINS0_14default_configENS1_29reduce_by_key_config_selectorIxxN6thrust23THRUST_200600_302600_NS4plusIxEEEEZZNS1_33reduce_by_key_impl_wrapped_configILNS1_25lookback_scan_determinismE0ES3_S9_NS6_6detail15normal_iteratorINS6_10device_ptrIxEEEESG_SG_SG_PmS8_NS6_8equal_toIxEEEE10hipError_tPvRmT2_T3_mT4_T5_T6_T7_T8_P12ihipStream_tbENKUlT_T0_E_clISt17integral_constantIbLb0EES11_EEDaSW_SX_EUlSW_E_NS1_11comp_targetILNS1_3genE4ELNS1_11target_archE910ELNS1_3gpuE8ELNS1_3repE0EEENS1_30default_config_static_selectorELNS0_4arch9wavefront6targetE1EEEvT1_
		.amdhsa_group_segment_fixed_size 30720
		.amdhsa_private_segment_fixed_size 0
		.amdhsa_kernarg_size 136
		.amdhsa_user_sgpr_count 6
		.amdhsa_user_sgpr_private_segment_buffer 1
		.amdhsa_user_sgpr_dispatch_ptr 0
		.amdhsa_user_sgpr_queue_ptr 0
		.amdhsa_user_sgpr_kernarg_segment_ptr 1
		.amdhsa_user_sgpr_dispatch_id 0
		.amdhsa_user_sgpr_flat_scratch_init 0
		.amdhsa_user_sgpr_kernarg_preload_length 0
		.amdhsa_user_sgpr_kernarg_preload_offset 0
		.amdhsa_user_sgpr_private_segment_size 0
		.amdhsa_uses_dynamic_stack 0
		.amdhsa_system_sgpr_private_segment_wavefront_offset 0
		.amdhsa_system_sgpr_workgroup_id_x 1
		.amdhsa_system_sgpr_workgroup_id_y 0
		.amdhsa_system_sgpr_workgroup_id_z 0
		.amdhsa_system_sgpr_workgroup_info 0
		.amdhsa_system_vgpr_workitem_id 0
		.amdhsa_next_free_vgpr 118
		.amdhsa_next_free_sgpr 65
		.amdhsa_accum_offset 120
		.amdhsa_reserve_vcc 1
		.amdhsa_reserve_flat_scratch 0
		.amdhsa_float_round_mode_32 0
		.amdhsa_float_round_mode_16_64 0
		.amdhsa_float_denorm_mode_32 3
		.amdhsa_float_denorm_mode_16_64 3
		.amdhsa_dx10_clamp 1
		.amdhsa_ieee_mode 1
		.amdhsa_fp16_overflow 0
		.amdhsa_tg_split 0
		.amdhsa_exception_fp_ieee_invalid_op 0
		.amdhsa_exception_fp_denorm_src 0
		.amdhsa_exception_fp_ieee_div_zero 0
		.amdhsa_exception_fp_ieee_overflow 0
		.amdhsa_exception_fp_ieee_underflow 0
		.amdhsa_exception_fp_ieee_inexact 0
		.amdhsa_exception_int_div_zero 0
	.end_amdhsa_kernel
	.section	.text._ZN7rocprim17ROCPRIM_400000_NS6detail17trampoline_kernelINS0_14default_configENS1_29reduce_by_key_config_selectorIxxN6thrust23THRUST_200600_302600_NS4plusIxEEEEZZNS1_33reduce_by_key_impl_wrapped_configILNS1_25lookback_scan_determinismE0ES3_S9_NS6_6detail15normal_iteratorINS6_10device_ptrIxEEEESG_SG_SG_PmS8_NS6_8equal_toIxEEEE10hipError_tPvRmT2_T3_mT4_T5_T6_T7_T8_P12ihipStream_tbENKUlT_T0_E_clISt17integral_constantIbLb0EES11_EEDaSW_SX_EUlSW_E_NS1_11comp_targetILNS1_3genE4ELNS1_11target_archE910ELNS1_3gpuE8ELNS1_3repE0EEENS1_30default_config_static_selectorELNS0_4arch9wavefront6targetE1EEEvT1_,"axG",@progbits,_ZN7rocprim17ROCPRIM_400000_NS6detail17trampoline_kernelINS0_14default_configENS1_29reduce_by_key_config_selectorIxxN6thrust23THRUST_200600_302600_NS4plusIxEEEEZZNS1_33reduce_by_key_impl_wrapped_configILNS1_25lookback_scan_determinismE0ES3_S9_NS6_6detail15normal_iteratorINS6_10device_ptrIxEEEESG_SG_SG_PmS8_NS6_8equal_toIxEEEE10hipError_tPvRmT2_T3_mT4_T5_T6_T7_T8_P12ihipStream_tbENKUlT_T0_E_clISt17integral_constantIbLb0EES11_EEDaSW_SX_EUlSW_E_NS1_11comp_targetILNS1_3genE4ELNS1_11target_archE910ELNS1_3gpuE8ELNS1_3repE0EEENS1_30default_config_static_selectorELNS0_4arch9wavefront6targetE1EEEvT1_,comdat
.Lfunc_end471:
	.size	_ZN7rocprim17ROCPRIM_400000_NS6detail17trampoline_kernelINS0_14default_configENS1_29reduce_by_key_config_selectorIxxN6thrust23THRUST_200600_302600_NS4plusIxEEEEZZNS1_33reduce_by_key_impl_wrapped_configILNS1_25lookback_scan_determinismE0ES3_S9_NS6_6detail15normal_iteratorINS6_10device_ptrIxEEEESG_SG_SG_PmS8_NS6_8equal_toIxEEEE10hipError_tPvRmT2_T3_mT4_T5_T6_T7_T8_P12ihipStream_tbENKUlT_T0_E_clISt17integral_constantIbLb0EES11_EEDaSW_SX_EUlSW_E_NS1_11comp_targetILNS1_3genE4ELNS1_11target_archE910ELNS1_3gpuE8ELNS1_3repE0EEENS1_30default_config_static_selectorELNS0_4arch9wavefront6targetE1EEEvT1_, .Lfunc_end471-_ZN7rocprim17ROCPRIM_400000_NS6detail17trampoline_kernelINS0_14default_configENS1_29reduce_by_key_config_selectorIxxN6thrust23THRUST_200600_302600_NS4plusIxEEEEZZNS1_33reduce_by_key_impl_wrapped_configILNS1_25lookback_scan_determinismE0ES3_S9_NS6_6detail15normal_iteratorINS6_10device_ptrIxEEEESG_SG_SG_PmS8_NS6_8equal_toIxEEEE10hipError_tPvRmT2_T3_mT4_T5_T6_T7_T8_P12ihipStream_tbENKUlT_T0_E_clISt17integral_constantIbLb0EES11_EEDaSW_SX_EUlSW_E_NS1_11comp_targetILNS1_3genE4ELNS1_11target_archE910ELNS1_3gpuE8ELNS1_3repE0EEENS1_30default_config_static_selectorELNS0_4arch9wavefront6targetE1EEEvT1_
                                        ; -- End function
	.section	.AMDGPU.csdata,"",@progbits
; Kernel info:
; codeLenInByte = 16788
; NumSgprs: 69
; NumVgprs: 118
; NumAgprs: 0
; TotalNumVgprs: 118
; ScratchSize: 0
; MemoryBound: 0
; FloatMode: 240
; IeeeMode: 1
; LDSByteSize: 30720 bytes/workgroup (compile time only)
; SGPRBlocks: 8
; VGPRBlocks: 14
; NumSGPRsForWavesPerEU: 69
; NumVGPRsForWavesPerEU: 118
; AccumOffset: 120
; Occupancy: 2
; WaveLimiterHint : 1
; COMPUTE_PGM_RSRC2:SCRATCH_EN: 0
; COMPUTE_PGM_RSRC2:USER_SGPR: 6
; COMPUTE_PGM_RSRC2:TRAP_HANDLER: 0
; COMPUTE_PGM_RSRC2:TGID_X_EN: 1
; COMPUTE_PGM_RSRC2:TGID_Y_EN: 0
; COMPUTE_PGM_RSRC2:TGID_Z_EN: 0
; COMPUTE_PGM_RSRC2:TIDIG_COMP_CNT: 0
; COMPUTE_PGM_RSRC3_GFX90A:ACCUM_OFFSET: 29
; COMPUTE_PGM_RSRC3_GFX90A:TG_SPLIT: 0
	.section	.text._ZN7rocprim17ROCPRIM_400000_NS6detail17trampoline_kernelINS0_14default_configENS1_29reduce_by_key_config_selectorIxxN6thrust23THRUST_200600_302600_NS4plusIxEEEEZZNS1_33reduce_by_key_impl_wrapped_configILNS1_25lookback_scan_determinismE0ES3_S9_NS6_6detail15normal_iteratorINS6_10device_ptrIxEEEESG_SG_SG_PmS8_NS6_8equal_toIxEEEE10hipError_tPvRmT2_T3_mT4_T5_T6_T7_T8_P12ihipStream_tbENKUlT_T0_E_clISt17integral_constantIbLb0EES11_EEDaSW_SX_EUlSW_E_NS1_11comp_targetILNS1_3genE3ELNS1_11target_archE908ELNS1_3gpuE7ELNS1_3repE0EEENS1_30default_config_static_selectorELNS0_4arch9wavefront6targetE1EEEvT1_,"axG",@progbits,_ZN7rocprim17ROCPRIM_400000_NS6detail17trampoline_kernelINS0_14default_configENS1_29reduce_by_key_config_selectorIxxN6thrust23THRUST_200600_302600_NS4plusIxEEEEZZNS1_33reduce_by_key_impl_wrapped_configILNS1_25lookback_scan_determinismE0ES3_S9_NS6_6detail15normal_iteratorINS6_10device_ptrIxEEEESG_SG_SG_PmS8_NS6_8equal_toIxEEEE10hipError_tPvRmT2_T3_mT4_T5_T6_T7_T8_P12ihipStream_tbENKUlT_T0_E_clISt17integral_constantIbLb0EES11_EEDaSW_SX_EUlSW_E_NS1_11comp_targetILNS1_3genE3ELNS1_11target_archE908ELNS1_3gpuE7ELNS1_3repE0EEENS1_30default_config_static_selectorELNS0_4arch9wavefront6targetE1EEEvT1_,comdat
	.protected	_ZN7rocprim17ROCPRIM_400000_NS6detail17trampoline_kernelINS0_14default_configENS1_29reduce_by_key_config_selectorIxxN6thrust23THRUST_200600_302600_NS4plusIxEEEEZZNS1_33reduce_by_key_impl_wrapped_configILNS1_25lookback_scan_determinismE0ES3_S9_NS6_6detail15normal_iteratorINS6_10device_ptrIxEEEESG_SG_SG_PmS8_NS6_8equal_toIxEEEE10hipError_tPvRmT2_T3_mT4_T5_T6_T7_T8_P12ihipStream_tbENKUlT_T0_E_clISt17integral_constantIbLb0EES11_EEDaSW_SX_EUlSW_E_NS1_11comp_targetILNS1_3genE3ELNS1_11target_archE908ELNS1_3gpuE7ELNS1_3repE0EEENS1_30default_config_static_selectorELNS0_4arch9wavefront6targetE1EEEvT1_ ; -- Begin function _ZN7rocprim17ROCPRIM_400000_NS6detail17trampoline_kernelINS0_14default_configENS1_29reduce_by_key_config_selectorIxxN6thrust23THRUST_200600_302600_NS4plusIxEEEEZZNS1_33reduce_by_key_impl_wrapped_configILNS1_25lookback_scan_determinismE0ES3_S9_NS6_6detail15normal_iteratorINS6_10device_ptrIxEEEESG_SG_SG_PmS8_NS6_8equal_toIxEEEE10hipError_tPvRmT2_T3_mT4_T5_T6_T7_T8_P12ihipStream_tbENKUlT_T0_E_clISt17integral_constantIbLb0EES11_EEDaSW_SX_EUlSW_E_NS1_11comp_targetILNS1_3genE3ELNS1_11target_archE908ELNS1_3gpuE7ELNS1_3repE0EEENS1_30default_config_static_selectorELNS0_4arch9wavefront6targetE1EEEvT1_
	.globl	_ZN7rocprim17ROCPRIM_400000_NS6detail17trampoline_kernelINS0_14default_configENS1_29reduce_by_key_config_selectorIxxN6thrust23THRUST_200600_302600_NS4plusIxEEEEZZNS1_33reduce_by_key_impl_wrapped_configILNS1_25lookback_scan_determinismE0ES3_S9_NS6_6detail15normal_iteratorINS6_10device_ptrIxEEEESG_SG_SG_PmS8_NS6_8equal_toIxEEEE10hipError_tPvRmT2_T3_mT4_T5_T6_T7_T8_P12ihipStream_tbENKUlT_T0_E_clISt17integral_constantIbLb0EES11_EEDaSW_SX_EUlSW_E_NS1_11comp_targetILNS1_3genE3ELNS1_11target_archE908ELNS1_3gpuE7ELNS1_3repE0EEENS1_30default_config_static_selectorELNS0_4arch9wavefront6targetE1EEEvT1_
	.p2align	8
	.type	_ZN7rocprim17ROCPRIM_400000_NS6detail17trampoline_kernelINS0_14default_configENS1_29reduce_by_key_config_selectorIxxN6thrust23THRUST_200600_302600_NS4plusIxEEEEZZNS1_33reduce_by_key_impl_wrapped_configILNS1_25lookback_scan_determinismE0ES3_S9_NS6_6detail15normal_iteratorINS6_10device_ptrIxEEEESG_SG_SG_PmS8_NS6_8equal_toIxEEEE10hipError_tPvRmT2_T3_mT4_T5_T6_T7_T8_P12ihipStream_tbENKUlT_T0_E_clISt17integral_constantIbLb0EES11_EEDaSW_SX_EUlSW_E_NS1_11comp_targetILNS1_3genE3ELNS1_11target_archE908ELNS1_3gpuE7ELNS1_3repE0EEENS1_30default_config_static_selectorELNS0_4arch9wavefront6targetE1EEEvT1_,@function
_ZN7rocprim17ROCPRIM_400000_NS6detail17trampoline_kernelINS0_14default_configENS1_29reduce_by_key_config_selectorIxxN6thrust23THRUST_200600_302600_NS4plusIxEEEEZZNS1_33reduce_by_key_impl_wrapped_configILNS1_25lookback_scan_determinismE0ES3_S9_NS6_6detail15normal_iteratorINS6_10device_ptrIxEEEESG_SG_SG_PmS8_NS6_8equal_toIxEEEE10hipError_tPvRmT2_T3_mT4_T5_T6_T7_T8_P12ihipStream_tbENKUlT_T0_E_clISt17integral_constantIbLb0EES11_EEDaSW_SX_EUlSW_E_NS1_11comp_targetILNS1_3genE3ELNS1_11target_archE908ELNS1_3gpuE7ELNS1_3repE0EEENS1_30default_config_static_selectorELNS0_4arch9wavefront6targetE1EEEvT1_: ; @_ZN7rocprim17ROCPRIM_400000_NS6detail17trampoline_kernelINS0_14default_configENS1_29reduce_by_key_config_selectorIxxN6thrust23THRUST_200600_302600_NS4plusIxEEEEZZNS1_33reduce_by_key_impl_wrapped_configILNS1_25lookback_scan_determinismE0ES3_S9_NS6_6detail15normal_iteratorINS6_10device_ptrIxEEEESG_SG_SG_PmS8_NS6_8equal_toIxEEEE10hipError_tPvRmT2_T3_mT4_T5_T6_T7_T8_P12ihipStream_tbENKUlT_T0_E_clISt17integral_constantIbLb0EES11_EEDaSW_SX_EUlSW_E_NS1_11comp_targetILNS1_3genE3ELNS1_11target_archE908ELNS1_3gpuE7ELNS1_3repE0EEENS1_30default_config_static_selectorELNS0_4arch9wavefront6targetE1EEEvT1_
; %bb.0:
	.section	.rodata,"a",@progbits
	.p2align	6, 0x0
	.amdhsa_kernel _ZN7rocprim17ROCPRIM_400000_NS6detail17trampoline_kernelINS0_14default_configENS1_29reduce_by_key_config_selectorIxxN6thrust23THRUST_200600_302600_NS4plusIxEEEEZZNS1_33reduce_by_key_impl_wrapped_configILNS1_25lookback_scan_determinismE0ES3_S9_NS6_6detail15normal_iteratorINS6_10device_ptrIxEEEESG_SG_SG_PmS8_NS6_8equal_toIxEEEE10hipError_tPvRmT2_T3_mT4_T5_T6_T7_T8_P12ihipStream_tbENKUlT_T0_E_clISt17integral_constantIbLb0EES11_EEDaSW_SX_EUlSW_E_NS1_11comp_targetILNS1_3genE3ELNS1_11target_archE908ELNS1_3gpuE7ELNS1_3repE0EEENS1_30default_config_static_selectorELNS0_4arch9wavefront6targetE1EEEvT1_
		.amdhsa_group_segment_fixed_size 0
		.amdhsa_private_segment_fixed_size 0
		.amdhsa_kernarg_size 136
		.amdhsa_user_sgpr_count 6
		.amdhsa_user_sgpr_private_segment_buffer 1
		.amdhsa_user_sgpr_dispatch_ptr 0
		.amdhsa_user_sgpr_queue_ptr 0
		.amdhsa_user_sgpr_kernarg_segment_ptr 1
		.amdhsa_user_sgpr_dispatch_id 0
		.amdhsa_user_sgpr_flat_scratch_init 0
		.amdhsa_user_sgpr_kernarg_preload_length 0
		.amdhsa_user_sgpr_kernarg_preload_offset 0
		.amdhsa_user_sgpr_private_segment_size 0
		.amdhsa_uses_dynamic_stack 0
		.amdhsa_system_sgpr_private_segment_wavefront_offset 0
		.amdhsa_system_sgpr_workgroup_id_x 1
		.amdhsa_system_sgpr_workgroup_id_y 0
		.amdhsa_system_sgpr_workgroup_id_z 0
		.amdhsa_system_sgpr_workgroup_info 0
		.amdhsa_system_vgpr_workitem_id 0
		.amdhsa_next_free_vgpr 1
		.amdhsa_next_free_sgpr 0
		.amdhsa_accum_offset 4
		.amdhsa_reserve_vcc 0
		.amdhsa_reserve_flat_scratch 0
		.amdhsa_float_round_mode_32 0
		.amdhsa_float_round_mode_16_64 0
		.amdhsa_float_denorm_mode_32 3
		.amdhsa_float_denorm_mode_16_64 3
		.amdhsa_dx10_clamp 1
		.amdhsa_ieee_mode 1
		.amdhsa_fp16_overflow 0
		.amdhsa_tg_split 0
		.amdhsa_exception_fp_ieee_invalid_op 0
		.amdhsa_exception_fp_denorm_src 0
		.amdhsa_exception_fp_ieee_div_zero 0
		.amdhsa_exception_fp_ieee_overflow 0
		.amdhsa_exception_fp_ieee_underflow 0
		.amdhsa_exception_fp_ieee_inexact 0
		.amdhsa_exception_int_div_zero 0
	.end_amdhsa_kernel
	.section	.text._ZN7rocprim17ROCPRIM_400000_NS6detail17trampoline_kernelINS0_14default_configENS1_29reduce_by_key_config_selectorIxxN6thrust23THRUST_200600_302600_NS4plusIxEEEEZZNS1_33reduce_by_key_impl_wrapped_configILNS1_25lookback_scan_determinismE0ES3_S9_NS6_6detail15normal_iteratorINS6_10device_ptrIxEEEESG_SG_SG_PmS8_NS6_8equal_toIxEEEE10hipError_tPvRmT2_T3_mT4_T5_T6_T7_T8_P12ihipStream_tbENKUlT_T0_E_clISt17integral_constantIbLb0EES11_EEDaSW_SX_EUlSW_E_NS1_11comp_targetILNS1_3genE3ELNS1_11target_archE908ELNS1_3gpuE7ELNS1_3repE0EEENS1_30default_config_static_selectorELNS0_4arch9wavefront6targetE1EEEvT1_,"axG",@progbits,_ZN7rocprim17ROCPRIM_400000_NS6detail17trampoline_kernelINS0_14default_configENS1_29reduce_by_key_config_selectorIxxN6thrust23THRUST_200600_302600_NS4plusIxEEEEZZNS1_33reduce_by_key_impl_wrapped_configILNS1_25lookback_scan_determinismE0ES3_S9_NS6_6detail15normal_iteratorINS6_10device_ptrIxEEEESG_SG_SG_PmS8_NS6_8equal_toIxEEEE10hipError_tPvRmT2_T3_mT4_T5_T6_T7_T8_P12ihipStream_tbENKUlT_T0_E_clISt17integral_constantIbLb0EES11_EEDaSW_SX_EUlSW_E_NS1_11comp_targetILNS1_3genE3ELNS1_11target_archE908ELNS1_3gpuE7ELNS1_3repE0EEENS1_30default_config_static_selectorELNS0_4arch9wavefront6targetE1EEEvT1_,comdat
.Lfunc_end472:
	.size	_ZN7rocprim17ROCPRIM_400000_NS6detail17trampoline_kernelINS0_14default_configENS1_29reduce_by_key_config_selectorIxxN6thrust23THRUST_200600_302600_NS4plusIxEEEEZZNS1_33reduce_by_key_impl_wrapped_configILNS1_25lookback_scan_determinismE0ES3_S9_NS6_6detail15normal_iteratorINS6_10device_ptrIxEEEESG_SG_SG_PmS8_NS6_8equal_toIxEEEE10hipError_tPvRmT2_T3_mT4_T5_T6_T7_T8_P12ihipStream_tbENKUlT_T0_E_clISt17integral_constantIbLb0EES11_EEDaSW_SX_EUlSW_E_NS1_11comp_targetILNS1_3genE3ELNS1_11target_archE908ELNS1_3gpuE7ELNS1_3repE0EEENS1_30default_config_static_selectorELNS0_4arch9wavefront6targetE1EEEvT1_, .Lfunc_end472-_ZN7rocprim17ROCPRIM_400000_NS6detail17trampoline_kernelINS0_14default_configENS1_29reduce_by_key_config_selectorIxxN6thrust23THRUST_200600_302600_NS4plusIxEEEEZZNS1_33reduce_by_key_impl_wrapped_configILNS1_25lookback_scan_determinismE0ES3_S9_NS6_6detail15normal_iteratorINS6_10device_ptrIxEEEESG_SG_SG_PmS8_NS6_8equal_toIxEEEE10hipError_tPvRmT2_T3_mT4_T5_T6_T7_T8_P12ihipStream_tbENKUlT_T0_E_clISt17integral_constantIbLb0EES11_EEDaSW_SX_EUlSW_E_NS1_11comp_targetILNS1_3genE3ELNS1_11target_archE908ELNS1_3gpuE7ELNS1_3repE0EEENS1_30default_config_static_selectorELNS0_4arch9wavefront6targetE1EEEvT1_
                                        ; -- End function
	.section	.AMDGPU.csdata,"",@progbits
; Kernel info:
; codeLenInByte = 0
; NumSgprs: 4
; NumVgprs: 0
; NumAgprs: 0
; TotalNumVgprs: 0
; ScratchSize: 0
; MemoryBound: 0
; FloatMode: 240
; IeeeMode: 1
; LDSByteSize: 0 bytes/workgroup (compile time only)
; SGPRBlocks: 0
; VGPRBlocks: 0
; NumSGPRsForWavesPerEU: 4
; NumVGPRsForWavesPerEU: 1
; AccumOffset: 4
; Occupancy: 8
; WaveLimiterHint : 0
; COMPUTE_PGM_RSRC2:SCRATCH_EN: 0
; COMPUTE_PGM_RSRC2:USER_SGPR: 6
; COMPUTE_PGM_RSRC2:TRAP_HANDLER: 0
; COMPUTE_PGM_RSRC2:TGID_X_EN: 1
; COMPUTE_PGM_RSRC2:TGID_Y_EN: 0
; COMPUTE_PGM_RSRC2:TGID_Z_EN: 0
; COMPUTE_PGM_RSRC2:TIDIG_COMP_CNT: 0
; COMPUTE_PGM_RSRC3_GFX90A:ACCUM_OFFSET: 0
; COMPUTE_PGM_RSRC3_GFX90A:TG_SPLIT: 0
	.section	.text._ZN7rocprim17ROCPRIM_400000_NS6detail17trampoline_kernelINS0_14default_configENS1_29reduce_by_key_config_selectorIxxN6thrust23THRUST_200600_302600_NS4plusIxEEEEZZNS1_33reduce_by_key_impl_wrapped_configILNS1_25lookback_scan_determinismE0ES3_S9_NS6_6detail15normal_iteratorINS6_10device_ptrIxEEEESG_SG_SG_PmS8_NS6_8equal_toIxEEEE10hipError_tPvRmT2_T3_mT4_T5_T6_T7_T8_P12ihipStream_tbENKUlT_T0_E_clISt17integral_constantIbLb0EES11_EEDaSW_SX_EUlSW_E_NS1_11comp_targetILNS1_3genE2ELNS1_11target_archE906ELNS1_3gpuE6ELNS1_3repE0EEENS1_30default_config_static_selectorELNS0_4arch9wavefront6targetE1EEEvT1_,"axG",@progbits,_ZN7rocprim17ROCPRIM_400000_NS6detail17trampoline_kernelINS0_14default_configENS1_29reduce_by_key_config_selectorIxxN6thrust23THRUST_200600_302600_NS4plusIxEEEEZZNS1_33reduce_by_key_impl_wrapped_configILNS1_25lookback_scan_determinismE0ES3_S9_NS6_6detail15normal_iteratorINS6_10device_ptrIxEEEESG_SG_SG_PmS8_NS6_8equal_toIxEEEE10hipError_tPvRmT2_T3_mT4_T5_T6_T7_T8_P12ihipStream_tbENKUlT_T0_E_clISt17integral_constantIbLb0EES11_EEDaSW_SX_EUlSW_E_NS1_11comp_targetILNS1_3genE2ELNS1_11target_archE906ELNS1_3gpuE6ELNS1_3repE0EEENS1_30default_config_static_selectorELNS0_4arch9wavefront6targetE1EEEvT1_,comdat
	.protected	_ZN7rocprim17ROCPRIM_400000_NS6detail17trampoline_kernelINS0_14default_configENS1_29reduce_by_key_config_selectorIxxN6thrust23THRUST_200600_302600_NS4plusIxEEEEZZNS1_33reduce_by_key_impl_wrapped_configILNS1_25lookback_scan_determinismE0ES3_S9_NS6_6detail15normal_iteratorINS6_10device_ptrIxEEEESG_SG_SG_PmS8_NS6_8equal_toIxEEEE10hipError_tPvRmT2_T3_mT4_T5_T6_T7_T8_P12ihipStream_tbENKUlT_T0_E_clISt17integral_constantIbLb0EES11_EEDaSW_SX_EUlSW_E_NS1_11comp_targetILNS1_3genE2ELNS1_11target_archE906ELNS1_3gpuE6ELNS1_3repE0EEENS1_30default_config_static_selectorELNS0_4arch9wavefront6targetE1EEEvT1_ ; -- Begin function _ZN7rocprim17ROCPRIM_400000_NS6detail17trampoline_kernelINS0_14default_configENS1_29reduce_by_key_config_selectorIxxN6thrust23THRUST_200600_302600_NS4plusIxEEEEZZNS1_33reduce_by_key_impl_wrapped_configILNS1_25lookback_scan_determinismE0ES3_S9_NS6_6detail15normal_iteratorINS6_10device_ptrIxEEEESG_SG_SG_PmS8_NS6_8equal_toIxEEEE10hipError_tPvRmT2_T3_mT4_T5_T6_T7_T8_P12ihipStream_tbENKUlT_T0_E_clISt17integral_constantIbLb0EES11_EEDaSW_SX_EUlSW_E_NS1_11comp_targetILNS1_3genE2ELNS1_11target_archE906ELNS1_3gpuE6ELNS1_3repE0EEENS1_30default_config_static_selectorELNS0_4arch9wavefront6targetE1EEEvT1_
	.globl	_ZN7rocprim17ROCPRIM_400000_NS6detail17trampoline_kernelINS0_14default_configENS1_29reduce_by_key_config_selectorIxxN6thrust23THRUST_200600_302600_NS4plusIxEEEEZZNS1_33reduce_by_key_impl_wrapped_configILNS1_25lookback_scan_determinismE0ES3_S9_NS6_6detail15normal_iteratorINS6_10device_ptrIxEEEESG_SG_SG_PmS8_NS6_8equal_toIxEEEE10hipError_tPvRmT2_T3_mT4_T5_T6_T7_T8_P12ihipStream_tbENKUlT_T0_E_clISt17integral_constantIbLb0EES11_EEDaSW_SX_EUlSW_E_NS1_11comp_targetILNS1_3genE2ELNS1_11target_archE906ELNS1_3gpuE6ELNS1_3repE0EEENS1_30default_config_static_selectorELNS0_4arch9wavefront6targetE1EEEvT1_
	.p2align	8
	.type	_ZN7rocprim17ROCPRIM_400000_NS6detail17trampoline_kernelINS0_14default_configENS1_29reduce_by_key_config_selectorIxxN6thrust23THRUST_200600_302600_NS4plusIxEEEEZZNS1_33reduce_by_key_impl_wrapped_configILNS1_25lookback_scan_determinismE0ES3_S9_NS6_6detail15normal_iteratorINS6_10device_ptrIxEEEESG_SG_SG_PmS8_NS6_8equal_toIxEEEE10hipError_tPvRmT2_T3_mT4_T5_T6_T7_T8_P12ihipStream_tbENKUlT_T0_E_clISt17integral_constantIbLb0EES11_EEDaSW_SX_EUlSW_E_NS1_11comp_targetILNS1_3genE2ELNS1_11target_archE906ELNS1_3gpuE6ELNS1_3repE0EEENS1_30default_config_static_selectorELNS0_4arch9wavefront6targetE1EEEvT1_,@function
_ZN7rocprim17ROCPRIM_400000_NS6detail17trampoline_kernelINS0_14default_configENS1_29reduce_by_key_config_selectorIxxN6thrust23THRUST_200600_302600_NS4plusIxEEEEZZNS1_33reduce_by_key_impl_wrapped_configILNS1_25lookback_scan_determinismE0ES3_S9_NS6_6detail15normal_iteratorINS6_10device_ptrIxEEEESG_SG_SG_PmS8_NS6_8equal_toIxEEEE10hipError_tPvRmT2_T3_mT4_T5_T6_T7_T8_P12ihipStream_tbENKUlT_T0_E_clISt17integral_constantIbLb0EES11_EEDaSW_SX_EUlSW_E_NS1_11comp_targetILNS1_3genE2ELNS1_11target_archE906ELNS1_3gpuE6ELNS1_3repE0EEENS1_30default_config_static_selectorELNS0_4arch9wavefront6targetE1EEEvT1_: ; @_ZN7rocprim17ROCPRIM_400000_NS6detail17trampoline_kernelINS0_14default_configENS1_29reduce_by_key_config_selectorIxxN6thrust23THRUST_200600_302600_NS4plusIxEEEEZZNS1_33reduce_by_key_impl_wrapped_configILNS1_25lookback_scan_determinismE0ES3_S9_NS6_6detail15normal_iteratorINS6_10device_ptrIxEEEESG_SG_SG_PmS8_NS6_8equal_toIxEEEE10hipError_tPvRmT2_T3_mT4_T5_T6_T7_T8_P12ihipStream_tbENKUlT_T0_E_clISt17integral_constantIbLb0EES11_EEDaSW_SX_EUlSW_E_NS1_11comp_targetILNS1_3genE2ELNS1_11target_archE906ELNS1_3gpuE6ELNS1_3repE0EEENS1_30default_config_static_selectorELNS0_4arch9wavefront6targetE1EEEvT1_
; %bb.0:
	.section	.rodata,"a",@progbits
	.p2align	6, 0x0
	.amdhsa_kernel _ZN7rocprim17ROCPRIM_400000_NS6detail17trampoline_kernelINS0_14default_configENS1_29reduce_by_key_config_selectorIxxN6thrust23THRUST_200600_302600_NS4plusIxEEEEZZNS1_33reduce_by_key_impl_wrapped_configILNS1_25lookback_scan_determinismE0ES3_S9_NS6_6detail15normal_iteratorINS6_10device_ptrIxEEEESG_SG_SG_PmS8_NS6_8equal_toIxEEEE10hipError_tPvRmT2_T3_mT4_T5_T6_T7_T8_P12ihipStream_tbENKUlT_T0_E_clISt17integral_constantIbLb0EES11_EEDaSW_SX_EUlSW_E_NS1_11comp_targetILNS1_3genE2ELNS1_11target_archE906ELNS1_3gpuE6ELNS1_3repE0EEENS1_30default_config_static_selectorELNS0_4arch9wavefront6targetE1EEEvT1_
		.amdhsa_group_segment_fixed_size 0
		.amdhsa_private_segment_fixed_size 0
		.amdhsa_kernarg_size 136
		.amdhsa_user_sgpr_count 6
		.amdhsa_user_sgpr_private_segment_buffer 1
		.amdhsa_user_sgpr_dispatch_ptr 0
		.amdhsa_user_sgpr_queue_ptr 0
		.amdhsa_user_sgpr_kernarg_segment_ptr 1
		.amdhsa_user_sgpr_dispatch_id 0
		.amdhsa_user_sgpr_flat_scratch_init 0
		.amdhsa_user_sgpr_kernarg_preload_length 0
		.amdhsa_user_sgpr_kernarg_preload_offset 0
		.amdhsa_user_sgpr_private_segment_size 0
		.amdhsa_uses_dynamic_stack 0
		.amdhsa_system_sgpr_private_segment_wavefront_offset 0
		.amdhsa_system_sgpr_workgroup_id_x 1
		.amdhsa_system_sgpr_workgroup_id_y 0
		.amdhsa_system_sgpr_workgroup_id_z 0
		.amdhsa_system_sgpr_workgroup_info 0
		.amdhsa_system_vgpr_workitem_id 0
		.amdhsa_next_free_vgpr 1
		.amdhsa_next_free_sgpr 0
		.amdhsa_accum_offset 4
		.amdhsa_reserve_vcc 0
		.amdhsa_reserve_flat_scratch 0
		.amdhsa_float_round_mode_32 0
		.amdhsa_float_round_mode_16_64 0
		.amdhsa_float_denorm_mode_32 3
		.amdhsa_float_denorm_mode_16_64 3
		.amdhsa_dx10_clamp 1
		.amdhsa_ieee_mode 1
		.amdhsa_fp16_overflow 0
		.amdhsa_tg_split 0
		.amdhsa_exception_fp_ieee_invalid_op 0
		.amdhsa_exception_fp_denorm_src 0
		.amdhsa_exception_fp_ieee_div_zero 0
		.amdhsa_exception_fp_ieee_overflow 0
		.amdhsa_exception_fp_ieee_underflow 0
		.amdhsa_exception_fp_ieee_inexact 0
		.amdhsa_exception_int_div_zero 0
	.end_amdhsa_kernel
	.section	.text._ZN7rocprim17ROCPRIM_400000_NS6detail17trampoline_kernelINS0_14default_configENS1_29reduce_by_key_config_selectorIxxN6thrust23THRUST_200600_302600_NS4plusIxEEEEZZNS1_33reduce_by_key_impl_wrapped_configILNS1_25lookback_scan_determinismE0ES3_S9_NS6_6detail15normal_iteratorINS6_10device_ptrIxEEEESG_SG_SG_PmS8_NS6_8equal_toIxEEEE10hipError_tPvRmT2_T3_mT4_T5_T6_T7_T8_P12ihipStream_tbENKUlT_T0_E_clISt17integral_constantIbLb0EES11_EEDaSW_SX_EUlSW_E_NS1_11comp_targetILNS1_3genE2ELNS1_11target_archE906ELNS1_3gpuE6ELNS1_3repE0EEENS1_30default_config_static_selectorELNS0_4arch9wavefront6targetE1EEEvT1_,"axG",@progbits,_ZN7rocprim17ROCPRIM_400000_NS6detail17trampoline_kernelINS0_14default_configENS1_29reduce_by_key_config_selectorIxxN6thrust23THRUST_200600_302600_NS4plusIxEEEEZZNS1_33reduce_by_key_impl_wrapped_configILNS1_25lookback_scan_determinismE0ES3_S9_NS6_6detail15normal_iteratorINS6_10device_ptrIxEEEESG_SG_SG_PmS8_NS6_8equal_toIxEEEE10hipError_tPvRmT2_T3_mT4_T5_T6_T7_T8_P12ihipStream_tbENKUlT_T0_E_clISt17integral_constantIbLb0EES11_EEDaSW_SX_EUlSW_E_NS1_11comp_targetILNS1_3genE2ELNS1_11target_archE906ELNS1_3gpuE6ELNS1_3repE0EEENS1_30default_config_static_selectorELNS0_4arch9wavefront6targetE1EEEvT1_,comdat
.Lfunc_end473:
	.size	_ZN7rocprim17ROCPRIM_400000_NS6detail17trampoline_kernelINS0_14default_configENS1_29reduce_by_key_config_selectorIxxN6thrust23THRUST_200600_302600_NS4plusIxEEEEZZNS1_33reduce_by_key_impl_wrapped_configILNS1_25lookback_scan_determinismE0ES3_S9_NS6_6detail15normal_iteratorINS6_10device_ptrIxEEEESG_SG_SG_PmS8_NS6_8equal_toIxEEEE10hipError_tPvRmT2_T3_mT4_T5_T6_T7_T8_P12ihipStream_tbENKUlT_T0_E_clISt17integral_constantIbLb0EES11_EEDaSW_SX_EUlSW_E_NS1_11comp_targetILNS1_3genE2ELNS1_11target_archE906ELNS1_3gpuE6ELNS1_3repE0EEENS1_30default_config_static_selectorELNS0_4arch9wavefront6targetE1EEEvT1_, .Lfunc_end473-_ZN7rocprim17ROCPRIM_400000_NS6detail17trampoline_kernelINS0_14default_configENS1_29reduce_by_key_config_selectorIxxN6thrust23THRUST_200600_302600_NS4plusIxEEEEZZNS1_33reduce_by_key_impl_wrapped_configILNS1_25lookback_scan_determinismE0ES3_S9_NS6_6detail15normal_iteratorINS6_10device_ptrIxEEEESG_SG_SG_PmS8_NS6_8equal_toIxEEEE10hipError_tPvRmT2_T3_mT4_T5_T6_T7_T8_P12ihipStream_tbENKUlT_T0_E_clISt17integral_constantIbLb0EES11_EEDaSW_SX_EUlSW_E_NS1_11comp_targetILNS1_3genE2ELNS1_11target_archE906ELNS1_3gpuE6ELNS1_3repE0EEENS1_30default_config_static_selectorELNS0_4arch9wavefront6targetE1EEEvT1_
                                        ; -- End function
	.section	.AMDGPU.csdata,"",@progbits
; Kernel info:
; codeLenInByte = 0
; NumSgprs: 4
; NumVgprs: 0
; NumAgprs: 0
; TotalNumVgprs: 0
; ScratchSize: 0
; MemoryBound: 0
; FloatMode: 240
; IeeeMode: 1
; LDSByteSize: 0 bytes/workgroup (compile time only)
; SGPRBlocks: 0
; VGPRBlocks: 0
; NumSGPRsForWavesPerEU: 4
; NumVGPRsForWavesPerEU: 1
; AccumOffset: 4
; Occupancy: 8
; WaveLimiterHint : 0
; COMPUTE_PGM_RSRC2:SCRATCH_EN: 0
; COMPUTE_PGM_RSRC2:USER_SGPR: 6
; COMPUTE_PGM_RSRC2:TRAP_HANDLER: 0
; COMPUTE_PGM_RSRC2:TGID_X_EN: 1
; COMPUTE_PGM_RSRC2:TGID_Y_EN: 0
; COMPUTE_PGM_RSRC2:TGID_Z_EN: 0
; COMPUTE_PGM_RSRC2:TIDIG_COMP_CNT: 0
; COMPUTE_PGM_RSRC3_GFX90A:ACCUM_OFFSET: 0
; COMPUTE_PGM_RSRC3_GFX90A:TG_SPLIT: 0
	.section	.text._ZN7rocprim17ROCPRIM_400000_NS6detail17trampoline_kernelINS0_14default_configENS1_29reduce_by_key_config_selectorIxxN6thrust23THRUST_200600_302600_NS4plusIxEEEEZZNS1_33reduce_by_key_impl_wrapped_configILNS1_25lookback_scan_determinismE0ES3_S9_NS6_6detail15normal_iteratorINS6_10device_ptrIxEEEESG_SG_SG_PmS8_NS6_8equal_toIxEEEE10hipError_tPvRmT2_T3_mT4_T5_T6_T7_T8_P12ihipStream_tbENKUlT_T0_E_clISt17integral_constantIbLb0EES11_EEDaSW_SX_EUlSW_E_NS1_11comp_targetILNS1_3genE10ELNS1_11target_archE1201ELNS1_3gpuE5ELNS1_3repE0EEENS1_30default_config_static_selectorELNS0_4arch9wavefront6targetE1EEEvT1_,"axG",@progbits,_ZN7rocprim17ROCPRIM_400000_NS6detail17trampoline_kernelINS0_14default_configENS1_29reduce_by_key_config_selectorIxxN6thrust23THRUST_200600_302600_NS4plusIxEEEEZZNS1_33reduce_by_key_impl_wrapped_configILNS1_25lookback_scan_determinismE0ES3_S9_NS6_6detail15normal_iteratorINS6_10device_ptrIxEEEESG_SG_SG_PmS8_NS6_8equal_toIxEEEE10hipError_tPvRmT2_T3_mT4_T5_T6_T7_T8_P12ihipStream_tbENKUlT_T0_E_clISt17integral_constantIbLb0EES11_EEDaSW_SX_EUlSW_E_NS1_11comp_targetILNS1_3genE10ELNS1_11target_archE1201ELNS1_3gpuE5ELNS1_3repE0EEENS1_30default_config_static_selectorELNS0_4arch9wavefront6targetE1EEEvT1_,comdat
	.protected	_ZN7rocprim17ROCPRIM_400000_NS6detail17trampoline_kernelINS0_14default_configENS1_29reduce_by_key_config_selectorIxxN6thrust23THRUST_200600_302600_NS4plusIxEEEEZZNS1_33reduce_by_key_impl_wrapped_configILNS1_25lookback_scan_determinismE0ES3_S9_NS6_6detail15normal_iteratorINS6_10device_ptrIxEEEESG_SG_SG_PmS8_NS6_8equal_toIxEEEE10hipError_tPvRmT2_T3_mT4_T5_T6_T7_T8_P12ihipStream_tbENKUlT_T0_E_clISt17integral_constantIbLb0EES11_EEDaSW_SX_EUlSW_E_NS1_11comp_targetILNS1_3genE10ELNS1_11target_archE1201ELNS1_3gpuE5ELNS1_3repE0EEENS1_30default_config_static_selectorELNS0_4arch9wavefront6targetE1EEEvT1_ ; -- Begin function _ZN7rocprim17ROCPRIM_400000_NS6detail17trampoline_kernelINS0_14default_configENS1_29reduce_by_key_config_selectorIxxN6thrust23THRUST_200600_302600_NS4plusIxEEEEZZNS1_33reduce_by_key_impl_wrapped_configILNS1_25lookback_scan_determinismE0ES3_S9_NS6_6detail15normal_iteratorINS6_10device_ptrIxEEEESG_SG_SG_PmS8_NS6_8equal_toIxEEEE10hipError_tPvRmT2_T3_mT4_T5_T6_T7_T8_P12ihipStream_tbENKUlT_T0_E_clISt17integral_constantIbLb0EES11_EEDaSW_SX_EUlSW_E_NS1_11comp_targetILNS1_3genE10ELNS1_11target_archE1201ELNS1_3gpuE5ELNS1_3repE0EEENS1_30default_config_static_selectorELNS0_4arch9wavefront6targetE1EEEvT1_
	.globl	_ZN7rocprim17ROCPRIM_400000_NS6detail17trampoline_kernelINS0_14default_configENS1_29reduce_by_key_config_selectorIxxN6thrust23THRUST_200600_302600_NS4plusIxEEEEZZNS1_33reduce_by_key_impl_wrapped_configILNS1_25lookback_scan_determinismE0ES3_S9_NS6_6detail15normal_iteratorINS6_10device_ptrIxEEEESG_SG_SG_PmS8_NS6_8equal_toIxEEEE10hipError_tPvRmT2_T3_mT4_T5_T6_T7_T8_P12ihipStream_tbENKUlT_T0_E_clISt17integral_constantIbLb0EES11_EEDaSW_SX_EUlSW_E_NS1_11comp_targetILNS1_3genE10ELNS1_11target_archE1201ELNS1_3gpuE5ELNS1_3repE0EEENS1_30default_config_static_selectorELNS0_4arch9wavefront6targetE1EEEvT1_
	.p2align	8
	.type	_ZN7rocprim17ROCPRIM_400000_NS6detail17trampoline_kernelINS0_14default_configENS1_29reduce_by_key_config_selectorIxxN6thrust23THRUST_200600_302600_NS4plusIxEEEEZZNS1_33reduce_by_key_impl_wrapped_configILNS1_25lookback_scan_determinismE0ES3_S9_NS6_6detail15normal_iteratorINS6_10device_ptrIxEEEESG_SG_SG_PmS8_NS6_8equal_toIxEEEE10hipError_tPvRmT2_T3_mT4_T5_T6_T7_T8_P12ihipStream_tbENKUlT_T0_E_clISt17integral_constantIbLb0EES11_EEDaSW_SX_EUlSW_E_NS1_11comp_targetILNS1_3genE10ELNS1_11target_archE1201ELNS1_3gpuE5ELNS1_3repE0EEENS1_30default_config_static_selectorELNS0_4arch9wavefront6targetE1EEEvT1_,@function
_ZN7rocprim17ROCPRIM_400000_NS6detail17trampoline_kernelINS0_14default_configENS1_29reduce_by_key_config_selectorIxxN6thrust23THRUST_200600_302600_NS4plusIxEEEEZZNS1_33reduce_by_key_impl_wrapped_configILNS1_25lookback_scan_determinismE0ES3_S9_NS6_6detail15normal_iteratorINS6_10device_ptrIxEEEESG_SG_SG_PmS8_NS6_8equal_toIxEEEE10hipError_tPvRmT2_T3_mT4_T5_T6_T7_T8_P12ihipStream_tbENKUlT_T0_E_clISt17integral_constantIbLb0EES11_EEDaSW_SX_EUlSW_E_NS1_11comp_targetILNS1_3genE10ELNS1_11target_archE1201ELNS1_3gpuE5ELNS1_3repE0EEENS1_30default_config_static_selectorELNS0_4arch9wavefront6targetE1EEEvT1_: ; @_ZN7rocprim17ROCPRIM_400000_NS6detail17trampoline_kernelINS0_14default_configENS1_29reduce_by_key_config_selectorIxxN6thrust23THRUST_200600_302600_NS4plusIxEEEEZZNS1_33reduce_by_key_impl_wrapped_configILNS1_25lookback_scan_determinismE0ES3_S9_NS6_6detail15normal_iteratorINS6_10device_ptrIxEEEESG_SG_SG_PmS8_NS6_8equal_toIxEEEE10hipError_tPvRmT2_T3_mT4_T5_T6_T7_T8_P12ihipStream_tbENKUlT_T0_E_clISt17integral_constantIbLb0EES11_EEDaSW_SX_EUlSW_E_NS1_11comp_targetILNS1_3genE10ELNS1_11target_archE1201ELNS1_3gpuE5ELNS1_3repE0EEENS1_30default_config_static_selectorELNS0_4arch9wavefront6targetE1EEEvT1_
; %bb.0:
	.section	.rodata,"a",@progbits
	.p2align	6, 0x0
	.amdhsa_kernel _ZN7rocprim17ROCPRIM_400000_NS6detail17trampoline_kernelINS0_14default_configENS1_29reduce_by_key_config_selectorIxxN6thrust23THRUST_200600_302600_NS4plusIxEEEEZZNS1_33reduce_by_key_impl_wrapped_configILNS1_25lookback_scan_determinismE0ES3_S9_NS6_6detail15normal_iteratorINS6_10device_ptrIxEEEESG_SG_SG_PmS8_NS6_8equal_toIxEEEE10hipError_tPvRmT2_T3_mT4_T5_T6_T7_T8_P12ihipStream_tbENKUlT_T0_E_clISt17integral_constantIbLb0EES11_EEDaSW_SX_EUlSW_E_NS1_11comp_targetILNS1_3genE10ELNS1_11target_archE1201ELNS1_3gpuE5ELNS1_3repE0EEENS1_30default_config_static_selectorELNS0_4arch9wavefront6targetE1EEEvT1_
		.amdhsa_group_segment_fixed_size 0
		.amdhsa_private_segment_fixed_size 0
		.amdhsa_kernarg_size 136
		.amdhsa_user_sgpr_count 6
		.amdhsa_user_sgpr_private_segment_buffer 1
		.amdhsa_user_sgpr_dispatch_ptr 0
		.amdhsa_user_sgpr_queue_ptr 0
		.amdhsa_user_sgpr_kernarg_segment_ptr 1
		.amdhsa_user_sgpr_dispatch_id 0
		.amdhsa_user_sgpr_flat_scratch_init 0
		.amdhsa_user_sgpr_kernarg_preload_length 0
		.amdhsa_user_sgpr_kernarg_preload_offset 0
		.amdhsa_user_sgpr_private_segment_size 0
		.amdhsa_uses_dynamic_stack 0
		.amdhsa_system_sgpr_private_segment_wavefront_offset 0
		.amdhsa_system_sgpr_workgroup_id_x 1
		.amdhsa_system_sgpr_workgroup_id_y 0
		.amdhsa_system_sgpr_workgroup_id_z 0
		.amdhsa_system_sgpr_workgroup_info 0
		.amdhsa_system_vgpr_workitem_id 0
		.amdhsa_next_free_vgpr 1
		.amdhsa_next_free_sgpr 0
		.amdhsa_accum_offset 4
		.amdhsa_reserve_vcc 0
		.amdhsa_reserve_flat_scratch 0
		.amdhsa_float_round_mode_32 0
		.amdhsa_float_round_mode_16_64 0
		.amdhsa_float_denorm_mode_32 3
		.amdhsa_float_denorm_mode_16_64 3
		.amdhsa_dx10_clamp 1
		.amdhsa_ieee_mode 1
		.amdhsa_fp16_overflow 0
		.amdhsa_tg_split 0
		.amdhsa_exception_fp_ieee_invalid_op 0
		.amdhsa_exception_fp_denorm_src 0
		.amdhsa_exception_fp_ieee_div_zero 0
		.amdhsa_exception_fp_ieee_overflow 0
		.amdhsa_exception_fp_ieee_underflow 0
		.amdhsa_exception_fp_ieee_inexact 0
		.amdhsa_exception_int_div_zero 0
	.end_amdhsa_kernel
	.section	.text._ZN7rocprim17ROCPRIM_400000_NS6detail17trampoline_kernelINS0_14default_configENS1_29reduce_by_key_config_selectorIxxN6thrust23THRUST_200600_302600_NS4plusIxEEEEZZNS1_33reduce_by_key_impl_wrapped_configILNS1_25lookback_scan_determinismE0ES3_S9_NS6_6detail15normal_iteratorINS6_10device_ptrIxEEEESG_SG_SG_PmS8_NS6_8equal_toIxEEEE10hipError_tPvRmT2_T3_mT4_T5_T6_T7_T8_P12ihipStream_tbENKUlT_T0_E_clISt17integral_constantIbLb0EES11_EEDaSW_SX_EUlSW_E_NS1_11comp_targetILNS1_3genE10ELNS1_11target_archE1201ELNS1_3gpuE5ELNS1_3repE0EEENS1_30default_config_static_selectorELNS0_4arch9wavefront6targetE1EEEvT1_,"axG",@progbits,_ZN7rocprim17ROCPRIM_400000_NS6detail17trampoline_kernelINS0_14default_configENS1_29reduce_by_key_config_selectorIxxN6thrust23THRUST_200600_302600_NS4plusIxEEEEZZNS1_33reduce_by_key_impl_wrapped_configILNS1_25lookback_scan_determinismE0ES3_S9_NS6_6detail15normal_iteratorINS6_10device_ptrIxEEEESG_SG_SG_PmS8_NS6_8equal_toIxEEEE10hipError_tPvRmT2_T3_mT4_T5_T6_T7_T8_P12ihipStream_tbENKUlT_T0_E_clISt17integral_constantIbLb0EES11_EEDaSW_SX_EUlSW_E_NS1_11comp_targetILNS1_3genE10ELNS1_11target_archE1201ELNS1_3gpuE5ELNS1_3repE0EEENS1_30default_config_static_selectorELNS0_4arch9wavefront6targetE1EEEvT1_,comdat
.Lfunc_end474:
	.size	_ZN7rocprim17ROCPRIM_400000_NS6detail17trampoline_kernelINS0_14default_configENS1_29reduce_by_key_config_selectorIxxN6thrust23THRUST_200600_302600_NS4plusIxEEEEZZNS1_33reduce_by_key_impl_wrapped_configILNS1_25lookback_scan_determinismE0ES3_S9_NS6_6detail15normal_iteratorINS6_10device_ptrIxEEEESG_SG_SG_PmS8_NS6_8equal_toIxEEEE10hipError_tPvRmT2_T3_mT4_T5_T6_T7_T8_P12ihipStream_tbENKUlT_T0_E_clISt17integral_constantIbLb0EES11_EEDaSW_SX_EUlSW_E_NS1_11comp_targetILNS1_3genE10ELNS1_11target_archE1201ELNS1_3gpuE5ELNS1_3repE0EEENS1_30default_config_static_selectorELNS0_4arch9wavefront6targetE1EEEvT1_, .Lfunc_end474-_ZN7rocprim17ROCPRIM_400000_NS6detail17trampoline_kernelINS0_14default_configENS1_29reduce_by_key_config_selectorIxxN6thrust23THRUST_200600_302600_NS4plusIxEEEEZZNS1_33reduce_by_key_impl_wrapped_configILNS1_25lookback_scan_determinismE0ES3_S9_NS6_6detail15normal_iteratorINS6_10device_ptrIxEEEESG_SG_SG_PmS8_NS6_8equal_toIxEEEE10hipError_tPvRmT2_T3_mT4_T5_T6_T7_T8_P12ihipStream_tbENKUlT_T0_E_clISt17integral_constantIbLb0EES11_EEDaSW_SX_EUlSW_E_NS1_11comp_targetILNS1_3genE10ELNS1_11target_archE1201ELNS1_3gpuE5ELNS1_3repE0EEENS1_30default_config_static_selectorELNS0_4arch9wavefront6targetE1EEEvT1_
                                        ; -- End function
	.section	.AMDGPU.csdata,"",@progbits
; Kernel info:
; codeLenInByte = 0
; NumSgprs: 4
; NumVgprs: 0
; NumAgprs: 0
; TotalNumVgprs: 0
; ScratchSize: 0
; MemoryBound: 0
; FloatMode: 240
; IeeeMode: 1
; LDSByteSize: 0 bytes/workgroup (compile time only)
; SGPRBlocks: 0
; VGPRBlocks: 0
; NumSGPRsForWavesPerEU: 4
; NumVGPRsForWavesPerEU: 1
; AccumOffset: 4
; Occupancy: 8
; WaveLimiterHint : 0
; COMPUTE_PGM_RSRC2:SCRATCH_EN: 0
; COMPUTE_PGM_RSRC2:USER_SGPR: 6
; COMPUTE_PGM_RSRC2:TRAP_HANDLER: 0
; COMPUTE_PGM_RSRC2:TGID_X_EN: 1
; COMPUTE_PGM_RSRC2:TGID_Y_EN: 0
; COMPUTE_PGM_RSRC2:TGID_Z_EN: 0
; COMPUTE_PGM_RSRC2:TIDIG_COMP_CNT: 0
; COMPUTE_PGM_RSRC3_GFX90A:ACCUM_OFFSET: 0
; COMPUTE_PGM_RSRC3_GFX90A:TG_SPLIT: 0
	.section	.text._ZN7rocprim17ROCPRIM_400000_NS6detail17trampoline_kernelINS0_14default_configENS1_29reduce_by_key_config_selectorIxxN6thrust23THRUST_200600_302600_NS4plusIxEEEEZZNS1_33reduce_by_key_impl_wrapped_configILNS1_25lookback_scan_determinismE0ES3_S9_NS6_6detail15normal_iteratorINS6_10device_ptrIxEEEESG_SG_SG_PmS8_NS6_8equal_toIxEEEE10hipError_tPvRmT2_T3_mT4_T5_T6_T7_T8_P12ihipStream_tbENKUlT_T0_E_clISt17integral_constantIbLb0EES11_EEDaSW_SX_EUlSW_E_NS1_11comp_targetILNS1_3genE10ELNS1_11target_archE1200ELNS1_3gpuE4ELNS1_3repE0EEENS1_30default_config_static_selectorELNS0_4arch9wavefront6targetE1EEEvT1_,"axG",@progbits,_ZN7rocprim17ROCPRIM_400000_NS6detail17trampoline_kernelINS0_14default_configENS1_29reduce_by_key_config_selectorIxxN6thrust23THRUST_200600_302600_NS4plusIxEEEEZZNS1_33reduce_by_key_impl_wrapped_configILNS1_25lookback_scan_determinismE0ES3_S9_NS6_6detail15normal_iteratorINS6_10device_ptrIxEEEESG_SG_SG_PmS8_NS6_8equal_toIxEEEE10hipError_tPvRmT2_T3_mT4_T5_T6_T7_T8_P12ihipStream_tbENKUlT_T0_E_clISt17integral_constantIbLb0EES11_EEDaSW_SX_EUlSW_E_NS1_11comp_targetILNS1_3genE10ELNS1_11target_archE1200ELNS1_3gpuE4ELNS1_3repE0EEENS1_30default_config_static_selectorELNS0_4arch9wavefront6targetE1EEEvT1_,comdat
	.protected	_ZN7rocprim17ROCPRIM_400000_NS6detail17trampoline_kernelINS0_14default_configENS1_29reduce_by_key_config_selectorIxxN6thrust23THRUST_200600_302600_NS4plusIxEEEEZZNS1_33reduce_by_key_impl_wrapped_configILNS1_25lookback_scan_determinismE0ES3_S9_NS6_6detail15normal_iteratorINS6_10device_ptrIxEEEESG_SG_SG_PmS8_NS6_8equal_toIxEEEE10hipError_tPvRmT2_T3_mT4_T5_T6_T7_T8_P12ihipStream_tbENKUlT_T0_E_clISt17integral_constantIbLb0EES11_EEDaSW_SX_EUlSW_E_NS1_11comp_targetILNS1_3genE10ELNS1_11target_archE1200ELNS1_3gpuE4ELNS1_3repE0EEENS1_30default_config_static_selectorELNS0_4arch9wavefront6targetE1EEEvT1_ ; -- Begin function _ZN7rocprim17ROCPRIM_400000_NS6detail17trampoline_kernelINS0_14default_configENS1_29reduce_by_key_config_selectorIxxN6thrust23THRUST_200600_302600_NS4plusIxEEEEZZNS1_33reduce_by_key_impl_wrapped_configILNS1_25lookback_scan_determinismE0ES3_S9_NS6_6detail15normal_iteratorINS6_10device_ptrIxEEEESG_SG_SG_PmS8_NS6_8equal_toIxEEEE10hipError_tPvRmT2_T3_mT4_T5_T6_T7_T8_P12ihipStream_tbENKUlT_T0_E_clISt17integral_constantIbLb0EES11_EEDaSW_SX_EUlSW_E_NS1_11comp_targetILNS1_3genE10ELNS1_11target_archE1200ELNS1_3gpuE4ELNS1_3repE0EEENS1_30default_config_static_selectorELNS0_4arch9wavefront6targetE1EEEvT1_
	.globl	_ZN7rocprim17ROCPRIM_400000_NS6detail17trampoline_kernelINS0_14default_configENS1_29reduce_by_key_config_selectorIxxN6thrust23THRUST_200600_302600_NS4plusIxEEEEZZNS1_33reduce_by_key_impl_wrapped_configILNS1_25lookback_scan_determinismE0ES3_S9_NS6_6detail15normal_iteratorINS6_10device_ptrIxEEEESG_SG_SG_PmS8_NS6_8equal_toIxEEEE10hipError_tPvRmT2_T3_mT4_T5_T6_T7_T8_P12ihipStream_tbENKUlT_T0_E_clISt17integral_constantIbLb0EES11_EEDaSW_SX_EUlSW_E_NS1_11comp_targetILNS1_3genE10ELNS1_11target_archE1200ELNS1_3gpuE4ELNS1_3repE0EEENS1_30default_config_static_selectorELNS0_4arch9wavefront6targetE1EEEvT1_
	.p2align	8
	.type	_ZN7rocprim17ROCPRIM_400000_NS6detail17trampoline_kernelINS0_14default_configENS1_29reduce_by_key_config_selectorIxxN6thrust23THRUST_200600_302600_NS4plusIxEEEEZZNS1_33reduce_by_key_impl_wrapped_configILNS1_25lookback_scan_determinismE0ES3_S9_NS6_6detail15normal_iteratorINS6_10device_ptrIxEEEESG_SG_SG_PmS8_NS6_8equal_toIxEEEE10hipError_tPvRmT2_T3_mT4_T5_T6_T7_T8_P12ihipStream_tbENKUlT_T0_E_clISt17integral_constantIbLb0EES11_EEDaSW_SX_EUlSW_E_NS1_11comp_targetILNS1_3genE10ELNS1_11target_archE1200ELNS1_3gpuE4ELNS1_3repE0EEENS1_30default_config_static_selectorELNS0_4arch9wavefront6targetE1EEEvT1_,@function
_ZN7rocprim17ROCPRIM_400000_NS6detail17trampoline_kernelINS0_14default_configENS1_29reduce_by_key_config_selectorIxxN6thrust23THRUST_200600_302600_NS4plusIxEEEEZZNS1_33reduce_by_key_impl_wrapped_configILNS1_25lookback_scan_determinismE0ES3_S9_NS6_6detail15normal_iteratorINS6_10device_ptrIxEEEESG_SG_SG_PmS8_NS6_8equal_toIxEEEE10hipError_tPvRmT2_T3_mT4_T5_T6_T7_T8_P12ihipStream_tbENKUlT_T0_E_clISt17integral_constantIbLb0EES11_EEDaSW_SX_EUlSW_E_NS1_11comp_targetILNS1_3genE10ELNS1_11target_archE1200ELNS1_3gpuE4ELNS1_3repE0EEENS1_30default_config_static_selectorELNS0_4arch9wavefront6targetE1EEEvT1_: ; @_ZN7rocprim17ROCPRIM_400000_NS6detail17trampoline_kernelINS0_14default_configENS1_29reduce_by_key_config_selectorIxxN6thrust23THRUST_200600_302600_NS4plusIxEEEEZZNS1_33reduce_by_key_impl_wrapped_configILNS1_25lookback_scan_determinismE0ES3_S9_NS6_6detail15normal_iteratorINS6_10device_ptrIxEEEESG_SG_SG_PmS8_NS6_8equal_toIxEEEE10hipError_tPvRmT2_T3_mT4_T5_T6_T7_T8_P12ihipStream_tbENKUlT_T0_E_clISt17integral_constantIbLb0EES11_EEDaSW_SX_EUlSW_E_NS1_11comp_targetILNS1_3genE10ELNS1_11target_archE1200ELNS1_3gpuE4ELNS1_3repE0EEENS1_30default_config_static_selectorELNS0_4arch9wavefront6targetE1EEEvT1_
; %bb.0:
	.section	.rodata,"a",@progbits
	.p2align	6, 0x0
	.amdhsa_kernel _ZN7rocprim17ROCPRIM_400000_NS6detail17trampoline_kernelINS0_14default_configENS1_29reduce_by_key_config_selectorIxxN6thrust23THRUST_200600_302600_NS4plusIxEEEEZZNS1_33reduce_by_key_impl_wrapped_configILNS1_25lookback_scan_determinismE0ES3_S9_NS6_6detail15normal_iteratorINS6_10device_ptrIxEEEESG_SG_SG_PmS8_NS6_8equal_toIxEEEE10hipError_tPvRmT2_T3_mT4_T5_T6_T7_T8_P12ihipStream_tbENKUlT_T0_E_clISt17integral_constantIbLb0EES11_EEDaSW_SX_EUlSW_E_NS1_11comp_targetILNS1_3genE10ELNS1_11target_archE1200ELNS1_3gpuE4ELNS1_3repE0EEENS1_30default_config_static_selectorELNS0_4arch9wavefront6targetE1EEEvT1_
		.amdhsa_group_segment_fixed_size 0
		.amdhsa_private_segment_fixed_size 0
		.amdhsa_kernarg_size 136
		.amdhsa_user_sgpr_count 6
		.amdhsa_user_sgpr_private_segment_buffer 1
		.amdhsa_user_sgpr_dispatch_ptr 0
		.amdhsa_user_sgpr_queue_ptr 0
		.amdhsa_user_sgpr_kernarg_segment_ptr 1
		.amdhsa_user_sgpr_dispatch_id 0
		.amdhsa_user_sgpr_flat_scratch_init 0
		.amdhsa_user_sgpr_kernarg_preload_length 0
		.amdhsa_user_sgpr_kernarg_preload_offset 0
		.amdhsa_user_sgpr_private_segment_size 0
		.amdhsa_uses_dynamic_stack 0
		.amdhsa_system_sgpr_private_segment_wavefront_offset 0
		.amdhsa_system_sgpr_workgroup_id_x 1
		.amdhsa_system_sgpr_workgroup_id_y 0
		.amdhsa_system_sgpr_workgroup_id_z 0
		.amdhsa_system_sgpr_workgroup_info 0
		.amdhsa_system_vgpr_workitem_id 0
		.amdhsa_next_free_vgpr 1
		.amdhsa_next_free_sgpr 0
		.amdhsa_accum_offset 4
		.amdhsa_reserve_vcc 0
		.amdhsa_reserve_flat_scratch 0
		.amdhsa_float_round_mode_32 0
		.amdhsa_float_round_mode_16_64 0
		.amdhsa_float_denorm_mode_32 3
		.amdhsa_float_denorm_mode_16_64 3
		.amdhsa_dx10_clamp 1
		.amdhsa_ieee_mode 1
		.amdhsa_fp16_overflow 0
		.amdhsa_tg_split 0
		.amdhsa_exception_fp_ieee_invalid_op 0
		.amdhsa_exception_fp_denorm_src 0
		.amdhsa_exception_fp_ieee_div_zero 0
		.amdhsa_exception_fp_ieee_overflow 0
		.amdhsa_exception_fp_ieee_underflow 0
		.amdhsa_exception_fp_ieee_inexact 0
		.amdhsa_exception_int_div_zero 0
	.end_amdhsa_kernel
	.section	.text._ZN7rocprim17ROCPRIM_400000_NS6detail17trampoline_kernelINS0_14default_configENS1_29reduce_by_key_config_selectorIxxN6thrust23THRUST_200600_302600_NS4plusIxEEEEZZNS1_33reduce_by_key_impl_wrapped_configILNS1_25lookback_scan_determinismE0ES3_S9_NS6_6detail15normal_iteratorINS6_10device_ptrIxEEEESG_SG_SG_PmS8_NS6_8equal_toIxEEEE10hipError_tPvRmT2_T3_mT4_T5_T6_T7_T8_P12ihipStream_tbENKUlT_T0_E_clISt17integral_constantIbLb0EES11_EEDaSW_SX_EUlSW_E_NS1_11comp_targetILNS1_3genE10ELNS1_11target_archE1200ELNS1_3gpuE4ELNS1_3repE0EEENS1_30default_config_static_selectorELNS0_4arch9wavefront6targetE1EEEvT1_,"axG",@progbits,_ZN7rocprim17ROCPRIM_400000_NS6detail17trampoline_kernelINS0_14default_configENS1_29reduce_by_key_config_selectorIxxN6thrust23THRUST_200600_302600_NS4plusIxEEEEZZNS1_33reduce_by_key_impl_wrapped_configILNS1_25lookback_scan_determinismE0ES3_S9_NS6_6detail15normal_iteratorINS6_10device_ptrIxEEEESG_SG_SG_PmS8_NS6_8equal_toIxEEEE10hipError_tPvRmT2_T3_mT4_T5_T6_T7_T8_P12ihipStream_tbENKUlT_T0_E_clISt17integral_constantIbLb0EES11_EEDaSW_SX_EUlSW_E_NS1_11comp_targetILNS1_3genE10ELNS1_11target_archE1200ELNS1_3gpuE4ELNS1_3repE0EEENS1_30default_config_static_selectorELNS0_4arch9wavefront6targetE1EEEvT1_,comdat
.Lfunc_end475:
	.size	_ZN7rocprim17ROCPRIM_400000_NS6detail17trampoline_kernelINS0_14default_configENS1_29reduce_by_key_config_selectorIxxN6thrust23THRUST_200600_302600_NS4plusIxEEEEZZNS1_33reduce_by_key_impl_wrapped_configILNS1_25lookback_scan_determinismE0ES3_S9_NS6_6detail15normal_iteratorINS6_10device_ptrIxEEEESG_SG_SG_PmS8_NS6_8equal_toIxEEEE10hipError_tPvRmT2_T3_mT4_T5_T6_T7_T8_P12ihipStream_tbENKUlT_T0_E_clISt17integral_constantIbLb0EES11_EEDaSW_SX_EUlSW_E_NS1_11comp_targetILNS1_3genE10ELNS1_11target_archE1200ELNS1_3gpuE4ELNS1_3repE0EEENS1_30default_config_static_selectorELNS0_4arch9wavefront6targetE1EEEvT1_, .Lfunc_end475-_ZN7rocprim17ROCPRIM_400000_NS6detail17trampoline_kernelINS0_14default_configENS1_29reduce_by_key_config_selectorIxxN6thrust23THRUST_200600_302600_NS4plusIxEEEEZZNS1_33reduce_by_key_impl_wrapped_configILNS1_25lookback_scan_determinismE0ES3_S9_NS6_6detail15normal_iteratorINS6_10device_ptrIxEEEESG_SG_SG_PmS8_NS6_8equal_toIxEEEE10hipError_tPvRmT2_T3_mT4_T5_T6_T7_T8_P12ihipStream_tbENKUlT_T0_E_clISt17integral_constantIbLb0EES11_EEDaSW_SX_EUlSW_E_NS1_11comp_targetILNS1_3genE10ELNS1_11target_archE1200ELNS1_3gpuE4ELNS1_3repE0EEENS1_30default_config_static_selectorELNS0_4arch9wavefront6targetE1EEEvT1_
                                        ; -- End function
	.section	.AMDGPU.csdata,"",@progbits
; Kernel info:
; codeLenInByte = 0
; NumSgprs: 4
; NumVgprs: 0
; NumAgprs: 0
; TotalNumVgprs: 0
; ScratchSize: 0
; MemoryBound: 0
; FloatMode: 240
; IeeeMode: 1
; LDSByteSize: 0 bytes/workgroup (compile time only)
; SGPRBlocks: 0
; VGPRBlocks: 0
; NumSGPRsForWavesPerEU: 4
; NumVGPRsForWavesPerEU: 1
; AccumOffset: 4
; Occupancy: 8
; WaveLimiterHint : 0
; COMPUTE_PGM_RSRC2:SCRATCH_EN: 0
; COMPUTE_PGM_RSRC2:USER_SGPR: 6
; COMPUTE_PGM_RSRC2:TRAP_HANDLER: 0
; COMPUTE_PGM_RSRC2:TGID_X_EN: 1
; COMPUTE_PGM_RSRC2:TGID_Y_EN: 0
; COMPUTE_PGM_RSRC2:TGID_Z_EN: 0
; COMPUTE_PGM_RSRC2:TIDIG_COMP_CNT: 0
; COMPUTE_PGM_RSRC3_GFX90A:ACCUM_OFFSET: 0
; COMPUTE_PGM_RSRC3_GFX90A:TG_SPLIT: 0
	.section	.text._ZN7rocprim17ROCPRIM_400000_NS6detail17trampoline_kernelINS0_14default_configENS1_29reduce_by_key_config_selectorIxxN6thrust23THRUST_200600_302600_NS4plusIxEEEEZZNS1_33reduce_by_key_impl_wrapped_configILNS1_25lookback_scan_determinismE0ES3_S9_NS6_6detail15normal_iteratorINS6_10device_ptrIxEEEESG_SG_SG_PmS8_NS6_8equal_toIxEEEE10hipError_tPvRmT2_T3_mT4_T5_T6_T7_T8_P12ihipStream_tbENKUlT_T0_E_clISt17integral_constantIbLb0EES11_EEDaSW_SX_EUlSW_E_NS1_11comp_targetILNS1_3genE9ELNS1_11target_archE1100ELNS1_3gpuE3ELNS1_3repE0EEENS1_30default_config_static_selectorELNS0_4arch9wavefront6targetE1EEEvT1_,"axG",@progbits,_ZN7rocprim17ROCPRIM_400000_NS6detail17trampoline_kernelINS0_14default_configENS1_29reduce_by_key_config_selectorIxxN6thrust23THRUST_200600_302600_NS4plusIxEEEEZZNS1_33reduce_by_key_impl_wrapped_configILNS1_25lookback_scan_determinismE0ES3_S9_NS6_6detail15normal_iteratorINS6_10device_ptrIxEEEESG_SG_SG_PmS8_NS6_8equal_toIxEEEE10hipError_tPvRmT2_T3_mT4_T5_T6_T7_T8_P12ihipStream_tbENKUlT_T0_E_clISt17integral_constantIbLb0EES11_EEDaSW_SX_EUlSW_E_NS1_11comp_targetILNS1_3genE9ELNS1_11target_archE1100ELNS1_3gpuE3ELNS1_3repE0EEENS1_30default_config_static_selectorELNS0_4arch9wavefront6targetE1EEEvT1_,comdat
	.protected	_ZN7rocprim17ROCPRIM_400000_NS6detail17trampoline_kernelINS0_14default_configENS1_29reduce_by_key_config_selectorIxxN6thrust23THRUST_200600_302600_NS4plusIxEEEEZZNS1_33reduce_by_key_impl_wrapped_configILNS1_25lookback_scan_determinismE0ES3_S9_NS6_6detail15normal_iteratorINS6_10device_ptrIxEEEESG_SG_SG_PmS8_NS6_8equal_toIxEEEE10hipError_tPvRmT2_T3_mT4_T5_T6_T7_T8_P12ihipStream_tbENKUlT_T0_E_clISt17integral_constantIbLb0EES11_EEDaSW_SX_EUlSW_E_NS1_11comp_targetILNS1_3genE9ELNS1_11target_archE1100ELNS1_3gpuE3ELNS1_3repE0EEENS1_30default_config_static_selectorELNS0_4arch9wavefront6targetE1EEEvT1_ ; -- Begin function _ZN7rocprim17ROCPRIM_400000_NS6detail17trampoline_kernelINS0_14default_configENS1_29reduce_by_key_config_selectorIxxN6thrust23THRUST_200600_302600_NS4plusIxEEEEZZNS1_33reduce_by_key_impl_wrapped_configILNS1_25lookback_scan_determinismE0ES3_S9_NS6_6detail15normal_iteratorINS6_10device_ptrIxEEEESG_SG_SG_PmS8_NS6_8equal_toIxEEEE10hipError_tPvRmT2_T3_mT4_T5_T6_T7_T8_P12ihipStream_tbENKUlT_T0_E_clISt17integral_constantIbLb0EES11_EEDaSW_SX_EUlSW_E_NS1_11comp_targetILNS1_3genE9ELNS1_11target_archE1100ELNS1_3gpuE3ELNS1_3repE0EEENS1_30default_config_static_selectorELNS0_4arch9wavefront6targetE1EEEvT1_
	.globl	_ZN7rocprim17ROCPRIM_400000_NS6detail17trampoline_kernelINS0_14default_configENS1_29reduce_by_key_config_selectorIxxN6thrust23THRUST_200600_302600_NS4plusIxEEEEZZNS1_33reduce_by_key_impl_wrapped_configILNS1_25lookback_scan_determinismE0ES3_S9_NS6_6detail15normal_iteratorINS6_10device_ptrIxEEEESG_SG_SG_PmS8_NS6_8equal_toIxEEEE10hipError_tPvRmT2_T3_mT4_T5_T6_T7_T8_P12ihipStream_tbENKUlT_T0_E_clISt17integral_constantIbLb0EES11_EEDaSW_SX_EUlSW_E_NS1_11comp_targetILNS1_3genE9ELNS1_11target_archE1100ELNS1_3gpuE3ELNS1_3repE0EEENS1_30default_config_static_selectorELNS0_4arch9wavefront6targetE1EEEvT1_
	.p2align	8
	.type	_ZN7rocprim17ROCPRIM_400000_NS6detail17trampoline_kernelINS0_14default_configENS1_29reduce_by_key_config_selectorIxxN6thrust23THRUST_200600_302600_NS4plusIxEEEEZZNS1_33reduce_by_key_impl_wrapped_configILNS1_25lookback_scan_determinismE0ES3_S9_NS6_6detail15normal_iteratorINS6_10device_ptrIxEEEESG_SG_SG_PmS8_NS6_8equal_toIxEEEE10hipError_tPvRmT2_T3_mT4_T5_T6_T7_T8_P12ihipStream_tbENKUlT_T0_E_clISt17integral_constantIbLb0EES11_EEDaSW_SX_EUlSW_E_NS1_11comp_targetILNS1_3genE9ELNS1_11target_archE1100ELNS1_3gpuE3ELNS1_3repE0EEENS1_30default_config_static_selectorELNS0_4arch9wavefront6targetE1EEEvT1_,@function
_ZN7rocprim17ROCPRIM_400000_NS6detail17trampoline_kernelINS0_14default_configENS1_29reduce_by_key_config_selectorIxxN6thrust23THRUST_200600_302600_NS4plusIxEEEEZZNS1_33reduce_by_key_impl_wrapped_configILNS1_25lookback_scan_determinismE0ES3_S9_NS6_6detail15normal_iteratorINS6_10device_ptrIxEEEESG_SG_SG_PmS8_NS6_8equal_toIxEEEE10hipError_tPvRmT2_T3_mT4_T5_T6_T7_T8_P12ihipStream_tbENKUlT_T0_E_clISt17integral_constantIbLb0EES11_EEDaSW_SX_EUlSW_E_NS1_11comp_targetILNS1_3genE9ELNS1_11target_archE1100ELNS1_3gpuE3ELNS1_3repE0EEENS1_30default_config_static_selectorELNS0_4arch9wavefront6targetE1EEEvT1_: ; @_ZN7rocprim17ROCPRIM_400000_NS6detail17trampoline_kernelINS0_14default_configENS1_29reduce_by_key_config_selectorIxxN6thrust23THRUST_200600_302600_NS4plusIxEEEEZZNS1_33reduce_by_key_impl_wrapped_configILNS1_25lookback_scan_determinismE0ES3_S9_NS6_6detail15normal_iteratorINS6_10device_ptrIxEEEESG_SG_SG_PmS8_NS6_8equal_toIxEEEE10hipError_tPvRmT2_T3_mT4_T5_T6_T7_T8_P12ihipStream_tbENKUlT_T0_E_clISt17integral_constantIbLb0EES11_EEDaSW_SX_EUlSW_E_NS1_11comp_targetILNS1_3genE9ELNS1_11target_archE1100ELNS1_3gpuE3ELNS1_3repE0EEENS1_30default_config_static_selectorELNS0_4arch9wavefront6targetE1EEEvT1_
; %bb.0:
	.section	.rodata,"a",@progbits
	.p2align	6, 0x0
	.amdhsa_kernel _ZN7rocprim17ROCPRIM_400000_NS6detail17trampoline_kernelINS0_14default_configENS1_29reduce_by_key_config_selectorIxxN6thrust23THRUST_200600_302600_NS4plusIxEEEEZZNS1_33reduce_by_key_impl_wrapped_configILNS1_25lookback_scan_determinismE0ES3_S9_NS6_6detail15normal_iteratorINS6_10device_ptrIxEEEESG_SG_SG_PmS8_NS6_8equal_toIxEEEE10hipError_tPvRmT2_T3_mT4_T5_T6_T7_T8_P12ihipStream_tbENKUlT_T0_E_clISt17integral_constantIbLb0EES11_EEDaSW_SX_EUlSW_E_NS1_11comp_targetILNS1_3genE9ELNS1_11target_archE1100ELNS1_3gpuE3ELNS1_3repE0EEENS1_30default_config_static_selectorELNS0_4arch9wavefront6targetE1EEEvT1_
		.amdhsa_group_segment_fixed_size 0
		.amdhsa_private_segment_fixed_size 0
		.amdhsa_kernarg_size 136
		.amdhsa_user_sgpr_count 6
		.amdhsa_user_sgpr_private_segment_buffer 1
		.amdhsa_user_sgpr_dispatch_ptr 0
		.amdhsa_user_sgpr_queue_ptr 0
		.amdhsa_user_sgpr_kernarg_segment_ptr 1
		.amdhsa_user_sgpr_dispatch_id 0
		.amdhsa_user_sgpr_flat_scratch_init 0
		.amdhsa_user_sgpr_kernarg_preload_length 0
		.amdhsa_user_sgpr_kernarg_preload_offset 0
		.amdhsa_user_sgpr_private_segment_size 0
		.amdhsa_uses_dynamic_stack 0
		.amdhsa_system_sgpr_private_segment_wavefront_offset 0
		.amdhsa_system_sgpr_workgroup_id_x 1
		.amdhsa_system_sgpr_workgroup_id_y 0
		.amdhsa_system_sgpr_workgroup_id_z 0
		.amdhsa_system_sgpr_workgroup_info 0
		.amdhsa_system_vgpr_workitem_id 0
		.amdhsa_next_free_vgpr 1
		.amdhsa_next_free_sgpr 0
		.amdhsa_accum_offset 4
		.amdhsa_reserve_vcc 0
		.amdhsa_reserve_flat_scratch 0
		.amdhsa_float_round_mode_32 0
		.amdhsa_float_round_mode_16_64 0
		.amdhsa_float_denorm_mode_32 3
		.amdhsa_float_denorm_mode_16_64 3
		.amdhsa_dx10_clamp 1
		.amdhsa_ieee_mode 1
		.amdhsa_fp16_overflow 0
		.amdhsa_tg_split 0
		.amdhsa_exception_fp_ieee_invalid_op 0
		.amdhsa_exception_fp_denorm_src 0
		.amdhsa_exception_fp_ieee_div_zero 0
		.amdhsa_exception_fp_ieee_overflow 0
		.amdhsa_exception_fp_ieee_underflow 0
		.amdhsa_exception_fp_ieee_inexact 0
		.amdhsa_exception_int_div_zero 0
	.end_amdhsa_kernel
	.section	.text._ZN7rocprim17ROCPRIM_400000_NS6detail17trampoline_kernelINS0_14default_configENS1_29reduce_by_key_config_selectorIxxN6thrust23THRUST_200600_302600_NS4plusIxEEEEZZNS1_33reduce_by_key_impl_wrapped_configILNS1_25lookback_scan_determinismE0ES3_S9_NS6_6detail15normal_iteratorINS6_10device_ptrIxEEEESG_SG_SG_PmS8_NS6_8equal_toIxEEEE10hipError_tPvRmT2_T3_mT4_T5_T6_T7_T8_P12ihipStream_tbENKUlT_T0_E_clISt17integral_constantIbLb0EES11_EEDaSW_SX_EUlSW_E_NS1_11comp_targetILNS1_3genE9ELNS1_11target_archE1100ELNS1_3gpuE3ELNS1_3repE0EEENS1_30default_config_static_selectorELNS0_4arch9wavefront6targetE1EEEvT1_,"axG",@progbits,_ZN7rocprim17ROCPRIM_400000_NS6detail17trampoline_kernelINS0_14default_configENS1_29reduce_by_key_config_selectorIxxN6thrust23THRUST_200600_302600_NS4plusIxEEEEZZNS1_33reduce_by_key_impl_wrapped_configILNS1_25lookback_scan_determinismE0ES3_S9_NS6_6detail15normal_iteratorINS6_10device_ptrIxEEEESG_SG_SG_PmS8_NS6_8equal_toIxEEEE10hipError_tPvRmT2_T3_mT4_T5_T6_T7_T8_P12ihipStream_tbENKUlT_T0_E_clISt17integral_constantIbLb0EES11_EEDaSW_SX_EUlSW_E_NS1_11comp_targetILNS1_3genE9ELNS1_11target_archE1100ELNS1_3gpuE3ELNS1_3repE0EEENS1_30default_config_static_selectorELNS0_4arch9wavefront6targetE1EEEvT1_,comdat
.Lfunc_end476:
	.size	_ZN7rocprim17ROCPRIM_400000_NS6detail17trampoline_kernelINS0_14default_configENS1_29reduce_by_key_config_selectorIxxN6thrust23THRUST_200600_302600_NS4plusIxEEEEZZNS1_33reduce_by_key_impl_wrapped_configILNS1_25lookback_scan_determinismE0ES3_S9_NS6_6detail15normal_iteratorINS6_10device_ptrIxEEEESG_SG_SG_PmS8_NS6_8equal_toIxEEEE10hipError_tPvRmT2_T3_mT4_T5_T6_T7_T8_P12ihipStream_tbENKUlT_T0_E_clISt17integral_constantIbLb0EES11_EEDaSW_SX_EUlSW_E_NS1_11comp_targetILNS1_3genE9ELNS1_11target_archE1100ELNS1_3gpuE3ELNS1_3repE0EEENS1_30default_config_static_selectorELNS0_4arch9wavefront6targetE1EEEvT1_, .Lfunc_end476-_ZN7rocprim17ROCPRIM_400000_NS6detail17trampoline_kernelINS0_14default_configENS1_29reduce_by_key_config_selectorIxxN6thrust23THRUST_200600_302600_NS4plusIxEEEEZZNS1_33reduce_by_key_impl_wrapped_configILNS1_25lookback_scan_determinismE0ES3_S9_NS6_6detail15normal_iteratorINS6_10device_ptrIxEEEESG_SG_SG_PmS8_NS6_8equal_toIxEEEE10hipError_tPvRmT2_T3_mT4_T5_T6_T7_T8_P12ihipStream_tbENKUlT_T0_E_clISt17integral_constantIbLb0EES11_EEDaSW_SX_EUlSW_E_NS1_11comp_targetILNS1_3genE9ELNS1_11target_archE1100ELNS1_3gpuE3ELNS1_3repE0EEENS1_30default_config_static_selectorELNS0_4arch9wavefront6targetE1EEEvT1_
                                        ; -- End function
	.section	.AMDGPU.csdata,"",@progbits
; Kernel info:
; codeLenInByte = 0
; NumSgprs: 4
; NumVgprs: 0
; NumAgprs: 0
; TotalNumVgprs: 0
; ScratchSize: 0
; MemoryBound: 0
; FloatMode: 240
; IeeeMode: 1
; LDSByteSize: 0 bytes/workgroup (compile time only)
; SGPRBlocks: 0
; VGPRBlocks: 0
; NumSGPRsForWavesPerEU: 4
; NumVGPRsForWavesPerEU: 1
; AccumOffset: 4
; Occupancy: 8
; WaveLimiterHint : 0
; COMPUTE_PGM_RSRC2:SCRATCH_EN: 0
; COMPUTE_PGM_RSRC2:USER_SGPR: 6
; COMPUTE_PGM_RSRC2:TRAP_HANDLER: 0
; COMPUTE_PGM_RSRC2:TGID_X_EN: 1
; COMPUTE_PGM_RSRC2:TGID_Y_EN: 0
; COMPUTE_PGM_RSRC2:TGID_Z_EN: 0
; COMPUTE_PGM_RSRC2:TIDIG_COMP_CNT: 0
; COMPUTE_PGM_RSRC3_GFX90A:ACCUM_OFFSET: 0
; COMPUTE_PGM_RSRC3_GFX90A:TG_SPLIT: 0
	.section	.text._ZN7rocprim17ROCPRIM_400000_NS6detail17trampoline_kernelINS0_14default_configENS1_29reduce_by_key_config_selectorIxxN6thrust23THRUST_200600_302600_NS4plusIxEEEEZZNS1_33reduce_by_key_impl_wrapped_configILNS1_25lookback_scan_determinismE0ES3_S9_NS6_6detail15normal_iteratorINS6_10device_ptrIxEEEESG_SG_SG_PmS8_NS6_8equal_toIxEEEE10hipError_tPvRmT2_T3_mT4_T5_T6_T7_T8_P12ihipStream_tbENKUlT_T0_E_clISt17integral_constantIbLb0EES11_EEDaSW_SX_EUlSW_E_NS1_11comp_targetILNS1_3genE8ELNS1_11target_archE1030ELNS1_3gpuE2ELNS1_3repE0EEENS1_30default_config_static_selectorELNS0_4arch9wavefront6targetE1EEEvT1_,"axG",@progbits,_ZN7rocprim17ROCPRIM_400000_NS6detail17trampoline_kernelINS0_14default_configENS1_29reduce_by_key_config_selectorIxxN6thrust23THRUST_200600_302600_NS4plusIxEEEEZZNS1_33reduce_by_key_impl_wrapped_configILNS1_25lookback_scan_determinismE0ES3_S9_NS6_6detail15normal_iteratorINS6_10device_ptrIxEEEESG_SG_SG_PmS8_NS6_8equal_toIxEEEE10hipError_tPvRmT2_T3_mT4_T5_T6_T7_T8_P12ihipStream_tbENKUlT_T0_E_clISt17integral_constantIbLb0EES11_EEDaSW_SX_EUlSW_E_NS1_11comp_targetILNS1_3genE8ELNS1_11target_archE1030ELNS1_3gpuE2ELNS1_3repE0EEENS1_30default_config_static_selectorELNS0_4arch9wavefront6targetE1EEEvT1_,comdat
	.protected	_ZN7rocprim17ROCPRIM_400000_NS6detail17trampoline_kernelINS0_14default_configENS1_29reduce_by_key_config_selectorIxxN6thrust23THRUST_200600_302600_NS4plusIxEEEEZZNS1_33reduce_by_key_impl_wrapped_configILNS1_25lookback_scan_determinismE0ES3_S9_NS6_6detail15normal_iteratorINS6_10device_ptrIxEEEESG_SG_SG_PmS8_NS6_8equal_toIxEEEE10hipError_tPvRmT2_T3_mT4_T5_T6_T7_T8_P12ihipStream_tbENKUlT_T0_E_clISt17integral_constantIbLb0EES11_EEDaSW_SX_EUlSW_E_NS1_11comp_targetILNS1_3genE8ELNS1_11target_archE1030ELNS1_3gpuE2ELNS1_3repE0EEENS1_30default_config_static_selectorELNS0_4arch9wavefront6targetE1EEEvT1_ ; -- Begin function _ZN7rocprim17ROCPRIM_400000_NS6detail17trampoline_kernelINS0_14default_configENS1_29reduce_by_key_config_selectorIxxN6thrust23THRUST_200600_302600_NS4plusIxEEEEZZNS1_33reduce_by_key_impl_wrapped_configILNS1_25lookback_scan_determinismE0ES3_S9_NS6_6detail15normal_iteratorINS6_10device_ptrIxEEEESG_SG_SG_PmS8_NS6_8equal_toIxEEEE10hipError_tPvRmT2_T3_mT4_T5_T6_T7_T8_P12ihipStream_tbENKUlT_T0_E_clISt17integral_constantIbLb0EES11_EEDaSW_SX_EUlSW_E_NS1_11comp_targetILNS1_3genE8ELNS1_11target_archE1030ELNS1_3gpuE2ELNS1_3repE0EEENS1_30default_config_static_selectorELNS0_4arch9wavefront6targetE1EEEvT1_
	.globl	_ZN7rocprim17ROCPRIM_400000_NS6detail17trampoline_kernelINS0_14default_configENS1_29reduce_by_key_config_selectorIxxN6thrust23THRUST_200600_302600_NS4plusIxEEEEZZNS1_33reduce_by_key_impl_wrapped_configILNS1_25lookback_scan_determinismE0ES3_S9_NS6_6detail15normal_iteratorINS6_10device_ptrIxEEEESG_SG_SG_PmS8_NS6_8equal_toIxEEEE10hipError_tPvRmT2_T3_mT4_T5_T6_T7_T8_P12ihipStream_tbENKUlT_T0_E_clISt17integral_constantIbLb0EES11_EEDaSW_SX_EUlSW_E_NS1_11comp_targetILNS1_3genE8ELNS1_11target_archE1030ELNS1_3gpuE2ELNS1_3repE0EEENS1_30default_config_static_selectorELNS0_4arch9wavefront6targetE1EEEvT1_
	.p2align	8
	.type	_ZN7rocprim17ROCPRIM_400000_NS6detail17trampoline_kernelINS0_14default_configENS1_29reduce_by_key_config_selectorIxxN6thrust23THRUST_200600_302600_NS4plusIxEEEEZZNS1_33reduce_by_key_impl_wrapped_configILNS1_25lookback_scan_determinismE0ES3_S9_NS6_6detail15normal_iteratorINS6_10device_ptrIxEEEESG_SG_SG_PmS8_NS6_8equal_toIxEEEE10hipError_tPvRmT2_T3_mT4_T5_T6_T7_T8_P12ihipStream_tbENKUlT_T0_E_clISt17integral_constantIbLb0EES11_EEDaSW_SX_EUlSW_E_NS1_11comp_targetILNS1_3genE8ELNS1_11target_archE1030ELNS1_3gpuE2ELNS1_3repE0EEENS1_30default_config_static_selectorELNS0_4arch9wavefront6targetE1EEEvT1_,@function
_ZN7rocprim17ROCPRIM_400000_NS6detail17trampoline_kernelINS0_14default_configENS1_29reduce_by_key_config_selectorIxxN6thrust23THRUST_200600_302600_NS4plusIxEEEEZZNS1_33reduce_by_key_impl_wrapped_configILNS1_25lookback_scan_determinismE0ES3_S9_NS6_6detail15normal_iteratorINS6_10device_ptrIxEEEESG_SG_SG_PmS8_NS6_8equal_toIxEEEE10hipError_tPvRmT2_T3_mT4_T5_T6_T7_T8_P12ihipStream_tbENKUlT_T0_E_clISt17integral_constantIbLb0EES11_EEDaSW_SX_EUlSW_E_NS1_11comp_targetILNS1_3genE8ELNS1_11target_archE1030ELNS1_3gpuE2ELNS1_3repE0EEENS1_30default_config_static_selectorELNS0_4arch9wavefront6targetE1EEEvT1_: ; @_ZN7rocprim17ROCPRIM_400000_NS6detail17trampoline_kernelINS0_14default_configENS1_29reduce_by_key_config_selectorIxxN6thrust23THRUST_200600_302600_NS4plusIxEEEEZZNS1_33reduce_by_key_impl_wrapped_configILNS1_25lookback_scan_determinismE0ES3_S9_NS6_6detail15normal_iteratorINS6_10device_ptrIxEEEESG_SG_SG_PmS8_NS6_8equal_toIxEEEE10hipError_tPvRmT2_T3_mT4_T5_T6_T7_T8_P12ihipStream_tbENKUlT_T0_E_clISt17integral_constantIbLb0EES11_EEDaSW_SX_EUlSW_E_NS1_11comp_targetILNS1_3genE8ELNS1_11target_archE1030ELNS1_3gpuE2ELNS1_3repE0EEENS1_30default_config_static_selectorELNS0_4arch9wavefront6targetE1EEEvT1_
; %bb.0:
	.section	.rodata,"a",@progbits
	.p2align	6, 0x0
	.amdhsa_kernel _ZN7rocprim17ROCPRIM_400000_NS6detail17trampoline_kernelINS0_14default_configENS1_29reduce_by_key_config_selectorIxxN6thrust23THRUST_200600_302600_NS4plusIxEEEEZZNS1_33reduce_by_key_impl_wrapped_configILNS1_25lookback_scan_determinismE0ES3_S9_NS6_6detail15normal_iteratorINS6_10device_ptrIxEEEESG_SG_SG_PmS8_NS6_8equal_toIxEEEE10hipError_tPvRmT2_T3_mT4_T5_T6_T7_T8_P12ihipStream_tbENKUlT_T0_E_clISt17integral_constantIbLb0EES11_EEDaSW_SX_EUlSW_E_NS1_11comp_targetILNS1_3genE8ELNS1_11target_archE1030ELNS1_3gpuE2ELNS1_3repE0EEENS1_30default_config_static_selectorELNS0_4arch9wavefront6targetE1EEEvT1_
		.amdhsa_group_segment_fixed_size 0
		.amdhsa_private_segment_fixed_size 0
		.amdhsa_kernarg_size 136
		.amdhsa_user_sgpr_count 6
		.amdhsa_user_sgpr_private_segment_buffer 1
		.amdhsa_user_sgpr_dispatch_ptr 0
		.amdhsa_user_sgpr_queue_ptr 0
		.amdhsa_user_sgpr_kernarg_segment_ptr 1
		.amdhsa_user_sgpr_dispatch_id 0
		.amdhsa_user_sgpr_flat_scratch_init 0
		.amdhsa_user_sgpr_kernarg_preload_length 0
		.amdhsa_user_sgpr_kernarg_preload_offset 0
		.amdhsa_user_sgpr_private_segment_size 0
		.amdhsa_uses_dynamic_stack 0
		.amdhsa_system_sgpr_private_segment_wavefront_offset 0
		.amdhsa_system_sgpr_workgroup_id_x 1
		.amdhsa_system_sgpr_workgroup_id_y 0
		.amdhsa_system_sgpr_workgroup_id_z 0
		.amdhsa_system_sgpr_workgroup_info 0
		.amdhsa_system_vgpr_workitem_id 0
		.amdhsa_next_free_vgpr 1
		.amdhsa_next_free_sgpr 0
		.amdhsa_accum_offset 4
		.amdhsa_reserve_vcc 0
		.amdhsa_reserve_flat_scratch 0
		.amdhsa_float_round_mode_32 0
		.amdhsa_float_round_mode_16_64 0
		.amdhsa_float_denorm_mode_32 3
		.amdhsa_float_denorm_mode_16_64 3
		.amdhsa_dx10_clamp 1
		.amdhsa_ieee_mode 1
		.amdhsa_fp16_overflow 0
		.amdhsa_tg_split 0
		.amdhsa_exception_fp_ieee_invalid_op 0
		.amdhsa_exception_fp_denorm_src 0
		.amdhsa_exception_fp_ieee_div_zero 0
		.amdhsa_exception_fp_ieee_overflow 0
		.amdhsa_exception_fp_ieee_underflow 0
		.amdhsa_exception_fp_ieee_inexact 0
		.amdhsa_exception_int_div_zero 0
	.end_amdhsa_kernel
	.section	.text._ZN7rocprim17ROCPRIM_400000_NS6detail17trampoline_kernelINS0_14default_configENS1_29reduce_by_key_config_selectorIxxN6thrust23THRUST_200600_302600_NS4plusIxEEEEZZNS1_33reduce_by_key_impl_wrapped_configILNS1_25lookback_scan_determinismE0ES3_S9_NS6_6detail15normal_iteratorINS6_10device_ptrIxEEEESG_SG_SG_PmS8_NS6_8equal_toIxEEEE10hipError_tPvRmT2_T3_mT4_T5_T6_T7_T8_P12ihipStream_tbENKUlT_T0_E_clISt17integral_constantIbLb0EES11_EEDaSW_SX_EUlSW_E_NS1_11comp_targetILNS1_3genE8ELNS1_11target_archE1030ELNS1_3gpuE2ELNS1_3repE0EEENS1_30default_config_static_selectorELNS0_4arch9wavefront6targetE1EEEvT1_,"axG",@progbits,_ZN7rocprim17ROCPRIM_400000_NS6detail17trampoline_kernelINS0_14default_configENS1_29reduce_by_key_config_selectorIxxN6thrust23THRUST_200600_302600_NS4plusIxEEEEZZNS1_33reduce_by_key_impl_wrapped_configILNS1_25lookback_scan_determinismE0ES3_S9_NS6_6detail15normal_iteratorINS6_10device_ptrIxEEEESG_SG_SG_PmS8_NS6_8equal_toIxEEEE10hipError_tPvRmT2_T3_mT4_T5_T6_T7_T8_P12ihipStream_tbENKUlT_T0_E_clISt17integral_constantIbLb0EES11_EEDaSW_SX_EUlSW_E_NS1_11comp_targetILNS1_3genE8ELNS1_11target_archE1030ELNS1_3gpuE2ELNS1_3repE0EEENS1_30default_config_static_selectorELNS0_4arch9wavefront6targetE1EEEvT1_,comdat
.Lfunc_end477:
	.size	_ZN7rocprim17ROCPRIM_400000_NS6detail17trampoline_kernelINS0_14default_configENS1_29reduce_by_key_config_selectorIxxN6thrust23THRUST_200600_302600_NS4plusIxEEEEZZNS1_33reduce_by_key_impl_wrapped_configILNS1_25lookback_scan_determinismE0ES3_S9_NS6_6detail15normal_iteratorINS6_10device_ptrIxEEEESG_SG_SG_PmS8_NS6_8equal_toIxEEEE10hipError_tPvRmT2_T3_mT4_T5_T6_T7_T8_P12ihipStream_tbENKUlT_T0_E_clISt17integral_constantIbLb0EES11_EEDaSW_SX_EUlSW_E_NS1_11comp_targetILNS1_3genE8ELNS1_11target_archE1030ELNS1_3gpuE2ELNS1_3repE0EEENS1_30default_config_static_selectorELNS0_4arch9wavefront6targetE1EEEvT1_, .Lfunc_end477-_ZN7rocprim17ROCPRIM_400000_NS6detail17trampoline_kernelINS0_14default_configENS1_29reduce_by_key_config_selectorIxxN6thrust23THRUST_200600_302600_NS4plusIxEEEEZZNS1_33reduce_by_key_impl_wrapped_configILNS1_25lookback_scan_determinismE0ES3_S9_NS6_6detail15normal_iteratorINS6_10device_ptrIxEEEESG_SG_SG_PmS8_NS6_8equal_toIxEEEE10hipError_tPvRmT2_T3_mT4_T5_T6_T7_T8_P12ihipStream_tbENKUlT_T0_E_clISt17integral_constantIbLb0EES11_EEDaSW_SX_EUlSW_E_NS1_11comp_targetILNS1_3genE8ELNS1_11target_archE1030ELNS1_3gpuE2ELNS1_3repE0EEENS1_30default_config_static_selectorELNS0_4arch9wavefront6targetE1EEEvT1_
                                        ; -- End function
	.section	.AMDGPU.csdata,"",@progbits
; Kernel info:
; codeLenInByte = 0
; NumSgprs: 4
; NumVgprs: 0
; NumAgprs: 0
; TotalNumVgprs: 0
; ScratchSize: 0
; MemoryBound: 0
; FloatMode: 240
; IeeeMode: 1
; LDSByteSize: 0 bytes/workgroup (compile time only)
; SGPRBlocks: 0
; VGPRBlocks: 0
; NumSGPRsForWavesPerEU: 4
; NumVGPRsForWavesPerEU: 1
; AccumOffset: 4
; Occupancy: 8
; WaveLimiterHint : 0
; COMPUTE_PGM_RSRC2:SCRATCH_EN: 0
; COMPUTE_PGM_RSRC2:USER_SGPR: 6
; COMPUTE_PGM_RSRC2:TRAP_HANDLER: 0
; COMPUTE_PGM_RSRC2:TGID_X_EN: 1
; COMPUTE_PGM_RSRC2:TGID_Y_EN: 0
; COMPUTE_PGM_RSRC2:TGID_Z_EN: 0
; COMPUTE_PGM_RSRC2:TIDIG_COMP_CNT: 0
; COMPUTE_PGM_RSRC3_GFX90A:ACCUM_OFFSET: 0
; COMPUTE_PGM_RSRC3_GFX90A:TG_SPLIT: 0
	.section	.text._ZN7rocprim17ROCPRIM_400000_NS6detail25reduce_by_key_init_kernelINS1_19lookback_scan_stateINS0_5tupleIJjxEEELb1ELb0EEExNS1_16block_id_wrapperIjLb1EEEEEvT_jbjPmPT0_T1_,"axG",@progbits,_ZN7rocprim17ROCPRIM_400000_NS6detail25reduce_by_key_init_kernelINS1_19lookback_scan_stateINS0_5tupleIJjxEEELb1ELb0EEExNS1_16block_id_wrapperIjLb1EEEEEvT_jbjPmPT0_T1_,comdat
	.protected	_ZN7rocprim17ROCPRIM_400000_NS6detail25reduce_by_key_init_kernelINS1_19lookback_scan_stateINS0_5tupleIJjxEEELb1ELb0EEExNS1_16block_id_wrapperIjLb1EEEEEvT_jbjPmPT0_T1_ ; -- Begin function _ZN7rocprim17ROCPRIM_400000_NS6detail25reduce_by_key_init_kernelINS1_19lookback_scan_stateINS0_5tupleIJjxEEELb1ELb0EEExNS1_16block_id_wrapperIjLb1EEEEEvT_jbjPmPT0_T1_
	.globl	_ZN7rocprim17ROCPRIM_400000_NS6detail25reduce_by_key_init_kernelINS1_19lookback_scan_stateINS0_5tupleIJjxEEELb1ELb0EEExNS1_16block_id_wrapperIjLb1EEEEEvT_jbjPmPT0_T1_
	.p2align	8
	.type	_ZN7rocprim17ROCPRIM_400000_NS6detail25reduce_by_key_init_kernelINS1_19lookback_scan_stateINS0_5tupleIJjxEEELb1ELb0EEExNS1_16block_id_wrapperIjLb1EEEEEvT_jbjPmPT0_T1_,@function
_ZN7rocprim17ROCPRIM_400000_NS6detail25reduce_by_key_init_kernelINS1_19lookback_scan_stateINS0_5tupleIJjxEEELb1ELb0EEExNS1_16block_id_wrapperIjLb1EEEEEvT_jbjPmPT0_T1_: ; @_ZN7rocprim17ROCPRIM_400000_NS6detail25reduce_by_key_init_kernelINS1_19lookback_scan_stateINS0_5tupleIJjxEEELb1ELb0EEExNS1_16block_id_wrapperIjLb1EEEEEvT_jbjPmPT0_T1_
; %bb.0:
	s_load_dwordx8 s[8:15], s[4:5], 0x18
	s_load_dword s0, s[4:5], 0x4c
	s_load_dwordx2 s[18:19], s[4:5], 0x38
	s_load_dwordx2 s[16:17], s[4:5], 0x10
	s_waitcnt lgkmcnt(0)
	s_and_b32 s1, s9, 1
	s_and_b32 s0, s0, 0xffff
	s_mul_i32 s6, s6, s0
	s_cmp_eq_u32 s1, 0
	v_add_u32_e32 v0, s6, v0
	s_mov_b64 s[0:1], -1
	s_cbranch_scc1 .LBB478_6
; %bb.1:
	s_andn2_b64 vcc, exec, s[0:1]
	v_cmp_eq_u32_e64 s[0:1], 0, v0
	s_cbranch_vccz .LBB478_16
.LBB478_2:
	v_cmp_eq_u32_e32 vcc, 0, v0
	s_and_saveexec_b64 s[0:1], vcc
	s_cbranch_execnz .LBB478_19
.LBB478_3:
	s_or_b64 exec, exec, s[0:1]
	v_cmp_gt_u32_e32 vcc, s8, v0
	s_and_saveexec_b64 s[0:1], vcc
	s_cbranch_execnz .LBB478_20
.LBB478_4:
	s_or_b64 exec, exec, s[0:1]
	v_cmp_gt_u32_e32 vcc, 64, v0
	s_and_saveexec_b64 s[0:1], vcc
	s_cbranch_execnz .LBB478_21
.LBB478_5:
	s_endpgm
.LBB478_6:
	s_cmp_lt_u32 s10, s8
	s_cselect_b32 s0, s10, 0
	v_cmp_eq_u32_e32 vcc, s0, v0
	s_and_saveexec_b64 s[6:7], vcc
	s_cbranch_execz .LBB478_15
; %bb.7:
	s_add_i32 s10, s10, 64
	v_mov_b32_e32 v1, s10
	global_load_ubyte v1, v1, s[16:17] glc
	s_load_dwordx4 s[0:3], s[4:5], 0x0
	s_add_u32 s4, s16, s10
	s_mov_b32 s11, 0
	s_addc_u32 s5, s17, 0
	s_waitcnt vmcnt(0)
	v_cmp_ne_u16_e32 vcc, 0, v1
	v_readfirstlane_b32 s9, v1
	s_cbranch_vccz .LBB478_9
; %bb.8:
	s_and_b32 s4, 0xffff, s9
	s_branch .LBB478_14
.LBB478_9:
	s_mov_b32 s9, 1
	v_mov_b32_e32 v1, 0
.LBB478_10:                             ; =>This Loop Header: Depth=1
                                        ;     Child Loop BB478_11 Depth 2
	s_max_u32 s20, s9, 1
.LBB478_11:                             ;   Parent Loop BB478_10 Depth=1
                                        ; =>  This Inner Loop Header: Depth=2
	s_add_i32 s20, s20, -1
	s_cmp_eq_u32 s20, 0
	s_sleep 1
	s_cbranch_scc0 .LBB478_11
; %bb.12:                               ;   in Loop: Header=BB478_10 Depth=1
	global_load_ubyte v2, v1, s[4:5] glc
	s_cmp_lt_u32 s9, 32
	s_cselect_b64 s[20:21], -1, 0
	s_cmp_lg_u64 s[20:21], 0
	s_addc_u32 s9, s9, 0
	s_waitcnt vmcnt(0)
	v_cmp_ne_u16_e32 vcc, 0, v2
	v_readfirstlane_b32 s20, v2
	s_cbranch_vccz .LBB478_10
; %bb.13:
	s_and_b32 s4, 0xffff, s20
.LBB478_14:
	s_cmp_eq_u32 s4, 1
	s_waitcnt lgkmcnt(0)
	s_cselect_b32 s3, s1, s3
	s_cselect_b32 s2, s0, s2
	s_lshl_b64 s[0:1], s[10:11], 4
	v_mov_b32_e32 v1, 0
	s_add_u32 s0, s2, s0
	buffer_wbinvl1_vol
	s_addc_u32 s1, s3, s1
	global_load_dwordx2 v[2:3], v1, s[12:13]
	global_load_dword v6, v1, s[0:1]
	global_load_dwordx2 v[4:5], v1, s[0:1] offset:8
	s_waitcnt vmcnt(1)
	v_add_co_u32_e32 v2, vcc, v2, v6
	v_addc_co_u32_e32 v3, vcc, 0, v3, vcc
	global_store_dwordx2 v1, v[2:3], s[12:13]
	s_waitcnt vmcnt(1)
	global_store_dwordx2 v1, v[4:5], s[14:15]
.LBB478_15:
	s_or_b64 exec, exec, s[6:7]
	v_cmp_eq_u32_e64 s[0:1], 0, v0
	s_cbranch_execnz .LBB478_2
.LBB478_16:
	s_cmp_lg_u64 s[12:13], 0
	s_cselect_b64 s[2:3], -1, 0
	s_and_b64 s[2:3], s[2:3], s[0:1]
	s_and_saveexec_b64 s[0:1], s[2:3]
	s_cbranch_execz .LBB478_18
; %bb.17:
	v_mov_b32_e32 v2, 0
	v_mov_b32_e32 v3, v2
	global_store_dwordx2 v2, v[2:3], s[12:13]
.LBB478_18:
	s_or_b64 exec, exec, s[0:1]
	v_cmp_eq_u32_e32 vcc, 0, v0
	s_and_saveexec_b64 s[0:1], vcc
	s_cbranch_execz .LBB478_3
.LBB478_19:
	v_mov_b32_e32 v1, 0
	global_store_dword v1, v1, s[18:19]
	s_or_b64 exec, exec, s[0:1]
	v_cmp_gt_u32_e32 vcc, s8, v0
	s_and_saveexec_b64 s[0:1], vcc
	s_cbranch_execz .LBB478_4
.LBB478_20:
	v_add_u32_e32 v1, 64, v0
	v_mov_b32_e32 v2, 0
	global_store_byte v1, v2, s[16:17]
	s_or_b64 exec, exec, s[0:1]
	v_cmp_gt_u32_e32 vcc, 64, v0
	s_and_saveexec_b64 s[0:1], vcc
	s_cbranch_execz .LBB478_5
.LBB478_21:
	v_mov_b32_e32 v1, 0xff
	global_store_byte v0, v1, s[16:17]
	s_endpgm
	.section	.rodata,"a",@progbits
	.p2align	6, 0x0
	.amdhsa_kernel _ZN7rocprim17ROCPRIM_400000_NS6detail25reduce_by_key_init_kernelINS1_19lookback_scan_stateINS0_5tupleIJjxEEELb1ELb0EEExNS1_16block_id_wrapperIjLb1EEEEEvT_jbjPmPT0_T1_
		.amdhsa_group_segment_fixed_size 0
		.amdhsa_private_segment_fixed_size 0
		.amdhsa_kernarg_size 320
		.amdhsa_user_sgpr_count 6
		.amdhsa_user_sgpr_private_segment_buffer 1
		.amdhsa_user_sgpr_dispatch_ptr 0
		.amdhsa_user_sgpr_queue_ptr 0
		.amdhsa_user_sgpr_kernarg_segment_ptr 1
		.amdhsa_user_sgpr_dispatch_id 0
		.amdhsa_user_sgpr_flat_scratch_init 0
		.amdhsa_user_sgpr_kernarg_preload_length 0
		.amdhsa_user_sgpr_kernarg_preload_offset 0
		.amdhsa_user_sgpr_private_segment_size 0
		.amdhsa_uses_dynamic_stack 0
		.amdhsa_system_sgpr_private_segment_wavefront_offset 0
		.amdhsa_system_sgpr_workgroup_id_x 1
		.amdhsa_system_sgpr_workgroup_id_y 0
		.amdhsa_system_sgpr_workgroup_id_z 0
		.amdhsa_system_sgpr_workgroup_info 0
		.amdhsa_system_vgpr_workitem_id 0
		.amdhsa_next_free_vgpr 7
		.amdhsa_next_free_sgpr 22
		.amdhsa_accum_offset 8
		.amdhsa_reserve_vcc 1
		.amdhsa_reserve_flat_scratch 0
		.amdhsa_float_round_mode_32 0
		.amdhsa_float_round_mode_16_64 0
		.amdhsa_float_denorm_mode_32 3
		.amdhsa_float_denorm_mode_16_64 3
		.amdhsa_dx10_clamp 1
		.amdhsa_ieee_mode 1
		.amdhsa_fp16_overflow 0
		.amdhsa_tg_split 0
		.amdhsa_exception_fp_ieee_invalid_op 0
		.amdhsa_exception_fp_denorm_src 0
		.amdhsa_exception_fp_ieee_div_zero 0
		.amdhsa_exception_fp_ieee_overflow 0
		.amdhsa_exception_fp_ieee_underflow 0
		.amdhsa_exception_fp_ieee_inexact 0
		.amdhsa_exception_int_div_zero 0
	.end_amdhsa_kernel
	.section	.text._ZN7rocprim17ROCPRIM_400000_NS6detail25reduce_by_key_init_kernelINS1_19lookback_scan_stateINS0_5tupleIJjxEEELb1ELb0EEExNS1_16block_id_wrapperIjLb1EEEEEvT_jbjPmPT0_T1_,"axG",@progbits,_ZN7rocprim17ROCPRIM_400000_NS6detail25reduce_by_key_init_kernelINS1_19lookback_scan_stateINS0_5tupleIJjxEEELb1ELb0EEExNS1_16block_id_wrapperIjLb1EEEEEvT_jbjPmPT0_T1_,comdat
.Lfunc_end478:
	.size	_ZN7rocprim17ROCPRIM_400000_NS6detail25reduce_by_key_init_kernelINS1_19lookback_scan_stateINS0_5tupleIJjxEEELb1ELb0EEExNS1_16block_id_wrapperIjLb1EEEEEvT_jbjPmPT0_T1_, .Lfunc_end478-_ZN7rocprim17ROCPRIM_400000_NS6detail25reduce_by_key_init_kernelINS1_19lookback_scan_stateINS0_5tupleIJjxEEELb1ELb0EEExNS1_16block_id_wrapperIjLb1EEEEEvT_jbjPmPT0_T1_
                                        ; -- End function
	.section	.AMDGPU.csdata,"",@progbits
; Kernel info:
; codeLenInByte = 536
; NumSgprs: 26
; NumVgprs: 7
; NumAgprs: 0
; TotalNumVgprs: 7
; ScratchSize: 0
; MemoryBound: 0
; FloatMode: 240
; IeeeMode: 1
; LDSByteSize: 0 bytes/workgroup (compile time only)
; SGPRBlocks: 3
; VGPRBlocks: 0
; NumSGPRsForWavesPerEU: 26
; NumVGPRsForWavesPerEU: 7
; AccumOffset: 8
; Occupancy: 8
; WaveLimiterHint : 0
; COMPUTE_PGM_RSRC2:SCRATCH_EN: 0
; COMPUTE_PGM_RSRC2:USER_SGPR: 6
; COMPUTE_PGM_RSRC2:TRAP_HANDLER: 0
; COMPUTE_PGM_RSRC2:TGID_X_EN: 1
; COMPUTE_PGM_RSRC2:TGID_Y_EN: 0
; COMPUTE_PGM_RSRC2:TGID_Z_EN: 0
; COMPUTE_PGM_RSRC2:TIDIG_COMP_CNT: 0
; COMPUTE_PGM_RSRC3_GFX90A:ACCUM_OFFSET: 1
; COMPUTE_PGM_RSRC3_GFX90A:TG_SPLIT: 0
	.section	.text._ZN7rocprim17ROCPRIM_400000_NS6detail17trampoline_kernelINS0_14default_configENS1_29reduce_by_key_config_selectorIxxN6thrust23THRUST_200600_302600_NS4plusIxEEEEZZNS1_33reduce_by_key_impl_wrapped_configILNS1_25lookback_scan_determinismE0ES3_S9_NS6_6detail15normal_iteratorINS6_10device_ptrIxEEEESG_SG_SG_PmS8_NS6_8equal_toIxEEEE10hipError_tPvRmT2_T3_mT4_T5_T6_T7_T8_P12ihipStream_tbENKUlT_T0_E_clISt17integral_constantIbLb1EES11_EEDaSW_SX_EUlSW_E_NS1_11comp_targetILNS1_3genE0ELNS1_11target_archE4294967295ELNS1_3gpuE0ELNS1_3repE0EEENS1_30default_config_static_selectorELNS0_4arch9wavefront6targetE1EEEvT1_,"axG",@progbits,_ZN7rocprim17ROCPRIM_400000_NS6detail17trampoline_kernelINS0_14default_configENS1_29reduce_by_key_config_selectorIxxN6thrust23THRUST_200600_302600_NS4plusIxEEEEZZNS1_33reduce_by_key_impl_wrapped_configILNS1_25lookback_scan_determinismE0ES3_S9_NS6_6detail15normal_iteratorINS6_10device_ptrIxEEEESG_SG_SG_PmS8_NS6_8equal_toIxEEEE10hipError_tPvRmT2_T3_mT4_T5_T6_T7_T8_P12ihipStream_tbENKUlT_T0_E_clISt17integral_constantIbLb1EES11_EEDaSW_SX_EUlSW_E_NS1_11comp_targetILNS1_3genE0ELNS1_11target_archE4294967295ELNS1_3gpuE0ELNS1_3repE0EEENS1_30default_config_static_selectorELNS0_4arch9wavefront6targetE1EEEvT1_,comdat
	.protected	_ZN7rocprim17ROCPRIM_400000_NS6detail17trampoline_kernelINS0_14default_configENS1_29reduce_by_key_config_selectorIxxN6thrust23THRUST_200600_302600_NS4plusIxEEEEZZNS1_33reduce_by_key_impl_wrapped_configILNS1_25lookback_scan_determinismE0ES3_S9_NS6_6detail15normal_iteratorINS6_10device_ptrIxEEEESG_SG_SG_PmS8_NS6_8equal_toIxEEEE10hipError_tPvRmT2_T3_mT4_T5_T6_T7_T8_P12ihipStream_tbENKUlT_T0_E_clISt17integral_constantIbLb1EES11_EEDaSW_SX_EUlSW_E_NS1_11comp_targetILNS1_3genE0ELNS1_11target_archE4294967295ELNS1_3gpuE0ELNS1_3repE0EEENS1_30default_config_static_selectorELNS0_4arch9wavefront6targetE1EEEvT1_ ; -- Begin function _ZN7rocprim17ROCPRIM_400000_NS6detail17trampoline_kernelINS0_14default_configENS1_29reduce_by_key_config_selectorIxxN6thrust23THRUST_200600_302600_NS4plusIxEEEEZZNS1_33reduce_by_key_impl_wrapped_configILNS1_25lookback_scan_determinismE0ES3_S9_NS6_6detail15normal_iteratorINS6_10device_ptrIxEEEESG_SG_SG_PmS8_NS6_8equal_toIxEEEE10hipError_tPvRmT2_T3_mT4_T5_T6_T7_T8_P12ihipStream_tbENKUlT_T0_E_clISt17integral_constantIbLb1EES11_EEDaSW_SX_EUlSW_E_NS1_11comp_targetILNS1_3genE0ELNS1_11target_archE4294967295ELNS1_3gpuE0ELNS1_3repE0EEENS1_30default_config_static_selectorELNS0_4arch9wavefront6targetE1EEEvT1_
	.globl	_ZN7rocprim17ROCPRIM_400000_NS6detail17trampoline_kernelINS0_14default_configENS1_29reduce_by_key_config_selectorIxxN6thrust23THRUST_200600_302600_NS4plusIxEEEEZZNS1_33reduce_by_key_impl_wrapped_configILNS1_25lookback_scan_determinismE0ES3_S9_NS6_6detail15normal_iteratorINS6_10device_ptrIxEEEESG_SG_SG_PmS8_NS6_8equal_toIxEEEE10hipError_tPvRmT2_T3_mT4_T5_T6_T7_T8_P12ihipStream_tbENKUlT_T0_E_clISt17integral_constantIbLb1EES11_EEDaSW_SX_EUlSW_E_NS1_11comp_targetILNS1_3genE0ELNS1_11target_archE4294967295ELNS1_3gpuE0ELNS1_3repE0EEENS1_30default_config_static_selectorELNS0_4arch9wavefront6targetE1EEEvT1_
	.p2align	8
	.type	_ZN7rocprim17ROCPRIM_400000_NS6detail17trampoline_kernelINS0_14default_configENS1_29reduce_by_key_config_selectorIxxN6thrust23THRUST_200600_302600_NS4plusIxEEEEZZNS1_33reduce_by_key_impl_wrapped_configILNS1_25lookback_scan_determinismE0ES3_S9_NS6_6detail15normal_iteratorINS6_10device_ptrIxEEEESG_SG_SG_PmS8_NS6_8equal_toIxEEEE10hipError_tPvRmT2_T3_mT4_T5_T6_T7_T8_P12ihipStream_tbENKUlT_T0_E_clISt17integral_constantIbLb1EES11_EEDaSW_SX_EUlSW_E_NS1_11comp_targetILNS1_3genE0ELNS1_11target_archE4294967295ELNS1_3gpuE0ELNS1_3repE0EEENS1_30default_config_static_selectorELNS0_4arch9wavefront6targetE1EEEvT1_,@function
_ZN7rocprim17ROCPRIM_400000_NS6detail17trampoline_kernelINS0_14default_configENS1_29reduce_by_key_config_selectorIxxN6thrust23THRUST_200600_302600_NS4plusIxEEEEZZNS1_33reduce_by_key_impl_wrapped_configILNS1_25lookback_scan_determinismE0ES3_S9_NS6_6detail15normal_iteratorINS6_10device_ptrIxEEEESG_SG_SG_PmS8_NS6_8equal_toIxEEEE10hipError_tPvRmT2_T3_mT4_T5_T6_T7_T8_P12ihipStream_tbENKUlT_T0_E_clISt17integral_constantIbLb1EES11_EEDaSW_SX_EUlSW_E_NS1_11comp_targetILNS1_3genE0ELNS1_11target_archE4294967295ELNS1_3gpuE0ELNS1_3repE0EEENS1_30default_config_static_selectorELNS0_4arch9wavefront6targetE1EEEvT1_: ; @_ZN7rocprim17ROCPRIM_400000_NS6detail17trampoline_kernelINS0_14default_configENS1_29reduce_by_key_config_selectorIxxN6thrust23THRUST_200600_302600_NS4plusIxEEEEZZNS1_33reduce_by_key_impl_wrapped_configILNS1_25lookback_scan_determinismE0ES3_S9_NS6_6detail15normal_iteratorINS6_10device_ptrIxEEEESG_SG_SG_PmS8_NS6_8equal_toIxEEEE10hipError_tPvRmT2_T3_mT4_T5_T6_T7_T8_P12ihipStream_tbENKUlT_T0_E_clISt17integral_constantIbLb1EES11_EEDaSW_SX_EUlSW_E_NS1_11comp_targetILNS1_3genE0ELNS1_11target_archE4294967295ELNS1_3gpuE0ELNS1_3repE0EEENS1_30default_config_static_selectorELNS0_4arch9wavefront6targetE1EEEvT1_
; %bb.0:
	.section	.rodata,"a",@progbits
	.p2align	6, 0x0
	.amdhsa_kernel _ZN7rocprim17ROCPRIM_400000_NS6detail17trampoline_kernelINS0_14default_configENS1_29reduce_by_key_config_selectorIxxN6thrust23THRUST_200600_302600_NS4plusIxEEEEZZNS1_33reduce_by_key_impl_wrapped_configILNS1_25lookback_scan_determinismE0ES3_S9_NS6_6detail15normal_iteratorINS6_10device_ptrIxEEEESG_SG_SG_PmS8_NS6_8equal_toIxEEEE10hipError_tPvRmT2_T3_mT4_T5_T6_T7_T8_P12ihipStream_tbENKUlT_T0_E_clISt17integral_constantIbLb1EES11_EEDaSW_SX_EUlSW_E_NS1_11comp_targetILNS1_3genE0ELNS1_11target_archE4294967295ELNS1_3gpuE0ELNS1_3repE0EEENS1_30default_config_static_selectorELNS0_4arch9wavefront6targetE1EEEvT1_
		.amdhsa_group_segment_fixed_size 0
		.amdhsa_private_segment_fixed_size 0
		.amdhsa_kernarg_size 136
		.amdhsa_user_sgpr_count 6
		.amdhsa_user_sgpr_private_segment_buffer 1
		.amdhsa_user_sgpr_dispatch_ptr 0
		.amdhsa_user_sgpr_queue_ptr 0
		.amdhsa_user_sgpr_kernarg_segment_ptr 1
		.amdhsa_user_sgpr_dispatch_id 0
		.amdhsa_user_sgpr_flat_scratch_init 0
		.amdhsa_user_sgpr_kernarg_preload_length 0
		.amdhsa_user_sgpr_kernarg_preload_offset 0
		.amdhsa_user_sgpr_private_segment_size 0
		.amdhsa_uses_dynamic_stack 0
		.amdhsa_system_sgpr_private_segment_wavefront_offset 0
		.amdhsa_system_sgpr_workgroup_id_x 1
		.amdhsa_system_sgpr_workgroup_id_y 0
		.amdhsa_system_sgpr_workgroup_id_z 0
		.amdhsa_system_sgpr_workgroup_info 0
		.amdhsa_system_vgpr_workitem_id 0
		.amdhsa_next_free_vgpr 1
		.amdhsa_next_free_sgpr 0
		.amdhsa_accum_offset 4
		.amdhsa_reserve_vcc 0
		.amdhsa_reserve_flat_scratch 0
		.amdhsa_float_round_mode_32 0
		.amdhsa_float_round_mode_16_64 0
		.amdhsa_float_denorm_mode_32 3
		.amdhsa_float_denorm_mode_16_64 3
		.amdhsa_dx10_clamp 1
		.amdhsa_ieee_mode 1
		.amdhsa_fp16_overflow 0
		.amdhsa_tg_split 0
		.amdhsa_exception_fp_ieee_invalid_op 0
		.amdhsa_exception_fp_denorm_src 0
		.amdhsa_exception_fp_ieee_div_zero 0
		.amdhsa_exception_fp_ieee_overflow 0
		.amdhsa_exception_fp_ieee_underflow 0
		.amdhsa_exception_fp_ieee_inexact 0
		.amdhsa_exception_int_div_zero 0
	.end_amdhsa_kernel
	.section	.text._ZN7rocprim17ROCPRIM_400000_NS6detail17trampoline_kernelINS0_14default_configENS1_29reduce_by_key_config_selectorIxxN6thrust23THRUST_200600_302600_NS4plusIxEEEEZZNS1_33reduce_by_key_impl_wrapped_configILNS1_25lookback_scan_determinismE0ES3_S9_NS6_6detail15normal_iteratorINS6_10device_ptrIxEEEESG_SG_SG_PmS8_NS6_8equal_toIxEEEE10hipError_tPvRmT2_T3_mT4_T5_T6_T7_T8_P12ihipStream_tbENKUlT_T0_E_clISt17integral_constantIbLb1EES11_EEDaSW_SX_EUlSW_E_NS1_11comp_targetILNS1_3genE0ELNS1_11target_archE4294967295ELNS1_3gpuE0ELNS1_3repE0EEENS1_30default_config_static_selectorELNS0_4arch9wavefront6targetE1EEEvT1_,"axG",@progbits,_ZN7rocprim17ROCPRIM_400000_NS6detail17trampoline_kernelINS0_14default_configENS1_29reduce_by_key_config_selectorIxxN6thrust23THRUST_200600_302600_NS4plusIxEEEEZZNS1_33reduce_by_key_impl_wrapped_configILNS1_25lookback_scan_determinismE0ES3_S9_NS6_6detail15normal_iteratorINS6_10device_ptrIxEEEESG_SG_SG_PmS8_NS6_8equal_toIxEEEE10hipError_tPvRmT2_T3_mT4_T5_T6_T7_T8_P12ihipStream_tbENKUlT_T0_E_clISt17integral_constantIbLb1EES11_EEDaSW_SX_EUlSW_E_NS1_11comp_targetILNS1_3genE0ELNS1_11target_archE4294967295ELNS1_3gpuE0ELNS1_3repE0EEENS1_30default_config_static_selectorELNS0_4arch9wavefront6targetE1EEEvT1_,comdat
.Lfunc_end479:
	.size	_ZN7rocprim17ROCPRIM_400000_NS6detail17trampoline_kernelINS0_14default_configENS1_29reduce_by_key_config_selectorIxxN6thrust23THRUST_200600_302600_NS4plusIxEEEEZZNS1_33reduce_by_key_impl_wrapped_configILNS1_25lookback_scan_determinismE0ES3_S9_NS6_6detail15normal_iteratorINS6_10device_ptrIxEEEESG_SG_SG_PmS8_NS6_8equal_toIxEEEE10hipError_tPvRmT2_T3_mT4_T5_T6_T7_T8_P12ihipStream_tbENKUlT_T0_E_clISt17integral_constantIbLb1EES11_EEDaSW_SX_EUlSW_E_NS1_11comp_targetILNS1_3genE0ELNS1_11target_archE4294967295ELNS1_3gpuE0ELNS1_3repE0EEENS1_30default_config_static_selectorELNS0_4arch9wavefront6targetE1EEEvT1_, .Lfunc_end479-_ZN7rocprim17ROCPRIM_400000_NS6detail17trampoline_kernelINS0_14default_configENS1_29reduce_by_key_config_selectorIxxN6thrust23THRUST_200600_302600_NS4plusIxEEEEZZNS1_33reduce_by_key_impl_wrapped_configILNS1_25lookback_scan_determinismE0ES3_S9_NS6_6detail15normal_iteratorINS6_10device_ptrIxEEEESG_SG_SG_PmS8_NS6_8equal_toIxEEEE10hipError_tPvRmT2_T3_mT4_T5_T6_T7_T8_P12ihipStream_tbENKUlT_T0_E_clISt17integral_constantIbLb1EES11_EEDaSW_SX_EUlSW_E_NS1_11comp_targetILNS1_3genE0ELNS1_11target_archE4294967295ELNS1_3gpuE0ELNS1_3repE0EEENS1_30default_config_static_selectorELNS0_4arch9wavefront6targetE1EEEvT1_
                                        ; -- End function
	.section	.AMDGPU.csdata,"",@progbits
; Kernel info:
; codeLenInByte = 0
; NumSgprs: 4
; NumVgprs: 0
; NumAgprs: 0
; TotalNumVgprs: 0
; ScratchSize: 0
; MemoryBound: 0
; FloatMode: 240
; IeeeMode: 1
; LDSByteSize: 0 bytes/workgroup (compile time only)
; SGPRBlocks: 0
; VGPRBlocks: 0
; NumSGPRsForWavesPerEU: 4
; NumVGPRsForWavesPerEU: 1
; AccumOffset: 4
; Occupancy: 8
; WaveLimiterHint : 0
; COMPUTE_PGM_RSRC2:SCRATCH_EN: 0
; COMPUTE_PGM_RSRC2:USER_SGPR: 6
; COMPUTE_PGM_RSRC2:TRAP_HANDLER: 0
; COMPUTE_PGM_RSRC2:TGID_X_EN: 1
; COMPUTE_PGM_RSRC2:TGID_Y_EN: 0
; COMPUTE_PGM_RSRC2:TGID_Z_EN: 0
; COMPUTE_PGM_RSRC2:TIDIG_COMP_CNT: 0
; COMPUTE_PGM_RSRC3_GFX90A:ACCUM_OFFSET: 0
; COMPUTE_PGM_RSRC3_GFX90A:TG_SPLIT: 0
	.section	.text._ZN7rocprim17ROCPRIM_400000_NS6detail17trampoline_kernelINS0_14default_configENS1_29reduce_by_key_config_selectorIxxN6thrust23THRUST_200600_302600_NS4plusIxEEEEZZNS1_33reduce_by_key_impl_wrapped_configILNS1_25lookback_scan_determinismE0ES3_S9_NS6_6detail15normal_iteratorINS6_10device_ptrIxEEEESG_SG_SG_PmS8_NS6_8equal_toIxEEEE10hipError_tPvRmT2_T3_mT4_T5_T6_T7_T8_P12ihipStream_tbENKUlT_T0_E_clISt17integral_constantIbLb1EES11_EEDaSW_SX_EUlSW_E_NS1_11comp_targetILNS1_3genE5ELNS1_11target_archE942ELNS1_3gpuE9ELNS1_3repE0EEENS1_30default_config_static_selectorELNS0_4arch9wavefront6targetE1EEEvT1_,"axG",@progbits,_ZN7rocprim17ROCPRIM_400000_NS6detail17trampoline_kernelINS0_14default_configENS1_29reduce_by_key_config_selectorIxxN6thrust23THRUST_200600_302600_NS4plusIxEEEEZZNS1_33reduce_by_key_impl_wrapped_configILNS1_25lookback_scan_determinismE0ES3_S9_NS6_6detail15normal_iteratorINS6_10device_ptrIxEEEESG_SG_SG_PmS8_NS6_8equal_toIxEEEE10hipError_tPvRmT2_T3_mT4_T5_T6_T7_T8_P12ihipStream_tbENKUlT_T0_E_clISt17integral_constantIbLb1EES11_EEDaSW_SX_EUlSW_E_NS1_11comp_targetILNS1_3genE5ELNS1_11target_archE942ELNS1_3gpuE9ELNS1_3repE0EEENS1_30default_config_static_selectorELNS0_4arch9wavefront6targetE1EEEvT1_,comdat
	.protected	_ZN7rocprim17ROCPRIM_400000_NS6detail17trampoline_kernelINS0_14default_configENS1_29reduce_by_key_config_selectorIxxN6thrust23THRUST_200600_302600_NS4plusIxEEEEZZNS1_33reduce_by_key_impl_wrapped_configILNS1_25lookback_scan_determinismE0ES3_S9_NS6_6detail15normal_iteratorINS6_10device_ptrIxEEEESG_SG_SG_PmS8_NS6_8equal_toIxEEEE10hipError_tPvRmT2_T3_mT4_T5_T6_T7_T8_P12ihipStream_tbENKUlT_T0_E_clISt17integral_constantIbLb1EES11_EEDaSW_SX_EUlSW_E_NS1_11comp_targetILNS1_3genE5ELNS1_11target_archE942ELNS1_3gpuE9ELNS1_3repE0EEENS1_30default_config_static_selectorELNS0_4arch9wavefront6targetE1EEEvT1_ ; -- Begin function _ZN7rocprim17ROCPRIM_400000_NS6detail17trampoline_kernelINS0_14default_configENS1_29reduce_by_key_config_selectorIxxN6thrust23THRUST_200600_302600_NS4plusIxEEEEZZNS1_33reduce_by_key_impl_wrapped_configILNS1_25lookback_scan_determinismE0ES3_S9_NS6_6detail15normal_iteratorINS6_10device_ptrIxEEEESG_SG_SG_PmS8_NS6_8equal_toIxEEEE10hipError_tPvRmT2_T3_mT4_T5_T6_T7_T8_P12ihipStream_tbENKUlT_T0_E_clISt17integral_constantIbLb1EES11_EEDaSW_SX_EUlSW_E_NS1_11comp_targetILNS1_3genE5ELNS1_11target_archE942ELNS1_3gpuE9ELNS1_3repE0EEENS1_30default_config_static_selectorELNS0_4arch9wavefront6targetE1EEEvT1_
	.globl	_ZN7rocprim17ROCPRIM_400000_NS6detail17trampoline_kernelINS0_14default_configENS1_29reduce_by_key_config_selectorIxxN6thrust23THRUST_200600_302600_NS4plusIxEEEEZZNS1_33reduce_by_key_impl_wrapped_configILNS1_25lookback_scan_determinismE0ES3_S9_NS6_6detail15normal_iteratorINS6_10device_ptrIxEEEESG_SG_SG_PmS8_NS6_8equal_toIxEEEE10hipError_tPvRmT2_T3_mT4_T5_T6_T7_T8_P12ihipStream_tbENKUlT_T0_E_clISt17integral_constantIbLb1EES11_EEDaSW_SX_EUlSW_E_NS1_11comp_targetILNS1_3genE5ELNS1_11target_archE942ELNS1_3gpuE9ELNS1_3repE0EEENS1_30default_config_static_selectorELNS0_4arch9wavefront6targetE1EEEvT1_
	.p2align	8
	.type	_ZN7rocprim17ROCPRIM_400000_NS6detail17trampoline_kernelINS0_14default_configENS1_29reduce_by_key_config_selectorIxxN6thrust23THRUST_200600_302600_NS4plusIxEEEEZZNS1_33reduce_by_key_impl_wrapped_configILNS1_25lookback_scan_determinismE0ES3_S9_NS6_6detail15normal_iteratorINS6_10device_ptrIxEEEESG_SG_SG_PmS8_NS6_8equal_toIxEEEE10hipError_tPvRmT2_T3_mT4_T5_T6_T7_T8_P12ihipStream_tbENKUlT_T0_E_clISt17integral_constantIbLb1EES11_EEDaSW_SX_EUlSW_E_NS1_11comp_targetILNS1_3genE5ELNS1_11target_archE942ELNS1_3gpuE9ELNS1_3repE0EEENS1_30default_config_static_selectorELNS0_4arch9wavefront6targetE1EEEvT1_,@function
_ZN7rocprim17ROCPRIM_400000_NS6detail17trampoline_kernelINS0_14default_configENS1_29reduce_by_key_config_selectorIxxN6thrust23THRUST_200600_302600_NS4plusIxEEEEZZNS1_33reduce_by_key_impl_wrapped_configILNS1_25lookback_scan_determinismE0ES3_S9_NS6_6detail15normal_iteratorINS6_10device_ptrIxEEEESG_SG_SG_PmS8_NS6_8equal_toIxEEEE10hipError_tPvRmT2_T3_mT4_T5_T6_T7_T8_P12ihipStream_tbENKUlT_T0_E_clISt17integral_constantIbLb1EES11_EEDaSW_SX_EUlSW_E_NS1_11comp_targetILNS1_3genE5ELNS1_11target_archE942ELNS1_3gpuE9ELNS1_3repE0EEENS1_30default_config_static_selectorELNS0_4arch9wavefront6targetE1EEEvT1_: ; @_ZN7rocprim17ROCPRIM_400000_NS6detail17trampoline_kernelINS0_14default_configENS1_29reduce_by_key_config_selectorIxxN6thrust23THRUST_200600_302600_NS4plusIxEEEEZZNS1_33reduce_by_key_impl_wrapped_configILNS1_25lookback_scan_determinismE0ES3_S9_NS6_6detail15normal_iteratorINS6_10device_ptrIxEEEESG_SG_SG_PmS8_NS6_8equal_toIxEEEE10hipError_tPvRmT2_T3_mT4_T5_T6_T7_T8_P12ihipStream_tbENKUlT_T0_E_clISt17integral_constantIbLb1EES11_EEDaSW_SX_EUlSW_E_NS1_11comp_targetILNS1_3genE5ELNS1_11target_archE942ELNS1_3gpuE9ELNS1_3repE0EEENS1_30default_config_static_selectorELNS0_4arch9wavefront6targetE1EEEvT1_
; %bb.0:
	.section	.rodata,"a",@progbits
	.p2align	6, 0x0
	.amdhsa_kernel _ZN7rocprim17ROCPRIM_400000_NS6detail17trampoline_kernelINS0_14default_configENS1_29reduce_by_key_config_selectorIxxN6thrust23THRUST_200600_302600_NS4plusIxEEEEZZNS1_33reduce_by_key_impl_wrapped_configILNS1_25lookback_scan_determinismE0ES3_S9_NS6_6detail15normal_iteratorINS6_10device_ptrIxEEEESG_SG_SG_PmS8_NS6_8equal_toIxEEEE10hipError_tPvRmT2_T3_mT4_T5_T6_T7_T8_P12ihipStream_tbENKUlT_T0_E_clISt17integral_constantIbLb1EES11_EEDaSW_SX_EUlSW_E_NS1_11comp_targetILNS1_3genE5ELNS1_11target_archE942ELNS1_3gpuE9ELNS1_3repE0EEENS1_30default_config_static_selectorELNS0_4arch9wavefront6targetE1EEEvT1_
		.amdhsa_group_segment_fixed_size 0
		.amdhsa_private_segment_fixed_size 0
		.amdhsa_kernarg_size 136
		.amdhsa_user_sgpr_count 6
		.amdhsa_user_sgpr_private_segment_buffer 1
		.amdhsa_user_sgpr_dispatch_ptr 0
		.amdhsa_user_sgpr_queue_ptr 0
		.amdhsa_user_sgpr_kernarg_segment_ptr 1
		.amdhsa_user_sgpr_dispatch_id 0
		.amdhsa_user_sgpr_flat_scratch_init 0
		.amdhsa_user_sgpr_kernarg_preload_length 0
		.amdhsa_user_sgpr_kernarg_preload_offset 0
		.amdhsa_user_sgpr_private_segment_size 0
		.amdhsa_uses_dynamic_stack 0
		.amdhsa_system_sgpr_private_segment_wavefront_offset 0
		.amdhsa_system_sgpr_workgroup_id_x 1
		.amdhsa_system_sgpr_workgroup_id_y 0
		.amdhsa_system_sgpr_workgroup_id_z 0
		.amdhsa_system_sgpr_workgroup_info 0
		.amdhsa_system_vgpr_workitem_id 0
		.amdhsa_next_free_vgpr 1
		.amdhsa_next_free_sgpr 0
		.amdhsa_accum_offset 4
		.amdhsa_reserve_vcc 0
		.amdhsa_reserve_flat_scratch 0
		.amdhsa_float_round_mode_32 0
		.amdhsa_float_round_mode_16_64 0
		.amdhsa_float_denorm_mode_32 3
		.amdhsa_float_denorm_mode_16_64 3
		.amdhsa_dx10_clamp 1
		.amdhsa_ieee_mode 1
		.amdhsa_fp16_overflow 0
		.amdhsa_tg_split 0
		.amdhsa_exception_fp_ieee_invalid_op 0
		.amdhsa_exception_fp_denorm_src 0
		.amdhsa_exception_fp_ieee_div_zero 0
		.amdhsa_exception_fp_ieee_overflow 0
		.amdhsa_exception_fp_ieee_underflow 0
		.amdhsa_exception_fp_ieee_inexact 0
		.amdhsa_exception_int_div_zero 0
	.end_amdhsa_kernel
	.section	.text._ZN7rocprim17ROCPRIM_400000_NS6detail17trampoline_kernelINS0_14default_configENS1_29reduce_by_key_config_selectorIxxN6thrust23THRUST_200600_302600_NS4plusIxEEEEZZNS1_33reduce_by_key_impl_wrapped_configILNS1_25lookback_scan_determinismE0ES3_S9_NS6_6detail15normal_iteratorINS6_10device_ptrIxEEEESG_SG_SG_PmS8_NS6_8equal_toIxEEEE10hipError_tPvRmT2_T3_mT4_T5_T6_T7_T8_P12ihipStream_tbENKUlT_T0_E_clISt17integral_constantIbLb1EES11_EEDaSW_SX_EUlSW_E_NS1_11comp_targetILNS1_3genE5ELNS1_11target_archE942ELNS1_3gpuE9ELNS1_3repE0EEENS1_30default_config_static_selectorELNS0_4arch9wavefront6targetE1EEEvT1_,"axG",@progbits,_ZN7rocprim17ROCPRIM_400000_NS6detail17trampoline_kernelINS0_14default_configENS1_29reduce_by_key_config_selectorIxxN6thrust23THRUST_200600_302600_NS4plusIxEEEEZZNS1_33reduce_by_key_impl_wrapped_configILNS1_25lookback_scan_determinismE0ES3_S9_NS6_6detail15normal_iteratorINS6_10device_ptrIxEEEESG_SG_SG_PmS8_NS6_8equal_toIxEEEE10hipError_tPvRmT2_T3_mT4_T5_T6_T7_T8_P12ihipStream_tbENKUlT_T0_E_clISt17integral_constantIbLb1EES11_EEDaSW_SX_EUlSW_E_NS1_11comp_targetILNS1_3genE5ELNS1_11target_archE942ELNS1_3gpuE9ELNS1_3repE0EEENS1_30default_config_static_selectorELNS0_4arch9wavefront6targetE1EEEvT1_,comdat
.Lfunc_end480:
	.size	_ZN7rocprim17ROCPRIM_400000_NS6detail17trampoline_kernelINS0_14default_configENS1_29reduce_by_key_config_selectorIxxN6thrust23THRUST_200600_302600_NS4plusIxEEEEZZNS1_33reduce_by_key_impl_wrapped_configILNS1_25lookback_scan_determinismE0ES3_S9_NS6_6detail15normal_iteratorINS6_10device_ptrIxEEEESG_SG_SG_PmS8_NS6_8equal_toIxEEEE10hipError_tPvRmT2_T3_mT4_T5_T6_T7_T8_P12ihipStream_tbENKUlT_T0_E_clISt17integral_constantIbLb1EES11_EEDaSW_SX_EUlSW_E_NS1_11comp_targetILNS1_3genE5ELNS1_11target_archE942ELNS1_3gpuE9ELNS1_3repE0EEENS1_30default_config_static_selectorELNS0_4arch9wavefront6targetE1EEEvT1_, .Lfunc_end480-_ZN7rocprim17ROCPRIM_400000_NS6detail17trampoline_kernelINS0_14default_configENS1_29reduce_by_key_config_selectorIxxN6thrust23THRUST_200600_302600_NS4plusIxEEEEZZNS1_33reduce_by_key_impl_wrapped_configILNS1_25lookback_scan_determinismE0ES3_S9_NS6_6detail15normal_iteratorINS6_10device_ptrIxEEEESG_SG_SG_PmS8_NS6_8equal_toIxEEEE10hipError_tPvRmT2_T3_mT4_T5_T6_T7_T8_P12ihipStream_tbENKUlT_T0_E_clISt17integral_constantIbLb1EES11_EEDaSW_SX_EUlSW_E_NS1_11comp_targetILNS1_3genE5ELNS1_11target_archE942ELNS1_3gpuE9ELNS1_3repE0EEENS1_30default_config_static_selectorELNS0_4arch9wavefront6targetE1EEEvT1_
                                        ; -- End function
	.section	.AMDGPU.csdata,"",@progbits
; Kernel info:
; codeLenInByte = 0
; NumSgprs: 4
; NumVgprs: 0
; NumAgprs: 0
; TotalNumVgprs: 0
; ScratchSize: 0
; MemoryBound: 0
; FloatMode: 240
; IeeeMode: 1
; LDSByteSize: 0 bytes/workgroup (compile time only)
; SGPRBlocks: 0
; VGPRBlocks: 0
; NumSGPRsForWavesPerEU: 4
; NumVGPRsForWavesPerEU: 1
; AccumOffset: 4
; Occupancy: 8
; WaveLimiterHint : 0
; COMPUTE_PGM_RSRC2:SCRATCH_EN: 0
; COMPUTE_PGM_RSRC2:USER_SGPR: 6
; COMPUTE_PGM_RSRC2:TRAP_HANDLER: 0
; COMPUTE_PGM_RSRC2:TGID_X_EN: 1
; COMPUTE_PGM_RSRC2:TGID_Y_EN: 0
; COMPUTE_PGM_RSRC2:TGID_Z_EN: 0
; COMPUTE_PGM_RSRC2:TIDIG_COMP_CNT: 0
; COMPUTE_PGM_RSRC3_GFX90A:ACCUM_OFFSET: 0
; COMPUTE_PGM_RSRC3_GFX90A:TG_SPLIT: 0
	.section	.text._ZN7rocprim17ROCPRIM_400000_NS6detail17trampoline_kernelINS0_14default_configENS1_29reduce_by_key_config_selectorIxxN6thrust23THRUST_200600_302600_NS4plusIxEEEEZZNS1_33reduce_by_key_impl_wrapped_configILNS1_25lookback_scan_determinismE0ES3_S9_NS6_6detail15normal_iteratorINS6_10device_ptrIxEEEESG_SG_SG_PmS8_NS6_8equal_toIxEEEE10hipError_tPvRmT2_T3_mT4_T5_T6_T7_T8_P12ihipStream_tbENKUlT_T0_E_clISt17integral_constantIbLb1EES11_EEDaSW_SX_EUlSW_E_NS1_11comp_targetILNS1_3genE4ELNS1_11target_archE910ELNS1_3gpuE8ELNS1_3repE0EEENS1_30default_config_static_selectorELNS0_4arch9wavefront6targetE1EEEvT1_,"axG",@progbits,_ZN7rocprim17ROCPRIM_400000_NS6detail17trampoline_kernelINS0_14default_configENS1_29reduce_by_key_config_selectorIxxN6thrust23THRUST_200600_302600_NS4plusIxEEEEZZNS1_33reduce_by_key_impl_wrapped_configILNS1_25lookback_scan_determinismE0ES3_S9_NS6_6detail15normal_iteratorINS6_10device_ptrIxEEEESG_SG_SG_PmS8_NS6_8equal_toIxEEEE10hipError_tPvRmT2_T3_mT4_T5_T6_T7_T8_P12ihipStream_tbENKUlT_T0_E_clISt17integral_constantIbLb1EES11_EEDaSW_SX_EUlSW_E_NS1_11comp_targetILNS1_3genE4ELNS1_11target_archE910ELNS1_3gpuE8ELNS1_3repE0EEENS1_30default_config_static_selectorELNS0_4arch9wavefront6targetE1EEEvT1_,comdat
	.protected	_ZN7rocprim17ROCPRIM_400000_NS6detail17trampoline_kernelINS0_14default_configENS1_29reduce_by_key_config_selectorIxxN6thrust23THRUST_200600_302600_NS4plusIxEEEEZZNS1_33reduce_by_key_impl_wrapped_configILNS1_25lookback_scan_determinismE0ES3_S9_NS6_6detail15normal_iteratorINS6_10device_ptrIxEEEESG_SG_SG_PmS8_NS6_8equal_toIxEEEE10hipError_tPvRmT2_T3_mT4_T5_T6_T7_T8_P12ihipStream_tbENKUlT_T0_E_clISt17integral_constantIbLb1EES11_EEDaSW_SX_EUlSW_E_NS1_11comp_targetILNS1_3genE4ELNS1_11target_archE910ELNS1_3gpuE8ELNS1_3repE0EEENS1_30default_config_static_selectorELNS0_4arch9wavefront6targetE1EEEvT1_ ; -- Begin function _ZN7rocprim17ROCPRIM_400000_NS6detail17trampoline_kernelINS0_14default_configENS1_29reduce_by_key_config_selectorIxxN6thrust23THRUST_200600_302600_NS4plusIxEEEEZZNS1_33reduce_by_key_impl_wrapped_configILNS1_25lookback_scan_determinismE0ES3_S9_NS6_6detail15normal_iteratorINS6_10device_ptrIxEEEESG_SG_SG_PmS8_NS6_8equal_toIxEEEE10hipError_tPvRmT2_T3_mT4_T5_T6_T7_T8_P12ihipStream_tbENKUlT_T0_E_clISt17integral_constantIbLb1EES11_EEDaSW_SX_EUlSW_E_NS1_11comp_targetILNS1_3genE4ELNS1_11target_archE910ELNS1_3gpuE8ELNS1_3repE0EEENS1_30default_config_static_selectorELNS0_4arch9wavefront6targetE1EEEvT1_
	.globl	_ZN7rocprim17ROCPRIM_400000_NS6detail17trampoline_kernelINS0_14default_configENS1_29reduce_by_key_config_selectorIxxN6thrust23THRUST_200600_302600_NS4plusIxEEEEZZNS1_33reduce_by_key_impl_wrapped_configILNS1_25lookback_scan_determinismE0ES3_S9_NS6_6detail15normal_iteratorINS6_10device_ptrIxEEEESG_SG_SG_PmS8_NS6_8equal_toIxEEEE10hipError_tPvRmT2_T3_mT4_T5_T6_T7_T8_P12ihipStream_tbENKUlT_T0_E_clISt17integral_constantIbLb1EES11_EEDaSW_SX_EUlSW_E_NS1_11comp_targetILNS1_3genE4ELNS1_11target_archE910ELNS1_3gpuE8ELNS1_3repE0EEENS1_30default_config_static_selectorELNS0_4arch9wavefront6targetE1EEEvT1_
	.p2align	8
	.type	_ZN7rocprim17ROCPRIM_400000_NS6detail17trampoline_kernelINS0_14default_configENS1_29reduce_by_key_config_selectorIxxN6thrust23THRUST_200600_302600_NS4plusIxEEEEZZNS1_33reduce_by_key_impl_wrapped_configILNS1_25lookback_scan_determinismE0ES3_S9_NS6_6detail15normal_iteratorINS6_10device_ptrIxEEEESG_SG_SG_PmS8_NS6_8equal_toIxEEEE10hipError_tPvRmT2_T3_mT4_T5_T6_T7_T8_P12ihipStream_tbENKUlT_T0_E_clISt17integral_constantIbLb1EES11_EEDaSW_SX_EUlSW_E_NS1_11comp_targetILNS1_3genE4ELNS1_11target_archE910ELNS1_3gpuE8ELNS1_3repE0EEENS1_30default_config_static_selectorELNS0_4arch9wavefront6targetE1EEEvT1_,@function
_ZN7rocprim17ROCPRIM_400000_NS6detail17trampoline_kernelINS0_14default_configENS1_29reduce_by_key_config_selectorIxxN6thrust23THRUST_200600_302600_NS4plusIxEEEEZZNS1_33reduce_by_key_impl_wrapped_configILNS1_25lookback_scan_determinismE0ES3_S9_NS6_6detail15normal_iteratorINS6_10device_ptrIxEEEESG_SG_SG_PmS8_NS6_8equal_toIxEEEE10hipError_tPvRmT2_T3_mT4_T5_T6_T7_T8_P12ihipStream_tbENKUlT_T0_E_clISt17integral_constantIbLb1EES11_EEDaSW_SX_EUlSW_E_NS1_11comp_targetILNS1_3genE4ELNS1_11target_archE910ELNS1_3gpuE8ELNS1_3repE0EEENS1_30default_config_static_selectorELNS0_4arch9wavefront6targetE1EEEvT1_: ; @_ZN7rocprim17ROCPRIM_400000_NS6detail17trampoline_kernelINS0_14default_configENS1_29reduce_by_key_config_selectorIxxN6thrust23THRUST_200600_302600_NS4plusIxEEEEZZNS1_33reduce_by_key_impl_wrapped_configILNS1_25lookback_scan_determinismE0ES3_S9_NS6_6detail15normal_iteratorINS6_10device_ptrIxEEEESG_SG_SG_PmS8_NS6_8equal_toIxEEEE10hipError_tPvRmT2_T3_mT4_T5_T6_T7_T8_P12ihipStream_tbENKUlT_T0_E_clISt17integral_constantIbLb1EES11_EEDaSW_SX_EUlSW_E_NS1_11comp_targetILNS1_3genE4ELNS1_11target_archE910ELNS1_3gpuE8ELNS1_3repE0EEENS1_30default_config_static_selectorELNS0_4arch9wavefront6targetE1EEEvT1_
; %bb.0:
	s_load_dwordx8 s[52:59], s[4:5], 0x0
	s_load_dwordx4 s[60:63], s[4:5], 0x20
	s_load_dwordx2 s[64:65], s[4:5], 0x78
	v_cmp_ne_u32_e64 s[2:3], 0, v0
	v_cmp_eq_u32_e64 s[0:1], 0, v0
	s_and_saveexec_b64 s[6:7], s[0:1]
	s_cbranch_execz .LBB481_4
; %bb.1:
	s_mov_b64 s[10:11], exec
	v_mbcnt_lo_u32_b32 v1, s10, 0
	v_mbcnt_hi_u32_b32 v1, s11, v1
	v_cmp_eq_u32_e32 vcc, 0, v1
                                        ; implicit-def: $vgpr2
	s_and_saveexec_b64 s[8:9], vcc
	s_cbranch_execz .LBB481_3
; %bb.2:
	s_load_dwordx2 s[12:13], s[4:5], 0x80
	s_bcnt1_i32_b64 s10, s[10:11]
	v_mov_b32_e32 v2, 0
	v_mov_b32_e32 v3, s10
	s_waitcnt lgkmcnt(0)
	global_atomic_add v2, v2, v3, s[12:13] glc
.LBB481_3:
	s_or_b64 exec, exec, s[8:9]
	s_waitcnt vmcnt(0)
	v_readfirstlane_b32 s8, v2
	v_add_u32_e32 v1, s8, v1
	v_mov_b32_e32 v2, 0
	ds_write_b32 v2, v1
.LBB481_4:
	s_or_b64 exec, exec, s[6:7]
	s_load_dwordx16 s[36:51], s[4:5], 0x38
	v_mov_b32_e32 v3, 0
	s_waitcnt lgkmcnt(0)
	s_lshl_b64 s[4:5], s[54:55], 3
	s_barrier
	ds_read_b32 v1, v3
	s_add_u32 s6, s52, s4
	s_addc_u32 s7, s53, s5
	s_add_u32 s4, s56, s4
	s_mul_i32 s8, s44, s43
	s_mul_hi_u32 s9, s44, s42
	s_addc_u32 s5, s57, s5
	s_add_i32 s8, s9, s8
	s_mul_i32 s9, s45, s42
	s_add_i32 s8, s8, s9
	s_mul_i32 s9, s44, s42
	s_waitcnt lgkmcnt(0)
	v_readfirstlane_b32 s56, v1
	s_movk_i32 s10, 0xf00
	v_mul_lo_u32 v2, v1, s10
	s_add_u32 s52, s9, s56
	v_lshlrev_b64 v[2:3], 3, v[2:3]
	s_addc_u32 s53, s8, 0
	v_mov_b32_e32 v1, s7
	v_add_co_u32_e32 v78, vcc, s6, v2
	s_add_u32 s6, s46, -1
	v_addc_co_u32_e32 v79, vcc, v1, v3, vcc
	s_addc_u32 s7, s47, -1
	v_mov_b32_e32 v4, s5
	v_add_co_u32_e32 v1, vcc, s4, v2
	s_cmp_eq_u64 s[52:53], s[6:7]
	v_addc_co_u32_e32 v76, vcc, v4, v3, vcc
	s_cselect_b64 s[44:45], -1, 0
	s_cmp_lg_u64 s[52:53], s[6:7]
	s_mov_b64 s[4:5], -1
	s_cselect_b64 s[54:55], -1, 0
	s_mul_i32 s33, s6, 0xfffff100
	s_and_b64 vcc, exec, s[44:45]
	s_barrier
	s_cbranch_vccnz .LBB481_6
; %bb.5:
	v_lshlrev_b32_e32 v84, 3, v0
	v_add_co_u32_e32 v2, vcc, v78, v84
	v_addc_co_u32_e32 v3, vcc, 0, v79, vcc
	v_add_co_u32_e32 v4, vcc, 0x1000, v2
	v_addc_co_u32_e32 v5, vcc, 0, v3, vcc
	flat_load_dwordx2 v[6:7], v[2:3]
	flat_load_dwordx2 v[8:9], v[2:3] offset:2048
	flat_load_dwordx2 v[10:11], v[4:5]
	flat_load_dwordx2 v[12:13], v[4:5] offset:2048
	v_add_co_u32_e32 v4, vcc, 0x2000, v2
	v_addc_co_u32_e32 v5, vcc, 0, v3, vcc
	v_add_co_u32_e32 v14, vcc, 0x3000, v2
	v_addc_co_u32_e32 v15, vcc, 0, v3, vcc
	flat_load_dwordx2 v[16:17], v[4:5]
	flat_load_dwordx2 v[18:19], v[4:5] offset:2048
	flat_load_dwordx2 v[20:21], v[14:15]
	flat_load_dwordx2 v[22:23], v[14:15] offset:2048
	;; [unrolled: 8-line block ×3, first 2 shown]
	v_add_co_u32_e32 v4, vcc, 0x6000, v2
	v_addc_co_u32_e32 v5, vcc, 0, v3, vcc
	v_add_co_u32_e32 v2, vcc, 0x7000, v2
	v_addc_co_u32_e32 v3, vcc, 0, v3, vcc
	flat_load_dwordx2 v[14:15], v[4:5]
	flat_load_dwordx2 v[32:33], v[4:5] offset:2048
	flat_load_dwordx2 v[34:35], v[2:3]
	v_add_co_u32_e32 v36, vcc, v1, v84
	s_movk_i32 s4, 0x1000
	v_addc_co_u32_e32 v37, vcc, 0, v76, vcc
	s_movk_i32 s11, 0x70
	s_movk_i32 s5, 0x2000
	v_mad_u32_u24 v77, v0, s11, v84
	s_movk_i32 s6, 0x3000
	s_movk_i32 s7, 0x4000
	;; [unrolled: 1-line block ×5, first 2 shown]
	s_waitcnt vmcnt(0) lgkmcnt(0)
	ds_write2st64_b64 v84, v[6:7], v[8:9] offset1:4
	ds_write2st64_b64 v84, v[10:11], v[12:13] offset0:8 offset1:12
	ds_write2st64_b64 v84, v[16:17], v[18:19] offset0:16 offset1:20
	;; [unrolled: 1-line block ×6, first 2 shown]
	ds_write_b64 v84, v[34:35] offset:28672
	v_add_co_u32_e32 v30, vcc, s4, v36
	v_addc_co_u32_e32 v31, vcc, 0, v37, vcc
	s_waitcnt lgkmcnt(0)
	s_barrier
	ds_read2_b64 v[26:29], v77 offset1:1
	ds_read2_b64 v[22:25], v77 offset0:2 offset1:3
	ds_read2_b64 v[18:21], v77 offset0:4 offset1:5
	;; [unrolled: 1-line block ×6, first 2 shown]
	ds_read_b64 v[74:75], v77 offset:112
	s_waitcnt lgkmcnt(0)
	s_barrier
	flat_load_dwordx2 v[32:33], v[36:37]
	flat_load_dwordx2 v[34:35], v[36:37] offset:2048
	flat_load_dwordx2 v[38:39], v[30:31]
	flat_load_dwordx2 v[40:41], v[30:31] offset:2048
	v_add_co_u32_e32 v30, vcc, s5, v36
	v_addc_co_u32_e32 v31, vcc, 0, v37, vcc
	v_add_co_u32_e32 v42, vcc, s6, v36
	v_addc_co_u32_e32 v43, vcc, 0, v37, vcc
	flat_load_dwordx2 v[44:45], v[30:31]
	flat_load_dwordx2 v[46:47], v[30:31] offset:2048
	flat_load_dwordx2 v[48:49], v[42:43]
	flat_load_dwordx2 v[50:51], v[42:43] offset:2048
	v_add_co_u32_e32 v30, vcc, s7, v36
	v_addc_co_u32_e32 v31, vcc, 0, v37, vcc
	v_add_co_u32_e32 v42, vcc, s8, v36
	v_addc_co_u32_e32 v43, vcc, 0, v37, vcc
	;; [unrolled: 8-line block ×3, first 2 shown]
	flat_load_dwordx2 v[42:43], v[30:31]
	flat_load_dwordx2 v[80:81], v[30:31] offset:2048
	flat_load_dwordx2 v[82:83], v[36:37]
	v_mov_b32_e32 v58, v26
	v_mov_b32_e32 v59, v27
	;; [unrolled: 1-line block ×14, first 2 shown]
	s_waitcnt vmcnt(0) lgkmcnt(0)
	ds_write2st64_b64 v84, v[32:33], v[34:35] offset1:4
	ds_write2st64_b64 v84, v[38:39], v[40:41] offset0:8 offset1:12
	ds_write2st64_b64 v84, v[44:45], v[46:47] offset0:16 offset1:20
	;; [unrolled: 1-line block ×6, first 2 shown]
	ds_write_b64 v84, v[82:83] offset:28672
	s_waitcnt lgkmcnt(0)
	s_barrier
	s_add_i32 s33, s33, s48
	s_cbranch_execz .LBB481_7
	s_branch .LBB481_54
.LBB481_6:
                                        ; implicit-def: $vgpr74_vgpr75
                                        ; implicit-def: $vgpr2_vgpr3
                                        ; implicit-def: $vgpr6_vgpr7
                                        ; implicit-def: $vgpr10_vgpr11
                                        ; implicit-def: $vgpr14_vgpr15
                                        ; implicit-def: $vgpr18_vgpr19
                                        ; implicit-def: $vgpr22_vgpr23
                                        ; implicit-def: $vgpr26_vgpr27
                                        ; implicit-def: $vgpr77
                                        ; implicit-def: $vgpr66_vgpr67_vgpr68_vgpr69
                                        ; implicit-def: $vgpr62_vgpr63_vgpr64_vgpr65
                                        ; implicit-def: $vgpr58_vgpr59_vgpr60_vgpr61
                                        ; implicit-def: $vgpr70_vgpr71_vgpr72_vgpr73
	s_andn2_b64 vcc, exec, s[4:5]
	s_add_i32 s33, s33, s48
	s_cbranch_vccnz .LBB481_54
.LBB481_7:
	v_cmp_gt_u32_e32 vcc, s33, v0
                                        ; implicit-def: $vgpr2_vgpr3
	s_and_saveexec_b64 s[6:7], vcc
	s_cbranch_execz .LBB481_9
; %bb.8:
	v_lshlrev_b32_e32 v2, 3, v0
	v_add_co_u32_e64 v2, s[4:5], v78, v2
	v_addc_co_u32_e64 v3, s[4:5], 0, v79, s[4:5]
	flat_load_dwordx2 v[2:3], v[2:3]
.LBB481_9:
	s_or_b64 exec, exec, s[6:7]
	v_or_b32_e32 v4, 0x100, v0
	v_cmp_gt_u32_e64 s[4:5], s33, v4
                                        ; implicit-def: $vgpr4_vgpr5
	s_and_saveexec_b64 s[8:9], s[4:5]
	s_cbranch_execz .LBB481_11
; %bb.10:
	v_lshlrev_b32_e32 v4, 3, v0
	v_add_co_u32_e64 v4, s[6:7], v78, v4
	v_addc_co_u32_e64 v5, s[6:7], 0, v79, s[6:7]
	flat_load_dwordx2 v[4:5], v[4:5] offset:2048
.LBB481_11:
	s_or_b64 exec, exec, s[8:9]
	v_or_b32_e32 v36, 0x200, v0
	v_cmp_gt_u32_e64 s[6:7], s33, v36
                                        ; implicit-def: $vgpr6_vgpr7
	s_and_saveexec_b64 s[10:11], s[6:7]
	s_cbranch_execz .LBB481_13
; %bb.12:
	v_lshlrev_b32_e32 v6, 3, v36
	v_add_co_u32_e64 v6, s[8:9], v78, v6
	v_addc_co_u32_e64 v7, s[8:9], 0, v79, s[8:9]
	flat_load_dwordx2 v[6:7], v[6:7]
.LBB481_13:
	s_or_b64 exec, exec, s[10:11]
	v_or_b32_e32 v38, 0x300, v0
	v_cmp_gt_u32_e64 s[8:9], s33, v38
                                        ; implicit-def: $vgpr8_vgpr9
	s_and_saveexec_b64 s[12:13], s[8:9]
	s_cbranch_execz .LBB481_15
; %bb.14:
	v_lshlrev_b32_e32 v8, 3, v38
	v_add_co_u32_e64 v8, s[10:11], v78, v8
	v_addc_co_u32_e64 v9, s[10:11], 0, v79, s[10:11]
	flat_load_dwordx2 v[8:9], v[8:9]
.LBB481_15:
	s_or_b64 exec, exec, s[12:13]
	v_or_b32_e32 v40, 0x400, v0
	v_cmp_gt_u32_e64 s[10:11], s33, v40
                                        ; implicit-def: $vgpr10_vgpr11
	s_and_saveexec_b64 s[14:15], s[10:11]
	s_cbranch_execz .LBB481_17
; %bb.16:
	v_lshlrev_b32_e32 v10, 3, v40
	v_add_co_u32_e64 v10, s[12:13], v78, v10
	v_addc_co_u32_e64 v11, s[12:13], 0, v79, s[12:13]
	flat_load_dwordx2 v[10:11], v[10:11]
.LBB481_17:
	s_or_b64 exec, exec, s[14:15]
	v_or_b32_e32 v42, 0x500, v0
	v_cmp_gt_u32_e64 s[12:13], s33, v42
                                        ; implicit-def: $vgpr12_vgpr13
	s_and_saveexec_b64 s[16:17], s[12:13]
	s_cbranch_execz .LBB481_19
; %bb.18:
	v_lshlrev_b32_e32 v12, 3, v42
	v_add_co_u32_e64 v12, s[14:15], v78, v12
	v_addc_co_u32_e64 v13, s[14:15], 0, v79, s[14:15]
	flat_load_dwordx2 v[12:13], v[12:13]
.LBB481_19:
	s_or_b64 exec, exec, s[16:17]
	v_or_b32_e32 v44, 0x600, v0
	v_cmp_gt_u32_e64 s[14:15], s33, v44
                                        ; implicit-def: $vgpr14_vgpr15
	s_and_saveexec_b64 s[18:19], s[14:15]
	s_cbranch_execz .LBB481_21
; %bb.20:
	v_lshlrev_b32_e32 v14, 3, v44
	v_add_co_u32_e64 v14, s[16:17], v78, v14
	v_addc_co_u32_e64 v15, s[16:17], 0, v79, s[16:17]
	flat_load_dwordx2 v[14:15], v[14:15]
.LBB481_21:
	s_or_b64 exec, exec, s[18:19]
	v_or_b32_e32 v46, 0x700, v0
	v_cmp_gt_u32_e64 s[16:17], s33, v46
                                        ; implicit-def: $vgpr16_vgpr17
	s_and_saveexec_b64 s[20:21], s[16:17]
	s_cbranch_execz .LBB481_23
; %bb.22:
	v_lshlrev_b32_e32 v16, 3, v46
	v_add_co_u32_e64 v16, s[18:19], v78, v16
	v_addc_co_u32_e64 v17, s[18:19], 0, v79, s[18:19]
	flat_load_dwordx2 v[16:17], v[16:17]
.LBB481_23:
	s_or_b64 exec, exec, s[20:21]
	v_or_b32_e32 v48, 0x800, v0
	v_cmp_gt_u32_e64 s[18:19], s33, v48
                                        ; implicit-def: $vgpr18_vgpr19
	s_and_saveexec_b64 s[22:23], s[18:19]
	s_cbranch_execz .LBB481_25
; %bb.24:
	v_lshlrev_b32_e32 v18, 3, v48
	v_add_co_u32_e64 v18, s[20:21], v78, v18
	v_addc_co_u32_e64 v19, s[20:21], 0, v79, s[20:21]
	flat_load_dwordx2 v[18:19], v[18:19]
.LBB481_25:
	s_or_b64 exec, exec, s[22:23]
	v_or_b32_e32 v50, 0x900, v0
	v_cmp_gt_u32_e64 s[20:21], s33, v50
                                        ; implicit-def: $vgpr20_vgpr21
	s_and_saveexec_b64 s[24:25], s[20:21]
	s_cbranch_execz .LBB481_27
; %bb.26:
	v_lshlrev_b32_e32 v20, 3, v50
	v_add_co_u32_e64 v20, s[22:23], v78, v20
	v_addc_co_u32_e64 v21, s[22:23], 0, v79, s[22:23]
	flat_load_dwordx2 v[20:21], v[20:21]
.LBB481_27:
	s_or_b64 exec, exec, s[24:25]
	v_or_b32_e32 v52, 0xa00, v0
	v_cmp_gt_u32_e64 s[22:23], s33, v52
                                        ; implicit-def: $vgpr22_vgpr23
	s_and_saveexec_b64 s[26:27], s[22:23]
	s_cbranch_execz .LBB481_29
; %bb.28:
	v_lshlrev_b32_e32 v22, 3, v52
	v_add_co_u32_e64 v22, s[24:25], v78, v22
	v_addc_co_u32_e64 v23, s[24:25], 0, v79, s[24:25]
	flat_load_dwordx2 v[22:23], v[22:23]
.LBB481_29:
	s_or_b64 exec, exec, s[26:27]
	v_or_b32_e32 v54, 0xb00, v0
	v_cmp_gt_u32_e64 s[24:25], s33, v54
                                        ; implicit-def: $vgpr24_vgpr25
	s_and_saveexec_b64 s[28:29], s[24:25]
	s_cbranch_execz .LBB481_31
; %bb.30:
	v_lshlrev_b32_e32 v24, 3, v54
	v_add_co_u32_e64 v24, s[26:27], v78, v24
	v_addc_co_u32_e64 v25, s[26:27], 0, v79, s[26:27]
	flat_load_dwordx2 v[24:25], v[24:25]
.LBB481_31:
	s_or_b64 exec, exec, s[28:29]
	v_or_b32_e32 v56, 0xc00, v0
	v_cmp_gt_u32_e64 s[26:27], s33, v56
                                        ; implicit-def: $vgpr26_vgpr27
	s_and_saveexec_b64 s[30:31], s[26:27]
	s_cbranch_execz .LBB481_33
; %bb.32:
	v_lshlrev_b32_e32 v26, 3, v56
	v_add_co_u32_e64 v26, s[28:29], v78, v26
	v_addc_co_u32_e64 v27, s[28:29], 0, v79, s[28:29]
	flat_load_dwordx2 v[26:27], v[26:27]
.LBB481_33:
	s_or_b64 exec, exec, s[30:31]
	v_or_b32_e32 v58, 0xd00, v0
	v_cmp_gt_u32_e64 s[28:29], s33, v58
                                        ; implicit-def: $vgpr28_vgpr29
	s_and_saveexec_b64 s[34:35], s[28:29]
	s_cbranch_execz .LBB481_35
; %bb.34:
	v_lshlrev_b32_e32 v28, 3, v58
	v_add_co_u32_e64 v28, s[30:31], v78, v28
	v_addc_co_u32_e64 v29, s[30:31], 0, v79, s[30:31]
	flat_load_dwordx2 v[28:29], v[28:29]
.LBB481_35:
	s_or_b64 exec, exec, s[34:35]
	v_or_b32_e32 v61, 0xe00, v0
	v_cmp_gt_u32_e64 s[30:31], s33, v61
                                        ; implicit-def: $vgpr30_vgpr31
	s_and_saveexec_b64 s[46:47], s[30:31]
	s_cbranch_execz .LBB481_37
; %bb.36:
	v_lshlrev_b32_e32 v30, 3, v61
	v_add_co_u32_e64 v30, s[34:35], v78, v30
	v_addc_co_u32_e64 v31, s[34:35], 0, v79, s[34:35]
	flat_load_dwordx2 v[30:31], v[30:31]
.LBB481_37:
	s_or_b64 exec, exec, s[46:47]
	v_lshlrev_b32_e32 v60, 3, v0
	s_movk_i32 s34, 0x70
	v_mad_u32_u24 v77, v0, s34, v60
	s_waitcnt vmcnt(0) lgkmcnt(0)
	ds_write2st64_b64 v60, v[2:3], v[4:5] offset1:4
	ds_write2st64_b64 v60, v[6:7], v[8:9] offset0:8 offset1:12
	ds_write2st64_b64 v60, v[10:11], v[12:13] offset0:16 offset1:20
	;; [unrolled: 1-line block ×6, first 2 shown]
	ds_write_b64 v60, v[30:31] offset:28672
	s_waitcnt lgkmcnt(0)
	s_barrier
	ds_read2_b64 v[26:29], v77 offset1:1
	ds_read2_b64 v[22:25], v77 offset0:2 offset1:3
	ds_read2_b64 v[18:21], v77 offset0:4 offset1:5
	;; [unrolled: 1-line block ×6, first 2 shown]
	ds_read_b64 v[74:75], v77 offset:112
	s_waitcnt lgkmcnt(0)
	s_barrier
	s_waitcnt lgkmcnt(0)
                                        ; implicit-def: $vgpr30_vgpr31
	s_and_saveexec_b64 s[34:35], vcc
	s_cbranch_execnz .LBB481_61
; %bb.38:
	s_or_b64 exec, exec, s[34:35]
                                        ; implicit-def: $vgpr32_vgpr33
	s_and_saveexec_b64 s[34:35], s[4:5]
	s_cbranch_execnz .LBB481_62
.LBB481_39:
	s_or_b64 exec, exec, s[34:35]
                                        ; implicit-def: $vgpr34_vgpr35
	s_and_saveexec_b64 s[4:5], s[6:7]
	s_cbranch_execnz .LBB481_63
.LBB481_40:
	s_or_b64 exec, exec, s[4:5]
                                        ; implicit-def: $vgpr36_vgpr37
	s_and_saveexec_b64 s[4:5], s[8:9]
	s_cbranch_execnz .LBB481_64
.LBB481_41:
	s_or_b64 exec, exec, s[4:5]
                                        ; implicit-def: $vgpr38_vgpr39
	s_and_saveexec_b64 s[4:5], s[10:11]
	s_cbranch_execnz .LBB481_65
.LBB481_42:
	s_or_b64 exec, exec, s[4:5]
                                        ; implicit-def: $vgpr40_vgpr41
	s_and_saveexec_b64 s[4:5], s[12:13]
	s_cbranch_execnz .LBB481_66
.LBB481_43:
	s_or_b64 exec, exec, s[4:5]
                                        ; implicit-def: $vgpr42_vgpr43
	s_and_saveexec_b64 s[4:5], s[14:15]
	s_cbranch_execnz .LBB481_67
.LBB481_44:
	s_or_b64 exec, exec, s[4:5]
                                        ; implicit-def: $vgpr44_vgpr45
	s_and_saveexec_b64 s[4:5], s[16:17]
	s_cbranch_execnz .LBB481_68
.LBB481_45:
	s_or_b64 exec, exec, s[4:5]
                                        ; implicit-def: $vgpr46_vgpr47
	s_and_saveexec_b64 s[4:5], s[18:19]
	s_cbranch_execnz .LBB481_69
.LBB481_46:
	s_or_b64 exec, exec, s[4:5]
                                        ; implicit-def: $vgpr48_vgpr49
	s_and_saveexec_b64 s[4:5], s[20:21]
	s_cbranch_execnz .LBB481_70
.LBB481_47:
	s_or_b64 exec, exec, s[4:5]
                                        ; implicit-def: $vgpr50_vgpr51
	s_and_saveexec_b64 s[4:5], s[22:23]
	s_cbranch_execnz .LBB481_71
.LBB481_48:
	s_or_b64 exec, exec, s[4:5]
                                        ; implicit-def: $vgpr52_vgpr53
	s_and_saveexec_b64 s[4:5], s[24:25]
	s_cbranch_execnz .LBB481_72
.LBB481_49:
	s_or_b64 exec, exec, s[4:5]
                                        ; implicit-def: $vgpr54_vgpr55
	s_and_saveexec_b64 s[4:5], s[26:27]
	s_cbranch_execnz .LBB481_73
.LBB481_50:
	s_or_b64 exec, exec, s[4:5]
                                        ; implicit-def: $vgpr56_vgpr57
	s_and_saveexec_b64 s[4:5], s[28:29]
	s_cbranch_execnz .LBB481_74
.LBB481_51:
	s_or_b64 exec, exec, s[4:5]
                                        ; implicit-def: $vgpr58_vgpr59
	s_and_saveexec_b64 s[4:5], s[30:31]
	s_cbranch_execz .LBB481_53
.LBB481_52:
	v_lshlrev_b32_e32 v58, 3, v61
	v_add_co_u32_e32 v58, vcc, v1, v58
	v_addc_co_u32_e32 v59, vcc, 0, v76, vcc
	flat_load_dwordx2 v[58:59], v[58:59]
.LBB481_53:
	s_or_b64 exec, exec, s[4:5]
	s_waitcnt vmcnt(0) lgkmcnt(0)
	ds_write2st64_b64 v60, v[30:31], v[32:33] offset1:4
	ds_write2st64_b64 v60, v[34:35], v[36:37] offset0:8 offset1:12
	ds_write2st64_b64 v60, v[38:39], v[40:41] offset0:16 offset1:20
	;; [unrolled: 1-line block ×6, first 2 shown]
	ds_write_b64 v60, v[58:59] offset:28672
	v_mov_b32_e32 v58, v26
	v_mov_b32_e32 v59, v27
	;; [unrolled: 1-line block ×14, first 2 shown]
	s_waitcnt lgkmcnt(0)
	s_barrier
.LBB481_54:
	ds_read2_b64 v[54:57], v77 offset1:1
	ds_read2_b64 v[50:53], v77 offset0:2 offset1:3
	ds_read2_b64 v[46:49], v77 offset0:4 offset1:5
	;; [unrolled: 1-line block ×6, first 2 shown]
	ds_read_b64 v[72:73], v77 offset:112
	s_cmp_eq_u64 s[52:53], 0
	s_cselect_b64 s[46:47], -1, 0
	s_cmp_lg_u64 s[52:53], 0
	s_mov_b64 s[6:7], 0
	s_cselect_b64 s[30:31], -1, 0
	s_and_b64 vcc, exec, s[54:55]
	s_waitcnt lgkmcnt(0)
	s_barrier
	s_cbranch_vccz .LBB481_60
; %bb.55:
	s_and_b64 vcc, exec, s[30:31]
	s_cbranch_vccz .LBB481_75
; %bb.56:
	v_add_co_u32_e32 v76, vcc, -8, v78
	v_addc_co_u32_e32 v77, vcc, -1, v79, vcc
	flat_load_dwordx2 v[76:77], v[76:77]
	v_lshlrev_b32_e32 v1, 3, v0
	v_cmp_ne_u64_e32 vcc, v[4:5], v[74:75]
	v_cmp_ne_u64_e64 s[4:5], v[2:3], v[4:5]
	v_cmp_ne_u64_e64 s[6:7], v[8:9], v[2:3]
	;; [unrolled: 1-line block ×13, first 2 shown]
	ds_write_b64 v1, v[74:75]
	s_waitcnt lgkmcnt(0)
	s_barrier
	s_and_saveexec_b64 s[34:35], s[2:3]
	s_cbranch_execz .LBB481_58
; %bb.57:
	v_add_u32_e32 v1, -8, v1
	s_waitcnt vmcnt(0)
	ds_read_b64 v[76:77], v1
.LBB481_58:
	s_or_b64 exec, exec, s[34:35]
	v_cndmask_b32_e64 v1, 0, 1, vcc
	v_cndmask_b32_e64 v100, 0, 1, s[4:5]
	v_cndmask_b32_e64 v101, 0, 1, s[6:7]
	;; [unrolled: 1-line block ×13, first 2 shown]
	s_waitcnt vmcnt(0) lgkmcnt(0)
	v_cmp_ne_u64_e64 s[4:5], v[76:77], v[26:27]
	s_mov_b64 s[6:7], -1
.LBB481_59:
                                        ; implicit-def: $sgpr12
	s_branch .LBB481_87
.LBB481_60:
                                        ; implicit-def: $sgpr4_sgpr5
                                        ; implicit-def: $vgpr1
                                        ; implicit-def: $vgpr100
                                        ; implicit-def: $vgpr101
                                        ; implicit-def: $vgpr102
                                        ; implicit-def: $vgpr103
                                        ; implicit-def: $vgpr104
                                        ; implicit-def: $vgpr105
                                        ; implicit-def: $vgpr106
                                        ; implicit-def: $vgpr107
                                        ; implicit-def: $vgpr108
                                        ; implicit-def: $vgpr109
                                        ; implicit-def: $vgpr110
                                        ; implicit-def: $vgpr111
                                        ; implicit-def: $vgpr112
                                        ; implicit-def: $sgpr12
	s_cbranch_execnz .LBB481_79
	s_branch .LBB481_87
.LBB481_61:
	v_add_co_u32_e32 v30, vcc, v1, v60
	v_addc_co_u32_e32 v31, vcc, 0, v76, vcc
	flat_load_dwordx2 v[30:31], v[30:31]
	s_or_b64 exec, exec, s[34:35]
                                        ; implicit-def: $vgpr32_vgpr33
	s_and_saveexec_b64 s[34:35], s[4:5]
	s_cbranch_execz .LBB481_39
.LBB481_62:
	v_add_co_u32_e32 v32, vcc, v1, v60
	v_addc_co_u32_e32 v33, vcc, 0, v76, vcc
	flat_load_dwordx2 v[32:33], v[32:33] offset:2048
	s_or_b64 exec, exec, s[34:35]
                                        ; implicit-def: $vgpr34_vgpr35
	s_and_saveexec_b64 s[4:5], s[6:7]
	s_cbranch_execz .LBB481_40
.LBB481_63:
	v_lshlrev_b32_e32 v34, 3, v36
	v_add_co_u32_e32 v34, vcc, v1, v34
	v_addc_co_u32_e32 v35, vcc, 0, v76, vcc
	flat_load_dwordx2 v[34:35], v[34:35]
	s_or_b64 exec, exec, s[4:5]
                                        ; implicit-def: $vgpr36_vgpr37
	s_and_saveexec_b64 s[4:5], s[8:9]
	s_cbranch_execz .LBB481_41
.LBB481_64:
	v_lshlrev_b32_e32 v36, 3, v38
	v_add_co_u32_e32 v36, vcc, v1, v36
	v_addc_co_u32_e32 v37, vcc, 0, v76, vcc
	flat_load_dwordx2 v[36:37], v[36:37]
	s_or_b64 exec, exec, s[4:5]
                                        ; implicit-def: $vgpr38_vgpr39
	s_and_saveexec_b64 s[4:5], s[10:11]
	s_cbranch_execz .LBB481_42
.LBB481_65:
	v_lshlrev_b32_e32 v38, 3, v40
	v_add_co_u32_e32 v38, vcc, v1, v38
	v_addc_co_u32_e32 v39, vcc, 0, v76, vcc
	flat_load_dwordx2 v[38:39], v[38:39]
	s_or_b64 exec, exec, s[4:5]
                                        ; implicit-def: $vgpr40_vgpr41
	s_and_saveexec_b64 s[4:5], s[12:13]
	s_cbranch_execz .LBB481_43
.LBB481_66:
	v_lshlrev_b32_e32 v40, 3, v42
	v_add_co_u32_e32 v40, vcc, v1, v40
	v_addc_co_u32_e32 v41, vcc, 0, v76, vcc
	flat_load_dwordx2 v[40:41], v[40:41]
	s_or_b64 exec, exec, s[4:5]
                                        ; implicit-def: $vgpr42_vgpr43
	s_and_saveexec_b64 s[4:5], s[14:15]
	s_cbranch_execz .LBB481_44
.LBB481_67:
	v_lshlrev_b32_e32 v42, 3, v44
	v_add_co_u32_e32 v42, vcc, v1, v42
	v_addc_co_u32_e32 v43, vcc, 0, v76, vcc
	flat_load_dwordx2 v[42:43], v[42:43]
	s_or_b64 exec, exec, s[4:5]
                                        ; implicit-def: $vgpr44_vgpr45
	s_and_saveexec_b64 s[4:5], s[16:17]
	s_cbranch_execz .LBB481_45
.LBB481_68:
	v_lshlrev_b32_e32 v44, 3, v46
	v_add_co_u32_e32 v44, vcc, v1, v44
	v_addc_co_u32_e32 v45, vcc, 0, v76, vcc
	flat_load_dwordx2 v[44:45], v[44:45]
	s_or_b64 exec, exec, s[4:5]
                                        ; implicit-def: $vgpr46_vgpr47
	s_and_saveexec_b64 s[4:5], s[18:19]
	s_cbranch_execz .LBB481_46
.LBB481_69:
	v_lshlrev_b32_e32 v46, 3, v48
	v_add_co_u32_e32 v46, vcc, v1, v46
	v_addc_co_u32_e32 v47, vcc, 0, v76, vcc
	flat_load_dwordx2 v[46:47], v[46:47]
	s_or_b64 exec, exec, s[4:5]
                                        ; implicit-def: $vgpr48_vgpr49
	s_and_saveexec_b64 s[4:5], s[20:21]
	s_cbranch_execz .LBB481_47
.LBB481_70:
	v_lshlrev_b32_e32 v48, 3, v50
	v_add_co_u32_e32 v48, vcc, v1, v48
	v_addc_co_u32_e32 v49, vcc, 0, v76, vcc
	flat_load_dwordx2 v[48:49], v[48:49]
	s_or_b64 exec, exec, s[4:5]
                                        ; implicit-def: $vgpr50_vgpr51
	s_and_saveexec_b64 s[4:5], s[22:23]
	s_cbranch_execz .LBB481_48
.LBB481_71:
	v_lshlrev_b32_e32 v50, 3, v52
	v_add_co_u32_e32 v50, vcc, v1, v50
	v_addc_co_u32_e32 v51, vcc, 0, v76, vcc
	flat_load_dwordx2 v[50:51], v[50:51]
	s_or_b64 exec, exec, s[4:5]
                                        ; implicit-def: $vgpr52_vgpr53
	s_and_saveexec_b64 s[4:5], s[24:25]
	s_cbranch_execz .LBB481_49
.LBB481_72:
	v_lshlrev_b32_e32 v52, 3, v54
	v_add_co_u32_e32 v52, vcc, v1, v52
	v_addc_co_u32_e32 v53, vcc, 0, v76, vcc
	flat_load_dwordx2 v[52:53], v[52:53]
	s_or_b64 exec, exec, s[4:5]
                                        ; implicit-def: $vgpr54_vgpr55
	s_and_saveexec_b64 s[4:5], s[26:27]
	s_cbranch_execz .LBB481_50
.LBB481_73:
	v_lshlrev_b32_e32 v54, 3, v56
	v_add_co_u32_e32 v54, vcc, v1, v54
	v_addc_co_u32_e32 v55, vcc, 0, v76, vcc
	flat_load_dwordx2 v[54:55], v[54:55]
	s_or_b64 exec, exec, s[4:5]
                                        ; implicit-def: $vgpr56_vgpr57
	s_and_saveexec_b64 s[4:5], s[28:29]
	s_cbranch_execz .LBB481_51
.LBB481_74:
	v_lshlrev_b32_e32 v56, 3, v58
	v_add_co_u32_e32 v56, vcc, v1, v56
	v_addc_co_u32_e32 v57, vcc, 0, v76, vcc
	flat_load_dwordx2 v[56:57], v[56:57]
	s_or_b64 exec, exec, s[4:5]
                                        ; implicit-def: $vgpr58_vgpr59
	s_and_saveexec_b64 s[4:5], s[30:31]
	s_cbranch_execnz .LBB481_52
	s_branch .LBB481_53
.LBB481_75:
                                        ; implicit-def: $sgpr4_sgpr5
                                        ; implicit-def: $vgpr1
                                        ; implicit-def: $vgpr100
                                        ; implicit-def: $vgpr101
                                        ; implicit-def: $vgpr102
                                        ; implicit-def: $vgpr103
                                        ; implicit-def: $vgpr104
                                        ; implicit-def: $vgpr105
                                        ; implicit-def: $vgpr106
                                        ; implicit-def: $vgpr107
                                        ; implicit-def: $vgpr108
                                        ; implicit-def: $vgpr109
                                        ; implicit-def: $vgpr110
                                        ; implicit-def: $vgpr111
                                        ; implicit-def: $vgpr112
	s_cbranch_execz .LBB481_59
; %bb.76:
	v_cmp_ne_u64_e32 vcc, v[28:29], v[58:59]
	v_cndmask_b32_e64 v112, 0, 1, vcc
	v_cmp_ne_u64_e32 vcc, v[28:29], v[60:61]
	v_cndmask_b32_e64 v111, 0, 1, vcc
	;; [unrolled: 2-line block ×13, first 2 shown]
	v_cmp_ne_u64_e32 vcc, v[4:5], v[74:75]
	v_lshlrev_b32_e32 v76, 3, v0
	v_cndmask_b32_e64 v1, 0, 1, vcc
	ds_write_b64 v76, v[74:75]
	s_waitcnt lgkmcnt(0)
	s_barrier
	s_waitcnt lgkmcnt(0)
                                        ; implicit-def: $sgpr4_sgpr5
	s_and_saveexec_b64 s[8:9], s[2:3]
	s_xor_b64 s[8:9], exec, s[8:9]
	s_cbranch_execz .LBB481_78
; %bb.77:
	v_add_u32_e32 v58, -8, v76
	ds_read_b64 v[58:59], v58
	s_or_b64 s[6:7], s[6:7], exec
	s_waitcnt lgkmcnt(0)
	v_cmp_ne_u64_e32 vcc, v[58:59], v[26:27]
	s_and_b64 s[4:5], vcc, exec
.LBB481_78:
	s_or_b64 exec, exec, s[8:9]
	s_mov_b32 s12, 1
	s_branch .LBB481_87
.LBB481_79:
	s_mul_hi_u32 s5, s52, 0xfffff100
	s_mul_i32 s4, s53, 0xfffff100
	s_sub_i32 s5, s5, s52
	s_add_i32 s5, s5, s4
	s_mul_i32 s4, s52, 0xfffff100
	s_add_u32 s8, s4, s48
	s_addc_u32 s9, s5, s49
	s_and_b64 vcc, exec, s[30:31]
	s_cbranch_vccz .LBB481_84
; %bb.80:
	v_add_co_u32_e32 v58, vcc, -8, v78
	v_addc_co_u32_e32 v59, vcc, -1, v79, vcc
	flat_load_dwordx2 v[58:59], v[58:59]
	v_mad_u32_u24 v62, v0, 15, 14
	v_mov_b32_e32 v63, 0
	v_cmp_gt_u64_e32 vcc, s[8:9], v[62:63]
	v_cmp_ne_u64_e64 s[4:5], v[4:5], v[74:75]
	v_mad_u32_u24 v62, v0, 15, 13
	s_and_b64 s[6:7], vcc, s[4:5]
	v_cmp_gt_u64_e32 vcc, s[8:9], v[62:63]
	v_cmp_ne_u64_e64 s[4:5], v[2:3], v[4:5]
	v_mad_u32_u24 v62, v0, 15, 12
	s_and_b64 s[10:11], vcc, s[4:5]
	;; [unrolled: 4-line block ×13, first 2 shown]
	v_cmp_gt_u64_e32 vcc, s[8:9], v[62:63]
	v_cmp_ne_u64_e64 s[4:5], v[26:27], v[28:29]
	v_lshlrev_b32_e32 v1, 3, v0
	v_mul_u32_u24_e32 v60, 15, v0
	s_and_b64 s[4:5], vcc, s[4:5]
	ds_write_b64 v1, v[74:75]
	s_waitcnt lgkmcnt(0)
	s_barrier
	s_and_saveexec_b64 s[48:49], s[2:3]
	s_cbranch_execz .LBB481_82
; %bb.81:
	v_add_u32_e32 v1, -8, v1
	s_waitcnt vmcnt(0)
	ds_read_b64 v[58:59], v1
.LBB481_82:
	s_or_b64 exec, exec, s[48:49]
	v_mov_b32_e32 v61, v63
	v_cndmask_b32_e64 v112, 0, 1, s[4:5]
	v_cmp_gt_u64_e32 vcc, s[8:9], v[60:61]
	s_waitcnt vmcnt(0) lgkmcnt(0)
	v_cmp_ne_u64_e64 s[4:5], v[58:59], v[26:27]
	v_cndmask_b32_e64 v1, 0, 1, s[6:7]
	v_cndmask_b32_e64 v100, 0, 1, s[10:11]
	;; [unrolled: 1-line block ×13, first 2 shown]
	s_and_b64 s[4:5], vcc, s[4:5]
	s_mov_b64 s[6:7], -1
.LBB481_83:
                                        ; implicit-def: $sgpr12
	v_mov_b32_e32 v113, s12
	s_and_saveexec_b64 s[2:3], s[6:7]
	s_cbranch_execnz .LBB481_88
	s_branch .LBB481_89
.LBB481_84:
                                        ; implicit-def: $sgpr4_sgpr5
                                        ; implicit-def: $vgpr1
                                        ; implicit-def: $vgpr100
                                        ; implicit-def: $vgpr101
                                        ; implicit-def: $vgpr102
                                        ; implicit-def: $vgpr103
                                        ; implicit-def: $vgpr104
                                        ; implicit-def: $vgpr105
                                        ; implicit-def: $vgpr106
                                        ; implicit-def: $vgpr107
                                        ; implicit-def: $vgpr108
                                        ; implicit-def: $vgpr109
                                        ; implicit-def: $vgpr110
                                        ; implicit-def: $vgpr111
                                        ; implicit-def: $vgpr112
	s_cbranch_execz .LBB481_83
; %bb.85:
	v_mad_u32_u24 v58, v0, 15, 14
	v_mov_b32_e32 v59, 0
	v_cmp_gt_u64_e32 vcc, s[8:9], v[58:59]
	v_cmp_ne_u64_e64 s[4:5], v[4:5], v[74:75]
	s_and_b64 s[4:5], vcc, s[4:5]
	v_mad_u32_u24 v58, v0, 15, 13
	v_cndmask_b32_e64 v1, 0, 1, s[4:5]
	v_cmp_gt_u64_e32 vcc, s[8:9], v[58:59]
	v_cmp_ne_u64_e64 s[4:5], v[2:3], v[4:5]
	s_and_b64 s[4:5], vcc, s[4:5]
	v_mad_u32_u24 v58, v0, 15, 12
	v_cndmask_b32_e64 v100, 0, 1, s[4:5]
	;; [unrolled: 5-line block ×13, first 2 shown]
	v_cmp_gt_u64_e32 vcc, s[8:9], v[58:59]
	v_cmp_ne_u64_e64 s[4:5], v[26:27], v[28:29]
	s_and_b64 s[4:5], vcc, s[4:5]
	v_lshlrev_b32_e32 v60, 3, v0
	s_mov_b32 s12, 1
	v_cndmask_b32_e64 v112, 0, 1, s[4:5]
	ds_write_b64 v60, v[74:75]
	s_waitcnt lgkmcnt(0)
	s_barrier
	s_waitcnt lgkmcnt(0)
                                        ; implicit-def: $sgpr4_sgpr5
	s_and_saveexec_b64 s[10:11], s[2:3]
	s_cbranch_execz .LBB481_228
; %bb.86:
	v_add_u32_e32 v58, -8, v60
	ds_read_b64 v[60:61], v58
	v_mul_u32_u24_e32 v58, 15, v0
	v_cmp_gt_u64_e32 vcc, s[8:9], v[58:59]
	s_or_b64 s[6:7], s[6:7], exec
	s_waitcnt lgkmcnt(0)
	v_cmp_ne_u64_e64 s[2:3], v[60:61], v[26:27]
	s_and_b64 s[2:3], vcc, s[2:3]
	s_and_b64 s[4:5], s[2:3], exec
	s_or_b64 exec, exec, s[10:11]
.LBB481_87:
	v_mov_b32_e32 v113, s12
	s_and_saveexec_b64 s[2:3], s[6:7]
.LBB481_88:
	v_cndmask_b32_e64 v113, 0, 1, s[4:5]
.LBB481_89:
	s_or_b64 exec, exec, s[2:3]
	s_cmp_eq_u64 s[42:43], 0
	v_add3_u32 v58, v112, v113, v111
	v_mov_b32_e32 v64, v54
	v_mov_b32_e32 v65, v55
	s_cselect_b64 s[30:31], -1, 0
	s_cmp_lg_u32 s56, 0
	v_cmp_eq_u32_e64 s[26:27], 0, v112
	v_cmp_eq_u32_e64 s[24:25], 0, v111
	;; [unrolled: 1-line block ×3, first 2 shown]
	v_add3_u32 v115, v58, v110, v109
	v_cmp_eq_u32_e64 s[20:21], 0, v109
	v_cmp_eq_u32_e64 s[18:19], 0, v108
	;; [unrolled: 1-line block ×10, first 2 shown]
	v_cmp_eq_u32_e32 vcc, 0, v1
	v_mbcnt_lo_u32_b32 v114, -1, 0
	s_cbranch_scc0 .LBB481_160
; %bb.90:
	v_cndmask_b32_e64 v59, 0, v54, s[26:27]
	v_cndmask_b32_e64 v58, 0, v55, s[26:27]
	v_add_co_u32_e64 v59, s[28:29], v59, v56
	v_addc_co_u32_e64 v58, s[28:29], v58, v57, s[28:29]
	v_cndmask_b32_e64 v59, 0, v59, s[24:25]
	v_cndmask_b32_e64 v58, 0, v58, s[24:25]
	v_add_co_u32_e64 v59, s[28:29], v59, v50
	v_addc_co_u32_e64 v58, s[28:29], v58, v51, s[28:29]
	;; [unrolled: 4-line block ×11, first 2 shown]
	v_cndmask_b32_e64 v59, 0, v59, s[4:5]
	v_add3_u32 v60, v115, v108, v107
	v_cndmask_b32_e64 v58, 0, v58, s[4:5]
	v_add_co_u32_e64 v59, s[28:29], v59, v30
	v_add3_u32 v60, v60, v106, v105
	v_addc_co_u32_e64 v58, s[28:29], v58, v31, s[28:29]
	v_cndmask_b32_e64 v59, 0, v59, s[2:3]
	v_add3_u32 v60, v60, v104, v103
	v_cndmask_b32_e64 v58, 0, v58, s[2:3]
	v_add_co_u32_e64 v59, s[28:29], v59, v32
	v_add3_u32 v60, v60, v102, v101
	v_addc_co_u32_e64 v58, s[28:29], v58, v33, s[28:29]
	v_cndmask_b32_e32 v59, 0, v59, vcc
	v_add3_u32 v62, v60, v100, v1
	v_cndmask_b32_e32 v58, 0, v58, vcc
	v_add_co_u32_e32 v60, vcc, v59, v72
	v_mbcnt_hi_u32_b32 v63, -1, v114
	v_addc_co_u32_e32 v61, vcc, v58, v73, vcc
	v_and_b32_e32 v58, 15, v63
	v_mov_b32_dpp v66, v62 row_shr:1 row_mask:0xf bank_mask:0xf
	v_mov_b32_dpp v59, v60 row_shr:1 row_mask:0xf bank_mask:0xf
	;; [unrolled: 1-line block ×3, first 2 shown]
	v_cmp_ne_u32_e32 vcc, 0, v58
	s_and_saveexec_b64 s[28:29], vcc
; %bb.91:
	v_cmp_eq_u32_e32 vcc, 0, v62
	v_cndmask_b32_e32 v59, 0, v59, vcc
	v_add_u32_e32 v66, v66, v62
	v_cndmask_b32_e32 v62, 0, v67, vcc
	v_add_co_u32_e32 v60, vcc, v59, v60
	v_addc_co_u32_e32 v61, vcc, v62, v61, vcc
	v_mov_b32_e32 v62, v66
; %bb.92:
	s_or_b64 exec, exec, s[28:29]
	s_nop 0
	v_mov_b32_dpp v66, v62 row_shr:2 row_mask:0xf bank_mask:0xf
	v_mov_b32_dpp v59, v60 row_shr:2 row_mask:0xf bank_mask:0xf
	v_mov_b32_dpp v67, v61 row_shr:2 row_mask:0xf bank_mask:0xf
	v_cmp_lt_u32_e32 vcc, 1, v58
	s_and_saveexec_b64 s[28:29], vcc
; %bb.93:
	v_cmp_eq_u32_e32 vcc, 0, v62
	v_cndmask_b32_e32 v59, 0, v59, vcc
	v_add_u32_e32 v66, v66, v62
	v_cndmask_b32_e32 v62, 0, v67, vcc
	v_add_co_u32_e32 v60, vcc, v59, v60
	v_addc_co_u32_e32 v61, vcc, v62, v61, vcc
	v_mov_b32_e32 v62, v66
; %bb.94:
	s_or_b64 exec, exec, s[28:29]
	s_nop 0
	v_mov_b32_dpp v66, v62 row_shr:4 row_mask:0xf bank_mask:0xf
	v_mov_b32_dpp v59, v60 row_shr:4 row_mask:0xf bank_mask:0xf
	v_mov_b32_dpp v67, v61 row_shr:4 row_mask:0xf bank_mask:0xf
	v_cmp_lt_u32_e32 vcc, 3, v58
	;; [unrolled: 16-line block ×3, first 2 shown]
	s_and_saveexec_b64 s[28:29], vcc
; %bb.97:
	v_cmp_eq_u32_e32 vcc, 0, v62
	v_cndmask_b32_e32 v59, 0, v59, vcc
	v_add_u32_e32 v58, v66, v62
	v_cndmask_b32_e32 v62, 0, v67, vcc
	v_add_co_u32_e32 v60, vcc, v59, v60
	v_addc_co_u32_e32 v61, vcc, v62, v61, vcc
	v_mov_b32_e32 v62, v58
; %bb.98:
	s_or_b64 exec, exec, s[28:29]
	v_and_b32_e32 v67, 16, v63
	v_mov_b32_dpp v59, v62 row_bcast:15 row_mask:0xf bank_mask:0xf
	v_mov_b32_dpp v58, v60 row_bcast:15 row_mask:0xf bank_mask:0xf
	v_mov_b32_dpp v66, v61 row_bcast:15 row_mask:0xf bank_mask:0xf
	v_cmp_ne_u32_e32 vcc, 0, v67
	s_and_saveexec_b64 s[28:29], vcc
; %bb.99:
	v_cmp_eq_u32_e32 vcc, 0, v62
	v_cndmask_b32_e32 v58, 0, v58, vcc
	v_add_u32_e32 v59, v59, v62
	v_cndmask_b32_e32 v62, 0, v66, vcc
	v_add_co_u32_e32 v60, vcc, v58, v60
	v_addc_co_u32_e32 v61, vcc, v62, v61, vcc
	v_mov_b32_e32 v62, v59
; %bb.100:
	s_or_b64 exec, exec, s[28:29]
	s_nop 0
	v_mov_b32_dpp v59, v62 row_bcast:31 row_mask:0xf bank_mask:0xf
	v_mov_b32_dpp v58, v60 row_bcast:31 row_mask:0xf bank_mask:0xf
	;; [unrolled: 1-line block ×3, first 2 shown]
	v_cmp_lt_u32_e32 vcc, 31, v63
	s_and_saveexec_b64 s[28:29], vcc
; %bb.101:
	v_cmp_eq_u32_e32 vcc, 0, v62
	v_cndmask_b32_e32 v58, 0, v58, vcc
	v_add_u32_e32 v59, v59, v62
	v_cndmask_b32_e32 v62, 0, v66, vcc
	v_add_co_u32_e32 v60, vcc, v58, v60
	v_addc_co_u32_e32 v61, vcc, v62, v61, vcc
	v_mov_b32_e32 v62, v59
; %bb.102:
	s_or_b64 exec, exec, s[28:29]
	v_lshrrev_b32_e32 v58, 6, v0
	v_or_b32_e32 v59, 63, v0
	v_cmp_eq_u32_e32 vcc, v59, v0
	v_lshlrev_b32_e32 v66, 4, v58
	s_and_saveexec_b64 s[28:29], vcc
	s_cbranch_execz .LBB481_104
; %bb.103:
	ds_write_b32 v66, v62 offset:4128
	ds_write_b64 v66, v[60:61] offset:4136
.LBB481_104:
	s_or_b64 exec, exec, s[28:29]
	v_cmp_gt_u32_e32 vcc, 4, v0
	s_waitcnt lgkmcnt(0)
	s_barrier
	s_and_saveexec_b64 s[28:29], vcc
	s_cbranch_execz .LBB481_110
; %bb.105:
	v_lshlrev_b32_e32 v67, 4, v0
	ds_read_b32 v68, v67 offset:4128
	ds_read_b64 v[58:59], v67 offset:4136
	v_and_b32_e32 v69, 3, v63
	v_cmp_ne_u32_e32 vcc, 0, v69
	s_waitcnt lgkmcnt(1)
	v_mov_b32_dpp v71, v68 row_shr:1 row_mask:0xf bank_mask:0xf
	s_waitcnt lgkmcnt(0)
	v_mov_b32_dpp v70, v58 row_shr:1 row_mask:0xf bank_mask:0xf
	v_mov_b32_dpp v76, v59 row_shr:1 row_mask:0xf bank_mask:0xf
	s_and_saveexec_b64 s[34:35], vcc
; %bb.106:
	v_cmp_eq_u32_e32 vcc, 0, v68
	v_cndmask_b32_e32 v70, 0, v70, vcc
	v_add_u32_e32 v71, v71, v68
	v_cndmask_b32_e32 v68, 0, v76, vcc
	v_add_co_u32_e32 v58, vcc, v70, v58
	v_addc_co_u32_e32 v59, vcc, v68, v59, vcc
	v_mov_b32_e32 v68, v71
; %bb.107:
	s_or_b64 exec, exec, s[34:35]
	s_nop 0
	v_mov_b32_dpp v71, v68 row_shr:2 row_mask:0xf bank_mask:0xf
	v_mov_b32_dpp v70, v58 row_shr:2 row_mask:0xf bank_mask:0xf
	;; [unrolled: 1-line block ×3, first 2 shown]
	v_cmp_lt_u32_e32 vcc, 1, v69
	s_and_saveexec_b64 s[34:35], vcc
; %bb.108:
	v_cmp_eq_u32_e32 vcc, 0, v68
	v_cndmask_b32_e32 v70, 0, v70, vcc
	v_add_u32_e32 v69, v71, v68
	v_cndmask_b32_e32 v68, 0, v76, vcc
	v_add_co_u32_e32 v58, vcc, v70, v58
	v_addc_co_u32_e32 v59, vcc, v68, v59, vcc
	v_mov_b32_e32 v68, v69
; %bb.109:
	s_or_b64 exec, exec, s[34:35]
	ds_write_b32 v67, v68 offset:4128
	ds_write_b64 v67, v[58:59] offset:4136
.LBB481_110:
	s_or_b64 exec, exec, s[28:29]
	v_cmp_gt_u32_e32 vcc, 64, v0
	v_cmp_lt_u32_e64 s[28:29], 63, v0
	v_pk_mov_b32 v[58:59], 0, 0
	v_mov_b32_e32 v76, 0
	s_waitcnt lgkmcnt(0)
	s_barrier
	s_and_saveexec_b64 s[34:35], s[28:29]
	s_cbranch_execz .LBB481_112
; %bb.111:
	ds_read_b32 v76, v66 offset:4112
	ds_read_b64 v[58:59], v66 offset:4120
	v_cmp_eq_u32_e64 s[28:29], 0, v62
	s_waitcnt lgkmcnt(1)
	v_add_u32_e32 v66, v76, v62
	s_waitcnt lgkmcnt(0)
	v_cndmask_b32_e64 v67, 0, v58, s[28:29]
	v_cndmask_b32_e64 v62, 0, v59, s[28:29]
	v_add_co_u32_e64 v60, s[28:29], v67, v60
	v_addc_co_u32_e64 v61, s[28:29], v62, v61, s[28:29]
	v_mov_b32_e32 v62, v66
.LBB481_112:
	s_or_b64 exec, exec, s[34:35]
	v_add_u32_e32 v66, -1, v63
	v_and_b32_e32 v67, 64, v63
	v_cmp_lt_i32_e64 s[28:29], v66, v67
	v_cndmask_b32_e64 v66, v66, v63, s[28:29]
	v_lshlrev_b32_e32 v66, 2, v66
	ds_bpermute_b32 v77, v66, v62
	ds_bpermute_b32 v78, v66, v60
	;; [unrolled: 1-line block ×3, first 2 shown]
	v_cmp_eq_u32_e64 s[28:29], 0, v63
	s_and_saveexec_b64 s[34:35], vcc
	s_cbranch_execz .LBB481_159
; %bb.113:
	v_mov_b32_e32 v67, 0
	ds_read_b32 v80, v67 offset:4176
	ds_read_b64 v[60:61], v67 offset:4184
	s_and_saveexec_b64 s[42:43], s[28:29]
	s_cbranch_execz .LBB481_115
; %bb.114:
	s_add_i32 s48, s56, 64
	s_mov_b32 s49, 0
	s_lshl_b64 s[52:53], s[48:49], 4
	s_add_u32 s52, s36, s52
	s_addc_u32 s53, s37, s53
	v_mov_b32_e32 v62, s48
	v_mov_b32_e32 v66, 1
	s_waitcnt lgkmcnt(1)
	global_store_dword v67, v80, s[52:53]
	s_waitcnt lgkmcnt(0)
	global_store_dwordx2 v67, v[60:61], s[52:53] offset:8
	s_waitcnt vmcnt(0)
	buffer_wbinvl1_vol
	global_store_byte v62, v66, s[40:41]
.LBB481_115:
	s_or_b64 exec, exec, s[42:43]
	v_xad_u32 v62, v63, -1, s56
	v_add_u32_e32 v66, 64, v62
	global_load_ubyte v81, v66, s[40:41] glc
	s_waitcnt vmcnt(0)
	v_cmp_eq_u16_e32 vcc, 0, v81
	s_and_saveexec_b64 s[42:43], vcc
	s_cbranch_execz .LBB481_121
; %bb.116:
	v_mov_b32_e32 v69, s41
	v_add_co_u32_e32 v68, vcc, s40, v66
	v_addc_co_u32_e32 v69, vcc, 0, v69, vcc
	s_mov_b32 s52, 1
	s_mov_b64 s[48:49], 0
.LBB481_117:                            ; =>This Loop Header: Depth=1
                                        ;     Child Loop BB481_118 Depth 2
	s_max_u32 s53, s52, 1
.LBB481_118:                            ;   Parent Loop BB481_117 Depth=1
                                        ; =>  This Inner Loop Header: Depth=2
	s_add_i32 s53, s53, -1
	s_cmp_eq_u32 s53, 0
	s_sleep 1
	s_cbranch_scc0 .LBB481_118
; %bb.119:                              ;   in Loop: Header=BB481_117 Depth=1
	global_load_ubyte v81, v[68:69], off glc
	s_cmp_lt_u32 s52, 32
	s_cselect_b64 s[54:55], -1, 0
	s_cmp_lg_u64 s[54:55], 0
	s_addc_u32 s52, s52, 0
	s_waitcnt vmcnt(0)
	v_cmp_ne_u16_e32 vcc, 0, v81
	s_or_b64 s[48:49], vcc, s[48:49]
	s_andn2_b64 exec, exec, s[48:49]
	s_cbranch_execnz .LBB481_117
; %bb.120:
	s_or_b64 exec, exec, s[48:49]
.LBB481_121:
	s_or_b64 exec, exec, s[42:43]
	v_mov_b32_e32 v68, s39
	v_mov_b32_e32 v69, s37
	v_cmp_eq_u16_e32 vcc, 1, v81
	v_cndmask_b32_e32 v68, v68, v69, vcc
	v_mov_b32_e32 v69, s38
	v_mov_b32_e32 v70, s36
	v_cndmask_b32_e32 v69, v69, v70, vcc
	v_lshlrev_b64 v[66:67], 4, v[66:67]
	v_add_co_u32_e32 v66, vcc, v69, v66
	v_addc_co_u32_e32 v67, vcc, v68, v67, vcc
	s_waitcnt lgkmcnt(0)
	buffer_wbinvl1_vol
	global_load_dword v96, v[66:67], off
	global_load_dwordx2 v[70:71], v[66:67], off offset:8
	v_cmp_eq_u16_e32 vcc, 2, v81
	v_lshlrev_b64 v[66:67], v63, -1
	v_and_b32_e32 v82, 63, v63
	v_and_b32_e32 v68, vcc_hi, v67
	v_and_b32_e32 v86, vcc_lo, v66
	v_cmp_ne_u32_e32 vcc, 63, v82
	v_addc_co_u32_e32 v69, vcc, 0, v63, vcc
	v_lshlrev_b32_e32 v83, 2, v69
	v_or_b32_e32 v68, 0x80000000, v68
	v_ffbl_b32_e32 v68, v68
	v_add_u32_e32 v68, 32, v68
	v_ffbl_b32_e32 v86, v86
	v_min_u32_e32 v68, v86, v68
	v_cmp_lt_u32_e32 vcc, v82, v68
	s_waitcnt vmcnt(1)
	ds_bpermute_b32 v84, v83, v96
	s_waitcnt vmcnt(0)
	ds_bpermute_b32 v69, v83, v70
	ds_bpermute_b32 v85, v83, v71
	s_and_saveexec_b64 s[42:43], vcc
	s_cbranch_execz .LBB481_123
; %bb.122:
	v_cmp_eq_u32_e32 vcc, 0, v96
	s_waitcnt lgkmcnt(1)
	v_cndmask_b32_e32 v69, 0, v69, vcc
	v_add_u32_e32 v84, v84, v96
	s_waitcnt lgkmcnt(0)
	v_cndmask_b32_e32 v85, 0, v85, vcc
	v_add_co_u32_e32 v70, vcc, v69, v70
	v_addc_co_u32_e32 v71, vcc, v85, v71, vcc
	v_mov_b32_e32 v96, v84
.LBB481_123:
	s_or_b64 exec, exec, s[42:43]
	v_cmp_gt_u32_e32 vcc, 62, v82
	s_waitcnt lgkmcnt(1)
	v_cndmask_b32_e64 v69, 0, 1, vcc
	v_lshlrev_b32_e32 v69, 1, v69
	v_add_lshl_u32 v84, v69, v63, 2
	ds_bpermute_b32 v86, v84, v96
	ds_bpermute_b32 v69, v84, v70
	ds_bpermute_b32 v87, v84, v71
	s_waitcnt lgkmcnt(3)
	v_add_u32_e32 v85, 2, v82
	v_cmp_le_u32_e32 vcc, v85, v68
	s_and_saveexec_b64 s[42:43], vcc
	s_cbranch_execz .LBB481_125
; %bb.124:
	v_cmp_eq_u32_e32 vcc, 0, v96
	s_waitcnt lgkmcnt(1)
	v_cndmask_b32_e32 v69, 0, v69, vcc
	v_add_u32_e32 v86, v86, v96
	s_waitcnt lgkmcnt(0)
	v_cndmask_b32_e32 v87, 0, v87, vcc
	v_add_co_u32_e32 v70, vcc, v69, v70
	v_addc_co_u32_e32 v71, vcc, v87, v71, vcc
	v_mov_b32_e32 v96, v86
.LBB481_125:
	s_or_b64 exec, exec, s[42:43]
	v_cmp_gt_u32_e32 vcc, 60, v82
	s_waitcnt lgkmcnt(1)
	v_cndmask_b32_e64 v69, 0, 1, vcc
	v_lshlrev_b32_e32 v69, 2, v69
	v_add_lshl_u32 v86, v69, v63, 2
	ds_bpermute_b32 v88, v86, v96
	ds_bpermute_b32 v69, v86, v70
	ds_bpermute_b32 v89, v86, v71
	s_waitcnt lgkmcnt(3)
	v_add_u32_e32 v87, 4, v82
	v_cmp_le_u32_e32 vcc, v87, v68
	;; [unrolled: 25-line block ×4, first 2 shown]
	s_and_saveexec_b64 s[42:43], vcc
	s_cbranch_execz .LBB481_131
; %bb.130:
	v_cmp_eq_u32_e32 vcc, 0, v96
	s_waitcnt lgkmcnt(1)
	v_cndmask_b32_e32 v69, 0, v69, vcc
	v_add_u32_e32 v92, v92, v96
	s_waitcnt lgkmcnt(0)
	v_cndmask_b32_e32 v93, 0, v93, vcc
	v_add_co_u32_e32 v70, vcc, v69, v70
	v_addc_co_u32_e32 v71, vcc, v93, v71, vcc
	v_mov_b32_e32 v96, v92
.LBB481_131:
	s_or_b64 exec, exec, s[42:43]
	v_cmp_gt_u32_e32 vcc, 32, v82
	s_waitcnt lgkmcnt(1)
	v_cndmask_b32_e64 v69, 0, 1, vcc
	v_lshlrev_b32_e32 v69, 5, v69
	v_add_lshl_u32 v92, v69, v63, 2
	ds_bpermute_b32 v69, v92, v96
	ds_bpermute_b32 v63, v92, v70
	s_waitcnt lgkmcnt(2)
	ds_bpermute_b32 v93, v92, v71
	v_add_u32_e32 v94, 32, v82
	v_cmp_le_u32_e32 vcc, v94, v68
	s_and_saveexec_b64 s[42:43], vcc
	s_cbranch_execz .LBB481_133
; %bb.132:
	v_cmp_eq_u32_e32 vcc, 0, v96
	s_waitcnt lgkmcnt(1)
	v_cndmask_b32_e32 v63, 0, v63, vcc
	v_add_u32_e32 v68, v69, v96
	s_waitcnt lgkmcnt(0)
	v_cndmask_b32_e32 v69, 0, v93, vcc
	v_add_co_u32_e32 v70, vcc, v63, v70
	v_addc_co_u32_e32 v71, vcc, v69, v71, vcc
	v_mov_b32_e32 v96, v68
.LBB481_133:
	s_or_b64 exec, exec, s[42:43]
	s_waitcnt lgkmcnt(1)
	v_mov_b32_e32 v63, 0
	v_mov_b32_e32 v95, 2
	s_branch .LBB481_135
.LBB481_134:                            ;   in Loop: Header=BB481_135 Depth=1
	s_or_b64 exec, exec, s[42:43]
	v_cmp_eq_u32_e32 vcc, 0, v93
	v_cndmask_b32_e32 v70, 0, v70, vcc
	v_cndmask_b32_e32 v71, 0, v71, vcc
	v_add_co_u32_e32 v70, vcc, v70, v68
	v_subrev_u32_e32 v62, 64, v62
	v_add_u32_e32 v96, v97, v93
	v_addc_co_u32_e32 v71, vcc, v71, v69, vcc
.LBB481_135:                            ; =>This Loop Header: Depth=1
                                        ;     Child Loop BB481_138 Depth 2
                                        ;       Child Loop BB481_139 Depth 3
	v_cmp_ne_u16_sdwa s[42:43], v81, v95 src0_sel:BYTE_0 src1_sel:DWORD
	v_pk_mov_b32 v[68:69], v[70:71], v[70:71] op_sel:[0,1]
	v_cndmask_b32_e64 v70, 0, 1, s[42:43]
	;;#ASMSTART
	;;#ASMEND
	v_cmp_ne_u32_e32 vcc, 0, v70
	s_cmp_lg_u64 vcc, exec
	s_waitcnt lgkmcnt(0)
	v_mov_b32_e32 v93, v96
	s_cbranch_scc1 .LBB481_154
; %bb.136:                              ;   in Loop: Header=BB481_135 Depth=1
	global_load_ubyte v81, v62, s[40:41] glc
	s_waitcnt vmcnt(0)
	v_cmp_eq_u16_e32 vcc, 0, v81
	s_and_saveexec_b64 s[42:43], vcc
	s_cbranch_execz .LBB481_142
; %bb.137:                              ;   in Loop: Header=BB481_135 Depth=1
	v_mov_b32_e32 v71, s41
	v_add_co_u32_e32 v70, vcc, s40, v62
	v_addc_co_u32_e32 v71, vcc, 0, v71, vcc
	s_mov_b32 s52, 1
	s_mov_b64 s[48:49], 0
.LBB481_138:                            ;   Parent Loop BB481_135 Depth=1
                                        ; =>  This Loop Header: Depth=2
                                        ;       Child Loop BB481_139 Depth 3
	s_max_u32 s53, s52, 1
.LBB481_139:                            ;   Parent Loop BB481_135 Depth=1
                                        ;     Parent Loop BB481_138 Depth=2
                                        ; =>    This Inner Loop Header: Depth=3
	s_add_i32 s53, s53, -1
	s_cmp_eq_u32 s53, 0
	s_sleep 1
	s_cbranch_scc0 .LBB481_139
; %bb.140:                              ;   in Loop: Header=BB481_138 Depth=2
	global_load_ubyte v81, v[70:71], off glc
	s_cmp_lt_u32 s52, 32
	s_cselect_b64 s[54:55], -1, 0
	s_cmp_lg_u64 s[54:55], 0
	s_addc_u32 s52, s52, 0
	s_waitcnt vmcnt(0)
	v_cmp_ne_u16_e32 vcc, 0, v81
	s_or_b64 s[48:49], vcc, s[48:49]
	s_andn2_b64 exec, exec, s[48:49]
	s_cbranch_execnz .LBB481_138
; %bb.141:                              ;   in Loop: Header=BB481_135 Depth=1
	s_or_b64 exec, exec, s[48:49]
.LBB481_142:                            ;   in Loop: Header=BB481_135 Depth=1
	s_or_b64 exec, exec, s[42:43]
	v_mov_b32_e32 v70, s39
	v_mov_b32_e32 v71, s37
	v_cmp_eq_u16_e32 vcc, 1, v81
	v_cndmask_b32_e32 v96, v70, v71, vcc
	v_mov_b32_e32 v70, s38
	v_mov_b32_e32 v71, s36
	v_cndmask_b32_e32 v97, v70, v71, vcc
	v_lshlrev_b64 v[70:71], 4, v[62:63]
	v_add_co_u32_e32 v70, vcc, v97, v70
	v_addc_co_u32_e32 v71, vcc, v96, v71, vcc
	buffer_wbinvl1_vol
	global_load_dword v97, v[70:71], off
	s_nop 0
	global_load_dwordx2 v[70:71], v[70:71], off offset:8
	v_cmp_eq_u16_e32 vcc, 2, v81
	v_and_b32_e32 v96, vcc_hi, v67
	v_or_b32_e32 v96, 0x80000000, v96
	v_and_b32_e32 v117, vcc_lo, v66
	v_ffbl_b32_e32 v96, v96
	v_add_u32_e32 v96, 32, v96
	v_ffbl_b32_e32 v117, v117
	v_min_u32_e32 v96, v117, v96
	v_cmp_lt_u32_e32 vcc, v82, v96
	s_waitcnt vmcnt(1)
	ds_bpermute_b32 v99, v83, v97
	s_waitcnt vmcnt(0)
	ds_bpermute_b32 v98, v83, v70
	ds_bpermute_b32 v116, v83, v71
	s_and_saveexec_b64 s[42:43], vcc
	s_cbranch_execz .LBB481_144
; %bb.143:                              ;   in Loop: Header=BB481_135 Depth=1
	v_cmp_eq_u32_e32 vcc, 0, v97
	s_waitcnt lgkmcnt(1)
	v_cndmask_b32_e32 v98, 0, v98, vcc
	v_add_u32_e32 v99, v99, v97
	s_waitcnt lgkmcnt(0)
	v_cndmask_b32_e32 v97, 0, v116, vcc
	v_add_co_u32_e32 v70, vcc, v98, v70
	v_addc_co_u32_e32 v71, vcc, v97, v71, vcc
	v_mov_b32_e32 v97, v99
.LBB481_144:                            ;   in Loop: Header=BB481_135 Depth=1
	s_or_b64 exec, exec, s[42:43]
	s_waitcnt lgkmcnt(2)
	ds_bpermute_b32 v99, v84, v97
	s_waitcnt lgkmcnt(2)
	ds_bpermute_b32 v98, v84, v70
	s_waitcnt lgkmcnt(2)
	ds_bpermute_b32 v116, v84, v71
	v_cmp_le_u32_e32 vcc, v85, v96
	s_and_saveexec_b64 s[42:43], vcc
	s_cbranch_execz .LBB481_146
; %bb.145:                              ;   in Loop: Header=BB481_135 Depth=1
	v_cmp_eq_u32_e32 vcc, 0, v97
	s_waitcnt lgkmcnt(1)
	v_cndmask_b32_e32 v98, 0, v98, vcc
	v_add_u32_e32 v99, v99, v97
	s_waitcnt lgkmcnt(0)
	v_cndmask_b32_e32 v97, 0, v116, vcc
	v_add_co_u32_e32 v70, vcc, v98, v70
	v_addc_co_u32_e32 v71, vcc, v97, v71, vcc
	v_mov_b32_e32 v97, v99
.LBB481_146:                            ;   in Loop: Header=BB481_135 Depth=1
	s_or_b64 exec, exec, s[42:43]
	s_waitcnt lgkmcnt(2)
	ds_bpermute_b32 v99, v86, v97
	s_waitcnt lgkmcnt(2)
	ds_bpermute_b32 v98, v86, v70
	s_waitcnt lgkmcnt(2)
	ds_bpermute_b32 v116, v86, v71
	v_cmp_le_u32_e32 vcc, v87, v96
	;; [unrolled: 21-line block ×5, first 2 shown]
	s_and_saveexec_b64 s[42:43], vcc
	s_cbranch_execz .LBB481_134
; %bb.153:                              ;   in Loop: Header=BB481_135 Depth=1
	v_cmp_eq_u32_e32 vcc, 0, v97
	s_waitcnt lgkmcnt(1)
	v_cndmask_b32_e32 v98, 0, v98, vcc
	v_add_u32_e32 v96, v99, v97
	s_waitcnt lgkmcnt(0)
	v_cndmask_b32_e32 v97, 0, v116, vcc
	v_add_co_u32_e32 v70, vcc, v98, v70
	v_addc_co_u32_e32 v71, vcc, v97, v71, vcc
	v_mov_b32_e32 v97, v96
	s_branch .LBB481_134
.LBB481_154:                            ;   in Loop: Header=BB481_135 Depth=1
                                        ; implicit-def: $vgpr70_vgpr71
                                        ; implicit-def: $vgpr96
                                        ; implicit-def: $vgpr81
	s_cbranch_execz .LBB481_135
; %bb.155:
	s_and_saveexec_b64 s[36:37], s[28:29]
	s_cbranch_execz .LBB481_157
; %bb.156:
	s_mov_b32 s43, 0
	v_cmp_eq_u32_e32 vcc, 0, v80
	s_add_i32 s42, s56, 64
	v_cndmask_b32_e32 v62, 0, v68, vcc
	s_lshl_b64 s[48:49], s[42:43], 4
	v_cndmask_b32_e32 v63, 0, v69, vcc
	v_add_co_u32_e32 v62, vcc, v62, v60
	s_add_u32 s48, s38, s48
	v_add_u32_e32 v66, v93, v80
	v_addc_co_u32_e32 v63, vcc, v63, v61, vcc
	s_addc_u32 s49, s39, s49
	v_mov_b32_e32 v67, 0
	global_store_dword v67, v66, s[48:49]
	global_store_dwordx2 v67, v[62:63], s[48:49] offset:8
	v_mov_b32_e32 v62, s42
	v_mov_b32_e32 v63, 2
	s_waitcnt vmcnt(0) lgkmcnt(0)
	buffer_wbinvl1_vol
	global_store_byte v62, v63, s[40:41]
	ds_write_b32 v67, v80 offset:4096
	ds_write_b64 v67, v[60:61] offset:4104
	ds_write_b32 v67, v93 offset:4112
	ds_write_b64 v67, v[68:69] offset:4120
.LBB481_157:
	s_or_b64 exec, exec, s[36:37]
	s_and_b64 exec, exec, s[0:1]
	s_cbranch_execz .LBB481_159
; %bb.158:
	v_mov_b32_e32 v60, 0
	ds_write_b32 v60, v93 offset:4176
	ds_write_b64 v60, v[68:69] offset:4184
.LBB481_159:
	s_or_b64 exec, exec, s[34:35]
	v_mov_b32_e32 v63, 0
	s_waitcnt lgkmcnt(0)
	s_barrier
	ds_read_b32 v62, v63 offset:4176
	ds_read_b64 v[60:61], v63 offset:4184
	v_cndmask_b32_e64 v66, v77, v76, s[28:29]
	v_cmp_eq_u32_e32 vcc, 0, v66
	v_cndmask_b32_e64 v58, v78, v58, s[28:29]
	v_cndmask_b32_e64 v59, v79, v59, s[28:29]
	s_waitcnt lgkmcnt(0)
	v_cndmask_b32_e32 v68, 0, v60, vcc
	v_cndmask_b32_e32 v67, 0, v61, vcc
	v_add_co_u32_e32 v58, vcc, v68, v58
	v_addc_co_u32_e32 v67, vcc, v67, v59, vcc
	v_cndmask_b32_e64 v94, v58, v60, s[0:1]
	v_cmp_eq_u32_e32 vcc, 0, v113
	v_cndmask_b32_e64 v95, v67, v61, s[0:1]
	v_cndmask_b32_e32 v60, 0, v94, vcc
	v_cndmask_b32_e64 v59, v66, 0, s[0:1]
	v_cndmask_b32_e32 v58, 0, v95, vcc
	v_add_co_u32_e32 v66, vcc, v60, v54
	v_addc_co_u32_e32 v67, vcc, v58, v55, vcc
	v_cndmask_b32_e64 v60, 0, v66, s[26:27]
	v_cndmask_b32_e64 v58, 0, v67, s[26:27]
	v_add_co_u32_e32 v68, vcc, v60, v56
	v_addc_co_u32_e32 v69, vcc, v58, v57, vcc
	v_cndmask_b32_e64 v60, 0, v68, s[24:25]
	v_cndmask_b32_e64 v58, 0, v69, s[24:25]
	;; [unrolled: 4-line block ×11, first 2 shown]
	v_add_co_u32_e32 v92, vcc, v60, v36
	v_add_u32_e32 v59, v62, v59
	v_addc_co_u32_e32 v93, vcc, v58, v37, vcc
	s_barrier
	ds_read_b32 v58, v63 offset:4096
	ds_read_b64 v[60:61], v63 offset:4104
	ds_read_b32 v62, v63 offset:4112
	ds_read_b64 v[116:117], v63 offset:4120
	v_cndmask_b32_e64 v96, 0, v92, s[4:5]
	v_cndmask_b32_e64 v97, 0, v93, s[4:5]
	v_add_co_u32_e32 v96, vcc, v96, v30
	v_addc_co_u32_e32 v97, vcc, v97, v31, vcc
	s_waitcnt lgkmcnt(3)
	v_cmp_eq_u32_e32 vcc, 0, v58
	s_waitcnt lgkmcnt(0)
	v_cndmask_b32_e32 v116, 0, v116, vcc
	v_cndmask_b32_e32 v63, 0, v117, vcc
	v_add_co_u32_e32 v60, vcc, v116, v60
	v_cndmask_b32_e64 v99, 0, v97, s[2:3]
	v_cndmask_b32_e64 v98, 0, v96, s[2:3]
	v_addc_co_u32_e32 v61, vcc, v63, v61, vcc
	s_branch .LBB481_188
.LBB481_160:
                                        ; implicit-def: $vgpr58
                                        ; implicit-def: $vgpr60_vgpr61
                                        ; implicit-def: $vgpr62
                                        ; implicit-def: $vgpr94_vgpr95
                                        ; implicit-def: $vgpr66_vgpr67
                                        ; implicit-def: $vgpr68_vgpr69
                                        ; implicit-def: $vgpr70_vgpr71
                                        ; implicit-def: $vgpr76_vgpr77
                                        ; implicit-def: $vgpr78_vgpr79
                                        ; implicit-def: $vgpr80_vgpr81
                                        ; implicit-def: $vgpr82_vgpr83
                                        ; implicit-def: $vgpr84_vgpr85
                                        ; implicit-def: $vgpr86_vgpr87
                                        ; implicit-def: $vgpr88_vgpr89
                                        ; implicit-def: $vgpr90_vgpr91
                                        ; implicit-def: $vgpr92_vgpr93
                                        ; implicit-def: $vgpr96_vgpr97
                                        ; implicit-def: $vgpr98_vgpr99
                                        ; implicit-def: $vgpr59
	s_cbranch_execz .LBB481_188
; %bb.161:
	s_and_b64 s[2:3], s[30:31], exec
	s_cselect_b32 s3, 0, s65
	s_cselect_b32 s2, 0, s64
	s_cmp_eq_u64 s[2:3], 0
	s_cbranch_scc1 .LBB481_163
; %bb.162:
	v_mov_b32_e32 v58, 0
	global_load_dwordx2 v[64:65], v58, s[2:3]
.LBB481_163:
	v_cmp_eq_u32_e64 s[24:25], 0, v112
	v_cndmask_b32_e64 v59, 0, v54, s[24:25]
	v_cndmask_b32_e64 v58, 0, v55, s[24:25]
	v_add_co_u32_e32 v59, vcc, v59, v56
	v_cmp_eq_u32_e64 s[22:23], 0, v111
	v_addc_co_u32_e32 v58, vcc, v58, v57, vcc
	v_cndmask_b32_e64 v59, 0, v59, s[22:23]
	v_cndmask_b32_e64 v58, 0, v58, s[22:23]
	v_add_co_u32_e32 v59, vcc, v59, v50
	v_cmp_eq_u32_e64 s[20:21], 0, v110
	v_addc_co_u32_e32 v58, vcc, v58, v51, vcc
	;; [unrolled: 5-line block ×11, first 2 shown]
	v_cndmask_b32_e64 v59, 0, v59, s[4:5]
	v_cndmask_b32_e64 v58, 0, v58, s[4:5]
	v_add_co_u32_e32 v59, vcc, v59, v30
	v_addc_co_u32_e32 v58, vcc, v58, v31, vcc
	v_cmp_eq_u32_e32 vcc, 0, v100
	v_add3_u32 v60, v115, v108, v107
	v_cndmask_b32_e32 v59, 0, v59, vcc
	v_add3_u32 v60, v60, v106, v105
	v_cndmask_b32_e32 v58, 0, v58, vcc
	v_add_co_u32_e64 v59, s[26:27], v59, v32
	v_add3_u32 v60, v60, v104, v103
	v_addc_co_u32_e64 v58, s[26:27], v58, v33, s[26:27]
	v_add3_u32 v60, v60, v102, v101
	v_cmp_eq_u32_e64 s[26:27], 0, v1
	v_add3_u32 v63, v60, v100, v1
	v_cndmask_b32_e64 v60, 0, v58, s[26:27]
	v_cndmask_b32_e64 v58, 0, v59, s[26:27]
	v_add_co_u32_e64 v58, s[26:27], v58, v72
	v_mbcnt_hi_u32_b32 v62, -1, v114
	v_addc_co_u32_e64 v59, s[26:27], v60, v73, s[26:27]
	v_and_b32_e32 v60, 15, v62
	v_mov_b32_dpp v66, v63 row_shr:1 row_mask:0xf bank_mask:0xf
	v_mov_b32_dpp v61, v58 row_shr:1 row_mask:0xf bank_mask:0xf
	;; [unrolled: 1-line block ×3, first 2 shown]
	v_cmp_ne_u32_e64 s[26:27], 0, v60
	s_and_saveexec_b64 s[28:29], s[26:27]
; %bb.164:
	v_cmp_eq_u32_e64 s[26:27], 0, v63
	v_cndmask_b32_e64 v61, 0, v61, s[26:27]
	v_add_u32_e32 v66, v66, v63
	v_cndmask_b32_e64 v63, 0, v67, s[26:27]
	v_add_co_u32_e64 v58, s[26:27], v61, v58
	v_addc_co_u32_e64 v59, s[26:27], v63, v59, s[26:27]
	v_mov_b32_e32 v63, v66
; %bb.165:
	s_or_b64 exec, exec, s[28:29]
	s_nop 0
	v_mov_b32_dpp v66, v63 row_shr:2 row_mask:0xf bank_mask:0xf
	v_mov_b32_dpp v61, v58 row_shr:2 row_mask:0xf bank_mask:0xf
	v_mov_b32_dpp v67, v59 row_shr:2 row_mask:0xf bank_mask:0xf
	v_cmp_lt_u32_e64 s[26:27], 1, v60
	s_and_saveexec_b64 s[28:29], s[26:27]
; %bb.166:
	v_cmp_eq_u32_e64 s[26:27], 0, v63
	v_cndmask_b32_e64 v61, 0, v61, s[26:27]
	v_add_u32_e32 v66, v66, v63
	v_cndmask_b32_e64 v63, 0, v67, s[26:27]
	v_add_co_u32_e64 v58, s[26:27], v61, v58
	v_addc_co_u32_e64 v59, s[26:27], v63, v59, s[26:27]
	v_mov_b32_e32 v63, v66
; %bb.167:
	s_or_b64 exec, exec, s[28:29]
	s_nop 0
	v_mov_b32_dpp v66, v63 row_shr:4 row_mask:0xf bank_mask:0xf
	v_mov_b32_dpp v61, v58 row_shr:4 row_mask:0xf bank_mask:0xf
	v_mov_b32_dpp v67, v59 row_shr:4 row_mask:0xf bank_mask:0xf
	v_cmp_lt_u32_e64 s[26:27], 3, v60
	;; [unrolled: 16-line block ×3, first 2 shown]
	s_and_saveexec_b64 s[28:29], s[26:27]
; %bb.170:
	v_cmp_eq_u32_e64 s[26:27], 0, v63
	v_cndmask_b32_e64 v61, 0, v61, s[26:27]
	v_add_u32_e32 v60, v66, v63
	v_cndmask_b32_e64 v63, 0, v67, s[26:27]
	v_add_co_u32_e64 v58, s[26:27], v61, v58
	v_addc_co_u32_e64 v59, s[26:27], v63, v59, s[26:27]
	v_mov_b32_e32 v63, v60
; %bb.171:
	s_or_b64 exec, exec, s[28:29]
	v_and_b32_e32 v67, 16, v62
	v_mov_b32_dpp v61, v63 row_bcast:15 row_mask:0xf bank_mask:0xf
	v_mov_b32_dpp v60, v58 row_bcast:15 row_mask:0xf bank_mask:0xf
	;; [unrolled: 1-line block ×3, first 2 shown]
	v_cmp_ne_u32_e64 s[26:27], 0, v67
	s_and_saveexec_b64 s[28:29], s[26:27]
; %bb.172:
	v_cmp_eq_u32_e64 s[26:27], 0, v63
	v_cndmask_b32_e64 v60, 0, v60, s[26:27]
	v_add_u32_e32 v61, v61, v63
	v_cndmask_b32_e64 v63, 0, v66, s[26:27]
	v_add_co_u32_e64 v58, s[26:27], v60, v58
	v_addc_co_u32_e64 v59, s[26:27], v63, v59, s[26:27]
	v_mov_b32_e32 v63, v61
; %bb.173:
	s_or_b64 exec, exec, s[28:29]
	s_nop 0
	v_mov_b32_dpp v61, v63 row_bcast:31 row_mask:0xf bank_mask:0xf
	v_mov_b32_dpp v60, v58 row_bcast:31 row_mask:0xf bank_mask:0xf
	;; [unrolled: 1-line block ×3, first 2 shown]
	v_cmp_lt_u32_e64 s[26:27], 31, v62
	s_and_saveexec_b64 s[28:29], s[26:27]
; %bb.174:
	v_cmp_eq_u32_e64 s[26:27], 0, v63
	v_cndmask_b32_e64 v60, 0, v60, s[26:27]
	v_add_u32_e32 v61, v61, v63
	v_cndmask_b32_e64 v63, 0, v66, s[26:27]
	v_add_co_u32_e64 v58, s[26:27], v60, v58
	v_addc_co_u32_e64 v59, s[26:27], v63, v59, s[26:27]
	v_mov_b32_e32 v63, v61
; %bb.175:
	s_or_b64 exec, exec, s[28:29]
	v_or_b32_e32 v60, 63, v0
	v_lshrrev_b32_e32 v66, 6, v0
	v_cmp_eq_u32_e64 s[26:27], v60, v0
	s_and_saveexec_b64 s[28:29], s[26:27]
	s_cbranch_execz .LBB481_177
; %bb.176:
	v_lshlrev_b32_e32 v60, 4, v66
	ds_write_b32 v60, v63 offset:4128
	ds_write_b64 v60, v[58:59] offset:4136
.LBB481_177:
	s_or_b64 exec, exec, s[28:29]
	v_cmp_gt_u32_e64 s[26:27], 4, v0
	s_waitcnt lgkmcnt(0)
	s_barrier
	s_and_saveexec_b64 s[28:29], s[26:27]
	s_cbranch_execz .LBB481_183
; %bb.178:
	v_lshlrev_b32_e32 v67, 4, v0
	ds_read_b32 v68, v67 offset:4128
	ds_read_b64 v[60:61], v67 offset:4136
	v_and_b32_e32 v69, 3, v62
	v_cmp_ne_u32_e64 s[26:27], 0, v69
	s_waitcnt lgkmcnt(1)
	v_mov_b32_dpp v71, v68 row_shr:1 row_mask:0xf bank_mask:0xf
	s_waitcnt lgkmcnt(0)
	v_mov_b32_dpp v70, v60 row_shr:1 row_mask:0xf bank_mask:0xf
	v_mov_b32_dpp v72, v61 row_shr:1 row_mask:0xf bank_mask:0xf
	s_and_saveexec_b64 s[34:35], s[26:27]
; %bb.179:
	v_cmp_eq_u32_e64 s[26:27], 0, v68
	v_cndmask_b32_e64 v70, 0, v70, s[26:27]
	v_add_u32_e32 v71, v71, v68
	v_cndmask_b32_e64 v68, 0, v72, s[26:27]
	v_add_co_u32_e64 v60, s[26:27], v70, v60
	v_addc_co_u32_e64 v61, s[26:27], v68, v61, s[26:27]
	v_mov_b32_e32 v68, v71
; %bb.180:
	s_or_b64 exec, exec, s[34:35]
	s_nop 0
	v_mov_b32_dpp v71, v68 row_shr:2 row_mask:0xf bank_mask:0xf
	v_mov_b32_dpp v70, v60 row_shr:2 row_mask:0xf bank_mask:0xf
	;; [unrolled: 1-line block ×3, first 2 shown]
	v_cmp_lt_u32_e64 s[26:27], 1, v69
	s_and_saveexec_b64 s[34:35], s[26:27]
; %bb.181:
	v_cmp_eq_u32_e64 s[26:27], 0, v68
	v_cndmask_b32_e64 v70, 0, v70, s[26:27]
	v_add_u32_e32 v69, v71, v68
	v_cndmask_b32_e64 v68, 0, v72, s[26:27]
	v_add_co_u32_e64 v60, s[26:27], v70, v60
	v_addc_co_u32_e64 v61, s[26:27], v68, v61, s[26:27]
	v_mov_b32_e32 v68, v69
; %bb.182:
	s_or_b64 exec, exec, s[34:35]
	ds_write_b32 v67, v68 offset:4128
	ds_write_b64 v67, v[60:61] offset:4136
.LBB481_183:
	s_or_b64 exec, exec, s[28:29]
	v_cmp_lt_u32_e64 s[26:27], 63, v0
	v_mov_b32_e32 v72, 0
	v_mov_b32_e32 v67, 0
	s_waitcnt vmcnt(0)
	v_pk_mov_b32 v[60:61], v[64:65], v[64:65] op_sel:[0,1]
	s_waitcnt lgkmcnt(0)
	s_barrier
	s_and_saveexec_b64 s[28:29], s[26:27]
	s_cbranch_execz .LBB481_185
; %bb.184:
	v_lshlrev_b32_e32 v60, 4, v66
	ds_read_b32 v67, v60 offset:4112
	ds_read_b64 v[60:61], v60 offset:4120
	s_waitcnt lgkmcnt(1)
	v_cmp_eq_u32_e64 s[26:27], 0, v67
	v_cndmask_b32_e64 v68, 0, v64, s[26:27]
	v_cndmask_b32_e64 v66, 0, v65, s[26:27]
	s_waitcnt lgkmcnt(0)
	v_add_co_u32_e64 v60, s[26:27], v68, v60
	v_addc_co_u32_e64 v61, s[26:27], v66, v61, s[26:27]
.LBB481_185:
	s_or_b64 exec, exec, s[28:29]
	v_cmp_eq_u32_e64 s[26:27], 0, v63
	v_cndmask_b32_e64 v68, 0, v60, s[26:27]
	v_add_u32_e32 v66, v67, v63
	v_cndmask_b32_e64 v63, 0, v61, s[26:27]
	v_add_co_u32_e64 v58, s[26:27], v68, v58
	v_addc_co_u32_e64 v59, s[26:27], v63, v59, s[26:27]
	v_add_u32_e32 v63, -1, v62
	v_and_b32_e32 v68, 64, v62
	v_cmp_lt_i32_e64 s[26:27], v63, v68
	v_cndmask_b32_e64 v63, v63, v62, s[26:27]
	v_lshlrev_b32_e32 v63, 2, v63
	ds_bpermute_b32 v58, v63, v58
	ds_bpermute_b32 v66, v63, v66
	;; [unrolled: 1-line block ×3, first 2 shown]
	v_cmp_eq_u32_e64 s[26:27], 0, v62
	s_waitcnt lgkmcnt(2)
	v_cndmask_b32_e64 v94, v58, v60, s[26:27]
	s_waitcnt lgkmcnt(1)
	v_cndmask_b32_e64 v59, v66, v67, s[26:27]
	;; [unrolled: 2-line block ×3, first 2 shown]
	v_cndmask_b32_e64 v58, v94, v64, s[0:1]
	v_cmp_eq_u32_e64 s[26:27], 0, v113
	v_cndmask_b32_e64 v60, v95, v65, s[0:1]
	v_cndmask_b32_e64 v58, 0, v58, s[26:27]
	v_cndmask_b32_e64 v60, 0, v60, s[26:27]
	v_add_co_u32_e64 v66, s[26:27], v58, v54
	v_addc_co_u32_e64 v67, s[26:27], v60, v55, s[26:27]
	v_cndmask_b32_e64 v55, 0, v66, s[24:25]
	v_cndmask_b32_e64 v54, 0, v67, s[24:25]
	v_add_co_u32_e64 v68, s[24:25], v55, v56
	v_addc_co_u32_e64 v69, s[24:25], v54, v57, s[24:25]
	v_cndmask_b32_e64 v55, 0, v68, s[22:23]
	v_cndmask_b32_e64 v54, 0, v69, s[22:23]
	v_add_co_u32_e64 v70, s[22:23], v55, v50
	v_addc_co_u32_e64 v71, s[22:23], v54, v51, s[22:23]
	v_cndmask_b32_e64 v51, 0, v70, s[20:21]
	v_cndmask_b32_e64 v50, 0, v71, s[20:21]
	v_add_co_u32_e64 v76, s[20:21], v51, v52
	v_addc_co_u32_e64 v77, s[20:21], v50, v53, s[20:21]
	v_cndmask_b32_e64 v51, 0, v76, s[18:19]
	v_cndmask_b32_e64 v50, 0, v77, s[18:19]
	v_add_co_u32_e64 v78, s[18:19], v51, v46
	v_addc_co_u32_e64 v79, s[18:19], v50, v47, s[18:19]
	v_cndmask_b32_e64 v47, 0, v78, s[14:15]
	v_cndmask_b32_e64 v46, 0, v79, s[14:15]
	v_add_co_u32_e64 v80, s[14:15], v47, v48
	v_addc_co_u32_e64 v81, s[14:15], v46, v49, s[14:15]
	v_cndmask_b32_e64 v47, 0, v80, s[16:17]
	v_cndmask_b32_e64 v46, 0, v81, s[16:17]
	v_add_co_u32_e64 v82, s[14:15], v47, v42
	v_addc_co_u32_e64 v83, s[14:15], v46, v43, s[14:15]
	v_cndmask_b32_e64 v43, 0, v82, s[10:11]
	v_cndmask_b32_e64 v42, 0, v83, s[10:11]
	v_add_co_u32_e64 v84, s[10:11], v43, v44
	v_addc_co_u32_e64 v85, s[10:11], v42, v45, s[10:11]
	v_cndmask_b32_e64 v43, 0, v84, s[12:13]
	v_cndmask_b32_e64 v42, 0, v85, s[12:13]
	v_add_co_u32_e64 v86, s[10:11], v43, v38
	v_addc_co_u32_e64 v87, s[10:11], v42, v39, s[10:11]
	v_cndmask_b32_e64 v39, 0, v86, s[6:7]
	v_cndmask_b32_e64 v38, 0, v87, s[6:7]
	v_add_co_u32_e64 v88, s[6:7], v39, v40
	v_addc_co_u32_e64 v89, s[6:7], v38, v41, s[6:7]
	v_cndmask_b32_e64 v39, 0, v88, s[8:9]
	v_cndmask_b32_e64 v38, 0, v89, s[8:9]
	v_add_co_u32_e64 v90, s[6:7], v39, v34
	v_addc_co_u32_e64 v91, s[6:7], v38, v35, s[6:7]
	v_cndmask_b32_e64 v35, 0, v90, s[2:3]
	v_cndmask_b32_e64 v34, 0, v91, s[2:3]
	v_add_co_u32_e64 v92, s[2:3], v35, v36
	v_addc_co_u32_e64 v93, s[2:3], v34, v37, s[2:3]
	v_cndmask_b32_e64 v35, 0, v92, s[4:5]
	ds_read_b32 v58, v72 offset:4176
	v_cndmask_b32_e64 v34, 0, v93, s[4:5]
	v_add_co_u32_e64 v96, s[2:3], v35, v30
	v_addc_co_u32_e64 v97, s[2:3], v34, v31, s[2:3]
	ds_read_b64 v[30:31], v72 offset:4184
	v_cndmask_b32_e32 v99, 0, v97, vcc
	v_cndmask_b32_e32 v98, 0, v96, vcc
	s_waitcnt lgkmcnt(1)
	v_cmp_eq_u32_e32 vcc, 0, v58
	v_cndmask_b32_e32 v35, 0, v64, vcc
	v_cndmask_b32_e32 v34, 0, v65, vcc
	s_waitcnt lgkmcnt(0)
	v_add_co_u32_e32 v60, vcc, v35, v30
	v_addc_co_u32_e32 v61, vcc, v34, v31, vcc
	s_and_saveexec_b64 s[2:3], s[0:1]
	s_cbranch_execz .LBB481_187
; %bb.186:
	v_mov_b32_e32 v59, 0
	v_mov_b32_e32 v30, 2
	v_pk_mov_b32 v[94:95], v[64:65], v[64:65] op_sel:[0,1]
	global_store_dword v59, v58, s[38:39] offset:1024
	global_store_dwordx2 v59, v[60:61], s[38:39] offset:1032
	s_waitcnt vmcnt(0)
	buffer_wbinvl1_vol
	global_store_byte v59, v30, s[40:41] offset:64
.LBB481_187:
	s_or_b64 exec, exec, s[2:3]
	v_mov_b32_e32 v62, 0
.LBB481_188:
	s_and_b64 s[2:3], s[30:31], exec
	s_cselect_b32 s3, 0, s51
	s_cselect_b32 s2, 0, s50
	s_cmp_eq_u64 s[2:3], 0
	v_pk_mov_b32 v[30:31], 0, 0
	s_barrier
	s_cbranch_scc1 .LBB481_190
; %bb.189:
	v_mov_b32_e32 v30, 0
	global_load_dwordx2 v[30:31], v30, s[2:3]
.LBB481_190:
	s_waitcnt vmcnt(0)
	v_lshlrev_b64 v[34:35], 3, v[30:31]
	v_mov_b32_e32 v36, s59
	v_add_co_u32_e32 v52, vcc, s58, v34
	v_mov_b32_e32 v63, 0
	v_addc_co_u32_e32 v53, vcc, v36, v35, vcc
	v_lshlrev_b64 v[36:37], 3, v[62:63]
	v_add_co_u32_e32 v52, vcc, v52, v36
	v_addc_co_u32_e32 v53, vcc, v53, v37, vcc
	v_cmp_eq_u32_e32 vcc, 0, v113
	v_cndmask_b32_e64 v54, 1, 2, vcc
	v_cmp_eq_u32_e32 vcc, 0, v112
	v_cndmask_b32_e64 v55, 1, 2, vcc
	v_cmp_eq_u32_e32 vcc, 0, v111
	v_and_b32_e32 v54, v55, v54
	v_cndmask_b32_e64 v55, 1, 2, vcc
	v_cmp_eq_u32_e32 vcc, 0, v110
	v_add_u32_e32 v51, v59, v113
	v_and_b32_e32 v54, v54, v55
	v_cndmask_b32_e64 v55, 1, 2, vcc
	v_cmp_eq_u32_e32 vcc, 0, v109
	v_add_u32_e32 v50, v51, v112
	;; [unrolled: 4-line block ×12, first 2 shown]
	v_and_b32_e32 v54, v54, v55
	v_cndmask_b32_e64 v55, 1, 2, vcc
	s_movk_i32 s34, 0x100
	v_add_u32_e32 v39, v40, v101
	v_and_b32_e32 v54, v54, v55
	v_cmp_gt_u32_e32 vcc, s34, v58
	v_add_u32_e32 v38, v39, v100
	v_cmp_ne_u32_e64 s[30:31], 0, v113
	v_cmp_ne_u32_e64 s[28:29], 0, v112
	;; [unrolled: 1-line block ×15, first 2 shown]
	s_mov_b64 s[36:37], -1
	v_cmp_gt_i16_e64 s[34:35], 2, v54
	s_cbranch_vccz .LBB481_197
; %bb.191:
	s_and_saveexec_b64 s[36:37], s[34:35]
	s_cbranch_execz .LBB481_196
; %bb.192:
	v_cmp_ne_u16_e32 vcc, 1, v54
	s_mov_b64 s[38:39], 0
	s_and_saveexec_b64 s[34:35], vcc
	s_xor_b64 s[34:35], exec, s[34:35]
	s_cbranch_execnz .LBB481_229
; %bb.193:
	s_andn2_saveexec_b64 s[34:35], s[34:35]
	s_cbranch_execnz .LBB481_245
.LBB481_194:
	s_or_b64 exec, exec, s[34:35]
	s_and_b64 exec, exec, s[38:39]
	s_cbranch_execz .LBB481_196
.LBB481_195:
	v_sub_u32_e32 v56, v38, v62
	v_mov_b32_e32 v57, 0
	v_lshlrev_b64 v[56:57], 3, v[56:57]
	v_add_co_u32_e32 v56, vcc, v52, v56
	v_addc_co_u32_e32 v57, vcc, v53, v57, vcc
	global_store_dwordx2 v[56:57], v[74:75], off
.LBB481_196:
	s_or_b64 exec, exec, s[36:37]
	s_mov_b64 s[36:37], 0
.LBB481_197:
	s_and_b64 vcc, exec, s[36:37]
	s_cbranch_vccz .LBB481_207
; %bb.198:
	v_cmp_gt_i16_e32 vcc, 2, v54
	s_and_saveexec_b64 s[34:35], vcc
	s_cbranch_execz .LBB481_203
; %bb.199:
	v_cmp_ne_u16_e32 vcc, 1, v54
	s_mov_b64 s[38:39], 0
	s_and_saveexec_b64 s[36:37], vcc
	s_xor_b64 s[36:37], exec, s[36:37]
	s_cbranch_execnz .LBB481_246
; %bb.200:
	s_andn2_saveexec_b64 s[2:3], s[36:37]
	s_cbranch_execnz .LBB481_262
.LBB481_201:
	s_or_b64 exec, exec, s[2:3]
	s_and_b64 exec, exec, s[38:39]
	s_cbranch_execz .LBB481_203
.LBB481_202:
	v_sub_u32_e32 v2, v38, v62
	v_lshlrev_b32_e32 v2, 3, v2
	ds_write_b64 v2, v[74:75]
.LBB481_203:
	s_or_b64 exec, exec, s[34:35]
	v_cmp_lt_u32_e32 vcc, v0, v58
	s_waitcnt lgkmcnt(0)
	s_barrier
	s_and_saveexec_b64 s[2:3], vcc
	s_cbranch_execz .LBB481_206
; %bb.204:
	v_lshlrev_b32_e32 v4, 3, v0
	s_mov_b64 s[4:5], 0
	v_mov_b32_e32 v3, 0
	v_mov_b32_e32 v2, v0
.LBB481_205:                            ; =>This Inner Loop Header: Depth=1
	v_lshlrev_b64 v[6:7], 3, v[2:3]
	ds_read_b64 v[8:9], v4
	v_add_co_u32_e32 v6, vcc, v52, v6
	v_add_u32_e32 v2, 0x100, v2
	v_addc_co_u32_e32 v7, vcc, v53, v7, vcc
	v_cmp_ge_u32_e32 vcc, v2, v58
	v_add_u32_e32 v4, 0x800, v4
	s_or_b64 s[4:5], vcc, s[4:5]
	s_waitcnt lgkmcnt(0)
	global_store_dwordx2 v[6:7], v[8:9], off
	s_andn2_b64 exec, exec, s[4:5]
	s_cbranch_execnz .LBB481_205
.LBB481_206:
	s_or_b64 exec, exec, s[2:3]
.LBB481_207:
	s_cmpk_lg_i32 s33, 0xf00
	s_cselect_b64 s[2:3], -1, 0
	v_cndmask_b32_e64 v8, 0, 1, s[46:47]
	s_and_b64 s[2:3], s[2:3], s[44:45]
	v_sub_u32_e32 v4, v58, v8
	v_cndmask_b32_e64 v5, 0, 1, s[2:3]
	s_and_b64 s[0:1], s[0:1], s[46:47]
	v_add_co_u32_e32 v2, vcc, v98, v32
	v_add_u32_e32 v4, v4, v5
	v_cndmask_b32_e64 v5, v113, 0, s[0:1]
	s_mul_hi_u32 s0, s33, 0x88888889
	v_addc_co_u32_e32 v3, vcc, v99, v33, vcc
	s_lshr_b32 s0, s0, 3
	v_mad_i32_i24 v6, v0, -15, s33
	v_cmp_eq_u32_e32 vcc, s0, v0
	v_cmp_ne_u32_e64 s[0:1], 0, v6
	v_cndmask_b32_e64 v7, 1, v5, s[0:1]
	v_cmp_ne_u32_e64 s[0:1], 1, v6
	v_cndmask_b32_e64 v9, 1, v112, s[0:1]
	;; [unrolled: 2-line block ×15, first 2 shown]
	s_and_b64 vcc, vcc, s[44:45]
	v_cndmask_b32_e32 v22, v1, v6, vcc
	v_cndmask_b32_e32 v21, v100, v21, vcc
	;; [unrolled: 1-line block ×15, first 2 shown]
	v_mov_b32_e32 v1, s61
	v_add_co_u32_e32 v5, vcc, s60, v34
	v_addc_co_u32_e32 v6, vcc, v1, v35, vcc
	v_add_co_u32_e32 v1, vcc, v5, v36
	v_addc_co_u32_e32 v5, vcc, v6, v37, vcc
	v_lshlrev_b32_e32 v6, 3, v8
	v_add_co_u32_e32 v6, vcc, v6, v1
	v_addc_co_u32_e32 v7, vcc, 0, v5, vcc
	v_add_co_u32_e32 v6, vcc, -8, v6
	v_addc_co_u32_e32 v7, vcc, -1, v7, vcc
	v_cmp_eq_u32_e32 vcc, 0, v23
	v_cmp_ne_u32_e64 s[28:29], 0, v23
	v_cndmask_b32_e64 v23, 1, 2, vcc
	v_cmp_eq_u32_e32 vcc, 0, v9
	v_cmp_ne_u32_e64 s[26:27], 0, v9
	v_cndmask_b32_e64 v9, 1, 2, vcc
	v_cmp_eq_u32_e32 vcc, 0, v10
	v_and_b32_e32 v9, v9, v23
	v_cmp_ne_u32_e64 s[24:25], 0, v10
	v_cndmask_b32_e64 v10, 1, 2, vcc
	v_cmp_eq_u32_e32 vcc, 0, v11
	v_and_b32_e32 v9, v9, v10
	v_cndmask_b32_e64 v10, 1, 2, vcc
	v_cmp_eq_u32_e32 vcc, 0, v12
	v_and_b32_e32 v9, v9, v10
	v_cndmask_b32_e64 v10, 1, 2, vcc
	v_cmp_eq_u32_e32 vcc, 0, v13
	v_and_b32_e32 v9, v9, v10
	v_cndmask_b32_e64 v10, 1, 2, vcc
	v_cmp_eq_u32_e32 vcc, 0, v14
	v_and_b32_e32 v9, v9, v10
	v_cndmask_b32_e64 v10, 1, 2, vcc
	v_cmp_eq_u32_e32 vcc, 0, v15
	v_and_b32_e32 v9, v9, v10
	v_cndmask_b32_e64 v10, 1, 2, vcc
	v_cmp_eq_u32_e32 vcc, 0, v16
	v_and_b32_e32 v9, v9, v10
	v_cndmask_b32_e64 v10, 1, 2, vcc
	v_cmp_eq_u32_e32 vcc, 0, v17
	v_and_b32_e32 v9, v9, v10
	v_cndmask_b32_e64 v10, 1, 2, vcc
	v_cmp_eq_u32_e32 vcc, 0, v18
	v_and_b32_e32 v9, v9, v10
	v_cndmask_b32_e64 v10, 1, 2, vcc
	v_cmp_eq_u32_e32 vcc, 0, v19
	v_and_b32_e32 v9, v9, v10
	v_cndmask_b32_e64 v10, 1, 2, vcc
	v_cmp_eq_u32_e32 vcc, 0, v20
	v_and_b32_e32 v9, v9, v10
	v_cndmask_b32_e64 v10, 1, 2, vcc
	v_cmp_eq_u32_e32 vcc, 0, v21
	v_and_b32_e32 v9, v9, v10
	v_cndmask_b32_e64 v10, 1, 2, vcc
	v_cmp_eq_u32_e32 vcc, 0, v22
	v_and_b32_e32 v9, v9, v10
	v_cndmask_b32_e64 v10, 1, 2, vcc
	s_movk_i32 s30, 0x100
	v_and_b32_e32 v9, v9, v10
	v_cmp_gt_u32_e32 vcc, s30, v4
	v_add_u32_e32 v8, v62, v8
	v_cmp_ne_u32_e64 s[22:23], 0, v11
	v_cmp_ne_u32_e64 s[20:21], 0, v12
	;; [unrolled: 1-line block ×12, first 2 shown]
	s_mov_b64 s[34:35], -1
	v_cmp_gt_i16_e64 s[30:31], 2, v9
	s_barrier
	s_cbranch_vccz .LBB481_214
; %bb.208:
	s_and_saveexec_b64 s[34:35], s[30:31]
	s_cbranch_execz .LBB481_213
; %bb.209:
	v_cmp_ne_u16_e32 vcc, 1, v9
	s_mov_b64 s[36:37], 0
	s_and_saveexec_b64 s[30:31], vcc
	s_xor_b64 s[30:31], exec, s[30:31]
	s_cbranch_execnz .LBB481_263
; %bb.210:
	s_andn2_saveexec_b64 s[30:31], s[30:31]
	s_cbranch_execnz .LBB481_279
.LBB481_211:
	s_or_b64 exec, exec, s[30:31]
	s_and_b64 exec, exec, s[36:37]
	s_cbranch_execz .LBB481_213
.LBB481_212:
	v_sub_u32_e32 v10, v38, v8
	v_mov_b32_e32 v11, 0
	v_lshlrev_b64 v[10:11], 3, v[10:11]
	v_add_co_u32_e32 v10, vcc, v6, v10
	v_addc_co_u32_e32 v11, vcc, v7, v11, vcc
	global_store_dwordx2 v[10:11], v[2:3], off
.LBB481_213:
	s_or_b64 exec, exec, s[34:35]
	s_mov_b64 s[34:35], 0
.LBB481_214:
	s_and_b64 vcc, exec, s[34:35]
	s_cbranch_vccz .LBB481_224
; %bb.215:
	v_cmp_gt_i16_e32 vcc, 2, v9
	s_and_saveexec_b64 s[30:31], vcc
	s_cbranch_execz .LBB481_220
; %bb.216:
	v_cmp_ne_u16_e32 vcc, 1, v9
	s_mov_b64 s[36:37], 0
	s_and_saveexec_b64 s[34:35], vcc
	s_xor_b64 s[34:35], exec, s[34:35]
	s_cbranch_execnz .LBB481_280
; %bb.217:
	s_andn2_saveexec_b64 s[0:1], s[34:35]
	s_cbranch_execnz .LBB481_296
.LBB481_218:
	s_or_b64 exec, exec, s[0:1]
	s_and_b64 exec, exec, s[36:37]
	s_cbranch_execz .LBB481_220
.LBB481_219:
	v_sub_u32_e32 v8, v38, v8
	v_lshlrev_b32_e32 v8, 3, v8
	ds_write_b64 v8, v[2:3]
.LBB481_220:
	s_or_b64 exec, exec, s[30:31]
	v_cmp_lt_u32_e32 vcc, v0, v4
	s_waitcnt lgkmcnt(0)
	s_barrier
	s_and_saveexec_b64 s[0:1], vcc
	s_cbranch_execz .LBB481_223
; %bb.221:
	v_lshlrev_b32_e32 v8, 3, v0
	s_mov_b64 s[2:3], 0
	v_mov_b32_e32 v3, 0
	v_mov_b32_e32 v2, v0
.LBB481_222:                            ; =>This Inner Loop Header: Depth=1
	v_lshlrev_b64 v[10:11], 3, v[2:3]
	ds_read_b64 v[12:13], v8
	v_add_co_u32_e32 v10, vcc, v6, v10
	v_add_u32_e32 v2, 0x100, v2
	v_addc_co_u32_e32 v11, vcc, v7, v11, vcc
	v_cmp_ge_u32_e32 vcc, v2, v4
	v_add_u32_e32 v8, 0x800, v8
	s_or_b64 s[2:3], vcc, s[2:3]
	s_waitcnt lgkmcnt(0)
	global_store_dwordx2 v[10:11], v[12:13], off
	s_andn2_b64 exec, exec, s[2:3]
	s_cbranch_execnz .LBB481_222
.LBB481_223:
	s_or_b64 exec, exec, s[0:1]
.LBB481_224:
	s_movk_i32 s0, 0xff
	v_cmp_eq_u32_e32 vcc, s0, v0
	s_and_b64 s[0:1], vcc, s[44:45]
	s_and_saveexec_b64 s[2:3], s[0:1]
	s_cbranch_execz .LBB481_227
; %bb.225:
	v_add_co_u32_e32 v0, vcc, v58, v62
	v_addc_co_u32_e64 v3, s[0:1], 0, 0, vcc
	v_add_co_u32_e32 v2, vcc, v0, v30
	v_mov_b32_e32 v59, 0
	v_addc_co_u32_e32 v3, vcc, v3, v31, vcc
	s_cmpk_lg_i32 s33, 0xf00
	global_store_dwordx2 v59, v[2:3], s[62:63]
	s_cbranch_scc1 .LBB481_227
; %bb.226:
	v_lshlrev_b64 v[2:3], 3, v[58:59]
	v_add_co_u32_e32 v0, vcc, v1, v2
	v_addc_co_u32_e32 v1, vcc, v5, v3, vcc
	global_store_dwordx2 v[0:1], v[60:61], off offset:-8
.LBB481_227:
	s_endpgm
.LBB481_228:
	s_or_b64 exec, exec, s[10:11]
	v_mov_b32_e32 v113, s12
	s_and_saveexec_b64 s[2:3], s[6:7]
	s_cbranch_execnz .LBB481_88
	s_branch .LBB481_89
.LBB481_229:
	s_and_saveexec_b64 s[38:39], s[30:31]
	s_cbranch_execnz .LBB481_297
; %bb.230:
	s_or_b64 exec, exec, s[38:39]
	s_and_saveexec_b64 s[38:39], s[28:29]
	s_cbranch_execnz .LBB481_298
.LBB481_231:
	s_or_b64 exec, exec, s[38:39]
	s_and_saveexec_b64 s[38:39], s[26:27]
	s_cbranch_execnz .LBB481_299
.LBB481_232:
	s_or_b64 exec, exec, s[38:39]
	s_and_saveexec_b64 s[38:39], s[24:25]
	s_cbranch_execnz .LBB481_300
.LBB481_233:
	s_or_b64 exec, exec, s[38:39]
	s_and_saveexec_b64 s[38:39], s[22:23]
	s_cbranch_execnz .LBB481_301
.LBB481_234:
	s_or_b64 exec, exec, s[38:39]
	s_and_saveexec_b64 s[38:39], s[20:21]
	s_cbranch_execnz .LBB481_302
.LBB481_235:
	s_or_b64 exec, exec, s[38:39]
	s_and_saveexec_b64 s[38:39], s[18:19]
	s_cbranch_execnz .LBB481_303
.LBB481_236:
	s_or_b64 exec, exec, s[38:39]
	s_and_saveexec_b64 s[38:39], s[16:17]
	s_cbranch_execnz .LBB481_304
.LBB481_237:
	s_or_b64 exec, exec, s[38:39]
	s_and_saveexec_b64 s[38:39], s[14:15]
	s_cbranch_execnz .LBB481_305
.LBB481_238:
	s_or_b64 exec, exec, s[38:39]
	s_and_saveexec_b64 s[38:39], s[12:13]
	s_cbranch_execnz .LBB481_306
.LBB481_239:
	s_or_b64 exec, exec, s[38:39]
	s_and_saveexec_b64 s[38:39], s[10:11]
	s_cbranch_execnz .LBB481_307
.LBB481_240:
	s_or_b64 exec, exec, s[38:39]
	s_and_saveexec_b64 s[38:39], s[8:9]
	s_cbranch_execnz .LBB481_308
.LBB481_241:
	s_or_b64 exec, exec, s[38:39]
	s_and_saveexec_b64 s[38:39], s[6:7]
	s_cbranch_execnz .LBB481_309
.LBB481_242:
	s_or_b64 exec, exec, s[38:39]
	s_and_saveexec_b64 s[38:39], s[4:5]
	s_cbranch_execz .LBB481_244
.LBB481_243:
	v_sub_u32_e32 v56, v39, v62
	v_mov_b32_e32 v57, 0
	v_lshlrev_b64 v[56:57], 3, v[56:57]
	v_add_co_u32_e32 v56, vcc, v52, v56
	v_addc_co_u32_e32 v57, vcc, v53, v57, vcc
	global_store_dwordx2 v[56:57], v[4:5], off
.LBB481_244:
	s_or_b64 exec, exec, s[38:39]
	s_and_b64 s[38:39], s[2:3], exec
	s_andn2_saveexec_b64 s[34:35], s[34:35]
	s_cbranch_execz .LBB481_194
.LBB481_245:
	v_sub_u32_e32 v56, v59, v62
	v_mov_b32_e32 v57, 0
	v_lshlrev_b64 v[64:65], 3, v[56:57]
	v_add_co_u32_e32 v64, vcc, v52, v64
	v_addc_co_u32_e32 v65, vcc, v53, v65, vcc
	v_sub_u32_e32 v56, v51, v62
	global_store_dwordx2 v[64:65], v[26:27], off
	v_lshlrev_b64 v[64:65], 3, v[56:57]
	v_add_co_u32_e32 v64, vcc, v52, v64
	v_addc_co_u32_e32 v65, vcc, v53, v65, vcc
	v_sub_u32_e32 v56, v50, v62
	global_store_dwordx2 v[64:65], v[28:29], off
	;; [unrolled: 5-line block ×12, first 2 shown]
	v_lshlrev_b64 v[64:65], 3, v[56:57]
	v_add_co_u32_e32 v64, vcc, v52, v64
	v_sub_u32_e32 v56, v39, v62
	v_addc_co_u32_e32 v65, vcc, v53, v65, vcc
	v_lshlrev_b64 v[56:57], 3, v[56:57]
	v_add_co_u32_e32 v56, vcc, v52, v56
	v_addc_co_u32_e32 v57, vcc, v53, v57, vcc
	s_or_b64 s[38:39], s[38:39], exec
	global_store_dwordx2 v[64:65], v[2:3], off
	global_store_dwordx2 v[56:57], v[4:5], off
	s_or_b64 exec, exec, s[34:35]
	s_and_b64 exec, exec, s[38:39]
	s_cbranch_execnz .LBB481_195
	s_branch .LBB481_196
.LBB481_246:
	s_and_saveexec_b64 s[38:39], s[30:31]
	s_cbranch_execnz .LBB481_310
; %bb.247:
	s_or_b64 exec, exec, s[38:39]
	s_and_saveexec_b64 s[30:31], s[28:29]
	s_cbranch_execnz .LBB481_311
.LBB481_248:
	s_or_b64 exec, exec, s[30:31]
	s_and_saveexec_b64 s[28:29], s[26:27]
	s_cbranch_execnz .LBB481_312
.LBB481_249:
	s_or_b64 exec, exec, s[28:29]
	s_and_saveexec_b64 s[26:27], s[24:25]
	s_cbranch_execnz .LBB481_313
.LBB481_250:
	s_or_b64 exec, exec, s[26:27]
	s_and_saveexec_b64 s[24:25], s[22:23]
	s_cbranch_execnz .LBB481_314
.LBB481_251:
	s_or_b64 exec, exec, s[24:25]
	s_and_saveexec_b64 s[22:23], s[20:21]
	s_cbranch_execnz .LBB481_315
.LBB481_252:
	s_or_b64 exec, exec, s[22:23]
	s_and_saveexec_b64 s[20:21], s[18:19]
	s_cbranch_execnz .LBB481_316
.LBB481_253:
	s_or_b64 exec, exec, s[20:21]
	s_and_saveexec_b64 s[18:19], s[16:17]
	s_cbranch_execnz .LBB481_317
.LBB481_254:
	s_or_b64 exec, exec, s[18:19]
	s_and_saveexec_b64 s[16:17], s[14:15]
	s_cbranch_execnz .LBB481_318
.LBB481_255:
	s_or_b64 exec, exec, s[16:17]
	s_and_saveexec_b64 s[14:15], s[12:13]
	s_cbranch_execnz .LBB481_319
.LBB481_256:
	s_or_b64 exec, exec, s[14:15]
	s_and_saveexec_b64 s[12:13], s[10:11]
	s_cbranch_execnz .LBB481_320
.LBB481_257:
	s_or_b64 exec, exec, s[12:13]
	s_and_saveexec_b64 s[10:11], s[8:9]
	s_cbranch_execnz .LBB481_321
.LBB481_258:
	s_or_b64 exec, exec, s[10:11]
	s_and_saveexec_b64 s[8:9], s[6:7]
	s_cbranch_execnz .LBB481_322
.LBB481_259:
	s_or_b64 exec, exec, s[8:9]
	s_and_saveexec_b64 s[6:7], s[4:5]
	s_cbranch_execz .LBB481_261
.LBB481_260:
	v_sub_u32_e32 v2, v39, v62
	v_lshlrev_b32_e32 v2, 3, v2
	ds_write_b64 v2, v[4:5]
.LBB481_261:
	s_or_b64 exec, exec, s[6:7]
	s_and_b64 s[38:39], s[2:3], exec
                                        ; implicit-def: $vgpr2_vgpr3
                                        ; implicit-def: $vgpr6_vgpr7
                                        ; implicit-def: $vgpr10_vgpr11
                                        ; implicit-def: $vgpr14_vgpr15
                                        ; implicit-def: $vgpr18_vgpr19
                                        ; implicit-def: $vgpr22_vgpr23
                                        ; implicit-def: $vgpr26_vgpr27
	s_andn2_saveexec_b64 s[2:3], s[36:37]
	s_cbranch_execz .LBB481_201
.LBB481_262:
	v_sub_u32_e32 v54, v59, v62
	v_lshlrev_b32_e32 v54, 3, v54
	ds_write_b64 v54, v[26:27]
	v_sub_u32_e32 v26, v51, v62
	v_lshlrev_b32_e32 v26, 3, v26
	ds_write_b64 v26, v[28:29]
	;; [unrolled: 3-line block ×13, first 2 shown]
	v_sub_u32_e32 v2, v39, v62
	v_lshlrev_b32_e32 v2, 3, v2
	s_or_b64 s[38:39], s[38:39], exec
	ds_write_b64 v2, v[4:5]
	s_or_b64 exec, exec, s[2:3]
	s_and_b64 exec, exec, s[38:39]
	s_cbranch_execnz .LBB481_202
	s_branch .LBB481_203
.LBB481_263:
	s_and_saveexec_b64 s[36:37], s[28:29]
	s_cbranch_execnz .LBB481_323
; %bb.264:
	s_or_b64 exec, exec, s[36:37]
	s_and_saveexec_b64 s[36:37], s[26:27]
	s_cbranch_execnz .LBB481_324
.LBB481_265:
	s_or_b64 exec, exec, s[36:37]
	s_and_saveexec_b64 s[36:37], s[24:25]
	s_cbranch_execnz .LBB481_325
.LBB481_266:
	s_or_b64 exec, exec, s[36:37]
	s_and_saveexec_b64 s[36:37], s[22:23]
	s_cbranch_execnz .LBB481_326
.LBB481_267:
	s_or_b64 exec, exec, s[36:37]
	s_and_saveexec_b64 s[36:37], s[20:21]
	s_cbranch_execnz .LBB481_327
.LBB481_268:
	s_or_b64 exec, exec, s[36:37]
	s_and_saveexec_b64 s[36:37], s[18:19]
	s_cbranch_execnz .LBB481_328
.LBB481_269:
	s_or_b64 exec, exec, s[36:37]
	s_and_saveexec_b64 s[36:37], s[16:17]
	s_cbranch_execnz .LBB481_329
.LBB481_270:
	s_or_b64 exec, exec, s[36:37]
	s_and_saveexec_b64 s[36:37], s[14:15]
	s_cbranch_execnz .LBB481_330
.LBB481_271:
	s_or_b64 exec, exec, s[36:37]
	s_and_saveexec_b64 s[36:37], s[12:13]
	s_cbranch_execnz .LBB481_331
.LBB481_272:
	s_or_b64 exec, exec, s[36:37]
	s_and_saveexec_b64 s[36:37], s[10:11]
	s_cbranch_execnz .LBB481_332
.LBB481_273:
	s_or_b64 exec, exec, s[36:37]
	s_and_saveexec_b64 s[36:37], s[8:9]
	s_cbranch_execnz .LBB481_333
.LBB481_274:
	s_or_b64 exec, exec, s[36:37]
	s_and_saveexec_b64 s[36:37], s[6:7]
	s_cbranch_execnz .LBB481_334
.LBB481_275:
	s_or_b64 exec, exec, s[36:37]
	s_and_saveexec_b64 s[36:37], s[4:5]
	s_cbranch_execnz .LBB481_335
.LBB481_276:
	s_or_b64 exec, exec, s[36:37]
	s_and_saveexec_b64 s[36:37], s[2:3]
	s_cbranch_execz .LBB481_278
.LBB481_277:
	v_sub_u32_e32 v10, v39, v8
	v_mov_b32_e32 v11, 0
	v_lshlrev_b64 v[10:11], 3, v[10:11]
	v_add_co_u32_e32 v10, vcc, v6, v10
	v_addc_co_u32_e32 v11, vcc, v7, v11, vcc
	global_store_dwordx2 v[10:11], v[96:97], off
.LBB481_278:
	s_or_b64 exec, exec, s[36:37]
	s_and_b64 s[36:37], s[0:1], exec
	s_andn2_saveexec_b64 s[30:31], s[30:31]
	s_cbranch_execz .LBB481_211
.LBB481_279:
	v_sub_u32_e32 v10, v59, v8
	v_mov_b32_e32 v11, 0
	v_lshlrev_b64 v[12:13], 3, v[10:11]
	v_add_co_u32_e32 v12, vcc, v6, v12
	v_addc_co_u32_e32 v13, vcc, v7, v13, vcc
	v_sub_u32_e32 v10, v51, v8
	global_store_dwordx2 v[12:13], v[94:95], off
	v_lshlrev_b64 v[12:13], 3, v[10:11]
	v_add_co_u32_e32 v12, vcc, v6, v12
	v_addc_co_u32_e32 v13, vcc, v7, v13, vcc
	v_sub_u32_e32 v10, v50, v8
	global_store_dwordx2 v[12:13], v[66:67], off
	;; [unrolled: 5-line block ×12, first 2 shown]
	v_lshlrev_b64 v[12:13], 3, v[10:11]
	v_add_co_u32_e32 v12, vcc, v6, v12
	v_sub_u32_e32 v10, v39, v8
	v_addc_co_u32_e32 v13, vcc, v7, v13, vcc
	v_lshlrev_b64 v[10:11], 3, v[10:11]
	v_add_co_u32_e32 v10, vcc, v6, v10
	v_addc_co_u32_e32 v11, vcc, v7, v11, vcc
	s_or_b64 s[36:37], s[36:37], exec
	global_store_dwordx2 v[12:13], v[92:93], off
	global_store_dwordx2 v[10:11], v[96:97], off
	s_or_b64 exec, exec, s[30:31]
	s_and_b64 exec, exec, s[36:37]
	s_cbranch_execnz .LBB481_212
	s_branch .LBB481_213
.LBB481_280:
	s_and_saveexec_b64 s[36:37], s[28:29]
	s_cbranch_execnz .LBB481_336
; %bb.281:
	s_or_b64 exec, exec, s[36:37]
	s_and_saveexec_b64 s[28:29], s[26:27]
	s_cbranch_execnz .LBB481_337
.LBB481_282:
	s_or_b64 exec, exec, s[28:29]
	s_and_saveexec_b64 s[26:27], s[24:25]
	s_cbranch_execnz .LBB481_338
.LBB481_283:
	s_or_b64 exec, exec, s[26:27]
	s_and_saveexec_b64 s[24:25], s[22:23]
	s_cbranch_execnz .LBB481_339
.LBB481_284:
	s_or_b64 exec, exec, s[24:25]
	s_and_saveexec_b64 s[22:23], s[20:21]
	s_cbranch_execnz .LBB481_340
.LBB481_285:
	s_or_b64 exec, exec, s[22:23]
	s_and_saveexec_b64 s[20:21], s[18:19]
	s_cbranch_execnz .LBB481_341
.LBB481_286:
	s_or_b64 exec, exec, s[20:21]
	s_and_saveexec_b64 s[18:19], s[16:17]
	s_cbranch_execnz .LBB481_342
.LBB481_287:
	s_or_b64 exec, exec, s[18:19]
	s_and_saveexec_b64 s[16:17], s[14:15]
	s_cbranch_execnz .LBB481_343
.LBB481_288:
	s_or_b64 exec, exec, s[16:17]
	s_and_saveexec_b64 s[14:15], s[12:13]
	s_cbranch_execnz .LBB481_344
.LBB481_289:
	s_or_b64 exec, exec, s[14:15]
	s_and_saveexec_b64 s[12:13], s[10:11]
	s_cbranch_execnz .LBB481_345
.LBB481_290:
	s_or_b64 exec, exec, s[12:13]
	s_and_saveexec_b64 s[10:11], s[8:9]
	s_cbranch_execnz .LBB481_346
.LBB481_291:
	s_or_b64 exec, exec, s[10:11]
	s_and_saveexec_b64 s[8:9], s[6:7]
	s_cbranch_execnz .LBB481_347
.LBB481_292:
	s_or_b64 exec, exec, s[8:9]
	s_and_saveexec_b64 s[6:7], s[4:5]
	s_cbranch_execnz .LBB481_348
.LBB481_293:
	s_or_b64 exec, exec, s[6:7]
	s_and_saveexec_b64 s[4:5], s[2:3]
	s_cbranch_execz .LBB481_295
.LBB481_294:
	v_sub_u32_e32 v9, v39, v8
	v_lshlrev_b32_e32 v9, 3, v9
	ds_write_b64 v9, v[96:97]
.LBB481_295:
	s_or_b64 exec, exec, s[4:5]
	s_and_b64 s[36:37], s[0:1], exec
                                        ; implicit-def: $vgpr94_vgpr95
                                        ; implicit-def: $vgpr66_vgpr67
                                        ; implicit-def: $vgpr68_vgpr69
                                        ; implicit-def: $vgpr70_vgpr71
                                        ; implicit-def: $vgpr76_vgpr77
                                        ; implicit-def: $vgpr78_vgpr79
                                        ; implicit-def: $vgpr80_vgpr81
                                        ; implicit-def: $vgpr82_vgpr83
                                        ; implicit-def: $vgpr84_vgpr85
                                        ; implicit-def: $vgpr86_vgpr87
                                        ; implicit-def: $vgpr88_vgpr89
                                        ; implicit-def: $vgpr90_vgpr91
                                        ; implicit-def: $vgpr92_vgpr93
                                        ; implicit-def: $vgpr96_vgpr97
                                        ; implicit-def: $vgpr59
                                        ; implicit-def: $vgpr51
                                        ; implicit-def: $vgpr50
                                        ; implicit-def: $vgpr49
                                        ; implicit-def: $vgpr48
                                        ; implicit-def: $vgpr47
                                        ; implicit-def: $vgpr46
                                        ; implicit-def: $vgpr45
                                        ; implicit-def: $vgpr44
                                        ; implicit-def: $vgpr43
                                        ; implicit-def: $vgpr42
                                        ; implicit-def: $vgpr41
                                        ; implicit-def: $vgpr40
                                        ; implicit-def: $vgpr39
	s_andn2_saveexec_b64 s[0:1], s[34:35]
	s_cbranch_execz .LBB481_218
.LBB481_296:
	v_sub_u32_e32 v9, v59, v8
	v_lshlrev_b32_e32 v9, 3, v9
	ds_write_b64 v9, v[94:95]
	v_sub_u32_e32 v9, v51, v8
	v_lshlrev_b32_e32 v9, 3, v9
	ds_write_b64 v9, v[66:67]
	;; [unrolled: 3-line block ×13, first 2 shown]
	v_sub_u32_e32 v9, v39, v8
	v_lshlrev_b32_e32 v9, 3, v9
	s_or_b64 s[36:37], s[36:37], exec
	ds_write_b64 v9, v[96:97]
	s_or_b64 exec, exec, s[0:1]
	s_and_b64 exec, exec, s[36:37]
	s_cbranch_execnz .LBB481_219
	s_branch .LBB481_220
.LBB481_297:
	v_sub_u32_e32 v56, v59, v62
	v_mov_b32_e32 v57, 0
	v_lshlrev_b64 v[56:57], 3, v[56:57]
	v_add_co_u32_e32 v56, vcc, v52, v56
	v_addc_co_u32_e32 v57, vcc, v53, v57, vcc
	global_store_dwordx2 v[56:57], v[26:27], off
	s_or_b64 exec, exec, s[38:39]
	s_and_saveexec_b64 s[38:39], s[28:29]
	s_cbranch_execz .LBB481_231
.LBB481_298:
	v_sub_u32_e32 v56, v51, v62
	v_mov_b32_e32 v57, 0
	v_lshlrev_b64 v[56:57], 3, v[56:57]
	v_add_co_u32_e32 v56, vcc, v52, v56
	v_addc_co_u32_e32 v57, vcc, v53, v57, vcc
	global_store_dwordx2 v[56:57], v[28:29], off
	s_or_b64 exec, exec, s[38:39]
	s_and_saveexec_b64 s[38:39], s[26:27]
	s_cbranch_execz .LBB481_232
.LBB481_299:
	v_sub_u32_e32 v56, v50, v62
	v_mov_b32_e32 v57, 0
	v_lshlrev_b64 v[56:57], 3, v[56:57]
	v_add_co_u32_e32 v56, vcc, v52, v56
	v_addc_co_u32_e32 v57, vcc, v53, v57, vcc
	global_store_dwordx2 v[56:57], v[22:23], off
	s_or_b64 exec, exec, s[38:39]
	s_and_saveexec_b64 s[38:39], s[24:25]
	s_cbranch_execz .LBB481_233
.LBB481_300:
	v_sub_u32_e32 v56, v49, v62
	v_mov_b32_e32 v57, 0
	v_lshlrev_b64 v[56:57], 3, v[56:57]
	v_add_co_u32_e32 v56, vcc, v52, v56
	v_addc_co_u32_e32 v57, vcc, v53, v57, vcc
	global_store_dwordx2 v[56:57], v[24:25], off
	s_or_b64 exec, exec, s[38:39]
	s_and_saveexec_b64 s[38:39], s[22:23]
	s_cbranch_execz .LBB481_234
.LBB481_301:
	v_sub_u32_e32 v56, v48, v62
	v_mov_b32_e32 v57, 0
	v_lshlrev_b64 v[56:57], 3, v[56:57]
	v_add_co_u32_e32 v56, vcc, v52, v56
	v_addc_co_u32_e32 v57, vcc, v53, v57, vcc
	global_store_dwordx2 v[56:57], v[18:19], off
	s_or_b64 exec, exec, s[38:39]
	s_and_saveexec_b64 s[38:39], s[20:21]
	s_cbranch_execz .LBB481_235
.LBB481_302:
	v_sub_u32_e32 v56, v47, v62
	v_mov_b32_e32 v57, 0
	v_lshlrev_b64 v[56:57], 3, v[56:57]
	v_add_co_u32_e32 v56, vcc, v52, v56
	v_addc_co_u32_e32 v57, vcc, v53, v57, vcc
	global_store_dwordx2 v[56:57], v[20:21], off
	s_or_b64 exec, exec, s[38:39]
	s_and_saveexec_b64 s[38:39], s[18:19]
	s_cbranch_execz .LBB481_236
.LBB481_303:
	v_sub_u32_e32 v56, v46, v62
	v_mov_b32_e32 v57, 0
	v_lshlrev_b64 v[56:57], 3, v[56:57]
	v_add_co_u32_e32 v56, vcc, v52, v56
	v_addc_co_u32_e32 v57, vcc, v53, v57, vcc
	global_store_dwordx2 v[56:57], v[14:15], off
	s_or_b64 exec, exec, s[38:39]
	s_and_saveexec_b64 s[38:39], s[16:17]
	s_cbranch_execz .LBB481_237
.LBB481_304:
	v_sub_u32_e32 v56, v45, v62
	v_mov_b32_e32 v57, 0
	v_lshlrev_b64 v[56:57], 3, v[56:57]
	v_add_co_u32_e32 v56, vcc, v52, v56
	v_addc_co_u32_e32 v57, vcc, v53, v57, vcc
	global_store_dwordx2 v[56:57], v[16:17], off
	s_or_b64 exec, exec, s[38:39]
	s_and_saveexec_b64 s[38:39], s[14:15]
	s_cbranch_execz .LBB481_238
.LBB481_305:
	v_sub_u32_e32 v56, v44, v62
	v_mov_b32_e32 v57, 0
	v_lshlrev_b64 v[56:57], 3, v[56:57]
	v_add_co_u32_e32 v56, vcc, v52, v56
	v_addc_co_u32_e32 v57, vcc, v53, v57, vcc
	global_store_dwordx2 v[56:57], v[10:11], off
	s_or_b64 exec, exec, s[38:39]
	s_and_saveexec_b64 s[38:39], s[12:13]
	s_cbranch_execz .LBB481_239
.LBB481_306:
	v_sub_u32_e32 v56, v43, v62
	v_mov_b32_e32 v57, 0
	v_lshlrev_b64 v[56:57], 3, v[56:57]
	v_add_co_u32_e32 v56, vcc, v52, v56
	v_addc_co_u32_e32 v57, vcc, v53, v57, vcc
	global_store_dwordx2 v[56:57], v[12:13], off
	s_or_b64 exec, exec, s[38:39]
	s_and_saveexec_b64 s[38:39], s[10:11]
	s_cbranch_execz .LBB481_240
.LBB481_307:
	v_sub_u32_e32 v56, v42, v62
	v_mov_b32_e32 v57, 0
	v_lshlrev_b64 v[56:57], 3, v[56:57]
	v_add_co_u32_e32 v56, vcc, v52, v56
	v_addc_co_u32_e32 v57, vcc, v53, v57, vcc
	global_store_dwordx2 v[56:57], v[6:7], off
	s_or_b64 exec, exec, s[38:39]
	s_and_saveexec_b64 s[38:39], s[8:9]
	s_cbranch_execz .LBB481_241
.LBB481_308:
	v_sub_u32_e32 v56, v41, v62
	v_mov_b32_e32 v57, 0
	v_lshlrev_b64 v[56:57], 3, v[56:57]
	v_add_co_u32_e32 v56, vcc, v52, v56
	v_addc_co_u32_e32 v57, vcc, v53, v57, vcc
	global_store_dwordx2 v[56:57], v[8:9], off
	s_or_b64 exec, exec, s[38:39]
	s_and_saveexec_b64 s[38:39], s[6:7]
	s_cbranch_execz .LBB481_242
.LBB481_309:
	v_sub_u32_e32 v56, v40, v62
	v_mov_b32_e32 v57, 0
	v_lshlrev_b64 v[56:57], 3, v[56:57]
	v_add_co_u32_e32 v56, vcc, v52, v56
	v_addc_co_u32_e32 v57, vcc, v53, v57, vcc
	global_store_dwordx2 v[56:57], v[2:3], off
	s_or_b64 exec, exec, s[38:39]
	s_and_saveexec_b64 s[38:39], s[4:5]
	s_cbranch_execnz .LBB481_243
	s_branch .LBB481_244
.LBB481_310:
	v_sub_u32_e32 v54, v59, v62
	v_lshlrev_b32_e32 v54, 3, v54
	ds_write_b64 v54, v[26:27]
	s_or_b64 exec, exec, s[38:39]
	s_and_saveexec_b64 s[30:31], s[28:29]
	s_cbranch_execz .LBB481_248
.LBB481_311:
	v_sub_u32_e32 v26, v51, v62
	v_lshlrev_b32_e32 v26, 3, v26
	ds_write_b64 v26, v[28:29]
	s_or_b64 exec, exec, s[30:31]
	s_and_saveexec_b64 s[28:29], s[26:27]
	s_cbranch_execz .LBB481_249
.LBB481_312:
	v_sub_u32_e32 v26, v50, v62
	v_lshlrev_b32_e32 v26, 3, v26
	ds_write_b64 v26, v[22:23]
	s_or_b64 exec, exec, s[28:29]
	s_and_saveexec_b64 s[26:27], s[24:25]
	s_cbranch_execz .LBB481_250
.LBB481_313:
	v_sub_u32_e32 v22, v49, v62
	v_lshlrev_b32_e32 v22, 3, v22
	ds_write_b64 v22, v[24:25]
	s_or_b64 exec, exec, s[26:27]
	s_and_saveexec_b64 s[24:25], s[22:23]
	s_cbranch_execz .LBB481_251
.LBB481_314:
	v_sub_u32_e32 v22, v48, v62
	v_lshlrev_b32_e32 v22, 3, v22
	ds_write_b64 v22, v[18:19]
	s_or_b64 exec, exec, s[24:25]
	s_and_saveexec_b64 s[22:23], s[20:21]
	s_cbranch_execz .LBB481_252
.LBB481_315:
	v_sub_u32_e32 v18, v47, v62
	v_lshlrev_b32_e32 v18, 3, v18
	ds_write_b64 v18, v[20:21]
	s_or_b64 exec, exec, s[22:23]
	s_and_saveexec_b64 s[20:21], s[18:19]
	s_cbranch_execz .LBB481_253
.LBB481_316:
	v_sub_u32_e32 v18, v46, v62
	v_lshlrev_b32_e32 v18, 3, v18
	ds_write_b64 v18, v[14:15]
	s_or_b64 exec, exec, s[20:21]
	s_and_saveexec_b64 s[18:19], s[16:17]
	s_cbranch_execz .LBB481_254
.LBB481_317:
	v_sub_u32_e32 v14, v45, v62
	v_lshlrev_b32_e32 v14, 3, v14
	ds_write_b64 v14, v[16:17]
	s_or_b64 exec, exec, s[18:19]
	s_and_saveexec_b64 s[16:17], s[14:15]
	s_cbranch_execz .LBB481_255
.LBB481_318:
	v_sub_u32_e32 v14, v44, v62
	v_lshlrev_b32_e32 v14, 3, v14
	ds_write_b64 v14, v[10:11]
	s_or_b64 exec, exec, s[16:17]
	s_and_saveexec_b64 s[14:15], s[12:13]
	s_cbranch_execz .LBB481_256
.LBB481_319:
	v_sub_u32_e32 v10, v43, v62
	v_lshlrev_b32_e32 v10, 3, v10
	ds_write_b64 v10, v[12:13]
	s_or_b64 exec, exec, s[14:15]
	s_and_saveexec_b64 s[12:13], s[10:11]
	s_cbranch_execz .LBB481_257
.LBB481_320:
	v_sub_u32_e32 v10, v42, v62
	v_lshlrev_b32_e32 v10, 3, v10
	ds_write_b64 v10, v[6:7]
	s_or_b64 exec, exec, s[12:13]
	s_and_saveexec_b64 s[10:11], s[8:9]
	s_cbranch_execz .LBB481_258
.LBB481_321:
	v_sub_u32_e32 v6, v41, v62
	v_lshlrev_b32_e32 v6, 3, v6
	ds_write_b64 v6, v[8:9]
	s_or_b64 exec, exec, s[10:11]
	s_and_saveexec_b64 s[8:9], s[6:7]
	s_cbranch_execz .LBB481_259
.LBB481_322:
	v_sub_u32_e32 v6, v40, v62
	v_lshlrev_b32_e32 v6, 3, v6
	ds_write_b64 v6, v[2:3]
	s_or_b64 exec, exec, s[8:9]
	s_and_saveexec_b64 s[6:7], s[4:5]
	s_cbranch_execnz .LBB481_260
	s_branch .LBB481_261
.LBB481_323:
	v_sub_u32_e32 v10, v59, v8
	v_mov_b32_e32 v11, 0
	v_lshlrev_b64 v[10:11], 3, v[10:11]
	v_add_co_u32_e32 v10, vcc, v6, v10
	v_addc_co_u32_e32 v11, vcc, v7, v11, vcc
	global_store_dwordx2 v[10:11], v[94:95], off
	s_or_b64 exec, exec, s[36:37]
	s_and_saveexec_b64 s[36:37], s[26:27]
	s_cbranch_execz .LBB481_265
.LBB481_324:
	v_sub_u32_e32 v10, v51, v8
	v_mov_b32_e32 v11, 0
	v_lshlrev_b64 v[10:11], 3, v[10:11]
	v_add_co_u32_e32 v10, vcc, v6, v10
	v_addc_co_u32_e32 v11, vcc, v7, v11, vcc
	global_store_dwordx2 v[10:11], v[66:67], off
	s_or_b64 exec, exec, s[36:37]
	s_and_saveexec_b64 s[36:37], s[24:25]
	s_cbranch_execz .LBB481_266
.LBB481_325:
	v_sub_u32_e32 v10, v50, v8
	v_mov_b32_e32 v11, 0
	v_lshlrev_b64 v[10:11], 3, v[10:11]
	v_add_co_u32_e32 v10, vcc, v6, v10
	v_addc_co_u32_e32 v11, vcc, v7, v11, vcc
	global_store_dwordx2 v[10:11], v[68:69], off
	s_or_b64 exec, exec, s[36:37]
	s_and_saveexec_b64 s[36:37], s[22:23]
	s_cbranch_execz .LBB481_267
.LBB481_326:
	v_sub_u32_e32 v10, v49, v8
	v_mov_b32_e32 v11, 0
	v_lshlrev_b64 v[10:11], 3, v[10:11]
	v_add_co_u32_e32 v10, vcc, v6, v10
	v_addc_co_u32_e32 v11, vcc, v7, v11, vcc
	global_store_dwordx2 v[10:11], v[70:71], off
	s_or_b64 exec, exec, s[36:37]
	s_and_saveexec_b64 s[36:37], s[20:21]
	s_cbranch_execz .LBB481_268
.LBB481_327:
	v_sub_u32_e32 v10, v48, v8
	v_mov_b32_e32 v11, 0
	v_lshlrev_b64 v[10:11], 3, v[10:11]
	v_add_co_u32_e32 v10, vcc, v6, v10
	v_addc_co_u32_e32 v11, vcc, v7, v11, vcc
	global_store_dwordx2 v[10:11], v[76:77], off
	s_or_b64 exec, exec, s[36:37]
	s_and_saveexec_b64 s[36:37], s[18:19]
	s_cbranch_execz .LBB481_269
.LBB481_328:
	v_sub_u32_e32 v10, v47, v8
	v_mov_b32_e32 v11, 0
	v_lshlrev_b64 v[10:11], 3, v[10:11]
	v_add_co_u32_e32 v10, vcc, v6, v10
	v_addc_co_u32_e32 v11, vcc, v7, v11, vcc
	global_store_dwordx2 v[10:11], v[78:79], off
	s_or_b64 exec, exec, s[36:37]
	s_and_saveexec_b64 s[36:37], s[16:17]
	s_cbranch_execz .LBB481_270
.LBB481_329:
	v_sub_u32_e32 v10, v46, v8
	v_mov_b32_e32 v11, 0
	v_lshlrev_b64 v[10:11], 3, v[10:11]
	v_add_co_u32_e32 v10, vcc, v6, v10
	v_addc_co_u32_e32 v11, vcc, v7, v11, vcc
	global_store_dwordx2 v[10:11], v[80:81], off
	s_or_b64 exec, exec, s[36:37]
	s_and_saveexec_b64 s[36:37], s[14:15]
	s_cbranch_execz .LBB481_271
.LBB481_330:
	v_sub_u32_e32 v10, v45, v8
	v_mov_b32_e32 v11, 0
	v_lshlrev_b64 v[10:11], 3, v[10:11]
	v_add_co_u32_e32 v10, vcc, v6, v10
	v_addc_co_u32_e32 v11, vcc, v7, v11, vcc
	global_store_dwordx2 v[10:11], v[82:83], off
	s_or_b64 exec, exec, s[36:37]
	s_and_saveexec_b64 s[36:37], s[12:13]
	s_cbranch_execz .LBB481_272
.LBB481_331:
	v_sub_u32_e32 v10, v44, v8
	v_mov_b32_e32 v11, 0
	v_lshlrev_b64 v[10:11], 3, v[10:11]
	v_add_co_u32_e32 v10, vcc, v6, v10
	v_addc_co_u32_e32 v11, vcc, v7, v11, vcc
	global_store_dwordx2 v[10:11], v[84:85], off
	s_or_b64 exec, exec, s[36:37]
	s_and_saveexec_b64 s[36:37], s[10:11]
	s_cbranch_execz .LBB481_273
.LBB481_332:
	v_sub_u32_e32 v10, v43, v8
	v_mov_b32_e32 v11, 0
	v_lshlrev_b64 v[10:11], 3, v[10:11]
	v_add_co_u32_e32 v10, vcc, v6, v10
	v_addc_co_u32_e32 v11, vcc, v7, v11, vcc
	global_store_dwordx2 v[10:11], v[86:87], off
	s_or_b64 exec, exec, s[36:37]
	s_and_saveexec_b64 s[36:37], s[8:9]
	s_cbranch_execz .LBB481_274
.LBB481_333:
	v_sub_u32_e32 v10, v42, v8
	v_mov_b32_e32 v11, 0
	v_lshlrev_b64 v[10:11], 3, v[10:11]
	v_add_co_u32_e32 v10, vcc, v6, v10
	v_addc_co_u32_e32 v11, vcc, v7, v11, vcc
	global_store_dwordx2 v[10:11], v[88:89], off
	s_or_b64 exec, exec, s[36:37]
	s_and_saveexec_b64 s[36:37], s[6:7]
	s_cbranch_execz .LBB481_275
.LBB481_334:
	v_sub_u32_e32 v10, v41, v8
	v_mov_b32_e32 v11, 0
	v_lshlrev_b64 v[10:11], 3, v[10:11]
	v_add_co_u32_e32 v10, vcc, v6, v10
	v_addc_co_u32_e32 v11, vcc, v7, v11, vcc
	global_store_dwordx2 v[10:11], v[90:91], off
	s_or_b64 exec, exec, s[36:37]
	s_and_saveexec_b64 s[36:37], s[4:5]
	s_cbranch_execz .LBB481_276
.LBB481_335:
	v_sub_u32_e32 v10, v40, v8
	v_mov_b32_e32 v11, 0
	v_lshlrev_b64 v[10:11], 3, v[10:11]
	v_add_co_u32_e32 v10, vcc, v6, v10
	v_addc_co_u32_e32 v11, vcc, v7, v11, vcc
	global_store_dwordx2 v[10:11], v[92:93], off
	s_or_b64 exec, exec, s[36:37]
	s_and_saveexec_b64 s[36:37], s[2:3]
	s_cbranch_execnz .LBB481_277
	s_branch .LBB481_278
.LBB481_336:
	v_sub_u32_e32 v9, v59, v8
	v_lshlrev_b32_e32 v9, 3, v9
	ds_write_b64 v9, v[94:95]
	s_or_b64 exec, exec, s[36:37]
	s_and_saveexec_b64 s[28:29], s[26:27]
	s_cbranch_execz .LBB481_282
.LBB481_337:
	v_sub_u32_e32 v9, v51, v8
	v_lshlrev_b32_e32 v9, 3, v9
	ds_write_b64 v9, v[66:67]
	s_or_b64 exec, exec, s[28:29]
	s_and_saveexec_b64 s[26:27], s[24:25]
	s_cbranch_execz .LBB481_283
.LBB481_338:
	v_sub_u32_e32 v9, v50, v8
	v_lshlrev_b32_e32 v9, 3, v9
	ds_write_b64 v9, v[68:69]
	s_or_b64 exec, exec, s[26:27]
	s_and_saveexec_b64 s[24:25], s[22:23]
	s_cbranch_execz .LBB481_284
.LBB481_339:
	v_sub_u32_e32 v9, v49, v8
	v_lshlrev_b32_e32 v9, 3, v9
	ds_write_b64 v9, v[70:71]
	s_or_b64 exec, exec, s[24:25]
	s_and_saveexec_b64 s[22:23], s[20:21]
	s_cbranch_execz .LBB481_285
.LBB481_340:
	v_sub_u32_e32 v9, v48, v8
	v_lshlrev_b32_e32 v9, 3, v9
	ds_write_b64 v9, v[76:77]
	s_or_b64 exec, exec, s[22:23]
	s_and_saveexec_b64 s[20:21], s[18:19]
	s_cbranch_execz .LBB481_286
.LBB481_341:
	v_sub_u32_e32 v9, v47, v8
	v_lshlrev_b32_e32 v9, 3, v9
	ds_write_b64 v9, v[78:79]
	s_or_b64 exec, exec, s[20:21]
	s_and_saveexec_b64 s[18:19], s[16:17]
	s_cbranch_execz .LBB481_287
.LBB481_342:
	v_sub_u32_e32 v9, v46, v8
	v_lshlrev_b32_e32 v9, 3, v9
	ds_write_b64 v9, v[80:81]
	s_or_b64 exec, exec, s[18:19]
	s_and_saveexec_b64 s[16:17], s[14:15]
	s_cbranch_execz .LBB481_288
.LBB481_343:
	v_sub_u32_e32 v9, v45, v8
	v_lshlrev_b32_e32 v9, 3, v9
	ds_write_b64 v9, v[82:83]
	s_or_b64 exec, exec, s[16:17]
	s_and_saveexec_b64 s[14:15], s[12:13]
	s_cbranch_execz .LBB481_289
.LBB481_344:
	v_sub_u32_e32 v9, v44, v8
	v_lshlrev_b32_e32 v9, 3, v9
	ds_write_b64 v9, v[84:85]
	s_or_b64 exec, exec, s[14:15]
	s_and_saveexec_b64 s[12:13], s[10:11]
	s_cbranch_execz .LBB481_290
.LBB481_345:
	v_sub_u32_e32 v9, v43, v8
	v_lshlrev_b32_e32 v9, 3, v9
	ds_write_b64 v9, v[86:87]
	s_or_b64 exec, exec, s[12:13]
	s_and_saveexec_b64 s[10:11], s[8:9]
	s_cbranch_execz .LBB481_291
.LBB481_346:
	v_sub_u32_e32 v9, v42, v8
	v_lshlrev_b32_e32 v9, 3, v9
	ds_write_b64 v9, v[88:89]
	s_or_b64 exec, exec, s[10:11]
	s_and_saveexec_b64 s[8:9], s[6:7]
	s_cbranch_execz .LBB481_292
.LBB481_347:
	v_sub_u32_e32 v9, v41, v8
	v_lshlrev_b32_e32 v9, 3, v9
	ds_write_b64 v9, v[90:91]
	s_or_b64 exec, exec, s[8:9]
	s_and_saveexec_b64 s[6:7], s[4:5]
	s_cbranch_execz .LBB481_293
.LBB481_348:
	v_sub_u32_e32 v9, v40, v8
	v_lshlrev_b32_e32 v9, 3, v9
	ds_write_b64 v9, v[92:93]
	s_or_b64 exec, exec, s[6:7]
	s_and_saveexec_b64 s[4:5], s[2:3]
	s_cbranch_execnz .LBB481_294
	s_branch .LBB481_295
	.section	.rodata,"a",@progbits
	.p2align	6, 0x0
	.amdhsa_kernel _ZN7rocprim17ROCPRIM_400000_NS6detail17trampoline_kernelINS0_14default_configENS1_29reduce_by_key_config_selectorIxxN6thrust23THRUST_200600_302600_NS4plusIxEEEEZZNS1_33reduce_by_key_impl_wrapped_configILNS1_25lookback_scan_determinismE0ES3_S9_NS6_6detail15normal_iteratorINS6_10device_ptrIxEEEESG_SG_SG_PmS8_NS6_8equal_toIxEEEE10hipError_tPvRmT2_T3_mT4_T5_T6_T7_T8_P12ihipStream_tbENKUlT_T0_E_clISt17integral_constantIbLb1EES11_EEDaSW_SX_EUlSW_E_NS1_11comp_targetILNS1_3genE4ELNS1_11target_archE910ELNS1_3gpuE8ELNS1_3repE0EEENS1_30default_config_static_selectorELNS0_4arch9wavefront6targetE1EEEvT1_
		.amdhsa_group_segment_fixed_size 30720
		.amdhsa_private_segment_fixed_size 0
		.amdhsa_kernarg_size 136
		.amdhsa_user_sgpr_count 6
		.amdhsa_user_sgpr_private_segment_buffer 1
		.amdhsa_user_sgpr_dispatch_ptr 0
		.amdhsa_user_sgpr_queue_ptr 0
		.amdhsa_user_sgpr_kernarg_segment_ptr 1
		.amdhsa_user_sgpr_dispatch_id 0
		.amdhsa_user_sgpr_flat_scratch_init 0
		.amdhsa_user_sgpr_kernarg_preload_length 0
		.amdhsa_user_sgpr_kernarg_preload_offset 0
		.amdhsa_user_sgpr_private_segment_size 0
		.amdhsa_uses_dynamic_stack 0
		.amdhsa_system_sgpr_private_segment_wavefront_offset 0
		.amdhsa_system_sgpr_workgroup_id_x 1
		.amdhsa_system_sgpr_workgroup_id_y 0
		.amdhsa_system_sgpr_workgroup_id_z 0
		.amdhsa_system_sgpr_workgroup_info 0
		.amdhsa_system_vgpr_workitem_id 0
		.amdhsa_next_free_vgpr 118
		.amdhsa_next_free_sgpr 66
		.amdhsa_accum_offset 120
		.amdhsa_reserve_vcc 1
		.amdhsa_reserve_flat_scratch 0
		.amdhsa_float_round_mode_32 0
		.amdhsa_float_round_mode_16_64 0
		.amdhsa_float_denorm_mode_32 3
		.amdhsa_float_denorm_mode_16_64 3
		.amdhsa_dx10_clamp 1
		.amdhsa_ieee_mode 1
		.amdhsa_fp16_overflow 0
		.amdhsa_tg_split 0
		.amdhsa_exception_fp_ieee_invalid_op 0
		.amdhsa_exception_fp_denorm_src 0
		.amdhsa_exception_fp_ieee_div_zero 0
		.amdhsa_exception_fp_ieee_overflow 0
		.amdhsa_exception_fp_ieee_underflow 0
		.amdhsa_exception_fp_ieee_inexact 0
		.amdhsa_exception_int_div_zero 0
	.end_amdhsa_kernel
	.section	.text._ZN7rocprim17ROCPRIM_400000_NS6detail17trampoline_kernelINS0_14default_configENS1_29reduce_by_key_config_selectorIxxN6thrust23THRUST_200600_302600_NS4plusIxEEEEZZNS1_33reduce_by_key_impl_wrapped_configILNS1_25lookback_scan_determinismE0ES3_S9_NS6_6detail15normal_iteratorINS6_10device_ptrIxEEEESG_SG_SG_PmS8_NS6_8equal_toIxEEEE10hipError_tPvRmT2_T3_mT4_T5_T6_T7_T8_P12ihipStream_tbENKUlT_T0_E_clISt17integral_constantIbLb1EES11_EEDaSW_SX_EUlSW_E_NS1_11comp_targetILNS1_3genE4ELNS1_11target_archE910ELNS1_3gpuE8ELNS1_3repE0EEENS1_30default_config_static_selectorELNS0_4arch9wavefront6targetE1EEEvT1_,"axG",@progbits,_ZN7rocprim17ROCPRIM_400000_NS6detail17trampoline_kernelINS0_14default_configENS1_29reduce_by_key_config_selectorIxxN6thrust23THRUST_200600_302600_NS4plusIxEEEEZZNS1_33reduce_by_key_impl_wrapped_configILNS1_25lookback_scan_determinismE0ES3_S9_NS6_6detail15normal_iteratorINS6_10device_ptrIxEEEESG_SG_SG_PmS8_NS6_8equal_toIxEEEE10hipError_tPvRmT2_T3_mT4_T5_T6_T7_T8_P12ihipStream_tbENKUlT_T0_E_clISt17integral_constantIbLb1EES11_EEDaSW_SX_EUlSW_E_NS1_11comp_targetILNS1_3genE4ELNS1_11target_archE910ELNS1_3gpuE8ELNS1_3repE0EEENS1_30default_config_static_selectorELNS0_4arch9wavefront6targetE1EEEvT1_,comdat
.Lfunc_end481:
	.size	_ZN7rocprim17ROCPRIM_400000_NS6detail17trampoline_kernelINS0_14default_configENS1_29reduce_by_key_config_selectorIxxN6thrust23THRUST_200600_302600_NS4plusIxEEEEZZNS1_33reduce_by_key_impl_wrapped_configILNS1_25lookback_scan_determinismE0ES3_S9_NS6_6detail15normal_iteratorINS6_10device_ptrIxEEEESG_SG_SG_PmS8_NS6_8equal_toIxEEEE10hipError_tPvRmT2_T3_mT4_T5_T6_T7_T8_P12ihipStream_tbENKUlT_T0_E_clISt17integral_constantIbLb1EES11_EEDaSW_SX_EUlSW_E_NS1_11comp_targetILNS1_3genE4ELNS1_11target_archE910ELNS1_3gpuE8ELNS1_3repE0EEENS1_30default_config_static_selectorELNS0_4arch9wavefront6targetE1EEEvT1_, .Lfunc_end481-_ZN7rocprim17ROCPRIM_400000_NS6detail17trampoline_kernelINS0_14default_configENS1_29reduce_by_key_config_selectorIxxN6thrust23THRUST_200600_302600_NS4plusIxEEEEZZNS1_33reduce_by_key_impl_wrapped_configILNS1_25lookback_scan_determinismE0ES3_S9_NS6_6detail15normal_iteratorINS6_10device_ptrIxEEEESG_SG_SG_PmS8_NS6_8equal_toIxEEEE10hipError_tPvRmT2_T3_mT4_T5_T6_T7_T8_P12ihipStream_tbENKUlT_T0_E_clISt17integral_constantIbLb1EES11_EEDaSW_SX_EUlSW_E_NS1_11comp_targetILNS1_3genE4ELNS1_11target_archE910ELNS1_3gpuE8ELNS1_3repE0EEENS1_30default_config_static_selectorELNS0_4arch9wavefront6targetE1EEEvT1_
                                        ; -- End function
	.section	.AMDGPU.csdata,"",@progbits
; Kernel info:
; codeLenInByte = 16900
; NumSgprs: 70
; NumVgprs: 118
; NumAgprs: 0
; TotalNumVgprs: 118
; ScratchSize: 0
; MemoryBound: 0
; FloatMode: 240
; IeeeMode: 1
; LDSByteSize: 30720 bytes/workgroup (compile time only)
; SGPRBlocks: 8
; VGPRBlocks: 14
; NumSGPRsForWavesPerEU: 70
; NumVGPRsForWavesPerEU: 118
; AccumOffset: 120
; Occupancy: 2
; WaveLimiterHint : 1
; COMPUTE_PGM_RSRC2:SCRATCH_EN: 0
; COMPUTE_PGM_RSRC2:USER_SGPR: 6
; COMPUTE_PGM_RSRC2:TRAP_HANDLER: 0
; COMPUTE_PGM_RSRC2:TGID_X_EN: 1
; COMPUTE_PGM_RSRC2:TGID_Y_EN: 0
; COMPUTE_PGM_RSRC2:TGID_Z_EN: 0
; COMPUTE_PGM_RSRC2:TIDIG_COMP_CNT: 0
; COMPUTE_PGM_RSRC3_GFX90A:ACCUM_OFFSET: 29
; COMPUTE_PGM_RSRC3_GFX90A:TG_SPLIT: 0
	.section	.text._ZN7rocprim17ROCPRIM_400000_NS6detail17trampoline_kernelINS0_14default_configENS1_29reduce_by_key_config_selectorIxxN6thrust23THRUST_200600_302600_NS4plusIxEEEEZZNS1_33reduce_by_key_impl_wrapped_configILNS1_25lookback_scan_determinismE0ES3_S9_NS6_6detail15normal_iteratorINS6_10device_ptrIxEEEESG_SG_SG_PmS8_NS6_8equal_toIxEEEE10hipError_tPvRmT2_T3_mT4_T5_T6_T7_T8_P12ihipStream_tbENKUlT_T0_E_clISt17integral_constantIbLb1EES11_EEDaSW_SX_EUlSW_E_NS1_11comp_targetILNS1_3genE3ELNS1_11target_archE908ELNS1_3gpuE7ELNS1_3repE0EEENS1_30default_config_static_selectorELNS0_4arch9wavefront6targetE1EEEvT1_,"axG",@progbits,_ZN7rocprim17ROCPRIM_400000_NS6detail17trampoline_kernelINS0_14default_configENS1_29reduce_by_key_config_selectorIxxN6thrust23THRUST_200600_302600_NS4plusIxEEEEZZNS1_33reduce_by_key_impl_wrapped_configILNS1_25lookback_scan_determinismE0ES3_S9_NS6_6detail15normal_iteratorINS6_10device_ptrIxEEEESG_SG_SG_PmS8_NS6_8equal_toIxEEEE10hipError_tPvRmT2_T3_mT4_T5_T6_T7_T8_P12ihipStream_tbENKUlT_T0_E_clISt17integral_constantIbLb1EES11_EEDaSW_SX_EUlSW_E_NS1_11comp_targetILNS1_3genE3ELNS1_11target_archE908ELNS1_3gpuE7ELNS1_3repE0EEENS1_30default_config_static_selectorELNS0_4arch9wavefront6targetE1EEEvT1_,comdat
	.protected	_ZN7rocprim17ROCPRIM_400000_NS6detail17trampoline_kernelINS0_14default_configENS1_29reduce_by_key_config_selectorIxxN6thrust23THRUST_200600_302600_NS4plusIxEEEEZZNS1_33reduce_by_key_impl_wrapped_configILNS1_25lookback_scan_determinismE0ES3_S9_NS6_6detail15normal_iteratorINS6_10device_ptrIxEEEESG_SG_SG_PmS8_NS6_8equal_toIxEEEE10hipError_tPvRmT2_T3_mT4_T5_T6_T7_T8_P12ihipStream_tbENKUlT_T0_E_clISt17integral_constantIbLb1EES11_EEDaSW_SX_EUlSW_E_NS1_11comp_targetILNS1_3genE3ELNS1_11target_archE908ELNS1_3gpuE7ELNS1_3repE0EEENS1_30default_config_static_selectorELNS0_4arch9wavefront6targetE1EEEvT1_ ; -- Begin function _ZN7rocprim17ROCPRIM_400000_NS6detail17trampoline_kernelINS0_14default_configENS1_29reduce_by_key_config_selectorIxxN6thrust23THRUST_200600_302600_NS4plusIxEEEEZZNS1_33reduce_by_key_impl_wrapped_configILNS1_25lookback_scan_determinismE0ES3_S9_NS6_6detail15normal_iteratorINS6_10device_ptrIxEEEESG_SG_SG_PmS8_NS6_8equal_toIxEEEE10hipError_tPvRmT2_T3_mT4_T5_T6_T7_T8_P12ihipStream_tbENKUlT_T0_E_clISt17integral_constantIbLb1EES11_EEDaSW_SX_EUlSW_E_NS1_11comp_targetILNS1_3genE3ELNS1_11target_archE908ELNS1_3gpuE7ELNS1_3repE0EEENS1_30default_config_static_selectorELNS0_4arch9wavefront6targetE1EEEvT1_
	.globl	_ZN7rocprim17ROCPRIM_400000_NS6detail17trampoline_kernelINS0_14default_configENS1_29reduce_by_key_config_selectorIxxN6thrust23THRUST_200600_302600_NS4plusIxEEEEZZNS1_33reduce_by_key_impl_wrapped_configILNS1_25lookback_scan_determinismE0ES3_S9_NS6_6detail15normal_iteratorINS6_10device_ptrIxEEEESG_SG_SG_PmS8_NS6_8equal_toIxEEEE10hipError_tPvRmT2_T3_mT4_T5_T6_T7_T8_P12ihipStream_tbENKUlT_T0_E_clISt17integral_constantIbLb1EES11_EEDaSW_SX_EUlSW_E_NS1_11comp_targetILNS1_3genE3ELNS1_11target_archE908ELNS1_3gpuE7ELNS1_3repE0EEENS1_30default_config_static_selectorELNS0_4arch9wavefront6targetE1EEEvT1_
	.p2align	8
	.type	_ZN7rocprim17ROCPRIM_400000_NS6detail17trampoline_kernelINS0_14default_configENS1_29reduce_by_key_config_selectorIxxN6thrust23THRUST_200600_302600_NS4plusIxEEEEZZNS1_33reduce_by_key_impl_wrapped_configILNS1_25lookback_scan_determinismE0ES3_S9_NS6_6detail15normal_iteratorINS6_10device_ptrIxEEEESG_SG_SG_PmS8_NS6_8equal_toIxEEEE10hipError_tPvRmT2_T3_mT4_T5_T6_T7_T8_P12ihipStream_tbENKUlT_T0_E_clISt17integral_constantIbLb1EES11_EEDaSW_SX_EUlSW_E_NS1_11comp_targetILNS1_3genE3ELNS1_11target_archE908ELNS1_3gpuE7ELNS1_3repE0EEENS1_30default_config_static_selectorELNS0_4arch9wavefront6targetE1EEEvT1_,@function
_ZN7rocprim17ROCPRIM_400000_NS6detail17trampoline_kernelINS0_14default_configENS1_29reduce_by_key_config_selectorIxxN6thrust23THRUST_200600_302600_NS4plusIxEEEEZZNS1_33reduce_by_key_impl_wrapped_configILNS1_25lookback_scan_determinismE0ES3_S9_NS6_6detail15normal_iteratorINS6_10device_ptrIxEEEESG_SG_SG_PmS8_NS6_8equal_toIxEEEE10hipError_tPvRmT2_T3_mT4_T5_T6_T7_T8_P12ihipStream_tbENKUlT_T0_E_clISt17integral_constantIbLb1EES11_EEDaSW_SX_EUlSW_E_NS1_11comp_targetILNS1_3genE3ELNS1_11target_archE908ELNS1_3gpuE7ELNS1_3repE0EEENS1_30default_config_static_selectorELNS0_4arch9wavefront6targetE1EEEvT1_: ; @_ZN7rocprim17ROCPRIM_400000_NS6detail17trampoline_kernelINS0_14default_configENS1_29reduce_by_key_config_selectorIxxN6thrust23THRUST_200600_302600_NS4plusIxEEEEZZNS1_33reduce_by_key_impl_wrapped_configILNS1_25lookback_scan_determinismE0ES3_S9_NS6_6detail15normal_iteratorINS6_10device_ptrIxEEEESG_SG_SG_PmS8_NS6_8equal_toIxEEEE10hipError_tPvRmT2_T3_mT4_T5_T6_T7_T8_P12ihipStream_tbENKUlT_T0_E_clISt17integral_constantIbLb1EES11_EEDaSW_SX_EUlSW_E_NS1_11comp_targetILNS1_3genE3ELNS1_11target_archE908ELNS1_3gpuE7ELNS1_3repE0EEENS1_30default_config_static_selectorELNS0_4arch9wavefront6targetE1EEEvT1_
; %bb.0:
	.section	.rodata,"a",@progbits
	.p2align	6, 0x0
	.amdhsa_kernel _ZN7rocprim17ROCPRIM_400000_NS6detail17trampoline_kernelINS0_14default_configENS1_29reduce_by_key_config_selectorIxxN6thrust23THRUST_200600_302600_NS4plusIxEEEEZZNS1_33reduce_by_key_impl_wrapped_configILNS1_25lookback_scan_determinismE0ES3_S9_NS6_6detail15normal_iteratorINS6_10device_ptrIxEEEESG_SG_SG_PmS8_NS6_8equal_toIxEEEE10hipError_tPvRmT2_T3_mT4_T5_T6_T7_T8_P12ihipStream_tbENKUlT_T0_E_clISt17integral_constantIbLb1EES11_EEDaSW_SX_EUlSW_E_NS1_11comp_targetILNS1_3genE3ELNS1_11target_archE908ELNS1_3gpuE7ELNS1_3repE0EEENS1_30default_config_static_selectorELNS0_4arch9wavefront6targetE1EEEvT1_
		.amdhsa_group_segment_fixed_size 0
		.amdhsa_private_segment_fixed_size 0
		.amdhsa_kernarg_size 136
		.amdhsa_user_sgpr_count 6
		.amdhsa_user_sgpr_private_segment_buffer 1
		.amdhsa_user_sgpr_dispatch_ptr 0
		.amdhsa_user_sgpr_queue_ptr 0
		.amdhsa_user_sgpr_kernarg_segment_ptr 1
		.amdhsa_user_sgpr_dispatch_id 0
		.amdhsa_user_sgpr_flat_scratch_init 0
		.amdhsa_user_sgpr_kernarg_preload_length 0
		.amdhsa_user_sgpr_kernarg_preload_offset 0
		.amdhsa_user_sgpr_private_segment_size 0
		.amdhsa_uses_dynamic_stack 0
		.amdhsa_system_sgpr_private_segment_wavefront_offset 0
		.amdhsa_system_sgpr_workgroup_id_x 1
		.amdhsa_system_sgpr_workgroup_id_y 0
		.amdhsa_system_sgpr_workgroup_id_z 0
		.amdhsa_system_sgpr_workgroup_info 0
		.amdhsa_system_vgpr_workitem_id 0
		.amdhsa_next_free_vgpr 1
		.amdhsa_next_free_sgpr 0
		.amdhsa_accum_offset 4
		.amdhsa_reserve_vcc 0
		.amdhsa_reserve_flat_scratch 0
		.amdhsa_float_round_mode_32 0
		.amdhsa_float_round_mode_16_64 0
		.amdhsa_float_denorm_mode_32 3
		.amdhsa_float_denorm_mode_16_64 3
		.amdhsa_dx10_clamp 1
		.amdhsa_ieee_mode 1
		.amdhsa_fp16_overflow 0
		.amdhsa_tg_split 0
		.amdhsa_exception_fp_ieee_invalid_op 0
		.amdhsa_exception_fp_denorm_src 0
		.amdhsa_exception_fp_ieee_div_zero 0
		.amdhsa_exception_fp_ieee_overflow 0
		.amdhsa_exception_fp_ieee_underflow 0
		.amdhsa_exception_fp_ieee_inexact 0
		.amdhsa_exception_int_div_zero 0
	.end_amdhsa_kernel
	.section	.text._ZN7rocprim17ROCPRIM_400000_NS6detail17trampoline_kernelINS0_14default_configENS1_29reduce_by_key_config_selectorIxxN6thrust23THRUST_200600_302600_NS4plusIxEEEEZZNS1_33reduce_by_key_impl_wrapped_configILNS1_25lookback_scan_determinismE0ES3_S9_NS6_6detail15normal_iteratorINS6_10device_ptrIxEEEESG_SG_SG_PmS8_NS6_8equal_toIxEEEE10hipError_tPvRmT2_T3_mT4_T5_T6_T7_T8_P12ihipStream_tbENKUlT_T0_E_clISt17integral_constantIbLb1EES11_EEDaSW_SX_EUlSW_E_NS1_11comp_targetILNS1_3genE3ELNS1_11target_archE908ELNS1_3gpuE7ELNS1_3repE0EEENS1_30default_config_static_selectorELNS0_4arch9wavefront6targetE1EEEvT1_,"axG",@progbits,_ZN7rocprim17ROCPRIM_400000_NS6detail17trampoline_kernelINS0_14default_configENS1_29reduce_by_key_config_selectorIxxN6thrust23THRUST_200600_302600_NS4plusIxEEEEZZNS1_33reduce_by_key_impl_wrapped_configILNS1_25lookback_scan_determinismE0ES3_S9_NS6_6detail15normal_iteratorINS6_10device_ptrIxEEEESG_SG_SG_PmS8_NS6_8equal_toIxEEEE10hipError_tPvRmT2_T3_mT4_T5_T6_T7_T8_P12ihipStream_tbENKUlT_T0_E_clISt17integral_constantIbLb1EES11_EEDaSW_SX_EUlSW_E_NS1_11comp_targetILNS1_3genE3ELNS1_11target_archE908ELNS1_3gpuE7ELNS1_3repE0EEENS1_30default_config_static_selectorELNS0_4arch9wavefront6targetE1EEEvT1_,comdat
.Lfunc_end482:
	.size	_ZN7rocprim17ROCPRIM_400000_NS6detail17trampoline_kernelINS0_14default_configENS1_29reduce_by_key_config_selectorIxxN6thrust23THRUST_200600_302600_NS4plusIxEEEEZZNS1_33reduce_by_key_impl_wrapped_configILNS1_25lookback_scan_determinismE0ES3_S9_NS6_6detail15normal_iteratorINS6_10device_ptrIxEEEESG_SG_SG_PmS8_NS6_8equal_toIxEEEE10hipError_tPvRmT2_T3_mT4_T5_T6_T7_T8_P12ihipStream_tbENKUlT_T0_E_clISt17integral_constantIbLb1EES11_EEDaSW_SX_EUlSW_E_NS1_11comp_targetILNS1_3genE3ELNS1_11target_archE908ELNS1_3gpuE7ELNS1_3repE0EEENS1_30default_config_static_selectorELNS0_4arch9wavefront6targetE1EEEvT1_, .Lfunc_end482-_ZN7rocprim17ROCPRIM_400000_NS6detail17trampoline_kernelINS0_14default_configENS1_29reduce_by_key_config_selectorIxxN6thrust23THRUST_200600_302600_NS4plusIxEEEEZZNS1_33reduce_by_key_impl_wrapped_configILNS1_25lookback_scan_determinismE0ES3_S9_NS6_6detail15normal_iteratorINS6_10device_ptrIxEEEESG_SG_SG_PmS8_NS6_8equal_toIxEEEE10hipError_tPvRmT2_T3_mT4_T5_T6_T7_T8_P12ihipStream_tbENKUlT_T0_E_clISt17integral_constantIbLb1EES11_EEDaSW_SX_EUlSW_E_NS1_11comp_targetILNS1_3genE3ELNS1_11target_archE908ELNS1_3gpuE7ELNS1_3repE0EEENS1_30default_config_static_selectorELNS0_4arch9wavefront6targetE1EEEvT1_
                                        ; -- End function
	.section	.AMDGPU.csdata,"",@progbits
; Kernel info:
; codeLenInByte = 0
; NumSgprs: 4
; NumVgprs: 0
; NumAgprs: 0
; TotalNumVgprs: 0
; ScratchSize: 0
; MemoryBound: 0
; FloatMode: 240
; IeeeMode: 1
; LDSByteSize: 0 bytes/workgroup (compile time only)
; SGPRBlocks: 0
; VGPRBlocks: 0
; NumSGPRsForWavesPerEU: 4
; NumVGPRsForWavesPerEU: 1
; AccumOffset: 4
; Occupancy: 8
; WaveLimiterHint : 0
; COMPUTE_PGM_RSRC2:SCRATCH_EN: 0
; COMPUTE_PGM_RSRC2:USER_SGPR: 6
; COMPUTE_PGM_RSRC2:TRAP_HANDLER: 0
; COMPUTE_PGM_RSRC2:TGID_X_EN: 1
; COMPUTE_PGM_RSRC2:TGID_Y_EN: 0
; COMPUTE_PGM_RSRC2:TGID_Z_EN: 0
; COMPUTE_PGM_RSRC2:TIDIG_COMP_CNT: 0
; COMPUTE_PGM_RSRC3_GFX90A:ACCUM_OFFSET: 0
; COMPUTE_PGM_RSRC3_GFX90A:TG_SPLIT: 0
	.section	.text._ZN7rocprim17ROCPRIM_400000_NS6detail17trampoline_kernelINS0_14default_configENS1_29reduce_by_key_config_selectorIxxN6thrust23THRUST_200600_302600_NS4plusIxEEEEZZNS1_33reduce_by_key_impl_wrapped_configILNS1_25lookback_scan_determinismE0ES3_S9_NS6_6detail15normal_iteratorINS6_10device_ptrIxEEEESG_SG_SG_PmS8_NS6_8equal_toIxEEEE10hipError_tPvRmT2_T3_mT4_T5_T6_T7_T8_P12ihipStream_tbENKUlT_T0_E_clISt17integral_constantIbLb1EES11_EEDaSW_SX_EUlSW_E_NS1_11comp_targetILNS1_3genE2ELNS1_11target_archE906ELNS1_3gpuE6ELNS1_3repE0EEENS1_30default_config_static_selectorELNS0_4arch9wavefront6targetE1EEEvT1_,"axG",@progbits,_ZN7rocprim17ROCPRIM_400000_NS6detail17trampoline_kernelINS0_14default_configENS1_29reduce_by_key_config_selectorIxxN6thrust23THRUST_200600_302600_NS4plusIxEEEEZZNS1_33reduce_by_key_impl_wrapped_configILNS1_25lookback_scan_determinismE0ES3_S9_NS6_6detail15normal_iteratorINS6_10device_ptrIxEEEESG_SG_SG_PmS8_NS6_8equal_toIxEEEE10hipError_tPvRmT2_T3_mT4_T5_T6_T7_T8_P12ihipStream_tbENKUlT_T0_E_clISt17integral_constantIbLb1EES11_EEDaSW_SX_EUlSW_E_NS1_11comp_targetILNS1_3genE2ELNS1_11target_archE906ELNS1_3gpuE6ELNS1_3repE0EEENS1_30default_config_static_selectorELNS0_4arch9wavefront6targetE1EEEvT1_,comdat
	.protected	_ZN7rocprim17ROCPRIM_400000_NS6detail17trampoline_kernelINS0_14default_configENS1_29reduce_by_key_config_selectorIxxN6thrust23THRUST_200600_302600_NS4plusIxEEEEZZNS1_33reduce_by_key_impl_wrapped_configILNS1_25lookback_scan_determinismE0ES3_S9_NS6_6detail15normal_iteratorINS6_10device_ptrIxEEEESG_SG_SG_PmS8_NS6_8equal_toIxEEEE10hipError_tPvRmT2_T3_mT4_T5_T6_T7_T8_P12ihipStream_tbENKUlT_T0_E_clISt17integral_constantIbLb1EES11_EEDaSW_SX_EUlSW_E_NS1_11comp_targetILNS1_3genE2ELNS1_11target_archE906ELNS1_3gpuE6ELNS1_3repE0EEENS1_30default_config_static_selectorELNS0_4arch9wavefront6targetE1EEEvT1_ ; -- Begin function _ZN7rocprim17ROCPRIM_400000_NS6detail17trampoline_kernelINS0_14default_configENS1_29reduce_by_key_config_selectorIxxN6thrust23THRUST_200600_302600_NS4plusIxEEEEZZNS1_33reduce_by_key_impl_wrapped_configILNS1_25lookback_scan_determinismE0ES3_S9_NS6_6detail15normal_iteratorINS6_10device_ptrIxEEEESG_SG_SG_PmS8_NS6_8equal_toIxEEEE10hipError_tPvRmT2_T3_mT4_T5_T6_T7_T8_P12ihipStream_tbENKUlT_T0_E_clISt17integral_constantIbLb1EES11_EEDaSW_SX_EUlSW_E_NS1_11comp_targetILNS1_3genE2ELNS1_11target_archE906ELNS1_3gpuE6ELNS1_3repE0EEENS1_30default_config_static_selectorELNS0_4arch9wavefront6targetE1EEEvT1_
	.globl	_ZN7rocprim17ROCPRIM_400000_NS6detail17trampoline_kernelINS0_14default_configENS1_29reduce_by_key_config_selectorIxxN6thrust23THRUST_200600_302600_NS4plusIxEEEEZZNS1_33reduce_by_key_impl_wrapped_configILNS1_25lookback_scan_determinismE0ES3_S9_NS6_6detail15normal_iteratorINS6_10device_ptrIxEEEESG_SG_SG_PmS8_NS6_8equal_toIxEEEE10hipError_tPvRmT2_T3_mT4_T5_T6_T7_T8_P12ihipStream_tbENKUlT_T0_E_clISt17integral_constantIbLb1EES11_EEDaSW_SX_EUlSW_E_NS1_11comp_targetILNS1_3genE2ELNS1_11target_archE906ELNS1_3gpuE6ELNS1_3repE0EEENS1_30default_config_static_selectorELNS0_4arch9wavefront6targetE1EEEvT1_
	.p2align	8
	.type	_ZN7rocprim17ROCPRIM_400000_NS6detail17trampoline_kernelINS0_14default_configENS1_29reduce_by_key_config_selectorIxxN6thrust23THRUST_200600_302600_NS4plusIxEEEEZZNS1_33reduce_by_key_impl_wrapped_configILNS1_25lookback_scan_determinismE0ES3_S9_NS6_6detail15normal_iteratorINS6_10device_ptrIxEEEESG_SG_SG_PmS8_NS6_8equal_toIxEEEE10hipError_tPvRmT2_T3_mT4_T5_T6_T7_T8_P12ihipStream_tbENKUlT_T0_E_clISt17integral_constantIbLb1EES11_EEDaSW_SX_EUlSW_E_NS1_11comp_targetILNS1_3genE2ELNS1_11target_archE906ELNS1_3gpuE6ELNS1_3repE0EEENS1_30default_config_static_selectorELNS0_4arch9wavefront6targetE1EEEvT1_,@function
_ZN7rocprim17ROCPRIM_400000_NS6detail17trampoline_kernelINS0_14default_configENS1_29reduce_by_key_config_selectorIxxN6thrust23THRUST_200600_302600_NS4plusIxEEEEZZNS1_33reduce_by_key_impl_wrapped_configILNS1_25lookback_scan_determinismE0ES3_S9_NS6_6detail15normal_iteratorINS6_10device_ptrIxEEEESG_SG_SG_PmS8_NS6_8equal_toIxEEEE10hipError_tPvRmT2_T3_mT4_T5_T6_T7_T8_P12ihipStream_tbENKUlT_T0_E_clISt17integral_constantIbLb1EES11_EEDaSW_SX_EUlSW_E_NS1_11comp_targetILNS1_3genE2ELNS1_11target_archE906ELNS1_3gpuE6ELNS1_3repE0EEENS1_30default_config_static_selectorELNS0_4arch9wavefront6targetE1EEEvT1_: ; @_ZN7rocprim17ROCPRIM_400000_NS6detail17trampoline_kernelINS0_14default_configENS1_29reduce_by_key_config_selectorIxxN6thrust23THRUST_200600_302600_NS4plusIxEEEEZZNS1_33reduce_by_key_impl_wrapped_configILNS1_25lookback_scan_determinismE0ES3_S9_NS6_6detail15normal_iteratorINS6_10device_ptrIxEEEESG_SG_SG_PmS8_NS6_8equal_toIxEEEE10hipError_tPvRmT2_T3_mT4_T5_T6_T7_T8_P12ihipStream_tbENKUlT_T0_E_clISt17integral_constantIbLb1EES11_EEDaSW_SX_EUlSW_E_NS1_11comp_targetILNS1_3genE2ELNS1_11target_archE906ELNS1_3gpuE6ELNS1_3repE0EEENS1_30default_config_static_selectorELNS0_4arch9wavefront6targetE1EEEvT1_
; %bb.0:
	.section	.rodata,"a",@progbits
	.p2align	6, 0x0
	.amdhsa_kernel _ZN7rocprim17ROCPRIM_400000_NS6detail17trampoline_kernelINS0_14default_configENS1_29reduce_by_key_config_selectorIxxN6thrust23THRUST_200600_302600_NS4plusIxEEEEZZNS1_33reduce_by_key_impl_wrapped_configILNS1_25lookback_scan_determinismE0ES3_S9_NS6_6detail15normal_iteratorINS6_10device_ptrIxEEEESG_SG_SG_PmS8_NS6_8equal_toIxEEEE10hipError_tPvRmT2_T3_mT4_T5_T6_T7_T8_P12ihipStream_tbENKUlT_T0_E_clISt17integral_constantIbLb1EES11_EEDaSW_SX_EUlSW_E_NS1_11comp_targetILNS1_3genE2ELNS1_11target_archE906ELNS1_3gpuE6ELNS1_3repE0EEENS1_30default_config_static_selectorELNS0_4arch9wavefront6targetE1EEEvT1_
		.amdhsa_group_segment_fixed_size 0
		.amdhsa_private_segment_fixed_size 0
		.amdhsa_kernarg_size 136
		.amdhsa_user_sgpr_count 6
		.amdhsa_user_sgpr_private_segment_buffer 1
		.amdhsa_user_sgpr_dispatch_ptr 0
		.amdhsa_user_sgpr_queue_ptr 0
		.amdhsa_user_sgpr_kernarg_segment_ptr 1
		.amdhsa_user_sgpr_dispatch_id 0
		.amdhsa_user_sgpr_flat_scratch_init 0
		.amdhsa_user_sgpr_kernarg_preload_length 0
		.amdhsa_user_sgpr_kernarg_preload_offset 0
		.amdhsa_user_sgpr_private_segment_size 0
		.amdhsa_uses_dynamic_stack 0
		.amdhsa_system_sgpr_private_segment_wavefront_offset 0
		.amdhsa_system_sgpr_workgroup_id_x 1
		.amdhsa_system_sgpr_workgroup_id_y 0
		.amdhsa_system_sgpr_workgroup_id_z 0
		.amdhsa_system_sgpr_workgroup_info 0
		.amdhsa_system_vgpr_workitem_id 0
		.amdhsa_next_free_vgpr 1
		.amdhsa_next_free_sgpr 0
		.amdhsa_accum_offset 4
		.amdhsa_reserve_vcc 0
		.amdhsa_reserve_flat_scratch 0
		.amdhsa_float_round_mode_32 0
		.amdhsa_float_round_mode_16_64 0
		.amdhsa_float_denorm_mode_32 3
		.amdhsa_float_denorm_mode_16_64 3
		.amdhsa_dx10_clamp 1
		.amdhsa_ieee_mode 1
		.amdhsa_fp16_overflow 0
		.amdhsa_tg_split 0
		.amdhsa_exception_fp_ieee_invalid_op 0
		.amdhsa_exception_fp_denorm_src 0
		.amdhsa_exception_fp_ieee_div_zero 0
		.amdhsa_exception_fp_ieee_overflow 0
		.amdhsa_exception_fp_ieee_underflow 0
		.amdhsa_exception_fp_ieee_inexact 0
		.amdhsa_exception_int_div_zero 0
	.end_amdhsa_kernel
	.section	.text._ZN7rocprim17ROCPRIM_400000_NS6detail17trampoline_kernelINS0_14default_configENS1_29reduce_by_key_config_selectorIxxN6thrust23THRUST_200600_302600_NS4plusIxEEEEZZNS1_33reduce_by_key_impl_wrapped_configILNS1_25lookback_scan_determinismE0ES3_S9_NS6_6detail15normal_iteratorINS6_10device_ptrIxEEEESG_SG_SG_PmS8_NS6_8equal_toIxEEEE10hipError_tPvRmT2_T3_mT4_T5_T6_T7_T8_P12ihipStream_tbENKUlT_T0_E_clISt17integral_constantIbLb1EES11_EEDaSW_SX_EUlSW_E_NS1_11comp_targetILNS1_3genE2ELNS1_11target_archE906ELNS1_3gpuE6ELNS1_3repE0EEENS1_30default_config_static_selectorELNS0_4arch9wavefront6targetE1EEEvT1_,"axG",@progbits,_ZN7rocprim17ROCPRIM_400000_NS6detail17trampoline_kernelINS0_14default_configENS1_29reduce_by_key_config_selectorIxxN6thrust23THRUST_200600_302600_NS4plusIxEEEEZZNS1_33reduce_by_key_impl_wrapped_configILNS1_25lookback_scan_determinismE0ES3_S9_NS6_6detail15normal_iteratorINS6_10device_ptrIxEEEESG_SG_SG_PmS8_NS6_8equal_toIxEEEE10hipError_tPvRmT2_T3_mT4_T5_T6_T7_T8_P12ihipStream_tbENKUlT_T0_E_clISt17integral_constantIbLb1EES11_EEDaSW_SX_EUlSW_E_NS1_11comp_targetILNS1_3genE2ELNS1_11target_archE906ELNS1_3gpuE6ELNS1_3repE0EEENS1_30default_config_static_selectorELNS0_4arch9wavefront6targetE1EEEvT1_,comdat
.Lfunc_end483:
	.size	_ZN7rocprim17ROCPRIM_400000_NS6detail17trampoline_kernelINS0_14default_configENS1_29reduce_by_key_config_selectorIxxN6thrust23THRUST_200600_302600_NS4plusIxEEEEZZNS1_33reduce_by_key_impl_wrapped_configILNS1_25lookback_scan_determinismE0ES3_S9_NS6_6detail15normal_iteratorINS6_10device_ptrIxEEEESG_SG_SG_PmS8_NS6_8equal_toIxEEEE10hipError_tPvRmT2_T3_mT4_T5_T6_T7_T8_P12ihipStream_tbENKUlT_T0_E_clISt17integral_constantIbLb1EES11_EEDaSW_SX_EUlSW_E_NS1_11comp_targetILNS1_3genE2ELNS1_11target_archE906ELNS1_3gpuE6ELNS1_3repE0EEENS1_30default_config_static_selectorELNS0_4arch9wavefront6targetE1EEEvT1_, .Lfunc_end483-_ZN7rocprim17ROCPRIM_400000_NS6detail17trampoline_kernelINS0_14default_configENS1_29reduce_by_key_config_selectorIxxN6thrust23THRUST_200600_302600_NS4plusIxEEEEZZNS1_33reduce_by_key_impl_wrapped_configILNS1_25lookback_scan_determinismE0ES3_S9_NS6_6detail15normal_iteratorINS6_10device_ptrIxEEEESG_SG_SG_PmS8_NS6_8equal_toIxEEEE10hipError_tPvRmT2_T3_mT4_T5_T6_T7_T8_P12ihipStream_tbENKUlT_T0_E_clISt17integral_constantIbLb1EES11_EEDaSW_SX_EUlSW_E_NS1_11comp_targetILNS1_3genE2ELNS1_11target_archE906ELNS1_3gpuE6ELNS1_3repE0EEENS1_30default_config_static_selectorELNS0_4arch9wavefront6targetE1EEEvT1_
                                        ; -- End function
	.section	.AMDGPU.csdata,"",@progbits
; Kernel info:
; codeLenInByte = 0
; NumSgprs: 4
; NumVgprs: 0
; NumAgprs: 0
; TotalNumVgprs: 0
; ScratchSize: 0
; MemoryBound: 0
; FloatMode: 240
; IeeeMode: 1
; LDSByteSize: 0 bytes/workgroup (compile time only)
; SGPRBlocks: 0
; VGPRBlocks: 0
; NumSGPRsForWavesPerEU: 4
; NumVGPRsForWavesPerEU: 1
; AccumOffset: 4
; Occupancy: 8
; WaveLimiterHint : 0
; COMPUTE_PGM_RSRC2:SCRATCH_EN: 0
; COMPUTE_PGM_RSRC2:USER_SGPR: 6
; COMPUTE_PGM_RSRC2:TRAP_HANDLER: 0
; COMPUTE_PGM_RSRC2:TGID_X_EN: 1
; COMPUTE_PGM_RSRC2:TGID_Y_EN: 0
; COMPUTE_PGM_RSRC2:TGID_Z_EN: 0
; COMPUTE_PGM_RSRC2:TIDIG_COMP_CNT: 0
; COMPUTE_PGM_RSRC3_GFX90A:ACCUM_OFFSET: 0
; COMPUTE_PGM_RSRC3_GFX90A:TG_SPLIT: 0
	.section	.text._ZN7rocprim17ROCPRIM_400000_NS6detail17trampoline_kernelINS0_14default_configENS1_29reduce_by_key_config_selectorIxxN6thrust23THRUST_200600_302600_NS4plusIxEEEEZZNS1_33reduce_by_key_impl_wrapped_configILNS1_25lookback_scan_determinismE0ES3_S9_NS6_6detail15normal_iteratorINS6_10device_ptrIxEEEESG_SG_SG_PmS8_NS6_8equal_toIxEEEE10hipError_tPvRmT2_T3_mT4_T5_T6_T7_T8_P12ihipStream_tbENKUlT_T0_E_clISt17integral_constantIbLb1EES11_EEDaSW_SX_EUlSW_E_NS1_11comp_targetILNS1_3genE10ELNS1_11target_archE1201ELNS1_3gpuE5ELNS1_3repE0EEENS1_30default_config_static_selectorELNS0_4arch9wavefront6targetE1EEEvT1_,"axG",@progbits,_ZN7rocprim17ROCPRIM_400000_NS6detail17trampoline_kernelINS0_14default_configENS1_29reduce_by_key_config_selectorIxxN6thrust23THRUST_200600_302600_NS4plusIxEEEEZZNS1_33reduce_by_key_impl_wrapped_configILNS1_25lookback_scan_determinismE0ES3_S9_NS6_6detail15normal_iteratorINS6_10device_ptrIxEEEESG_SG_SG_PmS8_NS6_8equal_toIxEEEE10hipError_tPvRmT2_T3_mT4_T5_T6_T7_T8_P12ihipStream_tbENKUlT_T0_E_clISt17integral_constantIbLb1EES11_EEDaSW_SX_EUlSW_E_NS1_11comp_targetILNS1_3genE10ELNS1_11target_archE1201ELNS1_3gpuE5ELNS1_3repE0EEENS1_30default_config_static_selectorELNS0_4arch9wavefront6targetE1EEEvT1_,comdat
	.protected	_ZN7rocprim17ROCPRIM_400000_NS6detail17trampoline_kernelINS0_14default_configENS1_29reduce_by_key_config_selectorIxxN6thrust23THRUST_200600_302600_NS4plusIxEEEEZZNS1_33reduce_by_key_impl_wrapped_configILNS1_25lookback_scan_determinismE0ES3_S9_NS6_6detail15normal_iteratorINS6_10device_ptrIxEEEESG_SG_SG_PmS8_NS6_8equal_toIxEEEE10hipError_tPvRmT2_T3_mT4_T5_T6_T7_T8_P12ihipStream_tbENKUlT_T0_E_clISt17integral_constantIbLb1EES11_EEDaSW_SX_EUlSW_E_NS1_11comp_targetILNS1_3genE10ELNS1_11target_archE1201ELNS1_3gpuE5ELNS1_3repE0EEENS1_30default_config_static_selectorELNS0_4arch9wavefront6targetE1EEEvT1_ ; -- Begin function _ZN7rocprim17ROCPRIM_400000_NS6detail17trampoline_kernelINS0_14default_configENS1_29reduce_by_key_config_selectorIxxN6thrust23THRUST_200600_302600_NS4plusIxEEEEZZNS1_33reduce_by_key_impl_wrapped_configILNS1_25lookback_scan_determinismE0ES3_S9_NS6_6detail15normal_iteratorINS6_10device_ptrIxEEEESG_SG_SG_PmS8_NS6_8equal_toIxEEEE10hipError_tPvRmT2_T3_mT4_T5_T6_T7_T8_P12ihipStream_tbENKUlT_T0_E_clISt17integral_constantIbLb1EES11_EEDaSW_SX_EUlSW_E_NS1_11comp_targetILNS1_3genE10ELNS1_11target_archE1201ELNS1_3gpuE5ELNS1_3repE0EEENS1_30default_config_static_selectorELNS0_4arch9wavefront6targetE1EEEvT1_
	.globl	_ZN7rocprim17ROCPRIM_400000_NS6detail17trampoline_kernelINS0_14default_configENS1_29reduce_by_key_config_selectorIxxN6thrust23THRUST_200600_302600_NS4plusIxEEEEZZNS1_33reduce_by_key_impl_wrapped_configILNS1_25lookback_scan_determinismE0ES3_S9_NS6_6detail15normal_iteratorINS6_10device_ptrIxEEEESG_SG_SG_PmS8_NS6_8equal_toIxEEEE10hipError_tPvRmT2_T3_mT4_T5_T6_T7_T8_P12ihipStream_tbENKUlT_T0_E_clISt17integral_constantIbLb1EES11_EEDaSW_SX_EUlSW_E_NS1_11comp_targetILNS1_3genE10ELNS1_11target_archE1201ELNS1_3gpuE5ELNS1_3repE0EEENS1_30default_config_static_selectorELNS0_4arch9wavefront6targetE1EEEvT1_
	.p2align	8
	.type	_ZN7rocprim17ROCPRIM_400000_NS6detail17trampoline_kernelINS0_14default_configENS1_29reduce_by_key_config_selectorIxxN6thrust23THRUST_200600_302600_NS4plusIxEEEEZZNS1_33reduce_by_key_impl_wrapped_configILNS1_25lookback_scan_determinismE0ES3_S9_NS6_6detail15normal_iteratorINS6_10device_ptrIxEEEESG_SG_SG_PmS8_NS6_8equal_toIxEEEE10hipError_tPvRmT2_T3_mT4_T5_T6_T7_T8_P12ihipStream_tbENKUlT_T0_E_clISt17integral_constantIbLb1EES11_EEDaSW_SX_EUlSW_E_NS1_11comp_targetILNS1_3genE10ELNS1_11target_archE1201ELNS1_3gpuE5ELNS1_3repE0EEENS1_30default_config_static_selectorELNS0_4arch9wavefront6targetE1EEEvT1_,@function
_ZN7rocprim17ROCPRIM_400000_NS6detail17trampoline_kernelINS0_14default_configENS1_29reduce_by_key_config_selectorIxxN6thrust23THRUST_200600_302600_NS4plusIxEEEEZZNS1_33reduce_by_key_impl_wrapped_configILNS1_25lookback_scan_determinismE0ES3_S9_NS6_6detail15normal_iteratorINS6_10device_ptrIxEEEESG_SG_SG_PmS8_NS6_8equal_toIxEEEE10hipError_tPvRmT2_T3_mT4_T5_T6_T7_T8_P12ihipStream_tbENKUlT_T0_E_clISt17integral_constantIbLb1EES11_EEDaSW_SX_EUlSW_E_NS1_11comp_targetILNS1_3genE10ELNS1_11target_archE1201ELNS1_3gpuE5ELNS1_3repE0EEENS1_30default_config_static_selectorELNS0_4arch9wavefront6targetE1EEEvT1_: ; @_ZN7rocprim17ROCPRIM_400000_NS6detail17trampoline_kernelINS0_14default_configENS1_29reduce_by_key_config_selectorIxxN6thrust23THRUST_200600_302600_NS4plusIxEEEEZZNS1_33reduce_by_key_impl_wrapped_configILNS1_25lookback_scan_determinismE0ES3_S9_NS6_6detail15normal_iteratorINS6_10device_ptrIxEEEESG_SG_SG_PmS8_NS6_8equal_toIxEEEE10hipError_tPvRmT2_T3_mT4_T5_T6_T7_T8_P12ihipStream_tbENKUlT_T0_E_clISt17integral_constantIbLb1EES11_EEDaSW_SX_EUlSW_E_NS1_11comp_targetILNS1_3genE10ELNS1_11target_archE1201ELNS1_3gpuE5ELNS1_3repE0EEENS1_30default_config_static_selectorELNS0_4arch9wavefront6targetE1EEEvT1_
; %bb.0:
	.section	.rodata,"a",@progbits
	.p2align	6, 0x0
	.amdhsa_kernel _ZN7rocprim17ROCPRIM_400000_NS6detail17trampoline_kernelINS0_14default_configENS1_29reduce_by_key_config_selectorIxxN6thrust23THRUST_200600_302600_NS4plusIxEEEEZZNS1_33reduce_by_key_impl_wrapped_configILNS1_25lookback_scan_determinismE0ES3_S9_NS6_6detail15normal_iteratorINS6_10device_ptrIxEEEESG_SG_SG_PmS8_NS6_8equal_toIxEEEE10hipError_tPvRmT2_T3_mT4_T5_T6_T7_T8_P12ihipStream_tbENKUlT_T0_E_clISt17integral_constantIbLb1EES11_EEDaSW_SX_EUlSW_E_NS1_11comp_targetILNS1_3genE10ELNS1_11target_archE1201ELNS1_3gpuE5ELNS1_3repE0EEENS1_30default_config_static_selectorELNS0_4arch9wavefront6targetE1EEEvT1_
		.amdhsa_group_segment_fixed_size 0
		.amdhsa_private_segment_fixed_size 0
		.amdhsa_kernarg_size 136
		.amdhsa_user_sgpr_count 6
		.amdhsa_user_sgpr_private_segment_buffer 1
		.amdhsa_user_sgpr_dispatch_ptr 0
		.amdhsa_user_sgpr_queue_ptr 0
		.amdhsa_user_sgpr_kernarg_segment_ptr 1
		.amdhsa_user_sgpr_dispatch_id 0
		.amdhsa_user_sgpr_flat_scratch_init 0
		.amdhsa_user_sgpr_kernarg_preload_length 0
		.amdhsa_user_sgpr_kernarg_preload_offset 0
		.amdhsa_user_sgpr_private_segment_size 0
		.amdhsa_uses_dynamic_stack 0
		.amdhsa_system_sgpr_private_segment_wavefront_offset 0
		.amdhsa_system_sgpr_workgroup_id_x 1
		.amdhsa_system_sgpr_workgroup_id_y 0
		.amdhsa_system_sgpr_workgroup_id_z 0
		.amdhsa_system_sgpr_workgroup_info 0
		.amdhsa_system_vgpr_workitem_id 0
		.amdhsa_next_free_vgpr 1
		.amdhsa_next_free_sgpr 0
		.amdhsa_accum_offset 4
		.amdhsa_reserve_vcc 0
		.amdhsa_reserve_flat_scratch 0
		.amdhsa_float_round_mode_32 0
		.amdhsa_float_round_mode_16_64 0
		.amdhsa_float_denorm_mode_32 3
		.amdhsa_float_denorm_mode_16_64 3
		.amdhsa_dx10_clamp 1
		.amdhsa_ieee_mode 1
		.amdhsa_fp16_overflow 0
		.amdhsa_tg_split 0
		.amdhsa_exception_fp_ieee_invalid_op 0
		.amdhsa_exception_fp_denorm_src 0
		.amdhsa_exception_fp_ieee_div_zero 0
		.amdhsa_exception_fp_ieee_overflow 0
		.amdhsa_exception_fp_ieee_underflow 0
		.amdhsa_exception_fp_ieee_inexact 0
		.amdhsa_exception_int_div_zero 0
	.end_amdhsa_kernel
	.section	.text._ZN7rocprim17ROCPRIM_400000_NS6detail17trampoline_kernelINS0_14default_configENS1_29reduce_by_key_config_selectorIxxN6thrust23THRUST_200600_302600_NS4plusIxEEEEZZNS1_33reduce_by_key_impl_wrapped_configILNS1_25lookback_scan_determinismE0ES3_S9_NS6_6detail15normal_iteratorINS6_10device_ptrIxEEEESG_SG_SG_PmS8_NS6_8equal_toIxEEEE10hipError_tPvRmT2_T3_mT4_T5_T6_T7_T8_P12ihipStream_tbENKUlT_T0_E_clISt17integral_constantIbLb1EES11_EEDaSW_SX_EUlSW_E_NS1_11comp_targetILNS1_3genE10ELNS1_11target_archE1201ELNS1_3gpuE5ELNS1_3repE0EEENS1_30default_config_static_selectorELNS0_4arch9wavefront6targetE1EEEvT1_,"axG",@progbits,_ZN7rocprim17ROCPRIM_400000_NS6detail17trampoline_kernelINS0_14default_configENS1_29reduce_by_key_config_selectorIxxN6thrust23THRUST_200600_302600_NS4plusIxEEEEZZNS1_33reduce_by_key_impl_wrapped_configILNS1_25lookback_scan_determinismE0ES3_S9_NS6_6detail15normal_iteratorINS6_10device_ptrIxEEEESG_SG_SG_PmS8_NS6_8equal_toIxEEEE10hipError_tPvRmT2_T3_mT4_T5_T6_T7_T8_P12ihipStream_tbENKUlT_T0_E_clISt17integral_constantIbLb1EES11_EEDaSW_SX_EUlSW_E_NS1_11comp_targetILNS1_3genE10ELNS1_11target_archE1201ELNS1_3gpuE5ELNS1_3repE0EEENS1_30default_config_static_selectorELNS0_4arch9wavefront6targetE1EEEvT1_,comdat
.Lfunc_end484:
	.size	_ZN7rocprim17ROCPRIM_400000_NS6detail17trampoline_kernelINS0_14default_configENS1_29reduce_by_key_config_selectorIxxN6thrust23THRUST_200600_302600_NS4plusIxEEEEZZNS1_33reduce_by_key_impl_wrapped_configILNS1_25lookback_scan_determinismE0ES3_S9_NS6_6detail15normal_iteratorINS6_10device_ptrIxEEEESG_SG_SG_PmS8_NS6_8equal_toIxEEEE10hipError_tPvRmT2_T3_mT4_T5_T6_T7_T8_P12ihipStream_tbENKUlT_T0_E_clISt17integral_constantIbLb1EES11_EEDaSW_SX_EUlSW_E_NS1_11comp_targetILNS1_3genE10ELNS1_11target_archE1201ELNS1_3gpuE5ELNS1_3repE0EEENS1_30default_config_static_selectorELNS0_4arch9wavefront6targetE1EEEvT1_, .Lfunc_end484-_ZN7rocprim17ROCPRIM_400000_NS6detail17trampoline_kernelINS0_14default_configENS1_29reduce_by_key_config_selectorIxxN6thrust23THRUST_200600_302600_NS4plusIxEEEEZZNS1_33reduce_by_key_impl_wrapped_configILNS1_25lookback_scan_determinismE0ES3_S9_NS6_6detail15normal_iteratorINS6_10device_ptrIxEEEESG_SG_SG_PmS8_NS6_8equal_toIxEEEE10hipError_tPvRmT2_T3_mT4_T5_T6_T7_T8_P12ihipStream_tbENKUlT_T0_E_clISt17integral_constantIbLb1EES11_EEDaSW_SX_EUlSW_E_NS1_11comp_targetILNS1_3genE10ELNS1_11target_archE1201ELNS1_3gpuE5ELNS1_3repE0EEENS1_30default_config_static_selectorELNS0_4arch9wavefront6targetE1EEEvT1_
                                        ; -- End function
	.section	.AMDGPU.csdata,"",@progbits
; Kernel info:
; codeLenInByte = 0
; NumSgprs: 4
; NumVgprs: 0
; NumAgprs: 0
; TotalNumVgprs: 0
; ScratchSize: 0
; MemoryBound: 0
; FloatMode: 240
; IeeeMode: 1
; LDSByteSize: 0 bytes/workgroup (compile time only)
; SGPRBlocks: 0
; VGPRBlocks: 0
; NumSGPRsForWavesPerEU: 4
; NumVGPRsForWavesPerEU: 1
; AccumOffset: 4
; Occupancy: 8
; WaveLimiterHint : 0
; COMPUTE_PGM_RSRC2:SCRATCH_EN: 0
; COMPUTE_PGM_RSRC2:USER_SGPR: 6
; COMPUTE_PGM_RSRC2:TRAP_HANDLER: 0
; COMPUTE_PGM_RSRC2:TGID_X_EN: 1
; COMPUTE_PGM_RSRC2:TGID_Y_EN: 0
; COMPUTE_PGM_RSRC2:TGID_Z_EN: 0
; COMPUTE_PGM_RSRC2:TIDIG_COMP_CNT: 0
; COMPUTE_PGM_RSRC3_GFX90A:ACCUM_OFFSET: 0
; COMPUTE_PGM_RSRC3_GFX90A:TG_SPLIT: 0
	.section	.text._ZN7rocprim17ROCPRIM_400000_NS6detail17trampoline_kernelINS0_14default_configENS1_29reduce_by_key_config_selectorIxxN6thrust23THRUST_200600_302600_NS4plusIxEEEEZZNS1_33reduce_by_key_impl_wrapped_configILNS1_25lookback_scan_determinismE0ES3_S9_NS6_6detail15normal_iteratorINS6_10device_ptrIxEEEESG_SG_SG_PmS8_NS6_8equal_toIxEEEE10hipError_tPvRmT2_T3_mT4_T5_T6_T7_T8_P12ihipStream_tbENKUlT_T0_E_clISt17integral_constantIbLb1EES11_EEDaSW_SX_EUlSW_E_NS1_11comp_targetILNS1_3genE10ELNS1_11target_archE1200ELNS1_3gpuE4ELNS1_3repE0EEENS1_30default_config_static_selectorELNS0_4arch9wavefront6targetE1EEEvT1_,"axG",@progbits,_ZN7rocprim17ROCPRIM_400000_NS6detail17trampoline_kernelINS0_14default_configENS1_29reduce_by_key_config_selectorIxxN6thrust23THRUST_200600_302600_NS4plusIxEEEEZZNS1_33reduce_by_key_impl_wrapped_configILNS1_25lookback_scan_determinismE0ES3_S9_NS6_6detail15normal_iteratorINS6_10device_ptrIxEEEESG_SG_SG_PmS8_NS6_8equal_toIxEEEE10hipError_tPvRmT2_T3_mT4_T5_T6_T7_T8_P12ihipStream_tbENKUlT_T0_E_clISt17integral_constantIbLb1EES11_EEDaSW_SX_EUlSW_E_NS1_11comp_targetILNS1_3genE10ELNS1_11target_archE1200ELNS1_3gpuE4ELNS1_3repE0EEENS1_30default_config_static_selectorELNS0_4arch9wavefront6targetE1EEEvT1_,comdat
	.protected	_ZN7rocprim17ROCPRIM_400000_NS6detail17trampoline_kernelINS0_14default_configENS1_29reduce_by_key_config_selectorIxxN6thrust23THRUST_200600_302600_NS4plusIxEEEEZZNS1_33reduce_by_key_impl_wrapped_configILNS1_25lookback_scan_determinismE0ES3_S9_NS6_6detail15normal_iteratorINS6_10device_ptrIxEEEESG_SG_SG_PmS8_NS6_8equal_toIxEEEE10hipError_tPvRmT2_T3_mT4_T5_T6_T7_T8_P12ihipStream_tbENKUlT_T0_E_clISt17integral_constantIbLb1EES11_EEDaSW_SX_EUlSW_E_NS1_11comp_targetILNS1_3genE10ELNS1_11target_archE1200ELNS1_3gpuE4ELNS1_3repE0EEENS1_30default_config_static_selectorELNS0_4arch9wavefront6targetE1EEEvT1_ ; -- Begin function _ZN7rocprim17ROCPRIM_400000_NS6detail17trampoline_kernelINS0_14default_configENS1_29reduce_by_key_config_selectorIxxN6thrust23THRUST_200600_302600_NS4plusIxEEEEZZNS1_33reduce_by_key_impl_wrapped_configILNS1_25lookback_scan_determinismE0ES3_S9_NS6_6detail15normal_iteratorINS6_10device_ptrIxEEEESG_SG_SG_PmS8_NS6_8equal_toIxEEEE10hipError_tPvRmT2_T3_mT4_T5_T6_T7_T8_P12ihipStream_tbENKUlT_T0_E_clISt17integral_constantIbLb1EES11_EEDaSW_SX_EUlSW_E_NS1_11comp_targetILNS1_3genE10ELNS1_11target_archE1200ELNS1_3gpuE4ELNS1_3repE0EEENS1_30default_config_static_selectorELNS0_4arch9wavefront6targetE1EEEvT1_
	.globl	_ZN7rocprim17ROCPRIM_400000_NS6detail17trampoline_kernelINS0_14default_configENS1_29reduce_by_key_config_selectorIxxN6thrust23THRUST_200600_302600_NS4plusIxEEEEZZNS1_33reduce_by_key_impl_wrapped_configILNS1_25lookback_scan_determinismE0ES3_S9_NS6_6detail15normal_iteratorINS6_10device_ptrIxEEEESG_SG_SG_PmS8_NS6_8equal_toIxEEEE10hipError_tPvRmT2_T3_mT4_T5_T6_T7_T8_P12ihipStream_tbENKUlT_T0_E_clISt17integral_constantIbLb1EES11_EEDaSW_SX_EUlSW_E_NS1_11comp_targetILNS1_3genE10ELNS1_11target_archE1200ELNS1_3gpuE4ELNS1_3repE0EEENS1_30default_config_static_selectorELNS0_4arch9wavefront6targetE1EEEvT1_
	.p2align	8
	.type	_ZN7rocprim17ROCPRIM_400000_NS6detail17trampoline_kernelINS0_14default_configENS1_29reduce_by_key_config_selectorIxxN6thrust23THRUST_200600_302600_NS4plusIxEEEEZZNS1_33reduce_by_key_impl_wrapped_configILNS1_25lookback_scan_determinismE0ES3_S9_NS6_6detail15normal_iteratorINS6_10device_ptrIxEEEESG_SG_SG_PmS8_NS6_8equal_toIxEEEE10hipError_tPvRmT2_T3_mT4_T5_T6_T7_T8_P12ihipStream_tbENKUlT_T0_E_clISt17integral_constantIbLb1EES11_EEDaSW_SX_EUlSW_E_NS1_11comp_targetILNS1_3genE10ELNS1_11target_archE1200ELNS1_3gpuE4ELNS1_3repE0EEENS1_30default_config_static_selectorELNS0_4arch9wavefront6targetE1EEEvT1_,@function
_ZN7rocprim17ROCPRIM_400000_NS6detail17trampoline_kernelINS0_14default_configENS1_29reduce_by_key_config_selectorIxxN6thrust23THRUST_200600_302600_NS4plusIxEEEEZZNS1_33reduce_by_key_impl_wrapped_configILNS1_25lookback_scan_determinismE0ES3_S9_NS6_6detail15normal_iteratorINS6_10device_ptrIxEEEESG_SG_SG_PmS8_NS6_8equal_toIxEEEE10hipError_tPvRmT2_T3_mT4_T5_T6_T7_T8_P12ihipStream_tbENKUlT_T0_E_clISt17integral_constantIbLb1EES11_EEDaSW_SX_EUlSW_E_NS1_11comp_targetILNS1_3genE10ELNS1_11target_archE1200ELNS1_3gpuE4ELNS1_3repE0EEENS1_30default_config_static_selectorELNS0_4arch9wavefront6targetE1EEEvT1_: ; @_ZN7rocprim17ROCPRIM_400000_NS6detail17trampoline_kernelINS0_14default_configENS1_29reduce_by_key_config_selectorIxxN6thrust23THRUST_200600_302600_NS4plusIxEEEEZZNS1_33reduce_by_key_impl_wrapped_configILNS1_25lookback_scan_determinismE0ES3_S9_NS6_6detail15normal_iteratorINS6_10device_ptrIxEEEESG_SG_SG_PmS8_NS6_8equal_toIxEEEE10hipError_tPvRmT2_T3_mT4_T5_T6_T7_T8_P12ihipStream_tbENKUlT_T0_E_clISt17integral_constantIbLb1EES11_EEDaSW_SX_EUlSW_E_NS1_11comp_targetILNS1_3genE10ELNS1_11target_archE1200ELNS1_3gpuE4ELNS1_3repE0EEENS1_30default_config_static_selectorELNS0_4arch9wavefront6targetE1EEEvT1_
; %bb.0:
	.section	.rodata,"a",@progbits
	.p2align	6, 0x0
	.amdhsa_kernel _ZN7rocprim17ROCPRIM_400000_NS6detail17trampoline_kernelINS0_14default_configENS1_29reduce_by_key_config_selectorIxxN6thrust23THRUST_200600_302600_NS4plusIxEEEEZZNS1_33reduce_by_key_impl_wrapped_configILNS1_25lookback_scan_determinismE0ES3_S9_NS6_6detail15normal_iteratorINS6_10device_ptrIxEEEESG_SG_SG_PmS8_NS6_8equal_toIxEEEE10hipError_tPvRmT2_T3_mT4_T5_T6_T7_T8_P12ihipStream_tbENKUlT_T0_E_clISt17integral_constantIbLb1EES11_EEDaSW_SX_EUlSW_E_NS1_11comp_targetILNS1_3genE10ELNS1_11target_archE1200ELNS1_3gpuE4ELNS1_3repE0EEENS1_30default_config_static_selectorELNS0_4arch9wavefront6targetE1EEEvT1_
		.amdhsa_group_segment_fixed_size 0
		.amdhsa_private_segment_fixed_size 0
		.amdhsa_kernarg_size 136
		.amdhsa_user_sgpr_count 6
		.amdhsa_user_sgpr_private_segment_buffer 1
		.amdhsa_user_sgpr_dispatch_ptr 0
		.amdhsa_user_sgpr_queue_ptr 0
		.amdhsa_user_sgpr_kernarg_segment_ptr 1
		.amdhsa_user_sgpr_dispatch_id 0
		.amdhsa_user_sgpr_flat_scratch_init 0
		.amdhsa_user_sgpr_kernarg_preload_length 0
		.amdhsa_user_sgpr_kernarg_preload_offset 0
		.amdhsa_user_sgpr_private_segment_size 0
		.amdhsa_uses_dynamic_stack 0
		.amdhsa_system_sgpr_private_segment_wavefront_offset 0
		.amdhsa_system_sgpr_workgroup_id_x 1
		.amdhsa_system_sgpr_workgroup_id_y 0
		.amdhsa_system_sgpr_workgroup_id_z 0
		.amdhsa_system_sgpr_workgroup_info 0
		.amdhsa_system_vgpr_workitem_id 0
		.amdhsa_next_free_vgpr 1
		.amdhsa_next_free_sgpr 0
		.amdhsa_accum_offset 4
		.amdhsa_reserve_vcc 0
		.amdhsa_reserve_flat_scratch 0
		.amdhsa_float_round_mode_32 0
		.amdhsa_float_round_mode_16_64 0
		.amdhsa_float_denorm_mode_32 3
		.amdhsa_float_denorm_mode_16_64 3
		.amdhsa_dx10_clamp 1
		.amdhsa_ieee_mode 1
		.amdhsa_fp16_overflow 0
		.amdhsa_tg_split 0
		.amdhsa_exception_fp_ieee_invalid_op 0
		.amdhsa_exception_fp_denorm_src 0
		.amdhsa_exception_fp_ieee_div_zero 0
		.amdhsa_exception_fp_ieee_overflow 0
		.amdhsa_exception_fp_ieee_underflow 0
		.amdhsa_exception_fp_ieee_inexact 0
		.amdhsa_exception_int_div_zero 0
	.end_amdhsa_kernel
	.section	.text._ZN7rocprim17ROCPRIM_400000_NS6detail17trampoline_kernelINS0_14default_configENS1_29reduce_by_key_config_selectorIxxN6thrust23THRUST_200600_302600_NS4plusIxEEEEZZNS1_33reduce_by_key_impl_wrapped_configILNS1_25lookback_scan_determinismE0ES3_S9_NS6_6detail15normal_iteratorINS6_10device_ptrIxEEEESG_SG_SG_PmS8_NS6_8equal_toIxEEEE10hipError_tPvRmT2_T3_mT4_T5_T6_T7_T8_P12ihipStream_tbENKUlT_T0_E_clISt17integral_constantIbLb1EES11_EEDaSW_SX_EUlSW_E_NS1_11comp_targetILNS1_3genE10ELNS1_11target_archE1200ELNS1_3gpuE4ELNS1_3repE0EEENS1_30default_config_static_selectorELNS0_4arch9wavefront6targetE1EEEvT1_,"axG",@progbits,_ZN7rocprim17ROCPRIM_400000_NS6detail17trampoline_kernelINS0_14default_configENS1_29reduce_by_key_config_selectorIxxN6thrust23THRUST_200600_302600_NS4plusIxEEEEZZNS1_33reduce_by_key_impl_wrapped_configILNS1_25lookback_scan_determinismE0ES3_S9_NS6_6detail15normal_iteratorINS6_10device_ptrIxEEEESG_SG_SG_PmS8_NS6_8equal_toIxEEEE10hipError_tPvRmT2_T3_mT4_T5_T6_T7_T8_P12ihipStream_tbENKUlT_T0_E_clISt17integral_constantIbLb1EES11_EEDaSW_SX_EUlSW_E_NS1_11comp_targetILNS1_3genE10ELNS1_11target_archE1200ELNS1_3gpuE4ELNS1_3repE0EEENS1_30default_config_static_selectorELNS0_4arch9wavefront6targetE1EEEvT1_,comdat
.Lfunc_end485:
	.size	_ZN7rocprim17ROCPRIM_400000_NS6detail17trampoline_kernelINS0_14default_configENS1_29reduce_by_key_config_selectorIxxN6thrust23THRUST_200600_302600_NS4plusIxEEEEZZNS1_33reduce_by_key_impl_wrapped_configILNS1_25lookback_scan_determinismE0ES3_S9_NS6_6detail15normal_iteratorINS6_10device_ptrIxEEEESG_SG_SG_PmS8_NS6_8equal_toIxEEEE10hipError_tPvRmT2_T3_mT4_T5_T6_T7_T8_P12ihipStream_tbENKUlT_T0_E_clISt17integral_constantIbLb1EES11_EEDaSW_SX_EUlSW_E_NS1_11comp_targetILNS1_3genE10ELNS1_11target_archE1200ELNS1_3gpuE4ELNS1_3repE0EEENS1_30default_config_static_selectorELNS0_4arch9wavefront6targetE1EEEvT1_, .Lfunc_end485-_ZN7rocprim17ROCPRIM_400000_NS6detail17trampoline_kernelINS0_14default_configENS1_29reduce_by_key_config_selectorIxxN6thrust23THRUST_200600_302600_NS4plusIxEEEEZZNS1_33reduce_by_key_impl_wrapped_configILNS1_25lookback_scan_determinismE0ES3_S9_NS6_6detail15normal_iteratorINS6_10device_ptrIxEEEESG_SG_SG_PmS8_NS6_8equal_toIxEEEE10hipError_tPvRmT2_T3_mT4_T5_T6_T7_T8_P12ihipStream_tbENKUlT_T0_E_clISt17integral_constantIbLb1EES11_EEDaSW_SX_EUlSW_E_NS1_11comp_targetILNS1_3genE10ELNS1_11target_archE1200ELNS1_3gpuE4ELNS1_3repE0EEENS1_30default_config_static_selectorELNS0_4arch9wavefront6targetE1EEEvT1_
                                        ; -- End function
	.section	.AMDGPU.csdata,"",@progbits
; Kernel info:
; codeLenInByte = 0
; NumSgprs: 4
; NumVgprs: 0
; NumAgprs: 0
; TotalNumVgprs: 0
; ScratchSize: 0
; MemoryBound: 0
; FloatMode: 240
; IeeeMode: 1
; LDSByteSize: 0 bytes/workgroup (compile time only)
; SGPRBlocks: 0
; VGPRBlocks: 0
; NumSGPRsForWavesPerEU: 4
; NumVGPRsForWavesPerEU: 1
; AccumOffset: 4
; Occupancy: 8
; WaveLimiterHint : 0
; COMPUTE_PGM_RSRC2:SCRATCH_EN: 0
; COMPUTE_PGM_RSRC2:USER_SGPR: 6
; COMPUTE_PGM_RSRC2:TRAP_HANDLER: 0
; COMPUTE_PGM_RSRC2:TGID_X_EN: 1
; COMPUTE_PGM_RSRC2:TGID_Y_EN: 0
; COMPUTE_PGM_RSRC2:TGID_Z_EN: 0
; COMPUTE_PGM_RSRC2:TIDIG_COMP_CNT: 0
; COMPUTE_PGM_RSRC3_GFX90A:ACCUM_OFFSET: 0
; COMPUTE_PGM_RSRC3_GFX90A:TG_SPLIT: 0
	.section	.text._ZN7rocprim17ROCPRIM_400000_NS6detail17trampoline_kernelINS0_14default_configENS1_29reduce_by_key_config_selectorIxxN6thrust23THRUST_200600_302600_NS4plusIxEEEEZZNS1_33reduce_by_key_impl_wrapped_configILNS1_25lookback_scan_determinismE0ES3_S9_NS6_6detail15normal_iteratorINS6_10device_ptrIxEEEESG_SG_SG_PmS8_NS6_8equal_toIxEEEE10hipError_tPvRmT2_T3_mT4_T5_T6_T7_T8_P12ihipStream_tbENKUlT_T0_E_clISt17integral_constantIbLb1EES11_EEDaSW_SX_EUlSW_E_NS1_11comp_targetILNS1_3genE9ELNS1_11target_archE1100ELNS1_3gpuE3ELNS1_3repE0EEENS1_30default_config_static_selectorELNS0_4arch9wavefront6targetE1EEEvT1_,"axG",@progbits,_ZN7rocprim17ROCPRIM_400000_NS6detail17trampoline_kernelINS0_14default_configENS1_29reduce_by_key_config_selectorIxxN6thrust23THRUST_200600_302600_NS4plusIxEEEEZZNS1_33reduce_by_key_impl_wrapped_configILNS1_25lookback_scan_determinismE0ES3_S9_NS6_6detail15normal_iteratorINS6_10device_ptrIxEEEESG_SG_SG_PmS8_NS6_8equal_toIxEEEE10hipError_tPvRmT2_T3_mT4_T5_T6_T7_T8_P12ihipStream_tbENKUlT_T0_E_clISt17integral_constantIbLb1EES11_EEDaSW_SX_EUlSW_E_NS1_11comp_targetILNS1_3genE9ELNS1_11target_archE1100ELNS1_3gpuE3ELNS1_3repE0EEENS1_30default_config_static_selectorELNS0_4arch9wavefront6targetE1EEEvT1_,comdat
	.protected	_ZN7rocprim17ROCPRIM_400000_NS6detail17trampoline_kernelINS0_14default_configENS1_29reduce_by_key_config_selectorIxxN6thrust23THRUST_200600_302600_NS4plusIxEEEEZZNS1_33reduce_by_key_impl_wrapped_configILNS1_25lookback_scan_determinismE0ES3_S9_NS6_6detail15normal_iteratorINS6_10device_ptrIxEEEESG_SG_SG_PmS8_NS6_8equal_toIxEEEE10hipError_tPvRmT2_T3_mT4_T5_T6_T7_T8_P12ihipStream_tbENKUlT_T0_E_clISt17integral_constantIbLb1EES11_EEDaSW_SX_EUlSW_E_NS1_11comp_targetILNS1_3genE9ELNS1_11target_archE1100ELNS1_3gpuE3ELNS1_3repE0EEENS1_30default_config_static_selectorELNS0_4arch9wavefront6targetE1EEEvT1_ ; -- Begin function _ZN7rocprim17ROCPRIM_400000_NS6detail17trampoline_kernelINS0_14default_configENS1_29reduce_by_key_config_selectorIxxN6thrust23THRUST_200600_302600_NS4plusIxEEEEZZNS1_33reduce_by_key_impl_wrapped_configILNS1_25lookback_scan_determinismE0ES3_S9_NS6_6detail15normal_iteratorINS6_10device_ptrIxEEEESG_SG_SG_PmS8_NS6_8equal_toIxEEEE10hipError_tPvRmT2_T3_mT4_T5_T6_T7_T8_P12ihipStream_tbENKUlT_T0_E_clISt17integral_constantIbLb1EES11_EEDaSW_SX_EUlSW_E_NS1_11comp_targetILNS1_3genE9ELNS1_11target_archE1100ELNS1_3gpuE3ELNS1_3repE0EEENS1_30default_config_static_selectorELNS0_4arch9wavefront6targetE1EEEvT1_
	.globl	_ZN7rocprim17ROCPRIM_400000_NS6detail17trampoline_kernelINS0_14default_configENS1_29reduce_by_key_config_selectorIxxN6thrust23THRUST_200600_302600_NS4plusIxEEEEZZNS1_33reduce_by_key_impl_wrapped_configILNS1_25lookback_scan_determinismE0ES3_S9_NS6_6detail15normal_iteratorINS6_10device_ptrIxEEEESG_SG_SG_PmS8_NS6_8equal_toIxEEEE10hipError_tPvRmT2_T3_mT4_T5_T6_T7_T8_P12ihipStream_tbENKUlT_T0_E_clISt17integral_constantIbLb1EES11_EEDaSW_SX_EUlSW_E_NS1_11comp_targetILNS1_3genE9ELNS1_11target_archE1100ELNS1_3gpuE3ELNS1_3repE0EEENS1_30default_config_static_selectorELNS0_4arch9wavefront6targetE1EEEvT1_
	.p2align	8
	.type	_ZN7rocprim17ROCPRIM_400000_NS6detail17trampoline_kernelINS0_14default_configENS1_29reduce_by_key_config_selectorIxxN6thrust23THRUST_200600_302600_NS4plusIxEEEEZZNS1_33reduce_by_key_impl_wrapped_configILNS1_25lookback_scan_determinismE0ES3_S9_NS6_6detail15normal_iteratorINS6_10device_ptrIxEEEESG_SG_SG_PmS8_NS6_8equal_toIxEEEE10hipError_tPvRmT2_T3_mT4_T5_T6_T7_T8_P12ihipStream_tbENKUlT_T0_E_clISt17integral_constantIbLb1EES11_EEDaSW_SX_EUlSW_E_NS1_11comp_targetILNS1_3genE9ELNS1_11target_archE1100ELNS1_3gpuE3ELNS1_3repE0EEENS1_30default_config_static_selectorELNS0_4arch9wavefront6targetE1EEEvT1_,@function
_ZN7rocprim17ROCPRIM_400000_NS6detail17trampoline_kernelINS0_14default_configENS1_29reduce_by_key_config_selectorIxxN6thrust23THRUST_200600_302600_NS4plusIxEEEEZZNS1_33reduce_by_key_impl_wrapped_configILNS1_25lookback_scan_determinismE0ES3_S9_NS6_6detail15normal_iteratorINS6_10device_ptrIxEEEESG_SG_SG_PmS8_NS6_8equal_toIxEEEE10hipError_tPvRmT2_T3_mT4_T5_T6_T7_T8_P12ihipStream_tbENKUlT_T0_E_clISt17integral_constantIbLb1EES11_EEDaSW_SX_EUlSW_E_NS1_11comp_targetILNS1_3genE9ELNS1_11target_archE1100ELNS1_3gpuE3ELNS1_3repE0EEENS1_30default_config_static_selectorELNS0_4arch9wavefront6targetE1EEEvT1_: ; @_ZN7rocprim17ROCPRIM_400000_NS6detail17trampoline_kernelINS0_14default_configENS1_29reduce_by_key_config_selectorIxxN6thrust23THRUST_200600_302600_NS4plusIxEEEEZZNS1_33reduce_by_key_impl_wrapped_configILNS1_25lookback_scan_determinismE0ES3_S9_NS6_6detail15normal_iteratorINS6_10device_ptrIxEEEESG_SG_SG_PmS8_NS6_8equal_toIxEEEE10hipError_tPvRmT2_T3_mT4_T5_T6_T7_T8_P12ihipStream_tbENKUlT_T0_E_clISt17integral_constantIbLb1EES11_EEDaSW_SX_EUlSW_E_NS1_11comp_targetILNS1_3genE9ELNS1_11target_archE1100ELNS1_3gpuE3ELNS1_3repE0EEENS1_30default_config_static_selectorELNS0_4arch9wavefront6targetE1EEEvT1_
; %bb.0:
	.section	.rodata,"a",@progbits
	.p2align	6, 0x0
	.amdhsa_kernel _ZN7rocprim17ROCPRIM_400000_NS6detail17trampoline_kernelINS0_14default_configENS1_29reduce_by_key_config_selectorIxxN6thrust23THRUST_200600_302600_NS4plusIxEEEEZZNS1_33reduce_by_key_impl_wrapped_configILNS1_25lookback_scan_determinismE0ES3_S9_NS6_6detail15normal_iteratorINS6_10device_ptrIxEEEESG_SG_SG_PmS8_NS6_8equal_toIxEEEE10hipError_tPvRmT2_T3_mT4_T5_T6_T7_T8_P12ihipStream_tbENKUlT_T0_E_clISt17integral_constantIbLb1EES11_EEDaSW_SX_EUlSW_E_NS1_11comp_targetILNS1_3genE9ELNS1_11target_archE1100ELNS1_3gpuE3ELNS1_3repE0EEENS1_30default_config_static_selectorELNS0_4arch9wavefront6targetE1EEEvT1_
		.amdhsa_group_segment_fixed_size 0
		.amdhsa_private_segment_fixed_size 0
		.amdhsa_kernarg_size 136
		.amdhsa_user_sgpr_count 6
		.amdhsa_user_sgpr_private_segment_buffer 1
		.amdhsa_user_sgpr_dispatch_ptr 0
		.amdhsa_user_sgpr_queue_ptr 0
		.amdhsa_user_sgpr_kernarg_segment_ptr 1
		.amdhsa_user_sgpr_dispatch_id 0
		.amdhsa_user_sgpr_flat_scratch_init 0
		.amdhsa_user_sgpr_kernarg_preload_length 0
		.amdhsa_user_sgpr_kernarg_preload_offset 0
		.amdhsa_user_sgpr_private_segment_size 0
		.amdhsa_uses_dynamic_stack 0
		.amdhsa_system_sgpr_private_segment_wavefront_offset 0
		.amdhsa_system_sgpr_workgroup_id_x 1
		.amdhsa_system_sgpr_workgroup_id_y 0
		.amdhsa_system_sgpr_workgroup_id_z 0
		.amdhsa_system_sgpr_workgroup_info 0
		.amdhsa_system_vgpr_workitem_id 0
		.amdhsa_next_free_vgpr 1
		.amdhsa_next_free_sgpr 0
		.amdhsa_accum_offset 4
		.amdhsa_reserve_vcc 0
		.amdhsa_reserve_flat_scratch 0
		.amdhsa_float_round_mode_32 0
		.amdhsa_float_round_mode_16_64 0
		.amdhsa_float_denorm_mode_32 3
		.amdhsa_float_denorm_mode_16_64 3
		.amdhsa_dx10_clamp 1
		.amdhsa_ieee_mode 1
		.amdhsa_fp16_overflow 0
		.amdhsa_tg_split 0
		.amdhsa_exception_fp_ieee_invalid_op 0
		.amdhsa_exception_fp_denorm_src 0
		.amdhsa_exception_fp_ieee_div_zero 0
		.amdhsa_exception_fp_ieee_overflow 0
		.amdhsa_exception_fp_ieee_underflow 0
		.amdhsa_exception_fp_ieee_inexact 0
		.amdhsa_exception_int_div_zero 0
	.end_amdhsa_kernel
	.section	.text._ZN7rocprim17ROCPRIM_400000_NS6detail17trampoline_kernelINS0_14default_configENS1_29reduce_by_key_config_selectorIxxN6thrust23THRUST_200600_302600_NS4plusIxEEEEZZNS1_33reduce_by_key_impl_wrapped_configILNS1_25lookback_scan_determinismE0ES3_S9_NS6_6detail15normal_iteratorINS6_10device_ptrIxEEEESG_SG_SG_PmS8_NS6_8equal_toIxEEEE10hipError_tPvRmT2_T3_mT4_T5_T6_T7_T8_P12ihipStream_tbENKUlT_T0_E_clISt17integral_constantIbLb1EES11_EEDaSW_SX_EUlSW_E_NS1_11comp_targetILNS1_3genE9ELNS1_11target_archE1100ELNS1_3gpuE3ELNS1_3repE0EEENS1_30default_config_static_selectorELNS0_4arch9wavefront6targetE1EEEvT1_,"axG",@progbits,_ZN7rocprim17ROCPRIM_400000_NS6detail17trampoline_kernelINS0_14default_configENS1_29reduce_by_key_config_selectorIxxN6thrust23THRUST_200600_302600_NS4plusIxEEEEZZNS1_33reduce_by_key_impl_wrapped_configILNS1_25lookback_scan_determinismE0ES3_S9_NS6_6detail15normal_iteratorINS6_10device_ptrIxEEEESG_SG_SG_PmS8_NS6_8equal_toIxEEEE10hipError_tPvRmT2_T3_mT4_T5_T6_T7_T8_P12ihipStream_tbENKUlT_T0_E_clISt17integral_constantIbLb1EES11_EEDaSW_SX_EUlSW_E_NS1_11comp_targetILNS1_3genE9ELNS1_11target_archE1100ELNS1_3gpuE3ELNS1_3repE0EEENS1_30default_config_static_selectorELNS0_4arch9wavefront6targetE1EEEvT1_,comdat
.Lfunc_end486:
	.size	_ZN7rocprim17ROCPRIM_400000_NS6detail17trampoline_kernelINS0_14default_configENS1_29reduce_by_key_config_selectorIxxN6thrust23THRUST_200600_302600_NS4plusIxEEEEZZNS1_33reduce_by_key_impl_wrapped_configILNS1_25lookback_scan_determinismE0ES3_S9_NS6_6detail15normal_iteratorINS6_10device_ptrIxEEEESG_SG_SG_PmS8_NS6_8equal_toIxEEEE10hipError_tPvRmT2_T3_mT4_T5_T6_T7_T8_P12ihipStream_tbENKUlT_T0_E_clISt17integral_constantIbLb1EES11_EEDaSW_SX_EUlSW_E_NS1_11comp_targetILNS1_3genE9ELNS1_11target_archE1100ELNS1_3gpuE3ELNS1_3repE0EEENS1_30default_config_static_selectorELNS0_4arch9wavefront6targetE1EEEvT1_, .Lfunc_end486-_ZN7rocprim17ROCPRIM_400000_NS6detail17trampoline_kernelINS0_14default_configENS1_29reduce_by_key_config_selectorIxxN6thrust23THRUST_200600_302600_NS4plusIxEEEEZZNS1_33reduce_by_key_impl_wrapped_configILNS1_25lookback_scan_determinismE0ES3_S9_NS6_6detail15normal_iteratorINS6_10device_ptrIxEEEESG_SG_SG_PmS8_NS6_8equal_toIxEEEE10hipError_tPvRmT2_T3_mT4_T5_T6_T7_T8_P12ihipStream_tbENKUlT_T0_E_clISt17integral_constantIbLb1EES11_EEDaSW_SX_EUlSW_E_NS1_11comp_targetILNS1_3genE9ELNS1_11target_archE1100ELNS1_3gpuE3ELNS1_3repE0EEENS1_30default_config_static_selectorELNS0_4arch9wavefront6targetE1EEEvT1_
                                        ; -- End function
	.section	.AMDGPU.csdata,"",@progbits
; Kernel info:
; codeLenInByte = 0
; NumSgprs: 4
; NumVgprs: 0
; NumAgprs: 0
; TotalNumVgprs: 0
; ScratchSize: 0
; MemoryBound: 0
; FloatMode: 240
; IeeeMode: 1
; LDSByteSize: 0 bytes/workgroup (compile time only)
; SGPRBlocks: 0
; VGPRBlocks: 0
; NumSGPRsForWavesPerEU: 4
; NumVGPRsForWavesPerEU: 1
; AccumOffset: 4
; Occupancy: 8
; WaveLimiterHint : 0
; COMPUTE_PGM_RSRC2:SCRATCH_EN: 0
; COMPUTE_PGM_RSRC2:USER_SGPR: 6
; COMPUTE_PGM_RSRC2:TRAP_HANDLER: 0
; COMPUTE_PGM_RSRC2:TGID_X_EN: 1
; COMPUTE_PGM_RSRC2:TGID_Y_EN: 0
; COMPUTE_PGM_RSRC2:TGID_Z_EN: 0
; COMPUTE_PGM_RSRC2:TIDIG_COMP_CNT: 0
; COMPUTE_PGM_RSRC3_GFX90A:ACCUM_OFFSET: 0
; COMPUTE_PGM_RSRC3_GFX90A:TG_SPLIT: 0
	.section	.text._ZN7rocprim17ROCPRIM_400000_NS6detail17trampoline_kernelINS0_14default_configENS1_29reduce_by_key_config_selectorIxxN6thrust23THRUST_200600_302600_NS4plusIxEEEEZZNS1_33reduce_by_key_impl_wrapped_configILNS1_25lookback_scan_determinismE0ES3_S9_NS6_6detail15normal_iteratorINS6_10device_ptrIxEEEESG_SG_SG_PmS8_NS6_8equal_toIxEEEE10hipError_tPvRmT2_T3_mT4_T5_T6_T7_T8_P12ihipStream_tbENKUlT_T0_E_clISt17integral_constantIbLb1EES11_EEDaSW_SX_EUlSW_E_NS1_11comp_targetILNS1_3genE8ELNS1_11target_archE1030ELNS1_3gpuE2ELNS1_3repE0EEENS1_30default_config_static_selectorELNS0_4arch9wavefront6targetE1EEEvT1_,"axG",@progbits,_ZN7rocprim17ROCPRIM_400000_NS6detail17trampoline_kernelINS0_14default_configENS1_29reduce_by_key_config_selectorIxxN6thrust23THRUST_200600_302600_NS4plusIxEEEEZZNS1_33reduce_by_key_impl_wrapped_configILNS1_25lookback_scan_determinismE0ES3_S9_NS6_6detail15normal_iteratorINS6_10device_ptrIxEEEESG_SG_SG_PmS8_NS6_8equal_toIxEEEE10hipError_tPvRmT2_T3_mT4_T5_T6_T7_T8_P12ihipStream_tbENKUlT_T0_E_clISt17integral_constantIbLb1EES11_EEDaSW_SX_EUlSW_E_NS1_11comp_targetILNS1_3genE8ELNS1_11target_archE1030ELNS1_3gpuE2ELNS1_3repE0EEENS1_30default_config_static_selectorELNS0_4arch9wavefront6targetE1EEEvT1_,comdat
	.protected	_ZN7rocprim17ROCPRIM_400000_NS6detail17trampoline_kernelINS0_14default_configENS1_29reduce_by_key_config_selectorIxxN6thrust23THRUST_200600_302600_NS4plusIxEEEEZZNS1_33reduce_by_key_impl_wrapped_configILNS1_25lookback_scan_determinismE0ES3_S9_NS6_6detail15normal_iteratorINS6_10device_ptrIxEEEESG_SG_SG_PmS8_NS6_8equal_toIxEEEE10hipError_tPvRmT2_T3_mT4_T5_T6_T7_T8_P12ihipStream_tbENKUlT_T0_E_clISt17integral_constantIbLb1EES11_EEDaSW_SX_EUlSW_E_NS1_11comp_targetILNS1_3genE8ELNS1_11target_archE1030ELNS1_3gpuE2ELNS1_3repE0EEENS1_30default_config_static_selectorELNS0_4arch9wavefront6targetE1EEEvT1_ ; -- Begin function _ZN7rocprim17ROCPRIM_400000_NS6detail17trampoline_kernelINS0_14default_configENS1_29reduce_by_key_config_selectorIxxN6thrust23THRUST_200600_302600_NS4plusIxEEEEZZNS1_33reduce_by_key_impl_wrapped_configILNS1_25lookback_scan_determinismE0ES3_S9_NS6_6detail15normal_iteratorINS6_10device_ptrIxEEEESG_SG_SG_PmS8_NS6_8equal_toIxEEEE10hipError_tPvRmT2_T3_mT4_T5_T6_T7_T8_P12ihipStream_tbENKUlT_T0_E_clISt17integral_constantIbLb1EES11_EEDaSW_SX_EUlSW_E_NS1_11comp_targetILNS1_3genE8ELNS1_11target_archE1030ELNS1_3gpuE2ELNS1_3repE0EEENS1_30default_config_static_selectorELNS0_4arch9wavefront6targetE1EEEvT1_
	.globl	_ZN7rocprim17ROCPRIM_400000_NS6detail17trampoline_kernelINS0_14default_configENS1_29reduce_by_key_config_selectorIxxN6thrust23THRUST_200600_302600_NS4plusIxEEEEZZNS1_33reduce_by_key_impl_wrapped_configILNS1_25lookback_scan_determinismE0ES3_S9_NS6_6detail15normal_iteratorINS6_10device_ptrIxEEEESG_SG_SG_PmS8_NS6_8equal_toIxEEEE10hipError_tPvRmT2_T3_mT4_T5_T6_T7_T8_P12ihipStream_tbENKUlT_T0_E_clISt17integral_constantIbLb1EES11_EEDaSW_SX_EUlSW_E_NS1_11comp_targetILNS1_3genE8ELNS1_11target_archE1030ELNS1_3gpuE2ELNS1_3repE0EEENS1_30default_config_static_selectorELNS0_4arch9wavefront6targetE1EEEvT1_
	.p2align	8
	.type	_ZN7rocprim17ROCPRIM_400000_NS6detail17trampoline_kernelINS0_14default_configENS1_29reduce_by_key_config_selectorIxxN6thrust23THRUST_200600_302600_NS4plusIxEEEEZZNS1_33reduce_by_key_impl_wrapped_configILNS1_25lookback_scan_determinismE0ES3_S9_NS6_6detail15normal_iteratorINS6_10device_ptrIxEEEESG_SG_SG_PmS8_NS6_8equal_toIxEEEE10hipError_tPvRmT2_T3_mT4_T5_T6_T7_T8_P12ihipStream_tbENKUlT_T0_E_clISt17integral_constantIbLb1EES11_EEDaSW_SX_EUlSW_E_NS1_11comp_targetILNS1_3genE8ELNS1_11target_archE1030ELNS1_3gpuE2ELNS1_3repE0EEENS1_30default_config_static_selectorELNS0_4arch9wavefront6targetE1EEEvT1_,@function
_ZN7rocprim17ROCPRIM_400000_NS6detail17trampoline_kernelINS0_14default_configENS1_29reduce_by_key_config_selectorIxxN6thrust23THRUST_200600_302600_NS4plusIxEEEEZZNS1_33reduce_by_key_impl_wrapped_configILNS1_25lookback_scan_determinismE0ES3_S9_NS6_6detail15normal_iteratorINS6_10device_ptrIxEEEESG_SG_SG_PmS8_NS6_8equal_toIxEEEE10hipError_tPvRmT2_T3_mT4_T5_T6_T7_T8_P12ihipStream_tbENKUlT_T0_E_clISt17integral_constantIbLb1EES11_EEDaSW_SX_EUlSW_E_NS1_11comp_targetILNS1_3genE8ELNS1_11target_archE1030ELNS1_3gpuE2ELNS1_3repE0EEENS1_30default_config_static_selectorELNS0_4arch9wavefront6targetE1EEEvT1_: ; @_ZN7rocprim17ROCPRIM_400000_NS6detail17trampoline_kernelINS0_14default_configENS1_29reduce_by_key_config_selectorIxxN6thrust23THRUST_200600_302600_NS4plusIxEEEEZZNS1_33reduce_by_key_impl_wrapped_configILNS1_25lookback_scan_determinismE0ES3_S9_NS6_6detail15normal_iteratorINS6_10device_ptrIxEEEESG_SG_SG_PmS8_NS6_8equal_toIxEEEE10hipError_tPvRmT2_T3_mT4_T5_T6_T7_T8_P12ihipStream_tbENKUlT_T0_E_clISt17integral_constantIbLb1EES11_EEDaSW_SX_EUlSW_E_NS1_11comp_targetILNS1_3genE8ELNS1_11target_archE1030ELNS1_3gpuE2ELNS1_3repE0EEENS1_30default_config_static_selectorELNS0_4arch9wavefront6targetE1EEEvT1_
; %bb.0:
	.section	.rodata,"a",@progbits
	.p2align	6, 0x0
	.amdhsa_kernel _ZN7rocprim17ROCPRIM_400000_NS6detail17trampoline_kernelINS0_14default_configENS1_29reduce_by_key_config_selectorIxxN6thrust23THRUST_200600_302600_NS4plusIxEEEEZZNS1_33reduce_by_key_impl_wrapped_configILNS1_25lookback_scan_determinismE0ES3_S9_NS6_6detail15normal_iteratorINS6_10device_ptrIxEEEESG_SG_SG_PmS8_NS6_8equal_toIxEEEE10hipError_tPvRmT2_T3_mT4_T5_T6_T7_T8_P12ihipStream_tbENKUlT_T0_E_clISt17integral_constantIbLb1EES11_EEDaSW_SX_EUlSW_E_NS1_11comp_targetILNS1_3genE8ELNS1_11target_archE1030ELNS1_3gpuE2ELNS1_3repE0EEENS1_30default_config_static_selectorELNS0_4arch9wavefront6targetE1EEEvT1_
		.amdhsa_group_segment_fixed_size 0
		.amdhsa_private_segment_fixed_size 0
		.amdhsa_kernarg_size 136
		.amdhsa_user_sgpr_count 6
		.amdhsa_user_sgpr_private_segment_buffer 1
		.amdhsa_user_sgpr_dispatch_ptr 0
		.amdhsa_user_sgpr_queue_ptr 0
		.amdhsa_user_sgpr_kernarg_segment_ptr 1
		.amdhsa_user_sgpr_dispatch_id 0
		.amdhsa_user_sgpr_flat_scratch_init 0
		.amdhsa_user_sgpr_kernarg_preload_length 0
		.amdhsa_user_sgpr_kernarg_preload_offset 0
		.amdhsa_user_sgpr_private_segment_size 0
		.amdhsa_uses_dynamic_stack 0
		.amdhsa_system_sgpr_private_segment_wavefront_offset 0
		.amdhsa_system_sgpr_workgroup_id_x 1
		.amdhsa_system_sgpr_workgroup_id_y 0
		.amdhsa_system_sgpr_workgroup_id_z 0
		.amdhsa_system_sgpr_workgroup_info 0
		.amdhsa_system_vgpr_workitem_id 0
		.amdhsa_next_free_vgpr 1
		.amdhsa_next_free_sgpr 0
		.amdhsa_accum_offset 4
		.amdhsa_reserve_vcc 0
		.amdhsa_reserve_flat_scratch 0
		.amdhsa_float_round_mode_32 0
		.amdhsa_float_round_mode_16_64 0
		.amdhsa_float_denorm_mode_32 3
		.amdhsa_float_denorm_mode_16_64 3
		.amdhsa_dx10_clamp 1
		.amdhsa_ieee_mode 1
		.amdhsa_fp16_overflow 0
		.amdhsa_tg_split 0
		.amdhsa_exception_fp_ieee_invalid_op 0
		.amdhsa_exception_fp_denorm_src 0
		.amdhsa_exception_fp_ieee_div_zero 0
		.amdhsa_exception_fp_ieee_overflow 0
		.amdhsa_exception_fp_ieee_underflow 0
		.amdhsa_exception_fp_ieee_inexact 0
		.amdhsa_exception_int_div_zero 0
	.end_amdhsa_kernel
	.section	.text._ZN7rocprim17ROCPRIM_400000_NS6detail17trampoline_kernelINS0_14default_configENS1_29reduce_by_key_config_selectorIxxN6thrust23THRUST_200600_302600_NS4plusIxEEEEZZNS1_33reduce_by_key_impl_wrapped_configILNS1_25lookback_scan_determinismE0ES3_S9_NS6_6detail15normal_iteratorINS6_10device_ptrIxEEEESG_SG_SG_PmS8_NS6_8equal_toIxEEEE10hipError_tPvRmT2_T3_mT4_T5_T6_T7_T8_P12ihipStream_tbENKUlT_T0_E_clISt17integral_constantIbLb1EES11_EEDaSW_SX_EUlSW_E_NS1_11comp_targetILNS1_3genE8ELNS1_11target_archE1030ELNS1_3gpuE2ELNS1_3repE0EEENS1_30default_config_static_selectorELNS0_4arch9wavefront6targetE1EEEvT1_,"axG",@progbits,_ZN7rocprim17ROCPRIM_400000_NS6detail17trampoline_kernelINS0_14default_configENS1_29reduce_by_key_config_selectorIxxN6thrust23THRUST_200600_302600_NS4plusIxEEEEZZNS1_33reduce_by_key_impl_wrapped_configILNS1_25lookback_scan_determinismE0ES3_S9_NS6_6detail15normal_iteratorINS6_10device_ptrIxEEEESG_SG_SG_PmS8_NS6_8equal_toIxEEEE10hipError_tPvRmT2_T3_mT4_T5_T6_T7_T8_P12ihipStream_tbENKUlT_T0_E_clISt17integral_constantIbLb1EES11_EEDaSW_SX_EUlSW_E_NS1_11comp_targetILNS1_3genE8ELNS1_11target_archE1030ELNS1_3gpuE2ELNS1_3repE0EEENS1_30default_config_static_selectorELNS0_4arch9wavefront6targetE1EEEvT1_,comdat
.Lfunc_end487:
	.size	_ZN7rocprim17ROCPRIM_400000_NS6detail17trampoline_kernelINS0_14default_configENS1_29reduce_by_key_config_selectorIxxN6thrust23THRUST_200600_302600_NS4plusIxEEEEZZNS1_33reduce_by_key_impl_wrapped_configILNS1_25lookback_scan_determinismE0ES3_S9_NS6_6detail15normal_iteratorINS6_10device_ptrIxEEEESG_SG_SG_PmS8_NS6_8equal_toIxEEEE10hipError_tPvRmT2_T3_mT4_T5_T6_T7_T8_P12ihipStream_tbENKUlT_T0_E_clISt17integral_constantIbLb1EES11_EEDaSW_SX_EUlSW_E_NS1_11comp_targetILNS1_3genE8ELNS1_11target_archE1030ELNS1_3gpuE2ELNS1_3repE0EEENS1_30default_config_static_selectorELNS0_4arch9wavefront6targetE1EEEvT1_, .Lfunc_end487-_ZN7rocprim17ROCPRIM_400000_NS6detail17trampoline_kernelINS0_14default_configENS1_29reduce_by_key_config_selectorIxxN6thrust23THRUST_200600_302600_NS4plusIxEEEEZZNS1_33reduce_by_key_impl_wrapped_configILNS1_25lookback_scan_determinismE0ES3_S9_NS6_6detail15normal_iteratorINS6_10device_ptrIxEEEESG_SG_SG_PmS8_NS6_8equal_toIxEEEE10hipError_tPvRmT2_T3_mT4_T5_T6_T7_T8_P12ihipStream_tbENKUlT_T0_E_clISt17integral_constantIbLb1EES11_EEDaSW_SX_EUlSW_E_NS1_11comp_targetILNS1_3genE8ELNS1_11target_archE1030ELNS1_3gpuE2ELNS1_3repE0EEENS1_30default_config_static_selectorELNS0_4arch9wavefront6targetE1EEEvT1_
                                        ; -- End function
	.section	.AMDGPU.csdata,"",@progbits
; Kernel info:
; codeLenInByte = 0
; NumSgprs: 4
; NumVgprs: 0
; NumAgprs: 0
; TotalNumVgprs: 0
; ScratchSize: 0
; MemoryBound: 0
; FloatMode: 240
; IeeeMode: 1
; LDSByteSize: 0 bytes/workgroup (compile time only)
; SGPRBlocks: 0
; VGPRBlocks: 0
; NumSGPRsForWavesPerEU: 4
; NumVGPRsForWavesPerEU: 1
; AccumOffset: 4
; Occupancy: 8
; WaveLimiterHint : 0
; COMPUTE_PGM_RSRC2:SCRATCH_EN: 0
; COMPUTE_PGM_RSRC2:USER_SGPR: 6
; COMPUTE_PGM_RSRC2:TRAP_HANDLER: 0
; COMPUTE_PGM_RSRC2:TGID_X_EN: 1
; COMPUTE_PGM_RSRC2:TGID_Y_EN: 0
; COMPUTE_PGM_RSRC2:TGID_Z_EN: 0
; COMPUTE_PGM_RSRC2:TIDIG_COMP_CNT: 0
; COMPUTE_PGM_RSRC3_GFX90A:ACCUM_OFFSET: 0
; COMPUTE_PGM_RSRC3_GFX90A:TG_SPLIT: 0
	.section	.text._ZN7rocprim17ROCPRIM_400000_NS6detail25reduce_by_key_init_kernelINS1_19lookback_scan_stateINS0_5tupleIJjxEEELb1ELb0EEExNS1_16block_id_wrapperIjLb0EEEEEvT_jbjPmPT0_T1_,"axG",@progbits,_ZN7rocprim17ROCPRIM_400000_NS6detail25reduce_by_key_init_kernelINS1_19lookback_scan_stateINS0_5tupleIJjxEEELb1ELb0EEExNS1_16block_id_wrapperIjLb0EEEEEvT_jbjPmPT0_T1_,comdat
	.protected	_ZN7rocprim17ROCPRIM_400000_NS6detail25reduce_by_key_init_kernelINS1_19lookback_scan_stateINS0_5tupleIJjxEEELb1ELb0EEExNS1_16block_id_wrapperIjLb0EEEEEvT_jbjPmPT0_T1_ ; -- Begin function _ZN7rocprim17ROCPRIM_400000_NS6detail25reduce_by_key_init_kernelINS1_19lookback_scan_stateINS0_5tupleIJjxEEELb1ELb0EEExNS1_16block_id_wrapperIjLb0EEEEEvT_jbjPmPT0_T1_
	.globl	_ZN7rocprim17ROCPRIM_400000_NS6detail25reduce_by_key_init_kernelINS1_19lookback_scan_stateINS0_5tupleIJjxEEELb1ELb0EEExNS1_16block_id_wrapperIjLb0EEEEEvT_jbjPmPT0_T1_
	.p2align	8
	.type	_ZN7rocprim17ROCPRIM_400000_NS6detail25reduce_by_key_init_kernelINS1_19lookback_scan_stateINS0_5tupleIJjxEEELb1ELb0EEExNS1_16block_id_wrapperIjLb0EEEEEvT_jbjPmPT0_T1_,@function
_ZN7rocprim17ROCPRIM_400000_NS6detail25reduce_by_key_init_kernelINS1_19lookback_scan_stateINS0_5tupleIJjxEEELb1ELb0EEExNS1_16block_id_wrapperIjLb0EEEEEvT_jbjPmPT0_T1_: ; @_ZN7rocprim17ROCPRIM_400000_NS6detail25reduce_by_key_init_kernelINS1_19lookback_scan_stateINS0_5tupleIJjxEEELb1ELb0EEExNS1_16block_id_wrapperIjLb0EEEEEvT_jbjPmPT0_T1_
; %bb.0:
	s_load_dwordx8 s[8:15], s[4:5], 0x18
	s_load_dword s0, s[4:5], 0x4c
	s_load_dwordx2 s[16:17], s[4:5], 0x10
	s_waitcnt lgkmcnt(0)
	s_and_b32 s1, s9, 1
	s_and_b32 s0, s0, 0xffff
	s_mul_i32 s6, s6, s0
	s_cmp_eq_u32 s1, 0
	v_add_u32_e32 v0, s6, v0
	s_mov_b64 s[0:1], -1
	s_cbranch_scc1 .LBB488_5
; %bb.1:
	s_andn2_b64 vcc, exec, s[0:1]
	s_cbranch_vccz .LBB488_15
.LBB488_2:
	v_cmp_gt_u32_e32 vcc, s8, v0
	s_and_saveexec_b64 s[0:1], vcc
	s_cbranch_execnz .LBB488_18
.LBB488_3:
	s_or_b64 exec, exec, s[0:1]
	v_cmp_gt_u32_e32 vcc, 64, v0
	s_and_saveexec_b64 s[0:1], vcc
	s_cbranch_execnz .LBB488_19
.LBB488_4:
	s_endpgm
.LBB488_5:
	s_cmp_lt_u32 s10, s8
	s_cselect_b32 s0, s10, 0
	v_cmp_eq_u32_e32 vcc, s0, v0
	s_and_saveexec_b64 s[6:7], vcc
	s_cbranch_execz .LBB488_14
; %bb.6:
	s_add_i32 s10, s10, 64
	v_mov_b32_e32 v1, s10
	global_load_ubyte v1, v1, s[16:17] glc
	s_load_dwordx4 s[0:3], s[4:5], 0x0
	s_add_u32 s4, s16, s10
	s_mov_b32 s11, 0
	s_addc_u32 s5, s17, 0
	s_waitcnt vmcnt(0)
	v_cmp_ne_u16_e32 vcc, 0, v1
	v_readfirstlane_b32 s9, v1
	s_cbranch_vccz .LBB488_8
; %bb.7:
	s_and_b32 s4, 0xffff, s9
	s_branch .LBB488_13
.LBB488_8:
	s_mov_b32 s9, 1
	v_mov_b32_e32 v1, 0
.LBB488_9:                              ; =>This Loop Header: Depth=1
                                        ;     Child Loop BB488_10 Depth 2
	s_max_u32 s18, s9, 1
.LBB488_10:                             ;   Parent Loop BB488_9 Depth=1
                                        ; =>  This Inner Loop Header: Depth=2
	s_add_i32 s18, s18, -1
	s_cmp_eq_u32 s18, 0
	s_sleep 1
	s_cbranch_scc0 .LBB488_10
; %bb.11:                               ;   in Loop: Header=BB488_9 Depth=1
	global_load_ubyte v2, v1, s[4:5] glc
	s_cmp_lt_u32 s9, 32
	s_cselect_b64 s[18:19], -1, 0
	s_cmp_lg_u64 s[18:19], 0
	s_addc_u32 s9, s9, 0
	s_waitcnt vmcnt(0)
	v_cmp_ne_u16_e32 vcc, 0, v2
	v_readfirstlane_b32 s18, v2
	s_cbranch_vccz .LBB488_9
; %bb.12:
	s_and_b32 s4, 0xffff, s18
.LBB488_13:
	s_cmp_eq_u32 s4, 1
	s_waitcnt lgkmcnt(0)
	s_cselect_b32 s3, s1, s3
	s_cselect_b32 s2, s0, s2
	s_lshl_b64 s[0:1], s[10:11], 4
	v_mov_b32_e32 v1, 0
	s_add_u32 s0, s2, s0
	buffer_wbinvl1_vol
	s_addc_u32 s1, s3, s1
	global_load_dwordx2 v[2:3], v1, s[12:13]
	global_load_dword v6, v1, s[0:1]
	global_load_dwordx2 v[4:5], v1, s[0:1] offset:8
	s_waitcnt vmcnt(1)
	v_add_co_u32_e32 v2, vcc, v2, v6
	v_addc_co_u32_e32 v3, vcc, 0, v3, vcc
	global_store_dwordx2 v1, v[2:3], s[12:13]
	s_waitcnt vmcnt(1)
	global_store_dwordx2 v1, v[4:5], s[14:15]
.LBB488_14:
	s_or_b64 exec, exec, s[6:7]
	s_cbranch_execnz .LBB488_2
.LBB488_15:
	s_cmp_lg_u64 s[12:13], 0
	s_cselect_b64 s[0:1], -1, 0
	v_cmp_eq_u32_e32 vcc, 0, v0
	s_and_b64 s[2:3], s[0:1], vcc
	s_and_saveexec_b64 s[0:1], s[2:3]
	s_cbranch_execz .LBB488_17
; %bb.16:
	v_mov_b32_e32 v2, 0
	v_mov_b32_e32 v3, v2
	global_store_dwordx2 v2, v[2:3], s[12:13]
.LBB488_17:
	s_or_b64 exec, exec, s[0:1]
	v_cmp_gt_u32_e32 vcc, s8, v0
	s_and_saveexec_b64 s[0:1], vcc
	s_cbranch_execz .LBB488_3
.LBB488_18:
	v_add_u32_e32 v1, 64, v0
	v_mov_b32_e32 v2, 0
	global_store_byte v1, v2, s[16:17]
	s_or_b64 exec, exec, s[0:1]
	v_cmp_gt_u32_e32 vcc, 64, v0
	s_and_saveexec_b64 s[0:1], vcc
	s_cbranch_execz .LBB488_4
.LBB488_19:
	v_mov_b32_e32 v1, 0xff
	global_store_byte v0, v1, s[16:17]
	s_endpgm
	.section	.rodata,"a",@progbits
	.p2align	6, 0x0
	.amdhsa_kernel _ZN7rocprim17ROCPRIM_400000_NS6detail25reduce_by_key_init_kernelINS1_19lookback_scan_stateINS0_5tupleIJjxEEELb1ELb0EEExNS1_16block_id_wrapperIjLb0EEEEEvT_jbjPmPT0_T1_
		.amdhsa_group_segment_fixed_size 0
		.amdhsa_private_segment_fixed_size 0
		.amdhsa_kernarg_size 320
		.amdhsa_user_sgpr_count 6
		.amdhsa_user_sgpr_private_segment_buffer 1
		.amdhsa_user_sgpr_dispatch_ptr 0
		.amdhsa_user_sgpr_queue_ptr 0
		.amdhsa_user_sgpr_kernarg_segment_ptr 1
		.amdhsa_user_sgpr_dispatch_id 0
		.amdhsa_user_sgpr_flat_scratch_init 0
		.amdhsa_user_sgpr_kernarg_preload_length 0
		.amdhsa_user_sgpr_kernarg_preload_offset 0
		.amdhsa_user_sgpr_private_segment_size 0
		.amdhsa_uses_dynamic_stack 0
		.amdhsa_system_sgpr_private_segment_wavefront_offset 0
		.amdhsa_system_sgpr_workgroup_id_x 1
		.amdhsa_system_sgpr_workgroup_id_y 0
		.amdhsa_system_sgpr_workgroup_id_z 0
		.amdhsa_system_sgpr_workgroup_info 0
		.amdhsa_system_vgpr_workitem_id 0
		.amdhsa_next_free_vgpr 7
		.amdhsa_next_free_sgpr 20
		.amdhsa_accum_offset 8
		.amdhsa_reserve_vcc 1
		.amdhsa_reserve_flat_scratch 0
		.amdhsa_float_round_mode_32 0
		.amdhsa_float_round_mode_16_64 0
		.amdhsa_float_denorm_mode_32 3
		.amdhsa_float_denorm_mode_16_64 3
		.amdhsa_dx10_clamp 1
		.amdhsa_ieee_mode 1
		.amdhsa_fp16_overflow 0
		.amdhsa_tg_split 0
		.amdhsa_exception_fp_ieee_invalid_op 0
		.amdhsa_exception_fp_denorm_src 0
		.amdhsa_exception_fp_ieee_div_zero 0
		.amdhsa_exception_fp_ieee_overflow 0
		.amdhsa_exception_fp_ieee_underflow 0
		.amdhsa_exception_fp_ieee_inexact 0
		.amdhsa_exception_int_div_zero 0
	.end_amdhsa_kernel
	.section	.text._ZN7rocprim17ROCPRIM_400000_NS6detail25reduce_by_key_init_kernelINS1_19lookback_scan_stateINS0_5tupleIJjxEEELb1ELb0EEExNS1_16block_id_wrapperIjLb0EEEEEvT_jbjPmPT0_T1_,"axG",@progbits,_ZN7rocprim17ROCPRIM_400000_NS6detail25reduce_by_key_init_kernelINS1_19lookback_scan_stateINS0_5tupleIJjxEEELb1ELb0EEExNS1_16block_id_wrapperIjLb0EEEEEvT_jbjPmPT0_T1_,comdat
.Lfunc_end488:
	.size	_ZN7rocprim17ROCPRIM_400000_NS6detail25reduce_by_key_init_kernelINS1_19lookback_scan_stateINS0_5tupleIJjxEEELb1ELb0EEExNS1_16block_id_wrapperIjLb0EEEEEvT_jbjPmPT0_T1_, .Lfunc_end488-_ZN7rocprim17ROCPRIM_400000_NS6detail25reduce_by_key_init_kernelINS1_19lookback_scan_stateINS0_5tupleIJjxEEELb1ELb0EEExNS1_16block_id_wrapperIjLb0EEEEEvT_jbjPmPT0_T1_
                                        ; -- End function
	.section	.AMDGPU.csdata,"",@progbits
; Kernel info:
; codeLenInByte = 472
; NumSgprs: 24
; NumVgprs: 7
; NumAgprs: 0
; TotalNumVgprs: 7
; ScratchSize: 0
; MemoryBound: 0
; FloatMode: 240
; IeeeMode: 1
; LDSByteSize: 0 bytes/workgroup (compile time only)
; SGPRBlocks: 2
; VGPRBlocks: 0
; NumSGPRsForWavesPerEU: 24
; NumVGPRsForWavesPerEU: 7
; AccumOffset: 8
; Occupancy: 8
; WaveLimiterHint : 0
; COMPUTE_PGM_RSRC2:SCRATCH_EN: 0
; COMPUTE_PGM_RSRC2:USER_SGPR: 6
; COMPUTE_PGM_RSRC2:TRAP_HANDLER: 0
; COMPUTE_PGM_RSRC2:TGID_X_EN: 1
; COMPUTE_PGM_RSRC2:TGID_Y_EN: 0
; COMPUTE_PGM_RSRC2:TGID_Z_EN: 0
; COMPUTE_PGM_RSRC2:TIDIG_COMP_CNT: 0
; COMPUTE_PGM_RSRC3_GFX90A:ACCUM_OFFSET: 1
; COMPUTE_PGM_RSRC3_GFX90A:TG_SPLIT: 0
	.section	.text._ZN7rocprim17ROCPRIM_400000_NS6detail17trampoline_kernelINS0_14default_configENS1_29reduce_by_key_config_selectorIxxN6thrust23THRUST_200600_302600_NS4plusIxEEEEZZNS1_33reduce_by_key_impl_wrapped_configILNS1_25lookback_scan_determinismE0ES3_S9_NS6_6detail15normal_iteratorINS6_10device_ptrIxEEEESG_SG_SG_PmS8_NS6_8equal_toIxEEEE10hipError_tPvRmT2_T3_mT4_T5_T6_T7_T8_P12ihipStream_tbENKUlT_T0_E_clISt17integral_constantIbLb1EES10_IbLb0EEEEDaSW_SX_EUlSW_E_NS1_11comp_targetILNS1_3genE0ELNS1_11target_archE4294967295ELNS1_3gpuE0ELNS1_3repE0EEENS1_30default_config_static_selectorELNS0_4arch9wavefront6targetE1EEEvT1_,"axG",@progbits,_ZN7rocprim17ROCPRIM_400000_NS6detail17trampoline_kernelINS0_14default_configENS1_29reduce_by_key_config_selectorIxxN6thrust23THRUST_200600_302600_NS4plusIxEEEEZZNS1_33reduce_by_key_impl_wrapped_configILNS1_25lookback_scan_determinismE0ES3_S9_NS6_6detail15normal_iteratorINS6_10device_ptrIxEEEESG_SG_SG_PmS8_NS6_8equal_toIxEEEE10hipError_tPvRmT2_T3_mT4_T5_T6_T7_T8_P12ihipStream_tbENKUlT_T0_E_clISt17integral_constantIbLb1EES10_IbLb0EEEEDaSW_SX_EUlSW_E_NS1_11comp_targetILNS1_3genE0ELNS1_11target_archE4294967295ELNS1_3gpuE0ELNS1_3repE0EEENS1_30default_config_static_selectorELNS0_4arch9wavefront6targetE1EEEvT1_,comdat
	.protected	_ZN7rocprim17ROCPRIM_400000_NS6detail17trampoline_kernelINS0_14default_configENS1_29reduce_by_key_config_selectorIxxN6thrust23THRUST_200600_302600_NS4plusIxEEEEZZNS1_33reduce_by_key_impl_wrapped_configILNS1_25lookback_scan_determinismE0ES3_S9_NS6_6detail15normal_iteratorINS6_10device_ptrIxEEEESG_SG_SG_PmS8_NS6_8equal_toIxEEEE10hipError_tPvRmT2_T3_mT4_T5_T6_T7_T8_P12ihipStream_tbENKUlT_T0_E_clISt17integral_constantIbLb1EES10_IbLb0EEEEDaSW_SX_EUlSW_E_NS1_11comp_targetILNS1_3genE0ELNS1_11target_archE4294967295ELNS1_3gpuE0ELNS1_3repE0EEENS1_30default_config_static_selectorELNS0_4arch9wavefront6targetE1EEEvT1_ ; -- Begin function _ZN7rocprim17ROCPRIM_400000_NS6detail17trampoline_kernelINS0_14default_configENS1_29reduce_by_key_config_selectorIxxN6thrust23THRUST_200600_302600_NS4plusIxEEEEZZNS1_33reduce_by_key_impl_wrapped_configILNS1_25lookback_scan_determinismE0ES3_S9_NS6_6detail15normal_iteratorINS6_10device_ptrIxEEEESG_SG_SG_PmS8_NS6_8equal_toIxEEEE10hipError_tPvRmT2_T3_mT4_T5_T6_T7_T8_P12ihipStream_tbENKUlT_T0_E_clISt17integral_constantIbLb1EES10_IbLb0EEEEDaSW_SX_EUlSW_E_NS1_11comp_targetILNS1_3genE0ELNS1_11target_archE4294967295ELNS1_3gpuE0ELNS1_3repE0EEENS1_30default_config_static_selectorELNS0_4arch9wavefront6targetE1EEEvT1_
	.globl	_ZN7rocprim17ROCPRIM_400000_NS6detail17trampoline_kernelINS0_14default_configENS1_29reduce_by_key_config_selectorIxxN6thrust23THRUST_200600_302600_NS4plusIxEEEEZZNS1_33reduce_by_key_impl_wrapped_configILNS1_25lookback_scan_determinismE0ES3_S9_NS6_6detail15normal_iteratorINS6_10device_ptrIxEEEESG_SG_SG_PmS8_NS6_8equal_toIxEEEE10hipError_tPvRmT2_T3_mT4_T5_T6_T7_T8_P12ihipStream_tbENKUlT_T0_E_clISt17integral_constantIbLb1EES10_IbLb0EEEEDaSW_SX_EUlSW_E_NS1_11comp_targetILNS1_3genE0ELNS1_11target_archE4294967295ELNS1_3gpuE0ELNS1_3repE0EEENS1_30default_config_static_selectorELNS0_4arch9wavefront6targetE1EEEvT1_
	.p2align	8
	.type	_ZN7rocprim17ROCPRIM_400000_NS6detail17trampoline_kernelINS0_14default_configENS1_29reduce_by_key_config_selectorIxxN6thrust23THRUST_200600_302600_NS4plusIxEEEEZZNS1_33reduce_by_key_impl_wrapped_configILNS1_25lookback_scan_determinismE0ES3_S9_NS6_6detail15normal_iteratorINS6_10device_ptrIxEEEESG_SG_SG_PmS8_NS6_8equal_toIxEEEE10hipError_tPvRmT2_T3_mT4_T5_T6_T7_T8_P12ihipStream_tbENKUlT_T0_E_clISt17integral_constantIbLb1EES10_IbLb0EEEEDaSW_SX_EUlSW_E_NS1_11comp_targetILNS1_3genE0ELNS1_11target_archE4294967295ELNS1_3gpuE0ELNS1_3repE0EEENS1_30default_config_static_selectorELNS0_4arch9wavefront6targetE1EEEvT1_,@function
_ZN7rocprim17ROCPRIM_400000_NS6detail17trampoline_kernelINS0_14default_configENS1_29reduce_by_key_config_selectorIxxN6thrust23THRUST_200600_302600_NS4plusIxEEEEZZNS1_33reduce_by_key_impl_wrapped_configILNS1_25lookback_scan_determinismE0ES3_S9_NS6_6detail15normal_iteratorINS6_10device_ptrIxEEEESG_SG_SG_PmS8_NS6_8equal_toIxEEEE10hipError_tPvRmT2_T3_mT4_T5_T6_T7_T8_P12ihipStream_tbENKUlT_T0_E_clISt17integral_constantIbLb1EES10_IbLb0EEEEDaSW_SX_EUlSW_E_NS1_11comp_targetILNS1_3genE0ELNS1_11target_archE4294967295ELNS1_3gpuE0ELNS1_3repE0EEENS1_30default_config_static_selectorELNS0_4arch9wavefront6targetE1EEEvT1_: ; @_ZN7rocprim17ROCPRIM_400000_NS6detail17trampoline_kernelINS0_14default_configENS1_29reduce_by_key_config_selectorIxxN6thrust23THRUST_200600_302600_NS4plusIxEEEEZZNS1_33reduce_by_key_impl_wrapped_configILNS1_25lookback_scan_determinismE0ES3_S9_NS6_6detail15normal_iteratorINS6_10device_ptrIxEEEESG_SG_SG_PmS8_NS6_8equal_toIxEEEE10hipError_tPvRmT2_T3_mT4_T5_T6_T7_T8_P12ihipStream_tbENKUlT_T0_E_clISt17integral_constantIbLb1EES10_IbLb0EEEEDaSW_SX_EUlSW_E_NS1_11comp_targetILNS1_3genE0ELNS1_11target_archE4294967295ELNS1_3gpuE0ELNS1_3repE0EEENS1_30default_config_static_selectorELNS0_4arch9wavefront6targetE1EEEvT1_
; %bb.0:
	.section	.rodata,"a",@progbits
	.p2align	6, 0x0
	.amdhsa_kernel _ZN7rocprim17ROCPRIM_400000_NS6detail17trampoline_kernelINS0_14default_configENS1_29reduce_by_key_config_selectorIxxN6thrust23THRUST_200600_302600_NS4plusIxEEEEZZNS1_33reduce_by_key_impl_wrapped_configILNS1_25lookback_scan_determinismE0ES3_S9_NS6_6detail15normal_iteratorINS6_10device_ptrIxEEEESG_SG_SG_PmS8_NS6_8equal_toIxEEEE10hipError_tPvRmT2_T3_mT4_T5_T6_T7_T8_P12ihipStream_tbENKUlT_T0_E_clISt17integral_constantIbLb1EES10_IbLb0EEEEDaSW_SX_EUlSW_E_NS1_11comp_targetILNS1_3genE0ELNS1_11target_archE4294967295ELNS1_3gpuE0ELNS1_3repE0EEENS1_30default_config_static_selectorELNS0_4arch9wavefront6targetE1EEEvT1_
		.amdhsa_group_segment_fixed_size 0
		.amdhsa_private_segment_fixed_size 0
		.amdhsa_kernarg_size 136
		.amdhsa_user_sgpr_count 6
		.amdhsa_user_sgpr_private_segment_buffer 1
		.amdhsa_user_sgpr_dispatch_ptr 0
		.amdhsa_user_sgpr_queue_ptr 0
		.amdhsa_user_sgpr_kernarg_segment_ptr 1
		.amdhsa_user_sgpr_dispatch_id 0
		.amdhsa_user_sgpr_flat_scratch_init 0
		.amdhsa_user_sgpr_kernarg_preload_length 0
		.amdhsa_user_sgpr_kernarg_preload_offset 0
		.amdhsa_user_sgpr_private_segment_size 0
		.amdhsa_uses_dynamic_stack 0
		.amdhsa_system_sgpr_private_segment_wavefront_offset 0
		.amdhsa_system_sgpr_workgroup_id_x 1
		.amdhsa_system_sgpr_workgroup_id_y 0
		.amdhsa_system_sgpr_workgroup_id_z 0
		.amdhsa_system_sgpr_workgroup_info 0
		.amdhsa_system_vgpr_workitem_id 0
		.amdhsa_next_free_vgpr 1
		.amdhsa_next_free_sgpr 0
		.amdhsa_accum_offset 4
		.amdhsa_reserve_vcc 0
		.amdhsa_reserve_flat_scratch 0
		.amdhsa_float_round_mode_32 0
		.amdhsa_float_round_mode_16_64 0
		.amdhsa_float_denorm_mode_32 3
		.amdhsa_float_denorm_mode_16_64 3
		.amdhsa_dx10_clamp 1
		.amdhsa_ieee_mode 1
		.amdhsa_fp16_overflow 0
		.amdhsa_tg_split 0
		.amdhsa_exception_fp_ieee_invalid_op 0
		.amdhsa_exception_fp_denorm_src 0
		.amdhsa_exception_fp_ieee_div_zero 0
		.amdhsa_exception_fp_ieee_overflow 0
		.amdhsa_exception_fp_ieee_underflow 0
		.amdhsa_exception_fp_ieee_inexact 0
		.amdhsa_exception_int_div_zero 0
	.end_amdhsa_kernel
	.section	.text._ZN7rocprim17ROCPRIM_400000_NS6detail17trampoline_kernelINS0_14default_configENS1_29reduce_by_key_config_selectorIxxN6thrust23THRUST_200600_302600_NS4plusIxEEEEZZNS1_33reduce_by_key_impl_wrapped_configILNS1_25lookback_scan_determinismE0ES3_S9_NS6_6detail15normal_iteratorINS6_10device_ptrIxEEEESG_SG_SG_PmS8_NS6_8equal_toIxEEEE10hipError_tPvRmT2_T3_mT4_T5_T6_T7_T8_P12ihipStream_tbENKUlT_T0_E_clISt17integral_constantIbLb1EES10_IbLb0EEEEDaSW_SX_EUlSW_E_NS1_11comp_targetILNS1_3genE0ELNS1_11target_archE4294967295ELNS1_3gpuE0ELNS1_3repE0EEENS1_30default_config_static_selectorELNS0_4arch9wavefront6targetE1EEEvT1_,"axG",@progbits,_ZN7rocprim17ROCPRIM_400000_NS6detail17trampoline_kernelINS0_14default_configENS1_29reduce_by_key_config_selectorIxxN6thrust23THRUST_200600_302600_NS4plusIxEEEEZZNS1_33reduce_by_key_impl_wrapped_configILNS1_25lookback_scan_determinismE0ES3_S9_NS6_6detail15normal_iteratorINS6_10device_ptrIxEEEESG_SG_SG_PmS8_NS6_8equal_toIxEEEE10hipError_tPvRmT2_T3_mT4_T5_T6_T7_T8_P12ihipStream_tbENKUlT_T0_E_clISt17integral_constantIbLb1EES10_IbLb0EEEEDaSW_SX_EUlSW_E_NS1_11comp_targetILNS1_3genE0ELNS1_11target_archE4294967295ELNS1_3gpuE0ELNS1_3repE0EEENS1_30default_config_static_selectorELNS0_4arch9wavefront6targetE1EEEvT1_,comdat
.Lfunc_end489:
	.size	_ZN7rocprim17ROCPRIM_400000_NS6detail17trampoline_kernelINS0_14default_configENS1_29reduce_by_key_config_selectorIxxN6thrust23THRUST_200600_302600_NS4plusIxEEEEZZNS1_33reduce_by_key_impl_wrapped_configILNS1_25lookback_scan_determinismE0ES3_S9_NS6_6detail15normal_iteratorINS6_10device_ptrIxEEEESG_SG_SG_PmS8_NS6_8equal_toIxEEEE10hipError_tPvRmT2_T3_mT4_T5_T6_T7_T8_P12ihipStream_tbENKUlT_T0_E_clISt17integral_constantIbLb1EES10_IbLb0EEEEDaSW_SX_EUlSW_E_NS1_11comp_targetILNS1_3genE0ELNS1_11target_archE4294967295ELNS1_3gpuE0ELNS1_3repE0EEENS1_30default_config_static_selectorELNS0_4arch9wavefront6targetE1EEEvT1_, .Lfunc_end489-_ZN7rocprim17ROCPRIM_400000_NS6detail17trampoline_kernelINS0_14default_configENS1_29reduce_by_key_config_selectorIxxN6thrust23THRUST_200600_302600_NS4plusIxEEEEZZNS1_33reduce_by_key_impl_wrapped_configILNS1_25lookback_scan_determinismE0ES3_S9_NS6_6detail15normal_iteratorINS6_10device_ptrIxEEEESG_SG_SG_PmS8_NS6_8equal_toIxEEEE10hipError_tPvRmT2_T3_mT4_T5_T6_T7_T8_P12ihipStream_tbENKUlT_T0_E_clISt17integral_constantIbLb1EES10_IbLb0EEEEDaSW_SX_EUlSW_E_NS1_11comp_targetILNS1_3genE0ELNS1_11target_archE4294967295ELNS1_3gpuE0ELNS1_3repE0EEENS1_30default_config_static_selectorELNS0_4arch9wavefront6targetE1EEEvT1_
                                        ; -- End function
	.section	.AMDGPU.csdata,"",@progbits
; Kernel info:
; codeLenInByte = 0
; NumSgprs: 4
; NumVgprs: 0
; NumAgprs: 0
; TotalNumVgprs: 0
; ScratchSize: 0
; MemoryBound: 0
; FloatMode: 240
; IeeeMode: 1
; LDSByteSize: 0 bytes/workgroup (compile time only)
; SGPRBlocks: 0
; VGPRBlocks: 0
; NumSGPRsForWavesPerEU: 4
; NumVGPRsForWavesPerEU: 1
; AccumOffset: 4
; Occupancy: 8
; WaveLimiterHint : 0
; COMPUTE_PGM_RSRC2:SCRATCH_EN: 0
; COMPUTE_PGM_RSRC2:USER_SGPR: 6
; COMPUTE_PGM_RSRC2:TRAP_HANDLER: 0
; COMPUTE_PGM_RSRC2:TGID_X_EN: 1
; COMPUTE_PGM_RSRC2:TGID_Y_EN: 0
; COMPUTE_PGM_RSRC2:TGID_Z_EN: 0
; COMPUTE_PGM_RSRC2:TIDIG_COMP_CNT: 0
; COMPUTE_PGM_RSRC3_GFX90A:ACCUM_OFFSET: 0
; COMPUTE_PGM_RSRC3_GFX90A:TG_SPLIT: 0
	.section	.text._ZN7rocprim17ROCPRIM_400000_NS6detail17trampoline_kernelINS0_14default_configENS1_29reduce_by_key_config_selectorIxxN6thrust23THRUST_200600_302600_NS4plusIxEEEEZZNS1_33reduce_by_key_impl_wrapped_configILNS1_25lookback_scan_determinismE0ES3_S9_NS6_6detail15normal_iteratorINS6_10device_ptrIxEEEESG_SG_SG_PmS8_NS6_8equal_toIxEEEE10hipError_tPvRmT2_T3_mT4_T5_T6_T7_T8_P12ihipStream_tbENKUlT_T0_E_clISt17integral_constantIbLb1EES10_IbLb0EEEEDaSW_SX_EUlSW_E_NS1_11comp_targetILNS1_3genE5ELNS1_11target_archE942ELNS1_3gpuE9ELNS1_3repE0EEENS1_30default_config_static_selectorELNS0_4arch9wavefront6targetE1EEEvT1_,"axG",@progbits,_ZN7rocprim17ROCPRIM_400000_NS6detail17trampoline_kernelINS0_14default_configENS1_29reduce_by_key_config_selectorIxxN6thrust23THRUST_200600_302600_NS4plusIxEEEEZZNS1_33reduce_by_key_impl_wrapped_configILNS1_25lookback_scan_determinismE0ES3_S9_NS6_6detail15normal_iteratorINS6_10device_ptrIxEEEESG_SG_SG_PmS8_NS6_8equal_toIxEEEE10hipError_tPvRmT2_T3_mT4_T5_T6_T7_T8_P12ihipStream_tbENKUlT_T0_E_clISt17integral_constantIbLb1EES10_IbLb0EEEEDaSW_SX_EUlSW_E_NS1_11comp_targetILNS1_3genE5ELNS1_11target_archE942ELNS1_3gpuE9ELNS1_3repE0EEENS1_30default_config_static_selectorELNS0_4arch9wavefront6targetE1EEEvT1_,comdat
	.protected	_ZN7rocprim17ROCPRIM_400000_NS6detail17trampoline_kernelINS0_14default_configENS1_29reduce_by_key_config_selectorIxxN6thrust23THRUST_200600_302600_NS4plusIxEEEEZZNS1_33reduce_by_key_impl_wrapped_configILNS1_25lookback_scan_determinismE0ES3_S9_NS6_6detail15normal_iteratorINS6_10device_ptrIxEEEESG_SG_SG_PmS8_NS6_8equal_toIxEEEE10hipError_tPvRmT2_T3_mT4_T5_T6_T7_T8_P12ihipStream_tbENKUlT_T0_E_clISt17integral_constantIbLb1EES10_IbLb0EEEEDaSW_SX_EUlSW_E_NS1_11comp_targetILNS1_3genE5ELNS1_11target_archE942ELNS1_3gpuE9ELNS1_3repE0EEENS1_30default_config_static_selectorELNS0_4arch9wavefront6targetE1EEEvT1_ ; -- Begin function _ZN7rocprim17ROCPRIM_400000_NS6detail17trampoline_kernelINS0_14default_configENS1_29reduce_by_key_config_selectorIxxN6thrust23THRUST_200600_302600_NS4plusIxEEEEZZNS1_33reduce_by_key_impl_wrapped_configILNS1_25lookback_scan_determinismE0ES3_S9_NS6_6detail15normal_iteratorINS6_10device_ptrIxEEEESG_SG_SG_PmS8_NS6_8equal_toIxEEEE10hipError_tPvRmT2_T3_mT4_T5_T6_T7_T8_P12ihipStream_tbENKUlT_T0_E_clISt17integral_constantIbLb1EES10_IbLb0EEEEDaSW_SX_EUlSW_E_NS1_11comp_targetILNS1_3genE5ELNS1_11target_archE942ELNS1_3gpuE9ELNS1_3repE0EEENS1_30default_config_static_selectorELNS0_4arch9wavefront6targetE1EEEvT1_
	.globl	_ZN7rocprim17ROCPRIM_400000_NS6detail17trampoline_kernelINS0_14default_configENS1_29reduce_by_key_config_selectorIxxN6thrust23THRUST_200600_302600_NS4plusIxEEEEZZNS1_33reduce_by_key_impl_wrapped_configILNS1_25lookback_scan_determinismE0ES3_S9_NS6_6detail15normal_iteratorINS6_10device_ptrIxEEEESG_SG_SG_PmS8_NS6_8equal_toIxEEEE10hipError_tPvRmT2_T3_mT4_T5_T6_T7_T8_P12ihipStream_tbENKUlT_T0_E_clISt17integral_constantIbLb1EES10_IbLb0EEEEDaSW_SX_EUlSW_E_NS1_11comp_targetILNS1_3genE5ELNS1_11target_archE942ELNS1_3gpuE9ELNS1_3repE0EEENS1_30default_config_static_selectorELNS0_4arch9wavefront6targetE1EEEvT1_
	.p2align	8
	.type	_ZN7rocprim17ROCPRIM_400000_NS6detail17trampoline_kernelINS0_14default_configENS1_29reduce_by_key_config_selectorIxxN6thrust23THRUST_200600_302600_NS4plusIxEEEEZZNS1_33reduce_by_key_impl_wrapped_configILNS1_25lookback_scan_determinismE0ES3_S9_NS6_6detail15normal_iteratorINS6_10device_ptrIxEEEESG_SG_SG_PmS8_NS6_8equal_toIxEEEE10hipError_tPvRmT2_T3_mT4_T5_T6_T7_T8_P12ihipStream_tbENKUlT_T0_E_clISt17integral_constantIbLb1EES10_IbLb0EEEEDaSW_SX_EUlSW_E_NS1_11comp_targetILNS1_3genE5ELNS1_11target_archE942ELNS1_3gpuE9ELNS1_3repE0EEENS1_30default_config_static_selectorELNS0_4arch9wavefront6targetE1EEEvT1_,@function
_ZN7rocprim17ROCPRIM_400000_NS6detail17trampoline_kernelINS0_14default_configENS1_29reduce_by_key_config_selectorIxxN6thrust23THRUST_200600_302600_NS4plusIxEEEEZZNS1_33reduce_by_key_impl_wrapped_configILNS1_25lookback_scan_determinismE0ES3_S9_NS6_6detail15normal_iteratorINS6_10device_ptrIxEEEESG_SG_SG_PmS8_NS6_8equal_toIxEEEE10hipError_tPvRmT2_T3_mT4_T5_T6_T7_T8_P12ihipStream_tbENKUlT_T0_E_clISt17integral_constantIbLb1EES10_IbLb0EEEEDaSW_SX_EUlSW_E_NS1_11comp_targetILNS1_3genE5ELNS1_11target_archE942ELNS1_3gpuE9ELNS1_3repE0EEENS1_30default_config_static_selectorELNS0_4arch9wavefront6targetE1EEEvT1_: ; @_ZN7rocprim17ROCPRIM_400000_NS6detail17trampoline_kernelINS0_14default_configENS1_29reduce_by_key_config_selectorIxxN6thrust23THRUST_200600_302600_NS4plusIxEEEEZZNS1_33reduce_by_key_impl_wrapped_configILNS1_25lookback_scan_determinismE0ES3_S9_NS6_6detail15normal_iteratorINS6_10device_ptrIxEEEESG_SG_SG_PmS8_NS6_8equal_toIxEEEE10hipError_tPvRmT2_T3_mT4_T5_T6_T7_T8_P12ihipStream_tbENKUlT_T0_E_clISt17integral_constantIbLb1EES10_IbLb0EEEEDaSW_SX_EUlSW_E_NS1_11comp_targetILNS1_3genE5ELNS1_11target_archE942ELNS1_3gpuE9ELNS1_3repE0EEENS1_30default_config_static_selectorELNS0_4arch9wavefront6targetE1EEEvT1_
; %bb.0:
	.section	.rodata,"a",@progbits
	.p2align	6, 0x0
	.amdhsa_kernel _ZN7rocprim17ROCPRIM_400000_NS6detail17trampoline_kernelINS0_14default_configENS1_29reduce_by_key_config_selectorIxxN6thrust23THRUST_200600_302600_NS4plusIxEEEEZZNS1_33reduce_by_key_impl_wrapped_configILNS1_25lookback_scan_determinismE0ES3_S9_NS6_6detail15normal_iteratorINS6_10device_ptrIxEEEESG_SG_SG_PmS8_NS6_8equal_toIxEEEE10hipError_tPvRmT2_T3_mT4_T5_T6_T7_T8_P12ihipStream_tbENKUlT_T0_E_clISt17integral_constantIbLb1EES10_IbLb0EEEEDaSW_SX_EUlSW_E_NS1_11comp_targetILNS1_3genE5ELNS1_11target_archE942ELNS1_3gpuE9ELNS1_3repE0EEENS1_30default_config_static_selectorELNS0_4arch9wavefront6targetE1EEEvT1_
		.amdhsa_group_segment_fixed_size 0
		.amdhsa_private_segment_fixed_size 0
		.amdhsa_kernarg_size 136
		.amdhsa_user_sgpr_count 6
		.amdhsa_user_sgpr_private_segment_buffer 1
		.amdhsa_user_sgpr_dispatch_ptr 0
		.amdhsa_user_sgpr_queue_ptr 0
		.amdhsa_user_sgpr_kernarg_segment_ptr 1
		.amdhsa_user_sgpr_dispatch_id 0
		.amdhsa_user_sgpr_flat_scratch_init 0
		.amdhsa_user_sgpr_kernarg_preload_length 0
		.amdhsa_user_sgpr_kernarg_preload_offset 0
		.amdhsa_user_sgpr_private_segment_size 0
		.amdhsa_uses_dynamic_stack 0
		.amdhsa_system_sgpr_private_segment_wavefront_offset 0
		.amdhsa_system_sgpr_workgroup_id_x 1
		.amdhsa_system_sgpr_workgroup_id_y 0
		.amdhsa_system_sgpr_workgroup_id_z 0
		.amdhsa_system_sgpr_workgroup_info 0
		.amdhsa_system_vgpr_workitem_id 0
		.amdhsa_next_free_vgpr 1
		.amdhsa_next_free_sgpr 0
		.amdhsa_accum_offset 4
		.amdhsa_reserve_vcc 0
		.amdhsa_reserve_flat_scratch 0
		.amdhsa_float_round_mode_32 0
		.amdhsa_float_round_mode_16_64 0
		.amdhsa_float_denorm_mode_32 3
		.amdhsa_float_denorm_mode_16_64 3
		.amdhsa_dx10_clamp 1
		.amdhsa_ieee_mode 1
		.amdhsa_fp16_overflow 0
		.amdhsa_tg_split 0
		.amdhsa_exception_fp_ieee_invalid_op 0
		.amdhsa_exception_fp_denorm_src 0
		.amdhsa_exception_fp_ieee_div_zero 0
		.amdhsa_exception_fp_ieee_overflow 0
		.amdhsa_exception_fp_ieee_underflow 0
		.amdhsa_exception_fp_ieee_inexact 0
		.amdhsa_exception_int_div_zero 0
	.end_amdhsa_kernel
	.section	.text._ZN7rocprim17ROCPRIM_400000_NS6detail17trampoline_kernelINS0_14default_configENS1_29reduce_by_key_config_selectorIxxN6thrust23THRUST_200600_302600_NS4plusIxEEEEZZNS1_33reduce_by_key_impl_wrapped_configILNS1_25lookback_scan_determinismE0ES3_S9_NS6_6detail15normal_iteratorINS6_10device_ptrIxEEEESG_SG_SG_PmS8_NS6_8equal_toIxEEEE10hipError_tPvRmT2_T3_mT4_T5_T6_T7_T8_P12ihipStream_tbENKUlT_T0_E_clISt17integral_constantIbLb1EES10_IbLb0EEEEDaSW_SX_EUlSW_E_NS1_11comp_targetILNS1_3genE5ELNS1_11target_archE942ELNS1_3gpuE9ELNS1_3repE0EEENS1_30default_config_static_selectorELNS0_4arch9wavefront6targetE1EEEvT1_,"axG",@progbits,_ZN7rocprim17ROCPRIM_400000_NS6detail17trampoline_kernelINS0_14default_configENS1_29reduce_by_key_config_selectorIxxN6thrust23THRUST_200600_302600_NS4plusIxEEEEZZNS1_33reduce_by_key_impl_wrapped_configILNS1_25lookback_scan_determinismE0ES3_S9_NS6_6detail15normal_iteratorINS6_10device_ptrIxEEEESG_SG_SG_PmS8_NS6_8equal_toIxEEEE10hipError_tPvRmT2_T3_mT4_T5_T6_T7_T8_P12ihipStream_tbENKUlT_T0_E_clISt17integral_constantIbLb1EES10_IbLb0EEEEDaSW_SX_EUlSW_E_NS1_11comp_targetILNS1_3genE5ELNS1_11target_archE942ELNS1_3gpuE9ELNS1_3repE0EEENS1_30default_config_static_selectorELNS0_4arch9wavefront6targetE1EEEvT1_,comdat
.Lfunc_end490:
	.size	_ZN7rocprim17ROCPRIM_400000_NS6detail17trampoline_kernelINS0_14default_configENS1_29reduce_by_key_config_selectorIxxN6thrust23THRUST_200600_302600_NS4plusIxEEEEZZNS1_33reduce_by_key_impl_wrapped_configILNS1_25lookback_scan_determinismE0ES3_S9_NS6_6detail15normal_iteratorINS6_10device_ptrIxEEEESG_SG_SG_PmS8_NS6_8equal_toIxEEEE10hipError_tPvRmT2_T3_mT4_T5_T6_T7_T8_P12ihipStream_tbENKUlT_T0_E_clISt17integral_constantIbLb1EES10_IbLb0EEEEDaSW_SX_EUlSW_E_NS1_11comp_targetILNS1_3genE5ELNS1_11target_archE942ELNS1_3gpuE9ELNS1_3repE0EEENS1_30default_config_static_selectorELNS0_4arch9wavefront6targetE1EEEvT1_, .Lfunc_end490-_ZN7rocprim17ROCPRIM_400000_NS6detail17trampoline_kernelINS0_14default_configENS1_29reduce_by_key_config_selectorIxxN6thrust23THRUST_200600_302600_NS4plusIxEEEEZZNS1_33reduce_by_key_impl_wrapped_configILNS1_25lookback_scan_determinismE0ES3_S9_NS6_6detail15normal_iteratorINS6_10device_ptrIxEEEESG_SG_SG_PmS8_NS6_8equal_toIxEEEE10hipError_tPvRmT2_T3_mT4_T5_T6_T7_T8_P12ihipStream_tbENKUlT_T0_E_clISt17integral_constantIbLb1EES10_IbLb0EEEEDaSW_SX_EUlSW_E_NS1_11comp_targetILNS1_3genE5ELNS1_11target_archE942ELNS1_3gpuE9ELNS1_3repE0EEENS1_30default_config_static_selectorELNS0_4arch9wavefront6targetE1EEEvT1_
                                        ; -- End function
	.section	.AMDGPU.csdata,"",@progbits
; Kernel info:
; codeLenInByte = 0
; NumSgprs: 4
; NumVgprs: 0
; NumAgprs: 0
; TotalNumVgprs: 0
; ScratchSize: 0
; MemoryBound: 0
; FloatMode: 240
; IeeeMode: 1
; LDSByteSize: 0 bytes/workgroup (compile time only)
; SGPRBlocks: 0
; VGPRBlocks: 0
; NumSGPRsForWavesPerEU: 4
; NumVGPRsForWavesPerEU: 1
; AccumOffset: 4
; Occupancy: 8
; WaveLimiterHint : 0
; COMPUTE_PGM_RSRC2:SCRATCH_EN: 0
; COMPUTE_PGM_RSRC2:USER_SGPR: 6
; COMPUTE_PGM_RSRC2:TRAP_HANDLER: 0
; COMPUTE_PGM_RSRC2:TGID_X_EN: 1
; COMPUTE_PGM_RSRC2:TGID_Y_EN: 0
; COMPUTE_PGM_RSRC2:TGID_Z_EN: 0
; COMPUTE_PGM_RSRC2:TIDIG_COMP_CNT: 0
; COMPUTE_PGM_RSRC3_GFX90A:ACCUM_OFFSET: 0
; COMPUTE_PGM_RSRC3_GFX90A:TG_SPLIT: 0
	.section	.text._ZN7rocprim17ROCPRIM_400000_NS6detail17trampoline_kernelINS0_14default_configENS1_29reduce_by_key_config_selectorIxxN6thrust23THRUST_200600_302600_NS4plusIxEEEEZZNS1_33reduce_by_key_impl_wrapped_configILNS1_25lookback_scan_determinismE0ES3_S9_NS6_6detail15normal_iteratorINS6_10device_ptrIxEEEESG_SG_SG_PmS8_NS6_8equal_toIxEEEE10hipError_tPvRmT2_T3_mT4_T5_T6_T7_T8_P12ihipStream_tbENKUlT_T0_E_clISt17integral_constantIbLb1EES10_IbLb0EEEEDaSW_SX_EUlSW_E_NS1_11comp_targetILNS1_3genE4ELNS1_11target_archE910ELNS1_3gpuE8ELNS1_3repE0EEENS1_30default_config_static_selectorELNS0_4arch9wavefront6targetE1EEEvT1_,"axG",@progbits,_ZN7rocprim17ROCPRIM_400000_NS6detail17trampoline_kernelINS0_14default_configENS1_29reduce_by_key_config_selectorIxxN6thrust23THRUST_200600_302600_NS4plusIxEEEEZZNS1_33reduce_by_key_impl_wrapped_configILNS1_25lookback_scan_determinismE0ES3_S9_NS6_6detail15normal_iteratorINS6_10device_ptrIxEEEESG_SG_SG_PmS8_NS6_8equal_toIxEEEE10hipError_tPvRmT2_T3_mT4_T5_T6_T7_T8_P12ihipStream_tbENKUlT_T0_E_clISt17integral_constantIbLb1EES10_IbLb0EEEEDaSW_SX_EUlSW_E_NS1_11comp_targetILNS1_3genE4ELNS1_11target_archE910ELNS1_3gpuE8ELNS1_3repE0EEENS1_30default_config_static_selectorELNS0_4arch9wavefront6targetE1EEEvT1_,comdat
	.protected	_ZN7rocprim17ROCPRIM_400000_NS6detail17trampoline_kernelINS0_14default_configENS1_29reduce_by_key_config_selectorIxxN6thrust23THRUST_200600_302600_NS4plusIxEEEEZZNS1_33reduce_by_key_impl_wrapped_configILNS1_25lookback_scan_determinismE0ES3_S9_NS6_6detail15normal_iteratorINS6_10device_ptrIxEEEESG_SG_SG_PmS8_NS6_8equal_toIxEEEE10hipError_tPvRmT2_T3_mT4_T5_T6_T7_T8_P12ihipStream_tbENKUlT_T0_E_clISt17integral_constantIbLb1EES10_IbLb0EEEEDaSW_SX_EUlSW_E_NS1_11comp_targetILNS1_3genE4ELNS1_11target_archE910ELNS1_3gpuE8ELNS1_3repE0EEENS1_30default_config_static_selectorELNS0_4arch9wavefront6targetE1EEEvT1_ ; -- Begin function _ZN7rocprim17ROCPRIM_400000_NS6detail17trampoline_kernelINS0_14default_configENS1_29reduce_by_key_config_selectorIxxN6thrust23THRUST_200600_302600_NS4plusIxEEEEZZNS1_33reduce_by_key_impl_wrapped_configILNS1_25lookback_scan_determinismE0ES3_S9_NS6_6detail15normal_iteratorINS6_10device_ptrIxEEEESG_SG_SG_PmS8_NS6_8equal_toIxEEEE10hipError_tPvRmT2_T3_mT4_T5_T6_T7_T8_P12ihipStream_tbENKUlT_T0_E_clISt17integral_constantIbLb1EES10_IbLb0EEEEDaSW_SX_EUlSW_E_NS1_11comp_targetILNS1_3genE4ELNS1_11target_archE910ELNS1_3gpuE8ELNS1_3repE0EEENS1_30default_config_static_selectorELNS0_4arch9wavefront6targetE1EEEvT1_
	.globl	_ZN7rocprim17ROCPRIM_400000_NS6detail17trampoline_kernelINS0_14default_configENS1_29reduce_by_key_config_selectorIxxN6thrust23THRUST_200600_302600_NS4plusIxEEEEZZNS1_33reduce_by_key_impl_wrapped_configILNS1_25lookback_scan_determinismE0ES3_S9_NS6_6detail15normal_iteratorINS6_10device_ptrIxEEEESG_SG_SG_PmS8_NS6_8equal_toIxEEEE10hipError_tPvRmT2_T3_mT4_T5_T6_T7_T8_P12ihipStream_tbENKUlT_T0_E_clISt17integral_constantIbLb1EES10_IbLb0EEEEDaSW_SX_EUlSW_E_NS1_11comp_targetILNS1_3genE4ELNS1_11target_archE910ELNS1_3gpuE8ELNS1_3repE0EEENS1_30default_config_static_selectorELNS0_4arch9wavefront6targetE1EEEvT1_
	.p2align	8
	.type	_ZN7rocprim17ROCPRIM_400000_NS6detail17trampoline_kernelINS0_14default_configENS1_29reduce_by_key_config_selectorIxxN6thrust23THRUST_200600_302600_NS4plusIxEEEEZZNS1_33reduce_by_key_impl_wrapped_configILNS1_25lookback_scan_determinismE0ES3_S9_NS6_6detail15normal_iteratorINS6_10device_ptrIxEEEESG_SG_SG_PmS8_NS6_8equal_toIxEEEE10hipError_tPvRmT2_T3_mT4_T5_T6_T7_T8_P12ihipStream_tbENKUlT_T0_E_clISt17integral_constantIbLb1EES10_IbLb0EEEEDaSW_SX_EUlSW_E_NS1_11comp_targetILNS1_3genE4ELNS1_11target_archE910ELNS1_3gpuE8ELNS1_3repE0EEENS1_30default_config_static_selectorELNS0_4arch9wavefront6targetE1EEEvT1_,@function
_ZN7rocprim17ROCPRIM_400000_NS6detail17trampoline_kernelINS0_14default_configENS1_29reduce_by_key_config_selectorIxxN6thrust23THRUST_200600_302600_NS4plusIxEEEEZZNS1_33reduce_by_key_impl_wrapped_configILNS1_25lookback_scan_determinismE0ES3_S9_NS6_6detail15normal_iteratorINS6_10device_ptrIxEEEESG_SG_SG_PmS8_NS6_8equal_toIxEEEE10hipError_tPvRmT2_T3_mT4_T5_T6_T7_T8_P12ihipStream_tbENKUlT_T0_E_clISt17integral_constantIbLb1EES10_IbLb0EEEEDaSW_SX_EUlSW_E_NS1_11comp_targetILNS1_3genE4ELNS1_11target_archE910ELNS1_3gpuE8ELNS1_3repE0EEENS1_30default_config_static_selectorELNS0_4arch9wavefront6targetE1EEEvT1_: ; @_ZN7rocprim17ROCPRIM_400000_NS6detail17trampoline_kernelINS0_14default_configENS1_29reduce_by_key_config_selectorIxxN6thrust23THRUST_200600_302600_NS4plusIxEEEEZZNS1_33reduce_by_key_impl_wrapped_configILNS1_25lookback_scan_determinismE0ES3_S9_NS6_6detail15normal_iteratorINS6_10device_ptrIxEEEESG_SG_SG_PmS8_NS6_8equal_toIxEEEE10hipError_tPvRmT2_T3_mT4_T5_T6_T7_T8_P12ihipStream_tbENKUlT_T0_E_clISt17integral_constantIbLb1EES10_IbLb0EEEEDaSW_SX_EUlSW_E_NS1_11comp_targetILNS1_3genE4ELNS1_11target_archE910ELNS1_3gpuE8ELNS1_3repE0EEENS1_30default_config_static_selectorELNS0_4arch9wavefront6targetE1EEEvT1_
; %bb.0:
	s_load_dwordx8 s[52:59], s[4:5], 0x0
	s_load_dwordx4 s[60:63], s[4:5], 0x20
	s_load_dwordx16 s[36:51], s[4:5], 0x38
	s_waitcnt lgkmcnt(0)
	s_lshl_b64 s[0:1], s[54:55], 3
	s_add_u32 s2, s52, s0
	s_addc_u32 s3, s53, s1
	s_add_u32 s8, s56, s0
	s_addc_u32 s9, s57, s1
	s_mul_i32 s0, s44, s43
	s_mul_hi_u32 s1, s44, s42
	s_add_i32 s0, s1, s0
	s_mul_i32 s1, s45, s42
	s_add_i32 s10, s0, s1
	s_mul_i32 s0, s6, 0xf00
	s_mov_b32 s1, 0
	s_lshl_b64 s[0:1], s[0:1], 3
	s_add_u32 s7, s2, s0
	s_addc_u32 s56, s3, s1
	s_add_u32 s57, s8, s0
	s_mul_i32 s11, s44, s42
	s_addc_u32 s64, s9, s1
	s_add_u32 s52, s11, s6
	s_addc_u32 s53, s10, 0
	s_add_u32 s2, s46, -1
	s_addc_u32 s3, s47, -1
	s_cmp_eq_u64 s[52:53], s[2:3]
	s_cselect_b64 s[34:35], -1, 0
	s_cmp_lg_u64 s[52:53], s[2:3]
	s_mov_b64 s[0:1], -1
	s_cselect_b64 s[54:55], -1, 0
	s_mul_i32 s33, s2, 0xfffff100
	s_and_b64 vcc, exec, s[34:35]
	s_cbranch_vccnz .LBB491_2
; %bb.1:
	v_lshlrev_b32_e32 v80, 3, v0
	v_mov_b32_e32 v1, s56
	v_add_co_u32_e32 v2, vcc, s7, v80
	v_addc_co_u32_e32 v3, vcc, 0, v1, vcc
	v_add_co_u32_e32 v4, vcc, 0x1000, v2
	v_addc_co_u32_e32 v5, vcc, 0, v3, vcc
	flat_load_dwordx2 v[6:7], v[2:3]
	flat_load_dwordx2 v[8:9], v[2:3] offset:2048
	flat_load_dwordx2 v[10:11], v[4:5]
	flat_load_dwordx2 v[12:13], v[4:5] offset:2048
	v_add_co_u32_e32 v4, vcc, 0x2000, v2
	v_addc_co_u32_e32 v5, vcc, 0, v3, vcc
	v_add_co_u32_e32 v14, vcc, 0x3000, v2
	v_addc_co_u32_e32 v15, vcc, 0, v3, vcc
	flat_load_dwordx2 v[16:17], v[4:5]
	flat_load_dwordx2 v[18:19], v[4:5] offset:2048
	flat_load_dwordx2 v[20:21], v[14:15]
	flat_load_dwordx2 v[22:23], v[14:15] offset:2048
	;; [unrolled: 8-line block ×3, first 2 shown]
	v_add_co_u32_e32 v4, vcc, 0x6000, v2
	v_addc_co_u32_e32 v5, vcc, 0, v3, vcc
	v_add_co_u32_e32 v2, vcc, 0x7000, v2
	v_addc_co_u32_e32 v3, vcc, 0, v3, vcc
	flat_load_dwordx2 v[14:15], v[4:5]
	flat_load_dwordx2 v[32:33], v[4:5] offset:2048
	flat_load_dwordx2 v[34:35], v[2:3]
	v_mov_b32_e32 v36, s64
	s_movk_i32 s0, 0x1000
	s_movk_i32 s11, 0x70
	;; [unrolled: 1-line block ×3, first 2 shown]
	v_mad_u32_u24 v1, v0, s11, v80
	s_movk_i32 s2, 0x3000
	s_movk_i32 s3, 0x4000
	;; [unrolled: 1-line block ×5, first 2 shown]
	s_waitcnt vmcnt(0) lgkmcnt(0)
	ds_write2st64_b64 v80, v[6:7], v[8:9] offset1:4
	ds_write2st64_b64 v80, v[10:11], v[12:13] offset0:8 offset1:12
	ds_write2st64_b64 v80, v[16:17], v[18:19] offset0:16 offset1:20
	;; [unrolled: 1-line block ×6, first 2 shown]
	ds_write_b64 v80, v[34:35] offset:28672
	v_add_co_u32_e32 v30, vcc, s57, v80
	v_addc_co_u32_e32 v31, vcc, 0, v36, vcc
	v_add_co_u32_e32 v32, vcc, s0, v30
	v_addc_co_u32_e32 v33, vcc, 0, v31, vcc
	s_waitcnt lgkmcnt(0)
	s_barrier
	ds_read2_b64 v[26:29], v1 offset1:1
	ds_read2_b64 v[22:25], v1 offset0:2 offset1:3
	ds_read2_b64 v[18:21], v1 offset0:4 offset1:5
	;; [unrolled: 1-line block ×6, first 2 shown]
	ds_read_b64 v[74:75], v1 offset:112
	s_waitcnt lgkmcnt(0)
	s_barrier
	flat_load_dwordx2 v[34:35], v[30:31]
	flat_load_dwordx2 v[36:37], v[30:31] offset:2048
	flat_load_dwordx2 v[38:39], v[32:33]
	flat_load_dwordx2 v[40:41], v[32:33] offset:2048
	v_add_co_u32_e32 v32, vcc, s1, v30
	v_addc_co_u32_e32 v33, vcc, 0, v31, vcc
	v_add_co_u32_e32 v42, vcc, s2, v30
	v_addc_co_u32_e32 v43, vcc, 0, v31, vcc
	flat_load_dwordx2 v[44:45], v[32:33]
	flat_load_dwordx2 v[46:47], v[32:33] offset:2048
	flat_load_dwordx2 v[48:49], v[42:43]
	flat_load_dwordx2 v[50:51], v[42:43] offset:2048
	v_add_co_u32_e32 v32, vcc, s3, v30
	v_addc_co_u32_e32 v33, vcc, 0, v31, vcc
	v_add_co_u32_e32 v42, vcc, s8, v30
	v_addc_co_u32_e32 v43, vcc, 0, v31, vcc
	flat_load_dwordx2 v[52:53], v[32:33]
	flat_load_dwordx2 v[54:55], v[32:33] offset:2048
	flat_load_dwordx2 v[56:57], v[42:43]
	flat_load_dwordx2 v[72:73], v[42:43] offset:2048
	v_add_co_u32_e32 v32, vcc, s9, v30
	v_addc_co_u32_e32 v33, vcc, 0, v31, vcc
	v_add_co_u32_e32 v30, vcc, s10, v30
	v_addc_co_u32_e32 v31, vcc, 0, v31, vcc
	flat_load_dwordx2 v[42:43], v[32:33]
	flat_load_dwordx2 v[76:77], v[32:33] offset:2048
	flat_load_dwordx2 v[78:79], v[30:31]
	v_mov_b32_e32 v58, v26
	v_mov_b32_e32 v59, v27
	;; [unrolled: 1-line block ×14, first 2 shown]
	s_waitcnt vmcnt(0) lgkmcnt(0)
	ds_write2st64_b64 v80, v[34:35], v[36:37] offset1:4
	ds_write2st64_b64 v80, v[38:39], v[40:41] offset0:8 offset1:12
	ds_write2st64_b64 v80, v[44:45], v[46:47] offset0:16 offset1:20
	;; [unrolled: 1-line block ×6, first 2 shown]
	ds_write_b64 v80, v[78:79] offset:28672
	s_waitcnt lgkmcnt(0)
	s_barrier
	s_load_dwordx2 s[46:47], s[4:5], 0x78
	s_add_i32 s33, s33, s48
	s_cbranch_execz .LBB491_3
	s_branch .LBB491_50
.LBB491_2:
                                        ; implicit-def: $vgpr74_vgpr75
                                        ; implicit-def: $vgpr2_vgpr3
                                        ; implicit-def: $vgpr6_vgpr7
                                        ; implicit-def: $vgpr10_vgpr11
                                        ; implicit-def: $vgpr14_vgpr15
                                        ; implicit-def: $vgpr18_vgpr19
                                        ; implicit-def: $vgpr22_vgpr23
                                        ; implicit-def: $vgpr26_vgpr27
                                        ; implicit-def: $vgpr1
                                        ; implicit-def: $vgpr66_vgpr67_vgpr68_vgpr69
                                        ; implicit-def: $vgpr62_vgpr63_vgpr64_vgpr65
                                        ; implicit-def: $vgpr58_vgpr59_vgpr60_vgpr61
                                        ; implicit-def: $vgpr70_vgpr71_vgpr72_vgpr73
	s_load_dwordx2 s[46:47], s[4:5], 0x78
	s_andn2_b64 vcc, exec, s[0:1]
	s_add_i32 s33, s33, s48
	s_cbranch_vccnz .LBB491_50
.LBB491_3:
	v_cmp_gt_u32_e32 vcc, s33, v0
                                        ; implicit-def: $vgpr2_vgpr3
	s_and_saveexec_b64 s[2:3], vcc
	s_cbranch_execz .LBB491_5
; %bb.4:
	v_lshlrev_b32_e32 v1, 3, v0
	v_mov_b32_e32 v3, s56
	v_add_co_u32_e64 v2, s[0:1], s7, v1
	v_addc_co_u32_e64 v3, s[0:1], 0, v3, s[0:1]
	flat_load_dwordx2 v[2:3], v[2:3]
.LBB491_5:
	s_or_b64 exec, exec, s[2:3]
	v_or_b32_e32 v1, 0x100, v0
	v_cmp_gt_u32_e64 s[0:1], s33, v1
                                        ; implicit-def: $vgpr4_vgpr5
	s_and_saveexec_b64 s[4:5], s[0:1]
	s_cbranch_execz .LBB491_7
; %bb.6:
	v_lshlrev_b32_e32 v1, 3, v0
	v_mov_b32_e32 v5, s56
	v_add_co_u32_e64 v4, s[2:3], s7, v1
	v_addc_co_u32_e64 v5, s[2:3], 0, v5, s[2:3]
	flat_load_dwordx2 v[4:5], v[4:5] offset:2048
.LBB491_7:
	s_or_b64 exec, exec, s[4:5]
	v_or_b32_e32 v36, 0x200, v0
	v_cmp_gt_u32_e64 s[2:3], s33, v36
                                        ; implicit-def: $vgpr6_vgpr7
	s_and_saveexec_b64 s[8:9], s[2:3]
	s_cbranch_execz .LBB491_9
; %bb.8:
	v_lshlrev_b32_e32 v1, 3, v36
	v_mov_b32_e32 v7, s56
	v_add_co_u32_e64 v6, s[4:5], s7, v1
	v_addc_co_u32_e64 v7, s[4:5], 0, v7, s[4:5]
	flat_load_dwordx2 v[6:7], v[6:7]
.LBB491_9:
	s_or_b64 exec, exec, s[8:9]
	v_or_b32_e32 v38, 0x300, v0
	v_cmp_gt_u32_e64 s[4:5], s33, v38
                                        ; implicit-def: $vgpr8_vgpr9
	s_and_saveexec_b64 s[10:11], s[4:5]
	s_cbranch_execz .LBB491_11
; %bb.10:
	v_lshlrev_b32_e32 v1, 3, v38
	v_mov_b32_e32 v9, s56
	v_add_co_u32_e64 v8, s[8:9], s7, v1
	v_addc_co_u32_e64 v9, s[8:9], 0, v9, s[8:9]
	flat_load_dwordx2 v[8:9], v[8:9]
.LBB491_11:
	s_or_b64 exec, exec, s[10:11]
	v_or_b32_e32 v40, 0x400, v0
	v_cmp_gt_u32_e64 s[28:29], s33, v40
                                        ; implicit-def: $vgpr10_vgpr11
	s_and_saveexec_b64 s[10:11], s[28:29]
	s_cbranch_execz .LBB491_13
; %bb.12:
	v_lshlrev_b32_e32 v1, 3, v40
	v_mov_b32_e32 v11, s56
	v_add_co_u32_e64 v10, s[8:9], s7, v1
	v_addc_co_u32_e64 v11, s[8:9], 0, v11, s[8:9]
	flat_load_dwordx2 v[10:11], v[10:11]
.LBB491_13:
	s_or_b64 exec, exec, s[10:11]
	v_or_b32_e32 v42, 0x500, v0
	v_cmp_gt_u32_e64 s[8:9], s33, v42
                                        ; implicit-def: $vgpr12_vgpr13
	s_and_saveexec_b64 s[12:13], s[8:9]
	s_cbranch_execz .LBB491_15
; %bb.14:
	v_lshlrev_b32_e32 v1, 3, v42
	v_mov_b32_e32 v13, s56
	v_add_co_u32_e64 v12, s[10:11], s7, v1
	v_addc_co_u32_e64 v13, s[10:11], 0, v13, s[10:11]
	flat_load_dwordx2 v[12:13], v[12:13]
.LBB491_15:
	s_or_b64 exec, exec, s[12:13]
	v_or_b32_e32 v44, 0x600, v0
	v_cmp_gt_u32_e64 s[10:11], s33, v44
                                        ; implicit-def: $vgpr14_vgpr15
	s_and_saveexec_b64 s[14:15], s[10:11]
	s_cbranch_execz .LBB491_17
; %bb.16:
	v_lshlrev_b32_e32 v1, 3, v44
	v_mov_b32_e32 v15, s56
	v_add_co_u32_e64 v14, s[12:13], s7, v1
	v_addc_co_u32_e64 v15, s[12:13], 0, v15, s[12:13]
	flat_load_dwordx2 v[14:15], v[14:15]
.LBB491_17:
	s_or_b64 exec, exec, s[14:15]
	v_or_b32_e32 v46, 0x700, v0
	v_cmp_gt_u32_e64 s[12:13], s33, v46
                                        ; implicit-def: $vgpr16_vgpr17
	s_and_saveexec_b64 s[16:17], s[12:13]
	s_cbranch_execz .LBB491_19
; %bb.18:
	v_lshlrev_b32_e32 v1, 3, v46
	v_mov_b32_e32 v17, s56
	v_add_co_u32_e64 v16, s[14:15], s7, v1
	v_addc_co_u32_e64 v17, s[14:15], 0, v17, s[14:15]
	flat_load_dwordx2 v[16:17], v[16:17]
.LBB491_19:
	s_or_b64 exec, exec, s[16:17]
	v_or_b32_e32 v48, 0x800, v0
	v_cmp_gt_u32_e64 s[14:15], s33, v48
                                        ; implicit-def: $vgpr18_vgpr19
	s_and_saveexec_b64 s[18:19], s[14:15]
	s_cbranch_execz .LBB491_21
; %bb.20:
	v_lshlrev_b32_e32 v1, 3, v48
	v_mov_b32_e32 v19, s56
	v_add_co_u32_e64 v18, s[16:17], s7, v1
	v_addc_co_u32_e64 v19, s[16:17], 0, v19, s[16:17]
	flat_load_dwordx2 v[18:19], v[18:19]
.LBB491_21:
	s_or_b64 exec, exec, s[18:19]
	v_or_b32_e32 v50, 0x900, v0
	v_cmp_gt_u32_e64 s[16:17], s33, v50
                                        ; implicit-def: $vgpr20_vgpr21
	s_and_saveexec_b64 s[20:21], s[16:17]
	s_cbranch_execz .LBB491_23
; %bb.22:
	v_lshlrev_b32_e32 v1, 3, v50
	v_mov_b32_e32 v21, s56
	v_add_co_u32_e64 v20, s[18:19], s7, v1
	v_addc_co_u32_e64 v21, s[18:19], 0, v21, s[18:19]
	flat_load_dwordx2 v[20:21], v[20:21]
.LBB491_23:
	s_or_b64 exec, exec, s[20:21]
	v_or_b32_e32 v52, 0xa00, v0
	v_cmp_gt_u32_e64 s[18:19], s33, v52
                                        ; implicit-def: $vgpr22_vgpr23
	s_and_saveexec_b64 s[22:23], s[18:19]
	s_cbranch_execz .LBB491_25
; %bb.24:
	v_lshlrev_b32_e32 v1, 3, v52
	v_mov_b32_e32 v23, s56
	v_add_co_u32_e64 v22, s[20:21], s7, v1
	v_addc_co_u32_e64 v23, s[20:21], 0, v23, s[20:21]
	flat_load_dwordx2 v[22:23], v[22:23]
.LBB491_25:
	s_or_b64 exec, exec, s[22:23]
	v_or_b32_e32 v54, 0xb00, v0
	v_cmp_gt_u32_e64 s[20:21], s33, v54
                                        ; implicit-def: $vgpr24_vgpr25
	s_and_saveexec_b64 s[24:25], s[20:21]
	s_cbranch_execz .LBB491_27
; %bb.26:
	v_lshlrev_b32_e32 v1, 3, v54
	v_mov_b32_e32 v25, s56
	v_add_co_u32_e64 v24, s[22:23], s7, v1
	v_addc_co_u32_e64 v25, s[22:23], 0, v25, s[22:23]
	flat_load_dwordx2 v[24:25], v[24:25]
.LBB491_27:
	s_or_b64 exec, exec, s[24:25]
	v_or_b32_e32 v56, 0xc00, v0
	v_cmp_gt_u32_e64 s[22:23], s33, v56
                                        ; implicit-def: $vgpr26_vgpr27
	s_and_saveexec_b64 s[26:27], s[22:23]
	s_cbranch_execz .LBB491_29
; %bb.28:
	v_lshlrev_b32_e32 v1, 3, v56
	v_mov_b32_e32 v27, s56
	v_add_co_u32_e64 v26, s[24:25], s7, v1
	v_addc_co_u32_e64 v27, s[24:25], 0, v27, s[24:25]
	flat_load_dwordx2 v[26:27], v[26:27]
.LBB491_29:
	s_or_b64 exec, exec, s[26:27]
	v_or_b32_e32 v58, 0xd00, v0
	v_cmp_gt_u32_e64 s[24:25], s33, v58
                                        ; implicit-def: $vgpr28_vgpr29
	s_and_saveexec_b64 s[30:31], s[24:25]
	s_cbranch_execz .LBB491_31
; %bb.30:
	v_lshlrev_b32_e32 v1, 3, v58
	v_mov_b32_e32 v29, s56
	v_add_co_u32_e64 v28, s[26:27], s7, v1
	v_addc_co_u32_e64 v29, s[26:27], 0, v29, s[26:27]
	flat_load_dwordx2 v[28:29], v[28:29]
.LBB491_31:
	s_or_b64 exec, exec, s[30:31]
	v_or_b32_e32 v61, 0xe00, v0
	v_cmp_gt_u32_e64 s[26:27], s33, v61
                                        ; implicit-def: $vgpr30_vgpr31
	s_and_saveexec_b64 s[44:45], s[26:27]
	s_cbranch_execz .LBB491_33
; %bb.32:
	v_lshlrev_b32_e32 v1, 3, v61
	v_mov_b32_e32 v31, s56
	v_add_co_u32_e64 v30, s[30:31], s7, v1
	v_addc_co_u32_e64 v31, s[30:31], 0, v31, s[30:31]
	flat_load_dwordx2 v[30:31], v[30:31]
.LBB491_33:
	s_or_b64 exec, exec, s[44:45]
	v_lshlrev_b32_e32 v60, 3, v0
	s_movk_i32 s30, 0x70
	v_mad_u32_u24 v1, v0, s30, v60
	s_waitcnt vmcnt(0) lgkmcnt(0)
	ds_write2st64_b64 v60, v[2:3], v[4:5] offset1:4
	ds_write2st64_b64 v60, v[6:7], v[8:9] offset0:8 offset1:12
	ds_write2st64_b64 v60, v[10:11], v[12:13] offset0:16 offset1:20
	;; [unrolled: 1-line block ×6, first 2 shown]
	ds_write_b64 v60, v[30:31] offset:28672
	s_waitcnt lgkmcnt(0)
	s_barrier
	ds_read2_b64 v[26:29], v1 offset1:1
	ds_read2_b64 v[22:25], v1 offset0:2 offset1:3
	ds_read2_b64 v[18:21], v1 offset0:4 offset1:5
	;; [unrolled: 1-line block ×6, first 2 shown]
	ds_read_b64 v[74:75], v1 offset:112
	s_waitcnt lgkmcnt(0)
	s_barrier
	s_waitcnt lgkmcnt(0)
                                        ; implicit-def: $vgpr30_vgpr31
	s_and_saveexec_b64 s[30:31], vcc
	s_cbranch_execnz .LBB491_57
; %bb.34:
	s_or_b64 exec, exec, s[30:31]
                                        ; implicit-def: $vgpr32_vgpr33
	s_and_saveexec_b64 s[30:31], s[0:1]
	s_cbranch_execnz .LBB491_58
.LBB491_35:
	s_or_b64 exec, exec, s[30:31]
                                        ; implicit-def: $vgpr34_vgpr35
	s_and_saveexec_b64 s[0:1], s[2:3]
	s_cbranch_execnz .LBB491_59
.LBB491_36:
	s_or_b64 exec, exec, s[0:1]
                                        ; implicit-def: $vgpr36_vgpr37
	s_and_saveexec_b64 s[0:1], s[4:5]
	s_cbranch_execnz .LBB491_60
.LBB491_37:
	s_or_b64 exec, exec, s[0:1]
                                        ; implicit-def: $vgpr38_vgpr39
	s_and_saveexec_b64 s[0:1], s[28:29]
	s_cbranch_execnz .LBB491_61
.LBB491_38:
	s_or_b64 exec, exec, s[0:1]
                                        ; implicit-def: $vgpr40_vgpr41
	s_and_saveexec_b64 s[0:1], s[8:9]
	s_cbranch_execnz .LBB491_62
.LBB491_39:
	s_or_b64 exec, exec, s[0:1]
                                        ; implicit-def: $vgpr42_vgpr43
	s_and_saveexec_b64 s[0:1], s[10:11]
	s_cbranch_execnz .LBB491_63
.LBB491_40:
	s_or_b64 exec, exec, s[0:1]
                                        ; implicit-def: $vgpr44_vgpr45
	s_and_saveexec_b64 s[0:1], s[12:13]
	s_cbranch_execnz .LBB491_64
.LBB491_41:
	s_or_b64 exec, exec, s[0:1]
                                        ; implicit-def: $vgpr46_vgpr47
	s_and_saveexec_b64 s[0:1], s[14:15]
	s_cbranch_execnz .LBB491_65
.LBB491_42:
	s_or_b64 exec, exec, s[0:1]
                                        ; implicit-def: $vgpr48_vgpr49
	s_and_saveexec_b64 s[0:1], s[16:17]
	s_cbranch_execnz .LBB491_66
.LBB491_43:
	s_or_b64 exec, exec, s[0:1]
                                        ; implicit-def: $vgpr50_vgpr51
	s_and_saveexec_b64 s[0:1], s[18:19]
	s_cbranch_execnz .LBB491_67
.LBB491_44:
	s_or_b64 exec, exec, s[0:1]
                                        ; implicit-def: $vgpr52_vgpr53
	s_and_saveexec_b64 s[0:1], s[20:21]
	s_cbranch_execnz .LBB491_68
.LBB491_45:
	s_or_b64 exec, exec, s[0:1]
                                        ; implicit-def: $vgpr54_vgpr55
	s_and_saveexec_b64 s[0:1], s[22:23]
	s_cbranch_execnz .LBB491_69
.LBB491_46:
	s_or_b64 exec, exec, s[0:1]
                                        ; implicit-def: $vgpr56_vgpr57
	s_and_saveexec_b64 s[0:1], s[24:25]
	s_cbranch_execnz .LBB491_70
.LBB491_47:
	s_or_b64 exec, exec, s[0:1]
                                        ; implicit-def: $vgpr58_vgpr59
	s_and_saveexec_b64 s[0:1], s[26:27]
	s_cbranch_execz .LBB491_49
.LBB491_48:
	v_lshlrev_b32_e32 v58, 3, v61
	v_mov_b32_e32 v59, s64
	v_add_co_u32_e32 v58, vcc, s57, v58
	v_addc_co_u32_e32 v59, vcc, 0, v59, vcc
	flat_load_dwordx2 v[58:59], v[58:59]
.LBB491_49:
	s_or_b64 exec, exec, s[0:1]
	s_waitcnt vmcnt(0) lgkmcnt(0)
	ds_write2st64_b64 v60, v[30:31], v[32:33] offset1:4
	ds_write2st64_b64 v60, v[34:35], v[36:37] offset0:8 offset1:12
	ds_write2st64_b64 v60, v[38:39], v[40:41] offset0:16 offset1:20
	;; [unrolled: 1-line block ×6, first 2 shown]
	ds_write_b64 v60, v[58:59] offset:28672
	v_mov_b32_e32 v58, v26
	v_mov_b32_e32 v59, v27
	;; [unrolled: 1-line block ×14, first 2 shown]
	s_waitcnt lgkmcnt(0)
	s_barrier
.LBB491_50:
	s_waitcnt lgkmcnt(0)
	ds_read2_b64 v[54:57], v1 offset1:1
	ds_read2_b64 v[50:53], v1 offset0:2 offset1:3
	ds_read2_b64 v[46:49], v1 offset0:4 offset1:5
	;; [unrolled: 1-line block ×6, first 2 shown]
	ds_read_b64 v[72:73], v1 offset:112
	s_cmp_eq_u64 s[52:53], 0
	s_cselect_b64 s[44:45], -1, 0
	s_cmp_lg_u64 s[52:53], 0
	s_mov_b64 s[2:3], 0
	s_cselect_b64 s[30:31], -1, 0
	s_and_b64 vcc, exec, s[54:55]
	s_waitcnt lgkmcnt(0)
	s_barrier
	s_cbranch_vccz .LBB491_56
; %bb.51:
	s_and_b64 vcc, exec, s[30:31]
	s_cbranch_vccz .LBB491_71
; %bb.52:
	v_mov_b32_e32 v1, s56
	v_add_co_u32_e64 v76, vcc, -8, s7
	v_addc_co_u32_e32 v77, vcc, -1, v1, vcc
	flat_load_dwordx2 v[76:77], v[76:77]
	v_lshlrev_b32_e32 v1, 3, v0
	v_cmp_ne_u64_e32 vcc, v[4:5], v[74:75]
	v_cmp_ne_u64_e64 s[0:1], v[2:3], v[4:5]
	v_cmp_ne_u64_e64 s[2:3], v[8:9], v[2:3]
	;; [unrolled: 1-line block ×13, first 2 shown]
	v_cmp_ne_u32_e64 s[28:29], 0, v0
	ds_write_b64 v1, v[74:75]
	s_waitcnt lgkmcnt(0)
	s_barrier
	s_and_saveexec_b64 s[54:55], s[28:29]
	s_cbranch_execz .LBB491_54
; %bb.53:
	v_add_u32_e32 v1, -8, v1
	s_waitcnt vmcnt(0)
	ds_read_b64 v[76:77], v1
.LBB491_54:
	s_or_b64 exec, exec, s[54:55]
	v_cndmask_b32_e64 v1, 0, 1, vcc
	v_cndmask_b32_e64 v100, 0, 1, s[0:1]
	v_cndmask_b32_e64 v101, 0, 1, s[2:3]
	;; [unrolled: 1-line block ×13, first 2 shown]
	s_waitcnt vmcnt(0) lgkmcnt(0)
	v_cmp_ne_u64_e64 s[0:1], v[76:77], v[26:27]
	s_mov_b64 s[2:3], -1
.LBB491_55:
                                        ; implicit-def: $sgpr10
	s_branch .LBB491_83
.LBB491_56:
                                        ; implicit-def: $sgpr0_sgpr1
                                        ; implicit-def: $vgpr1
                                        ; implicit-def: $vgpr100
                                        ; implicit-def: $vgpr101
                                        ; implicit-def: $vgpr102
                                        ; implicit-def: $vgpr103
                                        ; implicit-def: $vgpr104
                                        ; implicit-def: $vgpr105
                                        ; implicit-def: $vgpr106
                                        ; implicit-def: $vgpr107
                                        ; implicit-def: $vgpr108
                                        ; implicit-def: $vgpr109
                                        ; implicit-def: $vgpr110
                                        ; implicit-def: $vgpr111
                                        ; implicit-def: $vgpr112
                                        ; implicit-def: $sgpr10
	s_cbranch_execnz .LBB491_75
	s_branch .LBB491_83
.LBB491_57:
	v_mov_b32_e32 v31, s64
	v_add_co_u32_e32 v30, vcc, s57, v60
	v_addc_co_u32_e32 v31, vcc, 0, v31, vcc
	flat_load_dwordx2 v[30:31], v[30:31]
	s_or_b64 exec, exec, s[30:31]
                                        ; implicit-def: $vgpr32_vgpr33
	s_and_saveexec_b64 s[30:31], s[0:1]
	s_cbranch_execz .LBB491_35
.LBB491_58:
	v_mov_b32_e32 v33, s64
	v_add_co_u32_e32 v32, vcc, s57, v60
	v_addc_co_u32_e32 v33, vcc, 0, v33, vcc
	flat_load_dwordx2 v[32:33], v[32:33] offset:2048
	s_or_b64 exec, exec, s[30:31]
                                        ; implicit-def: $vgpr34_vgpr35
	s_and_saveexec_b64 s[0:1], s[2:3]
	s_cbranch_execz .LBB491_36
.LBB491_59:
	v_lshlrev_b32_e32 v34, 3, v36
	v_mov_b32_e32 v35, s64
	v_add_co_u32_e32 v34, vcc, s57, v34
	v_addc_co_u32_e32 v35, vcc, 0, v35, vcc
	flat_load_dwordx2 v[34:35], v[34:35]
	s_or_b64 exec, exec, s[0:1]
                                        ; implicit-def: $vgpr36_vgpr37
	s_and_saveexec_b64 s[0:1], s[4:5]
	s_cbranch_execz .LBB491_37
.LBB491_60:
	v_lshlrev_b32_e32 v36, 3, v38
	v_mov_b32_e32 v37, s64
	v_add_co_u32_e32 v36, vcc, s57, v36
	v_addc_co_u32_e32 v37, vcc, 0, v37, vcc
	flat_load_dwordx2 v[36:37], v[36:37]
	s_or_b64 exec, exec, s[0:1]
                                        ; implicit-def: $vgpr38_vgpr39
	s_and_saveexec_b64 s[0:1], s[28:29]
	s_cbranch_execz .LBB491_38
.LBB491_61:
	v_lshlrev_b32_e32 v38, 3, v40
	v_mov_b32_e32 v39, s64
	v_add_co_u32_e32 v38, vcc, s57, v38
	v_addc_co_u32_e32 v39, vcc, 0, v39, vcc
	flat_load_dwordx2 v[38:39], v[38:39]
	s_or_b64 exec, exec, s[0:1]
                                        ; implicit-def: $vgpr40_vgpr41
	s_and_saveexec_b64 s[0:1], s[8:9]
	s_cbranch_execz .LBB491_39
.LBB491_62:
	v_lshlrev_b32_e32 v40, 3, v42
	v_mov_b32_e32 v41, s64
	v_add_co_u32_e32 v40, vcc, s57, v40
	v_addc_co_u32_e32 v41, vcc, 0, v41, vcc
	flat_load_dwordx2 v[40:41], v[40:41]
	s_or_b64 exec, exec, s[0:1]
                                        ; implicit-def: $vgpr42_vgpr43
	s_and_saveexec_b64 s[0:1], s[10:11]
	s_cbranch_execz .LBB491_40
.LBB491_63:
	v_lshlrev_b32_e32 v42, 3, v44
	v_mov_b32_e32 v43, s64
	v_add_co_u32_e32 v42, vcc, s57, v42
	v_addc_co_u32_e32 v43, vcc, 0, v43, vcc
	flat_load_dwordx2 v[42:43], v[42:43]
	s_or_b64 exec, exec, s[0:1]
                                        ; implicit-def: $vgpr44_vgpr45
	s_and_saveexec_b64 s[0:1], s[12:13]
	s_cbranch_execz .LBB491_41
.LBB491_64:
	v_lshlrev_b32_e32 v44, 3, v46
	v_mov_b32_e32 v45, s64
	v_add_co_u32_e32 v44, vcc, s57, v44
	v_addc_co_u32_e32 v45, vcc, 0, v45, vcc
	flat_load_dwordx2 v[44:45], v[44:45]
	s_or_b64 exec, exec, s[0:1]
                                        ; implicit-def: $vgpr46_vgpr47
	s_and_saveexec_b64 s[0:1], s[14:15]
	s_cbranch_execz .LBB491_42
.LBB491_65:
	v_lshlrev_b32_e32 v46, 3, v48
	v_mov_b32_e32 v47, s64
	v_add_co_u32_e32 v46, vcc, s57, v46
	v_addc_co_u32_e32 v47, vcc, 0, v47, vcc
	flat_load_dwordx2 v[46:47], v[46:47]
	s_or_b64 exec, exec, s[0:1]
                                        ; implicit-def: $vgpr48_vgpr49
	s_and_saveexec_b64 s[0:1], s[16:17]
	s_cbranch_execz .LBB491_43
.LBB491_66:
	v_lshlrev_b32_e32 v48, 3, v50
	v_mov_b32_e32 v49, s64
	v_add_co_u32_e32 v48, vcc, s57, v48
	v_addc_co_u32_e32 v49, vcc, 0, v49, vcc
	flat_load_dwordx2 v[48:49], v[48:49]
	s_or_b64 exec, exec, s[0:1]
                                        ; implicit-def: $vgpr50_vgpr51
	s_and_saveexec_b64 s[0:1], s[18:19]
	s_cbranch_execz .LBB491_44
.LBB491_67:
	v_lshlrev_b32_e32 v50, 3, v52
	v_mov_b32_e32 v51, s64
	v_add_co_u32_e32 v50, vcc, s57, v50
	v_addc_co_u32_e32 v51, vcc, 0, v51, vcc
	flat_load_dwordx2 v[50:51], v[50:51]
	s_or_b64 exec, exec, s[0:1]
                                        ; implicit-def: $vgpr52_vgpr53
	s_and_saveexec_b64 s[0:1], s[20:21]
	s_cbranch_execz .LBB491_45
.LBB491_68:
	v_lshlrev_b32_e32 v52, 3, v54
	v_mov_b32_e32 v53, s64
	v_add_co_u32_e32 v52, vcc, s57, v52
	v_addc_co_u32_e32 v53, vcc, 0, v53, vcc
	flat_load_dwordx2 v[52:53], v[52:53]
	s_or_b64 exec, exec, s[0:1]
                                        ; implicit-def: $vgpr54_vgpr55
	s_and_saveexec_b64 s[0:1], s[22:23]
	s_cbranch_execz .LBB491_46
.LBB491_69:
	v_lshlrev_b32_e32 v54, 3, v56
	v_mov_b32_e32 v55, s64
	v_add_co_u32_e32 v54, vcc, s57, v54
	v_addc_co_u32_e32 v55, vcc, 0, v55, vcc
	flat_load_dwordx2 v[54:55], v[54:55]
	s_or_b64 exec, exec, s[0:1]
                                        ; implicit-def: $vgpr56_vgpr57
	s_and_saveexec_b64 s[0:1], s[24:25]
	s_cbranch_execz .LBB491_47
.LBB491_70:
	v_lshlrev_b32_e32 v56, 3, v58
	v_mov_b32_e32 v57, s64
	v_add_co_u32_e32 v56, vcc, s57, v56
	v_addc_co_u32_e32 v57, vcc, 0, v57, vcc
	flat_load_dwordx2 v[56:57], v[56:57]
	s_or_b64 exec, exec, s[0:1]
                                        ; implicit-def: $vgpr58_vgpr59
	s_and_saveexec_b64 s[0:1], s[26:27]
	s_cbranch_execnz .LBB491_48
	s_branch .LBB491_49
.LBB491_71:
                                        ; implicit-def: $sgpr0_sgpr1
                                        ; implicit-def: $vgpr1
                                        ; implicit-def: $vgpr100
                                        ; implicit-def: $vgpr101
                                        ; implicit-def: $vgpr102
                                        ; implicit-def: $vgpr103
                                        ; implicit-def: $vgpr104
                                        ; implicit-def: $vgpr105
                                        ; implicit-def: $vgpr106
                                        ; implicit-def: $vgpr107
                                        ; implicit-def: $vgpr108
                                        ; implicit-def: $vgpr109
                                        ; implicit-def: $vgpr110
                                        ; implicit-def: $vgpr111
                                        ; implicit-def: $vgpr112
	s_cbranch_execz .LBB491_55
; %bb.72:
	v_cmp_ne_u64_e32 vcc, v[28:29], v[58:59]
	v_cndmask_b32_e64 v112, 0, 1, vcc
	v_cmp_ne_u64_e32 vcc, v[28:29], v[60:61]
	v_cndmask_b32_e64 v111, 0, 1, vcc
	;; [unrolled: 2-line block ×13, first 2 shown]
	v_cmp_ne_u64_e32 vcc, v[4:5], v[74:75]
	v_lshlrev_b32_e32 v76, 3, v0
	v_cndmask_b32_e64 v1, 0, 1, vcc
	v_cmp_ne_u32_e32 vcc, 0, v0
	ds_write_b64 v76, v[74:75]
	s_waitcnt lgkmcnt(0)
	s_barrier
	s_waitcnt lgkmcnt(0)
                                        ; implicit-def: $sgpr0_sgpr1
	s_and_saveexec_b64 s[4:5], vcc
	s_xor_b64 s[4:5], exec, s[4:5]
	s_cbranch_execz .LBB491_74
; %bb.73:
	v_add_u32_e32 v58, -8, v76
	ds_read_b64 v[58:59], v58
	s_or_b64 s[2:3], s[2:3], exec
	s_waitcnt lgkmcnt(0)
	v_cmp_ne_u64_e32 vcc, v[58:59], v[26:27]
	s_and_b64 s[0:1], vcc, exec
.LBB491_74:
	s_or_b64 exec, exec, s[4:5]
	s_mov_b32 s10, 1
	s_branch .LBB491_83
.LBB491_75:
	s_mul_hi_u32 s1, s52, 0xfffff100
	s_mul_i32 s0, s53, 0xfffff100
	s_sub_i32 s1, s1, s52
	s_add_i32 s1, s1, s0
	s_mul_i32 s0, s52, 0xfffff100
	s_add_u32 s4, s0, s48
	s_addc_u32 s5, s1, s49
	s_and_b64 vcc, exec, s[30:31]
	s_cbranch_vccz .LBB491_80
; %bb.76:
	v_mov_b32_e32 v1, s56
	v_add_co_u32_e64 v58, vcc, -8, s7
	v_addc_co_u32_e32 v59, vcc, -1, v1, vcc
	flat_load_dwordx2 v[58:59], v[58:59]
	v_mad_u32_u24 v62, v0, 15, 14
	v_mov_b32_e32 v63, 0
	v_cmp_gt_u64_e32 vcc, s[4:5], v[62:63]
	v_cmp_ne_u64_e64 s[0:1], v[4:5], v[74:75]
	v_mad_u32_u24 v62, v0, 15, 13
	s_and_b64 s[2:3], vcc, s[0:1]
	v_cmp_gt_u64_e32 vcc, s[4:5], v[62:63]
	v_cmp_ne_u64_e64 s[0:1], v[2:3], v[4:5]
	v_mad_u32_u24 v62, v0, 15, 12
	s_and_b64 s[8:9], vcc, s[0:1]
	;; [unrolled: 4-line block ×13, first 2 shown]
	v_cmp_gt_u64_e32 vcc, s[4:5], v[62:63]
	v_cmp_ne_u64_e64 s[0:1], v[26:27], v[28:29]
	v_lshlrev_b32_e32 v1, 3, v0
	v_mul_u32_u24_e32 v60, 15, v0
	s_and_b64 s[0:1], vcc, s[0:1]
	v_cmp_ne_u32_e32 vcc, 0, v0
	ds_write_b64 v1, v[74:75]
	s_waitcnt lgkmcnt(0)
	s_barrier
	s_and_saveexec_b64 s[48:49], vcc
	s_cbranch_execz .LBB491_78
; %bb.77:
	v_add_u32_e32 v1, -8, v1
	s_waitcnt vmcnt(0)
	ds_read_b64 v[58:59], v1
.LBB491_78:
	s_or_b64 exec, exec, s[48:49]
	v_mov_b32_e32 v61, v63
	v_cndmask_b32_e64 v112, 0, 1, s[0:1]
	v_cmp_gt_u64_e32 vcc, s[4:5], v[60:61]
	s_waitcnt vmcnt(0) lgkmcnt(0)
	v_cmp_ne_u64_e64 s[0:1], v[58:59], v[26:27]
	v_cndmask_b32_e64 v1, 0, 1, s[2:3]
	v_cndmask_b32_e64 v100, 0, 1, s[8:9]
	;; [unrolled: 1-line block ×13, first 2 shown]
	s_and_b64 s[0:1], vcc, s[0:1]
	s_mov_b64 s[2:3], -1
.LBB491_79:
                                        ; implicit-def: $sgpr10
	v_mov_b32_e32 v113, s10
	s_and_saveexec_b64 s[4:5], s[2:3]
	s_cbranch_execnz .LBB491_84
	s_branch .LBB491_85
.LBB491_80:
                                        ; implicit-def: $sgpr0_sgpr1
                                        ; implicit-def: $vgpr1
                                        ; implicit-def: $vgpr100
                                        ; implicit-def: $vgpr101
                                        ; implicit-def: $vgpr102
                                        ; implicit-def: $vgpr103
                                        ; implicit-def: $vgpr104
                                        ; implicit-def: $vgpr105
                                        ; implicit-def: $vgpr106
                                        ; implicit-def: $vgpr107
                                        ; implicit-def: $vgpr108
                                        ; implicit-def: $vgpr109
                                        ; implicit-def: $vgpr110
                                        ; implicit-def: $vgpr111
                                        ; implicit-def: $vgpr112
	s_cbranch_execz .LBB491_79
; %bb.81:
	v_mad_u32_u24 v58, v0, 15, 14
	v_mov_b32_e32 v59, 0
	v_cmp_gt_u64_e32 vcc, s[4:5], v[58:59]
	v_cmp_ne_u64_e64 s[0:1], v[4:5], v[74:75]
	s_and_b64 s[0:1], vcc, s[0:1]
	v_mad_u32_u24 v58, v0, 15, 13
	v_cndmask_b32_e64 v1, 0, 1, s[0:1]
	v_cmp_gt_u64_e32 vcc, s[4:5], v[58:59]
	v_cmp_ne_u64_e64 s[0:1], v[2:3], v[4:5]
	s_and_b64 s[0:1], vcc, s[0:1]
	v_mad_u32_u24 v58, v0, 15, 12
	v_cndmask_b32_e64 v100, 0, 1, s[0:1]
	;; [unrolled: 5-line block ×13, first 2 shown]
	v_cmp_gt_u64_e32 vcc, s[4:5], v[58:59]
	v_cmp_ne_u64_e64 s[0:1], v[26:27], v[28:29]
	s_and_b64 s[0:1], vcc, s[0:1]
	v_lshlrev_b32_e32 v60, 3, v0
	s_mov_b32 s10, 1
	v_cndmask_b32_e64 v112, 0, 1, s[0:1]
	v_cmp_ne_u32_e32 vcc, 0, v0
	ds_write_b64 v60, v[74:75]
	s_waitcnt lgkmcnt(0)
	s_barrier
	s_waitcnt lgkmcnt(0)
                                        ; implicit-def: $sgpr0_sgpr1
	s_and_saveexec_b64 s[8:9], vcc
	s_cbranch_execz .LBB491_224
; %bb.82:
	v_add_u32_e32 v58, -8, v60
	ds_read_b64 v[60:61], v58
	v_mul_u32_u24_e32 v58, 15, v0
	v_cmp_gt_u64_e32 vcc, s[4:5], v[58:59]
	s_or_b64 s[2:3], s[2:3], exec
	s_waitcnt lgkmcnt(0)
	v_cmp_ne_u64_e64 s[0:1], v[60:61], v[26:27]
	s_and_b64 s[0:1], vcc, s[0:1]
	s_and_b64 s[0:1], s[0:1], exec
	s_or_b64 exec, exec, s[8:9]
.LBB491_83:
	v_mov_b32_e32 v113, s10
	s_and_saveexec_b64 s[4:5], s[2:3]
.LBB491_84:
	v_cndmask_b32_e64 v113, 0, 1, s[0:1]
.LBB491_85:
	s_or_b64 exec, exec, s[4:5]
	s_cmp_eq_u64 s[42:43], 0
	v_add3_u32 v58, v112, v113, v111
	v_mov_b32_e32 v64, v54
	v_mov_b32_e32 v65, v55
	s_cselect_b64 s[30:31], -1, 0
	s_cmp_lg_u32 s6, 0
	v_cmp_eq_u32_e64 s[24:25], 0, v112
	v_cmp_eq_u32_e64 s[22:23], 0, v111
	;; [unrolled: 1-line block ×3, first 2 shown]
	v_add3_u32 v115, v58, v110, v109
	v_cmp_eq_u32_e64 s[18:19], 0, v109
	v_cmp_eq_u32_e64 s[16:17], 0, v108
	;; [unrolled: 1-line block ×10, first 2 shown]
	v_cmp_eq_u32_e32 vcc, 0, v1
	v_mbcnt_lo_u32_b32 v114, -1, 0
	s_cbranch_scc0 .LBB491_156
; %bb.86:
	v_cndmask_b32_e64 v59, 0, v54, s[24:25]
	v_cndmask_b32_e64 v58, 0, v55, s[24:25]
	v_add_co_u32_e64 v59, s[26:27], v59, v56
	v_addc_co_u32_e64 v58, s[26:27], v58, v57, s[26:27]
	v_cndmask_b32_e64 v59, 0, v59, s[22:23]
	v_cndmask_b32_e64 v58, 0, v58, s[22:23]
	v_add_co_u32_e64 v59, s[26:27], v59, v50
	v_addc_co_u32_e64 v58, s[26:27], v58, v51, s[26:27]
	;; [unrolled: 4-line block ×11, first 2 shown]
	v_cndmask_b32_e64 v59, 0, v59, s[2:3]
	v_add3_u32 v60, v115, v108, v107
	v_cndmask_b32_e64 v58, 0, v58, s[2:3]
	v_add_co_u32_e64 v59, s[26:27], v59, v30
	v_add3_u32 v60, v60, v106, v105
	v_addc_co_u32_e64 v58, s[26:27], v58, v31, s[26:27]
	v_cndmask_b32_e64 v59, 0, v59, s[0:1]
	v_add3_u32 v60, v60, v104, v103
	v_cndmask_b32_e64 v58, 0, v58, s[0:1]
	v_add_co_u32_e64 v59, s[26:27], v59, v32
	v_add3_u32 v60, v60, v102, v101
	v_addc_co_u32_e64 v58, s[26:27], v58, v33, s[26:27]
	v_cndmask_b32_e32 v59, 0, v59, vcc
	v_add3_u32 v62, v60, v100, v1
	v_cndmask_b32_e32 v58, 0, v58, vcc
	v_add_co_u32_e32 v60, vcc, v59, v72
	v_mbcnt_hi_u32_b32 v63, -1, v114
	v_addc_co_u32_e32 v61, vcc, v58, v73, vcc
	v_and_b32_e32 v58, 15, v63
	v_mov_b32_dpp v66, v62 row_shr:1 row_mask:0xf bank_mask:0xf
	v_mov_b32_dpp v59, v60 row_shr:1 row_mask:0xf bank_mask:0xf
	;; [unrolled: 1-line block ×3, first 2 shown]
	v_cmp_ne_u32_e32 vcc, 0, v58
	s_and_saveexec_b64 s[26:27], vcc
; %bb.87:
	v_cmp_eq_u32_e32 vcc, 0, v62
	v_cndmask_b32_e32 v59, 0, v59, vcc
	v_add_u32_e32 v66, v66, v62
	v_cndmask_b32_e32 v62, 0, v67, vcc
	v_add_co_u32_e32 v60, vcc, v59, v60
	v_addc_co_u32_e32 v61, vcc, v62, v61, vcc
	v_mov_b32_e32 v62, v66
; %bb.88:
	s_or_b64 exec, exec, s[26:27]
	s_nop 0
	v_mov_b32_dpp v66, v62 row_shr:2 row_mask:0xf bank_mask:0xf
	v_mov_b32_dpp v59, v60 row_shr:2 row_mask:0xf bank_mask:0xf
	v_mov_b32_dpp v67, v61 row_shr:2 row_mask:0xf bank_mask:0xf
	v_cmp_lt_u32_e32 vcc, 1, v58
	s_and_saveexec_b64 s[26:27], vcc
; %bb.89:
	v_cmp_eq_u32_e32 vcc, 0, v62
	v_cndmask_b32_e32 v59, 0, v59, vcc
	v_add_u32_e32 v66, v66, v62
	v_cndmask_b32_e32 v62, 0, v67, vcc
	v_add_co_u32_e32 v60, vcc, v59, v60
	v_addc_co_u32_e32 v61, vcc, v62, v61, vcc
	v_mov_b32_e32 v62, v66
; %bb.90:
	s_or_b64 exec, exec, s[26:27]
	s_nop 0
	v_mov_b32_dpp v66, v62 row_shr:4 row_mask:0xf bank_mask:0xf
	v_mov_b32_dpp v59, v60 row_shr:4 row_mask:0xf bank_mask:0xf
	v_mov_b32_dpp v67, v61 row_shr:4 row_mask:0xf bank_mask:0xf
	v_cmp_lt_u32_e32 vcc, 3, v58
	;; [unrolled: 16-line block ×3, first 2 shown]
	s_and_saveexec_b64 s[26:27], vcc
; %bb.93:
	v_cmp_eq_u32_e32 vcc, 0, v62
	v_cndmask_b32_e32 v59, 0, v59, vcc
	v_add_u32_e32 v58, v66, v62
	v_cndmask_b32_e32 v62, 0, v67, vcc
	v_add_co_u32_e32 v60, vcc, v59, v60
	v_addc_co_u32_e32 v61, vcc, v62, v61, vcc
	v_mov_b32_e32 v62, v58
; %bb.94:
	s_or_b64 exec, exec, s[26:27]
	v_and_b32_e32 v67, 16, v63
	v_mov_b32_dpp v59, v62 row_bcast:15 row_mask:0xf bank_mask:0xf
	v_mov_b32_dpp v58, v60 row_bcast:15 row_mask:0xf bank_mask:0xf
	;; [unrolled: 1-line block ×3, first 2 shown]
	v_cmp_ne_u32_e32 vcc, 0, v67
	s_and_saveexec_b64 s[26:27], vcc
; %bb.95:
	v_cmp_eq_u32_e32 vcc, 0, v62
	v_cndmask_b32_e32 v58, 0, v58, vcc
	v_add_u32_e32 v59, v59, v62
	v_cndmask_b32_e32 v62, 0, v66, vcc
	v_add_co_u32_e32 v60, vcc, v58, v60
	v_addc_co_u32_e32 v61, vcc, v62, v61, vcc
	v_mov_b32_e32 v62, v59
; %bb.96:
	s_or_b64 exec, exec, s[26:27]
	s_nop 0
	v_mov_b32_dpp v59, v62 row_bcast:31 row_mask:0xf bank_mask:0xf
	v_mov_b32_dpp v58, v60 row_bcast:31 row_mask:0xf bank_mask:0xf
	;; [unrolled: 1-line block ×3, first 2 shown]
	v_cmp_lt_u32_e32 vcc, 31, v63
	s_and_saveexec_b64 s[26:27], vcc
; %bb.97:
	v_cmp_eq_u32_e32 vcc, 0, v62
	v_cndmask_b32_e32 v58, 0, v58, vcc
	v_add_u32_e32 v59, v59, v62
	v_cndmask_b32_e32 v62, 0, v66, vcc
	v_add_co_u32_e32 v60, vcc, v58, v60
	v_addc_co_u32_e32 v61, vcc, v62, v61, vcc
	v_mov_b32_e32 v62, v59
; %bb.98:
	s_or_b64 exec, exec, s[26:27]
	v_lshrrev_b32_e32 v58, 6, v0
	v_or_b32_e32 v59, 63, v0
	v_cmp_eq_u32_e32 vcc, v59, v0
	v_lshlrev_b32_e32 v66, 4, v58
	s_and_saveexec_b64 s[26:27], vcc
	s_cbranch_execz .LBB491_100
; %bb.99:
	ds_write_b32 v66, v62 offset:4128
	ds_write_b64 v66, v[60:61] offset:4136
.LBB491_100:
	s_or_b64 exec, exec, s[26:27]
	v_cmp_gt_u32_e32 vcc, 4, v0
	s_waitcnt lgkmcnt(0)
	s_barrier
	s_and_saveexec_b64 s[26:27], vcc
	s_cbranch_execz .LBB491_106
; %bb.101:
	v_lshlrev_b32_e32 v67, 4, v0
	ds_read_b32 v68, v67 offset:4128
	ds_read_b64 v[58:59], v67 offset:4136
	v_and_b32_e32 v69, 3, v63
	v_cmp_ne_u32_e32 vcc, 0, v69
	s_waitcnt lgkmcnt(1)
	v_mov_b32_dpp v71, v68 row_shr:1 row_mask:0xf bank_mask:0xf
	s_waitcnt lgkmcnt(0)
	v_mov_b32_dpp v70, v58 row_shr:1 row_mask:0xf bank_mask:0xf
	v_mov_b32_dpp v76, v59 row_shr:1 row_mask:0xf bank_mask:0xf
	s_and_saveexec_b64 s[42:43], vcc
; %bb.102:
	v_cmp_eq_u32_e32 vcc, 0, v68
	v_cndmask_b32_e32 v70, 0, v70, vcc
	v_add_u32_e32 v71, v71, v68
	v_cndmask_b32_e32 v68, 0, v76, vcc
	v_add_co_u32_e32 v58, vcc, v70, v58
	v_addc_co_u32_e32 v59, vcc, v68, v59, vcc
	v_mov_b32_e32 v68, v71
; %bb.103:
	s_or_b64 exec, exec, s[42:43]
	s_nop 0
	v_mov_b32_dpp v71, v68 row_shr:2 row_mask:0xf bank_mask:0xf
	v_mov_b32_dpp v70, v58 row_shr:2 row_mask:0xf bank_mask:0xf
	v_mov_b32_dpp v76, v59 row_shr:2 row_mask:0xf bank_mask:0xf
	v_cmp_lt_u32_e32 vcc, 1, v69
	s_and_saveexec_b64 s[42:43], vcc
; %bb.104:
	v_cmp_eq_u32_e32 vcc, 0, v68
	v_cndmask_b32_e32 v70, 0, v70, vcc
	v_add_u32_e32 v69, v71, v68
	v_cndmask_b32_e32 v68, 0, v76, vcc
	v_add_co_u32_e32 v58, vcc, v70, v58
	v_addc_co_u32_e32 v59, vcc, v68, v59, vcc
	v_mov_b32_e32 v68, v69
; %bb.105:
	s_or_b64 exec, exec, s[42:43]
	ds_write_b32 v67, v68 offset:4128
	ds_write_b64 v67, v[58:59] offset:4136
.LBB491_106:
	s_or_b64 exec, exec, s[26:27]
	v_cmp_gt_u32_e32 vcc, 64, v0
	v_cmp_lt_u32_e64 s[26:27], 63, v0
	v_pk_mov_b32 v[58:59], 0, 0
	v_mov_b32_e32 v76, 0
	s_waitcnt lgkmcnt(0)
	s_barrier
	s_and_saveexec_b64 s[42:43], s[26:27]
	s_cbranch_execz .LBB491_108
; %bb.107:
	ds_read_b32 v76, v66 offset:4112
	ds_read_b64 v[58:59], v66 offset:4120
	v_cmp_eq_u32_e64 s[26:27], 0, v62
	s_waitcnt lgkmcnt(1)
	v_add_u32_e32 v66, v76, v62
	s_waitcnt lgkmcnt(0)
	v_cndmask_b32_e64 v67, 0, v58, s[26:27]
	v_cndmask_b32_e64 v62, 0, v59, s[26:27]
	v_add_co_u32_e64 v60, s[26:27], v67, v60
	v_addc_co_u32_e64 v61, s[26:27], v62, v61, s[26:27]
	v_mov_b32_e32 v62, v66
.LBB491_108:
	s_or_b64 exec, exec, s[42:43]
	v_add_u32_e32 v66, -1, v63
	v_and_b32_e32 v67, 64, v63
	v_cmp_lt_i32_e64 s[26:27], v66, v67
	v_cndmask_b32_e64 v66, v66, v63, s[26:27]
	v_lshlrev_b32_e32 v66, 2, v66
	ds_bpermute_b32 v77, v66, v62
	ds_bpermute_b32 v78, v66, v60
	ds_bpermute_b32 v79, v66, v61
	v_cmp_eq_u32_e64 s[26:27], 0, v63
	s_and_saveexec_b64 s[42:43], vcc
	s_cbranch_execz .LBB491_155
; %bb.109:
	v_mov_b32_e32 v67, 0
	ds_read_b32 v80, v67 offset:4176
	ds_read_b64 v[60:61], v67 offset:4184
	s_and_saveexec_b64 s[48:49], s[26:27]
	s_cbranch_execz .LBB491_111
; %bb.110:
	s_add_i32 s52, s6, 64
	s_mov_b32 s53, 0
	s_lshl_b64 s[54:55], s[52:53], 4
	s_add_u32 s54, s36, s54
	s_addc_u32 s55, s37, s55
	v_mov_b32_e32 v62, s52
	v_mov_b32_e32 v66, 1
	s_waitcnt lgkmcnt(1)
	global_store_dword v67, v80, s[54:55]
	s_waitcnt lgkmcnt(0)
	global_store_dwordx2 v67, v[60:61], s[54:55] offset:8
	s_waitcnt vmcnt(0)
	buffer_wbinvl1_vol
	global_store_byte v62, v66, s[40:41]
.LBB491_111:
	s_or_b64 exec, exec, s[48:49]
	v_xad_u32 v62, v63, -1, s6
	v_add_u32_e32 v66, 64, v62
	global_load_ubyte v81, v66, s[40:41] glc
	s_waitcnt vmcnt(0)
	v_cmp_eq_u16_e32 vcc, 0, v81
	s_and_saveexec_b64 s[48:49], vcc
	s_cbranch_execz .LBB491_117
; %bb.112:
	v_mov_b32_e32 v69, s41
	v_add_co_u32_e32 v68, vcc, s40, v66
	v_addc_co_u32_e32 v69, vcc, 0, v69, vcc
	s_mov_b32 s7, 1
	s_mov_b64 s[52:53], 0
.LBB491_113:                            ; =>This Loop Header: Depth=1
                                        ;     Child Loop BB491_114 Depth 2
	s_max_u32 s54, s7, 1
.LBB491_114:                            ;   Parent Loop BB491_113 Depth=1
                                        ; =>  This Inner Loop Header: Depth=2
	s_add_i32 s54, s54, -1
	s_cmp_eq_u32 s54, 0
	s_sleep 1
	s_cbranch_scc0 .LBB491_114
; %bb.115:                              ;   in Loop: Header=BB491_113 Depth=1
	global_load_ubyte v81, v[68:69], off glc
	s_cmp_lt_u32 s7, 32
	s_cselect_b64 s[54:55], -1, 0
	s_cmp_lg_u64 s[54:55], 0
	s_addc_u32 s7, s7, 0
	s_waitcnt vmcnt(0)
	v_cmp_ne_u16_e32 vcc, 0, v81
	s_or_b64 s[52:53], vcc, s[52:53]
	s_andn2_b64 exec, exec, s[52:53]
	s_cbranch_execnz .LBB491_113
; %bb.116:
	s_or_b64 exec, exec, s[52:53]
.LBB491_117:
	s_or_b64 exec, exec, s[48:49]
	v_mov_b32_e32 v68, s39
	v_mov_b32_e32 v69, s37
	v_cmp_eq_u16_e32 vcc, 1, v81
	v_cndmask_b32_e32 v68, v68, v69, vcc
	v_mov_b32_e32 v69, s38
	v_mov_b32_e32 v70, s36
	v_cndmask_b32_e32 v69, v69, v70, vcc
	v_lshlrev_b64 v[66:67], 4, v[66:67]
	v_add_co_u32_e32 v66, vcc, v69, v66
	v_addc_co_u32_e32 v67, vcc, v68, v67, vcc
	s_waitcnt lgkmcnt(0)
	buffer_wbinvl1_vol
	global_load_dword v96, v[66:67], off
	global_load_dwordx2 v[70:71], v[66:67], off offset:8
	v_cmp_eq_u16_e32 vcc, 2, v81
	v_lshlrev_b64 v[66:67], v63, -1
	v_and_b32_e32 v82, 63, v63
	v_and_b32_e32 v68, vcc_hi, v67
	v_and_b32_e32 v86, vcc_lo, v66
	v_cmp_ne_u32_e32 vcc, 63, v82
	v_addc_co_u32_e32 v69, vcc, 0, v63, vcc
	v_lshlrev_b32_e32 v83, 2, v69
	v_or_b32_e32 v68, 0x80000000, v68
	v_ffbl_b32_e32 v68, v68
	v_add_u32_e32 v68, 32, v68
	v_ffbl_b32_e32 v86, v86
	v_min_u32_e32 v68, v86, v68
	v_cmp_lt_u32_e32 vcc, v82, v68
	s_waitcnt vmcnt(1)
	ds_bpermute_b32 v84, v83, v96
	s_waitcnt vmcnt(0)
	ds_bpermute_b32 v69, v83, v70
	ds_bpermute_b32 v85, v83, v71
	s_and_saveexec_b64 s[48:49], vcc
	s_cbranch_execz .LBB491_119
; %bb.118:
	v_cmp_eq_u32_e32 vcc, 0, v96
	s_waitcnt lgkmcnt(1)
	v_cndmask_b32_e32 v69, 0, v69, vcc
	v_add_u32_e32 v84, v84, v96
	s_waitcnt lgkmcnt(0)
	v_cndmask_b32_e32 v85, 0, v85, vcc
	v_add_co_u32_e32 v70, vcc, v69, v70
	v_addc_co_u32_e32 v71, vcc, v85, v71, vcc
	v_mov_b32_e32 v96, v84
.LBB491_119:
	s_or_b64 exec, exec, s[48:49]
	v_cmp_gt_u32_e32 vcc, 62, v82
	s_waitcnt lgkmcnt(1)
	v_cndmask_b32_e64 v69, 0, 1, vcc
	v_lshlrev_b32_e32 v69, 1, v69
	v_add_lshl_u32 v84, v69, v63, 2
	ds_bpermute_b32 v86, v84, v96
	ds_bpermute_b32 v69, v84, v70
	ds_bpermute_b32 v87, v84, v71
	s_waitcnt lgkmcnt(3)
	v_add_u32_e32 v85, 2, v82
	v_cmp_le_u32_e32 vcc, v85, v68
	s_and_saveexec_b64 s[48:49], vcc
	s_cbranch_execz .LBB491_121
; %bb.120:
	v_cmp_eq_u32_e32 vcc, 0, v96
	s_waitcnt lgkmcnt(1)
	v_cndmask_b32_e32 v69, 0, v69, vcc
	v_add_u32_e32 v86, v86, v96
	s_waitcnt lgkmcnt(0)
	v_cndmask_b32_e32 v87, 0, v87, vcc
	v_add_co_u32_e32 v70, vcc, v69, v70
	v_addc_co_u32_e32 v71, vcc, v87, v71, vcc
	v_mov_b32_e32 v96, v86
.LBB491_121:
	s_or_b64 exec, exec, s[48:49]
	v_cmp_gt_u32_e32 vcc, 60, v82
	s_waitcnt lgkmcnt(1)
	v_cndmask_b32_e64 v69, 0, 1, vcc
	v_lshlrev_b32_e32 v69, 2, v69
	v_add_lshl_u32 v86, v69, v63, 2
	ds_bpermute_b32 v88, v86, v96
	ds_bpermute_b32 v69, v86, v70
	ds_bpermute_b32 v89, v86, v71
	s_waitcnt lgkmcnt(3)
	v_add_u32_e32 v87, 4, v82
	v_cmp_le_u32_e32 vcc, v87, v68
	;; [unrolled: 25-line block ×4, first 2 shown]
	s_and_saveexec_b64 s[48:49], vcc
	s_cbranch_execz .LBB491_127
; %bb.126:
	v_cmp_eq_u32_e32 vcc, 0, v96
	s_waitcnt lgkmcnt(1)
	v_cndmask_b32_e32 v69, 0, v69, vcc
	v_add_u32_e32 v92, v92, v96
	s_waitcnt lgkmcnt(0)
	v_cndmask_b32_e32 v93, 0, v93, vcc
	v_add_co_u32_e32 v70, vcc, v69, v70
	v_addc_co_u32_e32 v71, vcc, v93, v71, vcc
	v_mov_b32_e32 v96, v92
.LBB491_127:
	s_or_b64 exec, exec, s[48:49]
	v_cmp_gt_u32_e32 vcc, 32, v82
	s_waitcnt lgkmcnt(1)
	v_cndmask_b32_e64 v69, 0, 1, vcc
	v_lshlrev_b32_e32 v69, 5, v69
	v_add_lshl_u32 v92, v69, v63, 2
	ds_bpermute_b32 v69, v92, v96
	ds_bpermute_b32 v63, v92, v70
	s_waitcnt lgkmcnt(2)
	ds_bpermute_b32 v93, v92, v71
	v_add_u32_e32 v94, 32, v82
	v_cmp_le_u32_e32 vcc, v94, v68
	s_and_saveexec_b64 s[48:49], vcc
	s_cbranch_execz .LBB491_129
; %bb.128:
	v_cmp_eq_u32_e32 vcc, 0, v96
	s_waitcnt lgkmcnt(1)
	v_cndmask_b32_e32 v63, 0, v63, vcc
	v_add_u32_e32 v68, v69, v96
	s_waitcnt lgkmcnt(0)
	v_cndmask_b32_e32 v69, 0, v93, vcc
	v_add_co_u32_e32 v70, vcc, v63, v70
	v_addc_co_u32_e32 v71, vcc, v69, v71, vcc
	v_mov_b32_e32 v96, v68
.LBB491_129:
	s_or_b64 exec, exec, s[48:49]
	s_waitcnt lgkmcnt(1)
	v_mov_b32_e32 v63, 0
	v_mov_b32_e32 v95, 2
	s_branch .LBB491_131
.LBB491_130:                            ;   in Loop: Header=BB491_131 Depth=1
	s_or_b64 exec, exec, s[48:49]
	v_cmp_eq_u32_e32 vcc, 0, v93
	v_cndmask_b32_e32 v70, 0, v70, vcc
	v_cndmask_b32_e32 v71, 0, v71, vcc
	v_add_co_u32_e32 v70, vcc, v70, v68
	v_subrev_u32_e32 v62, 64, v62
	v_add_u32_e32 v96, v97, v93
	v_addc_co_u32_e32 v71, vcc, v71, v69, vcc
.LBB491_131:                            ; =>This Loop Header: Depth=1
                                        ;     Child Loop BB491_134 Depth 2
                                        ;       Child Loop BB491_135 Depth 3
	v_cmp_ne_u16_sdwa s[48:49], v81, v95 src0_sel:BYTE_0 src1_sel:DWORD
	v_pk_mov_b32 v[68:69], v[70:71], v[70:71] op_sel:[0,1]
	v_cndmask_b32_e64 v70, 0, 1, s[48:49]
	;;#ASMSTART
	;;#ASMEND
	v_cmp_ne_u32_e32 vcc, 0, v70
	s_cmp_lg_u64 vcc, exec
	s_waitcnt lgkmcnt(0)
	v_mov_b32_e32 v93, v96
	s_cbranch_scc1 .LBB491_150
; %bb.132:                              ;   in Loop: Header=BB491_131 Depth=1
	global_load_ubyte v81, v62, s[40:41] glc
	s_waitcnt vmcnt(0)
	v_cmp_eq_u16_e32 vcc, 0, v81
	s_and_saveexec_b64 s[48:49], vcc
	s_cbranch_execz .LBB491_138
; %bb.133:                              ;   in Loop: Header=BB491_131 Depth=1
	v_mov_b32_e32 v71, s41
	v_add_co_u32_e32 v70, vcc, s40, v62
	v_addc_co_u32_e32 v71, vcc, 0, v71, vcc
	s_mov_b32 s7, 1
	s_mov_b64 s[52:53], 0
.LBB491_134:                            ;   Parent Loop BB491_131 Depth=1
                                        ; =>  This Loop Header: Depth=2
                                        ;       Child Loop BB491_135 Depth 3
	s_max_u32 s54, s7, 1
.LBB491_135:                            ;   Parent Loop BB491_131 Depth=1
                                        ;     Parent Loop BB491_134 Depth=2
                                        ; =>    This Inner Loop Header: Depth=3
	s_add_i32 s54, s54, -1
	s_cmp_eq_u32 s54, 0
	s_sleep 1
	s_cbranch_scc0 .LBB491_135
; %bb.136:                              ;   in Loop: Header=BB491_134 Depth=2
	global_load_ubyte v81, v[70:71], off glc
	s_cmp_lt_u32 s7, 32
	s_cselect_b64 s[54:55], -1, 0
	s_cmp_lg_u64 s[54:55], 0
	s_addc_u32 s7, s7, 0
	s_waitcnt vmcnt(0)
	v_cmp_ne_u16_e32 vcc, 0, v81
	s_or_b64 s[52:53], vcc, s[52:53]
	s_andn2_b64 exec, exec, s[52:53]
	s_cbranch_execnz .LBB491_134
; %bb.137:                              ;   in Loop: Header=BB491_131 Depth=1
	s_or_b64 exec, exec, s[52:53]
.LBB491_138:                            ;   in Loop: Header=BB491_131 Depth=1
	s_or_b64 exec, exec, s[48:49]
	v_mov_b32_e32 v70, s39
	v_mov_b32_e32 v71, s37
	v_cmp_eq_u16_e32 vcc, 1, v81
	v_cndmask_b32_e32 v96, v70, v71, vcc
	v_mov_b32_e32 v70, s38
	v_mov_b32_e32 v71, s36
	v_cndmask_b32_e32 v97, v70, v71, vcc
	v_lshlrev_b64 v[70:71], 4, v[62:63]
	v_add_co_u32_e32 v70, vcc, v97, v70
	v_addc_co_u32_e32 v71, vcc, v96, v71, vcc
	buffer_wbinvl1_vol
	global_load_dword v97, v[70:71], off
	s_nop 0
	global_load_dwordx2 v[70:71], v[70:71], off offset:8
	v_cmp_eq_u16_e32 vcc, 2, v81
	v_and_b32_e32 v96, vcc_hi, v67
	v_or_b32_e32 v96, 0x80000000, v96
	v_and_b32_e32 v117, vcc_lo, v66
	v_ffbl_b32_e32 v96, v96
	v_add_u32_e32 v96, 32, v96
	v_ffbl_b32_e32 v117, v117
	v_min_u32_e32 v96, v117, v96
	v_cmp_lt_u32_e32 vcc, v82, v96
	s_waitcnt vmcnt(1)
	ds_bpermute_b32 v99, v83, v97
	s_waitcnt vmcnt(0)
	ds_bpermute_b32 v98, v83, v70
	ds_bpermute_b32 v116, v83, v71
	s_and_saveexec_b64 s[48:49], vcc
	s_cbranch_execz .LBB491_140
; %bb.139:                              ;   in Loop: Header=BB491_131 Depth=1
	v_cmp_eq_u32_e32 vcc, 0, v97
	s_waitcnt lgkmcnt(1)
	v_cndmask_b32_e32 v98, 0, v98, vcc
	v_add_u32_e32 v99, v99, v97
	s_waitcnt lgkmcnt(0)
	v_cndmask_b32_e32 v97, 0, v116, vcc
	v_add_co_u32_e32 v70, vcc, v98, v70
	v_addc_co_u32_e32 v71, vcc, v97, v71, vcc
	v_mov_b32_e32 v97, v99
.LBB491_140:                            ;   in Loop: Header=BB491_131 Depth=1
	s_or_b64 exec, exec, s[48:49]
	s_waitcnt lgkmcnt(2)
	ds_bpermute_b32 v99, v84, v97
	s_waitcnt lgkmcnt(2)
	ds_bpermute_b32 v98, v84, v70
	s_waitcnt lgkmcnt(2)
	ds_bpermute_b32 v116, v84, v71
	v_cmp_le_u32_e32 vcc, v85, v96
	s_and_saveexec_b64 s[48:49], vcc
	s_cbranch_execz .LBB491_142
; %bb.141:                              ;   in Loop: Header=BB491_131 Depth=1
	v_cmp_eq_u32_e32 vcc, 0, v97
	s_waitcnt lgkmcnt(1)
	v_cndmask_b32_e32 v98, 0, v98, vcc
	v_add_u32_e32 v99, v99, v97
	s_waitcnt lgkmcnt(0)
	v_cndmask_b32_e32 v97, 0, v116, vcc
	v_add_co_u32_e32 v70, vcc, v98, v70
	v_addc_co_u32_e32 v71, vcc, v97, v71, vcc
	v_mov_b32_e32 v97, v99
.LBB491_142:                            ;   in Loop: Header=BB491_131 Depth=1
	s_or_b64 exec, exec, s[48:49]
	s_waitcnt lgkmcnt(2)
	ds_bpermute_b32 v99, v86, v97
	s_waitcnt lgkmcnt(2)
	ds_bpermute_b32 v98, v86, v70
	s_waitcnt lgkmcnt(2)
	ds_bpermute_b32 v116, v86, v71
	v_cmp_le_u32_e32 vcc, v87, v96
	;; [unrolled: 21-line block ×5, first 2 shown]
	s_and_saveexec_b64 s[48:49], vcc
	s_cbranch_execz .LBB491_130
; %bb.149:                              ;   in Loop: Header=BB491_131 Depth=1
	v_cmp_eq_u32_e32 vcc, 0, v97
	s_waitcnt lgkmcnt(1)
	v_cndmask_b32_e32 v98, 0, v98, vcc
	v_add_u32_e32 v96, v99, v97
	s_waitcnt lgkmcnt(0)
	v_cndmask_b32_e32 v97, 0, v116, vcc
	v_add_co_u32_e32 v70, vcc, v98, v70
	v_addc_co_u32_e32 v71, vcc, v97, v71, vcc
	v_mov_b32_e32 v97, v96
	s_branch .LBB491_130
.LBB491_150:                            ;   in Loop: Header=BB491_131 Depth=1
                                        ; implicit-def: $vgpr70_vgpr71
                                        ; implicit-def: $vgpr96
                                        ; implicit-def: $vgpr81
	s_cbranch_execz .LBB491_131
; %bb.151:
	s_and_saveexec_b64 s[36:37], s[26:27]
	s_cbranch_execz .LBB491_153
; %bb.152:
	s_mov_b32 s7, 0
	v_cmp_eq_u32_e32 vcc, 0, v80
	s_add_i32 s6, s6, 64
	v_cndmask_b32_e32 v62, 0, v68, vcc
	s_lshl_b64 s[48:49], s[6:7], 4
	v_cndmask_b32_e32 v63, 0, v69, vcc
	v_add_co_u32_e32 v62, vcc, v62, v60
	s_add_u32 s48, s38, s48
	v_add_u32_e32 v66, v93, v80
	v_addc_co_u32_e32 v63, vcc, v63, v61, vcc
	s_addc_u32 s49, s39, s49
	v_mov_b32_e32 v67, 0
	global_store_dword v67, v66, s[48:49]
	global_store_dwordx2 v67, v[62:63], s[48:49] offset:8
	v_mov_b32_e32 v62, s6
	v_mov_b32_e32 v63, 2
	s_waitcnt vmcnt(0) lgkmcnt(0)
	buffer_wbinvl1_vol
	global_store_byte v62, v63, s[40:41]
	ds_write_b32 v67, v80 offset:4096
	ds_write_b64 v67, v[60:61] offset:4104
	ds_write_b32 v67, v93 offset:4112
	ds_write_b64 v67, v[68:69] offset:4120
.LBB491_153:
	s_or_b64 exec, exec, s[36:37]
	v_cmp_eq_u32_e32 vcc, 0, v0
	s_and_b64 exec, exec, vcc
	s_cbranch_execz .LBB491_155
; %bb.154:
	v_mov_b32_e32 v60, 0
	ds_write_b32 v60, v93 offset:4176
	ds_write_b64 v60, v[68:69] offset:4184
.LBB491_155:
	s_or_b64 exec, exec, s[42:43]
	v_mov_b32_e32 v63, 0
	s_waitcnt lgkmcnt(0)
	s_barrier
	ds_read_b32 v62, v63 offset:4176
	ds_read_b64 v[60:61], v63 offset:4184
	v_cndmask_b32_e64 v66, v77, v76, s[26:27]
	v_cmp_eq_u32_e32 vcc, 0, v66
	v_cndmask_b32_e64 v58, v78, v58, s[26:27]
	v_cndmask_b32_e64 v59, v79, v59, s[26:27]
	s_waitcnt lgkmcnt(0)
	v_cndmask_b32_e32 v68, 0, v60, vcc
	v_cndmask_b32_e32 v67, 0, v61, vcc
	v_add_co_u32_e32 v58, vcc, v68, v58
	v_addc_co_u32_e32 v67, vcc, v67, v59, vcc
	v_cmp_eq_u32_e32 vcc, 0, v0
	v_cndmask_b32_e64 v59, v66, 0, vcc
	v_cndmask_b32_e32 v95, v67, v61, vcc
	v_cndmask_b32_e32 v94, v58, v60, vcc
	v_cmp_eq_u32_e32 vcc, 0, v113
	v_cndmask_b32_e32 v60, 0, v94, vcc
	v_cndmask_b32_e32 v58, 0, v95, vcc
	v_add_co_u32_e32 v66, vcc, v60, v54
	v_addc_co_u32_e32 v67, vcc, v58, v55, vcc
	v_cndmask_b32_e64 v60, 0, v66, s[24:25]
	v_cndmask_b32_e64 v58, 0, v67, s[24:25]
	v_add_co_u32_e32 v68, vcc, v60, v56
	v_addc_co_u32_e32 v69, vcc, v58, v57, vcc
	v_cndmask_b32_e64 v60, 0, v68, s[22:23]
	v_cndmask_b32_e64 v58, 0, v69, s[22:23]
	;; [unrolled: 4-line block ×11, first 2 shown]
	v_add_co_u32_e32 v92, vcc, v60, v36
	v_add_u32_e32 v59, v62, v59
	v_addc_co_u32_e32 v93, vcc, v58, v37, vcc
	s_barrier
	ds_read_b32 v58, v63 offset:4096
	ds_read_b64 v[60:61], v63 offset:4104
	ds_read_b32 v62, v63 offset:4112
	ds_read_b64 v[116:117], v63 offset:4120
	v_cndmask_b32_e64 v96, 0, v92, s[2:3]
	v_cndmask_b32_e64 v97, 0, v93, s[2:3]
	v_add_co_u32_e32 v96, vcc, v96, v30
	v_addc_co_u32_e32 v97, vcc, v97, v31, vcc
	s_waitcnt lgkmcnt(3)
	v_cmp_eq_u32_e32 vcc, 0, v58
	s_waitcnt lgkmcnt(0)
	v_cndmask_b32_e32 v116, 0, v116, vcc
	v_cndmask_b32_e32 v63, 0, v117, vcc
	v_add_co_u32_e32 v60, vcc, v116, v60
	v_cndmask_b32_e64 v99, 0, v97, s[0:1]
	v_cndmask_b32_e64 v98, 0, v96, s[0:1]
	v_addc_co_u32_e32 v61, vcc, v63, v61, vcc
	s_branch .LBB491_184
.LBB491_156:
                                        ; implicit-def: $vgpr58
                                        ; implicit-def: $vgpr60_vgpr61
                                        ; implicit-def: $vgpr62
                                        ; implicit-def: $vgpr94_vgpr95
                                        ; implicit-def: $vgpr66_vgpr67
                                        ; implicit-def: $vgpr68_vgpr69
                                        ; implicit-def: $vgpr70_vgpr71
                                        ; implicit-def: $vgpr76_vgpr77
                                        ; implicit-def: $vgpr78_vgpr79
                                        ; implicit-def: $vgpr80_vgpr81
                                        ; implicit-def: $vgpr82_vgpr83
                                        ; implicit-def: $vgpr84_vgpr85
                                        ; implicit-def: $vgpr86_vgpr87
                                        ; implicit-def: $vgpr88_vgpr89
                                        ; implicit-def: $vgpr90_vgpr91
                                        ; implicit-def: $vgpr92_vgpr93
                                        ; implicit-def: $vgpr96_vgpr97
                                        ; implicit-def: $vgpr98_vgpr99
                                        ; implicit-def: $vgpr59
	s_cbranch_execz .LBB491_184
; %bb.157:
	s_and_b64 s[0:1], s[30:31], exec
	s_cselect_b32 s1, 0, s47
	s_cselect_b32 s0, 0, s46
	s_cmp_eq_u64 s[0:1], 0
	s_cbranch_scc1 .LBB491_159
; %bb.158:
	v_mov_b32_e32 v58, 0
	global_load_dwordx2 v[64:65], v58, s[0:1]
.LBB491_159:
	v_cmp_eq_u32_e64 s[22:23], 0, v112
	v_cndmask_b32_e64 v59, 0, v54, s[22:23]
	v_cndmask_b32_e64 v58, 0, v55, s[22:23]
	v_add_co_u32_e32 v59, vcc, v59, v56
	v_cmp_eq_u32_e64 s[20:21], 0, v111
	v_addc_co_u32_e32 v58, vcc, v58, v57, vcc
	v_cndmask_b32_e64 v59, 0, v59, s[20:21]
	v_cndmask_b32_e64 v58, 0, v58, s[20:21]
	v_add_co_u32_e32 v59, vcc, v59, v50
	v_cmp_eq_u32_e64 s[18:19], 0, v110
	v_addc_co_u32_e32 v58, vcc, v58, v51, vcc
	v_cndmask_b32_e64 v59, 0, v59, s[18:19]
	v_cndmask_b32_e64 v58, 0, v58, s[18:19]
	v_add_co_u32_e32 v59, vcc, v59, v52
	v_cmp_eq_u32_e64 s[16:17], 0, v109
	v_addc_co_u32_e32 v58, vcc, v58, v53, vcc
	v_cndmask_b32_e64 v59, 0, v59, s[16:17]
	v_cndmask_b32_e64 v58, 0, v58, s[16:17]
	v_add_co_u32_e32 v59, vcc, v59, v46
	v_cmp_eq_u32_e64 s[12:13], 0, v108
	v_addc_co_u32_e32 v58, vcc, v58, v47, vcc
	v_cndmask_b32_e64 v59, 0, v59, s[12:13]
	v_cndmask_b32_e64 v58, 0, v58, s[12:13]
	v_add_co_u32_e32 v59, vcc, v59, v48
	v_cmp_eq_u32_e64 s[14:15], 0, v107
	v_addc_co_u32_e32 v58, vcc, v58, v49, vcc
	v_cndmask_b32_e64 v59, 0, v59, s[14:15]
	v_cndmask_b32_e64 v58, 0, v58, s[14:15]
	v_add_co_u32_e32 v59, vcc, v59, v42
	v_cmp_eq_u32_e64 s[8:9], 0, v106
	v_addc_co_u32_e32 v58, vcc, v58, v43, vcc
	v_cndmask_b32_e64 v59, 0, v59, s[8:9]
	v_cndmask_b32_e64 v58, 0, v58, s[8:9]
	v_add_co_u32_e32 v59, vcc, v59, v44
	v_cmp_eq_u32_e64 s[10:11], 0, v105
	v_addc_co_u32_e32 v58, vcc, v58, v45, vcc
	v_cndmask_b32_e64 v59, 0, v59, s[10:11]
	v_cndmask_b32_e64 v58, 0, v58, s[10:11]
	v_add_co_u32_e32 v59, vcc, v59, v38
	v_cmp_eq_u32_e64 s[4:5], 0, v104
	v_addc_co_u32_e32 v58, vcc, v58, v39, vcc
	v_cndmask_b32_e64 v59, 0, v59, s[4:5]
	v_cndmask_b32_e64 v58, 0, v58, s[4:5]
	v_add_co_u32_e32 v59, vcc, v59, v40
	v_cmp_eq_u32_e64 s[6:7], 0, v103
	v_addc_co_u32_e32 v58, vcc, v58, v41, vcc
	v_cndmask_b32_e64 v59, 0, v59, s[6:7]
	v_cndmask_b32_e64 v58, 0, v58, s[6:7]
	v_add_co_u32_e32 v59, vcc, v59, v34
	v_cmp_eq_u32_e64 s[0:1], 0, v102
	v_addc_co_u32_e32 v58, vcc, v58, v35, vcc
	v_cndmask_b32_e64 v59, 0, v59, s[0:1]
	v_cndmask_b32_e64 v58, 0, v58, s[0:1]
	v_add_co_u32_e32 v59, vcc, v59, v36
	v_cmp_eq_u32_e64 s[2:3], 0, v101
	v_addc_co_u32_e32 v58, vcc, v58, v37, vcc
	v_cndmask_b32_e64 v59, 0, v59, s[2:3]
	v_cndmask_b32_e64 v58, 0, v58, s[2:3]
	v_add_co_u32_e32 v59, vcc, v59, v30
	v_addc_co_u32_e32 v58, vcc, v58, v31, vcc
	v_cmp_eq_u32_e32 vcc, 0, v100
	v_add3_u32 v60, v115, v108, v107
	v_cndmask_b32_e32 v59, 0, v59, vcc
	v_add3_u32 v60, v60, v106, v105
	v_cndmask_b32_e32 v58, 0, v58, vcc
	v_add_co_u32_e64 v59, s[24:25], v59, v32
	v_add3_u32 v60, v60, v104, v103
	v_addc_co_u32_e64 v58, s[24:25], v58, v33, s[24:25]
	v_add3_u32 v60, v60, v102, v101
	v_cmp_eq_u32_e64 s[24:25], 0, v1
	v_add3_u32 v63, v60, v100, v1
	v_cndmask_b32_e64 v60, 0, v58, s[24:25]
	v_cndmask_b32_e64 v58, 0, v59, s[24:25]
	v_add_co_u32_e64 v58, s[24:25], v58, v72
	v_mbcnt_hi_u32_b32 v62, -1, v114
	v_addc_co_u32_e64 v59, s[24:25], v60, v73, s[24:25]
	v_and_b32_e32 v60, 15, v62
	v_mov_b32_dpp v66, v63 row_shr:1 row_mask:0xf bank_mask:0xf
	v_mov_b32_dpp v61, v58 row_shr:1 row_mask:0xf bank_mask:0xf
	v_mov_b32_dpp v67, v59 row_shr:1 row_mask:0xf bank_mask:0xf
	v_cmp_ne_u32_e64 s[24:25], 0, v60
	s_and_saveexec_b64 s[26:27], s[24:25]
; %bb.160:
	v_cmp_eq_u32_e64 s[24:25], 0, v63
	v_cndmask_b32_e64 v61, 0, v61, s[24:25]
	v_add_u32_e32 v66, v66, v63
	v_cndmask_b32_e64 v63, 0, v67, s[24:25]
	v_add_co_u32_e64 v58, s[24:25], v61, v58
	v_addc_co_u32_e64 v59, s[24:25], v63, v59, s[24:25]
	v_mov_b32_e32 v63, v66
; %bb.161:
	s_or_b64 exec, exec, s[26:27]
	s_nop 0
	v_mov_b32_dpp v66, v63 row_shr:2 row_mask:0xf bank_mask:0xf
	v_mov_b32_dpp v61, v58 row_shr:2 row_mask:0xf bank_mask:0xf
	v_mov_b32_dpp v67, v59 row_shr:2 row_mask:0xf bank_mask:0xf
	v_cmp_lt_u32_e64 s[24:25], 1, v60
	s_and_saveexec_b64 s[26:27], s[24:25]
; %bb.162:
	v_cmp_eq_u32_e64 s[24:25], 0, v63
	v_cndmask_b32_e64 v61, 0, v61, s[24:25]
	v_add_u32_e32 v66, v66, v63
	v_cndmask_b32_e64 v63, 0, v67, s[24:25]
	v_add_co_u32_e64 v58, s[24:25], v61, v58
	v_addc_co_u32_e64 v59, s[24:25], v63, v59, s[24:25]
	v_mov_b32_e32 v63, v66
; %bb.163:
	s_or_b64 exec, exec, s[26:27]
	s_nop 0
	v_mov_b32_dpp v66, v63 row_shr:4 row_mask:0xf bank_mask:0xf
	v_mov_b32_dpp v61, v58 row_shr:4 row_mask:0xf bank_mask:0xf
	v_mov_b32_dpp v67, v59 row_shr:4 row_mask:0xf bank_mask:0xf
	v_cmp_lt_u32_e64 s[24:25], 3, v60
	;; [unrolled: 16-line block ×3, first 2 shown]
	s_and_saveexec_b64 s[26:27], s[24:25]
; %bb.166:
	v_cmp_eq_u32_e64 s[24:25], 0, v63
	v_cndmask_b32_e64 v61, 0, v61, s[24:25]
	v_add_u32_e32 v60, v66, v63
	v_cndmask_b32_e64 v63, 0, v67, s[24:25]
	v_add_co_u32_e64 v58, s[24:25], v61, v58
	v_addc_co_u32_e64 v59, s[24:25], v63, v59, s[24:25]
	v_mov_b32_e32 v63, v60
; %bb.167:
	s_or_b64 exec, exec, s[26:27]
	v_and_b32_e32 v67, 16, v62
	v_mov_b32_dpp v61, v63 row_bcast:15 row_mask:0xf bank_mask:0xf
	v_mov_b32_dpp v60, v58 row_bcast:15 row_mask:0xf bank_mask:0xf
	;; [unrolled: 1-line block ×3, first 2 shown]
	v_cmp_ne_u32_e64 s[24:25], 0, v67
	s_and_saveexec_b64 s[26:27], s[24:25]
; %bb.168:
	v_cmp_eq_u32_e64 s[24:25], 0, v63
	v_cndmask_b32_e64 v60, 0, v60, s[24:25]
	v_add_u32_e32 v61, v61, v63
	v_cndmask_b32_e64 v63, 0, v66, s[24:25]
	v_add_co_u32_e64 v58, s[24:25], v60, v58
	v_addc_co_u32_e64 v59, s[24:25], v63, v59, s[24:25]
	v_mov_b32_e32 v63, v61
; %bb.169:
	s_or_b64 exec, exec, s[26:27]
	s_nop 0
	v_mov_b32_dpp v61, v63 row_bcast:31 row_mask:0xf bank_mask:0xf
	v_mov_b32_dpp v60, v58 row_bcast:31 row_mask:0xf bank_mask:0xf
	v_mov_b32_dpp v66, v59 row_bcast:31 row_mask:0xf bank_mask:0xf
	v_cmp_lt_u32_e64 s[24:25], 31, v62
	s_and_saveexec_b64 s[26:27], s[24:25]
; %bb.170:
	v_cmp_eq_u32_e64 s[24:25], 0, v63
	v_cndmask_b32_e64 v60, 0, v60, s[24:25]
	v_add_u32_e32 v61, v61, v63
	v_cndmask_b32_e64 v63, 0, v66, s[24:25]
	v_add_co_u32_e64 v58, s[24:25], v60, v58
	v_addc_co_u32_e64 v59, s[24:25], v63, v59, s[24:25]
	v_mov_b32_e32 v63, v61
; %bb.171:
	s_or_b64 exec, exec, s[26:27]
	v_or_b32_e32 v60, 63, v0
	v_lshrrev_b32_e32 v66, 6, v0
	v_cmp_eq_u32_e64 s[24:25], v60, v0
	s_and_saveexec_b64 s[26:27], s[24:25]
	s_cbranch_execz .LBB491_173
; %bb.172:
	v_lshlrev_b32_e32 v60, 4, v66
	ds_write_b32 v60, v63 offset:4128
	ds_write_b64 v60, v[58:59] offset:4136
.LBB491_173:
	s_or_b64 exec, exec, s[26:27]
	v_cmp_gt_u32_e64 s[24:25], 4, v0
	s_waitcnt lgkmcnt(0)
	s_barrier
	s_and_saveexec_b64 s[26:27], s[24:25]
	s_cbranch_execz .LBB491_179
; %bb.174:
	v_lshlrev_b32_e32 v67, 4, v0
	ds_read_b32 v68, v67 offset:4128
	ds_read_b64 v[60:61], v67 offset:4136
	v_and_b32_e32 v69, 3, v62
	v_cmp_ne_u32_e64 s[24:25], 0, v69
	s_waitcnt lgkmcnt(1)
	v_mov_b32_dpp v71, v68 row_shr:1 row_mask:0xf bank_mask:0xf
	s_waitcnt lgkmcnt(0)
	v_mov_b32_dpp v70, v60 row_shr:1 row_mask:0xf bank_mask:0xf
	v_mov_b32_dpp v72, v61 row_shr:1 row_mask:0xf bank_mask:0xf
	s_and_saveexec_b64 s[28:29], s[24:25]
; %bb.175:
	v_cmp_eq_u32_e64 s[24:25], 0, v68
	v_cndmask_b32_e64 v70, 0, v70, s[24:25]
	v_add_u32_e32 v71, v71, v68
	v_cndmask_b32_e64 v68, 0, v72, s[24:25]
	v_add_co_u32_e64 v60, s[24:25], v70, v60
	v_addc_co_u32_e64 v61, s[24:25], v68, v61, s[24:25]
	v_mov_b32_e32 v68, v71
; %bb.176:
	s_or_b64 exec, exec, s[28:29]
	s_nop 0
	v_mov_b32_dpp v71, v68 row_shr:2 row_mask:0xf bank_mask:0xf
	v_mov_b32_dpp v70, v60 row_shr:2 row_mask:0xf bank_mask:0xf
	;; [unrolled: 1-line block ×3, first 2 shown]
	v_cmp_lt_u32_e64 s[24:25], 1, v69
	s_and_saveexec_b64 s[28:29], s[24:25]
; %bb.177:
	v_cmp_eq_u32_e64 s[24:25], 0, v68
	v_cndmask_b32_e64 v70, 0, v70, s[24:25]
	v_add_u32_e32 v69, v71, v68
	v_cndmask_b32_e64 v68, 0, v72, s[24:25]
	v_add_co_u32_e64 v60, s[24:25], v70, v60
	v_addc_co_u32_e64 v61, s[24:25], v68, v61, s[24:25]
	v_mov_b32_e32 v68, v69
; %bb.178:
	s_or_b64 exec, exec, s[28:29]
	ds_write_b32 v67, v68 offset:4128
	ds_write_b64 v67, v[60:61] offset:4136
.LBB491_179:
	s_or_b64 exec, exec, s[26:27]
	v_cmp_lt_u32_e64 s[24:25], 63, v0
	v_mov_b32_e32 v72, 0
	v_mov_b32_e32 v67, 0
	s_waitcnt vmcnt(0)
	v_pk_mov_b32 v[60:61], v[64:65], v[64:65] op_sel:[0,1]
	s_waitcnt lgkmcnt(0)
	s_barrier
	s_and_saveexec_b64 s[26:27], s[24:25]
	s_cbranch_execz .LBB491_181
; %bb.180:
	v_lshlrev_b32_e32 v60, 4, v66
	ds_read_b32 v67, v60 offset:4112
	ds_read_b64 v[60:61], v60 offset:4120
	s_waitcnt lgkmcnt(1)
	v_cmp_eq_u32_e64 s[24:25], 0, v67
	v_cndmask_b32_e64 v68, 0, v64, s[24:25]
	v_cndmask_b32_e64 v66, 0, v65, s[24:25]
	s_waitcnt lgkmcnt(0)
	v_add_co_u32_e64 v60, s[24:25], v68, v60
	v_addc_co_u32_e64 v61, s[24:25], v66, v61, s[24:25]
.LBB491_181:
	s_or_b64 exec, exec, s[26:27]
	v_cmp_eq_u32_e64 s[24:25], 0, v63
	v_cndmask_b32_e64 v68, 0, v60, s[24:25]
	v_add_u32_e32 v66, v67, v63
	v_cndmask_b32_e64 v63, 0, v61, s[24:25]
	v_add_co_u32_e64 v58, s[24:25], v68, v58
	v_addc_co_u32_e64 v59, s[24:25], v63, v59, s[24:25]
	v_add_u32_e32 v63, -1, v62
	v_and_b32_e32 v68, 64, v62
	v_cmp_lt_i32_e64 s[24:25], v63, v68
	v_cndmask_b32_e64 v63, v63, v62, s[24:25]
	v_lshlrev_b32_e32 v63, 2, v63
	ds_bpermute_b32 v66, v63, v66
	ds_bpermute_b32 v68, v63, v59
	;; [unrolled: 1-line block ×3, first 2 shown]
	v_cmp_eq_u32_e64 s[24:25], 0, v62
	v_cmp_eq_u32_e64 s[26:27], 0, v113
	s_waitcnt lgkmcnt(2)
	v_cndmask_b32_e64 v59, v66, v67, s[24:25]
	s_waitcnt lgkmcnt(1)
	v_cndmask_b32_e64 v95, v68, v61, s[24:25]
	;; [unrolled: 2-line block ×3, first 2 shown]
	v_cmp_eq_u32_e64 s[24:25], 0, v0
	v_cndmask_b32_e64 v58, v94, v64, s[24:25]
	v_cndmask_b32_e64 v60, v95, v65, s[24:25]
	;; [unrolled: 1-line block ×4, first 2 shown]
	v_add_co_u32_e64 v66, s[26:27], v58, v54
	v_addc_co_u32_e64 v67, s[26:27], v60, v55, s[26:27]
	v_cndmask_b32_e64 v55, 0, v66, s[22:23]
	v_cndmask_b32_e64 v54, 0, v67, s[22:23]
	v_add_co_u32_e64 v68, s[22:23], v55, v56
	v_addc_co_u32_e64 v69, s[22:23], v54, v57, s[22:23]
	v_cndmask_b32_e64 v55, 0, v68, s[20:21]
	v_cndmask_b32_e64 v54, 0, v69, s[20:21]
	;; [unrolled: 4-line block ×11, first 2 shown]
	v_add_co_u32_e64 v92, s[0:1], v35, v36
	v_addc_co_u32_e64 v93, s[0:1], v34, v37, s[0:1]
	v_cndmask_b32_e64 v35, 0, v92, s[2:3]
	ds_read_b32 v58, v72 offset:4176
	v_cndmask_b32_e64 v34, 0, v93, s[2:3]
	v_add_co_u32_e64 v96, s[0:1], v35, v30
	v_addc_co_u32_e64 v97, s[0:1], v34, v31, s[0:1]
	ds_read_b64 v[30:31], v72 offset:4184
	v_cndmask_b32_e32 v99, 0, v97, vcc
	v_cndmask_b32_e32 v98, 0, v96, vcc
	s_waitcnt lgkmcnt(1)
	v_cmp_eq_u32_e32 vcc, 0, v58
	v_cndmask_b32_e32 v35, 0, v64, vcc
	v_cndmask_b32_e32 v34, 0, v65, vcc
	s_waitcnt lgkmcnt(0)
	v_add_co_u32_e32 v60, vcc, v35, v30
	v_addc_co_u32_e32 v61, vcc, v34, v31, vcc
	s_and_saveexec_b64 s[0:1], s[24:25]
	s_cbranch_execz .LBB491_183
; %bb.182:
	v_mov_b32_e32 v59, 0
	v_mov_b32_e32 v30, 2
	v_pk_mov_b32 v[94:95], v[64:65], v[64:65] op_sel:[0,1]
	global_store_dword v59, v58, s[38:39] offset:1024
	global_store_dwordx2 v59, v[60:61], s[38:39] offset:1032
	s_waitcnt vmcnt(0)
	buffer_wbinvl1_vol
	global_store_byte v59, v30, s[40:41] offset:64
.LBB491_183:
	s_or_b64 exec, exec, s[0:1]
	v_mov_b32_e32 v62, 0
.LBB491_184:
	s_and_b64 s[0:1], s[30:31], exec
	s_cselect_b32 s1, 0, s51
	s_cselect_b32 s0, 0, s50
	s_cmp_eq_u64 s[0:1], 0
	v_pk_mov_b32 v[30:31], 0, 0
	s_barrier
	s_cbranch_scc1 .LBB491_186
; %bb.185:
	v_mov_b32_e32 v30, 0
	global_load_dwordx2 v[30:31], v30, s[0:1]
.LBB491_186:
	s_waitcnt vmcnt(0)
	v_lshlrev_b64 v[34:35], 3, v[30:31]
	v_mov_b32_e32 v36, s59
	v_add_co_u32_e32 v52, vcc, s58, v34
	v_mov_b32_e32 v63, 0
	v_addc_co_u32_e32 v53, vcc, v36, v35, vcc
	v_lshlrev_b64 v[36:37], 3, v[62:63]
	v_add_co_u32_e32 v52, vcc, v52, v36
	v_addc_co_u32_e32 v53, vcc, v53, v37, vcc
	v_cmp_eq_u32_e32 vcc, 0, v113
	v_cndmask_b32_e64 v54, 1, 2, vcc
	v_cmp_eq_u32_e32 vcc, 0, v112
	v_cndmask_b32_e64 v55, 1, 2, vcc
	v_cmp_eq_u32_e32 vcc, 0, v111
	v_and_b32_e32 v54, v55, v54
	v_cndmask_b32_e64 v55, 1, 2, vcc
	v_cmp_eq_u32_e32 vcc, 0, v110
	v_add_u32_e32 v51, v59, v113
	v_and_b32_e32 v54, v54, v55
	v_cndmask_b32_e64 v55, 1, 2, vcc
	v_cmp_eq_u32_e32 vcc, 0, v109
	v_add_u32_e32 v50, v51, v112
	;; [unrolled: 4-line block ×12, first 2 shown]
	v_and_b32_e32 v54, v54, v55
	v_cndmask_b32_e64 v55, 1, 2, vcc
	s_movk_i32 s30, 0x100
	v_add_u32_e32 v39, v40, v101
	v_and_b32_e32 v54, v54, v55
	v_cmp_gt_u32_e32 vcc, s30, v58
	v_add_u32_e32 v38, v39, v100
	v_cmp_ne_u32_e64 s[28:29], 0, v113
	v_cmp_ne_u32_e64 s[26:27], 0, v112
	;; [unrolled: 1-line block ×15, first 2 shown]
	s_mov_b64 s[36:37], -1
	v_cmp_gt_i16_e64 s[30:31], 2, v54
	s_cbranch_vccz .LBB491_193
; %bb.187:
	s_and_saveexec_b64 s[36:37], s[30:31]
	s_cbranch_execz .LBB491_192
; %bb.188:
	v_cmp_ne_u16_e32 vcc, 1, v54
	s_mov_b64 s[38:39], 0
	s_and_saveexec_b64 s[30:31], vcc
	s_xor_b64 s[30:31], exec, s[30:31]
	s_cbranch_execnz .LBB491_225
; %bb.189:
	s_andn2_saveexec_b64 s[30:31], s[30:31]
	s_cbranch_execnz .LBB491_241
.LBB491_190:
	s_or_b64 exec, exec, s[30:31]
	s_and_b64 exec, exec, s[38:39]
	s_cbranch_execz .LBB491_192
.LBB491_191:
	v_sub_u32_e32 v56, v38, v62
	v_mov_b32_e32 v57, 0
	v_lshlrev_b64 v[56:57], 3, v[56:57]
	v_add_co_u32_e32 v56, vcc, v52, v56
	v_addc_co_u32_e32 v57, vcc, v53, v57, vcc
	global_store_dwordx2 v[56:57], v[74:75], off
.LBB491_192:
	s_or_b64 exec, exec, s[36:37]
	s_mov_b64 s[36:37], 0
.LBB491_193:
	s_and_b64 vcc, exec, s[36:37]
	s_cbranch_vccz .LBB491_203
; %bb.194:
	v_cmp_gt_i16_e32 vcc, 2, v54
	s_and_saveexec_b64 s[30:31], vcc
	s_cbranch_execz .LBB491_199
; %bb.195:
	v_cmp_ne_u16_e32 vcc, 1, v54
	s_mov_b64 s[38:39], 0
	s_and_saveexec_b64 s[36:37], vcc
	s_xor_b64 s[36:37], exec, s[36:37]
	s_cbranch_execnz .LBB491_242
; %bb.196:
	s_andn2_saveexec_b64 s[0:1], s[36:37]
	s_cbranch_execnz .LBB491_258
.LBB491_197:
	s_or_b64 exec, exec, s[0:1]
	s_and_b64 exec, exec, s[38:39]
	s_cbranch_execz .LBB491_199
.LBB491_198:
	v_sub_u32_e32 v2, v38, v62
	v_lshlrev_b32_e32 v2, 3, v2
	ds_write_b64 v2, v[74:75]
.LBB491_199:
	s_or_b64 exec, exec, s[30:31]
	v_cmp_lt_u32_e32 vcc, v0, v58
	s_waitcnt lgkmcnt(0)
	s_barrier
	s_and_saveexec_b64 s[0:1], vcc
	s_cbranch_execz .LBB491_202
; %bb.200:
	v_lshlrev_b32_e32 v4, 3, v0
	s_mov_b64 s[2:3], 0
	v_mov_b32_e32 v3, 0
	v_mov_b32_e32 v2, v0
.LBB491_201:                            ; =>This Inner Loop Header: Depth=1
	v_lshlrev_b64 v[6:7], 3, v[2:3]
	ds_read_b64 v[8:9], v4
	v_add_co_u32_e32 v6, vcc, v52, v6
	v_add_u32_e32 v2, 0x100, v2
	v_addc_co_u32_e32 v7, vcc, v53, v7, vcc
	v_cmp_ge_u32_e32 vcc, v2, v58
	v_add_u32_e32 v4, 0x800, v4
	s_or_b64 s[2:3], vcc, s[2:3]
	s_waitcnt lgkmcnt(0)
	global_store_dwordx2 v[6:7], v[8:9], off
	s_andn2_b64 exec, exec, s[2:3]
	s_cbranch_execnz .LBB491_201
.LBB491_202:
	s_or_b64 exec, exec, s[0:1]
.LBB491_203:
	v_add_co_u32_e32 v2, vcc, v98, v32
	s_cmpk_lg_i32 s33, 0xf00
	v_addc_co_u32_e32 v3, vcc, v99, v33, vcc
	s_cselect_b64 s[0:1], -1, 0
	v_cndmask_b32_e64 v8, 0, 1, s[44:45]
	s_and_b64 s[0:1], s[34:35], s[0:1]
	v_cmp_eq_u32_e32 vcc, 0, v0
	v_sub_u32_e32 v4, v58, v8
	v_cndmask_b32_e64 v5, 0, 1, s[0:1]
	s_and_b64 s[0:1], vcc, s[44:45]
	v_add_u32_e32 v4, v4, v5
	v_cndmask_b32_e64 v5, v113, 0, s[0:1]
	s_mul_hi_u32 s0, s33, 0x88888889
	s_lshr_b32 s0, s0, 3
	v_mad_i32_i24 v6, v0, -15, s33
	v_cmp_eq_u32_e32 vcc, s0, v0
	v_cmp_ne_u32_e64 s[0:1], 0, v6
	v_cndmask_b32_e64 v7, 1, v5, s[0:1]
	v_cmp_ne_u32_e64 s[0:1], 1, v6
	v_cndmask_b32_e64 v9, 1, v112, s[0:1]
	v_cmp_ne_u32_e64 s[0:1], 2, v6
	v_cndmask_b32_e64 v10, 1, v111, s[0:1]
	v_cmp_ne_u32_e64 s[0:1], 3, v6
	v_cndmask_b32_e64 v11, 1, v110, s[0:1]
	v_cmp_ne_u32_e64 s[0:1], 4, v6
	v_cndmask_b32_e64 v12, 1, v109, s[0:1]
	v_cmp_ne_u32_e64 s[0:1], 5, v6
	v_cndmask_b32_e64 v13, 1, v108, s[0:1]
	v_cmp_ne_u32_e64 s[0:1], 6, v6
	v_cndmask_b32_e64 v14, 1, v107, s[0:1]
	v_cmp_ne_u32_e64 s[0:1], 7, v6
	v_cndmask_b32_e64 v15, 1, v106, s[0:1]
	v_cmp_ne_u32_e64 s[0:1], 8, v6
	v_cndmask_b32_e64 v16, 1, v105, s[0:1]
	v_cmp_ne_u32_e64 s[0:1], 9, v6
	v_cndmask_b32_e64 v17, 1, v104, s[0:1]
	v_cmp_ne_u32_e64 s[0:1], 10, v6
	v_cndmask_b32_e64 v18, 1, v103, s[0:1]
	v_cmp_ne_u32_e64 s[0:1], 11, v6
	v_cndmask_b32_e64 v19, 1, v102, s[0:1]
	v_cmp_ne_u32_e64 s[0:1], 12, v6
	v_cndmask_b32_e64 v20, 1, v101, s[0:1]
	v_cmp_ne_u32_e64 s[0:1], 13, v6
	v_cndmask_b32_e64 v21, 1, v100, s[0:1]
	v_cmp_ne_u32_e64 s[0:1], 14, v6
	v_cndmask_b32_e64 v6, 1, v1, s[0:1]
	s_and_b64 vcc, s[34:35], vcc
	v_cndmask_b32_e32 v22, v1, v6, vcc
	v_cndmask_b32_e32 v21, v100, v21, vcc
	;; [unrolled: 1-line block ×15, first 2 shown]
	v_mov_b32_e32 v1, s61
	v_add_co_u32_e32 v5, vcc, s60, v34
	v_addc_co_u32_e32 v6, vcc, v1, v35, vcc
	v_add_co_u32_e32 v1, vcc, v5, v36
	v_addc_co_u32_e32 v5, vcc, v6, v37, vcc
	v_lshlrev_b32_e32 v6, 3, v8
	v_add_co_u32_e32 v6, vcc, v6, v1
	v_addc_co_u32_e32 v7, vcc, 0, v5, vcc
	v_add_co_u32_e32 v6, vcc, -8, v6
	v_addc_co_u32_e32 v7, vcc, -1, v7, vcc
	v_cmp_eq_u32_e32 vcc, 0, v23
	v_cmp_ne_u32_e64 s[28:29], 0, v23
	v_cndmask_b32_e64 v23, 1, 2, vcc
	v_cmp_eq_u32_e32 vcc, 0, v9
	v_cmp_ne_u32_e64 s[26:27], 0, v9
	v_cndmask_b32_e64 v9, 1, 2, vcc
	v_cmp_eq_u32_e32 vcc, 0, v10
	v_and_b32_e32 v9, v9, v23
	v_cmp_ne_u32_e64 s[24:25], 0, v10
	v_cndmask_b32_e64 v10, 1, 2, vcc
	v_cmp_eq_u32_e32 vcc, 0, v11
	v_and_b32_e32 v9, v9, v10
	v_cndmask_b32_e64 v10, 1, 2, vcc
	v_cmp_eq_u32_e32 vcc, 0, v12
	v_and_b32_e32 v9, v9, v10
	;; [unrolled: 3-line block ×12, first 2 shown]
	v_cndmask_b32_e64 v10, 1, 2, vcc
	s_movk_i32 s30, 0x100
	v_and_b32_e32 v9, v9, v10
	v_cmp_gt_u32_e32 vcc, s30, v4
	v_add_u32_e32 v8, v62, v8
	v_cmp_ne_u32_e64 s[22:23], 0, v11
	v_cmp_ne_u32_e64 s[20:21], 0, v12
	;; [unrolled: 1-line block ×12, first 2 shown]
	s_mov_b64 s[36:37], -1
	v_cmp_gt_i16_e64 s[30:31], 2, v9
	s_barrier
	s_cbranch_vccz .LBB491_210
; %bb.204:
	s_and_saveexec_b64 s[36:37], s[30:31]
	s_cbranch_execz .LBB491_209
; %bb.205:
	v_cmp_ne_u16_e32 vcc, 1, v9
	s_mov_b64 s[38:39], 0
	s_and_saveexec_b64 s[30:31], vcc
	s_xor_b64 s[30:31], exec, s[30:31]
	s_cbranch_execnz .LBB491_259
; %bb.206:
	s_andn2_saveexec_b64 s[30:31], s[30:31]
	s_cbranch_execnz .LBB491_275
.LBB491_207:
	s_or_b64 exec, exec, s[30:31]
	s_and_b64 exec, exec, s[38:39]
	s_cbranch_execz .LBB491_209
.LBB491_208:
	v_sub_u32_e32 v10, v38, v8
	v_mov_b32_e32 v11, 0
	v_lshlrev_b64 v[10:11], 3, v[10:11]
	v_add_co_u32_e32 v10, vcc, v6, v10
	v_addc_co_u32_e32 v11, vcc, v7, v11, vcc
	global_store_dwordx2 v[10:11], v[2:3], off
.LBB491_209:
	s_or_b64 exec, exec, s[36:37]
	s_mov_b64 s[36:37], 0
.LBB491_210:
	s_and_b64 vcc, exec, s[36:37]
	s_cbranch_vccz .LBB491_220
; %bb.211:
	v_cmp_gt_i16_e32 vcc, 2, v9
	s_and_saveexec_b64 s[30:31], vcc
	s_cbranch_execz .LBB491_216
; %bb.212:
	v_cmp_ne_u16_e32 vcc, 1, v9
	s_mov_b64 s[38:39], 0
	s_and_saveexec_b64 s[36:37], vcc
	s_xor_b64 s[36:37], exec, s[36:37]
	s_cbranch_execnz .LBB491_276
; %bb.213:
	s_andn2_saveexec_b64 s[0:1], s[36:37]
	s_cbranch_execnz .LBB491_292
.LBB491_214:
	s_or_b64 exec, exec, s[0:1]
	s_and_b64 exec, exec, s[38:39]
	s_cbranch_execz .LBB491_216
.LBB491_215:
	v_sub_u32_e32 v8, v38, v8
	v_lshlrev_b32_e32 v8, 3, v8
	ds_write_b64 v8, v[2:3]
.LBB491_216:
	s_or_b64 exec, exec, s[30:31]
	v_cmp_lt_u32_e32 vcc, v0, v4
	s_waitcnt lgkmcnt(0)
	s_barrier
	s_and_saveexec_b64 s[0:1], vcc
	s_cbranch_execz .LBB491_219
; %bb.217:
	v_lshlrev_b32_e32 v8, 3, v0
	s_mov_b64 s[2:3], 0
	v_mov_b32_e32 v3, 0
	v_mov_b32_e32 v2, v0
.LBB491_218:                            ; =>This Inner Loop Header: Depth=1
	v_lshlrev_b64 v[10:11], 3, v[2:3]
	ds_read_b64 v[12:13], v8
	v_add_co_u32_e32 v10, vcc, v6, v10
	v_add_u32_e32 v2, 0x100, v2
	v_addc_co_u32_e32 v11, vcc, v7, v11, vcc
	v_cmp_ge_u32_e32 vcc, v2, v4
	v_add_u32_e32 v8, 0x800, v8
	s_or_b64 s[2:3], vcc, s[2:3]
	s_waitcnt lgkmcnt(0)
	global_store_dwordx2 v[10:11], v[12:13], off
	s_andn2_b64 exec, exec, s[2:3]
	s_cbranch_execnz .LBB491_218
.LBB491_219:
	s_or_b64 exec, exec, s[0:1]
.LBB491_220:
	s_movk_i32 s0, 0xff
	v_cmp_eq_u32_e32 vcc, s0, v0
	s_and_b64 s[0:1], vcc, s[34:35]
	s_and_saveexec_b64 s[2:3], s[0:1]
	s_cbranch_execz .LBB491_223
; %bb.221:
	v_add_co_u32_e32 v0, vcc, v58, v62
	v_addc_co_u32_e64 v3, s[0:1], 0, 0, vcc
	v_add_co_u32_e32 v2, vcc, v0, v30
	v_mov_b32_e32 v59, 0
	v_addc_co_u32_e32 v3, vcc, v3, v31, vcc
	s_cmpk_lg_i32 s33, 0xf00
	global_store_dwordx2 v59, v[2:3], s[62:63]
	s_cbranch_scc1 .LBB491_223
; %bb.222:
	v_lshlrev_b64 v[2:3], 3, v[58:59]
	v_add_co_u32_e32 v0, vcc, v1, v2
	v_addc_co_u32_e32 v1, vcc, v5, v3, vcc
	global_store_dwordx2 v[0:1], v[60:61], off offset:-8
.LBB491_223:
	s_endpgm
.LBB491_224:
	s_or_b64 exec, exec, s[8:9]
	v_mov_b32_e32 v113, s10
	s_and_saveexec_b64 s[4:5], s[2:3]
	s_cbranch_execnz .LBB491_84
	s_branch .LBB491_85
.LBB491_225:
	s_and_saveexec_b64 s[38:39], s[28:29]
	s_cbranch_execnz .LBB491_293
; %bb.226:
	s_or_b64 exec, exec, s[38:39]
	s_and_saveexec_b64 s[38:39], s[26:27]
	s_cbranch_execnz .LBB491_294
.LBB491_227:
	s_or_b64 exec, exec, s[38:39]
	s_and_saveexec_b64 s[38:39], s[24:25]
	s_cbranch_execnz .LBB491_295
.LBB491_228:
	s_or_b64 exec, exec, s[38:39]
	s_and_saveexec_b64 s[38:39], s[22:23]
	s_cbranch_execnz .LBB491_296
.LBB491_229:
	s_or_b64 exec, exec, s[38:39]
	s_and_saveexec_b64 s[38:39], s[20:21]
	s_cbranch_execnz .LBB491_297
.LBB491_230:
	s_or_b64 exec, exec, s[38:39]
	s_and_saveexec_b64 s[38:39], s[18:19]
	s_cbranch_execnz .LBB491_298
.LBB491_231:
	s_or_b64 exec, exec, s[38:39]
	s_and_saveexec_b64 s[38:39], s[16:17]
	s_cbranch_execnz .LBB491_299
.LBB491_232:
	s_or_b64 exec, exec, s[38:39]
	s_and_saveexec_b64 s[38:39], s[14:15]
	s_cbranch_execnz .LBB491_300
.LBB491_233:
	s_or_b64 exec, exec, s[38:39]
	s_and_saveexec_b64 s[38:39], s[12:13]
	s_cbranch_execnz .LBB491_301
.LBB491_234:
	s_or_b64 exec, exec, s[38:39]
	s_and_saveexec_b64 s[38:39], s[10:11]
	s_cbranch_execnz .LBB491_302
.LBB491_235:
	s_or_b64 exec, exec, s[38:39]
	s_and_saveexec_b64 s[38:39], s[8:9]
	s_cbranch_execnz .LBB491_303
.LBB491_236:
	s_or_b64 exec, exec, s[38:39]
	s_and_saveexec_b64 s[38:39], s[6:7]
	s_cbranch_execnz .LBB491_304
.LBB491_237:
	s_or_b64 exec, exec, s[38:39]
	s_and_saveexec_b64 s[38:39], s[4:5]
	s_cbranch_execnz .LBB491_305
.LBB491_238:
	s_or_b64 exec, exec, s[38:39]
	s_and_saveexec_b64 s[38:39], s[2:3]
	s_cbranch_execz .LBB491_240
.LBB491_239:
	v_sub_u32_e32 v56, v39, v62
	v_mov_b32_e32 v57, 0
	v_lshlrev_b64 v[56:57], 3, v[56:57]
	v_add_co_u32_e32 v56, vcc, v52, v56
	v_addc_co_u32_e32 v57, vcc, v53, v57, vcc
	global_store_dwordx2 v[56:57], v[4:5], off
.LBB491_240:
	s_or_b64 exec, exec, s[38:39]
	s_and_b64 s[38:39], s[0:1], exec
	s_andn2_saveexec_b64 s[30:31], s[30:31]
	s_cbranch_execz .LBB491_190
.LBB491_241:
	v_sub_u32_e32 v56, v59, v62
	v_mov_b32_e32 v57, 0
	v_lshlrev_b64 v[64:65], 3, v[56:57]
	v_add_co_u32_e32 v64, vcc, v52, v64
	v_addc_co_u32_e32 v65, vcc, v53, v65, vcc
	v_sub_u32_e32 v56, v51, v62
	global_store_dwordx2 v[64:65], v[26:27], off
	v_lshlrev_b64 v[64:65], 3, v[56:57]
	v_add_co_u32_e32 v64, vcc, v52, v64
	v_addc_co_u32_e32 v65, vcc, v53, v65, vcc
	v_sub_u32_e32 v56, v50, v62
	global_store_dwordx2 v[64:65], v[28:29], off
	;; [unrolled: 5-line block ×12, first 2 shown]
	v_lshlrev_b64 v[64:65], 3, v[56:57]
	v_add_co_u32_e32 v64, vcc, v52, v64
	v_sub_u32_e32 v56, v39, v62
	v_addc_co_u32_e32 v65, vcc, v53, v65, vcc
	v_lshlrev_b64 v[56:57], 3, v[56:57]
	v_add_co_u32_e32 v56, vcc, v52, v56
	v_addc_co_u32_e32 v57, vcc, v53, v57, vcc
	s_or_b64 s[38:39], s[38:39], exec
	global_store_dwordx2 v[64:65], v[2:3], off
	global_store_dwordx2 v[56:57], v[4:5], off
	s_or_b64 exec, exec, s[30:31]
	s_and_b64 exec, exec, s[38:39]
	s_cbranch_execnz .LBB491_191
	s_branch .LBB491_192
.LBB491_242:
	s_and_saveexec_b64 s[38:39], s[28:29]
	s_cbranch_execnz .LBB491_306
; %bb.243:
	s_or_b64 exec, exec, s[38:39]
	s_and_saveexec_b64 s[28:29], s[26:27]
	s_cbranch_execnz .LBB491_307
.LBB491_244:
	s_or_b64 exec, exec, s[28:29]
	s_and_saveexec_b64 s[26:27], s[24:25]
	s_cbranch_execnz .LBB491_308
.LBB491_245:
	s_or_b64 exec, exec, s[26:27]
	s_and_saveexec_b64 s[24:25], s[22:23]
	s_cbranch_execnz .LBB491_309
.LBB491_246:
	s_or_b64 exec, exec, s[24:25]
	s_and_saveexec_b64 s[22:23], s[20:21]
	s_cbranch_execnz .LBB491_310
.LBB491_247:
	s_or_b64 exec, exec, s[22:23]
	s_and_saveexec_b64 s[20:21], s[18:19]
	s_cbranch_execnz .LBB491_311
.LBB491_248:
	s_or_b64 exec, exec, s[20:21]
	s_and_saveexec_b64 s[18:19], s[16:17]
	s_cbranch_execnz .LBB491_312
.LBB491_249:
	s_or_b64 exec, exec, s[18:19]
	s_and_saveexec_b64 s[16:17], s[14:15]
	s_cbranch_execnz .LBB491_313
.LBB491_250:
	s_or_b64 exec, exec, s[16:17]
	s_and_saveexec_b64 s[14:15], s[12:13]
	s_cbranch_execnz .LBB491_314
.LBB491_251:
	s_or_b64 exec, exec, s[14:15]
	s_and_saveexec_b64 s[12:13], s[10:11]
	s_cbranch_execnz .LBB491_315
.LBB491_252:
	s_or_b64 exec, exec, s[12:13]
	s_and_saveexec_b64 s[10:11], s[8:9]
	s_cbranch_execnz .LBB491_316
.LBB491_253:
	s_or_b64 exec, exec, s[10:11]
	s_and_saveexec_b64 s[8:9], s[6:7]
	s_cbranch_execnz .LBB491_317
.LBB491_254:
	s_or_b64 exec, exec, s[8:9]
	s_and_saveexec_b64 s[6:7], s[4:5]
	s_cbranch_execnz .LBB491_318
.LBB491_255:
	s_or_b64 exec, exec, s[6:7]
	s_and_saveexec_b64 s[4:5], s[2:3]
	s_cbranch_execz .LBB491_257
.LBB491_256:
	v_sub_u32_e32 v2, v39, v62
	v_lshlrev_b32_e32 v2, 3, v2
	ds_write_b64 v2, v[4:5]
.LBB491_257:
	s_or_b64 exec, exec, s[4:5]
	s_and_b64 s[38:39], s[0:1], exec
                                        ; implicit-def: $vgpr2_vgpr3
                                        ; implicit-def: $vgpr6_vgpr7
                                        ; implicit-def: $vgpr10_vgpr11
                                        ; implicit-def: $vgpr14_vgpr15
                                        ; implicit-def: $vgpr18_vgpr19
                                        ; implicit-def: $vgpr22_vgpr23
                                        ; implicit-def: $vgpr26_vgpr27
	s_andn2_saveexec_b64 s[0:1], s[36:37]
	s_cbranch_execz .LBB491_197
.LBB491_258:
	v_sub_u32_e32 v54, v59, v62
	v_lshlrev_b32_e32 v54, 3, v54
	ds_write_b64 v54, v[26:27]
	v_sub_u32_e32 v26, v51, v62
	v_lshlrev_b32_e32 v26, 3, v26
	ds_write_b64 v26, v[28:29]
	;; [unrolled: 3-line block ×13, first 2 shown]
	v_sub_u32_e32 v2, v39, v62
	v_lshlrev_b32_e32 v2, 3, v2
	s_or_b64 s[38:39], s[38:39], exec
	ds_write_b64 v2, v[4:5]
	s_or_b64 exec, exec, s[0:1]
	s_and_b64 exec, exec, s[38:39]
	s_cbranch_execnz .LBB491_198
	s_branch .LBB491_199
.LBB491_259:
	s_and_saveexec_b64 s[38:39], s[28:29]
	s_cbranch_execnz .LBB491_319
; %bb.260:
	s_or_b64 exec, exec, s[38:39]
	s_and_saveexec_b64 s[38:39], s[26:27]
	s_cbranch_execnz .LBB491_320
.LBB491_261:
	s_or_b64 exec, exec, s[38:39]
	s_and_saveexec_b64 s[38:39], s[24:25]
	s_cbranch_execnz .LBB491_321
.LBB491_262:
	s_or_b64 exec, exec, s[38:39]
	s_and_saveexec_b64 s[38:39], s[22:23]
	s_cbranch_execnz .LBB491_322
.LBB491_263:
	s_or_b64 exec, exec, s[38:39]
	s_and_saveexec_b64 s[38:39], s[20:21]
	s_cbranch_execnz .LBB491_323
.LBB491_264:
	s_or_b64 exec, exec, s[38:39]
	s_and_saveexec_b64 s[38:39], s[18:19]
	s_cbranch_execnz .LBB491_324
.LBB491_265:
	s_or_b64 exec, exec, s[38:39]
	s_and_saveexec_b64 s[38:39], s[16:17]
	s_cbranch_execnz .LBB491_325
.LBB491_266:
	s_or_b64 exec, exec, s[38:39]
	s_and_saveexec_b64 s[38:39], s[14:15]
	s_cbranch_execnz .LBB491_326
.LBB491_267:
	s_or_b64 exec, exec, s[38:39]
	s_and_saveexec_b64 s[38:39], s[12:13]
	s_cbranch_execnz .LBB491_327
.LBB491_268:
	s_or_b64 exec, exec, s[38:39]
	s_and_saveexec_b64 s[38:39], s[10:11]
	s_cbranch_execnz .LBB491_328
.LBB491_269:
	s_or_b64 exec, exec, s[38:39]
	s_and_saveexec_b64 s[38:39], s[8:9]
	s_cbranch_execnz .LBB491_329
.LBB491_270:
	s_or_b64 exec, exec, s[38:39]
	s_and_saveexec_b64 s[38:39], s[6:7]
	s_cbranch_execnz .LBB491_330
.LBB491_271:
	s_or_b64 exec, exec, s[38:39]
	s_and_saveexec_b64 s[38:39], s[4:5]
	s_cbranch_execnz .LBB491_331
.LBB491_272:
	s_or_b64 exec, exec, s[38:39]
	s_and_saveexec_b64 s[38:39], s[2:3]
	s_cbranch_execz .LBB491_274
.LBB491_273:
	v_sub_u32_e32 v10, v39, v8
	v_mov_b32_e32 v11, 0
	v_lshlrev_b64 v[10:11], 3, v[10:11]
	v_add_co_u32_e32 v10, vcc, v6, v10
	v_addc_co_u32_e32 v11, vcc, v7, v11, vcc
	global_store_dwordx2 v[10:11], v[96:97], off
.LBB491_274:
	s_or_b64 exec, exec, s[38:39]
	s_and_b64 s[38:39], s[0:1], exec
	s_andn2_saveexec_b64 s[30:31], s[30:31]
	s_cbranch_execz .LBB491_207
.LBB491_275:
	v_sub_u32_e32 v10, v59, v8
	v_mov_b32_e32 v11, 0
	v_lshlrev_b64 v[12:13], 3, v[10:11]
	v_add_co_u32_e32 v12, vcc, v6, v12
	v_addc_co_u32_e32 v13, vcc, v7, v13, vcc
	v_sub_u32_e32 v10, v51, v8
	global_store_dwordx2 v[12:13], v[94:95], off
	v_lshlrev_b64 v[12:13], 3, v[10:11]
	v_add_co_u32_e32 v12, vcc, v6, v12
	v_addc_co_u32_e32 v13, vcc, v7, v13, vcc
	v_sub_u32_e32 v10, v50, v8
	global_store_dwordx2 v[12:13], v[66:67], off
	;; [unrolled: 5-line block ×12, first 2 shown]
	v_lshlrev_b64 v[12:13], 3, v[10:11]
	v_add_co_u32_e32 v12, vcc, v6, v12
	v_sub_u32_e32 v10, v39, v8
	v_addc_co_u32_e32 v13, vcc, v7, v13, vcc
	v_lshlrev_b64 v[10:11], 3, v[10:11]
	v_add_co_u32_e32 v10, vcc, v6, v10
	v_addc_co_u32_e32 v11, vcc, v7, v11, vcc
	s_or_b64 s[38:39], s[38:39], exec
	global_store_dwordx2 v[12:13], v[92:93], off
	global_store_dwordx2 v[10:11], v[96:97], off
	s_or_b64 exec, exec, s[30:31]
	s_and_b64 exec, exec, s[38:39]
	s_cbranch_execnz .LBB491_208
	s_branch .LBB491_209
.LBB491_276:
	s_and_saveexec_b64 s[38:39], s[28:29]
	s_cbranch_execnz .LBB491_332
; %bb.277:
	s_or_b64 exec, exec, s[38:39]
	s_and_saveexec_b64 s[28:29], s[26:27]
	s_cbranch_execnz .LBB491_333
.LBB491_278:
	s_or_b64 exec, exec, s[28:29]
	s_and_saveexec_b64 s[26:27], s[24:25]
	s_cbranch_execnz .LBB491_334
.LBB491_279:
	s_or_b64 exec, exec, s[26:27]
	s_and_saveexec_b64 s[24:25], s[22:23]
	s_cbranch_execnz .LBB491_335
.LBB491_280:
	s_or_b64 exec, exec, s[24:25]
	s_and_saveexec_b64 s[22:23], s[20:21]
	s_cbranch_execnz .LBB491_336
.LBB491_281:
	s_or_b64 exec, exec, s[22:23]
	s_and_saveexec_b64 s[20:21], s[18:19]
	s_cbranch_execnz .LBB491_337
.LBB491_282:
	s_or_b64 exec, exec, s[20:21]
	s_and_saveexec_b64 s[18:19], s[16:17]
	s_cbranch_execnz .LBB491_338
.LBB491_283:
	s_or_b64 exec, exec, s[18:19]
	s_and_saveexec_b64 s[16:17], s[14:15]
	s_cbranch_execnz .LBB491_339
.LBB491_284:
	s_or_b64 exec, exec, s[16:17]
	s_and_saveexec_b64 s[14:15], s[12:13]
	s_cbranch_execnz .LBB491_340
.LBB491_285:
	s_or_b64 exec, exec, s[14:15]
	s_and_saveexec_b64 s[12:13], s[10:11]
	s_cbranch_execnz .LBB491_341
.LBB491_286:
	s_or_b64 exec, exec, s[12:13]
	s_and_saveexec_b64 s[10:11], s[8:9]
	s_cbranch_execnz .LBB491_342
.LBB491_287:
	s_or_b64 exec, exec, s[10:11]
	s_and_saveexec_b64 s[8:9], s[6:7]
	s_cbranch_execnz .LBB491_343
.LBB491_288:
	s_or_b64 exec, exec, s[8:9]
	s_and_saveexec_b64 s[6:7], s[4:5]
	s_cbranch_execnz .LBB491_344
.LBB491_289:
	s_or_b64 exec, exec, s[6:7]
	s_and_saveexec_b64 s[4:5], s[2:3]
	s_cbranch_execz .LBB491_291
.LBB491_290:
	v_sub_u32_e32 v9, v39, v8
	v_lshlrev_b32_e32 v9, 3, v9
	ds_write_b64 v9, v[96:97]
.LBB491_291:
	s_or_b64 exec, exec, s[4:5]
	s_and_b64 s[38:39], s[0:1], exec
                                        ; implicit-def: $vgpr94_vgpr95
                                        ; implicit-def: $vgpr66_vgpr67
                                        ; implicit-def: $vgpr68_vgpr69
                                        ; implicit-def: $vgpr70_vgpr71
                                        ; implicit-def: $vgpr76_vgpr77
                                        ; implicit-def: $vgpr78_vgpr79
                                        ; implicit-def: $vgpr80_vgpr81
                                        ; implicit-def: $vgpr82_vgpr83
                                        ; implicit-def: $vgpr84_vgpr85
                                        ; implicit-def: $vgpr86_vgpr87
                                        ; implicit-def: $vgpr88_vgpr89
                                        ; implicit-def: $vgpr90_vgpr91
                                        ; implicit-def: $vgpr92_vgpr93
                                        ; implicit-def: $vgpr96_vgpr97
                                        ; implicit-def: $vgpr59
                                        ; implicit-def: $vgpr51
                                        ; implicit-def: $vgpr50
                                        ; implicit-def: $vgpr49
                                        ; implicit-def: $vgpr48
                                        ; implicit-def: $vgpr47
                                        ; implicit-def: $vgpr46
                                        ; implicit-def: $vgpr45
                                        ; implicit-def: $vgpr44
                                        ; implicit-def: $vgpr43
                                        ; implicit-def: $vgpr42
                                        ; implicit-def: $vgpr41
                                        ; implicit-def: $vgpr40
                                        ; implicit-def: $vgpr39
	s_andn2_saveexec_b64 s[0:1], s[36:37]
	s_cbranch_execz .LBB491_214
.LBB491_292:
	v_sub_u32_e32 v9, v59, v8
	v_lshlrev_b32_e32 v9, 3, v9
	ds_write_b64 v9, v[94:95]
	v_sub_u32_e32 v9, v51, v8
	v_lshlrev_b32_e32 v9, 3, v9
	ds_write_b64 v9, v[66:67]
	;; [unrolled: 3-line block ×13, first 2 shown]
	v_sub_u32_e32 v9, v39, v8
	v_lshlrev_b32_e32 v9, 3, v9
	s_or_b64 s[38:39], s[38:39], exec
	ds_write_b64 v9, v[96:97]
	s_or_b64 exec, exec, s[0:1]
	s_and_b64 exec, exec, s[38:39]
	s_cbranch_execnz .LBB491_215
	s_branch .LBB491_216
.LBB491_293:
	v_sub_u32_e32 v56, v59, v62
	v_mov_b32_e32 v57, 0
	v_lshlrev_b64 v[56:57], 3, v[56:57]
	v_add_co_u32_e32 v56, vcc, v52, v56
	v_addc_co_u32_e32 v57, vcc, v53, v57, vcc
	global_store_dwordx2 v[56:57], v[26:27], off
	s_or_b64 exec, exec, s[38:39]
	s_and_saveexec_b64 s[38:39], s[26:27]
	s_cbranch_execz .LBB491_227
.LBB491_294:
	v_sub_u32_e32 v56, v51, v62
	v_mov_b32_e32 v57, 0
	v_lshlrev_b64 v[56:57], 3, v[56:57]
	v_add_co_u32_e32 v56, vcc, v52, v56
	v_addc_co_u32_e32 v57, vcc, v53, v57, vcc
	global_store_dwordx2 v[56:57], v[28:29], off
	s_or_b64 exec, exec, s[38:39]
	s_and_saveexec_b64 s[38:39], s[24:25]
	s_cbranch_execz .LBB491_228
.LBB491_295:
	v_sub_u32_e32 v56, v50, v62
	v_mov_b32_e32 v57, 0
	v_lshlrev_b64 v[56:57], 3, v[56:57]
	v_add_co_u32_e32 v56, vcc, v52, v56
	v_addc_co_u32_e32 v57, vcc, v53, v57, vcc
	global_store_dwordx2 v[56:57], v[22:23], off
	s_or_b64 exec, exec, s[38:39]
	s_and_saveexec_b64 s[38:39], s[22:23]
	s_cbranch_execz .LBB491_229
.LBB491_296:
	v_sub_u32_e32 v56, v49, v62
	v_mov_b32_e32 v57, 0
	v_lshlrev_b64 v[56:57], 3, v[56:57]
	v_add_co_u32_e32 v56, vcc, v52, v56
	v_addc_co_u32_e32 v57, vcc, v53, v57, vcc
	global_store_dwordx2 v[56:57], v[24:25], off
	s_or_b64 exec, exec, s[38:39]
	s_and_saveexec_b64 s[38:39], s[20:21]
	s_cbranch_execz .LBB491_230
.LBB491_297:
	v_sub_u32_e32 v56, v48, v62
	v_mov_b32_e32 v57, 0
	v_lshlrev_b64 v[56:57], 3, v[56:57]
	v_add_co_u32_e32 v56, vcc, v52, v56
	v_addc_co_u32_e32 v57, vcc, v53, v57, vcc
	global_store_dwordx2 v[56:57], v[18:19], off
	s_or_b64 exec, exec, s[38:39]
	s_and_saveexec_b64 s[38:39], s[18:19]
	s_cbranch_execz .LBB491_231
.LBB491_298:
	v_sub_u32_e32 v56, v47, v62
	v_mov_b32_e32 v57, 0
	v_lshlrev_b64 v[56:57], 3, v[56:57]
	v_add_co_u32_e32 v56, vcc, v52, v56
	v_addc_co_u32_e32 v57, vcc, v53, v57, vcc
	global_store_dwordx2 v[56:57], v[20:21], off
	s_or_b64 exec, exec, s[38:39]
	s_and_saveexec_b64 s[38:39], s[16:17]
	s_cbranch_execz .LBB491_232
.LBB491_299:
	v_sub_u32_e32 v56, v46, v62
	v_mov_b32_e32 v57, 0
	v_lshlrev_b64 v[56:57], 3, v[56:57]
	v_add_co_u32_e32 v56, vcc, v52, v56
	v_addc_co_u32_e32 v57, vcc, v53, v57, vcc
	global_store_dwordx2 v[56:57], v[14:15], off
	s_or_b64 exec, exec, s[38:39]
	s_and_saveexec_b64 s[38:39], s[14:15]
	s_cbranch_execz .LBB491_233
.LBB491_300:
	v_sub_u32_e32 v56, v45, v62
	v_mov_b32_e32 v57, 0
	v_lshlrev_b64 v[56:57], 3, v[56:57]
	v_add_co_u32_e32 v56, vcc, v52, v56
	v_addc_co_u32_e32 v57, vcc, v53, v57, vcc
	global_store_dwordx2 v[56:57], v[16:17], off
	s_or_b64 exec, exec, s[38:39]
	s_and_saveexec_b64 s[38:39], s[12:13]
	s_cbranch_execz .LBB491_234
.LBB491_301:
	v_sub_u32_e32 v56, v44, v62
	v_mov_b32_e32 v57, 0
	v_lshlrev_b64 v[56:57], 3, v[56:57]
	v_add_co_u32_e32 v56, vcc, v52, v56
	v_addc_co_u32_e32 v57, vcc, v53, v57, vcc
	global_store_dwordx2 v[56:57], v[10:11], off
	s_or_b64 exec, exec, s[38:39]
	s_and_saveexec_b64 s[38:39], s[10:11]
	s_cbranch_execz .LBB491_235
.LBB491_302:
	v_sub_u32_e32 v56, v43, v62
	v_mov_b32_e32 v57, 0
	v_lshlrev_b64 v[56:57], 3, v[56:57]
	v_add_co_u32_e32 v56, vcc, v52, v56
	v_addc_co_u32_e32 v57, vcc, v53, v57, vcc
	global_store_dwordx2 v[56:57], v[12:13], off
	s_or_b64 exec, exec, s[38:39]
	s_and_saveexec_b64 s[38:39], s[8:9]
	s_cbranch_execz .LBB491_236
.LBB491_303:
	v_sub_u32_e32 v56, v42, v62
	v_mov_b32_e32 v57, 0
	v_lshlrev_b64 v[56:57], 3, v[56:57]
	v_add_co_u32_e32 v56, vcc, v52, v56
	v_addc_co_u32_e32 v57, vcc, v53, v57, vcc
	global_store_dwordx2 v[56:57], v[6:7], off
	s_or_b64 exec, exec, s[38:39]
	s_and_saveexec_b64 s[38:39], s[6:7]
	s_cbranch_execz .LBB491_237
.LBB491_304:
	v_sub_u32_e32 v56, v41, v62
	v_mov_b32_e32 v57, 0
	v_lshlrev_b64 v[56:57], 3, v[56:57]
	v_add_co_u32_e32 v56, vcc, v52, v56
	v_addc_co_u32_e32 v57, vcc, v53, v57, vcc
	global_store_dwordx2 v[56:57], v[8:9], off
	s_or_b64 exec, exec, s[38:39]
	s_and_saveexec_b64 s[38:39], s[4:5]
	s_cbranch_execz .LBB491_238
.LBB491_305:
	v_sub_u32_e32 v56, v40, v62
	v_mov_b32_e32 v57, 0
	v_lshlrev_b64 v[56:57], 3, v[56:57]
	v_add_co_u32_e32 v56, vcc, v52, v56
	v_addc_co_u32_e32 v57, vcc, v53, v57, vcc
	global_store_dwordx2 v[56:57], v[2:3], off
	s_or_b64 exec, exec, s[38:39]
	s_and_saveexec_b64 s[38:39], s[2:3]
	s_cbranch_execnz .LBB491_239
	s_branch .LBB491_240
.LBB491_306:
	v_sub_u32_e32 v54, v59, v62
	v_lshlrev_b32_e32 v54, 3, v54
	ds_write_b64 v54, v[26:27]
	s_or_b64 exec, exec, s[38:39]
	s_and_saveexec_b64 s[28:29], s[26:27]
	s_cbranch_execz .LBB491_244
.LBB491_307:
	v_sub_u32_e32 v26, v51, v62
	v_lshlrev_b32_e32 v26, 3, v26
	ds_write_b64 v26, v[28:29]
	s_or_b64 exec, exec, s[28:29]
	s_and_saveexec_b64 s[26:27], s[24:25]
	s_cbranch_execz .LBB491_245
.LBB491_308:
	v_sub_u32_e32 v26, v50, v62
	v_lshlrev_b32_e32 v26, 3, v26
	ds_write_b64 v26, v[22:23]
	s_or_b64 exec, exec, s[26:27]
	s_and_saveexec_b64 s[24:25], s[22:23]
	s_cbranch_execz .LBB491_246
.LBB491_309:
	v_sub_u32_e32 v22, v49, v62
	v_lshlrev_b32_e32 v22, 3, v22
	ds_write_b64 v22, v[24:25]
	s_or_b64 exec, exec, s[24:25]
	s_and_saveexec_b64 s[22:23], s[20:21]
	s_cbranch_execz .LBB491_247
.LBB491_310:
	v_sub_u32_e32 v22, v48, v62
	v_lshlrev_b32_e32 v22, 3, v22
	ds_write_b64 v22, v[18:19]
	s_or_b64 exec, exec, s[22:23]
	s_and_saveexec_b64 s[20:21], s[18:19]
	s_cbranch_execz .LBB491_248
.LBB491_311:
	v_sub_u32_e32 v18, v47, v62
	v_lshlrev_b32_e32 v18, 3, v18
	ds_write_b64 v18, v[20:21]
	s_or_b64 exec, exec, s[20:21]
	s_and_saveexec_b64 s[18:19], s[16:17]
	s_cbranch_execz .LBB491_249
.LBB491_312:
	v_sub_u32_e32 v18, v46, v62
	v_lshlrev_b32_e32 v18, 3, v18
	ds_write_b64 v18, v[14:15]
	s_or_b64 exec, exec, s[18:19]
	s_and_saveexec_b64 s[16:17], s[14:15]
	s_cbranch_execz .LBB491_250
.LBB491_313:
	v_sub_u32_e32 v14, v45, v62
	v_lshlrev_b32_e32 v14, 3, v14
	ds_write_b64 v14, v[16:17]
	s_or_b64 exec, exec, s[16:17]
	s_and_saveexec_b64 s[14:15], s[12:13]
	s_cbranch_execz .LBB491_251
.LBB491_314:
	v_sub_u32_e32 v14, v44, v62
	v_lshlrev_b32_e32 v14, 3, v14
	ds_write_b64 v14, v[10:11]
	s_or_b64 exec, exec, s[14:15]
	s_and_saveexec_b64 s[12:13], s[10:11]
	s_cbranch_execz .LBB491_252
.LBB491_315:
	v_sub_u32_e32 v10, v43, v62
	v_lshlrev_b32_e32 v10, 3, v10
	ds_write_b64 v10, v[12:13]
	s_or_b64 exec, exec, s[12:13]
	s_and_saveexec_b64 s[10:11], s[8:9]
	s_cbranch_execz .LBB491_253
.LBB491_316:
	v_sub_u32_e32 v10, v42, v62
	v_lshlrev_b32_e32 v10, 3, v10
	ds_write_b64 v10, v[6:7]
	s_or_b64 exec, exec, s[10:11]
	s_and_saveexec_b64 s[8:9], s[6:7]
	s_cbranch_execz .LBB491_254
.LBB491_317:
	v_sub_u32_e32 v6, v41, v62
	v_lshlrev_b32_e32 v6, 3, v6
	ds_write_b64 v6, v[8:9]
	s_or_b64 exec, exec, s[8:9]
	s_and_saveexec_b64 s[6:7], s[4:5]
	s_cbranch_execz .LBB491_255
.LBB491_318:
	v_sub_u32_e32 v6, v40, v62
	v_lshlrev_b32_e32 v6, 3, v6
	ds_write_b64 v6, v[2:3]
	s_or_b64 exec, exec, s[6:7]
	s_and_saveexec_b64 s[4:5], s[2:3]
	s_cbranch_execnz .LBB491_256
	s_branch .LBB491_257
.LBB491_319:
	v_sub_u32_e32 v10, v59, v8
	v_mov_b32_e32 v11, 0
	v_lshlrev_b64 v[10:11], 3, v[10:11]
	v_add_co_u32_e32 v10, vcc, v6, v10
	v_addc_co_u32_e32 v11, vcc, v7, v11, vcc
	global_store_dwordx2 v[10:11], v[94:95], off
	s_or_b64 exec, exec, s[38:39]
	s_and_saveexec_b64 s[38:39], s[26:27]
	s_cbranch_execz .LBB491_261
.LBB491_320:
	v_sub_u32_e32 v10, v51, v8
	v_mov_b32_e32 v11, 0
	v_lshlrev_b64 v[10:11], 3, v[10:11]
	v_add_co_u32_e32 v10, vcc, v6, v10
	v_addc_co_u32_e32 v11, vcc, v7, v11, vcc
	global_store_dwordx2 v[10:11], v[66:67], off
	s_or_b64 exec, exec, s[38:39]
	s_and_saveexec_b64 s[38:39], s[24:25]
	s_cbranch_execz .LBB491_262
.LBB491_321:
	v_sub_u32_e32 v10, v50, v8
	v_mov_b32_e32 v11, 0
	v_lshlrev_b64 v[10:11], 3, v[10:11]
	v_add_co_u32_e32 v10, vcc, v6, v10
	v_addc_co_u32_e32 v11, vcc, v7, v11, vcc
	global_store_dwordx2 v[10:11], v[68:69], off
	s_or_b64 exec, exec, s[38:39]
	s_and_saveexec_b64 s[38:39], s[22:23]
	s_cbranch_execz .LBB491_263
.LBB491_322:
	v_sub_u32_e32 v10, v49, v8
	v_mov_b32_e32 v11, 0
	v_lshlrev_b64 v[10:11], 3, v[10:11]
	v_add_co_u32_e32 v10, vcc, v6, v10
	v_addc_co_u32_e32 v11, vcc, v7, v11, vcc
	global_store_dwordx2 v[10:11], v[70:71], off
	s_or_b64 exec, exec, s[38:39]
	s_and_saveexec_b64 s[38:39], s[20:21]
	s_cbranch_execz .LBB491_264
.LBB491_323:
	v_sub_u32_e32 v10, v48, v8
	v_mov_b32_e32 v11, 0
	v_lshlrev_b64 v[10:11], 3, v[10:11]
	v_add_co_u32_e32 v10, vcc, v6, v10
	v_addc_co_u32_e32 v11, vcc, v7, v11, vcc
	global_store_dwordx2 v[10:11], v[76:77], off
	s_or_b64 exec, exec, s[38:39]
	s_and_saveexec_b64 s[38:39], s[18:19]
	s_cbranch_execz .LBB491_265
.LBB491_324:
	v_sub_u32_e32 v10, v47, v8
	v_mov_b32_e32 v11, 0
	v_lshlrev_b64 v[10:11], 3, v[10:11]
	v_add_co_u32_e32 v10, vcc, v6, v10
	v_addc_co_u32_e32 v11, vcc, v7, v11, vcc
	global_store_dwordx2 v[10:11], v[78:79], off
	s_or_b64 exec, exec, s[38:39]
	s_and_saveexec_b64 s[38:39], s[16:17]
	s_cbranch_execz .LBB491_266
.LBB491_325:
	v_sub_u32_e32 v10, v46, v8
	v_mov_b32_e32 v11, 0
	v_lshlrev_b64 v[10:11], 3, v[10:11]
	v_add_co_u32_e32 v10, vcc, v6, v10
	v_addc_co_u32_e32 v11, vcc, v7, v11, vcc
	global_store_dwordx2 v[10:11], v[80:81], off
	s_or_b64 exec, exec, s[38:39]
	s_and_saveexec_b64 s[38:39], s[14:15]
	s_cbranch_execz .LBB491_267
.LBB491_326:
	v_sub_u32_e32 v10, v45, v8
	v_mov_b32_e32 v11, 0
	v_lshlrev_b64 v[10:11], 3, v[10:11]
	v_add_co_u32_e32 v10, vcc, v6, v10
	v_addc_co_u32_e32 v11, vcc, v7, v11, vcc
	global_store_dwordx2 v[10:11], v[82:83], off
	s_or_b64 exec, exec, s[38:39]
	s_and_saveexec_b64 s[38:39], s[12:13]
	s_cbranch_execz .LBB491_268
.LBB491_327:
	v_sub_u32_e32 v10, v44, v8
	v_mov_b32_e32 v11, 0
	v_lshlrev_b64 v[10:11], 3, v[10:11]
	v_add_co_u32_e32 v10, vcc, v6, v10
	v_addc_co_u32_e32 v11, vcc, v7, v11, vcc
	global_store_dwordx2 v[10:11], v[84:85], off
	s_or_b64 exec, exec, s[38:39]
	s_and_saveexec_b64 s[38:39], s[10:11]
	s_cbranch_execz .LBB491_269
.LBB491_328:
	v_sub_u32_e32 v10, v43, v8
	v_mov_b32_e32 v11, 0
	v_lshlrev_b64 v[10:11], 3, v[10:11]
	v_add_co_u32_e32 v10, vcc, v6, v10
	v_addc_co_u32_e32 v11, vcc, v7, v11, vcc
	global_store_dwordx2 v[10:11], v[86:87], off
	s_or_b64 exec, exec, s[38:39]
	s_and_saveexec_b64 s[38:39], s[8:9]
	s_cbranch_execz .LBB491_270
.LBB491_329:
	v_sub_u32_e32 v10, v42, v8
	v_mov_b32_e32 v11, 0
	v_lshlrev_b64 v[10:11], 3, v[10:11]
	v_add_co_u32_e32 v10, vcc, v6, v10
	v_addc_co_u32_e32 v11, vcc, v7, v11, vcc
	global_store_dwordx2 v[10:11], v[88:89], off
	s_or_b64 exec, exec, s[38:39]
	s_and_saveexec_b64 s[38:39], s[6:7]
	s_cbranch_execz .LBB491_271
.LBB491_330:
	v_sub_u32_e32 v10, v41, v8
	v_mov_b32_e32 v11, 0
	v_lshlrev_b64 v[10:11], 3, v[10:11]
	v_add_co_u32_e32 v10, vcc, v6, v10
	v_addc_co_u32_e32 v11, vcc, v7, v11, vcc
	global_store_dwordx2 v[10:11], v[90:91], off
	s_or_b64 exec, exec, s[38:39]
	s_and_saveexec_b64 s[38:39], s[4:5]
	s_cbranch_execz .LBB491_272
.LBB491_331:
	v_sub_u32_e32 v10, v40, v8
	v_mov_b32_e32 v11, 0
	v_lshlrev_b64 v[10:11], 3, v[10:11]
	v_add_co_u32_e32 v10, vcc, v6, v10
	v_addc_co_u32_e32 v11, vcc, v7, v11, vcc
	global_store_dwordx2 v[10:11], v[92:93], off
	s_or_b64 exec, exec, s[38:39]
	s_and_saveexec_b64 s[38:39], s[2:3]
	s_cbranch_execnz .LBB491_273
	s_branch .LBB491_274
.LBB491_332:
	v_sub_u32_e32 v9, v59, v8
	v_lshlrev_b32_e32 v9, 3, v9
	ds_write_b64 v9, v[94:95]
	s_or_b64 exec, exec, s[38:39]
	s_and_saveexec_b64 s[28:29], s[26:27]
	s_cbranch_execz .LBB491_278
.LBB491_333:
	v_sub_u32_e32 v9, v51, v8
	v_lshlrev_b32_e32 v9, 3, v9
	ds_write_b64 v9, v[66:67]
	s_or_b64 exec, exec, s[28:29]
	s_and_saveexec_b64 s[26:27], s[24:25]
	s_cbranch_execz .LBB491_279
.LBB491_334:
	v_sub_u32_e32 v9, v50, v8
	v_lshlrev_b32_e32 v9, 3, v9
	ds_write_b64 v9, v[68:69]
	s_or_b64 exec, exec, s[26:27]
	s_and_saveexec_b64 s[24:25], s[22:23]
	s_cbranch_execz .LBB491_280
.LBB491_335:
	v_sub_u32_e32 v9, v49, v8
	v_lshlrev_b32_e32 v9, 3, v9
	ds_write_b64 v9, v[70:71]
	s_or_b64 exec, exec, s[24:25]
	s_and_saveexec_b64 s[22:23], s[20:21]
	s_cbranch_execz .LBB491_281
.LBB491_336:
	v_sub_u32_e32 v9, v48, v8
	v_lshlrev_b32_e32 v9, 3, v9
	ds_write_b64 v9, v[76:77]
	s_or_b64 exec, exec, s[22:23]
	s_and_saveexec_b64 s[20:21], s[18:19]
	s_cbranch_execz .LBB491_282
.LBB491_337:
	v_sub_u32_e32 v9, v47, v8
	v_lshlrev_b32_e32 v9, 3, v9
	ds_write_b64 v9, v[78:79]
	s_or_b64 exec, exec, s[20:21]
	s_and_saveexec_b64 s[18:19], s[16:17]
	s_cbranch_execz .LBB491_283
.LBB491_338:
	v_sub_u32_e32 v9, v46, v8
	v_lshlrev_b32_e32 v9, 3, v9
	ds_write_b64 v9, v[80:81]
	s_or_b64 exec, exec, s[18:19]
	s_and_saveexec_b64 s[16:17], s[14:15]
	s_cbranch_execz .LBB491_284
.LBB491_339:
	v_sub_u32_e32 v9, v45, v8
	v_lshlrev_b32_e32 v9, 3, v9
	ds_write_b64 v9, v[82:83]
	s_or_b64 exec, exec, s[16:17]
	s_and_saveexec_b64 s[14:15], s[12:13]
	s_cbranch_execz .LBB491_285
.LBB491_340:
	v_sub_u32_e32 v9, v44, v8
	v_lshlrev_b32_e32 v9, 3, v9
	ds_write_b64 v9, v[84:85]
	s_or_b64 exec, exec, s[14:15]
	s_and_saveexec_b64 s[12:13], s[10:11]
	s_cbranch_execz .LBB491_286
.LBB491_341:
	v_sub_u32_e32 v9, v43, v8
	v_lshlrev_b32_e32 v9, 3, v9
	ds_write_b64 v9, v[86:87]
	s_or_b64 exec, exec, s[12:13]
	s_and_saveexec_b64 s[10:11], s[8:9]
	s_cbranch_execz .LBB491_287
.LBB491_342:
	v_sub_u32_e32 v9, v42, v8
	v_lshlrev_b32_e32 v9, 3, v9
	ds_write_b64 v9, v[88:89]
	s_or_b64 exec, exec, s[10:11]
	s_and_saveexec_b64 s[8:9], s[6:7]
	s_cbranch_execz .LBB491_288
.LBB491_343:
	v_sub_u32_e32 v9, v41, v8
	v_lshlrev_b32_e32 v9, 3, v9
	ds_write_b64 v9, v[90:91]
	s_or_b64 exec, exec, s[8:9]
	s_and_saveexec_b64 s[6:7], s[4:5]
	s_cbranch_execz .LBB491_289
.LBB491_344:
	v_sub_u32_e32 v9, v40, v8
	v_lshlrev_b32_e32 v9, 3, v9
	ds_write_b64 v9, v[92:93]
	s_or_b64 exec, exec, s[6:7]
	s_and_saveexec_b64 s[4:5], s[2:3]
	s_cbranch_execnz .LBB491_290
	s_branch .LBB491_291
	.section	.rodata,"a",@progbits
	.p2align	6, 0x0
	.amdhsa_kernel _ZN7rocprim17ROCPRIM_400000_NS6detail17trampoline_kernelINS0_14default_configENS1_29reduce_by_key_config_selectorIxxN6thrust23THRUST_200600_302600_NS4plusIxEEEEZZNS1_33reduce_by_key_impl_wrapped_configILNS1_25lookback_scan_determinismE0ES3_S9_NS6_6detail15normal_iteratorINS6_10device_ptrIxEEEESG_SG_SG_PmS8_NS6_8equal_toIxEEEE10hipError_tPvRmT2_T3_mT4_T5_T6_T7_T8_P12ihipStream_tbENKUlT_T0_E_clISt17integral_constantIbLb1EES10_IbLb0EEEEDaSW_SX_EUlSW_E_NS1_11comp_targetILNS1_3genE4ELNS1_11target_archE910ELNS1_3gpuE8ELNS1_3repE0EEENS1_30default_config_static_selectorELNS0_4arch9wavefront6targetE1EEEvT1_
		.amdhsa_group_segment_fixed_size 30720
		.amdhsa_private_segment_fixed_size 0
		.amdhsa_kernarg_size 136
		.amdhsa_user_sgpr_count 6
		.amdhsa_user_sgpr_private_segment_buffer 1
		.amdhsa_user_sgpr_dispatch_ptr 0
		.amdhsa_user_sgpr_queue_ptr 0
		.amdhsa_user_sgpr_kernarg_segment_ptr 1
		.amdhsa_user_sgpr_dispatch_id 0
		.amdhsa_user_sgpr_flat_scratch_init 0
		.amdhsa_user_sgpr_kernarg_preload_length 0
		.amdhsa_user_sgpr_kernarg_preload_offset 0
		.amdhsa_user_sgpr_private_segment_size 0
		.amdhsa_uses_dynamic_stack 0
		.amdhsa_system_sgpr_private_segment_wavefront_offset 0
		.amdhsa_system_sgpr_workgroup_id_x 1
		.amdhsa_system_sgpr_workgroup_id_y 0
		.amdhsa_system_sgpr_workgroup_id_z 0
		.amdhsa_system_sgpr_workgroup_info 0
		.amdhsa_system_vgpr_workitem_id 0
		.amdhsa_next_free_vgpr 118
		.amdhsa_next_free_sgpr 65
		.amdhsa_accum_offset 120
		.amdhsa_reserve_vcc 1
		.amdhsa_reserve_flat_scratch 0
		.amdhsa_float_round_mode_32 0
		.amdhsa_float_round_mode_16_64 0
		.amdhsa_float_denorm_mode_32 3
		.amdhsa_float_denorm_mode_16_64 3
		.amdhsa_dx10_clamp 1
		.amdhsa_ieee_mode 1
		.amdhsa_fp16_overflow 0
		.amdhsa_tg_split 0
		.amdhsa_exception_fp_ieee_invalid_op 0
		.amdhsa_exception_fp_denorm_src 0
		.amdhsa_exception_fp_ieee_div_zero 0
		.amdhsa_exception_fp_ieee_overflow 0
		.amdhsa_exception_fp_ieee_underflow 0
		.amdhsa_exception_fp_ieee_inexact 0
		.amdhsa_exception_int_div_zero 0
	.end_amdhsa_kernel
	.section	.text._ZN7rocprim17ROCPRIM_400000_NS6detail17trampoline_kernelINS0_14default_configENS1_29reduce_by_key_config_selectorIxxN6thrust23THRUST_200600_302600_NS4plusIxEEEEZZNS1_33reduce_by_key_impl_wrapped_configILNS1_25lookback_scan_determinismE0ES3_S9_NS6_6detail15normal_iteratorINS6_10device_ptrIxEEEESG_SG_SG_PmS8_NS6_8equal_toIxEEEE10hipError_tPvRmT2_T3_mT4_T5_T6_T7_T8_P12ihipStream_tbENKUlT_T0_E_clISt17integral_constantIbLb1EES10_IbLb0EEEEDaSW_SX_EUlSW_E_NS1_11comp_targetILNS1_3genE4ELNS1_11target_archE910ELNS1_3gpuE8ELNS1_3repE0EEENS1_30default_config_static_selectorELNS0_4arch9wavefront6targetE1EEEvT1_,"axG",@progbits,_ZN7rocprim17ROCPRIM_400000_NS6detail17trampoline_kernelINS0_14default_configENS1_29reduce_by_key_config_selectorIxxN6thrust23THRUST_200600_302600_NS4plusIxEEEEZZNS1_33reduce_by_key_impl_wrapped_configILNS1_25lookback_scan_determinismE0ES3_S9_NS6_6detail15normal_iteratorINS6_10device_ptrIxEEEESG_SG_SG_PmS8_NS6_8equal_toIxEEEE10hipError_tPvRmT2_T3_mT4_T5_T6_T7_T8_P12ihipStream_tbENKUlT_T0_E_clISt17integral_constantIbLb1EES10_IbLb0EEEEDaSW_SX_EUlSW_E_NS1_11comp_targetILNS1_3genE4ELNS1_11target_archE910ELNS1_3gpuE8ELNS1_3repE0EEENS1_30default_config_static_selectorELNS0_4arch9wavefront6targetE1EEEvT1_,comdat
.Lfunc_end491:
	.size	_ZN7rocprim17ROCPRIM_400000_NS6detail17trampoline_kernelINS0_14default_configENS1_29reduce_by_key_config_selectorIxxN6thrust23THRUST_200600_302600_NS4plusIxEEEEZZNS1_33reduce_by_key_impl_wrapped_configILNS1_25lookback_scan_determinismE0ES3_S9_NS6_6detail15normal_iteratorINS6_10device_ptrIxEEEESG_SG_SG_PmS8_NS6_8equal_toIxEEEE10hipError_tPvRmT2_T3_mT4_T5_T6_T7_T8_P12ihipStream_tbENKUlT_T0_E_clISt17integral_constantIbLb1EES10_IbLb0EEEEDaSW_SX_EUlSW_E_NS1_11comp_targetILNS1_3genE4ELNS1_11target_archE910ELNS1_3gpuE8ELNS1_3repE0EEENS1_30default_config_static_selectorELNS0_4arch9wavefront6targetE1EEEvT1_, .Lfunc_end491-_ZN7rocprim17ROCPRIM_400000_NS6detail17trampoline_kernelINS0_14default_configENS1_29reduce_by_key_config_selectorIxxN6thrust23THRUST_200600_302600_NS4plusIxEEEEZZNS1_33reduce_by_key_impl_wrapped_configILNS1_25lookback_scan_determinismE0ES3_S9_NS6_6detail15normal_iteratorINS6_10device_ptrIxEEEESG_SG_SG_PmS8_NS6_8equal_toIxEEEE10hipError_tPvRmT2_T3_mT4_T5_T6_T7_T8_P12ihipStream_tbENKUlT_T0_E_clISt17integral_constantIbLb1EES10_IbLb0EEEEDaSW_SX_EUlSW_E_NS1_11comp_targetILNS1_3genE4ELNS1_11target_archE910ELNS1_3gpuE8ELNS1_3repE0EEENS1_30default_config_static_selectorELNS0_4arch9wavefront6targetE1EEEvT1_
                                        ; -- End function
	.section	.AMDGPU.csdata,"",@progbits
; Kernel info:
; codeLenInByte = 16928
; NumSgprs: 69
; NumVgprs: 118
; NumAgprs: 0
; TotalNumVgprs: 118
; ScratchSize: 0
; MemoryBound: 0
; FloatMode: 240
; IeeeMode: 1
; LDSByteSize: 30720 bytes/workgroup (compile time only)
; SGPRBlocks: 8
; VGPRBlocks: 14
; NumSGPRsForWavesPerEU: 69
; NumVGPRsForWavesPerEU: 118
; AccumOffset: 120
; Occupancy: 2
; WaveLimiterHint : 1
; COMPUTE_PGM_RSRC2:SCRATCH_EN: 0
; COMPUTE_PGM_RSRC2:USER_SGPR: 6
; COMPUTE_PGM_RSRC2:TRAP_HANDLER: 0
; COMPUTE_PGM_RSRC2:TGID_X_EN: 1
; COMPUTE_PGM_RSRC2:TGID_Y_EN: 0
; COMPUTE_PGM_RSRC2:TGID_Z_EN: 0
; COMPUTE_PGM_RSRC2:TIDIG_COMP_CNT: 0
; COMPUTE_PGM_RSRC3_GFX90A:ACCUM_OFFSET: 29
; COMPUTE_PGM_RSRC3_GFX90A:TG_SPLIT: 0
	.section	.text._ZN7rocprim17ROCPRIM_400000_NS6detail17trampoline_kernelINS0_14default_configENS1_29reduce_by_key_config_selectorIxxN6thrust23THRUST_200600_302600_NS4plusIxEEEEZZNS1_33reduce_by_key_impl_wrapped_configILNS1_25lookback_scan_determinismE0ES3_S9_NS6_6detail15normal_iteratorINS6_10device_ptrIxEEEESG_SG_SG_PmS8_NS6_8equal_toIxEEEE10hipError_tPvRmT2_T3_mT4_T5_T6_T7_T8_P12ihipStream_tbENKUlT_T0_E_clISt17integral_constantIbLb1EES10_IbLb0EEEEDaSW_SX_EUlSW_E_NS1_11comp_targetILNS1_3genE3ELNS1_11target_archE908ELNS1_3gpuE7ELNS1_3repE0EEENS1_30default_config_static_selectorELNS0_4arch9wavefront6targetE1EEEvT1_,"axG",@progbits,_ZN7rocprim17ROCPRIM_400000_NS6detail17trampoline_kernelINS0_14default_configENS1_29reduce_by_key_config_selectorIxxN6thrust23THRUST_200600_302600_NS4plusIxEEEEZZNS1_33reduce_by_key_impl_wrapped_configILNS1_25lookback_scan_determinismE0ES3_S9_NS6_6detail15normal_iteratorINS6_10device_ptrIxEEEESG_SG_SG_PmS8_NS6_8equal_toIxEEEE10hipError_tPvRmT2_T3_mT4_T5_T6_T7_T8_P12ihipStream_tbENKUlT_T0_E_clISt17integral_constantIbLb1EES10_IbLb0EEEEDaSW_SX_EUlSW_E_NS1_11comp_targetILNS1_3genE3ELNS1_11target_archE908ELNS1_3gpuE7ELNS1_3repE0EEENS1_30default_config_static_selectorELNS0_4arch9wavefront6targetE1EEEvT1_,comdat
	.protected	_ZN7rocprim17ROCPRIM_400000_NS6detail17trampoline_kernelINS0_14default_configENS1_29reduce_by_key_config_selectorIxxN6thrust23THRUST_200600_302600_NS4plusIxEEEEZZNS1_33reduce_by_key_impl_wrapped_configILNS1_25lookback_scan_determinismE0ES3_S9_NS6_6detail15normal_iteratorINS6_10device_ptrIxEEEESG_SG_SG_PmS8_NS6_8equal_toIxEEEE10hipError_tPvRmT2_T3_mT4_T5_T6_T7_T8_P12ihipStream_tbENKUlT_T0_E_clISt17integral_constantIbLb1EES10_IbLb0EEEEDaSW_SX_EUlSW_E_NS1_11comp_targetILNS1_3genE3ELNS1_11target_archE908ELNS1_3gpuE7ELNS1_3repE0EEENS1_30default_config_static_selectorELNS0_4arch9wavefront6targetE1EEEvT1_ ; -- Begin function _ZN7rocprim17ROCPRIM_400000_NS6detail17trampoline_kernelINS0_14default_configENS1_29reduce_by_key_config_selectorIxxN6thrust23THRUST_200600_302600_NS4plusIxEEEEZZNS1_33reduce_by_key_impl_wrapped_configILNS1_25lookback_scan_determinismE0ES3_S9_NS6_6detail15normal_iteratorINS6_10device_ptrIxEEEESG_SG_SG_PmS8_NS6_8equal_toIxEEEE10hipError_tPvRmT2_T3_mT4_T5_T6_T7_T8_P12ihipStream_tbENKUlT_T0_E_clISt17integral_constantIbLb1EES10_IbLb0EEEEDaSW_SX_EUlSW_E_NS1_11comp_targetILNS1_3genE3ELNS1_11target_archE908ELNS1_3gpuE7ELNS1_3repE0EEENS1_30default_config_static_selectorELNS0_4arch9wavefront6targetE1EEEvT1_
	.globl	_ZN7rocprim17ROCPRIM_400000_NS6detail17trampoline_kernelINS0_14default_configENS1_29reduce_by_key_config_selectorIxxN6thrust23THRUST_200600_302600_NS4plusIxEEEEZZNS1_33reduce_by_key_impl_wrapped_configILNS1_25lookback_scan_determinismE0ES3_S9_NS6_6detail15normal_iteratorINS6_10device_ptrIxEEEESG_SG_SG_PmS8_NS6_8equal_toIxEEEE10hipError_tPvRmT2_T3_mT4_T5_T6_T7_T8_P12ihipStream_tbENKUlT_T0_E_clISt17integral_constantIbLb1EES10_IbLb0EEEEDaSW_SX_EUlSW_E_NS1_11comp_targetILNS1_3genE3ELNS1_11target_archE908ELNS1_3gpuE7ELNS1_3repE0EEENS1_30default_config_static_selectorELNS0_4arch9wavefront6targetE1EEEvT1_
	.p2align	8
	.type	_ZN7rocprim17ROCPRIM_400000_NS6detail17trampoline_kernelINS0_14default_configENS1_29reduce_by_key_config_selectorIxxN6thrust23THRUST_200600_302600_NS4plusIxEEEEZZNS1_33reduce_by_key_impl_wrapped_configILNS1_25lookback_scan_determinismE0ES3_S9_NS6_6detail15normal_iteratorINS6_10device_ptrIxEEEESG_SG_SG_PmS8_NS6_8equal_toIxEEEE10hipError_tPvRmT2_T3_mT4_T5_T6_T7_T8_P12ihipStream_tbENKUlT_T0_E_clISt17integral_constantIbLb1EES10_IbLb0EEEEDaSW_SX_EUlSW_E_NS1_11comp_targetILNS1_3genE3ELNS1_11target_archE908ELNS1_3gpuE7ELNS1_3repE0EEENS1_30default_config_static_selectorELNS0_4arch9wavefront6targetE1EEEvT1_,@function
_ZN7rocprim17ROCPRIM_400000_NS6detail17trampoline_kernelINS0_14default_configENS1_29reduce_by_key_config_selectorIxxN6thrust23THRUST_200600_302600_NS4plusIxEEEEZZNS1_33reduce_by_key_impl_wrapped_configILNS1_25lookback_scan_determinismE0ES3_S9_NS6_6detail15normal_iteratorINS6_10device_ptrIxEEEESG_SG_SG_PmS8_NS6_8equal_toIxEEEE10hipError_tPvRmT2_T3_mT4_T5_T6_T7_T8_P12ihipStream_tbENKUlT_T0_E_clISt17integral_constantIbLb1EES10_IbLb0EEEEDaSW_SX_EUlSW_E_NS1_11comp_targetILNS1_3genE3ELNS1_11target_archE908ELNS1_3gpuE7ELNS1_3repE0EEENS1_30default_config_static_selectorELNS0_4arch9wavefront6targetE1EEEvT1_: ; @_ZN7rocprim17ROCPRIM_400000_NS6detail17trampoline_kernelINS0_14default_configENS1_29reduce_by_key_config_selectorIxxN6thrust23THRUST_200600_302600_NS4plusIxEEEEZZNS1_33reduce_by_key_impl_wrapped_configILNS1_25lookback_scan_determinismE0ES3_S9_NS6_6detail15normal_iteratorINS6_10device_ptrIxEEEESG_SG_SG_PmS8_NS6_8equal_toIxEEEE10hipError_tPvRmT2_T3_mT4_T5_T6_T7_T8_P12ihipStream_tbENKUlT_T0_E_clISt17integral_constantIbLb1EES10_IbLb0EEEEDaSW_SX_EUlSW_E_NS1_11comp_targetILNS1_3genE3ELNS1_11target_archE908ELNS1_3gpuE7ELNS1_3repE0EEENS1_30default_config_static_selectorELNS0_4arch9wavefront6targetE1EEEvT1_
; %bb.0:
	.section	.rodata,"a",@progbits
	.p2align	6, 0x0
	.amdhsa_kernel _ZN7rocprim17ROCPRIM_400000_NS6detail17trampoline_kernelINS0_14default_configENS1_29reduce_by_key_config_selectorIxxN6thrust23THRUST_200600_302600_NS4plusIxEEEEZZNS1_33reduce_by_key_impl_wrapped_configILNS1_25lookback_scan_determinismE0ES3_S9_NS6_6detail15normal_iteratorINS6_10device_ptrIxEEEESG_SG_SG_PmS8_NS6_8equal_toIxEEEE10hipError_tPvRmT2_T3_mT4_T5_T6_T7_T8_P12ihipStream_tbENKUlT_T0_E_clISt17integral_constantIbLb1EES10_IbLb0EEEEDaSW_SX_EUlSW_E_NS1_11comp_targetILNS1_3genE3ELNS1_11target_archE908ELNS1_3gpuE7ELNS1_3repE0EEENS1_30default_config_static_selectorELNS0_4arch9wavefront6targetE1EEEvT1_
		.amdhsa_group_segment_fixed_size 0
		.amdhsa_private_segment_fixed_size 0
		.amdhsa_kernarg_size 136
		.amdhsa_user_sgpr_count 6
		.amdhsa_user_sgpr_private_segment_buffer 1
		.amdhsa_user_sgpr_dispatch_ptr 0
		.amdhsa_user_sgpr_queue_ptr 0
		.amdhsa_user_sgpr_kernarg_segment_ptr 1
		.amdhsa_user_sgpr_dispatch_id 0
		.amdhsa_user_sgpr_flat_scratch_init 0
		.amdhsa_user_sgpr_kernarg_preload_length 0
		.amdhsa_user_sgpr_kernarg_preload_offset 0
		.amdhsa_user_sgpr_private_segment_size 0
		.amdhsa_uses_dynamic_stack 0
		.amdhsa_system_sgpr_private_segment_wavefront_offset 0
		.amdhsa_system_sgpr_workgroup_id_x 1
		.amdhsa_system_sgpr_workgroup_id_y 0
		.amdhsa_system_sgpr_workgroup_id_z 0
		.amdhsa_system_sgpr_workgroup_info 0
		.amdhsa_system_vgpr_workitem_id 0
		.amdhsa_next_free_vgpr 1
		.amdhsa_next_free_sgpr 0
		.amdhsa_accum_offset 4
		.amdhsa_reserve_vcc 0
		.amdhsa_reserve_flat_scratch 0
		.amdhsa_float_round_mode_32 0
		.amdhsa_float_round_mode_16_64 0
		.amdhsa_float_denorm_mode_32 3
		.amdhsa_float_denorm_mode_16_64 3
		.amdhsa_dx10_clamp 1
		.amdhsa_ieee_mode 1
		.amdhsa_fp16_overflow 0
		.amdhsa_tg_split 0
		.amdhsa_exception_fp_ieee_invalid_op 0
		.amdhsa_exception_fp_denorm_src 0
		.amdhsa_exception_fp_ieee_div_zero 0
		.amdhsa_exception_fp_ieee_overflow 0
		.amdhsa_exception_fp_ieee_underflow 0
		.amdhsa_exception_fp_ieee_inexact 0
		.amdhsa_exception_int_div_zero 0
	.end_amdhsa_kernel
	.section	.text._ZN7rocprim17ROCPRIM_400000_NS6detail17trampoline_kernelINS0_14default_configENS1_29reduce_by_key_config_selectorIxxN6thrust23THRUST_200600_302600_NS4plusIxEEEEZZNS1_33reduce_by_key_impl_wrapped_configILNS1_25lookback_scan_determinismE0ES3_S9_NS6_6detail15normal_iteratorINS6_10device_ptrIxEEEESG_SG_SG_PmS8_NS6_8equal_toIxEEEE10hipError_tPvRmT2_T3_mT4_T5_T6_T7_T8_P12ihipStream_tbENKUlT_T0_E_clISt17integral_constantIbLb1EES10_IbLb0EEEEDaSW_SX_EUlSW_E_NS1_11comp_targetILNS1_3genE3ELNS1_11target_archE908ELNS1_3gpuE7ELNS1_3repE0EEENS1_30default_config_static_selectorELNS0_4arch9wavefront6targetE1EEEvT1_,"axG",@progbits,_ZN7rocprim17ROCPRIM_400000_NS6detail17trampoline_kernelINS0_14default_configENS1_29reduce_by_key_config_selectorIxxN6thrust23THRUST_200600_302600_NS4plusIxEEEEZZNS1_33reduce_by_key_impl_wrapped_configILNS1_25lookback_scan_determinismE0ES3_S9_NS6_6detail15normal_iteratorINS6_10device_ptrIxEEEESG_SG_SG_PmS8_NS6_8equal_toIxEEEE10hipError_tPvRmT2_T3_mT4_T5_T6_T7_T8_P12ihipStream_tbENKUlT_T0_E_clISt17integral_constantIbLb1EES10_IbLb0EEEEDaSW_SX_EUlSW_E_NS1_11comp_targetILNS1_3genE3ELNS1_11target_archE908ELNS1_3gpuE7ELNS1_3repE0EEENS1_30default_config_static_selectorELNS0_4arch9wavefront6targetE1EEEvT1_,comdat
.Lfunc_end492:
	.size	_ZN7rocprim17ROCPRIM_400000_NS6detail17trampoline_kernelINS0_14default_configENS1_29reduce_by_key_config_selectorIxxN6thrust23THRUST_200600_302600_NS4plusIxEEEEZZNS1_33reduce_by_key_impl_wrapped_configILNS1_25lookback_scan_determinismE0ES3_S9_NS6_6detail15normal_iteratorINS6_10device_ptrIxEEEESG_SG_SG_PmS8_NS6_8equal_toIxEEEE10hipError_tPvRmT2_T3_mT4_T5_T6_T7_T8_P12ihipStream_tbENKUlT_T0_E_clISt17integral_constantIbLb1EES10_IbLb0EEEEDaSW_SX_EUlSW_E_NS1_11comp_targetILNS1_3genE3ELNS1_11target_archE908ELNS1_3gpuE7ELNS1_3repE0EEENS1_30default_config_static_selectorELNS0_4arch9wavefront6targetE1EEEvT1_, .Lfunc_end492-_ZN7rocprim17ROCPRIM_400000_NS6detail17trampoline_kernelINS0_14default_configENS1_29reduce_by_key_config_selectorIxxN6thrust23THRUST_200600_302600_NS4plusIxEEEEZZNS1_33reduce_by_key_impl_wrapped_configILNS1_25lookback_scan_determinismE0ES3_S9_NS6_6detail15normal_iteratorINS6_10device_ptrIxEEEESG_SG_SG_PmS8_NS6_8equal_toIxEEEE10hipError_tPvRmT2_T3_mT4_T5_T6_T7_T8_P12ihipStream_tbENKUlT_T0_E_clISt17integral_constantIbLb1EES10_IbLb0EEEEDaSW_SX_EUlSW_E_NS1_11comp_targetILNS1_3genE3ELNS1_11target_archE908ELNS1_3gpuE7ELNS1_3repE0EEENS1_30default_config_static_selectorELNS0_4arch9wavefront6targetE1EEEvT1_
                                        ; -- End function
	.section	.AMDGPU.csdata,"",@progbits
; Kernel info:
; codeLenInByte = 0
; NumSgprs: 4
; NumVgprs: 0
; NumAgprs: 0
; TotalNumVgprs: 0
; ScratchSize: 0
; MemoryBound: 0
; FloatMode: 240
; IeeeMode: 1
; LDSByteSize: 0 bytes/workgroup (compile time only)
; SGPRBlocks: 0
; VGPRBlocks: 0
; NumSGPRsForWavesPerEU: 4
; NumVGPRsForWavesPerEU: 1
; AccumOffset: 4
; Occupancy: 8
; WaveLimiterHint : 0
; COMPUTE_PGM_RSRC2:SCRATCH_EN: 0
; COMPUTE_PGM_RSRC2:USER_SGPR: 6
; COMPUTE_PGM_RSRC2:TRAP_HANDLER: 0
; COMPUTE_PGM_RSRC2:TGID_X_EN: 1
; COMPUTE_PGM_RSRC2:TGID_Y_EN: 0
; COMPUTE_PGM_RSRC2:TGID_Z_EN: 0
; COMPUTE_PGM_RSRC2:TIDIG_COMP_CNT: 0
; COMPUTE_PGM_RSRC3_GFX90A:ACCUM_OFFSET: 0
; COMPUTE_PGM_RSRC3_GFX90A:TG_SPLIT: 0
	.section	.text._ZN7rocprim17ROCPRIM_400000_NS6detail17trampoline_kernelINS0_14default_configENS1_29reduce_by_key_config_selectorIxxN6thrust23THRUST_200600_302600_NS4plusIxEEEEZZNS1_33reduce_by_key_impl_wrapped_configILNS1_25lookback_scan_determinismE0ES3_S9_NS6_6detail15normal_iteratorINS6_10device_ptrIxEEEESG_SG_SG_PmS8_NS6_8equal_toIxEEEE10hipError_tPvRmT2_T3_mT4_T5_T6_T7_T8_P12ihipStream_tbENKUlT_T0_E_clISt17integral_constantIbLb1EES10_IbLb0EEEEDaSW_SX_EUlSW_E_NS1_11comp_targetILNS1_3genE2ELNS1_11target_archE906ELNS1_3gpuE6ELNS1_3repE0EEENS1_30default_config_static_selectorELNS0_4arch9wavefront6targetE1EEEvT1_,"axG",@progbits,_ZN7rocprim17ROCPRIM_400000_NS6detail17trampoline_kernelINS0_14default_configENS1_29reduce_by_key_config_selectorIxxN6thrust23THRUST_200600_302600_NS4plusIxEEEEZZNS1_33reduce_by_key_impl_wrapped_configILNS1_25lookback_scan_determinismE0ES3_S9_NS6_6detail15normal_iteratorINS6_10device_ptrIxEEEESG_SG_SG_PmS8_NS6_8equal_toIxEEEE10hipError_tPvRmT2_T3_mT4_T5_T6_T7_T8_P12ihipStream_tbENKUlT_T0_E_clISt17integral_constantIbLb1EES10_IbLb0EEEEDaSW_SX_EUlSW_E_NS1_11comp_targetILNS1_3genE2ELNS1_11target_archE906ELNS1_3gpuE6ELNS1_3repE0EEENS1_30default_config_static_selectorELNS0_4arch9wavefront6targetE1EEEvT1_,comdat
	.protected	_ZN7rocprim17ROCPRIM_400000_NS6detail17trampoline_kernelINS0_14default_configENS1_29reduce_by_key_config_selectorIxxN6thrust23THRUST_200600_302600_NS4plusIxEEEEZZNS1_33reduce_by_key_impl_wrapped_configILNS1_25lookback_scan_determinismE0ES3_S9_NS6_6detail15normal_iteratorINS6_10device_ptrIxEEEESG_SG_SG_PmS8_NS6_8equal_toIxEEEE10hipError_tPvRmT2_T3_mT4_T5_T6_T7_T8_P12ihipStream_tbENKUlT_T0_E_clISt17integral_constantIbLb1EES10_IbLb0EEEEDaSW_SX_EUlSW_E_NS1_11comp_targetILNS1_3genE2ELNS1_11target_archE906ELNS1_3gpuE6ELNS1_3repE0EEENS1_30default_config_static_selectorELNS0_4arch9wavefront6targetE1EEEvT1_ ; -- Begin function _ZN7rocprim17ROCPRIM_400000_NS6detail17trampoline_kernelINS0_14default_configENS1_29reduce_by_key_config_selectorIxxN6thrust23THRUST_200600_302600_NS4plusIxEEEEZZNS1_33reduce_by_key_impl_wrapped_configILNS1_25lookback_scan_determinismE0ES3_S9_NS6_6detail15normal_iteratorINS6_10device_ptrIxEEEESG_SG_SG_PmS8_NS6_8equal_toIxEEEE10hipError_tPvRmT2_T3_mT4_T5_T6_T7_T8_P12ihipStream_tbENKUlT_T0_E_clISt17integral_constantIbLb1EES10_IbLb0EEEEDaSW_SX_EUlSW_E_NS1_11comp_targetILNS1_3genE2ELNS1_11target_archE906ELNS1_3gpuE6ELNS1_3repE0EEENS1_30default_config_static_selectorELNS0_4arch9wavefront6targetE1EEEvT1_
	.globl	_ZN7rocprim17ROCPRIM_400000_NS6detail17trampoline_kernelINS0_14default_configENS1_29reduce_by_key_config_selectorIxxN6thrust23THRUST_200600_302600_NS4plusIxEEEEZZNS1_33reduce_by_key_impl_wrapped_configILNS1_25lookback_scan_determinismE0ES3_S9_NS6_6detail15normal_iteratorINS6_10device_ptrIxEEEESG_SG_SG_PmS8_NS6_8equal_toIxEEEE10hipError_tPvRmT2_T3_mT4_T5_T6_T7_T8_P12ihipStream_tbENKUlT_T0_E_clISt17integral_constantIbLb1EES10_IbLb0EEEEDaSW_SX_EUlSW_E_NS1_11comp_targetILNS1_3genE2ELNS1_11target_archE906ELNS1_3gpuE6ELNS1_3repE0EEENS1_30default_config_static_selectorELNS0_4arch9wavefront6targetE1EEEvT1_
	.p2align	8
	.type	_ZN7rocprim17ROCPRIM_400000_NS6detail17trampoline_kernelINS0_14default_configENS1_29reduce_by_key_config_selectorIxxN6thrust23THRUST_200600_302600_NS4plusIxEEEEZZNS1_33reduce_by_key_impl_wrapped_configILNS1_25lookback_scan_determinismE0ES3_S9_NS6_6detail15normal_iteratorINS6_10device_ptrIxEEEESG_SG_SG_PmS8_NS6_8equal_toIxEEEE10hipError_tPvRmT2_T3_mT4_T5_T6_T7_T8_P12ihipStream_tbENKUlT_T0_E_clISt17integral_constantIbLb1EES10_IbLb0EEEEDaSW_SX_EUlSW_E_NS1_11comp_targetILNS1_3genE2ELNS1_11target_archE906ELNS1_3gpuE6ELNS1_3repE0EEENS1_30default_config_static_selectorELNS0_4arch9wavefront6targetE1EEEvT1_,@function
_ZN7rocprim17ROCPRIM_400000_NS6detail17trampoline_kernelINS0_14default_configENS1_29reduce_by_key_config_selectorIxxN6thrust23THRUST_200600_302600_NS4plusIxEEEEZZNS1_33reduce_by_key_impl_wrapped_configILNS1_25lookback_scan_determinismE0ES3_S9_NS6_6detail15normal_iteratorINS6_10device_ptrIxEEEESG_SG_SG_PmS8_NS6_8equal_toIxEEEE10hipError_tPvRmT2_T3_mT4_T5_T6_T7_T8_P12ihipStream_tbENKUlT_T0_E_clISt17integral_constantIbLb1EES10_IbLb0EEEEDaSW_SX_EUlSW_E_NS1_11comp_targetILNS1_3genE2ELNS1_11target_archE906ELNS1_3gpuE6ELNS1_3repE0EEENS1_30default_config_static_selectorELNS0_4arch9wavefront6targetE1EEEvT1_: ; @_ZN7rocprim17ROCPRIM_400000_NS6detail17trampoline_kernelINS0_14default_configENS1_29reduce_by_key_config_selectorIxxN6thrust23THRUST_200600_302600_NS4plusIxEEEEZZNS1_33reduce_by_key_impl_wrapped_configILNS1_25lookback_scan_determinismE0ES3_S9_NS6_6detail15normal_iteratorINS6_10device_ptrIxEEEESG_SG_SG_PmS8_NS6_8equal_toIxEEEE10hipError_tPvRmT2_T3_mT4_T5_T6_T7_T8_P12ihipStream_tbENKUlT_T0_E_clISt17integral_constantIbLb1EES10_IbLb0EEEEDaSW_SX_EUlSW_E_NS1_11comp_targetILNS1_3genE2ELNS1_11target_archE906ELNS1_3gpuE6ELNS1_3repE0EEENS1_30default_config_static_selectorELNS0_4arch9wavefront6targetE1EEEvT1_
; %bb.0:
	.section	.rodata,"a",@progbits
	.p2align	6, 0x0
	.amdhsa_kernel _ZN7rocprim17ROCPRIM_400000_NS6detail17trampoline_kernelINS0_14default_configENS1_29reduce_by_key_config_selectorIxxN6thrust23THRUST_200600_302600_NS4plusIxEEEEZZNS1_33reduce_by_key_impl_wrapped_configILNS1_25lookback_scan_determinismE0ES3_S9_NS6_6detail15normal_iteratorINS6_10device_ptrIxEEEESG_SG_SG_PmS8_NS6_8equal_toIxEEEE10hipError_tPvRmT2_T3_mT4_T5_T6_T7_T8_P12ihipStream_tbENKUlT_T0_E_clISt17integral_constantIbLb1EES10_IbLb0EEEEDaSW_SX_EUlSW_E_NS1_11comp_targetILNS1_3genE2ELNS1_11target_archE906ELNS1_3gpuE6ELNS1_3repE0EEENS1_30default_config_static_selectorELNS0_4arch9wavefront6targetE1EEEvT1_
		.amdhsa_group_segment_fixed_size 0
		.amdhsa_private_segment_fixed_size 0
		.amdhsa_kernarg_size 136
		.amdhsa_user_sgpr_count 6
		.amdhsa_user_sgpr_private_segment_buffer 1
		.amdhsa_user_sgpr_dispatch_ptr 0
		.amdhsa_user_sgpr_queue_ptr 0
		.amdhsa_user_sgpr_kernarg_segment_ptr 1
		.amdhsa_user_sgpr_dispatch_id 0
		.amdhsa_user_sgpr_flat_scratch_init 0
		.amdhsa_user_sgpr_kernarg_preload_length 0
		.amdhsa_user_sgpr_kernarg_preload_offset 0
		.amdhsa_user_sgpr_private_segment_size 0
		.amdhsa_uses_dynamic_stack 0
		.amdhsa_system_sgpr_private_segment_wavefront_offset 0
		.amdhsa_system_sgpr_workgroup_id_x 1
		.amdhsa_system_sgpr_workgroup_id_y 0
		.amdhsa_system_sgpr_workgroup_id_z 0
		.amdhsa_system_sgpr_workgroup_info 0
		.amdhsa_system_vgpr_workitem_id 0
		.amdhsa_next_free_vgpr 1
		.amdhsa_next_free_sgpr 0
		.amdhsa_accum_offset 4
		.amdhsa_reserve_vcc 0
		.amdhsa_reserve_flat_scratch 0
		.amdhsa_float_round_mode_32 0
		.amdhsa_float_round_mode_16_64 0
		.amdhsa_float_denorm_mode_32 3
		.amdhsa_float_denorm_mode_16_64 3
		.amdhsa_dx10_clamp 1
		.amdhsa_ieee_mode 1
		.amdhsa_fp16_overflow 0
		.amdhsa_tg_split 0
		.amdhsa_exception_fp_ieee_invalid_op 0
		.amdhsa_exception_fp_denorm_src 0
		.amdhsa_exception_fp_ieee_div_zero 0
		.amdhsa_exception_fp_ieee_overflow 0
		.amdhsa_exception_fp_ieee_underflow 0
		.amdhsa_exception_fp_ieee_inexact 0
		.amdhsa_exception_int_div_zero 0
	.end_amdhsa_kernel
	.section	.text._ZN7rocprim17ROCPRIM_400000_NS6detail17trampoline_kernelINS0_14default_configENS1_29reduce_by_key_config_selectorIxxN6thrust23THRUST_200600_302600_NS4plusIxEEEEZZNS1_33reduce_by_key_impl_wrapped_configILNS1_25lookback_scan_determinismE0ES3_S9_NS6_6detail15normal_iteratorINS6_10device_ptrIxEEEESG_SG_SG_PmS8_NS6_8equal_toIxEEEE10hipError_tPvRmT2_T3_mT4_T5_T6_T7_T8_P12ihipStream_tbENKUlT_T0_E_clISt17integral_constantIbLb1EES10_IbLb0EEEEDaSW_SX_EUlSW_E_NS1_11comp_targetILNS1_3genE2ELNS1_11target_archE906ELNS1_3gpuE6ELNS1_3repE0EEENS1_30default_config_static_selectorELNS0_4arch9wavefront6targetE1EEEvT1_,"axG",@progbits,_ZN7rocprim17ROCPRIM_400000_NS6detail17trampoline_kernelINS0_14default_configENS1_29reduce_by_key_config_selectorIxxN6thrust23THRUST_200600_302600_NS4plusIxEEEEZZNS1_33reduce_by_key_impl_wrapped_configILNS1_25lookback_scan_determinismE0ES3_S9_NS6_6detail15normal_iteratorINS6_10device_ptrIxEEEESG_SG_SG_PmS8_NS6_8equal_toIxEEEE10hipError_tPvRmT2_T3_mT4_T5_T6_T7_T8_P12ihipStream_tbENKUlT_T0_E_clISt17integral_constantIbLb1EES10_IbLb0EEEEDaSW_SX_EUlSW_E_NS1_11comp_targetILNS1_3genE2ELNS1_11target_archE906ELNS1_3gpuE6ELNS1_3repE0EEENS1_30default_config_static_selectorELNS0_4arch9wavefront6targetE1EEEvT1_,comdat
.Lfunc_end493:
	.size	_ZN7rocprim17ROCPRIM_400000_NS6detail17trampoline_kernelINS0_14default_configENS1_29reduce_by_key_config_selectorIxxN6thrust23THRUST_200600_302600_NS4plusIxEEEEZZNS1_33reduce_by_key_impl_wrapped_configILNS1_25lookback_scan_determinismE0ES3_S9_NS6_6detail15normal_iteratorINS6_10device_ptrIxEEEESG_SG_SG_PmS8_NS6_8equal_toIxEEEE10hipError_tPvRmT2_T3_mT4_T5_T6_T7_T8_P12ihipStream_tbENKUlT_T0_E_clISt17integral_constantIbLb1EES10_IbLb0EEEEDaSW_SX_EUlSW_E_NS1_11comp_targetILNS1_3genE2ELNS1_11target_archE906ELNS1_3gpuE6ELNS1_3repE0EEENS1_30default_config_static_selectorELNS0_4arch9wavefront6targetE1EEEvT1_, .Lfunc_end493-_ZN7rocprim17ROCPRIM_400000_NS6detail17trampoline_kernelINS0_14default_configENS1_29reduce_by_key_config_selectorIxxN6thrust23THRUST_200600_302600_NS4plusIxEEEEZZNS1_33reduce_by_key_impl_wrapped_configILNS1_25lookback_scan_determinismE0ES3_S9_NS6_6detail15normal_iteratorINS6_10device_ptrIxEEEESG_SG_SG_PmS8_NS6_8equal_toIxEEEE10hipError_tPvRmT2_T3_mT4_T5_T6_T7_T8_P12ihipStream_tbENKUlT_T0_E_clISt17integral_constantIbLb1EES10_IbLb0EEEEDaSW_SX_EUlSW_E_NS1_11comp_targetILNS1_3genE2ELNS1_11target_archE906ELNS1_3gpuE6ELNS1_3repE0EEENS1_30default_config_static_selectorELNS0_4arch9wavefront6targetE1EEEvT1_
                                        ; -- End function
	.section	.AMDGPU.csdata,"",@progbits
; Kernel info:
; codeLenInByte = 0
; NumSgprs: 4
; NumVgprs: 0
; NumAgprs: 0
; TotalNumVgprs: 0
; ScratchSize: 0
; MemoryBound: 0
; FloatMode: 240
; IeeeMode: 1
; LDSByteSize: 0 bytes/workgroup (compile time only)
; SGPRBlocks: 0
; VGPRBlocks: 0
; NumSGPRsForWavesPerEU: 4
; NumVGPRsForWavesPerEU: 1
; AccumOffset: 4
; Occupancy: 8
; WaveLimiterHint : 0
; COMPUTE_PGM_RSRC2:SCRATCH_EN: 0
; COMPUTE_PGM_RSRC2:USER_SGPR: 6
; COMPUTE_PGM_RSRC2:TRAP_HANDLER: 0
; COMPUTE_PGM_RSRC2:TGID_X_EN: 1
; COMPUTE_PGM_RSRC2:TGID_Y_EN: 0
; COMPUTE_PGM_RSRC2:TGID_Z_EN: 0
; COMPUTE_PGM_RSRC2:TIDIG_COMP_CNT: 0
; COMPUTE_PGM_RSRC3_GFX90A:ACCUM_OFFSET: 0
; COMPUTE_PGM_RSRC3_GFX90A:TG_SPLIT: 0
	.section	.text._ZN7rocprim17ROCPRIM_400000_NS6detail17trampoline_kernelINS0_14default_configENS1_29reduce_by_key_config_selectorIxxN6thrust23THRUST_200600_302600_NS4plusIxEEEEZZNS1_33reduce_by_key_impl_wrapped_configILNS1_25lookback_scan_determinismE0ES3_S9_NS6_6detail15normal_iteratorINS6_10device_ptrIxEEEESG_SG_SG_PmS8_NS6_8equal_toIxEEEE10hipError_tPvRmT2_T3_mT4_T5_T6_T7_T8_P12ihipStream_tbENKUlT_T0_E_clISt17integral_constantIbLb1EES10_IbLb0EEEEDaSW_SX_EUlSW_E_NS1_11comp_targetILNS1_3genE10ELNS1_11target_archE1201ELNS1_3gpuE5ELNS1_3repE0EEENS1_30default_config_static_selectorELNS0_4arch9wavefront6targetE1EEEvT1_,"axG",@progbits,_ZN7rocprim17ROCPRIM_400000_NS6detail17trampoline_kernelINS0_14default_configENS1_29reduce_by_key_config_selectorIxxN6thrust23THRUST_200600_302600_NS4plusIxEEEEZZNS1_33reduce_by_key_impl_wrapped_configILNS1_25lookback_scan_determinismE0ES3_S9_NS6_6detail15normal_iteratorINS6_10device_ptrIxEEEESG_SG_SG_PmS8_NS6_8equal_toIxEEEE10hipError_tPvRmT2_T3_mT4_T5_T6_T7_T8_P12ihipStream_tbENKUlT_T0_E_clISt17integral_constantIbLb1EES10_IbLb0EEEEDaSW_SX_EUlSW_E_NS1_11comp_targetILNS1_3genE10ELNS1_11target_archE1201ELNS1_3gpuE5ELNS1_3repE0EEENS1_30default_config_static_selectorELNS0_4arch9wavefront6targetE1EEEvT1_,comdat
	.protected	_ZN7rocprim17ROCPRIM_400000_NS6detail17trampoline_kernelINS0_14default_configENS1_29reduce_by_key_config_selectorIxxN6thrust23THRUST_200600_302600_NS4plusIxEEEEZZNS1_33reduce_by_key_impl_wrapped_configILNS1_25lookback_scan_determinismE0ES3_S9_NS6_6detail15normal_iteratorINS6_10device_ptrIxEEEESG_SG_SG_PmS8_NS6_8equal_toIxEEEE10hipError_tPvRmT2_T3_mT4_T5_T6_T7_T8_P12ihipStream_tbENKUlT_T0_E_clISt17integral_constantIbLb1EES10_IbLb0EEEEDaSW_SX_EUlSW_E_NS1_11comp_targetILNS1_3genE10ELNS1_11target_archE1201ELNS1_3gpuE5ELNS1_3repE0EEENS1_30default_config_static_selectorELNS0_4arch9wavefront6targetE1EEEvT1_ ; -- Begin function _ZN7rocprim17ROCPRIM_400000_NS6detail17trampoline_kernelINS0_14default_configENS1_29reduce_by_key_config_selectorIxxN6thrust23THRUST_200600_302600_NS4plusIxEEEEZZNS1_33reduce_by_key_impl_wrapped_configILNS1_25lookback_scan_determinismE0ES3_S9_NS6_6detail15normal_iteratorINS6_10device_ptrIxEEEESG_SG_SG_PmS8_NS6_8equal_toIxEEEE10hipError_tPvRmT2_T3_mT4_T5_T6_T7_T8_P12ihipStream_tbENKUlT_T0_E_clISt17integral_constantIbLb1EES10_IbLb0EEEEDaSW_SX_EUlSW_E_NS1_11comp_targetILNS1_3genE10ELNS1_11target_archE1201ELNS1_3gpuE5ELNS1_3repE0EEENS1_30default_config_static_selectorELNS0_4arch9wavefront6targetE1EEEvT1_
	.globl	_ZN7rocprim17ROCPRIM_400000_NS6detail17trampoline_kernelINS0_14default_configENS1_29reduce_by_key_config_selectorIxxN6thrust23THRUST_200600_302600_NS4plusIxEEEEZZNS1_33reduce_by_key_impl_wrapped_configILNS1_25lookback_scan_determinismE0ES3_S9_NS6_6detail15normal_iteratorINS6_10device_ptrIxEEEESG_SG_SG_PmS8_NS6_8equal_toIxEEEE10hipError_tPvRmT2_T3_mT4_T5_T6_T7_T8_P12ihipStream_tbENKUlT_T0_E_clISt17integral_constantIbLb1EES10_IbLb0EEEEDaSW_SX_EUlSW_E_NS1_11comp_targetILNS1_3genE10ELNS1_11target_archE1201ELNS1_3gpuE5ELNS1_3repE0EEENS1_30default_config_static_selectorELNS0_4arch9wavefront6targetE1EEEvT1_
	.p2align	8
	.type	_ZN7rocprim17ROCPRIM_400000_NS6detail17trampoline_kernelINS0_14default_configENS1_29reduce_by_key_config_selectorIxxN6thrust23THRUST_200600_302600_NS4plusIxEEEEZZNS1_33reduce_by_key_impl_wrapped_configILNS1_25lookback_scan_determinismE0ES3_S9_NS6_6detail15normal_iteratorINS6_10device_ptrIxEEEESG_SG_SG_PmS8_NS6_8equal_toIxEEEE10hipError_tPvRmT2_T3_mT4_T5_T6_T7_T8_P12ihipStream_tbENKUlT_T0_E_clISt17integral_constantIbLb1EES10_IbLb0EEEEDaSW_SX_EUlSW_E_NS1_11comp_targetILNS1_3genE10ELNS1_11target_archE1201ELNS1_3gpuE5ELNS1_3repE0EEENS1_30default_config_static_selectorELNS0_4arch9wavefront6targetE1EEEvT1_,@function
_ZN7rocprim17ROCPRIM_400000_NS6detail17trampoline_kernelINS0_14default_configENS1_29reduce_by_key_config_selectorIxxN6thrust23THRUST_200600_302600_NS4plusIxEEEEZZNS1_33reduce_by_key_impl_wrapped_configILNS1_25lookback_scan_determinismE0ES3_S9_NS6_6detail15normal_iteratorINS6_10device_ptrIxEEEESG_SG_SG_PmS8_NS6_8equal_toIxEEEE10hipError_tPvRmT2_T3_mT4_T5_T6_T7_T8_P12ihipStream_tbENKUlT_T0_E_clISt17integral_constantIbLb1EES10_IbLb0EEEEDaSW_SX_EUlSW_E_NS1_11comp_targetILNS1_3genE10ELNS1_11target_archE1201ELNS1_3gpuE5ELNS1_3repE0EEENS1_30default_config_static_selectorELNS0_4arch9wavefront6targetE1EEEvT1_: ; @_ZN7rocprim17ROCPRIM_400000_NS6detail17trampoline_kernelINS0_14default_configENS1_29reduce_by_key_config_selectorIxxN6thrust23THRUST_200600_302600_NS4plusIxEEEEZZNS1_33reduce_by_key_impl_wrapped_configILNS1_25lookback_scan_determinismE0ES3_S9_NS6_6detail15normal_iteratorINS6_10device_ptrIxEEEESG_SG_SG_PmS8_NS6_8equal_toIxEEEE10hipError_tPvRmT2_T3_mT4_T5_T6_T7_T8_P12ihipStream_tbENKUlT_T0_E_clISt17integral_constantIbLb1EES10_IbLb0EEEEDaSW_SX_EUlSW_E_NS1_11comp_targetILNS1_3genE10ELNS1_11target_archE1201ELNS1_3gpuE5ELNS1_3repE0EEENS1_30default_config_static_selectorELNS0_4arch9wavefront6targetE1EEEvT1_
; %bb.0:
	.section	.rodata,"a",@progbits
	.p2align	6, 0x0
	.amdhsa_kernel _ZN7rocprim17ROCPRIM_400000_NS6detail17trampoline_kernelINS0_14default_configENS1_29reduce_by_key_config_selectorIxxN6thrust23THRUST_200600_302600_NS4plusIxEEEEZZNS1_33reduce_by_key_impl_wrapped_configILNS1_25lookback_scan_determinismE0ES3_S9_NS6_6detail15normal_iteratorINS6_10device_ptrIxEEEESG_SG_SG_PmS8_NS6_8equal_toIxEEEE10hipError_tPvRmT2_T3_mT4_T5_T6_T7_T8_P12ihipStream_tbENKUlT_T0_E_clISt17integral_constantIbLb1EES10_IbLb0EEEEDaSW_SX_EUlSW_E_NS1_11comp_targetILNS1_3genE10ELNS1_11target_archE1201ELNS1_3gpuE5ELNS1_3repE0EEENS1_30default_config_static_selectorELNS0_4arch9wavefront6targetE1EEEvT1_
		.amdhsa_group_segment_fixed_size 0
		.amdhsa_private_segment_fixed_size 0
		.amdhsa_kernarg_size 136
		.amdhsa_user_sgpr_count 6
		.amdhsa_user_sgpr_private_segment_buffer 1
		.amdhsa_user_sgpr_dispatch_ptr 0
		.amdhsa_user_sgpr_queue_ptr 0
		.amdhsa_user_sgpr_kernarg_segment_ptr 1
		.amdhsa_user_sgpr_dispatch_id 0
		.amdhsa_user_sgpr_flat_scratch_init 0
		.amdhsa_user_sgpr_kernarg_preload_length 0
		.amdhsa_user_sgpr_kernarg_preload_offset 0
		.amdhsa_user_sgpr_private_segment_size 0
		.amdhsa_uses_dynamic_stack 0
		.amdhsa_system_sgpr_private_segment_wavefront_offset 0
		.amdhsa_system_sgpr_workgroup_id_x 1
		.amdhsa_system_sgpr_workgroup_id_y 0
		.amdhsa_system_sgpr_workgroup_id_z 0
		.amdhsa_system_sgpr_workgroup_info 0
		.amdhsa_system_vgpr_workitem_id 0
		.amdhsa_next_free_vgpr 1
		.amdhsa_next_free_sgpr 0
		.amdhsa_accum_offset 4
		.amdhsa_reserve_vcc 0
		.amdhsa_reserve_flat_scratch 0
		.amdhsa_float_round_mode_32 0
		.amdhsa_float_round_mode_16_64 0
		.amdhsa_float_denorm_mode_32 3
		.amdhsa_float_denorm_mode_16_64 3
		.amdhsa_dx10_clamp 1
		.amdhsa_ieee_mode 1
		.amdhsa_fp16_overflow 0
		.amdhsa_tg_split 0
		.amdhsa_exception_fp_ieee_invalid_op 0
		.amdhsa_exception_fp_denorm_src 0
		.amdhsa_exception_fp_ieee_div_zero 0
		.amdhsa_exception_fp_ieee_overflow 0
		.amdhsa_exception_fp_ieee_underflow 0
		.amdhsa_exception_fp_ieee_inexact 0
		.amdhsa_exception_int_div_zero 0
	.end_amdhsa_kernel
	.section	.text._ZN7rocprim17ROCPRIM_400000_NS6detail17trampoline_kernelINS0_14default_configENS1_29reduce_by_key_config_selectorIxxN6thrust23THRUST_200600_302600_NS4plusIxEEEEZZNS1_33reduce_by_key_impl_wrapped_configILNS1_25lookback_scan_determinismE0ES3_S9_NS6_6detail15normal_iteratorINS6_10device_ptrIxEEEESG_SG_SG_PmS8_NS6_8equal_toIxEEEE10hipError_tPvRmT2_T3_mT4_T5_T6_T7_T8_P12ihipStream_tbENKUlT_T0_E_clISt17integral_constantIbLb1EES10_IbLb0EEEEDaSW_SX_EUlSW_E_NS1_11comp_targetILNS1_3genE10ELNS1_11target_archE1201ELNS1_3gpuE5ELNS1_3repE0EEENS1_30default_config_static_selectorELNS0_4arch9wavefront6targetE1EEEvT1_,"axG",@progbits,_ZN7rocprim17ROCPRIM_400000_NS6detail17trampoline_kernelINS0_14default_configENS1_29reduce_by_key_config_selectorIxxN6thrust23THRUST_200600_302600_NS4plusIxEEEEZZNS1_33reduce_by_key_impl_wrapped_configILNS1_25lookback_scan_determinismE0ES3_S9_NS6_6detail15normal_iteratorINS6_10device_ptrIxEEEESG_SG_SG_PmS8_NS6_8equal_toIxEEEE10hipError_tPvRmT2_T3_mT4_T5_T6_T7_T8_P12ihipStream_tbENKUlT_T0_E_clISt17integral_constantIbLb1EES10_IbLb0EEEEDaSW_SX_EUlSW_E_NS1_11comp_targetILNS1_3genE10ELNS1_11target_archE1201ELNS1_3gpuE5ELNS1_3repE0EEENS1_30default_config_static_selectorELNS0_4arch9wavefront6targetE1EEEvT1_,comdat
.Lfunc_end494:
	.size	_ZN7rocprim17ROCPRIM_400000_NS6detail17trampoline_kernelINS0_14default_configENS1_29reduce_by_key_config_selectorIxxN6thrust23THRUST_200600_302600_NS4plusIxEEEEZZNS1_33reduce_by_key_impl_wrapped_configILNS1_25lookback_scan_determinismE0ES3_S9_NS6_6detail15normal_iteratorINS6_10device_ptrIxEEEESG_SG_SG_PmS8_NS6_8equal_toIxEEEE10hipError_tPvRmT2_T3_mT4_T5_T6_T7_T8_P12ihipStream_tbENKUlT_T0_E_clISt17integral_constantIbLb1EES10_IbLb0EEEEDaSW_SX_EUlSW_E_NS1_11comp_targetILNS1_3genE10ELNS1_11target_archE1201ELNS1_3gpuE5ELNS1_3repE0EEENS1_30default_config_static_selectorELNS0_4arch9wavefront6targetE1EEEvT1_, .Lfunc_end494-_ZN7rocprim17ROCPRIM_400000_NS6detail17trampoline_kernelINS0_14default_configENS1_29reduce_by_key_config_selectorIxxN6thrust23THRUST_200600_302600_NS4plusIxEEEEZZNS1_33reduce_by_key_impl_wrapped_configILNS1_25lookback_scan_determinismE0ES3_S9_NS6_6detail15normal_iteratorINS6_10device_ptrIxEEEESG_SG_SG_PmS8_NS6_8equal_toIxEEEE10hipError_tPvRmT2_T3_mT4_T5_T6_T7_T8_P12ihipStream_tbENKUlT_T0_E_clISt17integral_constantIbLb1EES10_IbLb0EEEEDaSW_SX_EUlSW_E_NS1_11comp_targetILNS1_3genE10ELNS1_11target_archE1201ELNS1_3gpuE5ELNS1_3repE0EEENS1_30default_config_static_selectorELNS0_4arch9wavefront6targetE1EEEvT1_
                                        ; -- End function
	.section	.AMDGPU.csdata,"",@progbits
; Kernel info:
; codeLenInByte = 0
; NumSgprs: 4
; NumVgprs: 0
; NumAgprs: 0
; TotalNumVgprs: 0
; ScratchSize: 0
; MemoryBound: 0
; FloatMode: 240
; IeeeMode: 1
; LDSByteSize: 0 bytes/workgroup (compile time only)
; SGPRBlocks: 0
; VGPRBlocks: 0
; NumSGPRsForWavesPerEU: 4
; NumVGPRsForWavesPerEU: 1
; AccumOffset: 4
; Occupancy: 8
; WaveLimiterHint : 0
; COMPUTE_PGM_RSRC2:SCRATCH_EN: 0
; COMPUTE_PGM_RSRC2:USER_SGPR: 6
; COMPUTE_PGM_RSRC2:TRAP_HANDLER: 0
; COMPUTE_PGM_RSRC2:TGID_X_EN: 1
; COMPUTE_PGM_RSRC2:TGID_Y_EN: 0
; COMPUTE_PGM_RSRC2:TGID_Z_EN: 0
; COMPUTE_PGM_RSRC2:TIDIG_COMP_CNT: 0
; COMPUTE_PGM_RSRC3_GFX90A:ACCUM_OFFSET: 0
; COMPUTE_PGM_RSRC3_GFX90A:TG_SPLIT: 0
	.section	.text._ZN7rocprim17ROCPRIM_400000_NS6detail17trampoline_kernelINS0_14default_configENS1_29reduce_by_key_config_selectorIxxN6thrust23THRUST_200600_302600_NS4plusIxEEEEZZNS1_33reduce_by_key_impl_wrapped_configILNS1_25lookback_scan_determinismE0ES3_S9_NS6_6detail15normal_iteratorINS6_10device_ptrIxEEEESG_SG_SG_PmS8_NS6_8equal_toIxEEEE10hipError_tPvRmT2_T3_mT4_T5_T6_T7_T8_P12ihipStream_tbENKUlT_T0_E_clISt17integral_constantIbLb1EES10_IbLb0EEEEDaSW_SX_EUlSW_E_NS1_11comp_targetILNS1_3genE10ELNS1_11target_archE1200ELNS1_3gpuE4ELNS1_3repE0EEENS1_30default_config_static_selectorELNS0_4arch9wavefront6targetE1EEEvT1_,"axG",@progbits,_ZN7rocprim17ROCPRIM_400000_NS6detail17trampoline_kernelINS0_14default_configENS1_29reduce_by_key_config_selectorIxxN6thrust23THRUST_200600_302600_NS4plusIxEEEEZZNS1_33reduce_by_key_impl_wrapped_configILNS1_25lookback_scan_determinismE0ES3_S9_NS6_6detail15normal_iteratorINS6_10device_ptrIxEEEESG_SG_SG_PmS8_NS6_8equal_toIxEEEE10hipError_tPvRmT2_T3_mT4_T5_T6_T7_T8_P12ihipStream_tbENKUlT_T0_E_clISt17integral_constantIbLb1EES10_IbLb0EEEEDaSW_SX_EUlSW_E_NS1_11comp_targetILNS1_3genE10ELNS1_11target_archE1200ELNS1_3gpuE4ELNS1_3repE0EEENS1_30default_config_static_selectorELNS0_4arch9wavefront6targetE1EEEvT1_,comdat
	.protected	_ZN7rocprim17ROCPRIM_400000_NS6detail17trampoline_kernelINS0_14default_configENS1_29reduce_by_key_config_selectorIxxN6thrust23THRUST_200600_302600_NS4plusIxEEEEZZNS1_33reduce_by_key_impl_wrapped_configILNS1_25lookback_scan_determinismE0ES3_S9_NS6_6detail15normal_iteratorINS6_10device_ptrIxEEEESG_SG_SG_PmS8_NS6_8equal_toIxEEEE10hipError_tPvRmT2_T3_mT4_T5_T6_T7_T8_P12ihipStream_tbENKUlT_T0_E_clISt17integral_constantIbLb1EES10_IbLb0EEEEDaSW_SX_EUlSW_E_NS1_11comp_targetILNS1_3genE10ELNS1_11target_archE1200ELNS1_3gpuE4ELNS1_3repE0EEENS1_30default_config_static_selectorELNS0_4arch9wavefront6targetE1EEEvT1_ ; -- Begin function _ZN7rocprim17ROCPRIM_400000_NS6detail17trampoline_kernelINS0_14default_configENS1_29reduce_by_key_config_selectorIxxN6thrust23THRUST_200600_302600_NS4plusIxEEEEZZNS1_33reduce_by_key_impl_wrapped_configILNS1_25lookback_scan_determinismE0ES3_S9_NS6_6detail15normal_iteratorINS6_10device_ptrIxEEEESG_SG_SG_PmS8_NS6_8equal_toIxEEEE10hipError_tPvRmT2_T3_mT4_T5_T6_T7_T8_P12ihipStream_tbENKUlT_T0_E_clISt17integral_constantIbLb1EES10_IbLb0EEEEDaSW_SX_EUlSW_E_NS1_11comp_targetILNS1_3genE10ELNS1_11target_archE1200ELNS1_3gpuE4ELNS1_3repE0EEENS1_30default_config_static_selectorELNS0_4arch9wavefront6targetE1EEEvT1_
	.globl	_ZN7rocprim17ROCPRIM_400000_NS6detail17trampoline_kernelINS0_14default_configENS1_29reduce_by_key_config_selectorIxxN6thrust23THRUST_200600_302600_NS4plusIxEEEEZZNS1_33reduce_by_key_impl_wrapped_configILNS1_25lookback_scan_determinismE0ES3_S9_NS6_6detail15normal_iteratorINS6_10device_ptrIxEEEESG_SG_SG_PmS8_NS6_8equal_toIxEEEE10hipError_tPvRmT2_T3_mT4_T5_T6_T7_T8_P12ihipStream_tbENKUlT_T0_E_clISt17integral_constantIbLb1EES10_IbLb0EEEEDaSW_SX_EUlSW_E_NS1_11comp_targetILNS1_3genE10ELNS1_11target_archE1200ELNS1_3gpuE4ELNS1_3repE0EEENS1_30default_config_static_selectorELNS0_4arch9wavefront6targetE1EEEvT1_
	.p2align	8
	.type	_ZN7rocprim17ROCPRIM_400000_NS6detail17trampoline_kernelINS0_14default_configENS1_29reduce_by_key_config_selectorIxxN6thrust23THRUST_200600_302600_NS4plusIxEEEEZZNS1_33reduce_by_key_impl_wrapped_configILNS1_25lookback_scan_determinismE0ES3_S9_NS6_6detail15normal_iteratorINS6_10device_ptrIxEEEESG_SG_SG_PmS8_NS6_8equal_toIxEEEE10hipError_tPvRmT2_T3_mT4_T5_T6_T7_T8_P12ihipStream_tbENKUlT_T0_E_clISt17integral_constantIbLb1EES10_IbLb0EEEEDaSW_SX_EUlSW_E_NS1_11comp_targetILNS1_3genE10ELNS1_11target_archE1200ELNS1_3gpuE4ELNS1_3repE0EEENS1_30default_config_static_selectorELNS0_4arch9wavefront6targetE1EEEvT1_,@function
_ZN7rocprim17ROCPRIM_400000_NS6detail17trampoline_kernelINS0_14default_configENS1_29reduce_by_key_config_selectorIxxN6thrust23THRUST_200600_302600_NS4plusIxEEEEZZNS1_33reduce_by_key_impl_wrapped_configILNS1_25lookback_scan_determinismE0ES3_S9_NS6_6detail15normal_iteratorINS6_10device_ptrIxEEEESG_SG_SG_PmS8_NS6_8equal_toIxEEEE10hipError_tPvRmT2_T3_mT4_T5_T6_T7_T8_P12ihipStream_tbENKUlT_T0_E_clISt17integral_constantIbLb1EES10_IbLb0EEEEDaSW_SX_EUlSW_E_NS1_11comp_targetILNS1_3genE10ELNS1_11target_archE1200ELNS1_3gpuE4ELNS1_3repE0EEENS1_30default_config_static_selectorELNS0_4arch9wavefront6targetE1EEEvT1_: ; @_ZN7rocprim17ROCPRIM_400000_NS6detail17trampoline_kernelINS0_14default_configENS1_29reduce_by_key_config_selectorIxxN6thrust23THRUST_200600_302600_NS4plusIxEEEEZZNS1_33reduce_by_key_impl_wrapped_configILNS1_25lookback_scan_determinismE0ES3_S9_NS6_6detail15normal_iteratorINS6_10device_ptrIxEEEESG_SG_SG_PmS8_NS6_8equal_toIxEEEE10hipError_tPvRmT2_T3_mT4_T5_T6_T7_T8_P12ihipStream_tbENKUlT_T0_E_clISt17integral_constantIbLb1EES10_IbLb0EEEEDaSW_SX_EUlSW_E_NS1_11comp_targetILNS1_3genE10ELNS1_11target_archE1200ELNS1_3gpuE4ELNS1_3repE0EEENS1_30default_config_static_selectorELNS0_4arch9wavefront6targetE1EEEvT1_
; %bb.0:
	.section	.rodata,"a",@progbits
	.p2align	6, 0x0
	.amdhsa_kernel _ZN7rocprim17ROCPRIM_400000_NS6detail17trampoline_kernelINS0_14default_configENS1_29reduce_by_key_config_selectorIxxN6thrust23THRUST_200600_302600_NS4plusIxEEEEZZNS1_33reduce_by_key_impl_wrapped_configILNS1_25lookback_scan_determinismE0ES3_S9_NS6_6detail15normal_iteratorINS6_10device_ptrIxEEEESG_SG_SG_PmS8_NS6_8equal_toIxEEEE10hipError_tPvRmT2_T3_mT4_T5_T6_T7_T8_P12ihipStream_tbENKUlT_T0_E_clISt17integral_constantIbLb1EES10_IbLb0EEEEDaSW_SX_EUlSW_E_NS1_11comp_targetILNS1_3genE10ELNS1_11target_archE1200ELNS1_3gpuE4ELNS1_3repE0EEENS1_30default_config_static_selectorELNS0_4arch9wavefront6targetE1EEEvT1_
		.amdhsa_group_segment_fixed_size 0
		.amdhsa_private_segment_fixed_size 0
		.amdhsa_kernarg_size 136
		.amdhsa_user_sgpr_count 6
		.amdhsa_user_sgpr_private_segment_buffer 1
		.amdhsa_user_sgpr_dispatch_ptr 0
		.amdhsa_user_sgpr_queue_ptr 0
		.amdhsa_user_sgpr_kernarg_segment_ptr 1
		.amdhsa_user_sgpr_dispatch_id 0
		.amdhsa_user_sgpr_flat_scratch_init 0
		.amdhsa_user_sgpr_kernarg_preload_length 0
		.amdhsa_user_sgpr_kernarg_preload_offset 0
		.amdhsa_user_sgpr_private_segment_size 0
		.amdhsa_uses_dynamic_stack 0
		.amdhsa_system_sgpr_private_segment_wavefront_offset 0
		.amdhsa_system_sgpr_workgroup_id_x 1
		.amdhsa_system_sgpr_workgroup_id_y 0
		.amdhsa_system_sgpr_workgroup_id_z 0
		.amdhsa_system_sgpr_workgroup_info 0
		.amdhsa_system_vgpr_workitem_id 0
		.amdhsa_next_free_vgpr 1
		.amdhsa_next_free_sgpr 0
		.amdhsa_accum_offset 4
		.amdhsa_reserve_vcc 0
		.amdhsa_reserve_flat_scratch 0
		.amdhsa_float_round_mode_32 0
		.amdhsa_float_round_mode_16_64 0
		.amdhsa_float_denorm_mode_32 3
		.amdhsa_float_denorm_mode_16_64 3
		.amdhsa_dx10_clamp 1
		.amdhsa_ieee_mode 1
		.amdhsa_fp16_overflow 0
		.amdhsa_tg_split 0
		.amdhsa_exception_fp_ieee_invalid_op 0
		.amdhsa_exception_fp_denorm_src 0
		.amdhsa_exception_fp_ieee_div_zero 0
		.amdhsa_exception_fp_ieee_overflow 0
		.amdhsa_exception_fp_ieee_underflow 0
		.amdhsa_exception_fp_ieee_inexact 0
		.amdhsa_exception_int_div_zero 0
	.end_amdhsa_kernel
	.section	.text._ZN7rocprim17ROCPRIM_400000_NS6detail17trampoline_kernelINS0_14default_configENS1_29reduce_by_key_config_selectorIxxN6thrust23THRUST_200600_302600_NS4plusIxEEEEZZNS1_33reduce_by_key_impl_wrapped_configILNS1_25lookback_scan_determinismE0ES3_S9_NS6_6detail15normal_iteratorINS6_10device_ptrIxEEEESG_SG_SG_PmS8_NS6_8equal_toIxEEEE10hipError_tPvRmT2_T3_mT4_T5_T6_T7_T8_P12ihipStream_tbENKUlT_T0_E_clISt17integral_constantIbLb1EES10_IbLb0EEEEDaSW_SX_EUlSW_E_NS1_11comp_targetILNS1_3genE10ELNS1_11target_archE1200ELNS1_3gpuE4ELNS1_3repE0EEENS1_30default_config_static_selectorELNS0_4arch9wavefront6targetE1EEEvT1_,"axG",@progbits,_ZN7rocprim17ROCPRIM_400000_NS6detail17trampoline_kernelINS0_14default_configENS1_29reduce_by_key_config_selectorIxxN6thrust23THRUST_200600_302600_NS4plusIxEEEEZZNS1_33reduce_by_key_impl_wrapped_configILNS1_25lookback_scan_determinismE0ES3_S9_NS6_6detail15normal_iteratorINS6_10device_ptrIxEEEESG_SG_SG_PmS8_NS6_8equal_toIxEEEE10hipError_tPvRmT2_T3_mT4_T5_T6_T7_T8_P12ihipStream_tbENKUlT_T0_E_clISt17integral_constantIbLb1EES10_IbLb0EEEEDaSW_SX_EUlSW_E_NS1_11comp_targetILNS1_3genE10ELNS1_11target_archE1200ELNS1_3gpuE4ELNS1_3repE0EEENS1_30default_config_static_selectorELNS0_4arch9wavefront6targetE1EEEvT1_,comdat
.Lfunc_end495:
	.size	_ZN7rocprim17ROCPRIM_400000_NS6detail17trampoline_kernelINS0_14default_configENS1_29reduce_by_key_config_selectorIxxN6thrust23THRUST_200600_302600_NS4plusIxEEEEZZNS1_33reduce_by_key_impl_wrapped_configILNS1_25lookback_scan_determinismE0ES3_S9_NS6_6detail15normal_iteratorINS6_10device_ptrIxEEEESG_SG_SG_PmS8_NS6_8equal_toIxEEEE10hipError_tPvRmT2_T3_mT4_T5_T6_T7_T8_P12ihipStream_tbENKUlT_T0_E_clISt17integral_constantIbLb1EES10_IbLb0EEEEDaSW_SX_EUlSW_E_NS1_11comp_targetILNS1_3genE10ELNS1_11target_archE1200ELNS1_3gpuE4ELNS1_3repE0EEENS1_30default_config_static_selectorELNS0_4arch9wavefront6targetE1EEEvT1_, .Lfunc_end495-_ZN7rocprim17ROCPRIM_400000_NS6detail17trampoline_kernelINS0_14default_configENS1_29reduce_by_key_config_selectorIxxN6thrust23THRUST_200600_302600_NS4plusIxEEEEZZNS1_33reduce_by_key_impl_wrapped_configILNS1_25lookback_scan_determinismE0ES3_S9_NS6_6detail15normal_iteratorINS6_10device_ptrIxEEEESG_SG_SG_PmS8_NS6_8equal_toIxEEEE10hipError_tPvRmT2_T3_mT4_T5_T6_T7_T8_P12ihipStream_tbENKUlT_T0_E_clISt17integral_constantIbLb1EES10_IbLb0EEEEDaSW_SX_EUlSW_E_NS1_11comp_targetILNS1_3genE10ELNS1_11target_archE1200ELNS1_3gpuE4ELNS1_3repE0EEENS1_30default_config_static_selectorELNS0_4arch9wavefront6targetE1EEEvT1_
                                        ; -- End function
	.section	.AMDGPU.csdata,"",@progbits
; Kernel info:
; codeLenInByte = 0
; NumSgprs: 4
; NumVgprs: 0
; NumAgprs: 0
; TotalNumVgprs: 0
; ScratchSize: 0
; MemoryBound: 0
; FloatMode: 240
; IeeeMode: 1
; LDSByteSize: 0 bytes/workgroup (compile time only)
; SGPRBlocks: 0
; VGPRBlocks: 0
; NumSGPRsForWavesPerEU: 4
; NumVGPRsForWavesPerEU: 1
; AccumOffset: 4
; Occupancy: 8
; WaveLimiterHint : 0
; COMPUTE_PGM_RSRC2:SCRATCH_EN: 0
; COMPUTE_PGM_RSRC2:USER_SGPR: 6
; COMPUTE_PGM_RSRC2:TRAP_HANDLER: 0
; COMPUTE_PGM_RSRC2:TGID_X_EN: 1
; COMPUTE_PGM_RSRC2:TGID_Y_EN: 0
; COMPUTE_PGM_RSRC2:TGID_Z_EN: 0
; COMPUTE_PGM_RSRC2:TIDIG_COMP_CNT: 0
; COMPUTE_PGM_RSRC3_GFX90A:ACCUM_OFFSET: 0
; COMPUTE_PGM_RSRC3_GFX90A:TG_SPLIT: 0
	.section	.text._ZN7rocprim17ROCPRIM_400000_NS6detail17trampoline_kernelINS0_14default_configENS1_29reduce_by_key_config_selectorIxxN6thrust23THRUST_200600_302600_NS4plusIxEEEEZZNS1_33reduce_by_key_impl_wrapped_configILNS1_25lookback_scan_determinismE0ES3_S9_NS6_6detail15normal_iteratorINS6_10device_ptrIxEEEESG_SG_SG_PmS8_NS6_8equal_toIxEEEE10hipError_tPvRmT2_T3_mT4_T5_T6_T7_T8_P12ihipStream_tbENKUlT_T0_E_clISt17integral_constantIbLb1EES10_IbLb0EEEEDaSW_SX_EUlSW_E_NS1_11comp_targetILNS1_3genE9ELNS1_11target_archE1100ELNS1_3gpuE3ELNS1_3repE0EEENS1_30default_config_static_selectorELNS0_4arch9wavefront6targetE1EEEvT1_,"axG",@progbits,_ZN7rocprim17ROCPRIM_400000_NS6detail17trampoline_kernelINS0_14default_configENS1_29reduce_by_key_config_selectorIxxN6thrust23THRUST_200600_302600_NS4plusIxEEEEZZNS1_33reduce_by_key_impl_wrapped_configILNS1_25lookback_scan_determinismE0ES3_S9_NS6_6detail15normal_iteratorINS6_10device_ptrIxEEEESG_SG_SG_PmS8_NS6_8equal_toIxEEEE10hipError_tPvRmT2_T3_mT4_T5_T6_T7_T8_P12ihipStream_tbENKUlT_T0_E_clISt17integral_constantIbLb1EES10_IbLb0EEEEDaSW_SX_EUlSW_E_NS1_11comp_targetILNS1_3genE9ELNS1_11target_archE1100ELNS1_3gpuE3ELNS1_3repE0EEENS1_30default_config_static_selectorELNS0_4arch9wavefront6targetE1EEEvT1_,comdat
	.protected	_ZN7rocprim17ROCPRIM_400000_NS6detail17trampoline_kernelINS0_14default_configENS1_29reduce_by_key_config_selectorIxxN6thrust23THRUST_200600_302600_NS4plusIxEEEEZZNS1_33reduce_by_key_impl_wrapped_configILNS1_25lookback_scan_determinismE0ES3_S9_NS6_6detail15normal_iteratorINS6_10device_ptrIxEEEESG_SG_SG_PmS8_NS6_8equal_toIxEEEE10hipError_tPvRmT2_T3_mT4_T5_T6_T7_T8_P12ihipStream_tbENKUlT_T0_E_clISt17integral_constantIbLb1EES10_IbLb0EEEEDaSW_SX_EUlSW_E_NS1_11comp_targetILNS1_3genE9ELNS1_11target_archE1100ELNS1_3gpuE3ELNS1_3repE0EEENS1_30default_config_static_selectorELNS0_4arch9wavefront6targetE1EEEvT1_ ; -- Begin function _ZN7rocprim17ROCPRIM_400000_NS6detail17trampoline_kernelINS0_14default_configENS1_29reduce_by_key_config_selectorIxxN6thrust23THRUST_200600_302600_NS4plusIxEEEEZZNS1_33reduce_by_key_impl_wrapped_configILNS1_25lookback_scan_determinismE0ES3_S9_NS6_6detail15normal_iteratorINS6_10device_ptrIxEEEESG_SG_SG_PmS8_NS6_8equal_toIxEEEE10hipError_tPvRmT2_T3_mT4_T5_T6_T7_T8_P12ihipStream_tbENKUlT_T0_E_clISt17integral_constantIbLb1EES10_IbLb0EEEEDaSW_SX_EUlSW_E_NS1_11comp_targetILNS1_3genE9ELNS1_11target_archE1100ELNS1_3gpuE3ELNS1_3repE0EEENS1_30default_config_static_selectorELNS0_4arch9wavefront6targetE1EEEvT1_
	.globl	_ZN7rocprim17ROCPRIM_400000_NS6detail17trampoline_kernelINS0_14default_configENS1_29reduce_by_key_config_selectorIxxN6thrust23THRUST_200600_302600_NS4plusIxEEEEZZNS1_33reduce_by_key_impl_wrapped_configILNS1_25lookback_scan_determinismE0ES3_S9_NS6_6detail15normal_iteratorINS6_10device_ptrIxEEEESG_SG_SG_PmS8_NS6_8equal_toIxEEEE10hipError_tPvRmT2_T3_mT4_T5_T6_T7_T8_P12ihipStream_tbENKUlT_T0_E_clISt17integral_constantIbLb1EES10_IbLb0EEEEDaSW_SX_EUlSW_E_NS1_11comp_targetILNS1_3genE9ELNS1_11target_archE1100ELNS1_3gpuE3ELNS1_3repE0EEENS1_30default_config_static_selectorELNS0_4arch9wavefront6targetE1EEEvT1_
	.p2align	8
	.type	_ZN7rocprim17ROCPRIM_400000_NS6detail17trampoline_kernelINS0_14default_configENS1_29reduce_by_key_config_selectorIxxN6thrust23THRUST_200600_302600_NS4plusIxEEEEZZNS1_33reduce_by_key_impl_wrapped_configILNS1_25lookback_scan_determinismE0ES3_S9_NS6_6detail15normal_iteratorINS6_10device_ptrIxEEEESG_SG_SG_PmS8_NS6_8equal_toIxEEEE10hipError_tPvRmT2_T3_mT4_T5_T6_T7_T8_P12ihipStream_tbENKUlT_T0_E_clISt17integral_constantIbLb1EES10_IbLb0EEEEDaSW_SX_EUlSW_E_NS1_11comp_targetILNS1_3genE9ELNS1_11target_archE1100ELNS1_3gpuE3ELNS1_3repE0EEENS1_30default_config_static_selectorELNS0_4arch9wavefront6targetE1EEEvT1_,@function
_ZN7rocprim17ROCPRIM_400000_NS6detail17trampoline_kernelINS0_14default_configENS1_29reduce_by_key_config_selectorIxxN6thrust23THRUST_200600_302600_NS4plusIxEEEEZZNS1_33reduce_by_key_impl_wrapped_configILNS1_25lookback_scan_determinismE0ES3_S9_NS6_6detail15normal_iteratorINS6_10device_ptrIxEEEESG_SG_SG_PmS8_NS6_8equal_toIxEEEE10hipError_tPvRmT2_T3_mT4_T5_T6_T7_T8_P12ihipStream_tbENKUlT_T0_E_clISt17integral_constantIbLb1EES10_IbLb0EEEEDaSW_SX_EUlSW_E_NS1_11comp_targetILNS1_3genE9ELNS1_11target_archE1100ELNS1_3gpuE3ELNS1_3repE0EEENS1_30default_config_static_selectorELNS0_4arch9wavefront6targetE1EEEvT1_: ; @_ZN7rocprim17ROCPRIM_400000_NS6detail17trampoline_kernelINS0_14default_configENS1_29reduce_by_key_config_selectorIxxN6thrust23THRUST_200600_302600_NS4plusIxEEEEZZNS1_33reduce_by_key_impl_wrapped_configILNS1_25lookback_scan_determinismE0ES3_S9_NS6_6detail15normal_iteratorINS6_10device_ptrIxEEEESG_SG_SG_PmS8_NS6_8equal_toIxEEEE10hipError_tPvRmT2_T3_mT4_T5_T6_T7_T8_P12ihipStream_tbENKUlT_T0_E_clISt17integral_constantIbLb1EES10_IbLb0EEEEDaSW_SX_EUlSW_E_NS1_11comp_targetILNS1_3genE9ELNS1_11target_archE1100ELNS1_3gpuE3ELNS1_3repE0EEENS1_30default_config_static_selectorELNS0_4arch9wavefront6targetE1EEEvT1_
; %bb.0:
	.section	.rodata,"a",@progbits
	.p2align	6, 0x0
	.amdhsa_kernel _ZN7rocprim17ROCPRIM_400000_NS6detail17trampoline_kernelINS0_14default_configENS1_29reduce_by_key_config_selectorIxxN6thrust23THRUST_200600_302600_NS4plusIxEEEEZZNS1_33reduce_by_key_impl_wrapped_configILNS1_25lookback_scan_determinismE0ES3_S9_NS6_6detail15normal_iteratorINS6_10device_ptrIxEEEESG_SG_SG_PmS8_NS6_8equal_toIxEEEE10hipError_tPvRmT2_T3_mT4_T5_T6_T7_T8_P12ihipStream_tbENKUlT_T0_E_clISt17integral_constantIbLb1EES10_IbLb0EEEEDaSW_SX_EUlSW_E_NS1_11comp_targetILNS1_3genE9ELNS1_11target_archE1100ELNS1_3gpuE3ELNS1_3repE0EEENS1_30default_config_static_selectorELNS0_4arch9wavefront6targetE1EEEvT1_
		.amdhsa_group_segment_fixed_size 0
		.amdhsa_private_segment_fixed_size 0
		.amdhsa_kernarg_size 136
		.amdhsa_user_sgpr_count 6
		.amdhsa_user_sgpr_private_segment_buffer 1
		.amdhsa_user_sgpr_dispatch_ptr 0
		.amdhsa_user_sgpr_queue_ptr 0
		.amdhsa_user_sgpr_kernarg_segment_ptr 1
		.amdhsa_user_sgpr_dispatch_id 0
		.amdhsa_user_sgpr_flat_scratch_init 0
		.amdhsa_user_sgpr_kernarg_preload_length 0
		.amdhsa_user_sgpr_kernarg_preload_offset 0
		.amdhsa_user_sgpr_private_segment_size 0
		.amdhsa_uses_dynamic_stack 0
		.amdhsa_system_sgpr_private_segment_wavefront_offset 0
		.amdhsa_system_sgpr_workgroup_id_x 1
		.amdhsa_system_sgpr_workgroup_id_y 0
		.amdhsa_system_sgpr_workgroup_id_z 0
		.amdhsa_system_sgpr_workgroup_info 0
		.amdhsa_system_vgpr_workitem_id 0
		.amdhsa_next_free_vgpr 1
		.amdhsa_next_free_sgpr 0
		.amdhsa_accum_offset 4
		.amdhsa_reserve_vcc 0
		.amdhsa_reserve_flat_scratch 0
		.amdhsa_float_round_mode_32 0
		.amdhsa_float_round_mode_16_64 0
		.amdhsa_float_denorm_mode_32 3
		.amdhsa_float_denorm_mode_16_64 3
		.amdhsa_dx10_clamp 1
		.amdhsa_ieee_mode 1
		.amdhsa_fp16_overflow 0
		.amdhsa_tg_split 0
		.amdhsa_exception_fp_ieee_invalid_op 0
		.amdhsa_exception_fp_denorm_src 0
		.amdhsa_exception_fp_ieee_div_zero 0
		.amdhsa_exception_fp_ieee_overflow 0
		.amdhsa_exception_fp_ieee_underflow 0
		.amdhsa_exception_fp_ieee_inexact 0
		.amdhsa_exception_int_div_zero 0
	.end_amdhsa_kernel
	.section	.text._ZN7rocprim17ROCPRIM_400000_NS6detail17trampoline_kernelINS0_14default_configENS1_29reduce_by_key_config_selectorIxxN6thrust23THRUST_200600_302600_NS4plusIxEEEEZZNS1_33reduce_by_key_impl_wrapped_configILNS1_25lookback_scan_determinismE0ES3_S9_NS6_6detail15normal_iteratorINS6_10device_ptrIxEEEESG_SG_SG_PmS8_NS6_8equal_toIxEEEE10hipError_tPvRmT2_T3_mT4_T5_T6_T7_T8_P12ihipStream_tbENKUlT_T0_E_clISt17integral_constantIbLb1EES10_IbLb0EEEEDaSW_SX_EUlSW_E_NS1_11comp_targetILNS1_3genE9ELNS1_11target_archE1100ELNS1_3gpuE3ELNS1_3repE0EEENS1_30default_config_static_selectorELNS0_4arch9wavefront6targetE1EEEvT1_,"axG",@progbits,_ZN7rocprim17ROCPRIM_400000_NS6detail17trampoline_kernelINS0_14default_configENS1_29reduce_by_key_config_selectorIxxN6thrust23THRUST_200600_302600_NS4plusIxEEEEZZNS1_33reduce_by_key_impl_wrapped_configILNS1_25lookback_scan_determinismE0ES3_S9_NS6_6detail15normal_iteratorINS6_10device_ptrIxEEEESG_SG_SG_PmS8_NS6_8equal_toIxEEEE10hipError_tPvRmT2_T3_mT4_T5_T6_T7_T8_P12ihipStream_tbENKUlT_T0_E_clISt17integral_constantIbLb1EES10_IbLb0EEEEDaSW_SX_EUlSW_E_NS1_11comp_targetILNS1_3genE9ELNS1_11target_archE1100ELNS1_3gpuE3ELNS1_3repE0EEENS1_30default_config_static_selectorELNS0_4arch9wavefront6targetE1EEEvT1_,comdat
.Lfunc_end496:
	.size	_ZN7rocprim17ROCPRIM_400000_NS6detail17trampoline_kernelINS0_14default_configENS1_29reduce_by_key_config_selectorIxxN6thrust23THRUST_200600_302600_NS4plusIxEEEEZZNS1_33reduce_by_key_impl_wrapped_configILNS1_25lookback_scan_determinismE0ES3_S9_NS6_6detail15normal_iteratorINS6_10device_ptrIxEEEESG_SG_SG_PmS8_NS6_8equal_toIxEEEE10hipError_tPvRmT2_T3_mT4_T5_T6_T7_T8_P12ihipStream_tbENKUlT_T0_E_clISt17integral_constantIbLb1EES10_IbLb0EEEEDaSW_SX_EUlSW_E_NS1_11comp_targetILNS1_3genE9ELNS1_11target_archE1100ELNS1_3gpuE3ELNS1_3repE0EEENS1_30default_config_static_selectorELNS0_4arch9wavefront6targetE1EEEvT1_, .Lfunc_end496-_ZN7rocprim17ROCPRIM_400000_NS6detail17trampoline_kernelINS0_14default_configENS1_29reduce_by_key_config_selectorIxxN6thrust23THRUST_200600_302600_NS4plusIxEEEEZZNS1_33reduce_by_key_impl_wrapped_configILNS1_25lookback_scan_determinismE0ES3_S9_NS6_6detail15normal_iteratorINS6_10device_ptrIxEEEESG_SG_SG_PmS8_NS6_8equal_toIxEEEE10hipError_tPvRmT2_T3_mT4_T5_T6_T7_T8_P12ihipStream_tbENKUlT_T0_E_clISt17integral_constantIbLb1EES10_IbLb0EEEEDaSW_SX_EUlSW_E_NS1_11comp_targetILNS1_3genE9ELNS1_11target_archE1100ELNS1_3gpuE3ELNS1_3repE0EEENS1_30default_config_static_selectorELNS0_4arch9wavefront6targetE1EEEvT1_
                                        ; -- End function
	.section	.AMDGPU.csdata,"",@progbits
; Kernel info:
; codeLenInByte = 0
; NumSgprs: 4
; NumVgprs: 0
; NumAgprs: 0
; TotalNumVgprs: 0
; ScratchSize: 0
; MemoryBound: 0
; FloatMode: 240
; IeeeMode: 1
; LDSByteSize: 0 bytes/workgroup (compile time only)
; SGPRBlocks: 0
; VGPRBlocks: 0
; NumSGPRsForWavesPerEU: 4
; NumVGPRsForWavesPerEU: 1
; AccumOffset: 4
; Occupancy: 8
; WaveLimiterHint : 0
; COMPUTE_PGM_RSRC2:SCRATCH_EN: 0
; COMPUTE_PGM_RSRC2:USER_SGPR: 6
; COMPUTE_PGM_RSRC2:TRAP_HANDLER: 0
; COMPUTE_PGM_RSRC2:TGID_X_EN: 1
; COMPUTE_PGM_RSRC2:TGID_Y_EN: 0
; COMPUTE_PGM_RSRC2:TGID_Z_EN: 0
; COMPUTE_PGM_RSRC2:TIDIG_COMP_CNT: 0
; COMPUTE_PGM_RSRC3_GFX90A:ACCUM_OFFSET: 0
; COMPUTE_PGM_RSRC3_GFX90A:TG_SPLIT: 0
	.section	.text._ZN7rocprim17ROCPRIM_400000_NS6detail17trampoline_kernelINS0_14default_configENS1_29reduce_by_key_config_selectorIxxN6thrust23THRUST_200600_302600_NS4plusIxEEEEZZNS1_33reduce_by_key_impl_wrapped_configILNS1_25lookback_scan_determinismE0ES3_S9_NS6_6detail15normal_iteratorINS6_10device_ptrIxEEEESG_SG_SG_PmS8_NS6_8equal_toIxEEEE10hipError_tPvRmT2_T3_mT4_T5_T6_T7_T8_P12ihipStream_tbENKUlT_T0_E_clISt17integral_constantIbLb1EES10_IbLb0EEEEDaSW_SX_EUlSW_E_NS1_11comp_targetILNS1_3genE8ELNS1_11target_archE1030ELNS1_3gpuE2ELNS1_3repE0EEENS1_30default_config_static_selectorELNS0_4arch9wavefront6targetE1EEEvT1_,"axG",@progbits,_ZN7rocprim17ROCPRIM_400000_NS6detail17trampoline_kernelINS0_14default_configENS1_29reduce_by_key_config_selectorIxxN6thrust23THRUST_200600_302600_NS4plusIxEEEEZZNS1_33reduce_by_key_impl_wrapped_configILNS1_25lookback_scan_determinismE0ES3_S9_NS6_6detail15normal_iteratorINS6_10device_ptrIxEEEESG_SG_SG_PmS8_NS6_8equal_toIxEEEE10hipError_tPvRmT2_T3_mT4_T5_T6_T7_T8_P12ihipStream_tbENKUlT_T0_E_clISt17integral_constantIbLb1EES10_IbLb0EEEEDaSW_SX_EUlSW_E_NS1_11comp_targetILNS1_3genE8ELNS1_11target_archE1030ELNS1_3gpuE2ELNS1_3repE0EEENS1_30default_config_static_selectorELNS0_4arch9wavefront6targetE1EEEvT1_,comdat
	.protected	_ZN7rocprim17ROCPRIM_400000_NS6detail17trampoline_kernelINS0_14default_configENS1_29reduce_by_key_config_selectorIxxN6thrust23THRUST_200600_302600_NS4plusIxEEEEZZNS1_33reduce_by_key_impl_wrapped_configILNS1_25lookback_scan_determinismE0ES3_S9_NS6_6detail15normal_iteratorINS6_10device_ptrIxEEEESG_SG_SG_PmS8_NS6_8equal_toIxEEEE10hipError_tPvRmT2_T3_mT4_T5_T6_T7_T8_P12ihipStream_tbENKUlT_T0_E_clISt17integral_constantIbLb1EES10_IbLb0EEEEDaSW_SX_EUlSW_E_NS1_11comp_targetILNS1_3genE8ELNS1_11target_archE1030ELNS1_3gpuE2ELNS1_3repE0EEENS1_30default_config_static_selectorELNS0_4arch9wavefront6targetE1EEEvT1_ ; -- Begin function _ZN7rocprim17ROCPRIM_400000_NS6detail17trampoline_kernelINS0_14default_configENS1_29reduce_by_key_config_selectorIxxN6thrust23THRUST_200600_302600_NS4plusIxEEEEZZNS1_33reduce_by_key_impl_wrapped_configILNS1_25lookback_scan_determinismE0ES3_S9_NS6_6detail15normal_iteratorINS6_10device_ptrIxEEEESG_SG_SG_PmS8_NS6_8equal_toIxEEEE10hipError_tPvRmT2_T3_mT4_T5_T6_T7_T8_P12ihipStream_tbENKUlT_T0_E_clISt17integral_constantIbLb1EES10_IbLb0EEEEDaSW_SX_EUlSW_E_NS1_11comp_targetILNS1_3genE8ELNS1_11target_archE1030ELNS1_3gpuE2ELNS1_3repE0EEENS1_30default_config_static_selectorELNS0_4arch9wavefront6targetE1EEEvT1_
	.globl	_ZN7rocprim17ROCPRIM_400000_NS6detail17trampoline_kernelINS0_14default_configENS1_29reduce_by_key_config_selectorIxxN6thrust23THRUST_200600_302600_NS4plusIxEEEEZZNS1_33reduce_by_key_impl_wrapped_configILNS1_25lookback_scan_determinismE0ES3_S9_NS6_6detail15normal_iteratorINS6_10device_ptrIxEEEESG_SG_SG_PmS8_NS6_8equal_toIxEEEE10hipError_tPvRmT2_T3_mT4_T5_T6_T7_T8_P12ihipStream_tbENKUlT_T0_E_clISt17integral_constantIbLb1EES10_IbLb0EEEEDaSW_SX_EUlSW_E_NS1_11comp_targetILNS1_3genE8ELNS1_11target_archE1030ELNS1_3gpuE2ELNS1_3repE0EEENS1_30default_config_static_selectorELNS0_4arch9wavefront6targetE1EEEvT1_
	.p2align	8
	.type	_ZN7rocprim17ROCPRIM_400000_NS6detail17trampoline_kernelINS0_14default_configENS1_29reduce_by_key_config_selectorIxxN6thrust23THRUST_200600_302600_NS4plusIxEEEEZZNS1_33reduce_by_key_impl_wrapped_configILNS1_25lookback_scan_determinismE0ES3_S9_NS6_6detail15normal_iteratorINS6_10device_ptrIxEEEESG_SG_SG_PmS8_NS6_8equal_toIxEEEE10hipError_tPvRmT2_T3_mT4_T5_T6_T7_T8_P12ihipStream_tbENKUlT_T0_E_clISt17integral_constantIbLb1EES10_IbLb0EEEEDaSW_SX_EUlSW_E_NS1_11comp_targetILNS1_3genE8ELNS1_11target_archE1030ELNS1_3gpuE2ELNS1_3repE0EEENS1_30default_config_static_selectorELNS0_4arch9wavefront6targetE1EEEvT1_,@function
_ZN7rocprim17ROCPRIM_400000_NS6detail17trampoline_kernelINS0_14default_configENS1_29reduce_by_key_config_selectorIxxN6thrust23THRUST_200600_302600_NS4plusIxEEEEZZNS1_33reduce_by_key_impl_wrapped_configILNS1_25lookback_scan_determinismE0ES3_S9_NS6_6detail15normal_iteratorINS6_10device_ptrIxEEEESG_SG_SG_PmS8_NS6_8equal_toIxEEEE10hipError_tPvRmT2_T3_mT4_T5_T6_T7_T8_P12ihipStream_tbENKUlT_T0_E_clISt17integral_constantIbLb1EES10_IbLb0EEEEDaSW_SX_EUlSW_E_NS1_11comp_targetILNS1_3genE8ELNS1_11target_archE1030ELNS1_3gpuE2ELNS1_3repE0EEENS1_30default_config_static_selectorELNS0_4arch9wavefront6targetE1EEEvT1_: ; @_ZN7rocprim17ROCPRIM_400000_NS6detail17trampoline_kernelINS0_14default_configENS1_29reduce_by_key_config_selectorIxxN6thrust23THRUST_200600_302600_NS4plusIxEEEEZZNS1_33reduce_by_key_impl_wrapped_configILNS1_25lookback_scan_determinismE0ES3_S9_NS6_6detail15normal_iteratorINS6_10device_ptrIxEEEESG_SG_SG_PmS8_NS6_8equal_toIxEEEE10hipError_tPvRmT2_T3_mT4_T5_T6_T7_T8_P12ihipStream_tbENKUlT_T0_E_clISt17integral_constantIbLb1EES10_IbLb0EEEEDaSW_SX_EUlSW_E_NS1_11comp_targetILNS1_3genE8ELNS1_11target_archE1030ELNS1_3gpuE2ELNS1_3repE0EEENS1_30default_config_static_selectorELNS0_4arch9wavefront6targetE1EEEvT1_
; %bb.0:
	.section	.rodata,"a",@progbits
	.p2align	6, 0x0
	.amdhsa_kernel _ZN7rocprim17ROCPRIM_400000_NS6detail17trampoline_kernelINS0_14default_configENS1_29reduce_by_key_config_selectorIxxN6thrust23THRUST_200600_302600_NS4plusIxEEEEZZNS1_33reduce_by_key_impl_wrapped_configILNS1_25lookback_scan_determinismE0ES3_S9_NS6_6detail15normal_iteratorINS6_10device_ptrIxEEEESG_SG_SG_PmS8_NS6_8equal_toIxEEEE10hipError_tPvRmT2_T3_mT4_T5_T6_T7_T8_P12ihipStream_tbENKUlT_T0_E_clISt17integral_constantIbLb1EES10_IbLb0EEEEDaSW_SX_EUlSW_E_NS1_11comp_targetILNS1_3genE8ELNS1_11target_archE1030ELNS1_3gpuE2ELNS1_3repE0EEENS1_30default_config_static_selectorELNS0_4arch9wavefront6targetE1EEEvT1_
		.amdhsa_group_segment_fixed_size 0
		.amdhsa_private_segment_fixed_size 0
		.amdhsa_kernarg_size 136
		.amdhsa_user_sgpr_count 6
		.amdhsa_user_sgpr_private_segment_buffer 1
		.amdhsa_user_sgpr_dispatch_ptr 0
		.amdhsa_user_sgpr_queue_ptr 0
		.amdhsa_user_sgpr_kernarg_segment_ptr 1
		.amdhsa_user_sgpr_dispatch_id 0
		.amdhsa_user_sgpr_flat_scratch_init 0
		.amdhsa_user_sgpr_kernarg_preload_length 0
		.amdhsa_user_sgpr_kernarg_preload_offset 0
		.amdhsa_user_sgpr_private_segment_size 0
		.amdhsa_uses_dynamic_stack 0
		.amdhsa_system_sgpr_private_segment_wavefront_offset 0
		.amdhsa_system_sgpr_workgroup_id_x 1
		.amdhsa_system_sgpr_workgroup_id_y 0
		.amdhsa_system_sgpr_workgroup_id_z 0
		.amdhsa_system_sgpr_workgroup_info 0
		.amdhsa_system_vgpr_workitem_id 0
		.amdhsa_next_free_vgpr 1
		.amdhsa_next_free_sgpr 0
		.amdhsa_accum_offset 4
		.amdhsa_reserve_vcc 0
		.amdhsa_reserve_flat_scratch 0
		.amdhsa_float_round_mode_32 0
		.amdhsa_float_round_mode_16_64 0
		.amdhsa_float_denorm_mode_32 3
		.amdhsa_float_denorm_mode_16_64 3
		.amdhsa_dx10_clamp 1
		.amdhsa_ieee_mode 1
		.amdhsa_fp16_overflow 0
		.amdhsa_tg_split 0
		.amdhsa_exception_fp_ieee_invalid_op 0
		.amdhsa_exception_fp_denorm_src 0
		.amdhsa_exception_fp_ieee_div_zero 0
		.amdhsa_exception_fp_ieee_overflow 0
		.amdhsa_exception_fp_ieee_underflow 0
		.amdhsa_exception_fp_ieee_inexact 0
		.amdhsa_exception_int_div_zero 0
	.end_amdhsa_kernel
	.section	.text._ZN7rocprim17ROCPRIM_400000_NS6detail17trampoline_kernelINS0_14default_configENS1_29reduce_by_key_config_selectorIxxN6thrust23THRUST_200600_302600_NS4plusIxEEEEZZNS1_33reduce_by_key_impl_wrapped_configILNS1_25lookback_scan_determinismE0ES3_S9_NS6_6detail15normal_iteratorINS6_10device_ptrIxEEEESG_SG_SG_PmS8_NS6_8equal_toIxEEEE10hipError_tPvRmT2_T3_mT4_T5_T6_T7_T8_P12ihipStream_tbENKUlT_T0_E_clISt17integral_constantIbLb1EES10_IbLb0EEEEDaSW_SX_EUlSW_E_NS1_11comp_targetILNS1_3genE8ELNS1_11target_archE1030ELNS1_3gpuE2ELNS1_3repE0EEENS1_30default_config_static_selectorELNS0_4arch9wavefront6targetE1EEEvT1_,"axG",@progbits,_ZN7rocprim17ROCPRIM_400000_NS6detail17trampoline_kernelINS0_14default_configENS1_29reduce_by_key_config_selectorIxxN6thrust23THRUST_200600_302600_NS4plusIxEEEEZZNS1_33reduce_by_key_impl_wrapped_configILNS1_25lookback_scan_determinismE0ES3_S9_NS6_6detail15normal_iteratorINS6_10device_ptrIxEEEESG_SG_SG_PmS8_NS6_8equal_toIxEEEE10hipError_tPvRmT2_T3_mT4_T5_T6_T7_T8_P12ihipStream_tbENKUlT_T0_E_clISt17integral_constantIbLb1EES10_IbLb0EEEEDaSW_SX_EUlSW_E_NS1_11comp_targetILNS1_3genE8ELNS1_11target_archE1030ELNS1_3gpuE2ELNS1_3repE0EEENS1_30default_config_static_selectorELNS0_4arch9wavefront6targetE1EEEvT1_,comdat
.Lfunc_end497:
	.size	_ZN7rocprim17ROCPRIM_400000_NS6detail17trampoline_kernelINS0_14default_configENS1_29reduce_by_key_config_selectorIxxN6thrust23THRUST_200600_302600_NS4plusIxEEEEZZNS1_33reduce_by_key_impl_wrapped_configILNS1_25lookback_scan_determinismE0ES3_S9_NS6_6detail15normal_iteratorINS6_10device_ptrIxEEEESG_SG_SG_PmS8_NS6_8equal_toIxEEEE10hipError_tPvRmT2_T3_mT4_T5_T6_T7_T8_P12ihipStream_tbENKUlT_T0_E_clISt17integral_constantIbLb1EES10_IbLb0EEEEDaSW_SX_EUlSW_E_NS1_11comp_targetILNS1_3genE8ELNS1_11target_archE1030ELNS1_3gpuE2ELNS1_3repE0EEENS1_30default_config_static_selectorELNS0_4arch9wavefront6targetE1EEEvT1_, .Lfunc_end497-_ZN7rocprim17ROCPRIM_400000_NS6detail17trampoline_kernelINS0_14default_configENS1_29reduce_by_key_config_selectorIxxN6thrust23THRUST_200600_302600_NS4plusIxEEEEZZNS1_33reduce_by_key_impl_wrapped_configILNS1_25lookback_scan_determinismE0ES3_S9_NS6_6detail15normal_iteratorINS6_10device_ptrIxEEEESG_SG_SG_PmS8_NS6_8equal_toIxEEEE10hipError_tPvRmT2_T3_mT4_T5_T6_T7_T8_P12ihipStream_tbENKUlT_T0_E_clISt17integral_constantIbLb1EES10_IbLb0EEEEDaSW_SX_EUlSW_E_NS1_11comp_targetILNS1_3genE8ELNS1_11target_archE1030ELNS1_3gpuE2ELNS1_3repE0EEENS1_30default_config_static_selectorELNS0_4arch9wavefront6targetE1EEEvT1_
                                        ; -- End function
	.section	.AMDGPU.csdata,"",@progbits
; Kernel info:
; codeLenInByte = 0
; NumSgprs: 4
; NumVgprs: 0
; NumAgprs: 0
; TotalNumVgprs: 0
; ScratchSize: 0
; MemoryBound: 0
; FloatMode: 240
; IeeeMode: 1
; LDSByteSize: 0 bytes/workgroup (compile time only)
; SGPRBlocks: 0
; VGPRBlocks: 0
; NumSGPRsForWavesPerEU: 4
; NumVGPRsForWavesPerEU: 1
; AccumOffset: 4
; Occupancy: 8
; WaveLimiterHint : 0
; COMPUTE_PGM_RSRC2:SCRATCH_EN: 0
; COMPUTE_PGM_RSRC2:USER_SGPR: 6
; COMPUTE_PGM_RSRC2:TRAP_HANDLER: 0
; COMPUTE_PGM_RSRC2:TGID_X_EN: 1
; COMPUTE_PGM_RSRC2:TGID_Y_EN: 0
; COMPUTE_PGM_RSRC2:TGID_Z_EN: 0
; COMPUTE_PGM_RSRC2:TIDIG_COMP_CNT: 0
; COMPUTE_PGM_RSRC3_GFX90A:ACCUM_OFFSET: 0
; COMPUTE_PGM_RSRC3_GFX90A:TG_SPLIT: 0
	.section	.text._ZN7rocprim17ROCPRIM_400000_NS6detail25reduce_by_key_init_kernelINS1_19lookback_scan_stateINS0_5tupleIJjxEEELb0ELb0EEExNS1_16block_id_wrapperIjLb1EEEEEvT_jbjPmPT0_T1_,"axG",@progbits,_ZN7rocprim17ROCPRIM_400000_NS6detail25reduce_by_key_init_kernelINS1_19lookback_scan_stateINS0_5tupleIJjxEEELb0ELb0EEExNS1_16block_id_wrapperIjLb1EEEEEvT_jbjPmPT0_T1_,comdat
	.protected	_ZN7rocprim17ROCPRIM_400000_NS6detail25reduce_by_key_init_kernelINS1_19lookback_scan_stateINS0_5tupleIJjxEEELb0ELb0EEExNS1_16block_id_wrapperIjLb1EEEEEvT_jbjPmPT0_T1_ ; -- Begin function _ZN7rocprim17ROCPRIM_400000_NS6detail25reduce_by_key_init_kernelINS1_19lookback_scan_stateINS0_5tupleIJjxEEELb0ELb0EEExNS1_16block_id_wrapperIjLb1EEEEEvT_jbjPmPT0_T1_
	.globl	_ZN7rocprim17ROCPRIM_400000_NS6detail25reduce_by_key_init_kernelINS1_19lookback_scan_stateINS0_5tupleIJjxEEELb0ELb0EEExNS1_16block_id_wrapperIjLb1EEEEEvT_jbjPmPT0_T1_
	.p2align	8
	.type	_ZN7rocprim17ROCPRIM_400000_NS6detail25reduce_by_key_init_kernelINS1_19lookback_scan_stateINS0_5tupleIJjxEEELb0ELb0EEExNS1_16block_id_wrapperIjLb1EEEEEvT_jbjPmPT0_T1_,@function
_ZN7rocprim17ROCPRIM_400000_NS6detail25reduce_by_key_init_kernelINS1_19lookback_scan_stateINS0_5tupleIJjxEEELb0ELb0EEExNS1_16block_id_wrapperIjLb1EEEEEvT_jbjPmPT0_T1_: ; @_ZN7rocprim17ROCPRIM_400000_NS6detail25reduce_by_key_init_kernelINS1_19lookback_scan_stateINS0_5tupleIJjxEEELb0ELb0EEExNS1_16block_id_wrapperIjLb1EEEEEvT_jbjPmPT0_T1_
; %bb.0:
	s_load_dwordx8 s[8:15], s[4:5], 0x18
	s_load_dword s0, s[4:5], 0x4c
	s_load_dwordx2 s[18:19], s[4:5], 0x38
	s_load_dwordx2 s[16:17], s[4:5], 0x10
	s_waitcnt lgkmcnt(0)
	s_and_b32 s1, s9, 1
	s_and_b32 s0, s0, 0xffff
	s_mul_i32 s6, s6, s0
	s_cmp_eq_u32 s1, 0
	v_add_u32_e32 v0, s6, v0
	s_mov_b64 s[0:1], -1
	s_cbranch_scc1 .LBB498_6
; %bb.1:
	s_andn2_b64 vcc, exec, s[0:1]
	v_cmp_eq_u32_e64 s[0:1], 0, v0
	s_cbranch_vccz .LBB498_12
.LBB498_2:
	v_cmp_eq_u32_e32 vcc, 0, v0
	s_and_saveexec_b64 s[0:1], vcc
	s_cbranch_execnz .LBB498_15
.LBB498_3:
	s_or_b64 exec, exec, s[0:1]
	v_cmp_gt_u32_e32 vcc, s8, v0
	s_and_saveexec_b64 s[0:1], vcc
	s_cbranch_execnz .LBB498_16
.LBB498_4:
	s_or_b64 exec, exec, s[0:1]
	v_cmp_gt_u32_e32 vcc, 64, v0
	s_and_saveexec_b64 s[0:1], vcc
	s_cbranch_execnz .LBB498_17
.LBB498_5:
	s_endpgm
.LBB498_6:
	s_cmp_lt_u32 s10, s8
	s_cselect_b32 s0, s10, 0
	v_cmp_eq_u32_e32 vcc, s0, v0
	s_and_saveexec_b64 s[6:7], vcc
	s_cbranch_execz .LBB498_11
; %bb.7:
	s_add_i32 s10, s10, 64
	v_mov_b32_e32 v1, s10
	global_load_ubyte v1, v1, s[16:17] glc
	s_load_dwordx4 s[0:3], s[4:5], 0x0
	s_add_u32 s4, s16, s10
	s_mov_b32 s11, 0
	s_addc_u32 s5, s17, 0
	s_waitcnt vmcnt(0)
	v_cmp_ne_u16_e32 vcc, 0, v1
	v_readfirstlane_b32 s9, v1
	s_cbranch_vccnz .LBB498_10
; %bb.8:
	v_mov_b32_e32 v1, 0
.LBB498_9:                              ; =>This Inner Loop Header: Depth=1
	global_load_ubyte v2, v1, s[4:5] glc
	s_waitcnt vmcnt(0)
	v_cmp_eq_u16_e32 vcc, 0, v2
	v_readfirstlane_b32 s9, v2
	s_cbranch_vccnz .LBB498_9
.LBB498_10:
	s_and_b32 s4, 0xffff, s9
	s_cmp_eq_u32 s4, 1
	s_waitcnt lgkmcnt(0)
	s_cselect_b32 s3, s1, s3
	s_cselect_b32 s2, s0, s2
	s_lshl_b64 s[0:1], s[10:11], 4
	v_mov_b32_e32 v1, 0
	s_add_u32 s0, s2, s0
	buffer_wbinvl1_vol
	s_addc_u32 s1, s3, s1
	global_load_dwordx2 v[2:3], v1, s[12:13]
	global_load_dword v6, v1, s[0:1]
	global_load_dwordx2 v[4:5], v1, s[0:1] offset:8
	s_waitcnt vmcnt(1)
	v_add_co_u32_e32 v2, vcc, v2, v6
	v_addc_co_u32_e32 v3, vcc, 0, v3, vcc
	global_store_dwordx2 v1, v[2:3], s[12:13]
	s_waitcnt vmcnt(1)
	global_store_dwordx2 v1, v[4:5], s[14:15]
.LBB498_11:
	s_or_b64 exec, exec, s[6:7]
	v_cmp_eq_u32_e64 s[0:1], 0, v0
	s_cbranch_execnz .LBB498_2
.LBB498_12:
	s_cmp_lg_u64 s[12:13], 0
	s_cselect_b64 s[2:3], -1, 0
	s_and_b64 s[2:3], s[2:3], s[0:1]
	s_and_saveexec_b64 s[0:1], s[2:3]
	s_cbranch_execz .LBB498_14
; %bb.13:
	v_mov_b32_e32 v2, 0
	v_mov_b32_e32 v3, v2
	global_store_dwordx2 v2, v[2:3], s[12:13]
.LBB498_14:
	s_or_b64 exec, exec, s[0:1]
	v_cmp_eq_u32_e32 vcc, 0, v0
	s_and_saveexec_b64 s[0:1], vcc
	s_cbranch_execz .LBB498_3
.LBB498_15:
	v_mov_b32_e32 v1, 0
	global_store_dword v1, v1, s[18:19]
	s_or_b64 exec, exec, s[0:1]
	v_cmp_gt_u32_e32 vcc, s8, v0
	s_and_saveexec_b64 s[0:1], vcc
	s_cbranch_execz .LBB498_4
.LBB498_16:
	v_add_u32_e32 v1, 64, v0
	v_mov_b32_e32 v2, 0
	global_store_byte v1, v2, s[16:17]
	s_or_b64 exec, exec, s[0:1]
	v_cmp_gt_u32_e32 vcc, 64, v0
	s_and_saveexec_b64 s[0:1], vcc
	s_cbranch_execz .LBB498_5
.LBB498_17:
	v_mov_b32_e32 v1, 0xff
	global_store_byte v0, v1, s[16:17]
	s_endpgm
	.section	.rodata,"a",@progbits
	.p2align	6, 0x0
	.amdhsa_kernel _ZN7rocprim17ROCPRIM_400000_NS6detail25reduce_by_key_init_kernelINS1_19lookback_scan_stateINS0_5tupleIJjxEEELb0ELb0EEExNS1_16block_id_wrapperIjLb1EEEEEvT_jbjPmPT0_T1_
		.amdhsa_group_segment_fixed_size 0
		.amdhsa_private_segment_fixed_size 0
		.amdhsa_kernarg_size 320
		.amdhsa_user_sgpr_count 6
		.amdhsa_user_sgpr_private_segment_buffer 1
		.amdhsa_user_sgpr_dispatch_ptr 0
		.amdhsa_user_sgpr_queue_ptr 0
		.amdhsa_user_sgpr_kernarg_segment_ptr 1
		.amdhsa_user_sgpr_dispatch_id 0
		.amdhsa_user_sgpr_flat_scratch_init 0
		.amdhsa_user_sgpr_kernarg_preload_length 0
		.amdhsa_user_sgpr_kernarg_preload_offset 0
		.amdhsa_user_sgpr_private_segment_size 0
		.amdhsa_uses_dynamic_stack 0
		.amdhsa_system_sgpr_private_segment_wavefront_offset 0
		.amdhsa_system_sgpr_workgroup_id_x 1
		.amdhsa_system_sgpr_workgroup_id_y 0
		.amdhsa_system_sgpr_workgroup_id_z 0
		.amdhsa_system_sgpr_workgroup_info 0
		.amdhsa_system_vgpr_workitem_id 0
		.amdhsa_next_free_vgpr 7
		.amdhsa_next_free_sgpr 20
		.amdhsa_accum_offset 8
		.amdhsa_reserve_vcc 1
		.amdhsa_reserve_flat_scratch 0
		.amdhsa_float_round_mode_32 0
		.amdhsa_float_round_mode_16_64 0
		.amdhsa_float_denorm_mode_32 3
		.amdhsa_float_denorm_mode_16_64 3
		.amdhsa_dx10_clamp 1
		.amdhsa_ieee_mode 1
		.amdhsa_fp16_overflow 0
		.amdhsa_tg_split 0
		.amdhsa_exception_fp_ieee_invalid_op 0
		.amdhsa_exception_fp_denorm_src 0
		.amdhsa_exception_fp_ieee_div_zero 0
		.amdhsa_exception_fp_ieee_overflow 0
		.amdhsa_exception_fp_ieee_underflow 0
		.amdhsa_exception_fp_ieee_inexact 0
		.amdhsa_exception_int_div_zero 0
	.end_amdhsa_kernel
	.section	.text._ZN7rocprim17ROCPRIM_400000_NS6detail25reduce_by_key_init_kernelINS1_19lookback_scan_stateINS0_5tupleIJjxEEELb0ELb0EEExNS1_16block_id_wrapperIjLb1EEEEEvT_jbjPmPT0_T1_,"axG",@progbits,_ZN7rocprim17ROCPRIM_400000_NS6detail25reduce_by_key_init_kernelINS1_19lookback_scan_stateINS0_5tupleIJjxEEELb0ELb0EEExNS1_16block_id_wrapperIjLb1EEEEEvT_jbjPmPT0_T1_,comdat
.Lfunc_end498:
	.size	_ZN7rocprim17ROCPRIM_400000_NS6detail25reduce_by_key_init_kernelINS1_19lookback_scan_stateINS0_5tupleIJjxEEELb0ELb0EEExNS1_16block_id_wrapperIjLb1EEEEEvT_jbjPmPT0_T1_, .Lfunc_end498-_ZN7rocprim17ROCPRIM_400000_NS6detail25reduce_by_key_init_kernelINS1_19lookback_scan_stateINS0_5tupleIJjxEEELb0ELb0EEExNS1_16block_id_wrapperIjLb1EEEEEvT_jbjPmPT0_T1_
                                        ; -- End function
	.section	.AMDGPU.csdata,"",@progbits
; Kernel info:
; codeLenInByte = 484
; NumSgprs: 24
; NumVgprs: 7
; NumAgprs: 0
; TotalNumVgprs: 7
; ScratchSize: 0
; MemoryBound: 0
; FloatMode: 240
; IeeeMode: 1
; LDSByteSize: 0 bytes/workgroup (compile time only)
; SGPRBlocks: 2
; VGPRBlocks: 0
; NumSGPRsForWavesPerEU: 24
; NumVGPRsForWavesPerEU: 7
; AccumOffset: 8
; Occupancy: 8
; WaveLimiterHint : 0
; COMPUTE_PGM_RSRC2:SCRATCH_EN: 0
; COMPUTE_PGM_RSRC2:USER_SGPR: 6
; COMPUTE_PGM_RSRC2:TRAP_HANDLER: 0
; COMPUTE_PGM_RSRC2:TGID_X_EN: 1
; COMPUTE_PGM_RSRC2:TGID_Y_EN: 0
; COMPUTE_PGM_RSRC2:TGID_Z_EN: 0
; COMPUTE_PGM_RSRC2:TIDIG_COMP_CNT: 0
; COMPUTE_PGM_RSRC3_GFX90A:ACCUM_OFFSET: 1
; COMPUTE_PGM_RSRC3_GFX90A:TG_SPLIT: 0
	.section	.text._ZN7rocprim17ROCPRIM_400000_NS6detail17trampoline_kernelINS0_14default_configENS1_29reduce_by_key_config_selectorIxxN6thrust23THRUST_200600_302600_NS4plusIxEEEEZZNS1_33reduce_by_key_impl_wrapped_configILNS1_25lookback_scan_determinismE0ES3_S9_NS6_6detail15normal_iteratorINS6_10device_ptrIxEEEESG_SG_SG_PmS8_NS6_8equal_toIxEEEE10hipError_tPvRmT2_T3_mT4_T5_T6_T7_T8_P12ihipStream_tbENKUlT_T0_E_clISt17integral_constantIbLb0EES10_IbLb1EEEEDaSW_SX_EUlSW_E_NS1_11comp_targetILNS1_3genE0ELNS1_11target_archE4294967295ELNS1_3gpuE0ELNS1_3repE0EEENS1_30default_config_static_selectorELNS0_4arch9wavefront6targetE1EEEvT1_,"axG",@progbits,_ZN7rocprim17ROCPRIM_400000_NS6detail17trampoline_kernelINS0_14default_configENS1_29reduce_by_key_config_selectorIxxN6thrust23THRUST_200600_302600_NS4plusIxEEEEZZNS1_33reduce_by_key_impl_wrapped_configILNS1_25lookback_scan_determinismE0ES3_S9_NS6_6detail15normal_iteratorINS6_10device_ptrIxEEEESG_SG_SG_PmS8_NS6_8equal_toIxEEEE10hipError_tPvRmT2_T3_mT4_T5_T6_T7_T8_P12ihipStream_tbENKUlT_T0_E_clISt17integral_constantIbLb0EES10_IbLb1EEEEDaSW_SX_EUlSW_E_NS1_11comp_targetILNS1_3genE0ELNS1_11target_archE4294967295ELNS1_3gpuE0ELNS1_3repE0EEENS1_30default_config_static_selectorELNS0_4arch9wavefront6targetE1EEEvT1_,comdat
	.protected	_ZN7rocprim17ROCPRIM_400000_NS6detail17trampoline_kernelINS0_14default_configENS1_29reduce_by_key_config_selectorIxxN6thrust23THRUST_200600_302600_NS4plusIxEEEEZZNS1_33reduce_by_key_impl_wrapped_configILNS1_25lookback_scan_determinismE0ES3_S9_NS6_6detail15normal_iteratorINS6_10device_ptrIxEEEESG_SG_SG_PmS8_NS6_8equal_toIxEEEE10hipError_tPvRmT2_T3_mT4_T5_T6_T7_T8_P12ihipStream_tbENKUlT_T0_E_clISt17integral_constantIbLb0EES10_IbLb1EEEEDaSW_SX_EUlSW_E_NS1_11comp_targetILNS1_3genE0ELNS1_11target_archE4294967295ELNS1_3gpuE0ELNS1_3repE0EEENS1_30default_config_static_selectorELNS0_4arch9wavefront6targetE1EEEvT1_ ; -- Begin function _ZN7rocprim17ROCPRIM_400000_NS6detail17trampoline_kernelINS0_14default_configENS1_29reduce_by_key_config_selectorIxxN6thrust23THRUST_200600_302600_NS4plusIxEEEEZZNS1_33reduce_by_key_impl_wrapped_configILNS1_25lookback_scan_determinismE0ES3_S9_NS6_6detail15normal_iteratorINS6_10device_ptrIxEEEESG_SG_SG_PmS8_NS6_8equal_toIxEEEE10hipError_tPvRmT2_T3_mT4_T5_T6_T7_T8_P12ihipStream_tbENKUlT_T0_E_clISt17integral_constantIbLb0EES10_IbLb1EEEEDaSW_SX_EUlSW_E_NS1_11comp_targetILNS1_3genE0ELNS1_11target_archE4294967295ELNS1_3gpuE0ELNS1_3repE0EEENS1_30default_config_static_selectorELNS0_4arch9wavefront6targetE1EEEvT1_
	.globl	_ZN7rocprim17ROCPRIM_400000_NS6detail17trampoline_kernelINS0_14default_configENS1_29reduce_by_key_config_selectorIxxN6thrust23THRUST_200600_302600_NS4plusIxEEEEZZNS1_33reduce_by_key_impl_wrapped_configILNS1_25lookback_scan_determinismE0ES3_S9_NS6_6detail15normal_iteratorINS6_10device_ptrIxEEEESG_SG_SG_PmS8_NS6_8equal_toIxEEEE10hipError_tPvRmT2_T3_mT4_T5_T6_T7_T8_P12ihipStream_tbENKUlT_T0_E_clISt17integral_constantIbLb0EES10_IbLb1EEEEDaSW_SX_EUlSW_E_NS1_11comp_targetILNS1_3genE0ELNS1_11target_archE4294967295ELNS1_3gpuE0ELNS1_3repE0EEENS1_30default_config_static_selectorELNS0_4arch9wavefront6targetE1EEEvT1_
	.p2align	8
	.type	_ZN7rocprim17ROCPRIM_400000_NS6detail17trampoline_kernelINS0_14default_configENS1_29reduce_by_key_config_selectorIxxN6thrust23THRUST_200600_302600_NS4plusIxEEEEZZNS1_33reduce_by_key_impl_wrapped_configILNS1_25lookback_scan_determinismE0ES3_S9_NS6_6detail15normal_iteratorINS6_10device_ptrIxEEEESG_SG_SG_PmS8_NS6_8equal_toIxEEEE10hipError_tPvRmT2_T3_mT4_T5_T6_T7_T8_P12ihipStream_tbENKUlT_T0_E_clISt17integral_constantIbLb0EES10_IbLb1EEEEDaSW_SX_EUlSW_E_NS1_11comp_targetILNS1_3genE0ELNS1_11target_archE4294967295ELNS1_3gpuE0ELNS1_3repE0EEENS1_30default_config_static_selectorELNS0_4arch9wavefront6targetE1EEEvT1_,@function
_ZN7rocprim17ROCPRIM_400000_NS6detail17trampoline_kernelINS0_14default_configENS1_29reduce_by_key_config_selectorIxxN6thrust23THRUST_200600_302600_NS4plusIxEEEEZZNS1_33reduce_by_key_impl_wrapped_configILNS1_25lookback_scan_determinismE0ES3_S9_NS6_6detail15normal_iteratorINS6_10device_ptrIxEEEESG_SG_SG_PmS8_NS6_8equal_toIxEEEE10hipError_tPvRmT2_T3_mT4_T5_T6_T7_T8_P12ihipStream_tbENKUlT_T0_E_clISt17integral_constantIbLb0EES10_IbLb1EEEEDaSW_SX_EUlSW_E_NS1_11comp_targetILNS1_3genE0ELNS1_11target_archE4294967295ELNS1_3gpuE0ELNS1_3repE0EEENS1_30default_config_static_selectorELNS0_4arch9wavefront6targetE1EEEvT1_: ; @_ZN7rocprim17ROCPRIM_400000_NS6detail17trampoline_kernelINS0_14default_configENS1_29reduce_by_key_config_selectorIxxN6thrust23THRUST_200600_302600_NS4plusIxEEEEZZNS1_33reduce_by_key_impl_wrapped_configILNS1_25lookback_scan_determinismE0ES3_S9_NS6_6detail15normal_iteratorINS6_10device_ptrIxEEEESG_SG_SG_PmS8_NS6_8equal_toIxEEEE10hipError_tPvRmT2_T3_mT4_T5_T6_T7_T8_P12ihipStream_tbENKUlT_T0_E_clISt17integral_constantIbLb0EES10_IbLb1EEEEDaSW_SX_EUlSW_E_NS1_11comp_targetILNS1_3genE0ELNS1_11target_archE4294967295ELNS1_3gpuE0ELNS1_3repE0EEENS1_30default_config_static_selectorELNS0_4arch9wavefront6targetE1EEEvT1_
; %bb.0:
	.section	.rodata,"a",@progbits
	.p2align	6, 0x0
	.amdhsa_kernel _ZN7rocprim17ROCPRIM_400000_NS6detail17trampoline_kernelINS0_14default_configENS1_29reduce_by_key_config_selectorIxxN6thrust23THRUST_200600_302600_NS4plusIxEEEEZZNS1_33reduce_by_key_impl_wrapped_configILNS1_25lookback_scan_determinismE0ES3_S9_NS6_6detail15normal_iteratorINS6_10device_ptrIxEEEESG_SG_SG_PmS8_NS6_8equal_toIxEEEE10hipError_tPvRmT2_T3_mT4_T5_T6_T7_T8_P12ihipStream_tbENKUlT_T0_E_clISt17integral_constantIbLb0EES10_IbLb1EEEEDaSW_SX_EUlSW_E_NS1_11comp_targetILNS1_3genE0ELNS1_11target_archE4294967295ELNS1_3gpuE0ELNS1_3repE0EEENS1_30default_config_static_selectorELNS0_4arch9wavefront6targetE1EEEvT1_
		.amdhsa_group_segment_fixed_size 0
		.amdhsa_private_segment_fixed_size 0
		.amdhsa_kernarg_size 136
		.amdhsa_user_sgpr_count 6
		.amdhsa_user_sgpr_private_segment_buffer 1
		.amdhsa_user_sgpr_dispatch_ptr 0
		.amdhsa_user_sgpr_queue_ptr 0
		.amdhsa_user_sgpr_kernarg_segment_ptr 1
		.amdhsa_user_sgpr_dispatch_id 0
		.amdhsa_user_sgpr_flat_scratch_init 0
		.amdhsa_user_sgpr_kernarg_preload_length 0
		.amdhsa_user_sgpr_kernarg_preload_offset 0
		.amdhsa_user_sgpr_private_segment_size 0
		.amdhsa_uses_dynamic_stack 0
		.amdhsa_system_sgpr_private_segment_wavefront_offset 0
		.amdhsa_system_sgpr_workgroup_id_x 1
		.amdhsa_system_sgpr_workgroup_id_y 0
		.amdhsa_system_sgpr_workgroup_id_z 0
		.amdhsa_system_sgpr_workgroup_info 0
		.amdhsa_system_vgpr_workitem_id 0
		.amdhsa_next_free_vgpr 1
		.amdhsa_next_free_sgpr 0
		.amdhsa_accum_offset 4
		.amdhsa_reserve_vcc 0
		.amdhsa_reserve_flat_scratch 0
		.amdhsa_float_round_mode_32 0
		.amdhsa_float_round_mode_16_64 0
		.amdhsa_float_denorm_mode_32 3
		.amdhsa_float_denorm_mode_16_64 3
		.amdhsa_dx10_clamp 1
		.amdhsa_ieee_mode 1
		.amdhsa_fp16_overflow 0
		.amdhsa_tg_split 0
		.amdhsa_exception_fp_ieee_invalid_op 0
		.amdhsa_exception_fp_denorm_src 0
		.amdhsa_exception_fp_ieee_div_zero 0
		.amdhsa_exception_fp_ieee_overflow 0
		.amdhsa_exception_fp_ieee_underflow 0
		.amdhsa_exception_fp_ieee_inexact 0
		.amdhsa_exception_int_div_zero 0
	.end_amdhsa_kernel
	.section	.text._ZN7rocprim17ROCPRIM_400000_NS6detail17trampoline_kernelINS0_14default_configENS1_29reduce_by_key_config_selectorIxxN6thrust23THRUST_200600_302600_NS4plusIxEEEEZZNS1_33reduce_by_key_impl_wrapped_configILNS1_25lookback_scan_determinismE0ES3_S9_NS6_6detail15normal_iteratorINS6_10device_ptrIxEEEESG_SG_SG_PmS8_NS6_8equal_toIxEEEE10hipError_tPvRmT2_T3_mT4_T5_T6_T7_T8_P12ihipStream_tbENKUlT_T0_E_clISt17integral_constantIbLb0EES10_IbLb1EEEEDaSW_SX_EUlSW_E_NS1_11comp_targetILNS1_3genE0ELNS1_11target_archE4294967295ELNS1_3gpuE0ELNS1_3repE0EEENS1_30default_config_static_selectorELNS0_4arch9wavefront6targetE1EEEvT1_,"axG",@progbits,_ZN7rocprim17ROCPRIM_400000_NS6detail17trampoline_kernelINS0_14default_configENS1_29reduce_by_key_config_selectorIxxN6thrust23THRUST_200600_302600_NS4plusIxEEEEZZNS1_33reduce_by_key_impl_wrapped_configILNS1_25lookback_scan_determinismE0ES3_S9_NS6_6detail15normal_iteratorINS6_10device_ptrIxEEEESG_SG_SG_PmS8_NS6_8equal_toIxEEEE10hipError_tPvRmT2_T3_mT4_T5_T6_T7_T8_P12ihipStream_tbENKUlT_T0_E_clISt17integral_constantIbLb0EES10_IbLb1EEEEDaSW_SX_EUlSW_E_NS1_11comp_targetILNS1_3genE0ELNS1_11target_archE4294967295ELNS1_3gpuE0ELNS1_3repE0EEENS1_30default_config_static_selectorELNS0_4arch9wavefront6targetE1EEEvT1_,comdat
.Lfunc_end499:
	.size	_ZN7rocprim17ROCPRIM_400000_NS6detail17trampoline_kernelINS0_14default_configENS1_29reduce_by_key_config_selectorIxxN6thrust23THRUST_200600_302600_NS4plusIxEEEEZZNS1_33reduce_by_key_impl_wrapped_configILNS1_25lookback_scan_determinismE0ES3_S9_NS6_6detail15normal_iteratorINS6_10device_ptrIxEEEESG_SG_SG_PmS8_NS6_8equal_toIxEEEE10hipError_tPvRmT2_T3_mT4_T5_T6_T7_T8_P12ihipStream_tbENKUlT_T0_E_clISt17integral_constantIbLb0EES10_IbLb1EEEEDaSW_SX_EUlSW_E_NS1_11comp_targetILNS1_3genE0ELNS1_11target_archE4294967295ELNS1_3gpuE0ELNS1_3repE0EEENS1_30default_config_static_selectorELNS0_4arch9wavefront6targetE1EEEvT1_, .Lfunc_end499-_ZN7rocprim17ROCPRIM_400000_NS6detail17trampoline_kernelINS0_14default_configENS1_29reduce_by_key_config_selectorIxxN6thrust23THRUST_200600_302600_NS4plusIxEEEEZZNS1_33reduce_by_key_impl_wrapped_configILNS1_25lookback_scan_determinismE0ES3_S9_NS6_6detail15normal_iteratorINS6_10device_ptrIxEEEESG_SG_SG_PmS8_NS6_8equal_toIxEEEE10hipError_tPvRmT2_T3_mT4_T5_T6_T7_T8_P12ihipStream_tbENKUlT_T0_E_clISt17integral_constantIbLb0EES10_IbLb1EEEEDaSW_SX_EUlSW_E_NS1_11comp_targetILNS1_3genE0ELNS1_11target_archE4294967295ELNS1_3gpuE0ELNS1_3repE0EEENS1_30default_config_static_selectorELNS0_4arch9wavefront6targetE1EEEvT1_
                                        ; -- End function
	.section	.AMDGPU.csdata,"",@progbits
; Kernel info:
; codeLenInByte = 0
; NumSgprs: 4
; NumVgprs: 0
; NumAgprs: 0
; TotalNumVgprs: 0
; ScratchSize: 0
; MemoryBound: 0
; FloatMode: 240
; IeeeMode: 1
; LDSByteSize: 0 bytes/workgroup (compile time only)
; SGPRBlocks: 0
; VGPRBlocks: 0
; NumSGPRsForWavesPerEU: 4
; NumVGPRsForWavesPerEU: 1
; AccumOffset: 4
; Occupancy: 8
; WaveLimiterHint : 0
; COMPUTE_PGM_RSRC2:SCRATCH_EN: 0
; COMPUTE_PGM_RSRC2:USER_SGPR: 6
; COMPUTE_PGM_RSRC2:TRAP_HANDLER: 0
; COMPUTE_PGM_RSRC2:TGID_X_EN: 1
; COMPUTE_PGM_RSRC2:TGID_Y_EN: 0
; COMPUTE_PGM_RSRC2:TGID_Z_EN: 0
; COMPUTE_PGM_RSRC2:TIDIG_COMP_CNT: 0
; COMPUTE_PGM_RSRC3_GFX90A:ACCUM_OFFSET: 0
; COMPUTE_PGM_RSRC3_GFX90A:TG_SPLIT: 0
	.section	.text._ZN7rocprim17ROCPRIM_400000_NS6detail17trampoline_kernelINS0_14default_configENS1_29reduce_by_key_config_selectorIxxN6thrust23THRUST_200600_302600_NS4plusIxEEEEZZNS1_33reduce_by_key_impl_wrapped_configILNS1_25lookback_scan_determinismE0ES3_S9_NS6_6detail15normal_iteratorINS6_10device_ptrIxEEEESG_SG_SG_PmS8_NS6_8equal_toIxEEEE10hipError_tPvRmT2_T3_mT4_T5_T6_T7_T8_P12ihipStream_tbENKUlT_T0_E_clISt17integral_constantIbLb0EES10_IbLb1EEEEDaSW_SX_EUlSW_E_NS1_11comp_targetILNS1_3genE5ELNS1_11target_archE942ELNS1_3gpuE9ELNS1_3repE0EEENS1_30default_config_static_selectorELNS0_4arch9wavefront6targetE1EEEvT1_,"axG",@progbits,_ZN7rocprim17ROCPRIM_400000_NS6detail17trampoline_kernelINS0_14default_configENS1_29reduce_by_key_config_selectorIxxN6thrust23THRUST_200600_302600_NS4plusIxEEEEZZNS1_33reduce_by_key_impl_wrapped_configILNS1_25lookback_scan_determinismE0ES3_S9_NS6_6detail15normal_iteratorINS6_10device_ptrIxEEEESG_SG_SG_PmS8_NS6_8equal_toIxEEEE10hipError_tPvRmT2_T3_mT4_T5_T6_T7_T8_P12ihipStream_tbENKUlT_T0_E_clISt17integral_constantIbLb0EES10_IbLb1EEEEDaSW_SX_EUlSW_E_NS1_11comp_targetILNS1_3genE5ELNS1_11target_archE942ELNS1_3gpuE9ELNS1_3repE0EEENS1_30default_config_static_selectorELNS0_4arch9wavefront6targetE1EEEvT1_,comdat
	.protected	_ZN7rocprim17ROCPRIM_400000_NS6detail17trampoline_kernelINS0_14default_configENS1_29reduce_by_key_config_selectorIxxN6thrust23THRUST_200600_302600_NS4plusIxEEEEZZNS1_33reduce_by_key_impl_wrapped_configILNS1_25lookback_scan_determinismE0ES3_S9_NS6_6detail15normal_iteratorINS6_10device_ptrIxEEEESG_SG_SG_PmS8_NS6_8equal_toIxEEEE10hipError_tPvRmT2_T3_mT4_T5_T6_T7_T8_P12ihipStream_tbENKUlT_T0_E_clISt17integral_constantIbLb0EES10_IbLb1EEEEDaSW_SX_EUlSW_E_NS1_11comp_targetILNS1_3genE5ELNS1_11target_archE942ELNS1_3gpuE9ELNS1_3repE0EEENS1_30default_config_static_selectorELNS0_4arch9wavefront6targetE1EEEvT1_ ; -- Begin function _ZN7rocprim17ROCPRIM_400000_NS6detail17trampoline_kernelINS0_14default_configENS1_29reduce_by_key_config_selectorIxxN6thrust23THRUST_200600_302600_NS4plusIxEEEEZZNS1_33reduce_by_key_impl_wrapped_configILNS1_25lookback_scan_determinismE0ES3_S9_NS6_6detail15normal_iteratorINS6_10device_ptrIxEEEESG_SG_SG_PmS8_NS6_8equal_toIxEEEE10hipError_tPvRmT2_T3_mT4_T5_T6_T7_T8_P12ihipStream_tbENKUlT_T0_E_clISt17integral_constantIbLb0EES10_IbLb1EEEEDaSW_SX_EUlSW_E_NS1_11comp_targetILNS1_3genE5ELNS1_11target_archE942ELNS1_3gpuE9ELNS1_3repE0EEENS1_30default_config_static_selectorELNS0_4arch9wavefront6targetE1EEEvT1_
	.globl	_ZN7rocprim17ROCPRIM_400000_NS6detail17trampoline_kernelINS0_14default_configENS1_29reduce_by_key_config_selectorIxxN6thrust23THRUST_200600_302600_NS4plusIxEEEEZZNS1_33reduce_by_key_impl_wrapped_configILNS1_25lookback_scan_determinismE0ES3_S9_NS6_6detail15normal_iteratorINS6_10device_ptrIxEEEESG_SG_SG_PmS8_NS6_8equal_toIxEEEE10hipError_tPvRmT2_T3_mT4_T5_T6_T7_T8_P12ihipStream_tbENKUlT_T0_E_clISt17integral_constantIbLb0EES10_IbLb1EEEEDaSW_SX_EUlSW_E_NS1_11comp_targetILNS1_3genE5ELNS1_11target_archE942ELNS1_3gpuE9ELNS1_3repE0EEENS1_30default_config_static_selectorELNS0_4arch9wavefront6targetE1EEEvT1_
	.p2align	8
	.type	_ZN7rocprim17ROCPRIM_400000_NS6detail17trampoline_kernelINS0_14default_configENS1_29reduce_by_key_config_selectorIxxN6thrust23THRUST_200600_302600_NS4plusIxEEEEZZNS1_33reduce_by_key_impl_wrapped_configILNS1_25lookback_scan_determinismE0ES3_S9_NS6_6detail15normal_iteratorINS6_10device_ptrIxEEEESG_SG_SG_PmS8_NS6_8equal_toIxEEEE10hipError_tPvRmT2_T3_mT4_T5_T6_T7_T8_P12ihipStream_tbENKUlT_T0_E_clISt17integral_constantIbLb0EES10_IbLb1EEEEDaSW_SX_EUlSW_E_NS1_11comp_targetILNS1_3genE5ELNS1_11target_archE942ELNS1_3gpuE9ELNS1_3repE0EEENS1_30default_config_static_selectorELNS0_4arch9wavefront6targetE1EEEvT1_,@function
_ZN7rocprim17ROCPRIM_400000_NS6detail17trampoline_kernelINS0_14default_configENS1_29reduce_by_key_config_selectorIxxN6thrust23THRUST_200600_302600_NS4plusIxEEEEZZNS1_33reduce_by_key_impl_wrapped_configILNS1_25lookback_scan_determinismE0ES3_S9_NS6_6detail15normal_iteratorINS6_10device_ptrIxEEEESG_SG_SG_PmS8_NS6_8equal_toIxEEEE10hipError_tPvRmT2_T3_mT4_T5_T6_T7_T8_P12ihipStream_tbENKUlT_T0_E_clISt17integral_constantIbLb0EES10_IbLb1EEEEDaSW_SX_EUlSW_E_NS1_11comp_targetILNS1_3genE5ELNS1_11target_archE942ELNS1_3gpuE9ELNS1_3repE0EEENS1_30default_config_static_selectorELNS0_4arch9wavefront6targetE1EEEvT1_: ; @_ZN7rocprim17ROCPRIM_400000_NS6detail17trampoline_kernelINS0_14default_configENS1_29reduce_by_key_config_selectorIxxN6thrust23THRUST_200600_302600_NS4plusIxEEEEZZNS1_33reduce_by_key_impl_wrapped_configILNS1_25lookback_scan_determinismE0ES3_S9_NS6_6detail15normal_iteratorINS6_10device_ptrIxEEEESG_SG_SG_PmS8_NS6_8equal_toIxEEEE10hipError_tPvRmT2_T3_mT4_T5_T6_T7_T8_P12ihipStream_tbENKUlT_T0_E_clISt17integral_constantIbLb0EES10_IbLb1EEEEDaSW_SX_EUlSW_E_NS1_11comp_targetILNS1_3genE5ELNS1_11target_archE942ELNS1_3gpuE9ELNS1_3repE0EEENS1_30default_config_static_selectorELNS0_4arch9wavefront6targetE1EEEvT1_
; %bb.0:
	.section	.rodata,"a",@progbits
	.p2align	6, 0x0
	.amdhsa_kernel _ZN7rocprim17ROCPRIM_400000_NS6detail17trampoline_kernelINS0_14default_configENS1_29reduce_by_key_config_selectorIxxN6thrust23THRUST_200600_302600_NS4plusIxEEEEZZNS1_33reduce_by_key_impl_wrapped_configILNS1_25lookback_scan_determinismE0ES3_S9_NS6_6detail15normal_iteratorINS6_10device_ptrIxEEEESG_SG_SG_PmS8_NS6_8equal_toIxEEEE10hipError_tPvRmT2_T3_mT4_T5_T6_T7_T8_P12ihipStream_tbENKUlT_T0_E_clISt17integral_constantIbLb0EES10_IbLb1EEEEDaSW_SX_EUlSW_E_NS1_11comp_targetILNS1_3genE5ELNS1_11target_archE942ELNS1_3gpuE9ELNS1_3repE0EEENS1_30default_config_static_selectorELNS0_4arch9wavefront6targetE1EEEvT1_
		.amdhsa_group_segment_fixed_size 0
		.amdhsa_private_segment_fixed_size 0
		.amdhsa_kernarg_size 136
		.amdhsa_user_sgpr_count 6
		.amdhsa_user_sgpr_private_segment_buffer 1
		.amdhsa_user_sgpr_dispatch_ptr 0
		.amdhsa_user_sgpr_queue_ptr 0
		.amdhsa_user_sgpr_kernarg_segment_ptr 1
		.amdhsa_user_sgpr_dispatch_id 0
		.amdhsa_user_sgpr_flat_scratch_init 0
		.amdhsa_user_sgpr_kernarg_preload_length 0
		.amdhsa_user_sgpr_kernarg_preload_offset 0
		.amdhsa_user_sgpr_private_segment_size 0
		.amdhsa_uses_dynamic_stack 0
		.amdhsa_system_sgpr_private_segment_wavefront_offset 0
		.amdhsa_system_sgpr_workgroup_id_x 1
		.amdhsa_system_sgpr_workgroup_id_y 0
		.amdhsa_system_sgpr_workgroup_id_z 0
		.amdhsa_system_sgpr_workgroup_info 0
		.amdhsa_system_vgpr_workitem_id 0
		.amdhsa_next_free_vgpr 1
		.amdhsa_next_free_sgpr 0
		.amdhsa_accum_offset 4
		.amdhsa_reserve_vcc 0
		.amdhsa_reserve_flat_scratch 0
		.amdhsa_float_round_mode_32 0
		.amdhsa_float_round_mode_16_64 0
		.amdhsa_float_denorm_mode_32 3
		.amdhsa_float_denorm_mode_16_64 3
		.amdhsa_dx10_clamp 1
		.amdhsa_ieee_mode 1
		.amdhsa_fp16_overflow 0
		.amdhsa_tg_split 0
		.amdhsa_exception_fp_ieee_invalid_op 0
		.amdhsa_exception_fp_denorm_src 0
		.amdhsa_exception_fp_ieee_div_zero 0
		.amdhsa_exception_fp_ieee_overflow 0
		.amdhsa_exception_fp_ieee_underflow 0
		.amdhsa_exception_fp_ieee_inexact 0
		.amdhsa_exception_int_div_zero 0
	.end_amdhsa_kernel
	.section	.text._ZN7rocprim17ROCPRIM_400000_NS6detail17trampoline_kernelINS0_14default_configENS1_29reduce_by_key_config_selectorIxxN6thrust23THRUST_200600_302600_NS4plusIxEEEEZZNS1_33reduce_by_key_impl_wrapped_configILNS1_25lookback_scan_determinismE0ES3_S9_NS6_6detail15normal_iteratorINS6_10device_ptrIxEEEESG_SG_SG_PmS8_NS6_8equal_toIxEEEE10hipError_tPvRmT2_T3_mT4_T5_T6_T7_T8_P12ihipStream_tbENKUlT_T0_E_clISt17integral_constantIbLb0EES10_IbLb1EEEEDaSW_SX_EUlSW_E_NS1_11comp_targetILNS1_3genE5ELNS1_11target_archE942ELNS1_3gpuE9ELNS1_3repE0EEENS1_30default_config_static_selectorELNS0_4arch9wavefront6targetE1EEEvT1_,"axG",@progbits,_ZN7rocprim17ROCPRIM_400000_NS6detail17trampoline_kernelINS0_14default_configENS1_29reduce_by_key_config_selectorIxxN6thrust23THRUST_200600_302600_NS4plusIxEEEEZZNS1_33reduce_by_key_impl_wrapped_configILNS1_25lookback_scan_determinismE0ES3_S9_NS6_6detail15normal_iteratorINS6_10device_ptrIxEEEESG_SG_SG_PmS8_NS6_8equal_toIxEEEE10hipError_tPvRmT2_T3_mT4_T5_T6_T7_T8_P12ihipStream_tbENKUlT_T0_E_clISt17integral_constantIbLb0EES10_IbLb1EEEEDaSW_SX_EUlSW_E_NS1_11comp_targetILNS1_3genE5ELNS1_11target_archE942ELNS1_3gpuE9ELNS1_3repE0EEENS1_30default_config_static_selectorELNS0_4arch9wavefront6targetE1EEEvT1_,comdat
.Lfunc_end500:
	.size	_ZN7rocprim17ROCPRIM_400000_NS6detail17trampoline_kernelINS0_14default_configENS1_29reduce_by_key_config_selectorIxxN6thrust23THRUST_200600_302600_NS4plusIxEEEEZZNS1_33reduce_by_key_impl_wrapped_configILNS1_25lookback_scan_determinismE0ES3_S9_NS6_6detail15normal_iteratorINS6_10device_ptrIxEEEESG_SG_SG_PmS8_NS6_8equal_toIxEEEE10hipError_tPvRmT2_T3_mT4_T5_T6_T7_T8_P12ihipStream_tbENKUlT_T0_E_clISt17integral_constantIbLb0EES10_IbLb1EEEEDaSW_SX_EUlSW_E_NS1_11comp_targetILNS1_3genE5ELNS1_11target_archE942ELNS1_3gpuE9ELNS1_3repE0EEENS1_30default_config_static_selectorELNS0_4arch9wavefront6targetE1EEEvT1_, .Lfunc_end500-_ZN7rocprim17ROCPRIM_400000_NS6detail17trampoline_kernelINS0_14default_configENS1_29reduce_by_key_config_selectorIxxN6thrust23THRUST_200600_302600_NS4plusIxEEEEZZNS1_33reduce_by_key_impl_wrapped_configILNS1_25lookback_scan_determinismE0ES3_S9_NS6_6detail15normal_iteratorINS6_10device_ptrIxEEEESG_SG_SG_PmS8_NS6_8equal_toIxEEEE10hipError_tPvRmT2_T3_mT4_T5_T6_T7_T8_P12ihipStream_tbENKUlT_T0_E_clISt17integral_constantIbLb0EES10_IbLb1EEEEDaSW_SX_EUlSW_E_NS1_11comp_targetILNS1_3genE5ELNS1_11target_archE942ELNS1_3gpuE9ELNS1_3repE0EEENS1_30default_config_static_selectorELNS0_4arch9wavefront6targetE1EEEvT1_
                                        ; -- End function
	.section	.AMDGPU.csdata,"",@progbits
; Kernel info:
; codeLenInByte = 0
; NumSgprs: 4
; NumVgprs: 0
; NumAgprs: 0
; TotalNumVgprs: 0
; ScratchSize: 0
; MemoryBound: 0
; FloatMode: 240
; IeeeMode: 1
; LDSByteSize: 0 bytes/workgroup (compile time only)
; SGPRBlocks: 0
; VGPRBlocks: 0
; NumSGPRsForWavesPerEU: 4
; NumVGPRsForWavesPerEU: 1
; AccumOffset: 4
; Occupancy: 8
; WaveLimiterHint : 0
; COMPUTE_PGM_RSRC2:SCRATCH_EN: 0
; COMPUTE_PGM_RSRC2:USER_SGPR: 6
; COMPUTE_PGM_RSRC2:TRAP_HANDLER: 0
; COMPUTE_PGM_RSRC2:TGID_X_EN: 1
; COMPUTE_PGM_RSRC2:TGID_Y_EN: 0
; COMPUTE_PGM_RSRC2:TGID_Z_EN: 0
; COMPUTE_PGM_RSRC2:TIDIG_COMP_CNT: 0
; COMPUTE_PGM_RSRC3_GFX90A:ACCUM_OFFSET: 0
; COMPUTE_PGM_RSRC3_GFX90A:TG_SPLIT: 0
	.section	.text._ZN7rocprim17ROCPRIM_400000_NS6detail17trampoline_kernelINS0_14default_configENS1_29reduce_by_key_config_selectorIxxN6thrust23THRUST_200600_302600_NS4plusIxEEEEZZNS1_33reduce_by_key_impl_wrapped_configILNS1_25lookback_scan_determinismE0ES3_S9_NS6_6detail15normal_iteratorINS6_10device_ptrIxEEEESG_SG_SG_PmS8_NS6_8equal_toIxEEEE10hipError_tPvRmT2_T3_mT4_T5_T6_T7_T8_P12ihipStream_tbENKUlT_T0_E_clISt17integral_constantIbLb0EES10_IbLb1EEEEDaSW_SX_EUlSW_E_NS1_11comp_targetILNS1_3genE4ELNS1_11target_archE910ELNS1_3gpuE8ELNS1_3repE0EEENS1_30default_config_static_selectorELNS0_4arch9wavefront6targetE1EEEvT1_,"axG",@progbits,_ZN7rocprim17ROCPRIM_400000_NS6detail17trampoline_kernelINS0_14default_configENS1_29reduce_by_key_config_selectorIxxN6thrust23THRUST_200600_302600_NS4plusIxEEEEZZNS1_33reduce_by_key_impl_wrapped_configILNS1_25lookback_scan_determinismE0ES3_S9_NS6_6detail15normal_iteratorINS6_10device_ptrIxEEEESG_SG_SG_PmS8_NS6_8equal_toIxEEEE10hipError_tPvRmT2_T3_mT4_T5_T6_T7_T8_P12ihipStream_tbENKUlT_T0_E_clISt17integral_constantIbLb0EES10_IbLb1EEEEDaSW_SX_EUlSW_E_NS1_11comp_targetILNS1_3genE4ELNS1_11target_archE910ELNS1_3gpuE8ELNS1_3repE0EEENS1_30default_config_static_selectorELNS0_4arch9wavefront6targetE1EEEvT1_,comdat
	.protected	_ZN7rocprim17ROCPRIM_400000_NS6detail17trampoline_kernelINS0_14default_configENS1_29reduce_by_key_config_selectorIxxN6thrust23THRUST_200600_302600_NS4plusIxEEEEZZNS1_33reduce_by_key_impl_wrapped_configILNS1_25lookback_scan_determinismE0ES3_S9_NS6_6detail15normal_iteratorINS6_10device_ptrIxEEEESG_SG_SG_PmS8_NS6_8equal_toIxEEEE10hipError_tPvRmT2_T3_mT4_T5_T6_T7_T8_P12ihipStream_tbENKUlT_T0_E_clISt17integral_constantIbLb0EES10_IbLb1EEEEDaSW_SX_EUlSW_E_NS1_11comp_targetILNS1_3genE4ELNS1_11target_archE910ELNS1_3gpuE8ELNS1_3repE0EEENS1_30default_config_static_selectorELNS0_4arch9wavefront6targetE1EEEvT1_ ; -- Begin function _ZN7rocprim17ROCPRIM_400000_NS6detail17trampoline_kernelINS0_14default_configENS1_29reduce_by_key_config_selectorIxxN6thrust23THRUST_200600_302600_NS4plusIxEEEEZZNS1_33reduce_by_key_impl_wrapped_configILNS1_25lookback_scan_determinismE0ES3_S9_NS6_6detail15normal_iteratorINS6_10device_ptrIxEEEESG_SG_SG_PmS8_NS6_8equal_toIxEEEE10hipError_tPvRmT2_T3_mT4_T5_T6_T7_T8_P12ihipStream_tbENKUlT_T0_E_clISt17integral_constantIbLb0EES10_IbLb1EEEEDaSW_SX_EUlSW_E_NS1_11comp_targetILNS1_3genE4ELNS1_11target_archE910ELNS1_3gpuE8ELNS1_3repE0EEENS1_30default_config_static_selectorELNS0_4arch9wavefront6targetE1EEEvT1_
	.globl	_ZN7rocprim17ROCPRIM_400000_NS6detail17trampoline_kernelINS0_14default_configENS1_29reduce_by_key_config_selectorIxxN6thrust23THRUST_200600_302600_NS4plusIxEEEEZZNS1_33reduce_by_key_impl_wrapped_configILNS1_25lookback_scan_determinismE0ES3_S9_NS6_6detail15normal_iteratorINS6_10device_ptrIxEEEESG_SG_SG_PmS8_NS6_8equal_toIxEEEE10hipError_tPvRmT2_T3_mT4_T5_T6_T7_T8_P12ihipStream_tbENKUlT_T0_E_clISt17integral_constantIbLb0EES10_IbLb1EEEEDaSW_SX_EUlSW_E_NS1_11comp_targetILNS1_3genE4ELNS1_11target_archE910ELNS1_3gpuE8ELNS1_3repE0EEENS1_30default_config_static_selectorELNS0_4arch9wavefront6targetE1EEEvT1_
	.p2align	8
	.type	_ZN7rocprim17ROCPRIM_400000_NS6detail17trampoline_kernelINS0_14default_configENS1_29reduce_by_key_config_selectorIxxN6thrust23THRUST_200600_302600_NS4plusIxEEEEZZNS1_33reduce_by_key_impl_wrapped_configILNS1_25lookback_scan_determinismE0ES3_S9_NS6_6detail15normal_iteratorINS6_10device_ptrIxEEEESG_SG_SG_PmS8_NS6_8equal_toIxEEEE10hipError_tPvRmT2_T3_mT4_T5_T6_T7_T8_P12ihipStream_tbENKUlT_T0_E_clISt17integral_constantIbLb0EES10_IbLb1EEEEDaSW_SX_EUlSW_E_NS1_11comp_targetILNS1_3genE4ELNS1_11target_archE910ELNS1_3gpuE8ELNS1_3repE0EEENS1_30default_config_static_selectorELNS0_4arch9wavefront6targetE1EEEvT1_,@function
_ZN7rocprim17ROCPRIM_400000_NS6detail17trampoline_kernelINS0_14default_configENS1_29reduce_by_key_config_selectorIxxN6thrust23THRUST_200600_302600_NS4plusIxEEEEZZNS1_33reduce_by_key_impl_wrapped_configILNS1_25lookback_scan_determinismE0ES3_S9_NS6_6detail15normal_iteratorINS6_10device_ptrIxEEEESG_SG_SG_PmS8_NS6_8equal_toIxEEEE10hipError_tPvRmT2_T3_mT4_T5_T6_T7_T8_P12ihipStream_tbENKUlT_T0_E_clISt17integral_constantIbLb0EES10_IbLb1EEEEDaSW_SX_EUlSW_E_NS1_11comp_targetILNS1_3genE4ELNS1_11target_archE910ELNS1_3gpuE8ELNS1_3repE0EEENS1_30default_config_static_selectorELNS0_4arch9wavefront6targetE1EEEvT1_: ; @_ZN7rocprim17ROCPRIM_400000_NS6detail17trampoline_kernelINS0_14default_configENS1_29reduce_by_key_config_selectorIxxN6thrust23THRUST_200600_302600_NS4plusIxEEEEZZNS1_33reduce_by_key_impl_wrapped_configILNS1_25lookback_scan_determinismE0ES3_S9_NS6_6detail15normal_iteratorINS6_10device_ptrIxEEEESG_SG_SG_PmS8_NS6_8equal_toIxEEEE10hipError_tPvRmT2_T3_mT4_T5_T6_T7_T8_P12ihipStream_tbENKUlT_T0_E_clISt17integral_constantIbLb0EES10_IbLb1EEEEDaSW_SX_EUlSW_E_NS1_11comp_targetILNS1_3genE4ELNS1_11target_archE910ELNS1_3gpuE8ELNS1_3repE0EEENS1_30default_config_static_selectorELNS0_4arch9wavefront6targetE1EEEvT1_
; %bb.0:
	s_load_dwordx8 s[52:59], s[4:5], 0x0
	s_load_dwordx4 s[60:63], s[4:5], 0x20
	s_load_dwordx2 s[64:65], s[4:5], 0x78
	v_cmp_ne_u32_e64 s[2:3], 0, v0
	v_cmp_eq_u32_e64 s[0:1], 0, v0
	s_and_saveexec_b64 s[6:7], s[0:1]
	s_cbranch_execz .LBB501_4
; %bb.1:
	s_mov_b64 s[10:11], exec
	v_mbcnt_lo_u32_b32 v1, s10, 0
	v_mbcnt_hi_u32_b32 v1, s11, v1
	v_cmp_eq_u32_e32 vcc, 0, v1
                                        ; implicit-def: $vgpr2
	s_and_saveexec_b64 s[8:9], vcc
	s_cbranch_execz .LBB501_3
; %bb.2:
	s_load_dwordx2 s[12:13], s[4:5], 0x80
	s_bcnt1_i32_b64 s10, s[10:11]
	v_mov_b32_e32 v2, 0
	v_mov_b32_e32 v3, s10
	s_waitcnt lgkmcnt(0)
	global_atomic_add v2, v2, v3, s[12:13] glc
.LBB501_3:
	s_or_b64 exec, exec, s[8:9]
	s_waitcnt vmcnt(0)
	v_readfirstlane_b32 s8, v2
	v_add_u32_e32 v1, s8, v1
	v_mov_b32_e32 v2, 0
	ds_write_b32 v2, v1
.LBB501_4:
	s_or_b64 exec, exec, s[6:7]
	s_load_dwordx16 s[36:51], s[4:5], 0x38
	v_mov_b32_e32 v3, 0
	s_waitcnt lgkmcnt(0)
	s_lshl_b64 s[4:5], s[54:55], 3
	s_barrier
	ds_read_b32 v1, v3
	s_add_u32 s6, s52, s4
	s_addc_u32 s7, s53, s5
	s_add_u32 s4, s56, s4
	s_mul_i32 s8, s44, s43
	s_mul_hi_u32 s9, s44, s42
	s_addc_u32 s5, s57, s5
	s_add_i32 s8, s9, s8
	s_mul_i32 s9, s45, s42
	s_add_i32 s8, s8, s9
	s_mul_i32 s9, s44, s42
	s_waitcnt lgkmcnt(0)
	v_readfirstlane_b32 s56, v1
	s_movk_i32 s10, 0xf00
	v_mul_lo_u32 v2, v1, s10
	s_add_u32 s52, s9, s56
	v_lshlrev_b64 v[2:3], 3, v[2:3]
	s_addc_u32 s53, s8, 0
	v_mov_b32_e32 v1, s7
	v_add_co_u32_e32 v79, vcc, s6, v2
	s_add_u32 s6, s46, -1
	v_addc_co_u32_e32 v81, vcc, v1, v3, vcc
	s_addc_u32 s7, s47, -1
	v_mov_b32_e32 v4, s5
	v_add_co_u32_e32 v1, vcc, s4, v2
	s_cmp_eq_u64 s[52:53], s[6:7]
	v_addc_co_u32_e32 v76, vcc, v4, v3, vcc
	s_cselect_b64 s[44:45], -1, 0
	s_cmp_lg_u64 s[52:53], s[6:7]
	s_mov_b64 s[4:5], -1
	s_cselect_b64 s[54:55], -1, 0
	s_mul_i32 s33, s6, 0xfffff100
	s_and_b64 vcc, exec, s[44:45]
	s_barrier
	s_cbranch_vccnz .LBB501_6
; %bb.5:
	v_lshlrev_b32_e32 v78, 3, v0
	v_add_co_u32_e32 v2, vcc, v79, v78
	v_addc_co_u32_e32 v3, vcc, 0, v81, vcc
	v_add_co_u32_e32 v4, vcc, 0x1000, v2
	v_addc_co_u32_e32 v5, vcc, 0, v3, vcc
	flat_load_dwordx2 v[6:7], v[2:3]
	flat_load_dwordx2 v[8:9], v[2:3] offset:2048
	flat_load_dwordx2 v[10:11], v[4:5]
	flat_load_dwordx2 v[12:13], v[4:5] offset:2048
	v_add_co_u32_e32 v4, vcc, 0x2000, v2
	v_addc_co_u32_e32 v5, vcc, 0, v3, vcc
	v_add_co_u32_e32 v14, vcc, 0x3000, v2
	v_addc_co_u32_e32 v15, vcc, 0, v3, vcc
	flat_load_dwordx2 v[16:17], v[4:5]
	flat_load_dwordx2 v[18:19], v[4:5] offset:2048
	flat_load_dwordx2 v[20:21], v[14:15]
	flat_load_dwordx2 v[22:23], v[14:15] offset:2048
	;; [unrolled: 8-line block ×3, first 2 shown]
	v_add_co_u32_e32 v4, vcc, 0x6000, v2
	v_addc_co_u32_e32 v5, vcc, 0, v3, vcc
	v_add_co_u32_e32 v2, vcc, 0x7000, v2
	v_addc_co_u32_e32 v3, vcc, 0, v3, vcc
	flat_load_dwordx2 v[14:15], v[4:5]
	flat_load_dwordx2 v[32:33], v[4:5] offset:2048
	flat_load_dwordx2 v[34:35], v[2:3]
	v_add_co_u32_e32 v36, vcc, v1, v78
	s_movk_i32 s4, 0x1000
	v_addc_co_u32_e32 v37, vcc, 0, v76, vcc
	s_movk_i32 s11, 0x70
	s_movk_i32 s5, 0x2000
	v_mad_u32_u24 v77, v0, s11, v78
	s_movk_i32 s6, 0x3000
	s_movk_i32 s7, 0x4000
	;; [unrolled: 1-line block ×5, first 2 shown]
	s_waitcnt vmcnt(0) lgkmcnt(0)
	ds_write2st64_b64 v78, v[6:7], v[8:9] offset1:4
	ds_write2st64_b64 v78, v[10:11], v[12:13] offset0:8 offset1:12
	ds_write2st64_b64 v78, v[16:17], v[18:19] offset0:16 offset1:20
	;; [unrolled: 1-line block ×6, first 2 shown]
	ds_write_b64 v78, v[34:35] offset:28672
	v_add_co_u32_e32 v30, vcc, s4, v36
	v_addc_co_u32_e32 v31, vcc, 0, v37, vcc
	s_waitcnt lgkmcnt(0)
	s_barrier
	ds_read2_b64 v[26:29], v77 offset1:1
	ds_read2_b64 v[22:25], v77 offset0:2 offset1:3
	ds_read2_b64 v[18:21], v77 offset0:4 offset1:5
	;; [unrolled: 1-line block ×6, first 2 shown]
	ds_read_b64 v[74:75], v77 offset:112
	s_waitcnt lgkmcnt(0)
	s_barrier
	flat_load_dwordx2 v[32:33], v[36:37]
	flat_load_dwordx2 v[34:35], v[36:37] offset:2048
	flat_load_dwordx2 v[38:39], v[30:31]
	flat_load_dwordx2 v[40:41], v[30:31] offset:2048
	v_add_co_u32_e32 v30, vcc, s5, v36
	v_addc_co_u32_e32 v31, vcc, 0, v37, vcc
	v_add_co_u32_e32 v42, vcc, s6, v36
	v_addc_co_u32_e32 v43, vcc, 0, v37, vcc
	flat_load_dwordx2 v[44:45], v[30:31]
	flat_load_dwordx2 v[46:47], v[30:31] offset:2048
	flat_load_dwordx2 v[48:49], v[42:43]
	flat_load_dwordx2 v[50:51], v[42:43] offset:2048
	v_add_co_u32_e32 v30, vcc, s7, v36
	v_addc_co_u32_e32 v31, vcc, 0, v37, vcc
	v_add_co_u32_e32 v42, vcc, s8, v36
	v_addc_co_u32_e32 v43, vcc, 0, v37, vcc
	;; [unrolled: 8-line block ×3, first 2 shown]
	flat_load_dwordx2 v[42:43], v[30:31]
	flat_load_dwordx2 v[82:83], v[30:31] offset:2048
	flat_load_dwordx2 v[84:85], v[36:37]
	v_mov_b32_e32 v58, v26
	v_mov_b32_e32 v59, v27
	;; [unrolled: 1-line block ×14, first 2 shown]
	s_waitcnt vmcnt(0) lgkmcnt(0)
	ds_write2st64_b64 v78, v[32:33], v[34:35] offset1:4
	ds_write2st64_b64 v78, v[38:39], v[40:41] offset0:8 offset1:12
	ds_write2st64_b64 v78, v[44:45], v[46:47] offset0:16 offset1:20
	;; [unrolled: 1-line block ×6, first 2 shown]
	ds_write_b64 v78, v[84:85] offset:28672
	s_waitcnt lgkmcnt(0)
	s_barrier
	s_add_i32 s33, s33, s48
	s_cbranch_execz .LBB501_7
	s_branch .LBB501_54
.LBB501_6:
                                        ; implicit-def: $vgpr74_vgpr75
                                        ; implicit-def: $vgpr2_vgpr3
                                        ; implicit-def: $vgpr6_vgpr7
                                        ; implicit-def: $vgpr10_vgpr11
                                        ; implicit-def: $vgpr14_vgpr15
                                        ; implicit-def: $vgpr18_vgpr19
                                        ; implicit-def: $vgpr22_vgpr23
                                        ; implicit-def: $vgpr26_vgpr27
                                        ; implicit-def: $vgpr77
                                        ; implicit-def: $vgpr66_vgpr67_vgpr68_vgpr69
                                        ; implicit-def: $vgpr62_vgpr63_vgpr64_vgpr65
                                        ; implicit-def: $vgpr58_vgpr59_vgpr60_vgpr61
                                        ; implicit-def: $vgpr70_vgpr71_vgpr72_vgpr73
	s_andn2_b64 vcc, exec, s[4:5]
	s_add_i32 s33, s33, s48
	s_cbranch_vccnz .LBB501_54
.LBB501_7:
	v_cmp_gt_u32_e32 vcc, s33, v0
                                        ; implicit-def: $vgpr2_vgpr3
	s_and_saveexec_b64 s[6:7], vcc
	s_cbranch_execz .LBB501_9
; %bb.8:
	v_lshlrev_b32_e32 v2, 3, v0
	v_add_co_u32_e64 v2, s[4:5], v79, v2
	v_addc_co_u32_e64 v3, s[4:5], 0, v81, s[4:5]
	flat_load_dwordx2 v[2:3], v[2:3]
.LBB501_9:
	s_or_b64 exec, exec, s[6:7]
	v_or_b32_e32 v4, 0x100, v0
	v_cmp_gt_u32_e64 s[4:5], s33, v4
                                        ; implicit-def: $vgpr4_vgpr5
	s_and_saveexec_b64 s[8:9], s[4:5]
	s_cbranch_execz .LBB501_11
; %bb.10:
	v_lshlrev_b32_e32 v4, 3, v0
	v_add_co_u32_e64 v4, s[6:7], v79, v4
	v_addc_co_u32_e64 v5, s[6:7], 0, v81, s[6:7]
	flat_load_dwordx2 v[4:5], v[4:5] offset:2048
.LBB501_11:
	s_or_b64 exec, exec, s[8:9]
	v_or_b32_e32 v6, 0x200, v0
	v_cmp_gt_u32_e64 s[6:7], s33, v6
	v_lshlrev_b32_e32 v36, 3, v6
                                        ; implicit-def: $vgpr6_vgpr7
	s_and_saveexec_b64 s[10:11], s[6:7]
	s_cbranch_execz .LBB501_13
; %bb.12:
	v_add_co_u32_e64 v6, s[8:9], v79, v36
	v_addc_co_u32_e64 v7, s[8:9], 0, v81, s[8:9]
	flat_load_dwordx2 v[6:7], v[6:7]
.LBB501_13:
	s_or_b64 exec, exec, s[10:11]
	v_or_b32_e32 v8, 0x300, v0
	v_cmp_gt_u32_e64 s[8:9], s33, v8
	v_lshlrev_b32_e32 v38, 3, v8
                                        ; implicit-def: $vgpr8_vgpr9
	s_and_saveexec_b64 s[12:13], s[8:9]
	s_cbranch_execz .LBB501_15
; %bb.14:
	v_add_co_u32_e64 v8, s[10:11], v79, v38
	v_addc_co_u32_e64 v9, s[10:11], 0, v81, s[10:11]
	flat_load_dwordx2 v[8:9], v[8:9]
.LBB501_15:
	s_or_b64 exec, exec, s[12:13]
	v_or_b32_e32 v10, 0x400, v0
	v_cmp_gt_u32_e64 s[10:11], s33, v10
	v_lshlrev_b32_e32 v40, 3, v10
                                        ; implicit-def: $vgpr10_vgpr11
	s_and_saveexec_b64 s[14:15], s[10:11]
	s_cbranch_execz .LBB501_17
; %bb.16:
	v_add_co_u32_e64 v10, s[12:13], v79, v40
	v_addc_co_u32_e64 v11, s[12:13], 0, v81, s[12:13]
	flat_load_dwordx2 v[10:11], v[10:11]
.LBB501_17:
	s_or_b64 exec, exec, s[14:15]
	v_or_b32_e32 v12, 0x500, v0
	v_cmp_gt_u32_e64 s[12:13], s33, v12
	v_lshlrev_b32_e32 v42, 3, v12
                                        ; implicit-def: $vgpr12_vgpr13
	s_and_saveexec_b64 s[16:17], s[12:13]
	s_cbranch_execz .LBB501_19
; %bb.18:
	v_add_co_u32_e64 v12, s[14:15], v79, v42
	v_addc_co_u32_e64 v13, s[14:15], 0, v81, s[14:15]
	flat_load_dwordx2 v[12:13], v[12:13]
.LBB501_19:
	s_or_b64 exec, exec, s[16:17]
	v_or_b32_e32 v14, 0x600, v0
	v_cmp_gt_u32_e64 s[14:15], s33, v14
	v_lshlrev_b32_e32 v44, 3, v14
                                        ; implicit-def: $vgpr14_vgpr15
	s_and_saveexec_b64 s[18:19], s[14:15]
	s_cbranch_execz .LBB501_21
; %bb.20:
	v_add_co_u32_e64 v14, s[16:17], v79, v44
	v_addc_co_u32_e64 v15, s[16:17], 0, v81, s[16:17]
	flat_load_dwordx2 v[14:15], v[14:15]
.LBB501_21:
	s_or_b64 exec, exec, s[18:19]
	v_or_b32_e32 v16, 0x700, v0
	v_cmp_gt_u32_e64 s[16:17], s33, v16
	v_lshlrev_b32_e32 v46, 3, v16
                                        ; implicit-def: $vgpr16_vgpr17
	s_and_saveexec_b64 s[20:21], s[16:17]
	s_cbranch_execz .LBB501_23
; %bb.22:
	v_add_co_u32_e64 v16, s[18:19], v79, v46
	v_addc_co_u32_e64 v17, s[18:19], 0, v81, s[18:19]
	flat_load_dwordx2 v[16:17], v[16:17]
.LBB501_23:
	s_or_b64 exec, exec, s[20:21]
	v_or_b32_e32 v18, 0x800, v0
	v_cmp_gt_u32_e64 s[18:19], s33, v18
	v_lshlrev_b32_e32 v48, 3, v18
                                        ; implicit-def: $vgpr18_vgpr19
	s_and_saveexec_b64 s[22:23], s[18:19]
	s_cbranch_execz .LBB501_25
; %bb.24:
	v_add_co_u32_e64 v18, s[20:21], v79, v48
	v_addc_co_u32_e64 v19, s[20:21], 0, v81, s[20:21]
	flat_load_dwordx2 v[18:19], v[18:19]
.LBB501_25:
	s_or_b64 exec, exec, s[22:23]
	v_or_b32_e32 v20, 0x900, v0
	v_cmp_gt_u32_e64 s[20:21], s33, v20
	v_lshlrev_b32_e32 v50, 3, v20
                                        ; implicit-def: $vgpr20_vgpr21
	s_and_saveexec_b64 s[24:25], s[20:21]
	s_cbranch_execz .LBB501_27
; %bb.26:
	v_add_co_u32_e64 v20, s[22:23], v79, v50
	v_addc_co_u32_e64 v21, s[22:23], 0, v81, s[22:23]
	flat_load_dwordx2 v[20:21], v[20:21]
.LBB501_27:
	s_or_b64 exec, exec, s[24:25]
	v_or_b32_e32 v22, 0xa00, v0
	v_cmp_gt_u32_e64 s[22:23], s33, v22
	v_lshlrev_b32_e32 v52, 3, v22
                                        ; implicit-def: $vgpr22_vgpr23
	s_and_saveexec_b64 s[26:27], s[22:23]
	s_cbranch_execz .LBB501_29
; %bb.28:
	v_add_co_u32_e64 v22, s[24:25], v79, v52
	v_addc_co_u32_e64 v23, s[24:25], 0, v81, s[24:25]
	flat_load_dwordx2 v[22:23], v[22:23]
.LBB501_29:
	s_or_b64 exec, exec, s[26:27]
	v_or_b32_e32 v24, 0xb00, v0
	v_cmp_gt_u32_e64 s[24:25], s33, v24
	v_lshlrev_b32_e32 v54, 3, v24
                                        ; implicit-def: $vgpr24_vgpr25
	s_and_saveexec_b64 s[28:29], s[24:25]
	s_cbranch_execz .LBB501_31
; %bb.30:
	v_add_co_u32_e64 v24, s[26:27], v79, v54
	v_addc_co_u32_e64 v25, s[26:27], 0, v81, s[26:27]
	flat_load_dwordx2 v[24:25], v[24:25]
.LBB501_31:
	s_or_b64 exec, exec, s[28:29]
	v_or_b32_e32 v26, 0xc00, v0
	v_cmp_gt_u32_e64 s[26:27], s33, v26
	v_lshlrev_b32_e32 v56, 3, v26
                                        ; implicit-def: $vgpr26_vgpr27
	s_and_saveexec_b64 s[30:31], s[26:27]
	s_cbranch_execz .LBB501_33
; %bb.32:
	v_add_co_u32_e64 v26, s[28:29], v79, v56
	v_addc_co_u32_e64 v27, s[28:29], 0, v81, s[28:29]
	flat_load_dwordx2 v[26:27], v[26:27]
.LBB501_33:
	s_or_b64 exec, exec, s[30:31]
	v_or_b32_e32 v28, 0xd00, v0
	v_cmp_gt_u32_e64 s[28:29], s33, v28
	v_lshlrev_b32_e32 v58, 3, v28
                                        ; implicit-def: $vgpr28_vgpr29
	s_and_saveexec_b64 s[34:35], s[28:29]
	s_cbranch_execz .LBB501_35
; %bb.34:
	v_add_co_u32_e64 v28, s[30:31], v79, v58
	v_addc_co_u32_e64 v29, s[30:31], 0, v81, s[30:31]
	flat_load_dwordx2 v[28:29], v[28:29]
.LBB501_35:
	s_or_b64 exec, exec, s[34:35]
	v_or_b32_e32 v30, 0xe00, v0
	v_cmp_gt_u32_e64 s[30:31], s33, v30
	v_lshlrev_b32_e32 v61, 3, v30
                                        ; implicit-def: $vgpr30_vgpr31
	s_and_saveexec_b64 s[46:47], s[30:31]
	s_cbranch_execz .LBB501_37
; %bb.36:
	v_add_co_u32_e64 v30, s[34:35], v79, v61
	v_addc_co_u32_e64 v31, s[34:35], 0, v81, s[34:35]
	flat_load_dwordx2 v[30:31], v[30:31]
.LBB501_37:
	s_or_b64 exec, exec, s[46:47]
	v_lshlrev_b32_e32 v60, 3, v0
	s_movk_i32 s34, 0x70
	v_mad_u32_u24 v77, v0, s34, v60
	s_waitcnt vmcnt(0) lgkmcnt(0)
	ds_write2st64_b64 v60, v[2:3], v[4:5] offset1:4
	ds_write2st64_b64 v60, v[6:7], v[8:9] offset0:8 offset1:12
	ds_write2st64_b64 v60, v[10:11], v[12:13] offset0:16 offset1:20
	;; [unrolled: 1-line block ×6, first 2 shown]
	ds_write_b64 v60, v[30:31] offset:28672
	s_waitcnt lgkmcnt(0)
	s_barrier
	ds_read2_b64 v[26:29], v77 offset1:1
	ds_read2_b64 v[22:25], v77 offset0:2 offset1:3
	ds_read2_b64 v[18:21], v77 offset0:4 offset1:5
	;; [unrolled: 1-line block ×6, first 2 shown]
	ds_read_b64 v[74:75], v77 offset:112
	s_waitcnt lgkmcnt(0)
	s_barrier
	s_waitcnt lgkmcnt(0)
                                        ; implicit-def: $vgpr30_vgpr31
	s_and_saveexec_b64 s[34:35], vcc
	s_cbranch_execnz .LBB501_61
; %bb.38:
	s_or_b64 exec, exec, s[34:35]
                                        ; implicit-def: $vgpr32_vgpr33
	s_and_saveexec_b64 s[34:35], s[4:5]
	s_cbranch_execnz .LBB501_62
.LBB501_39:
	s_or_b64 exec, exec, s[34:35]
                                        ; implicit-def: $vgpr34_vgpr35
	s_and_saveexec_b64 s[4:5], s[6:7]
	s_cbranch_execnz .LBB501_63
.LBB501_40:
	s_or_b64 exec, exec, s[4:5]
                                        ; implicit-def: $vgpr36_vgpr37
	s_and_saveexec_b64 s[4:5], s[8:9]
	s_cbranch_execnz .LBB501_64
.LBB501_41:
	s_or_b64 exec, exec, s[4:5]
                                        ; implicit-def: $vgpr38_vgpr39
	s_and_saveexec_b64 s[4:5], s[10:11]
	s_cbranch_execnz .LBB501_65
.LBB501_42:
	s_or_b64 exec, exec, s[4:5]
                                        ; implicit-def: $vgpr40_vgpr41
	s_and_saveexec_b64 s[4:5], s[12:13]
	s_cbranch_execnz .LBB501_66
.LBB501_43:
	s_or_b64 exec, exec, s[4:5]
                                        ; implicit-def: $vgpr42_vgpr43
	s_and_saveexec_b64 s[4:5], s[14:15]
	s_cbranch_execnz .LBB501_67
.LBB501_44:
	s_or_b64 exec, exec, s[4:5]
                                        ; implicit-def: $vgpr44_vgpr45
	s_and_saveexec_b64 s[4:5], s[16:17]
	s_cbranch_execnz .LBB501_68
.LBB501_45:
	s_or_b64 exec, exec, s[4:5]
                                        ; implicit-def: $vgpr46_vgpr47
	s_and_saveexec_b64 s[4:5], s[18:19]
	s_cbranch_execnz .LBB501_69
.LBB501_46:
	s_or_b64 exec, exec, s[4:5]
                                        ; implicit-def: $vgpr48_vgpr49
	s_and_saveexec_b64 s[4:5], s[20:21]
	s_cbranch_execnz .LBB501_70
.LBB501_47:
	s_or_b64 exec, exec, s[4:5]
                                        ; implicit-def: $vgpr50_vgpr51
	s_and_saveexec_b64 s[4:5], s[22:23]
	s_cbranch_execnz .LBB501_71
.LBB501_48:
	s_or_b64 exec, exec, s[4:5]
                                        ; implicit-def: $vgpr52_vgpr53
	s_and_saveexec_b64 s[4:5], s[24:25]
	s_cbranch_execnz .LBB501_72
.LBB501_49:
	s_or_b64 exec, exec, s[4:5]
                                        ; implicit-def: $vgpr54_vgpr55
	s_and_saveexec_b64 s[4:5], s[26:27]
	s_cbranch_execnz .LBB501_73
.LBB501_50:
	s_or_b64 exec, exec, s[4:5]
                                        ; implicit-def: $vgpr56_vgpr57
	s_and_saveexec_b64 s[4:5], s[28:29]
	s_cbranch_execnz .LBB501_74
.LBB501_51:
	s_or_b64 exec, exec, s[4:5]
                                        ; implicit-def: $vgpr58_vgpr59
	s_and_saveexec_b64 s[4:5], s[30:31]
	s_cbranch_execz .LBB501_53
.LBB501_52:
	v_add_co_u32_e32 v58, vcc, v1, v61
	v_addc_co_u32_e32 v59, vcc, 0, v76, vcc
	flat_load_dwordx2 v[58:59], v[58:59]
.LBB501_53:
	s_or_b64 exec, exec, s[4:5]
	s_waitcnt vmcnt(0) lgkmcnt(0)
	ds_write2st64_b64 v60, v[30:31], v[32:33] offset1:4
	ds_write2st64_b64 v60, v[34:35], v[36:37] offset0:8 offset1:12
	ds_write2st64_b64 v60, v[38:39], v[40:41] offset0:16 offset1:20
	;; [unrolled: 1-line block ×6, first 2 shown]
	ds_write_b64 v60, v[58:59] offset:28672
	v_mov_b32_e32 v58, v26
	v_mov_b32_e32 v59, v27
	;; [unrolled: 1-line block ×14, first 2 shown]
	s_waitcnt lgkmcnt(0)
	s_barrier
.LBB501_54:
	ds_read2_b64 v[54:57], v77 offset1:1
	ds_read2_b64 v[50:53], v77 offset0:2 offset1:3
	ds_read2_b64 v[46:49], v77 offset0:4 offset1:5
	ds_read2_b64 v[42:45], v77 offset0:6 offset1:7
	ds_read2_b64 v[38:41], v77 offset0:8 offset1:9
	ds_read2_b64 v[34:37], v77 offset0:10 offset1:11
	ds_read2_b64 v[30:33], v77 offset0:12 offset1:13
	ds_read_b64 v[72:73], v77 offset:112
	s_cmp_eq_u64 s[52:53], 0
	s_cselect_b64 s[46:47], -1, 0
	s_cmp_lg_u64 s[52:53], 0
	s_mov_b64 s[34:35], 0
	s_cselect_b64 s[30:31], -1, 0
	s_and_b64 vcc, exec, s[54:55]
	s_waitcnt lgkmcnt(0)
	s_barrier
	s_cbranch_vccz .LBB501_60
; %bb.55:
	s_and_b64 vcc, exec, s[30:31]
	s_cbranch_vccz .LBB501_75
; %bb.56:
	v_add_co_u32_e32 v76, vcc, -8, v79
	v_addc_co_u32_e32 v77, vcc, -1, v81, vcc
	flat_load_dwordx2 v[76:77], v[76:77]
	v_lshlrev_b32_e32 v1, 3, v0
	v_cmp_ne_u64_e32 vcc, v[4:5], v[74:75]
	v_cmp_ne_u64_e64 s[4:5], v[2:3], v[4:5]
	v_cmp_ne_u64_e64 s[6:7], v[8:9], v[2:3]
	;; [unrolled: 1-line block ×13, first 2 shown]
	ds_write_b64 v1, v[74:75]
	s_waitcnt lgkmcnt(0)
	s_barrier
	s_and_saveexec_b64 s[34:35], s[2:3]
	s_cbranch_execz .LBB501_58
; %bb.57:
	v_add_u32_e32 v1, -8, v1
	s_waitcnt vmcnt(0)
	ds_read_b64 v[76:77], v1
.LBB501_58:
	s_or_b64 exec, exec, s[34:35]
	v_cndmask_b32_e64 v1, 0, 1, vcc
	v_cndmask_b32_e64 v100, 0, 1, s[4:5]
	v_cndmask_b32_e64 v101, 0, 1, s[6:7]
	;; [unrolled: 1-line block ×13, first 2 shown]
	s_waitcnt vmcnt(0) lgkmcnt(0)
	v_cmp_ne_u64_e64 s[4:5], v[76:77], v[26:27]
	s_mov_b64 s[34:35], -1
.LBB501_59:
                                        ; implicit-def: $sgpr8
	s_branch .LBB501_87
.LBB501_60:
                                        ; implicit-def: $sgpr4_sgpr5
                                        ; implicit-def: $vgpr1
                                        ; implicit-def: $vgpr100
                                        ; implicit-def: $vgpr101
                                        ; implicit-def: $vgpr102
                                        ; implicit-def: $vgpr103
                                        ; implicit-def: $vgpr104
                                        ; implicit-def: $vgpr105
                                        ; implicit-def: $vgpr106
                                        ; implicit-def: $vgpr107
                                        ; implicit-def: $vgpr108
                                        ; implicit-def: $vgpr109
                                        ; implicit-def: $vgpr110
                                        ; implicit-def: $vgpr111
                                        ; implicit-def: $vgpr112
                                        ; implicit-def: $sgpr8
	s_cbranch_execnz .LBB501_79
	s_branch .LBB501_87
.LBB501_61:
	v_add_co_u32_e32 v30, vcc, v1, v60
	v_addc_co_u32_e32 v31, vcc, 0, v76, vcc
	flat_load_dwordx2 v[30:31], v[30:31]
	s_or_b64 exec, exec, s[34:35]
                                        ; implicit-def: $vgpr32_vgpr33
	s_and_saveexec_b64 s[34:35], s[4:5]
	s_cbranch_execz .LBB501_39
.LBB501_62:
	v_add_co_u32_e32 v32, vcc, v1, v60
	v_addc_co_u32_e32 v33, vcc, 0, v76, vcc
	flat_load_dwordx2 v[32:33], v[32:33] offset:2048
	s_or_b64 exec, exec, s[34:35]
                                        ; implicit-def: $vgpr34_vgpr35
	s_and_saveexec_b64 s[4:5], s[6:7]
	s_cbranch_execz .LBB501_40
.LBB501_63:
	v_add_co_u32_e32 v34, vcc, v1, v36
	v_addc_co_u32_e32 v35, vcc, 0, v76, vcc
	flat_load_dwordx2 v[34:35], v[34:35]
	s_or_b64 exec, exec, s[4:5]
                                        ; implicit-def: $vgpr36_vgpr37
	s_and_saveexec_b64 s[4:5], s[8:9]
	s_cbranch_execz .LBB501_41
.LBB501_64:
	v_add_co_u32_e32 v36, vcc, v1, v38
	v_addc_co_u32_e32 v37, vcc, 0, v76, vcc
	flat_load_dwordx2 v[36:37], v[36:37]
	s_or_b64 exec, exec, s[4:5]
                                        ; implicit-def: $vgpr38_vgpr39
	s_and_saveexec_b64 s[4:5], s[10:11]
	s_cbranch_execz .LBB501_42
.LBB501_65:
	v_add_co_u32_e32 v38, vcc, v1, v40
	v_addc_co_u32_e32 v39, vcc, 0, v76, vcc
	flat_load_dwordx2 v[38:39], v[38:39]
	s_or_b64 exec, exec, s[4:5]
                                        ; implicit-def: $vgpr40_vgpr41
	s_and_saveexec_b64 s[4:5], s[12:13]
	s_cbranch_execz .LBB501_43
.LBB501_66:
	v_add_co_u32_e32 v40, vcc, v1, v42
	v_addc_co_u32_e32 v41, vcc, 0, v76, vcc
	flat_load_dwordx2 v[40:41], v[40:41]
	s_or_b64 exec, exec, s[4:5]
                                        ; implicit-def: $vgpr42_vgpr43
	s_and_saveexec_b64 s[4:5], s[14:15]
	s_cbranch_execz .LBB501_44
.LBB501_67:
	v_add_co_u32_e32 v42, vcc, v1, v44
	v_addc_co_u32_e32 v43, vcc, 0, v76, vcc
	flat_load_dwordx2 v[42:43], v[42:43]
	s_or_b64 exec, exec, s[4:5]
                                        ; implicit-def: $vgpr44_vgpr45
	s_and_saveexec_b64 s[4:5], s[16:17]
	s_cbranch_execz .LBB501_45
.LBB501_68:
	v_add_co_u32_e32 v44, vcc, v1, v46
	v_addc_co_u32_e32 v45, vcc, 0, v76, vcc
	flat_load_dwordx2 v[44:45], v[44:45]
	s_or_b64 exec, exec, s[4:5]
                                        ; implicit-def: $vgpr46_vgpr47
	s_and_saveexec_b64 s[4:5], s[18:19]
	s_cbranch_execz .LBB501_46
.LBB501_69:
	v_add_co_u32_e32 v46, vcc, v1, v48
	v_addc_co_u32_e32 v47, vcc, 0, v76, vcc
	flat_load_dwordx2 v[46:47], v[46:47]
	s_or_b64 exec, exec, s[4:5]
                                        ; implicit-def: $vgpr48_vgpr49
	s_and_saveexec_b64 s[4:5], s[20:21]
	s_cbranch_execz .LBB501_47
.LBB501_70:
	v_add_co_u32_e32 v48, vcc, v1, v50
	v_addc_co_u32_e32 v49, vcc, 0, v76, vcc
	flat_load_dwordx2 v[48:49], v[48:49]
	s_or_b64 exec, exec, s[4:5]
                                        ; implicit-def: $vgpr50_vgpr51
	s_and_saveexec_b64 s[4:5], s[22:23]
	s_cbranch_execz .LBB501_48
.LBB501_71:
	v_add_co_u32_e32 v50, vcc, v1, v52
	v_addc_co_u32_e32 v51, vcc, 0, v76, vcc
	flat_load_dwordx2 v[50:51], v[50:51]
	s_or_b64 exec, exec, s[4:5]
                                        ; implicit-def: $vgpr52_vgpr53
	s_and_saveexec_b64 s[4:5], s[24:25]
	s_cbranch_execz .LBB501_49
.LBB501_72:
	v_add_co_u32_e32 v52, vcc, v1, v54
	v_addc_co_u32_e32 v53, vcc, 0, v76, vcc
	flat_load_dwordx2 v[52:53], v[52:53]
	s_or_b64 exec, exec, s[4:5]
                                        ; implicit-def: $vgpr54_vgpr55
	s_and_saveexec_b64 s[4:5], s[26:27]
	s_cbranch_execz .LBB501_50
.LBB501_73:
	v_add_co_u32_e32 v54, vcc, v1, v56
	v_addc_co_u32_e32 v55, vcc, 0, v76, vcc
	flat_load_dwordx2 v[54:55], v[54:55]
	s_or_b64 exec, exec, s[4:5]
                                        ; implicit-def: $vgpr56_vgpr57
	s_and_saveexec_b64 s[4:5], s[28:29]
	s_cbranch_execz .LBB501_51
.LBB501_74:
	v_add_co_u32_e32 v56, vcc, v1, v58
	v_addc_co_u32_e32 v57, vcc, 0, v76, vcc
	flat_load_dwordx2 v[56:57], v[56:57]
	s_or_b64 exec, exec, s[4:5]
                                        ; implicit-def: $vgpr58_vgpr59
	s_and_saveexec_b64 s[4:5], s[30:31]
	s_cbranch_execnz .LBB501_52
	s_branch .LBB501_53
.LBB501_75:
                                        ; implicit-def: $sgpr4_sgpr5
                                        ; implicit-def: $vgpr1
                                        ; implicit-def: $vgpr100
                                        ; implicit-def: $vgpr101
                                        ; implicit-def: $vgpr102
                                        ; implicit-def: $vgpr103
                                        ; implicit-def: $vgpr104
                                        ; implicit-def: $vgpr105
                                        ; implicit-def: $vgpr106
                                        ; implicit-def: $vgpr107
                                        ; implicit-def: $vgpr108
                                        ; implicit-def: $vgpr109
                                        ; implicit-def: $vgpr110
                                        ; implicit-def: $vgpr111
                                        ; implicit-def: $vgpr112
	s_cbranch_execz .LBB501_59
; %bb.76:
	v_cmp_ne_u64_e32 vcc, v[28:29], v[58:59]
	v_cndmask_b32_e64 v112, 0, 1, vcc
	v_cmp_ne_u64_e32 vcc, v[28:29], v[60:61]
	v_cndmask_b32_e64 v111, 0, 1, vcc
	v_cmp_ne_u64_e32 vcc, v[60:61], v[24:25]
	v_cndmask_b32_e64 v110, 0, 1, vcc
	v_cmp_ne_u64_e32 vcc, v[62:63], v[24:25]
	v_cndmask_b32_e64 v109, 0, 1, vcc
	v_cmp_ne_u64_e32 vcc, v[20:21], v[62:63]
	v_cndmask_b32_e64 v108, 0, 1, vcc
	v_cmp_ne_u64_e32 vcc, v[20:21], v[64:65]
	v_cndmask_b32_e64 v107, 0, 1, vcc
	v_cmp_ne_u64_e32 vcc, v[64:65], v[16:17]
	v_cndmask_b32_e64 v106, 0, 1, vcc
	v_cmp_ne_u64_e32 vcc, v[66:67], v[16:17]
	v_cndmask_b32_e64 v105, 0, 1, vcc
	v_cmp_ne_u64_e32 vcc, v[12:13], v[66:67]
	v_cndmask_b32_e64 v104, 0, 1, vcc
	v_cmp_ne_u64_e32 vcc, v[12:13], v[68:69]
	v_cndmask_b32_e64 v103, 0, 1, vcc
	v_cmp_ne_u64_e32 vcc, v[68:69], v[8:9]
	v_cndmask_b32_e64 v102, 0, 1, vcc
	v_cmp_ne_u64_e32 vcc, v[70:71], v[8:9]
	v_cndmask_b32_e64 v101, 0, 1, vcc
	v_cmp_ne_u64_e32 vcc, v[4:5], v[70:71]
	v_cndmask_b32_e64 v100, 0, 1, vcc
	v_cmp_ne_u64_e32 vcc, v[4:5], v[74:75]
	v_lshlrev_b32_e32 v76, 3, v0
	v_cndmask_b32_e64 v1, 0, 1, vcc
	ds_write_b64 v76, v[74:75]
	s_waitcnt lgkmcnt(0)
	s_barrier
	s_waitcnt lgkmcnt(0)
                                        ; implicit-def: $sgpr4_sgpr5
	s_and_saveexec_b64 s[6:7], s[2:3]
	s_xor_b64 s[6:7], exec, s[6:7]
	s_cbranch_execz .LBB501_78
; %bb.77:
	v_add_u32_e32 v58, -8, v76
	ds_read_b64 v[58:59], v58
	s_or_b64 s[34:35], s[34:35], exec
	s_waitcnt lgkmcnt(0)
	v_cmp_ne_u64_e32 vcc, v[58:59], v[26:27]
	s_and_b64 s[4:5], vcc, exec
.LBB501_78:
	s_or_b64 exec, exec, s[6:7]
	s_mov_b32 s8, 1
	s_branch .LBB501_87
.LBB501_79:
	s_mul_hi_u32 s5, s52, 0xfffff100
	s_mul_i32 s4, s53, 0xfffff100
	s_sub_i32 s5, s5, s52
	s_add_i32 s5, s5, s4
	s_mul_i32 s4, s52, 0xfffff100
	s_add_u32 s48, s4, s48
	s_addc_u32 s49, s5, s49
	s_and_b64 vcc, exec, s[30:31]
	v_cmp_ne_u64_e64 s[30:31], v[4:5], v[74:75]
	v_cmp_ne_u64_e64 s[28:29], v[2:3], v[4:5]
	;; [unrolled: 1-line block ×14, first 2 shown]
	v_mad_u32_u24 v58, v0, 15, 14
	v_mad_u32_u24 v88, v0, 15, 13
	;; [unrolled: 1-line block ×14, first 2 shown]
	s_cbranch_vccz .LBB501_84
; %bb.80:
	v_add_co_u32_e32 v90, vcc, -8, v79
	v_addc_co_u32_e32 v91, vcc, -1, v81, vcc
	flat_load_dwordx2 v[90:91], v[90:91]
	v_mov_b32_e32 v59, 0
	v_cmp_gt_u64_e32 vcc, s[48:49], v[58:59]
	v_mov_b32_e32 v89, v59
	s_and_b64 s[30:31], vcc, s[30:31]
	v_cmp_gt_u64_e32 vcc, s[48:49], v[88:89]
	v_mov_b32_e32 v87, v59
	s_and_b64 s[28:29], vcc, s[28:29]
	;; [unrolled: 3-line block ×13, first 2 shown]
	v_cmp_gt_u64_e32 vcc, s[48:49], v[60:61]
	v_lshlrev_b32_e32 v1, 3, v0
	v_mul_u32_u24_e32 v92, 15, v0
	s_and_b64 s[4:5], vcc, s[4:5]
	ds_write_b64 v1, v[74:75]
	s_waitcnt lgkmcnt(0)
	s_barrier
	s_and_saveexec_b64 s[34:35], s[2:3]
	s_cbranch_execz .LBB501_82
; %bb.81:
	v_add_u32_e32 v1, -8, v1
	s_waitcnt vmcnt(0)
	ds_read_b64 v[90:91], v1
.LBB501_82:
	s_or_b64 exec, exec, s[34:35]
	v_mov_b32_e32 v93, v59
	v_cndmask_b32_e64 v112, 0, 1, s[4:5]
	v_cmp_gt_u64_e32 vcc, s[48:49], v[92:93]
	s_waitcnt vmcnt(0) lgkmcnt(0)
	v_cmp_ne_u64_e64 s[4:5], v[90:91], v[26:27]
	v_cndmask_b32_e64 v1, 0, 1, s[30:31]
	v_cndmask_b32_e64 v100, 0, 1, s[28:29]
	;; [unrolled: 1-line block ×13, first 2 shown]
	s_and_b64 s[4:5], vcc, s[4:5]
	s_mov_b64 s[34:35], -1
.LBB501_83:
                                        ; implicit-def: $sgpr8
	v_mov_b32_e32 v113, s8
	s_and_saveexec_b64 s[2:3], s[34:35]
	s_cbranch_execnz .LBB501_88
	s_branch .LBB501_89
.LBB501_84:
                                        ; implicit-def: $sgpr4_sgpr5
                                        ; implicit-def: $vgpr1
                                        ; implicit-def: $vgpr100
                                        ; implicit-def: $vgpr101
                                        ; implicit-def: $vgpr102
                                        ; implicit-def: $vgpr103
                                        ; implicit-def: $vgpr104
                                        ; implicit-def: $vgpr105
                                        ; implicit-def: $vgpr106
                                        ; implicit-def: $vgpr107
                                        ; implicit-def: $vgpr108
                                        ; implicit-def: $vgpr109
                                        ; implicit-def: $vgpr110
                                        ; implicit-def: $vgpr111
                                        ; implicit-def: $vgpr112
	s_cbranch_execz .LBB501_83
; %bb.85:
	v_mov_b32_e32 v59, 0
	v_cmp_gt_u64_e32 vcc, s[48:49], v[58:59]
	v_cmp_ne_u64_e64 s[4:5], v[4:5], v[74:75]
	s_and_b64 s[4:5], vcc, s[4:5]
	v_mov_b32_e32 v89, v59
	v_cndmask_b32_e64 v1, 0, 1, s[4:5]
	v_cmp_gt_u64_e32 vcc, s[48:49], v[88:89]
	v_cmp_ne_u64_e64 s[4:5], v[2:3], v[4:5]
	s_and_b64 s[4:5], vcc, s[4:5]
	v_mov_b32_e32 v87, v59
	v_cndmask_b32_e64 v100, 0, 1, s[4:5]
	;; [unrolled: 5-line block ×13, first 2 shown]
	v_cmp_gt_u64_e32 vcc, s[48:49], v[60:61]
	v_cmp_ne_u64_e64 s[4:5], v[26:27], v[28:29]
	s_and_b64 s[4:5], vcc, s[4:5]
	v_lshlrev_b32_e32 v90, 3, v0
	s_mov_b32 s8, 1
	v_cndmask_b32_e64 v112, 0, 1, s[4:5]
	ds_write_b64 v90, v[74:75]
	s_waitcnt lgkmcnt(0)
	s_barrier
	s_waitcnt lgkmcnt(0)
                                        ; implicit-def: $sgpr4_sgpr5
	s_and_saveexec_b64 s[6:7], s[2:3]
	s_cbranch_execz .LBB501_224
; %bb.86:
	v_add_u32_e32 v58, -8, v90
	ds_read_b64 v[60:61], v58
	v_mul_u32_u24_e32 v58, 15, v0
	v_cmp_gt_u64_e32 vcc, s[48:49], v[58:59]
	s_or_b64 s[34:35], s[34:35], exec
	s_waitcnt lgkmcnt(0)
	v_cmp_ne_u64_e64 s[2:3], v[60:61], v[26:27]
	s_and_b64 s[2:3], vcc, s[2:3]
	s_and_b64 s[4:5], s[2:3], exec
	s_or_b64 exec, exec, s[6:7]
.LBB501_87:
	v_mov_b32_e32 v113, s8
	s_and_saveexec_b64 s[2:3], s[34:35]
.LBB501_88:
	v_cndmask_b32_e64 v113, 0, 1, s[4:5]
.LBB501_89:
	s_or_b64 exec, exec, s[2:3]
	s_cmp_eq_u64 s[42:43], 0
	v_add3_u32 v58, v112, v113, v111
	v_mov_b32_e32 v96, v54
	v_mov_b32_e32 v97, v55
	s_cselect_b64 s[30:31], -1, 0
	s_cmp_lg_u32 s56, 0
	v_cmp_eq_u32_e64 s[26:27], 0, v112
	v_cmp_eq_u32_e64 s[24:25], 0, v111
	;; [unrolled: 1-line block ×3, first 2 shown]
	v_add3_u32 v115, v58, v110, v109
	v_cmp_eq_u32_e64 s[20:21], 0, v109
	v_cmp_eq_u32_e64 s[18:19], 0, v108
	;; [unrolled: 1-line block ×10, first 2 shown]
	v_cmp_eq_u32_e32 vcc, 0, v1
	v_mbcnt_lo_u32_b32 v114, -1, 0
	s_cbranch_scc0 .LBB501_156
; %bb.90:
	v_cndmask_b32_e64 v59, 0, v54, s[26:27]
	v_cndmask_b32_e64 v58, 0, v55, s[26:27]
	v_add_co_u32_e64 v59, s[28:29], v59, v56
	v_addc_co_u32_e64 v58, s[28:29], v58, v57, s[28:29]
	v_cndmask_b32_e64 v59, 0, v59, s[24:25]
	v_cndmask_b32_e64 v58, 0, v58, s[24:25]
	v_add_co_u32_e64 v59, s[28:29], v59, v50
	v_addc_co_u32_e64 v58, s[28:29], v58, v51, s[28:29]
	;; [unrolled: 4-line block ×11, first 2 shown]
	v_cndmask_b32_e64 v59, 0, v59, s[4:5]
	v_add3_u32 v60, v115, v108, v107
	v_cndmask_b32_e64 v58, 0, v58, s[4:5]
	v_add_co_u32_e64 v59, s[28:29], v59, v30
	v_add3_u32 v60, v60, v106, v105
	v_addc_co_u32_e64 v58, s[28:29], v58, v31, s[28:29]
	v_cndmask_b32_e64 v59, 0, v59, s[2:3]
	v_add3_u32 v60, v60, v104, v103
	v_cndmask_b32_e64 v58, 0, v58, s[2:3]
	v_add_co_u32_e64 v59, s[28:29], v59, v32
	v_add3_u32 v60, v60, v102, v101
	v_addc_co_u32_e64 v58, s[28:29], v58, v33, s[28:29]
	v_cndmask_b32_e32 v59, 0, v59, vcc
	v_add3_u32 v62, v60, v100, v1
	v_cndmask_b32_e32 v58, 0, v58, vcc
	v_add_co_u32_e32 v60, vcc, v59, v72
	v_mbcnt_hi_u32_b32 v63, -1, v114
	v_addc_co_u32_e32 v61, vcc, v58, v73, vcc
	v_and_b32_e32 v58, 15, v63
	v_mov_b32_dpp v64, v62 row_shr:1 row_mask:0xf bank_mask:0xf
	v_mov_b32_dpp v59, v60 row_shr:1 row_mask:0xf bank_mask:0xf
	;; [unrolled: 1-line block ×3, first 2 shown]
	v_cmp_ne_u32_e32 vcc, 0, v58
	s_and_saveexec_b64 s[28:29], vcc
; %bb.91:
	v_cmp_eq_u32_e32 vcc, 0, v62
	v_cndmask_b32_e32 v59, 0, v59, vcc
	v_add_u32_e32 v64, v64, v62
	v_cndmask_b32_e32 v62, 0, v65, vcc
	v_add_co_u32_e32 v60, vcc, v59, v60
	v_addc_co_u32_e32 v61, vcc, v62, v61, vcc
	v_mov_b32_e32 v62, v64
; %bb.92:
	s_or_b64 exec, exec, s[28:29]
	s_nop 0
	v_mov_b32_dpp v64, v62 row_shr:2 row_mask:0xf bank_mask:0xf
	v_mov_b32_dpp v59, v60 row_shr:2 row_mask:0xf bank_mask:0xf
	v_mov_b32_dpp v65, v61 row_shr:2 row_mask:0xf bank_mask:0xf
	v_cmp_lt_u32_e32 vcc, 1, v58
	s_and_saveexec_b64 s[28:29], vcc
; %bb.93:
	v_cmp_eq_u32_e32 vcc, 0, v62
	v_cndmask_b32_e32 v59, 0, v59, vcc
	v_add_u32_e32 v64, v64, v62
	v_cndmask_b32_e32 v62, 0, v65, vcc
	v_add_co_u32_e32 v60, vcc, v59, v60
	v_addc_co_u32_e32 v61, vcc, v62, v61, vcc
	v_mov_b32_e32 v62, v64
; %bb.94:
	s_or_b64 exec, exec, s[28:29]
	s_nop 0
	v_mov_b32_dpp v64, v62 row_shr:4 row_mask:0xf bank_mask:0xf
	v_mov_b32_dpp v59, v60 row_shr:4 row_mask:0xf bank_mask:0xf
	v_mov_b32_dpp v65, v61 row_shr:4 row_mask:0xf bank_mask:0xf
	v_cmp_lt_u32_e32 vcc, 3, v58
	;; [unrolled: 16-line block ×3, first 2 shown]
	s_and_saveexec_b64 s[28:29], vcc
; %bb.97:
	v_cmp_eq_u32_e32 vcc, 0, v62
	v_cndmask_b32_e32 v59, 0, v59, vcc
	v_add_u32_e32 v58, v64, v62
	v_cndmask_b32_e32 v62, 0, v65, vcc
	v_add_co_u32_e32 v60, vcc, v59, v60
	v_addc_co_u32_e32 v61, vcc, v62, v61, vcc
	v_mov_b32_e32 v62, v58
; %bb.98:
	s_or_b64 exec, exec, s[28:29]
	v_and_b32_e32 v65, 16, v63
	v_mov_b32_dpp v59, v62 row_bcast:15 row_mask:0xf bank_mask:0xf
	v_mov_b32_dpp v58, v60 row_bcast:15 row_mask:0xf bank_mask:0xf
	;; [unrolled: 1-line block ×3, first 2 shown]
	v_cmp_ne_u32_e32 vcc, 0, v65
	s_and_saveexec_b64 s[28:29], vcc
; %bb.99:
	v_cmp_eq_u32_e32 vcc, 0, v62
	v_cndmask_b32_e32 v58, 0, v58, vcc
	v_add_u32_e32 v59, v59, v62
	v_cndmask_b32_e32 v62, 0, v64, vcc
	v_add_co_u32_e32 v60, vcc, v58, v60
	v_addc_co_u32_e32 v61, vcc, v62, v61, vcc
	v_mov_b32_e32 v62, v59
; %bb.100:
	s_or_b64 exec, exec, s[28:29]
	s_nop 0
	v_mov_b32_dpp v59, v62 row_bcast:31 row_mask:0xf bank_mask:0xf
	v_mov_b32_dpp v58, v60 row_bcast:31 row_mask:0xf bank_mask:0xf
	;; [unrolled: 1-line block ×3, first 2 shown]
	v_cmp_lt_u32_e32 vcc, 31, v63
	s_and_saveexec_b64 s[28:29], vcc
; %bb.101:
	v_cmp_eq_u32_e32 vcc, 0, v62
	v_cndmask_b32_e32 v58, 0, v58, vcc
	v_add_u32_e32 v59, v59, v62
	v_cndmask_b32_e32 v62, 0, v64, vcc
	v_add_co_u32_e32 v60, vcc, v58, v60
	v_addc_co_u32_e32 v61, vcc, v62, v61, vcc
	v_mov_b32_e32 v62, v59
; %bb.102:
	s_or_b64 exec, exec, s[28:29]
	v_lshrrev_b32_e32 v58, 6, v0
	v_or_b32_e32 v59, 63, v0
	v_cmp_eq_u32_e32 vcc, v59, v0
	v_lshlrev_b32_e32 v64, 4, v58
	s_and_saveexec_b64 s[28:29], vcc
	s_cbranch_execz .LBB501_104
; %bb.103:
	ds_write_b32 v64, v62 offset:4128
	ds_write_b64 v64, v[60:61] offset:4136
.LBB501_104:
	s_or_b64 exec, exec, s[28:29]
	v_cmp_gt_u32_e32 vcc, 4, v0
	s_waitcnt lgkmcnt(0)
	s_barrier
	s_and_saveexec_b64 s[28:29], vcc
	s_cbranch_execz .LBB501_110
; %bb.105:
	v_lshlrev_b32_e32 v65, 4, v0
	ds_read_b32 v66, v65 offset:4128
	ds_read_b64 v[58:59], v65 offset:4136
	v_and_b32_e32 v67, 3, v63
	v_cmp_ne_u32_e32 vcc, 0, v67
	s_waitcnt lgkmcnt(1)
	v_mov_b32_dpp v69, v66 row_shr:1 row_mask:0xf bank_mask:0xf
	s_waitcnt lgkmcnt(0)
	v_mov_b32_dpp v68, v58 row_shr:1 row_mask:0xf bank_mask:0xf
	v_mov_b32_dpp v70, v59 row_shr:1 row_mask:0xf bank_mask:0xf
	s_and_saveexec_b64 s[34:35], vcc
; %bb.106:
	v_cmp_eq_u32_e32 vcc, 0, v66
	v_cndmask_b32_e32 v68, 0, v68, vcc
	v_add_u32_e32 v69, v69, v66
	v_cndmask_b32_e32 v66, 0, v70, vcc
	v_add_co_u32_e32 v58, vcc, v68, v58
	v_addc_co_u32_e32 v59, vcc, v66, v59, vcc
	v_mov_b32_e32 v66, v69
; %bb.107:
	s_or_b64 exec, exec, s[34:35]
	s_nop 0
	v_mov_b32_dpp v69, v66 row_shr:2 row_mask:0xf bank_mask:0xf
	v_mov_b32_dpp v68, v58 row_shr:2 row_mask:0xf bank_mask:0xf
	;; [unrolled: 1-line block ×3, first 2 shown]
	v_cmp_lt_u32_e32 vcc, 1, v67
	s_and_saveexec_b64 s[34:35], vcc
; %bb.108:
	v_cmp_eq_u32_e32 vcc, 0, v66
	v_cndmask_b32_e32 v68, 0, v68, vcc
	v_add_u32_e32 v67, v69, v66
	v_cndmask_b32_e32 v66, 0, v70, vcc
	v_add_co_u32_e32 v58, vcc, v68, v58
	v_addc_co_u32_e32 v59, vcc, v66, v59, vcc
	v_mov_b32_e32 v66, v67
; %bb.109:
	s_or_b64 exec, exec, s[34:35]
	ds_write_b32 v65, v66 offset:4128
	ds_write_b64 v65, v[58:59] offset:4136
.LBB501_110:
	s_or_b64 exec, exec, s[28:29]
	v_cmp_gt_u32_e32 vcc, 64, v0
	v_cmp_lt_u32_e64 s[28:29], 63, v0
	v_pk_mov_b32 v[58:59], 0, 0
	v_mov_b32_e32 v70, 0
	s_waitcnt lgkmcnt(0)
	s_barrier
	s_and_saveexec_b64 s[34:35], s[28:29]
	s_cbranch_execz .LBB501_112
; %bb.111:
	ds_read_b32 v70, v64 offset:4112
	ds_read_b64 v[58:59], v64 offset:4120
	v_cmp_eq_u32_e64 s[28:29], 0, v62
	s_waitcnt lgkmcnt(1)
	v_add_u32_e32 v64, v70, v62
	s_waitcnt lgkmcnt(0)
	v_cndmask_b32_e64 v65, 0, v58, s[28:29]
	v_cndmask_b32_e64 v62, 0, v59, s[28:29]
	v_add_co_u32_e64 v60, s[28:29], v65, v60
	v_addc_co_u32_e64 v61, s[28:29], v62, v61, s[28:29]
	v_mov_b32_e32 v62, v64
.LBB501_112:
	s_or_b64 exec, exec, s[34:35]
	v_add_u32_e32 v64, -1, v63
	v_and_b32_e32 v65, 64, v63
	v_cmp_lt_i32_e64 s[28:29], v64, v65
	v_cndmask_b32_e64 v64, v64, v63, s[28:29]
	v_lshlrev_b32_e32 v64, 2, v64
	ds_bpermute_b32 v71, v64, v62
	ds_bpermute_b32 v76, v64, v60
	;; [unrolled: 1-line block ×3, first 2 shown]
	v_cmp_eq_u32_e64 s[28:29], 0, v63
	s_and_saveexec_b64 s[34:35], vcc
	s_cbranch_execz .LBB501_155
; %bb.113:
	v_mov_b32_e32 v65, 0
	ds_read_b32 v78, v65 offset:4176
	ds_read_b64 v[60:61], v65 offset:4184
	s_and_saveexec_b64 s[42:43], s[28:29]
	s_cbranch_execz .LBB501_115
; %bb.114:
	s_add_i32 s48, s56, 64
	s_mov_b32 s49, 0
	s_lshl_b64 s[52:53], s[48:49], 4
	s_add_u32 s52, s36, s52
	s_addc_u32 s53, s37, s53
	v_mov_b32_e32 v62, s48
	v_mov_b32_e32 v64, 1
	s_waitcnt lgkmcnt(1)
	global_store_dword v65, v78, s[52:53]
	s_waitcnt lgkmcnt(0)
	global_store_dwordx2 v65, v[60:61], s[52:53] offset:8
	s_waitcnt vmcnt(0)
	buffer_wbinvl1_vol
	global_store_byte v62, v64, s[40:41]
.LBB501_115:
	s_or_b64 exec, exec, s[42:43]
	v_xad_u32 v62, v63, -1, s56
	v_add_u32_e32 v64, 64, v62
	global_load_ubyte v79, v64, s[40:41] glc
	s_waitcnt vmcnt(0)
	v_cmp_eq_u16_e32 vcc, 0, v79
	s_and_saveexec_b64 s[42:43], vcc
	s_cbranch_execz .LBB501_119
; %bb.116:
	v_mov_b32_e32 v67, s41
	v_add_co_u32_e32 v66, vcc, s40, v64
	v_addc_co_u32_e32 v67, vcc, 0, v67, vcc
	s_mov_b64 s[48:49], 0
.LBB501_117:                            ; =>This Inner Loop Header: Depth=1
	global_load_ubyte v79, v[66:67], off glc
	s_waitcnt vmcnt(0)
	v_cmp_ne_u16_e32 vcc, 0, v79
	s_or_b64 s[48:49], vcc, s[48:49]
	s_andn2_b64 exec, exec, s[48:49]
	s_cbranch_execnz .LBB501_117
; %bb.118:
	s_or_b64 exec, exec, s[48:49]
.LBB501_119:
	s_or_b64 exec, exec, s[42:43]
	v_mov_b32_e32 v66, s39
	v_mov_b32_e32 v67, s37
	v_cmp_eq_u16_e32 vcc, 1, v79
	v_cndmask_b32_e32 v66, v66, v67, vcc
	v_mov_b32_e32 v67, s38
	v_mov_b32_e32 v68, s36
	v_cndmask_b32_e32 v67, v67, v68, vcc
	v_lshlrev_b64 v[64:65], 4, v[64:65]
	v_add_co_u32_e32 v64, vcc, v67, v64
	v_addc_co_u32_e32 v65, vcc, v66, v65, vcc
	s_waitcnt lgkmcnt(0)
	buffer_wbinvl1_vol
	global_load_dword v94, v[64:65], off
	global_load_dwordx2 v[68:69], v[64:65], off offset:8
	v_cmp_eq_u16_e32 vcc, 2, v79
	v_lshlrev_b64 v[64:65], v63, -1
	v_and_b32_e32 v80, 63, v63
	v_and_b32_e32 v66, vcc_hi, v65
	v_and_b32_e32 v84, vcc_lo, v64
	v_cmp_ne_u32_e32 vcc, 63, v80
	v_addc_co_u32_e32 v67, vcc, 0, v63, vcc
	v_lshlrev_b32_e32 v81, 2, v67
	v_or_b32_e32 v66, 0x80000000, v66
	v_ffbl_b32_e32 v66, v66
	v_add_u32_e32 v66, 32, v66
	v_ffbl_b32_e32 v84, v84
	v_min_u32_e32 v66, v84, v66
	v_cmp_lt_u32_e32 vcc, v80, v66
	s_waitcnt vmcnt(1)
	ds_bpermute_b32 v82, v81, v94
	s_waitcnt vmcnt(0)
	ds_bpermute_b32 v67, v81, v68
	ds_bpermute_b32 v83, v81, v69
	s_and_saveexec_b64 s[42:43], vcc
	s_cbranch_execz .LBB501_121
; %bb.120:
	v_cmp_eq_u32_e32 vcc, 0, v94
	s_waitcnt lgkmcnt(1)
	v_cndmask_b32_e32 v67, 0, v67, vcc
	v_add_u32_e32 v82, v82, v94
	s_waitcnt lgkmcnt(0)
	v_cndmask_b32_e32 v83, 0, v83, vcc
	v_add_co_u32_e32 v68, vcc, v67, v68
	v_addc_co_u32_e32 v69, vcc, v83, v69, vcc
	v_mov_b32_e32 v94, v82
.LBB501_121:
	s_or_b64 exec, exec, s[42:43]
	v_cmp_gt_u32_e32 vcc, 62, v80
	s_waitcnt lgkmcnt(1)
	v_cndmask_b32_e64 v67, 0, 1, vcc
	v_lshlrev_b32_e32 v67, 1, v67
	v_add_lshl_u32 v82, v67, v63, 2
	ds_bpermute_b32 v84, v82, v94
	ds_bpermute_b32 v67, v82, v68
	ds_bpermute_b32 v85, v82, v69
	s_waitcnt lgkmcnt(3)
	v_add_u32_e32 v83, 2, v80
	v_cmp_le_u32_e32 vcc, v83, v66
	s_and_saveexec_b64 s[42:43], vcc
	s_cbranch_execz .LBB501_123
; %bb.122:
	v_cmp_eq_u32_e32 vcc, 0, v94
	s_waitcnt lgkmcnt(1)
	v_cndmask_b32_e32 v67, 0, v67, vcc
	v_add_u32_e32 v84, v84, v94
	s_waitcnt lgkmcnt(0)
	v_cndmask_b32_e32 v85, 0, v85, vcc
	v_add_co_u32_e32 v68, vcc, v67, v68
	v_addc_co_u32_e32 v69, vcc, v85, v69, vcc
	v_mov_b32_e32 v94, v84
.LBB501_123:
	s_or_b64 exec, exec, s[42:43]
	v_cmp_gt_u32_e32 vcc, 60, v80
	s_waitcnt lgkmcnt(1)
	v_cndmask_b32_e64 v67, 0, 1, vcc
	v_lshlrev_b32_e32 v67, 2, v67
	v_add_lshl_u32 v84, v67, v63, 2
	ds_bpermute_b32 v86, v84, v94
	ds_bpermute_b32 v67, v84, v68
	ds_bpermute_b32 v87, v84, v69
	s_waitcnt lgkmcnt(3)
	v_add_u32_e32 v85, 4, v80
	v_cmp_le_u32_e32 vcc, v85, v66
	;; [unrolled: 25-line block ×4, first 2 shown]
	s_and_saveexec_b64 s[42:43], vcc
	s_cbranch_execz .LBB501_129
; %bb.128:
	v_cmp_eq_u32_e32 vcc, 0, v94
	s_waitcnt lgkmcnt(1)
	v_cndmask_b32_e32 v67, 0, v67, vcc
	v_add_u32_e32 v90, v90, v94
	s_waitcnt lgkmcnt(0)
	v_cndmask_b32_e32 v91, 0, v91, vcc
	v_add_co_u32_e32 v68, vcc, v67, v68
	v_addc_co_u32_e32 v69, vcc, v91, v69, vcc
	v_mov_b32_e32 v94, v90
.LBB501_129:
	s_or_b64 exec, exec, s[42:43]
	v_cmp_gt_u32_e32 vcc, 32, v80
	s_waitcnt lgkmcnt(1)
	v_cndmask_b32_e64 v67, 0, 1, vcc
	v_lshlrev_b32_e32 v67, 5, v67
	v_add_lshl_u32 v90, v67, v63, 2
	ds_bpermute_b32 v67, v90, v94
	ds_bpermute_b32 v63, v90, v68
	s_waitcnt lgkmcnt(2)
	ds_bpermute_b32 v91, v90, v69
	v_add_u32_e32 v92, 32, v80
	v_cmp_le_u32_e32 vcc, v92, v66
	s_and_saveexec_b64 s[42:43], vcc
	s_cbranch_execz .LBB501_131
; %bb.130:
	v_cmp_eq_u32_e32 vcc, 0, v94
	s_waitcnt lgkmcnt(1)
	v_cndmask_b32_e32 v63, 0, v63, vcc
	v_add_u32_e32 v66, v67, v94
	s_waitcnt lgkmcnt(0)
	v_cndmask_b32_e32 v67, 0, v91, vcc
	v_add_co_u32_e32 v68, vcc, v63, v68
	v_addc_co_u32_e32 v69, vcc, v67, v69, vcc
	v_mov_b32_e32 v94, v66
.LBB501_131:
	s_or_b64 exec, exec, s[42:43]
	s_waitcnt lgkmcnt(1)
	v_mov_b32_e32 v63, 0
	v_mov_b32_e32 v93, 2
	s_branch .LBB501_133
.LBB501_132:                            ;   in Loop: Header=BB501_133 Depth=1
	s_or_b64 exec, exec, s[42:43]
	v_cmp_eq_u32_e32 vcc, 0, v91
	v_cndmask_b32_e32 v68, 0, v68, vcc
	v_cndmask_b32_e32 v69, 0, v69, vcc
	v_add_co_u32_e32 v68, vcc, v68, v66
	v_subrev_u32_e32 v62, 64, v62
	v_add_u32_e32 v94, v95, v91
	v_addc_co_u32_e32 v69, vcc, v69, v67, vcc
.LBB501_133:                            ; =>This Loop Header: Depth=1
                                        ;     Child Loop BB501_136 Depth 2
	v_cmp_ne_u16_sdwa s[42:43], v79, v93 src0_sel:BYTE_0 src1_sel:DWORD
	v_pk_mov_b32 v[66:67], v[68:69], v[68:69] op_sel:[0,1]
	v_cndmask_b32_e64 v68, 0, 1, s[42:43]
	;;#ASMSTART
	;;#ASMEND
	v_cmp_ne_u32_e32 vcc, 0, v68
	s_cmp_lg_u64 vcc, exec
	s_waitcnt lgkmcnt(0)
	v_mov_b32_e32 v91, v94
	s_cbranch_scc1 .LBB501_150
; %bb.134:                              ;   in Loop: Header=BB501_133 Depth=1
	global_load_ubyte v79, v62, s[40:41] glc
	s_waitcnt vmcnt(0)
	v_cmp_eq_u16_e32 vcc, 0, v79
	s_and_saveexec_b64 s[42:43], vcc
	s_cbranch_execz .LBB501_138
; %bb.135:                              ;   in Loop: Header=BB501_133 Depth=1
	v_mov_b32_e32 v69, s41
	v_add_co_u32_e32 v68, vcc, s40, v62
	v_addc_co_u32_e32 v69, vcc, 0, v69, vcc
	s_mov_b64 s[48:49], 0
.LBB501_136:                            ;   Parent Loop BB501_133 Depth=1
                                        ; =>  This Inner Loop Header: Depth=2
	global_load_ubyte v79, v[68:69], off glc
	s_waitcnt vmcnt(0)
	v_cmp_ne_u16_e32 vcc, 0, v79
	s_or_b64 s[48:49], vcc, s[48:49]
	s_andn2_b64 exec, exec, s[48:49]
	s_cbranch_execnz .LBB501_136
; %bb.137:                              ;   in Loop: Header=BB501_133 Depth=1
	s_or_b64 exec, exec, s[48:49]
.LBB501_138:                            ;   in Loop: Header=BB501_133 Depth=1
	s_or_b64 exec, exec, s[42:43]
	v_mov_b32_e32 v68, s39
	v_mov_b32_e32 v69, s37
	v_cmp_eq_u16_e32 vcc, 1, v79
	v_cndmask_b32_e32 v94, v68, v69, vcc
	v_mov_b32_e32 v68, s38
	v_mov_b32_e32 v69, s36
	v_cndmask_b32_e32 v95, v68, v69, vcc
	v_lshlrev_b64 v[68:69], 4, v[62:63]
	v_add_co_u32_e32 v68, vcc, v95, v68
	v_addc_co_u32_e32 v69, vcc, v94, v69, vcc
	buffer_wbinvl1_vol
	global_load_dword v95, v[68:69], off
	s_nop 0
	global_load_dwordx2 v[68:69], v[68:69], off offset:8
	v_cmp_eq_u16_e32 vcc, 2, v79
	v_and_b32_e32 v94, vcc_hi, v65
	v_or_b32_e32 v94, 0x80000000, v94
	v_and_b32_e32 v117, vcc_lo, v64
	v_ffbl_b32_e32 v94, v94
	v_add_u32_e32 v94, 32, v94
	v_ffbl_b32_e32 v117, v117
	v_min_u32_e32 v94, v117, v94
	v_cmp_lt_u32_e32 vcc, v80, v94
	s_waitcnt vmcnt(1)
	ds_bpermute_b32 v99, v81, v95
	s_waitcnt vmcnt(0)
	ds_bpermute_b32 v98, v81, v68
	ds_bpermute_b32 v116, v81, v69
	s_and_saveexec_b64 s[42:43], vcc
	s_cbranch_execz .LBB501_140
; %bb.139:                              ;   in Loop: Header=BB501_133 Depth=1
	v_cmp_eq_u32_e32 vcc, 0, v95
	s_waitcnt lgkmcnt(1)
	v_cndmask_b32_e32 v98, 0, v98, vcc
	v_add_u32_e32 v99, v99, v95
	s_waitcnt lgkmcnt(0)
	v_cndmask_b32_e32 v95, 0, v116, vcc
	v_add_co_u32_e32 v68, vcc, v98, v68
	v_addc_co_u32_e32 v69, vcc, v95, v69, vcc
	v_mov_b32_e32 v95, v99
.LBB501_140:                            ;   in Loop: Header=BB501_133 Depth=1
	s_or_b64 exec, exec, s[42:43]
	s_waitcnt lgkmcnt(2)
	ds_bpermute_b32 v99, v82, v95
	s_waitcnt lgkmcnt(2)
	ds_bpermute_b32 v98, v82, v68
	s_waitcnt lgkmcnt(2)
	ds_bpermute_b32 v116, v82, v69
	v_cmp_le_u32_e32 vcc, v83, v94
	s_and_saveexec_b64 s[42:43], vcc
	s_cbranch_execz .LBB501_142
; %bb.141:                              ;   in Loop: Header=BB501_133 Depth=1
	v_cmp_eq_u32_e32 vcc, 0, v95
	s_waitcnt lgkmcnt(1)
	v_cndmask_b32_e32 v98, 0, v98, vcc
	v_add_u32_e32 v99, v99, v95
	s_waitcnt lgkmcnt(0)
	v_cndmask_b32_e32 v95, 0, v116, vcc
	v_add_co_u32_e32 v68, vcc, v98, v68
	v_addc_co_u32_e32 v69, vcc, v95, v69, vcc
	v_mov_b32_e32 v95, v99
.LBB501_142:                            ;   in Loop: Header=BB501_133 Depth=1
	s_or_b64 exec, exec, s[42:43]
	s_waitcnt lgkmcnt(2)
	ds_bpermute_b32 v99, v84, v95
	s_waitcnt lgkmcnt(2)
	ds_bpermute_b32 v98, v84, v68
	s_waitcnt lgkmcnt(2)
	ds_bpermute_b32 v116, v84, v69
	v_cmp_le_u32_e32 vcc, v85, v94
	s_and_saveexec_b64 s[42:43], vcc
	s_cbranch_execz .LBB501_144
; %bb.143:                              ;   in Loop: Header=BB501_133 Depth=1
	v_cmp_eq_u32_e32 vcc, 0, v95
	s_waitcnt lgkmcnt(1)
	v_cndmask_b32_e32 v98, 0, v98, vcc
	v_add_u32_e32 v99, v99, v95
	s_waitcnt lgkmcnt(0)
	v_cndmask_b32_e32 v95, 0, v116, vcc
	v_add_co_u32_e32 v68, vcc, v98, v68
	v_addc_co_u32_e32 v69, vcc, v95, v69, vcc
	v_mov_b32_e32 v95, v99
.LBB501_144:                            ;   in Loop: Header=BB501_133 Depth=1
	s_or_b64 exec, exec, s[42:43]
	s_waitcnt lgkmcnt(2)
	ds_bpermute_b32 v99, v86, v95
	s_waitcnt lgkmcnt(2)
	ds_bpermute_b32 v98, v86, v68
	s_waitcnt lgkmcnt(2)
	ds_bpermute_b32 v116, v86, v69
	v_cmp_le_u32_e32 vcc, v87, v94
	s_and_saveexec_b64 s[42:43], vcc
	s_cbranch_execz .LBB501_146
; %bb.145:                              ;   in Loop: Header=BB501_133 Depth=1
	v_cmp_eq_u32_e32 vcc, 0, v95
	s_waitcnt lgkmcnt(1)
	v_cndmask_b32_e32 v98, 0, v98, vcc
	v_add_u32_e32 v99, v99, v95
	s_waitcnt lgkmcnt(0)
	v_cndmask_b32_e32 v95, 0, v116, vcc
	v_add_co_u32_e32 v68, vcc, v98, v68
	v_addc_co_u32_e32 v69, vcc, v95, v69, vcc
	v_mov_b32_e32 v95, v99
.LBB501_146:                            ;   in Loop: Header=BB501_133 Depth=1
	s_or_b64 exec, exec, s[42:43]
	s_waitcnt lgkmcnt(2)
	ds_bpermute_b32 v99, v88, v95
	s_waitcnt lgkmcnt(2)
	ds_bpermute_b32 v98, v88, v68
	s_waitcnt lgkmcnt(2)
	ds_bpermute_b32 v116, v88, v69
	v_cmp_le_u32_e32 vcc, v89, v94
	s_and_saveexec_b64 s[42:43], vcc
	s_cbranch_execz .LBB501_148
; %bb.147:                              ;   in Loop: Header=BB501_133 Depth=1
	v_cmp_eq_u32_e32 vcc, 0, v95
	s_waitcnt lgkmcnt(1)
	v_cndmask_b32_e32 v98, 0, v98, vcc
	v_add_u32_e32 v99, v99, v95
	s_waitcnt lgkmcnt(0)
	v_cndmask_b32_e32 v95, 0, v116, vcc
	v_add_co_u32_e32 v68, vcc, v98, v68
	v_addc_co_u32_e32 v69, vcc, v95, v69, vcc
	v_mov_b32_e32 v95, v99
.LBB501_148:                            ;   in Loop: Header=BB501_133 Depth=1
	s_or_b64 exec, exec, s[42:43]
	s_waitcnt lgkmcnt(2)
	ds_bpermute_b32 v99, v90, v95
	s_waitcnt lgkmcnt(2)
	ds_bpermute_b32 v98, v90, v68
	s_waitcnt lgkmcnt(2)
	ds_bpermute_b32 v116, v90, v69
	v_cmp_le_u32_e32 vcc, v92, v94
	s_and_saveexec_b64 s[42:43], vcc
	s_cbranch_execz .LBB501_132
; %bb.149:                              ;   in Loop: Header=BB501_133 Depth=1
	v_cmp_eq_u32_e32 vcc, 0, v95
	s_waitcnt lgkmcnt(1)
	v_cndmask_b32_e32 v98, 0, v98, vcc
	v_add_u32_e32 v94, v99, v95
	s_waitcnt lgkmcnt(0)
	v_cndmask_b32_e32 v95, 0, v116, vcc
	v_add_co_u32_e32 v68, vcc, v98, v68
	v_addc_co_u32_e32 v69, vcc, v95, v69, vcc
	v_mov_b32_e32 v95, v94
	s_branch .LBB501_132
.LBB501_150:                            ;   in Loop: Header=BB501_133 Depth=1
                                        ; implicit-def: $vgpr68_vgpr69
                                        ; implicit-def: $vgpr94
                                        ; implicit-def: $vgpr79
	s_cbranch_execz .LBB501_133
; %bb.151:
	s_and_saveexec_b64 s[36:37], s[28:29]
	s_cbranch_execz .LBB501_153
; %bb.152:
	s_mov_b32 s43, 0
	v_cmp_eq_u32_e32 vcc, 0, v78
	s_add_i32 s42, s56, 64
	v_cndmask_b32_e32 v62, 0, v66, vcc
	s_lshl_b64 s[48:49], s[42:43], 4
	v_cndmask_b32_e32 v63, 0, v67, vcc
	v_add_co_u32_e32 v62, vcc, v62, v60
	s_add_u32 s48, s38, s48
	v_add_u32_e32 v64, v91, v78
	v_addc_co_u32_e32 v63, vcc, v63, v61, vcc
	s_addc_u32 s49, s39, s49
	v_mov_b32_e32 v65, 0
	global_store_dword v65, v64, s[48:49]
	global_store_dwordx2 v65, v[62:63], s[48:49] offset:8
	v_mov_b32_e32 v62, s42
	v_mov_b32_e32 v63, 2
	s_waitcnt vmcnt(0) lgkmcnt(0)
	buffer_wbinvl1_vol
	global_store_byte v62, v63, s[40:41]
	ds_write_b32 v65, v78 offset:4096
	ds_write_b64 v65, v[60:61] offset:4104
	ds_write_b32 v65, v91 offset:4112
	ds_write_b64 v65, v[66:67] offset:4120
.LBB501_153:
	s_or_b64 exec, exec, s[36:37]
	s_and_b64 exec, exec, s[0:1]
	s_cbranch_execz .LBB501_155
; %bb.154:
	v_mov_b32_e32 v60, 0
	ds_write_b32 v60, v91 offset:4176
	ds_write_b64 v60, v[66:67] offset:4184
.LBB501_155:
	s_or_b64 exec, exec, s[34:35]
	v_mov_b32_e32 v63, 0
	s_waitcnt lgkmcnt(0)
	s_barrier
	ds_read_b32 v62, v63 offset:4176
	ds_read_b64 v[60:61], v63 offset:4184
	v_cndmask_b32_e64 v64, v71, v70, s[28:29]
	v_cmp_eq_u32_e32 vcc, 0, v64
	v_cndmask_b32_e64 v58, v76, v58, s[28:29]
	v_cndmask_b32_e64 v59, v77, v59, s[28:29]
	s_waitcnt lgkmcnt(0)
	v_cndmask_b32_e32 v66, 0, v60, vcc
	v_cndmask_b32_e32 v65, 0, v61, vcc
	v_add_co_u32_e32 v58, vcc, v66, v58
	v_addc_co_u32_e32 v65, vcc, v65, v59, vcc
	v_cndmask_b32_e64 v92, v58, v60, s[0:1]
	v_cmp_eq_u32_e32 vcc, 0, v113
	v_cndmask_b32_e64 v93, v65, v61, s[0:1]
	v_cndmask_b32_e32 v60, 0, v92, vcc
	v_cndmask_b32_e64 v59, v64, 0, s[0:1]
	v_cndmask_b32_e32 v58, 0, v93, vcc
	v_add_co_u32_e32 v64, vcc, v60, v54
	v_addc_co_u32_e32 v65, vcc, v58, v55, vcc
	v_cndmask_b32_e64 v60, 0, v64, s[26:27]
	v_cndmask_b32_e64 v58, 0, v65, s[26:27]
	v_add_co_u32_e32 v66, vcc, v60, v56
	v_addc_co_u32_e32 v67, vcc, v58, v57, vcc
	v_cndmask_b32_e64 v60, 0, v66, s[24:25]
	v_cndmask_b32_e64 v58, 0, v67, s[24:25]
	;; [unrolled: 4-line block ×11, first 2 shown]
	v_add_co_u32_e32 v90, vcc, v60, v36
	v_add_u32_e32 v59, v62, v59
	v_addc_co_u32_e32 v91, vcc, v58, v37, vcc
	s_barrier
	ds_read_b32 v58, v63 offset:4096
	ds_read_b64 v[60:61], v63 offset:4104
	ds_read_b32 v62, v63 offset:4112
	ds_read_b64 v[116:117], v63 offset:4120
	v_cndmask_b32_e64 v94, 0, v90, s[4:5]
	v_cndmask_b32_e64 v95, 0, v91, s[4:5]
	v_add_co_u32_e32 v94, vcc, v94, v30
	v_addc_co_u32_e32 v95, vcc, v95, v31, vcc
	s_waitcnt lgkmcnt(3)
	v_cmp_eq_u32_e32 vcc, 0, v58
	s_waitcnt lgkmcnt(0)
	v_cndmask_b32_e32 v116, 0, v116, vcc
	v_cndmask_b32_e32 v63, 0, v117, vcc
	v_add_co_u32_e32 v60, vcc, v116, v60
	v_cndmask_b32_e64 v99, 0, v95, s[2:3]
	v_cndmask_b32_e64 v98, 0, v94, s[2:3]
	v_addc_co_u32_e32 v61, vcc, v63, v61, vcc
	s_branch .LBB501_184
.LBB501_156:
                                        ; implicit-def: $vgpr58
                                        ; implicit-def: $vgpr60_vgpr61
                                        ; implicit-def: $vgpr62
                                        ; implicit-def: $vgpr92_vgpr93
                                        ; implicit-def: $vgpr64_vgpr65
                                        ; implicit-def: $vgpr66_vgpr67
                                        ; implicit-def: $vgpr68_vgpr69
                                        ; implicit-def: $vgpr70_vgpr71
                                        ; implicit-def: $vgpr76_vgpr77
                                        ; implicit-def: $vgpr78_vgpr79
                                        ; implicit-def: $vgpr80_vgpr81
                                        ; implicit-def: $vgpr82_vgpr83
                                        ; implicit-def: $vgpr84_vgpr85
                                        ; implicit-def: $vgpr86_vgpr87
                                        ; implicit-def: $vgpr88_vgpr89
                                        ; implicit-def: $vgpr90_vgpr91
                                        ; implicit-def: $vgpr94_vgpr95
                                        ; implicit-def: $vgpr98_vgpr99
                                        ; implicit-def: $vgpr59
	s_cbranch_execz .LBB501_184
; %bb.157:
	s_and_b64 s[2:3], s[30:31], exec
	s_cselect_b32 s3, 0, s65
	s_cselect_b32 s2, 0, s64
	s_cmp_eq_u64 s[2:3], 0
	s_cbranch_scc1 .LBB501_159
; %bb.158:
	v_mov_b32_e32 v58, 0
	global_load_dwordx2 v[96:97], v58, s[2:3]
.LBB501_159:
	v_cmp_eq_u32_e64 s[24:25], 0, v112
	v_cndmask_b32_e64 v59, 0, v54, s[24:25]
	v_cndmask_b32_e64 v58, 0, v55, s[24:25]
	v_add_co_u32_e32 v59, vcc, v59, v56
	v_cmp_eq_u32_e64 s[22:23], 0, v111
	v_addc_co_u32_e32 v58, vcc, v58, v57, vcc
	v_cndmask_b32_e64 v59, 0, v59, s[22:23]
	v_cndmask_b32_e64 v58, 0, v58, s[22:23]
	v_add_co_u32_e32 v59, vcc, v59, v50
	v_cmp_eq_u32_e64 s[20:21], 0, v110
	v_addc_co_u32_e32 v58, vcc, v58, v51, vcc
	;; [unrolled: 5-line block ×11, first 2 shown]
	v_cndmask_b32_e64 v59, 0, v59, s[4:5]
	v_cndmask_b32_e64 v58, 0, v58, s[4:5]
	v_add_co_u32_e32 v59, vcc, v59, v30
	v_addc_co_u32_e32 v58, vcc, v58, v31, vcc
	v_cmp_eq_u32_e32 vcc, 0, v100
	v_add3_u32 v60, v115, v108, v107
	v_cndmask_b32_e32 v59, 0, v59, vcc
	v_add3_u32 v60, v60, v106, v105
	v_cndmask_b32_e32 v58, 0, v58, vcc
	v_add_co_u32_e64 v59, s[26:27], v59, v32
	v_add3_u32 v60, v60, v104, v103
	v_addc_co_u32_e64 v58, s[26:27], v58, v33, s[26:27]
	v_add3_u32 v60, v60, v102, v101
	v_cmp_eq_u32_e64 s[26:27], 0, v1
	v_add3_u32 v63, v60, v100, v1
	v_cndmask_b32_e64 v60, 0, v58, s[26:27]
	v_cndmask_b32_e64 v58, 0, v59, s[26:27]
	v_add_co_u32_e64 v58, s[26:27], v58, v72
	v_mbcnt_hi_u32_b32 v62, -1, v114
	v_addc_co_u32_e64 v59, s[26:27], v60, v73, s[26:27]
	v_and_b32_e32 v60, 15, v62
	v_mov_b32_dpp v64, v63 row_shr:1 row_mask:0xf bank_mask:0xf
	v_mov_b32_dpp v61, v58 row_shr:1 row_mask:0xf bank_mask:0xf
	;; [unrolled: 1-line block ×3, first 2 shown]
	v_cmp_ne_u32_e64 s[26:27], 0, v60
	s_and_saveexec_b64 s[28:29], s[26:27]
; %bb.160:
	v_cmp_eq_u32_e64 s[26:27], 0, v63
	v_cndmask_b32_e64 v61, 0, v61, s[26:27]
	v_add_u32_e32 v64, v64, v63
	v_cndmask_b32_e64 v63, 0, v65, s[26:27]
	v_add_co_u32_e64 v58, s[26:27], v61, v58
	v_addc_co_u32_e64 v59, s[26:27], v63, v59, s[26:27]
	v_mov_b32_e32 v63, v64
; %bb.161:
	s_or_b64 exec, exec, s[28:29]
	s_nop 0
	v_mov_b32_dpp v64, v63 row_shr:2 row_mask:0xf bank_mask:0xf
	v_mov_b32_dpp v61, v58 row_shr:2 row_mask:0xf bank_mask:0xf
	v_mov_b32_dpp v65, v59 row_shr:2 row_mask:0xf bank_mask:0xf
	v_cmp_lt_u32_e64 s[26:27], 1, v60
	s_and_saveexec_b64 s[28:29], s[26:27]
; %bb.162:
	v_cmp_eq_u32_e64 s[26:27], 0, v63
	v_cndmask_b32_e64 v61, 0, v61, s[26:27]
	v_add_u32_e32 v64, v64, v63
	v_cndmask_b32_e64 v63, 0, v65, s[26:27]
	v_add_co_u32_e64 v58, s[26:27], v61, v58
	v_addc_co_u32_e64 v59, s[26:27], v63, v59, s[26:27]
	v_mov_b32_e32 v63, v64
; %bb.163:
	s_or_b64 exec, exec, s[28:29]
	s_nop 0
	v_mov_b32_dpp v64, v63 row_shr:4 row_mask:0xf bank_mask:0xf
	v_mov_b32_dpp v61, v58 row_shr:4 row_mask:0xf bank_mask:0xf
	v_mov_b32_dpp v65, v59 row_shr:4 row_mask:0xf bank_mask:0xf
	v_cmp_lt_u32_e64 s[26:27], 3, v60
	;; [unrolled: 16-line block ×3, first 2 shown]
	s_and_saveexec_b64 s[28:29], s[26:27]
; %bb.166:
	v_cmp_eq_u32_e64 s[26:27], 0, v63
	v_cndmask_b32_e64 v61, 0, v61, s[26:27]
	v_add_u32_e32 v60, v64, v63
	v_cndmask_b32_e64 v63, 0, v65, s[26:27]
	v_add_co_u32_e64 v58, s[26:27], v61, v58
	v_addc_co_u32_e64 v59, s[26:27], v63, v59, s[26:27]
	v_mov_b32_e32 v63, v60
; %bb.167:
	s_or_b64 exec, exec, s[28:29]
	v_and_b32_e32 v65, 16, v62
	v_mov_b32_dpp v61, v63 row_bcast:15 row_mask:0xf bank_mask:0xf
	v_mov_b32_dpp v60, v58 row_bcast:15 row_mask:0xf bank_mask:0xf
	;; [unrolled: 1-line block ×3, first 2 shown]
	v_cmp_ne_u32_e64 s[26:27], 0, v65
	s_and_saveexec_b64 s[28:29], s[26:27]
; %bb.168:
	v_cmp_eq_u32_e64 s[26:27], 0, v63
	v_cndmask_b32_e64 v60, 0, v60, s[26:27]
	v_add_u32_e32 v61, v61, v63
	v_cndmask_b32_e64 v63, 0, v64, s[26:27]
	v_add_co_u32_e64 v58, s[26:27], v60, v58
	v_addc_co_u32_e64 v59, s[26:27], v63, v59, s[26:27]
	v_mov_b32_e32 v63, v61
; %bb.169:
	s_or_b64 exec, exec, s[28:29]
	s_nop 0
	v_mov_b32_dpp v61, v63 row_bcast:31 row_mask:0xf bank_mask:0xf
	v_mov_b32_dpp v60, v58 row_bcast:31 row_mask:0xf bank_mask:0xf
	;; [unrolled: 1-line block ×3, first 2 shown]
	v_cmp_lt_u32_e64 s[26:27], 31, v62
	s_and_saveexec_b64 s[28:29], s[26:27]
; %bb.170:
	v_cmp_eq_u32_e64 s[26:27], 0, v63
	v_cndmask_b32_e64 v60, 0, v60, s[26:27]
	v_add_u32_e32 v61, v61, v63
	v_cndmask_b32_e64 v63, 0, v64, s[26:27]
	v_add_co_u32_e64 v58, s[26:27], v60, v58
	v_addc_co_u32_e64 v59, s[26:27], v63, v59, s[26:27]
	v_mov_b32_e32 v63, v61
; %bb.171:
	s_or_b64 exec, exec, s[28:29]
	v_lshrrev_b32_e32 v60, 6, v0
	v_or_b32_e32 v61, 63, v0
	v_cmp_eq_u32_e64 s[26:27], v61, v0
	v_lshlrev_b32_e32 v64, 4, v60
	s_and_saveexec_b64 s[28:29], s[26:27]
	s_cbranch_execz .LBB501_173
; %bb.172:
	ds_write_b32 v64, v63 offset:4128
	ds_write_b64 v64, v[58:59] offset:4136
.LBB501_173:
	s_or_b64 exec, exec, s[28:29]
	v_cmp_gt_u32_e64 s[26:27], 4, v0
	s_waitcnt lgkmcnt(0)
	s_barrier
	s_and_saveexec_b64 s[28:29], s[26:27]
	s_cbranch_execz .LBB501_179
; %bb.174:
	v_lshlrev_b32_e32 v65, 4, v0
	ds_read_b32 v66, v65 offset:4128
	ds_read_b64 v[60:61], v65 offset:4136
	v_and_b32_e32 v67, 3, v62
	v_cmp_ne_u32_e64 s[26:27], 0, v67
	s_waitcnt lgkmcnt(1)
	v_mov_b32_dpp v69, v66 row_shr:1 row_mask:0xf bank_mask:0xf
	s_waitcnt lgkmcnt(0)
	v_mov_b32_dpp v68, v60 row_shr:1 row_mask:0xf bank_mask:0xf
	v_mov_b32_dpp v70, v61 row_shr:1 row_mask:0xf bank_mask:0xf
	s_and_saveexec_b64 s[34:35], s[26:27]
; %bb.175:
	v_cmp_eq_u32_e64 s[26:27], 0, v66
	v_cndmask_b32_e64 v68, 0, v68, s[26:27]
	v_add_u32_e32 v69, v69, v66
	v_cndmask_b32_e64 v66, 0, v70, s[26:27]
	v_add_co_u32_e64 v60, s[26:27], v68, v60
	v_addc_co_u32_e64 v61, s[26:27], v66, v61, s[26:27]
	v_mov_b32_e32 v66, v69
; %bb.176:
	s_or_b64 exec, exec, s[34:35]
	s_nop 0
	v_mov_b32_dpp v69, v66 row_shr:2 row_mask:0xf bank_mask:0xf
	v_mov_b32_dpp v68, v60 row_shr:2 row_mask:0xf bank_mask:0xf
	;; [unrolled: 1-line block ×3, first 2 shown]
	v_cmp_lt_u32_e64 s[26:27], 1, v67
	s_and_saveexec_b64 s[34:35], s[26:27]
; %bb.177:
	v_cmp_eq_u32_e64 s[26:27], 0, v66
	v_cndmask_b32_e64 v68, 0, v68, s[26:27]
	v_add_u32_e32 v67, v69, v66
	v_cndmask_b32_e64 v66, 0, v70, s[26:27]
	v_add_co_u32_e64 v60, s[26:27], v68, v60
	v_addc_co_u32_e64 v61, s[26:27], v66, v61, s[26:27]
	v_mov_b32_e32 v66, v67
; %bb.178:
	s_or_b64 exec, exec, s[34:35]
	ds_write_b32 v65, v66 offset:4128
	ds_write_b64 v65, v[60:61] offset:4136
.LBB501_179:
	s_or_b64 exec, exec, s[28:29]
	v_cmp_lt_u32_e64 s[26:27], 63, v0
	v_mov_b32_e32 v72, 0
	v_mov_b32_e32 v65, 0
	s_waitcnt vmcnt(0)
	v_pk_mov_b32 v[60:61], v[96:97], v[96:97] op_sel:[0,1]
	s_waitcnt lgkmcnt(0)
	s_barrier
	s_and_saveexec_b64 s[28:29], s[26:27]
	s_cbranch_execz .LBB501_181
; %bb.180:
	ds_read_b32 v65, v64 offset:4112
	ds_read_b64 v[60:61], v64 offset:4120
	s_waitcnt lgkmcnt(1)
	v_cmp_eq_u32_e64 s[26:27], 0, v65
	v_cndmask_b32_e64 v66, 0, v96, s[26:27]
	v_cndmask_b32_e64 v64, 0, v97, s[26:27]
	s_waitcnt lgkmcnt(0)
	v_add_co_u32_e64 v60, s[26:27], v66, v60
	v_addc_co_u32_e64 v61, s[26:27], v64, v61, s[26:27]
.LBB501_181:
	s_or_b64 exec, exec, s[28:29]
	v_cmp_eq_u32_e64 s[26:27], 0, v63
	v_cndmask_b32_e64 v66, 0, v60, s[26:27]
	v_add_u32_e32 v64, v65, v63
	v_cndmask_b32_e64 v63, 0, v61, s[26:27]
	v_add_co_u32_e64 v58, s[26:27], v66, v58
	v_addc_co_u32_e64 v59, s[26:27], v63, v59, s[26:27]
	v_add_u32_e32 v63, -1, v62
	v_and_b32_e32 v66, 64, v62
	v_cmp_lt_i32_e64 s[26:27], v63, v66
	v_cndmask_b32_e64 v63, v63, v62, s[26:27]
	v_lshlrev_b32_e32 v63, 2, v63
	ds_bpermute_b32 v58, v63, v58
	ds_bpermute_b32 v64, v63, v64
	;; [unrolled: 1-line block ×3, first 2 shown]
	v_cmp_eq_u32_e64 s[26:27], 0, v62
	s_waitcnt lgkmcnt(2)
	v_cndmask_b32_e64 v92, v58, v60, s[26:27]
	s_waitcnt lgkmcnt(1)
	v_cndmask_b32_e64 v59, v64, v65, s[26:27]
	;; [unrolled: 2-line block ×3, first 2 shown]
	v_cndmask_b32_e64 v58, v92, v96, s[0:1]
	v_cmp_eq_u32_e64 s[26:27], 0, v113
	v_cndmask_b32_e64 v60, v93, v97, s[0:1]
	v_cndmask_b32_e64 v58, 0, v58, s[26:27]
	;; [unrolled: 1-line block ×3, first 2 shown]
	v_add_co_u32_e64 v64, s[26:27], v58, v54
	v_addc_co_u32_e64 v65, s[26:27], v60, v55, s[26:27]
	v_cndmask_b32_e64 v55, 0, v64, s[24:25]
	v_cndmask_b32_e64 v54, 0, v65, s[24:25]
	v_add_co_u32_e64 v66, s[24:25], v55, v56
	v_addc_co_u32_e64 v67, s[24:25], v54, v57, s[24:25]
	v_cndmask_b32_e64 v55, 0, v66, s[22:23]
	v_cndmask_b32_e64 v54, 0, v67, s[22:23]
	;; [unrolled: 4-line block ×11, first 2 shown]
	v_add_co_u32_e64 v90, s[2:3], v35, v36
	v_addc_co_u32_e64 v91, s[2:3], v34, v37, s[2:3]
	v_cndmask_b32_e64 v35, 0, v90, s[4:5]
	ds_read_b32 v58, v72 offset:4176
	v_cndmask_b32_e64 v34, 0, v91, s[4:5]
	v_add_co_u32_e64 v94, s[2:3], v35, v30
	v_addc_co_u32_e64 v95, s[2:3], v34, v31, s[2:3]
	ds_read_b64 v[30:31], v72 offset:4184
	v_cndmask_b32_e32 v99, 0, v95, vcc
	v_cndmask_b32_e32 v98, 0, v94, vcc
	s_waitcnt lgkmcnt(1)
	v_cmp_eq_u32_e32 vcc, 0, v58
	v_cndmask_b32_e32 v35, 0, v96, vcc
	v_cndmask_b32_e32 v34, 0, v97, vcc
	s_waitcnt lgkmcnt(0)
	v_add_co_u32_e32 v60, vcc, v35, v30
	v_addc_co_u32_e32 v61, vcc, v34, v31, vcc
	s_and_saveexec_b64 s[2:3], s[0:1]
	s_cbranch_execz .LBB501_183
; %bb.182:
	v_mov_b32_e32 v59, 0
	v_mov_b32_e32 v30, 2
	v_pk_mov_b32 v[92:93], v[96:97], v[96:97] op_sel:[0,1]
	global_store_dword v59, v58, s[38:39] offset:1024
	global_store_dwordx2 v59, v[60:61], s[38:39] offset:1032
	s_waitcnt vmcnt(0)
	buffer_wbinvl1_vol
	global_store_byte v59, v30, s[40:41] offset:64
.LBB501_183:
	s_or_b64 exec, exec, s[2:3]
	v_mov_b32_e32 v62, 0
.LBB501_184:
	s_and_b64 s[2:3], s[30:31], exec
	s_cselect_b32 s3, 0, s51
	s_cselect_b32 s2, 0, s50
	s_cmp_eq_u64 s[2:3], 0
	v_pk_mov_b32 v[30:31], 0, 0
	s_barrier
	s_cbranch_scc1 .LBB501_186
; %bb.185:
	v_mov_b32_e32 v30, 0
	global_load_dwordx2 v[30:31], v30, s[2:3]
.LBB501_186:
	s_waitcnt vmcnt(0)
	v_lshlrev_b64 v[34:35], 3, v[30:31]
	v_mov_b32_e32 v36, s59
	v_add_co_u32_e32 v52, vcc, s58, v34
	v_mov_b32_e32 v63, 0
	v_addc_co_u32_e32 v53, vcc, v36, v35, vcc
	v_lshlrev_b64 v[36:37], 3, v[62:63]
	v_add_co_u32_e32 v52, vcc, v52, v36
	v_addc_co_u32_e32 v53, vcc, v53, v37, vcc
	v_cmp_eq_u32_e32 vcc, 0, v113
	v_cndmask_b32_e64 v54, 1, 2, vcc
	v_cmp_eq_u32_e32 vcc, 0, v112
	v_cndmask_b32_e64 v55, 1, 2, vcc
	v_cmp_eq_u32_e32 vcc, 0, v111
	v_and_b32_e32 v54, v55, v54
	v_cndmask_b32_e64 v55, 1, 2, vcc
	v_cmp_eq_u32_e32 vcc, 0, v110
	v_add_u32_e32 v51, v59, v113
	v_and_b32_e32 v54, v54, v55
	v_cndmask_b32_e64 v55, 1, 2, vcc
	v_cmp_eq_u32_e32 vcc, 0, v109
	v_add_u32_e32 v50, v51, v112
	v_and_b32_e32 v54, v54, v55
	v_cndmask_b32_e64 v55, 1, 2, vcc
	v_cmp_eq_u32_e32 vcc, 0, v108
	v_add_u32_e32 v49, v50, v111
	v_and_b32_e32 v54, v54, v55
	v_cndmask_b32_e64 v55, 1, 2, vcc
	v_cmp_eq_u32_e32 vcc, 0, v107
	v_add_u32_e32 v48, v49, v110
	v_and_b32_e32 v54, v54, v55
	v_cndmask_b32_e64 v55, 1, 2, vcc
	v_cmp_eq_u32_e32 vcc, 0, v106
	v_add_u32_e32 v47, v48, v109
	v_and_b32_e32 v54, v54, v55
	v_cndmask_b32_e64 v55, 1, 2, vcc
	v_cmp_eq_u32_e32 vcc, 0, v105
	v_add_u32_e32 v46, v47, v108
	v_and_b32_e32 v54, v54, v55
	v_cndmask_b32_e64 v55, 1, 2, vcc
	v_cmp_eq_u32_e32 vcc, 0, v104
	v_add_u32_e32 v45, v46, v107
	v_and_b32_e32 v54, v54, v55
	v_cndmask_b32_e64 v55, 1, 2, vcc
	v_cmp_eq_u32_e32 vcc, 0, v103
	v_add_u32_e32 v44, v45, v106
	v_and_b32_e32 v54, v54, v55
	v_cndmask_b32_e64 v55, 1, 2, vcc
	v_cmp_eq_u32_e32 vcc, 0, v102
	v_add_u32_e32 v43, v44, v105
	v_and_b32_e32 v54, v54, v55
	v_cndmask_b32_e64 v55, 1, 2, vcc
	v_cmp_eq_u32_e32 vcc, 0, v101
	v_add_u32_e32 v42, v43, v104
	v_and_b32_e32 v54, v54, v55
	v_cndmask_b32_e64 v55, 1, 2, vcc
	v_cmp_eq_u32_e32 vcc, 0, v100
	v_add_u32_e32 v41, v42, v103
	v_and_b32_e32 v54, v54, v55
	v_cndmask_b32_e64 v55, 1, 2, vcc
	v_cmp_eq_u32_e32 vcc, 0, v1
	v_add_u32_e32 v40, v41, v102
	v_and_b32_e32 v54, v54, v55
	v_cndmask_b32_e64 v55, 1, 2, vcc
	s_movk_i32 s34, 0x100
	v_add_u32_e32 v39, v40, v101
	v_and_b32_e32 v54, v54, v55
	v_cmp_gt_u32_e32 vcc, s34, v58
	v_add_u32_e32 v38, v39, v100
	v_cmp_ne_u32_e64 s[30:31], 0, v113
	v_cmp_ne_u32_e64 s[28:29], 0, v112
	;; [unrolled: 1-line block ×15, first 2 shown]
	s_mov_b64 s[36:37], -1
	v_cmp_gt_i16_e64 s[34:35], 2, v54
	s_cbranch_vccz .LBB501_193
; %bb.187:
	s_and_saveexec_b64 s[36:37], s[34:35]
	s_cbranch_execz .LBB501_192
; %bb.188:
	v_cmp_ne_u16_e32 vcc, 1, v54
	s_mov_b64 s[38:39], 0
	s_and_saveexec_b64 s[34:35], vcc
	s_xor_b64 s[34:35], exec, s[34:35]
	s_cbranch_execnz .LBB501_225
; %bb.189:
	s_andn2_saveexec_b64 s[34:35], s[34:35]
	s_cbranch_execnz .LBB501_241
.LBB501_190:
	s_or_b64 exec, exec, s[34:35]
	s_and_b64 exec, exec, s[38:39]
	s_cbranch_execz .LBB501_192
.LBB501_191:
	v_sub_u32_e32 v56, v38, v62
	v_mov_b32_e32 v57, 0
	v_lshlrev_b64 v[56:57], 3, v[56:57]
	v_add_co_u32_e32 v56, vcc, v52, v56
	v_addc_co_u32_e32 v57, vcc, v53, v57, vcc
	global_store_dwordx2 v[56:57], v[74:75], off
.LBB501_192:
	s_or_b64 exec, exec, s[36:37]
	s_mov_b64 s[36:37], 0
.LBB501_193:
	s_and_b64 vcc, exec, s[36:37]
	s_cbranch_vccz .LBB501_203
; %bb.194:
	v_cmp_gt_i16_e32 vcc, 2, v54
	s_and_saveexec_b64 s[34:35], vcc
	s_cbranch_execz .LBB501_199
; %bb.195:
	v_cmp_ne_u16_e32 vcc, 1, v54
	s_mov_b64 s[38:39], 0
	s_and_saveexec_b64 s[36:37], vcc
	s_xor_b64 s[36:37], exec, s[36:37]
	s_cbranch_execnz .LBB501_242
; %bb.196:
	s_andn2_saveexec_b64 s[2:3], s[36:37]
	s_cbranch_execnz .LBB501_258
.LBB501_197:
	s_or_b64 exec, exec, s[2:3]
	s_and_b64 exec, exec, s[38:39]
	s_cbranch_execz .LBB501_199
.LBB501_198:
	v_sub_u32_e32 v2, v38, v62
	v_lshlrev_b32_e32 v2, 3, v2
	ds_write_b64 v2, v[74:75]
.LBB501_199:
	s_or_b64 exec, exec, s[34:35]
	v_cmp_lt_u32_e32 vcc, v0, v58
	s_waitcnt lgkmcnt(0)
	s_barrier
	s_and_saveexec_b64 s[2:3], vcc
	s_cbranch_execz .LBB501_202
; %bb.200:
	v_lshlrev_b32_e32 v4, 3, v0
	s_mov_b64 s[4:5], 0
	v_mov_b32_e32 v3, 0
	v_mov_b32_e32 v2, v0
.LBB501_201:                            ; =>This Inner Loop Header: Depth=1
	v_lshlrev_b64 v[6:7], 3, v[2:3]
	ds_read_b64 v[8:9], v4
	v_add_co_u32_e32 v6, vcc, v52, v6
	v_add_u32_e32 v2, 0x100, v2
	v_addc_co_u32_e32 v7, vcc, v53, v7, vcc
	v_cmp_ge_u32_e32 vcc, v2, v58
	v_add_u32_e32 v4, 0x800, v4
	s_or_b64 s[4:5], vcc, s[4:5]
	s_waitcnt lgkmcnt(0)
	global_store_dwordx2 v[6:7], v[8:9], off
	s_andn2_b64 exec, exec, s[4:5]
	s_cbranch_execnz .LBB501_201
.LBB501_202:
	s_or_b64 exec, exec, s[2:3]
.LBB501_203:
	s_cmpk_lg_i32 s33, 0xf00
	s_cselect_b64 s[2:3], -1, 0
	v_cndmask_b32_e64 v8, 0, 1, s[46:47]
	s_and_b64 s[2:3], s[2:3], s[44:45]
	v_sub_u32_e32 v4, v58, v8
	v_cndmask_b32_e64 v5, 0, 1, s[2:3]
	s_and_b64 s[0:1], s[0:1], s[46:47]
	v_add_co_u32_e32 v2, vcc, v98, v32
	v_add_u32_e32 v4, v4, v5
	v_cndmask_b32_e64 v5, v113, 0, s[0:1]
	s_mul_hi_u32 s0, s33, 0x88888889
	v_addc_co_u32_e32 v3, vcc, v99, v33, vcc
	s_lshr_b32 s0, s0, 3
	v_mad_i32_i24 v6, v0, -15, s33
	v_cmp_eq_u32_e32 vcc, s0, v0
	v_cmp_ne_u32_e64 s[0:1], 0, v6
	v_cndmask_b32_e64 v7, 1, v5, s[0:1]
	v_cmp_ne_u32_e64 s[0:1], 1, v6
	v_cndmask_b32_e64 v9, 1, v112, s[0:1]
	;; [unrolled: 2-line block ×15, first 2 shown]
	s_and_b64 vcc, vcc, s[44:45]
	v_cndmask_b32_e32 v22, v1, v6, vcc
	v_cndmask_b32_e32 v21, v100, v21, vcc
	;; [unrolled: 1-line block ×15, first 2 shown]
	v_mov_b32_e32 v1, s61
	v_add_co_u32_e32 v5, vcc, s60, v34
	v_addc_co_u32_e32 v6, vcc, v1, v35, vcc
	v_add_co_u32_e32 v1, vcc, v5, v36
	v_addc_co_u32_e32 v5, vcc, v6, v37, vcc
	v_lshlrev_b32_e32 v6, 3, v8
	v_add_co_u32_e32 v6, vcc, v6, v1
	v_addc_co_u32_e32 v7, vcc, 0, v5, vcc
	v_add_co_u32_e32 v6, vcc, -8, v6
	v_addc_co_u32_e32 v7, vcc, -1, v7, vcc
	v_cmp_eq_u32_e32 vcc, 0, v23
	v_cmp_ne_u32_e64 s[28:29], 0, v23
	v_cndmask_b32_e64 v23, 1, 2, vcc
	v_cmp_eq_u32_e32 vcc, 0, v9
	v_cmp_ne_u32_e64 s[26:27], 0, v9
	v_cndmask_b32_e64 v9, 1, 2, vcc
	v_cmp_eq_u32_e32 vcc, 0, v10
	v_and_b32_e32 v9, v9, v23
	v_cmp_ne_u32_e64 s[24:25], 0, v10
	v_cndmask_b32_e64 v10, 1, 2, vcc
	v_cmp_eq_u32_e32 vcc, 0, v11
	v_and_b32_e32 v9, v9, v10
	v_cndmask_b32_e64 v10, 1, 2, vcc
	v_cmp_eq_u32_e32 vcc, 0, v12
	v_and_b32_e32 v9, v9, v10
	;; [unrolled: 3-line block ×12, first 2 shown]
	v_cndmask_b32_e64 v10, 1, 2, vcc
	s_movk_i32 s30, 0x100
	v_and_b32_e32 v9, v9, v10
	v_cmp_gt_u32_e32 vcc, s30, v4
	v_add_u32_e32 v8, v62, v8
	v_cmp_ne_u32_e64 s[22:23], 0, v11
	v_cmp_ne_u32_e64 s[20:21], 0, v12
	;; [unrolled: 1-line block ×12, first 2 shown]
	s_mov_b64 s[34:35], -1
	v_cmp_gt_i16_e64 s[30:31], 2, v9
	s_barrier
	s_cbranch_vccz .LBB501_210
; %bb.204:
	s_and_saveexec_b64 s[34:35], s[30:31]
	s_cbranch_execz .LBB501_209
; %bb.205:
	v_cmp_ne_u16_e32 vcc, 1, v9
	s_mov_b64 s[36:37], 0
	s_and_saveexec_b64 s[30:31], vcc
	s_xor_b64 s[30:31], exec, s[30:31]
	s_cbranch_execnz .LBB501_259
; %bb.206:
	s_andn2_saveexec_b64 s[30:31], s[30:31]
	s_cbranch_execnz .LBB501_275
.LBB501_207:
	s_or_b64 exec, exec, s[30:31]
	s_and_b64 exec, exec, s[36:37]
	s_cbranch_execz .LBB501_209
.LBB501_208:
	v_sub_u32_e32 v10, v38, v8
	v_mov_b32_e32 v11, 0
	v_lshlrev_b64 v[10:11], 3, v[10:11]
	v_add_co_u32_e32 v10, vcc, v6, v10
	v_addc_co_u32_e32 v11, vcc, v7, v11, vcc
	global_store_dwordx2 v[10:11], v[2:3], off
.LBB501_209:
	s_or_b64 exec, exec, s[34:35]
	s_mov_b64 s[34:35], 0
.LBB501_210:
	s_and_b64 vcc, exec, s[34:35]
	s_cbranch_vccz .LBB501_220
; %bb.211:
	v_cmp_gt_i16_e32 vcc, 2, v9
	s_and_saveexec_b64 s[30:31], vcc
	s_cbranch_execz .LBB501_216
; %bb.212:
	v_cmp_ne_u16_e32 vcc, 1, v9
	s_mov_b64 s[36:37], 0
	s_and_saveexec_b64 s[34:35], vcc
	s_xor_b64 s[34:35], exec, s[34:35]
	s_cbranch_execnz .LBB501_276
; %bb.213:
	s_andn2_saveexec_b64 s[0:1], s[34:35]
	s_cbranch_execnz .LBB501_292
.LBB501_214:
	s_or_b64 exec, exec, s[0:1]
	s_and_b64 exec, exec, s[36:37]
	s_cbranch_execz .LBB501_216
.LBB501_215:
	v_sub_u32_e32 v8, v38, v8
	v_lshlrev_b32_e32 v8, 3, v8
	ds_write_b64 v8, v[2:3]
.LBB501_216:
	s_or_b64 exec, exec, s[30:31]
	v_cmp_lt_u32_e32 vcc, v0, v4
	s_waitcnt lgkmcnt(0)
	s_barrier
	s_and_saveexec_b64 s[0:1], vcc
	s_cbranch_execz .LBB501_219
; %bb.217:
	v_lshlrev_b32_e32 v8, 3, v0
	s_mov_b64 s[2:3], 0
	v_mov_b32_e32 v3, 0
	v_mov_b32_e32 v2, v0
.LBB501_218:                            ; =>This Inner Loop Header: Depth=1
	v_lshlrev_b64 v[10:11], 3, v[2:3]
	ds_read_b64 v[12:13], v8
	v_add_co_u32_e32 v10, vcc, v6, v10
	v_add_u32_e32 v2, 0x100, v2
	v_addc_co_u32_e32 v11, vcc, v7, v11, vcc
	v_cmp_ge_u32_e32 vcc, v2, v4
	v_add_u32_e32 v8, 0x800, v8
	s_or_b64 s[2:3], vcc, s[2:3]
	s_waitcnt lgkmcnt(0)
	global_store_dwordx2 v[10:11], v[12:13], off
	s_andn2_b64 exec, exec, s[2:3]
	s_cbranch_execnz .LBB501_218
.LBB501_219:
	s_or_b64 exec, exec, s[0:1]
.LBB501_220:
	s_movk_i32 s0, 0xff
	v_cmp_eq_u32_e32 vcc, s0, v0
	s_and_b64 s[0:1], vcc, s[44:45]
	s_and_saveexec_b64 s[2:3], s[0:1]
	s_cbranch_execz .LBB501_223
; %bb.221:
	v_add_co_u32_e32 v0, vcc, v58, v62
	v_addc_co_u32_e64 v3, s[0:1], 0, 0, vcc
	v_add_co_u32_e32 v2, vcc, v0, v30
	v_mov_b32_e32 v59, 0
	v_addc_co_u32_e32 v3, vcc, v3, v31, vcc
	s_cmpk_lg_i32 s33, 0xf00
	global_store_dwordx2 v59, v[2:3], s[62:63]
	s_cbranch_scc1 .LBB501_223
; %bb.222:
	v_lshlrev_b64 v[2:3], 3, v[58:59]
	v_add_co_u32_e32 v0, vcc, v1, v2
	v_addc_co_u32_e32 v1, vcc, v5, v3, vcc
	global_store_dwordx2 v[0:1], v[60:61], off offset:-8
.LBB501_223:
	s_endpgm
.LBB501_224:
	s_or_b64 exec, exec, s[6:7]
	v_mov_b32_e32 v113, s8
	s_and_saveexec_b64 s[2:3], s[34:35]
	s_cbranch_execnz .LBB501_88
	s_branch .LBB501_89
.LBB501_225:
	s_and_saveexec_b64 s[38:39], s[30:31]
	s_cbranch_execnz .LBB501_293
; %bb.226:
	s_or_b64 exec, exec, s[38:39]
	s_and_saveexec_b64 s[38:39], s[28:29]
	s_cbranch_execnz .LBB501_294
.LBB501_227:
	s_or_b64 exec, exec, s[38:39]
	s_and_saveexec_b64 s[38:39], s[26:27]
	s_cbranch_execnz .LBB501_295
.LBB501_228:
	s_or_b64 exec, exec, s[38:39]
	s_and_saveexec_b64 s[38:39], s[24:25]
	s_cbranch_execnz .LBB501_296
.LBB501_229:
	s_or_b64 exec, exec, s[38:39]
	s_and_saveexec_b64 s[38:39], s[22:23]
	s_cbranch_execnz .LBB501_297
.LBB501_230:
	s_or_b64 exec, exec, s[38:39]
	s_and_saveexec_b64 s[38:39], s[20:21]
	s_cbranch_execnz .LBB501_298
.LBB501_231:
	s_or_b64 exec, exec, s[38:39]
	s_and_saveexec_b64 s[38:39], s[18:19]
	s_cbranch_execnz .LBB501_299
.LBB501_232:
	s_or_b64 exec, exec, s[38:39]
	s_and_saveexec_b64 s[38:39], s[16:17]
	s_cbranch_execnz .LBB501_300
.LBB501_233:
	s_or_b64 exec, exec, s[38:39]
	s_and_saveexec_b64 s[38:39], s[14:15]
	s_cbranch_execnz .LBB501_301
.LBB501_234:
	s_or_b64 exec, exec, s[38:39]
	s_and_saveexec_b64 s[38:39], s[12:13]
	s_cbranch_execnz .LBB501_302
.LBB501_235:
	s_or_b64 exec, exec, s[38:39]
	s_and_saveexec_b64 s[38:39], s[10:11]
	s_cbranch_execnz .LBB501_303
.LBB501_236:
	s_or_b64 exec, exec, s[38:39]
	s_and_saveexec_b64 s[38:39], s[8:9]
	s_cbranch_execnz .LBB501_304
.LBB501_237:
	s_or_b64 exec, exec, s[38:39]
	s_and_saveexec_b64 s[38:39], s[6:7]
	s_cbranch_execnz .LBB501_305
.LBB501_238:
	s_or_b64 exec, exec, s[38:39]
	s_and_saveexec_b64 s[38:39], s[4:5]
	s_cbranch_execz .LBB501_240
.LBB501_239:
	v_sub_u32_e32 v56, v39, v62
	v_mov_b32_e32 v57, 0
	v_lshlrev_b64 v[56:57], 3, v[56:57]
	v_add_co_u32_e32 v56, vcc, v52, v56
	v_addc_co_u32_e32 v57, vcc, v53, v57, vcc
	global_store_dwordx2 v[56:57], v[4:5], off
.LBB501_240:
	s_or_b64 exec, exec, s[38:39]
	s_and_b64 s[38:39], s[2:3], exec
	s_andn2_saveexec_b64 s[34:35], s[34:35]
	s_cbranch_execz .LBB501_190
.LBB501_241:
	v_sub_u32_e32 v56, v59, v62
	v_mov_b32_e32 v57, 0
	v_lshlrev_b64 v[72:73], 3, v[56:57]
	v_add_co_u32_e32 v72, vcc, v52, v72
	v_addc_co_u32_e32 v73, vcc, v53, v73, vcc
	v_sub_u32_e32 v56, v51, v62
	global_store_dwordx2 v[72:73], v[26:27], off
	v_lshlrev_b64 v[72:73], 3, v[56:57]
	v_add_co_u32_e32 v72, vcc, v52, v72
	v_addc_co_u32_e32 v73, vcc, v53, v73, vcc
	v_sub_u32_e32 v56, v50, v62
	global_store_dwordx2 v[72:73], v[28:29], off
	v_lshlrev_b64 v[72:73], 3, v[56:57]
	v_add_co_u32_e32 v72, vcc, v52, v72
	v_addc_co_u32_e32 v73, vcc, v53, v73, vcc
	v_sub_u32_e32 v56, v49, v62
	global_store_dwordx2 v[72:73], v[22:23], off
	v_lshlrev_b64 v[72:73], 3, v[56:57]
	v_add_co_u32_e32 v72, vcc, v52, v72
	v_addc_co_u32_e32 v73, vcc, v53, v73, vcc
	v_sub_u32_e32 v56, v48, v62
	global_store_dwordx2 v[72:73], v[24:25], off
	v_lshlrev_b64 v[72:73], 3, v[56:57]
	v_add_co_u32_e32 v72, vcc, v52, v72
	v_addc_co_u32_e32 v73, vcc, v53, v73, vcc
	v_sub_u32_e32 v56, v47, v62
	global_store_dwordx2 v[72:73], v[18:19], off
	v_lshlrev_b64 v[72:73], 3, v[56:57]
	v_add_co_u32_e32 v72, vcc, v52, v72
	v_addc_co_u32_e32 v73, vcc, v53, v73, vcc
	v_sub_u32_e32 v56, v46, v62
	global_store_dwordx2 v[72:73], v[20:21], off
	v_lshlrev_b64 v[72:73], 3, v[56:57]
	v_add_co_u32_e32 v72, vcc, v52, v72
	v_addc_co_u32_e32 v73, vcc, v53, v73, vcc
	v_sub_u32_e32 v56, v45, v62
	global_store_dwordx2 v[72:73], v[14:15], off
	v_lshlrev_b64 v[72:73], 3, v[56:57]
	v_add_co_u32_e32 v72, vcc, v52, v72
	v_addc_co_u32_e32 v73, vcc, v53, v73, vcc
	v_sub_u32_e32 v56, v44, v62
	global_store_dwordx2 v[72:73], v[16:17], off
	v_lshlrev_b64 v[72:73], 3, v[56:57]
	v_add_co_u32_e32 v72, vcc, v52, v72
	v_addc_co_u32_e32 v73, vcc, v53, v73, vcc
	v_sub_u32_e32 v56, v43, v62
	global_store_dwordx2 v[72:73], v[10:11], off
	v_lshlrev_b64 v[72:73], 3, v[56:57]
	v_add_co_u32_e32 v72, vcc, v52, v72
	v_addc_co_u32_e32 v73, vcc, v53, v73, vcc
	v_sub_u32_e32 v56, v42, v62
	global_store_dwordx2 v[72:73], v[12:13], off
	v_lshlrev_b64 v[72:73], 3, v[56:57]
	v_add_co_u32_e32 v72, vcc, v52, v72
	v_addc_co_u32_e32 v73, vcc, v53, v73, vcc
	v_sub_u32_e32 v56, v41, v62
	global_store_dwordx2 v[72:73], v[6:7], off
	v_lshlrev_b64 v[72:73], 3, v[56:57]
	v_add_co_u32_e32 v72, vcc, v52, v72
	v_addc_co_u32_e32 v73, vcc, v53, v73, vcc
	v_sub_u32_e32 v56, v40, v62
	global_store_dwordx2 v[72:73], v[8:9], off
	v_lshlrev_b64 v[72:73], 3, v[56:57]
	v_add_co_u32_e32 v72, vcc, v52, v72
	v_sub_u32_e32 v56, v39, v62
	v_addc_co_u32_e32 v73, vcc, v53, v73, vcc
	v_lshlrev_b64 v[56:57], 3, v[56:57]
	v_add_co_u32_e32 v56, vcc, v52, v56
	v_addc_co_u32_e32 v57, vcc, v53, v57, vcc
	s_or_b64 s[38:39], s[38:39], exec
	global_store_dwordx2 v[72:73], v[2:3], off
	global_store_dwordx2 v[56:57], v[4:5], off
	s_or_b64 exec, exec, s[34:35]
	s_and_b64 exec, exec, s[38:39]
	s_cbranch_execnz .LBB501_191
	s_branch .LBB501_192
.LBB501_242:
	s_and_saveexec_b64 s[38:39], s[30:31]
	s_cbranch_execnz .LBB501_306
; %bb.243:
	s_or_b64 exec, exec, s[38:39]
	s_and_saveexec_b64 s[30:31], s[28:29]
	s_cbranch_execnz .LBB501_307
.LBB501_244:
	s_or_b64 exec, exec, s[30:31]
	s_and_saveexec_b64 s[28:29], s[26:27]
	s_cbranch_execnz .LBB501_308
.LBB501_245:
	s_or_b64 exec, exec, s[28:29]
	s_and_saveexec_b64 s[26:27], s[24:25]
	s_cbranch_execnz .LBB501_309
.LBB501_246:
	s_or_b64 exec, exec, s[26:27]
	s_and_saveexec_b64 s[24:25], s[22:23]
	s_cbranch_execnz .LBB501_310
.LBB501_247:
	s_or_b64 exec, exec, s[24:25]
	s_and_saveexec_b64 s[22:23], s[20:21]
	s_cbranch_execnz .LBB501_311
.LBB501_248:
	s_or_b64 exec, exec, s[22:23]
	s_and_saveexec_b64 s[20:21], s[18:19]
	s_cbranch_execnz .LBB501_312
.LBB501_249:
	s_or_b64 exec, exec, s[20:21]
	s_and_saveexec_b64 s[18:19], s[16:17]
	s_cbranch_execnz .LBB501_313
.LBB501_250:
	s_or_b64 exec, exec, s[18:19]
	s_and_saveexec_b64 s[16:17], s[14:15]
	s_cbranch_execnz .LBB501_314
.LBB501_251:
	s_or_b64 exec, exec, s[16:17]
	s_and_saveexec_b64 s[14:15], s[12:13]
	s_cbranch_execnz .LBB501_315
.LBB501_252:
	s_or_b64 exec, exec, s[14:15]
	s_and_saveexec_b64 s[12:13], s[10:11]
	s_cbranch_execnz .LBB501_316
.LBB501_253:
	s_or_b64 exec, exec, s[12:13]
	s_and_saveexec_b64 s[10:11], s[8:9]
	s_cbranch_execnz .LBB501_317
.LBB501_254:
	s_or_b64 exec, exec, s[10:11]
	s_and_saveexec_b64 s[8:9], s[6:7]
	s_cbranch_execnz .LBB501_318
.LBB501_255:
	s_or_b64 exec, exec, s[8:9]
	s_and_saveexec_b64 s[6:7], s[4:5]
	s_cbranch_execz .LBB501_257
.LBB501_256:
	v_sub_u32_e32 v2, v39, v62
	v_lshlrev_b32_e32 v2, 3, v2
	ds_write_b64 v2, v[4:5]
.LBB501_257:
	s_or_b64 exec, exec, s[6:7]
	s_and_b64 s[38:39], s[2:3], exec
                                        ; implicit-def: $vgpr2_vgpr3
                                        ; implicit-def: $vgpr6_vgpr7
                                        ; implicit-def: $vgpr10_vgpr11
                                        ; implicit-def: $vgpr14_vgpr15
                                        ; implicit-def: $vgpr18_vgpr19
                                        ; implicit-def: $vgpr22_vgpr23
                                        ; implicit-def: $vgpr26_vgpr27
	s_andn2_saveexec_b64 s[2:3], s[36:37]
	s_cbranch_execz .LBB501_197
.LBB501_258:
	v_sub_u32_e32 v54, v59, v62
	v_lshlrev_b32_e32 v54, 3, v54
	ds_write_b64 v54, v[26:27]
	v_sub_u32_e32 v26, v51, v62
	v_lshlrev_b32_e32 v26, 3, v26
	ds_write_b64 v26, v[28:29]
	;; [unrolled: 3-line block ×13, first 2 shown]
	v_sub_u32_e32 v2, v39, v62
	v_lshlrev_b32_e32 v2, 3, v2
	s_or_b64 s[38:39], s[38:39], exec
	ds_write_b64 v2, v[4:5]
	s_or_b64 exec, exec, s[2:3]
	s_and_b64 exec, exec, s[38:39]
	s_cbranch_execnz .LBB501_198
	s_branch .LBB501_199
.LBB501_259:
	s_and_saveexec_b64 s[36:37], s[28:29]
	s_cbranch_execnz .LBB501_319
; %bb.260:
	s_or_b64 exec, exec, s[36:37]
	s_and_saveexec_b64 s[36:37], s[26:27]
	s_cbranch_execnz .LBB501_320
.LBB501_261:
	s_or_b64 exec, exec, s[36:37]
	s_and_saveexec_b64 s[36:37], s[24:25]
	s_cbranch_execnz .LBB501_321
.LBB501_262:
	s_or_b64 exec, exec, s[36:37]
	s_and_saveexec_b64 s[36:37], s[22:23]
	s_cbranch_execnz .LBB501_322
.LBB501_263:
	s_or_b64 exec, exec, s[36:37]
	s_and_saveexec_b64 s[36:37], s[20:21]
	s_cbranch_execnz .LBB501_323
.LBB501_264:
	s_or_b64 exec, exec, s[36:37]
	s_and_saveexec_b64 s[36:37], s[18:19]
	s_cbranch_execnz .LBB501_324
.LBB501_265:
	s_or_b64 exec, exec, s[36:37]
	s_and_saveexec_b64 s[36:37], s[16:17]
	s_cbranch_execnz .LBB501_325
.LBB501_266:
	s_or_b64 exec, exec, s[36:37]
	s_and_saveexec_b64 s[36:37], s[14:15]
	s_cbranch_execnz .LBB501_326
.LBB501_267:
	s_or_b64 exec, exec, s[36:37]
	s_and_saveexec_b64 s[36:37], s[12:13]
	s_cbranch_execnz .LBB501_327
.LBB501_268:
	s_or_b64 exec, exec, s[36:37]
	s_and_saveexec_b64 s[36:37], s[10:11]
	s_cbranch_execnz .LBB501_328
.LBB501_269:
	s_or_b64 exec, exec, s[36:37]
	s_and_saveexec_b64 s[36:37], s[8:9]
	s_cbranch_execnz .LBB501_329
.LBB501_270:
	s_or_b64 exec, exec, s[36:37]
	s_and_saveexec_b64 s[36:37], s[6:7]
	s_cbranch_execnz .LBB501_330
.LBB501_271:
	s_or_b64 exec, exec, s[36:37]
	s_and_saveexec_b64 s[36:37], s[4:5]
	s_cbranch_execnz .LBB501_331
.LBB501_272:
	s_or_b64 exec, exec, s[36:37]
	s_and_saveexec_b64 s[36:37], s[2:3]
	s_cbranch_execz .LBB501_274
.LBB501_273:
	v_sub_u32_e32 v10, v39, v8
	v_mov_b32_e32 v11, 0
	v_lshlrev_b64 v[10:11], 3, v[10:11]
	v_add_co_u32_e32 v10, vcc, v6, v10
	v_addc_co_u32_e32 v11, vcc, v7, v11, vcc
	global_store_dwordx2 v[10:11], v[94:95], off
.LBB501_274:
	s_or_b64 exec, exec, s[36:37]
	s_and_b64 s[36:37], s[0:1], exec
	s_andn2_saveexec_b64 s[30:31], s[30:31]
	s_cbranch_execz .LBB501_207
.LBB501_275:
	v_sub_u32_e32 v10, v59, v8
	v_mov_b32_e32 v11, 0
	v_lshlrev_b64 v[12:13], 3, v[10:11]
	v_add_co_u32_e32 v12, vcc, v6, v12
	v_addc_co_u32_e32 v13, vcc, v7, v13, vcc
	v_sub_u32_e32 v10, v51, v8
	global_store_dwordx2 v[12:13], v[92:93], off
	v_lshlrev_b64 v[12:13], 3, v[10:11]
	v_add_co_u32_e32 v12, vcc, v6, v12
	v_addc_co_u32_e32 v13, vcc, v7, v13, vcc
	v_sub_u32_e32 v10, v50, v8
	global_store_dwordx2 v[12:13], v[64:65], off
	;; [unrolled: 5-line block ×12, first 2 shown]
	v_lshlrev_b64 v[12:13], 3, v[10:11]
	v_add_co_u32_e32 v12, vcc, v6, v12
	v_sub_u32_e32 v10, v39, v8
	v_addc_co_u32_e32 v13, vcc, v7, v13, vcc
	v_lshlrev_b64 v[10:11], 3, v[10:11]
	v_add_co_u32_e32 v10, vcc, v6, v10
	v_addc_co_u32_e32 v11, vcc, v7, v11, vcc
	s_or_b64 s[36:37], s[36:37], exec
	global_store_dwordx2 v[12:13], v[90:91], off
	global_store_dwordx2 v[10:11], v[94:95], off
	s_or_b64 exec, exec, s[30:31]
	s_and_b64 exec, exec, s[36:37]
	s_cbranch_execnz .LBB501_208
	s_branch .LBB501_209
.LBB501_276:
	s_and_saveexec_b64 s[36:37], s[28:29]
	s_cbranch_execnz .LBB501_332
; %bb.277:
	s_or_b64 exec, exec, s[36:37]
	s_and_saveexec_b64 s[28:29], s[26:27]
	s_cbranch_execnz .LBB501_333
.LBB501_278:
	s_or_b64 exec, exec, s[28:29]
	s_and_saveexec_b64 s[26:27], s[24:25]
	s_cbranch_execnz .LBB501_334
.LBB501_279:
	s_or_b64 exec, exec, s[26:27]
	s_and_saveexec_b64 s[24:25], s[22:23]
	s_cbranch_execnz .LBB501_335
.LBB501_280:
	s_or_b64 exec, exec, s[24:25]
	s_and_saveexec_b64 s[22:23], s[20:21]
	s_cbranch_execnz .LBB501_336
.LBB501_281:
	s_or_b64 exec, exec, s[22:23]
	s_and_saveexec_b64 s[20:21], s[18:19]
	s_cbranch_execnz .LBB501_337
.LBB501_282:
	s_or_b64 exec, exec, s[20:21]
	s_and_saveexec_b64 s[18:19], s[16:17]
	s_cbranch_execnz .LBB501_338
.LBB501_283:
	s_or_b64 exec, exec, s[18:19]
	s_and_saveexec_b64 s[16:17], s[14:15]
	s_cbranch_execnz .LBB501_339
.LBB501_284:
	s_or_b64 exec, exec, s[16:17]
	s_and_saveexec_b64 s[14:15], s[12:13]
	s_cbranch_execnz .LBB501_340
.LBB501_285:
	s_or_b64 exec, exec, s[14:15]
	s_and_saveexec_b64 s[12:13], s[10:11]
	s_cbranch_execnz .LBB501_341
.LBB501_286:
	s_or_b64 exec, exec, s[12:13]
	s_and_saveexec_b64 s[10:11], s[8:9]
	s_cbranch_execnz .LBB501_342
.LBB501_287:
	s_or_b64 exec, exec, s[10:11]
	s_and_saveexec_b64 s[8:9], s[6:7]
	s_cbranch_execnz .LBB501_343
.LBB501_288:
	s_or_b64 exec, exec, s[8:9]
	s_and_saveexec_b64 s[6:7], s[4:5]
	s_cbranch_execnz .LBB501_344
.LBB501_289:
	s_or_b64 exec, exec, s[6:7]
	s_and_saveexec_b64 s[4:5], s[2:3]
	s_cbranch_execz .LBB501_291
.LBB501_290:
	v_sub_u32_e32 v9, v39, v8
	v_lshlrev_b32_e32 v9, 3, v9
	ds_write_b64 v9, v[94:95]
.LBB501_291:
	s_or_b64 exec, exec, s[4:5]
	s_and_b64 s[36:37], s[0:1], exec
                                        ; implicit-def: $vgpr92_vgpr93
                                        ; implicit-def: $vgpr64_vgpr65
                                        ; implicit-def: $vgpr66_vgpr67
                                        ; implicit-def: $vgpr68_vgpr69
                                        ; implicit-def: $vgpr70_vgpr71
                                        ; implicit-def: $vgpr76_vgpr77
                                        ; implicit-def: $vgpr78_vgpr79
                                        ; implicit-def: $vgpr80_vgpr81
                                        ; implicit-def: $vgpr82_vgpr83
                                        ; implicit-def: $vgpr84_vgpr85
                                        ; implicit-def: $vgpr86_vgpr87
                                        ; implicit-def: $vgpr88_vgpr89
                                        ; implicit-def: $vgpr90_vgpr91
                                        ; implicit-def: $vgpr94_vgpr95
                                        ; implicit-def: $vgpr59
                                        ; implicit-def: $vgpr51
                                        ; implicit-def: $vgpr50
                                        ; implicit-def: $vgpr49
                                        ; implicit-def: $vgpr48
                                        ; implicit-def: $vgpr47
                                        ; implicit-def: $vgpr46
                                        ; implicit-def: $vgpr45
                                        ; implicit-def: $vgpr44
                                        ; implicit-def: $vgpr43
                                        ; implicit-def: $vgpr42
                                        ; implicit-def: $vgpr41
                                        ; implicit-def: $vgpr40
                                        ; implicit-def: $vgpr39
	s_andn2_saveexec_b64 s[0:1], s[34:35]
	s_cbranch_execz .LBB501_214
.LBB501_292:
	v_sub_u32_e32 v9, v59, v8
	v_lshlrev_b32_e32 v9, 3, v9
	ds_write_b64 v9, v[92:93]
	v_sub_u32_e32 v9, v51, v8
	v_lshlrev_b32_e32 v9, 3, v9
	ds_write_b64 v9, v[64:65]
	v_sub_u32_e32 v9, v50, v8
	v_lshlrev_b32_e32 v9, 3, v9
	ds_write_b64 v9, v[66:67]
	v_sub_u32_e32 v9, v49, v8
	v_lshlrev_b32_e32 v9, 3, v9
	ds_write_b64 v9, v[68:69]
	v_sub_u32_e32 v9, v48, v8
	v_lshlrev_b32_e32 v9, 3, v9
	ds_write_b64 v9, v[70:71]
	v_sub_u32_e32 v9, v47, v8
	v_lshlrev_b32_e32 v9, 3, v9
	ds_write_b64 v9, v[76:77]
	v_sub_u32_e32 v9, v46, v8
	v_lshlrev_b32_e32 v9, 3, v9
	ds_write_b64 v9, v[78:79]
	v_sub_u32_e32 v9, v45, v8
	v_lshlrev_b32_e32 v9, 3, v9
	ds_write_b64 v9, v[80:81]
	v_sub_u32_e32 v9, v44, v8
	v_lshlrev_b32_e32 v9, 3, v9
	ds_write_b64 v9, v[82:83]
	v_sub_u32_e32 v9, v43, v8
	v_lshlrev_b32_e32 v9, 3, v9
	ds_write_b64 v9, v[84:85]
	v_sub_u32_e32 v9, v42, v8
	v_lshlrev_b32_e32 v9, 3, v9
	ds_write_b64 v9, v[86:87]
	v_sub_u32_e32 v9, v41, v8
	v_lshlrev_b32_e32 v9, 3, v9
	ds_write_b64 v9, v[88:89]
	v_sub_u32_e32 v9, v40, v8
	v_lshlrev_b32_e32 v9, 3, v9
	ds_write_b64 v9, v[90:91]
	v_sub_u32_e32 v9, v39, v8
	v_lshlrev_b32_e32 v9, 3, v9
	s_or_b64 s[36:37], s[36:37], exec
	ds_write_b64 v9, v[94:95]
	s_or_b64 exec, exec, s[0:1]
	s_and_b64 exec, exec, s[36:37]
	s_cbranch_execnz .LBB501_215
	s_branch .LBB501_216
.LBB501_293:
	v_sub_u32_e32 v56, v59, v62
	v_mov_b32_e32 v57, 0
	v_lshlrev_b64 v[56:57], 3, v[56:57]
	v_add_co_u32_e32 v56, vcc, v52, v56
	v_addc_co_u32_e32 v57, vcc, v53, v57, vcc
	global_store_dwordx2 v[56:57], v[26:27], off
	s_or_b64 exec, exec, s[38:39]
	s_and_saveexec_b64 s[38:39], s[28:29]
	s_cbranch_execz .LBB501_227
.LBB501_294:
	v_sub_u32_e32 v56, v51, v62
	v_mov_b32_e32 v57, 0
	v_lshlrev_b64 v[56:57], 3, v[56:57]
	v_add_co_u32_e32 v56, vcc, v52, v56
	v_addc_co_u32_e32 v57, vcc, v53, v57, vcc
	global_store_dwordx2 v[56:57], v[28:29], off
	s_or_b64 exec, exec, s[38:39]
	s_and_saveexec_b64 s[38:39], s[26:27]
	s_cbranch_execz .LBB501_228
.LBB501_295:
	v_sub_u32_e32 v56, v50, v62
	v_mov_b32_e32 v57, 0
	v_lshlrev_b64 v[56:57], 3, v[56:57]
	v_add_co_u32_e32 v56, vcc, v52, v56
	v_addc_co_u32_e32 v57, vcc, v53, v57, vcc
	global_store_dwordx2 v[56:57], v[22:23], off
	s_or_b64 exec, exec, s[38:39]
	s_and_saveexec_b64 s[38:39], s[24:25]
	s_cbranch_execz .LBB501_229
.LBB501_296:
	v_sub_u32_e32 v56, v49, v62
	v_mov_b32_e32 v57, 0
	v_lshlrev_b64 v[56:57], 3, v[56:57]
	v_add_co_u32_e32 v56, vcc, v52, v56
	v_addc_co_u32_e32 v57, vcc, v53, v57, vcc
	global_store_dwordx2 v[56:57], v[24:25], off
	s_or_b64 exec, exec, s[38:39]
	s_and_saveexec_b64 s[38:39], s[22:23]
	s_cbranch_execz .LBB501_230
.LBB501_297:
	v_sub_u32_e32 v56, v48, v62
	v_mov_b32_e32 v57, 0
	v_lshlrev_b64 v[56:57], 3, v[56:57]
	v_add_co_u32_e32 v56, vcc, v52, v56
	v_addc_co_u32_e32 v57, vcc, v53, v57, vcc
	global_store_dwordx2 v[56:57], v[18:19], off
	s_or_b64 exec, exec, s[38:39]
	s_and_saveexec_b64 s[38:39], s[20:21]
	s_cbranch_execz .LBB501_231
.LBB501_298:
	v_sub_u32_e32 v56, v47, v62
	v_mov_b32_e32 v57, 0
	v_lshlrev_b64 v[56:57], 3, v[56:57]
	v_add_co_u32_e32 v56, vcc, v52, v56
	v_addc_co_u32_e32 v57, vcc, v53, v57, vcc
	global_store_dwordx2 v[56:57], v[20:21], off
	s_or_b64 exec, exec, s[38:39]
	s_and_saveexec_b64 s[38:39], s[18:19]
	s_cbranch_execz .LBB501_232
.LBB501_299:
	v_sub_u32_e32 v56, v46, v62
	v_mov_b32_e32 v57, 0
	v_lshlrev_b64 v[56:57], 3, v[56:57]
	v_add_co_u32_e32 v56, vcc, v52, v56
	v_addc_co_u32_e32 v57, vcc, v53, v57, vcc
	global_store_dwordx2 v[56:57], v[14:15], off
	s_or_b64 exec, exec, s[38:39]
	s_and_saveexec_b64 s[38:39], s[16:17]
	s_cbranch_execz .LBB501_233
.LBB501_300:
	v_sub_u32_e32 v56, v45, v62
	v_mov_b32_e32 v57, 0
	v_lshlrev_b64 v[56:57], 3, v[56:57]
	v_add_co_u32_e32 v56, vcc, v52, v56
	v_addc_co_u32_e32 v57, vcc, v53, v57, vcc
	global_store_dwordx2 v[56:57], v[16:17], off
	s_or_b64 exec, exec, s[38:39]
	s_and_saveexec_b64 s[38:39], s[14:15]
	s_cbranch_execz .LBB501_234
.LBB501_301:
	v_sub_u32_e32 v56, v44, v62
	v_mov_b32_e32 v57, 0
	v_lshlrev_b64 v[56:57], 3, v[56:57]
	v_add_co_u32_e32 v56, vcc, v52, v56
	v_addc_co_u32_e32 v57, vcc, v53, v57, vcc
	global_store_dwordx2 v[56:57], v[10:11], off
	s_or_b64 exec, exec, s[38:39]
	s_and_saveexec_b64 s[38:39], s[12:13]
	s_cbranch_execz .LBB501_235
.LBB501_302:
	v_sub_u32_e32 v56, v43, v62
	v_mov_b32_e32 v57, 0
	v_lshlrev_b64 v[56:57], 3, v[56:57]
	v_add_co_u32_e32 v56, vcc, v52, v56
	v_addc_co_u32_e32 v57, vcc, v53, v57, vcc
	global_store_dwordx2 v[56:57], v[12:13], off
	s_or_b64 exec, exec, s[38:39]
	s_and_saveexec_b64 s[38:39], s[10:11]
	s_cbranch_execz .LBB501_236
.LBB501_303:
	v_sub_u32_e32 v56, v42, v62
	v_mov_b32_e32 v57, 0
	v_lshlrev_b64 v[56:57], 3, v[56:57]
	v_add_co_u32_e32 v56, vcc, v52, v56
	v_addc_co_u32_e32 v57, vcc, v53, v57, vcc
	global_store_dwordx2 v[56:57], v[6:7], off
	s_or_b64 exec, exec, s[38:39]
	s_and_saveexec_b64 s[38:39], s[8:9]
	s_cbranch_execz .LBB501_237
.LBB501_304:
	v_sub_u32_e32 v56, v41, v62
	v_mov_b32_e32 v57, 0
	v_lshlrev_b64 v[56:57], 3, v[56:57]
	v_add_co_u32_e32 v56, vcc, v52, v56
	v_addc_co_u32_e32 v57, vcc, v53, v57, vcc
	global_store_dwordx2 v[56:57], v[8:9], off
	s_or_b64 exec, exec, s[38:39]
	s_and_saveexec_b64 s[38:39], s[6:7]
	s_cbranch_execz .LBB501_238
.LBB501_305:
	v_sub_u32_e32 v56, v40, v62
	v_mov_b32_e32 v57, 0
	v_lshlrev_b64 v[56:57], 3, v[56:57]
	v_add_co_u32_e32 v56, vcc, v52, v56
	v_addc_co_u32_e32 v57, vcc, v53, v57, vcc
	global_store_dwordx2 v[56:57], v[2:3], off
	s_or_b64 exec, exec, s[38:39]
	s_and_saveexec_b64 s[38:39], s[4:5]
	s_cbranch_execnz .LBB501_239
	s_branch .LBB501_240
.LBB501_306:
	v_sub_u32_e32 v54, v59, v62
	v_lshlrev_b32_e32 v54, 3, v54
	ds_write_b64 v54, v[26:27]
	s_or_b64 exec, exec, s[38:39]
	s_and_saveexec_b64 s[30:31], s[28:29]
	s_cbranch_execz .LBB501_244
.LBB501_307:
	v_sub_u32_e32 v26, v51, v62
	v_lshlrev_b32_e32 v26, 3, v26
	ds_write_b64 v26, v[28:29]
	s_or_b64 exec, exec, s[30:31]
	s_and_saveexec_b64 s[28:29], s[26:27]
	s_cbranch_execz .LBB501_245
.LBB501_308:
	v_sub_u32_e32 v26, v50, v62
	v_lshlrev_b32_e32 v26, 3, v26
	ds_write_b64 v26, v[22:23]
	s_or_b64 exec, exec, s[28:29]
	s_and_saveexec_b64 s[26:27], s[24:25]
	s_cbranch_execz .LBB501_246
.LBB501_309:
	v_sub_u32_e32 v22, v49, v62
	v_lshlrev_b32_e32 v22, 3, v22
	ds_write_b64 v22, v[24:25]
	s_or_b64 exec, exec, s[26:27]
	s_and_saveexec_b64 s[24:25], s[22:23]
	s_cbranch_execz .LBB501_247
.LBB501_310:
	v_sub_u32_e32 v22, v48, v62
	v_lshlrev_b32_e32 v22, 3, v22
	ds_write_b64 v22, v[18:19]
	s_or_b64 exec, exec, s[24:25]
	s_and_saveexec_b64 s[22:23], s[20:21]
	s_cbranch_execz .LBB501_248
.LBB501_311:
	v_sub_u32_e32 v18, v47, v62
	v_lshlrev_b32_e32 v18, 3, v18
	ds_write_b64 v18, v[20:21]
	s_or_b64 exec, exec, s[22:23]
	s_and_saveexec_b64 s[20:21], s[18:19]
	s_cbranch_execz .LBB501_249
.LBB501_312:
	v_sub_u32_e32 v18, v46, v62
	v_lshlrev_b32_e32 v18, 3, v18
	ds_write_b64 v18, v[14:15]
	s_or_b64 exec, exec, s[20:21]
	s_and_saveexec_b64 s[18:19], s[16:17]
	s_cbranch_execz .LBB501_250
.LBB501_313:
	v_sub_u32_e32 v14, v45, v62
	v_lshlrev_b32_e32 v14, 3, v14
	ds_write_b64 v14, v[16:17]
	s_or_b64 exec, exec, s[18:19]
	s_and_saveexec_b64 s[16:17], s[14:15]
	s_cbranch_execz .LBB501_251
.LBB501_314:
	v_sub_u32_e32 v14, v44, v62
	v_lshlrev_b32_e32 v14, 3, v14
	ds_write_b64 v14, v[10:11]
	s_or_b64 exec, exec, s[16:17]
	s_and_saveexec_b64 s[14:15], s[12:13]
	s_cbranch_execz .LBB501_252
.LBB501_315:
	v_sub_u32_e32 v10, v43, v62
	v_lshlrev_b32_e32 v10, 3, v10
	ds_write_b64 v10, v[12:13]
	s_or_b64 exec, exec, s[14:15]
	s_and_saveexec_b64 s[12:13], s[10:11]
	s_cbranch_execz .LBB501_253
.LBB501_316:
	v_sub_u32_e32 v10, v42, v62
	v_lshlrev_b32_e32 v10, 3, v10
	ds_write_b64 v10, v[6:7]
	s_or_b64 exec, exec, s[12:13]
	s_and_saveexec_b64 s[10:11], s[8:9]
	s_cbranch_execz .LBB501_254
.LBB501_317:
	v_sub_u32_e32 v6, v41, v62
	v_lshlrev_b32_e32 v6, 3, v6
	ds_write_b64 v6, v[8:9]
	s_or_b64 exec, exec, s[10:11]
	s_and_saveexec_b64 s[8:9], s[6:7]
	s_cbranch_execz .LBB501_255
.LBB501_318:
	v_sub_u32_e32 v6, v40, v62
	v_lshlrev_b32_e32 v6, 3, v6
	ds_write_b64 v6, v[2:3]
	s_or_b64 exec, exec, s[8:9]
	s_and_saveexec_b64 s[6:7], s[4:5]
	s_cbranch_execnz .LBB501_256
	s_branch .LBB501_257
.LBB501_319:
	v_sub_u32_e32 v10, v59, v8
	v_mov_b32_e32 v11, 0
	v_lshlrev_b64 v[10:11], 3, v[10:11]
	v_add_co_u32_e32 v10, vcc, v6, v10
	v_addc_co_u32_e32 v11, vcc, v7, v11, vcc
	global_store_dwordx2 v[10:11], v[92:93], off
	s_or_b64 exec, exec, s[36:37]
	s_and_saveexec_b64 s[36:37], s[26:27]
	s_cbranch_execz .LBB501_261
.LBB501_320:
	v_sub_u32_e32 v10, v51, v8
	v_mov_b32_e32 v11, 0
	v_lshlrev_b64 v[10:11], 3, v[10:11]
	v_add_co_u32_e32 v10, vcc, v6, v10
	v_addc_co_u32_e32 v11, vcc, v7, v11, vcc
	global_store_dwordx2 v[10:11], v[64:65], off
	s_or_b64 exec, exec, s[36:37]
	s_and_saveexec_b64 s[36:37], s[24:25]
	s_cbranch_execz .LBB501_262
.LBB501_321:
	v_sub_u32_e32 v10, v50, v8
	v_mov_b32_e32 v11, 0
	v_lshlrev_b64 v[10:11], 3, v[10:11]
	v_add_co_u32_e32 v10, vcc, v6, v10
	v_addc_co_u32_e32 v11, vcc, v7, v11, vcc
	global_store_dwordx2 v[10:11], v[66:67], off
	s_or_b64 exec, exec, s[36:37]
	s_and_saveexec_b64 s[36:37], s[22:23]
	s_cbranch_execz .LBB501_263
.LBB501_322:
	v_sub_u32_e32 v10, v49, v8
	v_mov_b32_e32 v11, 0
	v_lshlrev_b64 v[10:11], 3, v[10:11]
	v_add_co_u32_e32 v10, vcc, v6, v10
	v_addc_co_u32_e32 v11, vcc, v7, v11, vcc
	global_store_dwordx2 v[10:11], v[68:69], off
	s_or_b64 exec, exec, s[36:37]
	s_and_saveexec_b64 s[36:37], s[20:21]
	s_cbranch_execz .LBB501_264
.LBB501_323:
	v_sub_u32_e32 v10, v48, v8
	v_mov_b32_e32 v11, 0
	v_lshlrev_b64 v[10:11], 3, v[10:11]
	v_add_co_u32_e32 v10, vcc, v6, v10
	v_addc_co_u32_e32 v11, vcc, v7, v11, vcc
	global_store_dwordx2 v[10:11], v[70:71], off
	s_or_b64 exec, exec, s[36:37]
	s_and_saveexec_b64 s[36:37], s[18:19]
	s_cbranch_execz .LBB501_265
.LBB501_324:
	v_sub_u32_e32 v10, v47, v8
	v_mov_b32_e32 v11, 0
	v_lshlrev_b64 v[10:11], 3, v[10:11]
	v_add_co_u32_e32 v10, vcc, v6, v10
	v_addc_co_u32_e32 v11, vcc, v7, v11, vcc
	global_store_dwordx2 v[10:11], v[76:77], off
	s_or_b64 exec, exec, s[36:37]
	s_and_saveexec_b64 s[36:37], s[16:17]
	s_cbranch_execz .LBB501_266
.LBB501_325:
	v_sub_u32_e32 v10, v46, v8
	v_mov_b32_e32 v11, 0
	v_lshlrev_b64 v[10:11], 3, v[10:11]
	v_add_co_u32_e32 v10, vcc, v6, v10
	v_addc_co_u32_e32 v11, vcc, v7, v11, vcc
	global_store_dwordx2 v[10:11], v[78:79], off
	s_or_b64 exec, exec, s[36:37]
	s_and_saveexec_b64 s[36:37], s[14:15]
	s_cbranch_execz .LBB501_267
.LBB501_326:
	v_sub_u32_e32 v10, v45, v8
	v_mov_b32_e32 v11, 0
	v_lshlrev_b64 v[10:11], 3, v[10:11]
	v_add_co_u32_e32 v10, vcc, v6, v10
	v_addc_co_u32_e32 v11, vcc, v7, v11, vcc
	global_store_dwordx2 v[10:11], v[80:81], off
	s_or_b64 exec, exec, s[36:37]
	s_and_saveexec_b64 s[36:37], s[12:13]
	s_cbranch_execz .LBB501_268
.LBB501_327:
	v_sub_u32_e32 v10, v44, v8
	v_mov_b32_e32 v11, 0
	v_lshlrev_b64 v[10:11], 3, v[10:11]
	v_add_co_u32_e32 v10, vcc, v6, v10
	v_addc_co_u32_e32 v11, vcc, v7, v11, vcc
	global_store_dwordx2 v[10:11], v[82:83], off
	s_or_b64 exec, exec, s[36:37]
	s_and_saveexec_b64 s[36:37], s[10:11]
	s_cbranch_execz .LBB501_269
.LBB501_328:
	v_sub_u32_e32 v10, v43, v8
	v_mov_b32_e32 v11, 0
	v_lshlrev_b64 v[10:11], 3, v[10:11]
	v_add_co_u32_e32 v10, vcc, v6, v10
	v_addc_co_u32_e32 v11, vcc, v7, v11, vcc
	global_store_dwordx2 v[10:11], v[84:85], off
	s_or_b64 exec, exec, s[36:37]
	s_and_saveexec_b64 s[36:37], s[8:9]
	s_cbranch_execz .LBB501_270
.LBB501_329:
	v_sub_u32_e32 v10, v42, v8
	v_mov_b32_e32 v11, 0
	v_lshlrev_b64 v[10:11], 3, v[10:11]
	v_add_co_u32_e32 v10, vcc, v6, v10
	v_addc_co_u32_e32 v11, vcc, v7, v11, vcc
	global_store_dwordx2 v[10:11], v[86:87], off
	s_or_b64 exec, exec, s[36:37]
	s_and_saveexec_b64 s[36:37], s[6:7]
	s_cbranch_execz .LBB501_271
.LBB501_330:
	v_sub_u32_e32 v10, v41, v8
	v_mov_b32_e32 v11, 0
	v_lshlrev_b64 v[10:11], 3, v[10:11]
	v_add_co_u32_e32 v10, vcc, v6, v10
	v_addc_co_u32_e32 v11, vcc, v7, v11, vcc
	global_store_dwordx2 v[10:11], v[88:89], off
	s_or_b64 exec, exec, s[36:37]
	s_and_saveexec_b64 s[36:37], s[4:5]
	s_cbranch_execz .LBB501_272
.LBB501_331:
	v_sub_u32_e32 v10, v40, v8
	v_mov_b32_e32 v11, 0
	v_lshlrev_b64 v[10:11], 3, v[10:11]
	v_add_co_u32_e32 v10, vcc, v6, v10
	v_addc_co_u32_e32 v11, vcc, v7, v11, vcc
	global_store_dwordx2 v[10:11], v[90:91], off
	s_or_b64 exec, exec, s[36:37]
	s_and_saveexec_b64 s[36:37], s[2:3]
	s_cbranch_execnz .LBB501_273
	s_branch .LBB501_274
.LBB501_332:
	v_sub_u32_e32 v9, v59, v8
	v_lshlrev_b32_e32 v9, 3, v9
	ds_write_b64 v9, v[92:93]
	s_or_b64 exec, exec, s[36:37]
	s_and_saveexec_b64 s[28:29], s[26:27]
	s_cbranch_execz .LBB501_278
.LBB501_333:
	v_sub_u32_e32 v9, v51, v8
	v_lshlrev_b32_e32 v9, 3, v9
	ds_write_b64 v9, v[64:65]
	s_or_b64 exec, exec, s[28:29]
	s_and_saveexec_b64 s[26:27], s[24:25]
	s_cbranch_execz .LBB501_279
.LBB501_334:
	v_sub_u32_e32 v9, v50, v8
	v_lshlrev_b32_e32 v9, 3, v9
	ds_write_b64 v9, v[66:67]
	s_or_b64 exec, exec, s[26:27]
	s_and_saveexec_b64 s[24:25], s[22:23]
	s_cbranch_execz .LBB501_280
.LBB501_335:
	v_sub_u32_e32 v9, v49, v8
	v_lshlrev_b32_e32 v9, 3, v9
	ds_write_b64 v9, v[68:69]
	s_or_b64 exec, exec, s[24:25]
	s_and_saveexec_b64 s[22:23], s[20:21]
	s_cbranch_execz .LBB501_281
.LBB501_336:
	v_sub_u32_e32 v9, v48, v8
	v_lshlrev_b32_e32 v9, 3, v9
	ds_write_b64 v9, v[70:71]
	s_or_b64 exec, exec, s[22:23]
	s_and_saveexec_b64 s[20:21], s[18:19]
	s_cbranch_execz .LBB501_282
.LBB501_337:
	v_sub_u32_e32 v9, v47, v8
	v_lshlrev_b32_e32 v9, 3, v9
	ds_write_b64 v9, v[76:77]
	s_or_b64 exec, exec, s[20:21]
	s_and_saveexec_b64 s[18:19], s[16:17]
	s_cbranch_execz .LBB501_283
.LBB501_338:
	v_sub_u32_e32 v9, v46, v8
	v_lshlrev_b32_e32 v9, 3, v9
	ds_write_b64 v9, v[78:79]
	s_or_b64 exec, exec, s[18:19]
	s_and_saveexec_b64 s[16:17], s[14:15]
	s_cbranch_execz .LBB501_284
.LBB501_339:
	v_sub_u32_e32 v9, v45, v8
	v_lshlrev_b32_e32 v9, 3, v9
	ds_write_b64 v9, v[80:81]
	s_or_b64 exec, exec, s[16:17]
	s_and_saveexec_b64 s[14:15], s[12:13]
	s_cbranch_execz .LBB501_285
.LBB501_340:
	v_sub_u32_e32 v9, v44, v8
	v_lshlrev_b32_e32 v9, 3, v9
	ds_write_b64 v9, v[82:83]
	s_or_b64 exec, exec, s[14:15]
	s_and_saveexec_b64 s[12:13], s[10:11]
	s_cbranch_execz .LBB501_286
.LBB501_341:
	v_sub_u32_e32 v9, v43, v8
	v_lshlrev_b32_e32 v9, 3, v9
	ds_write_b64 v9, v[84:85]
	s_or_b64 exec, exec, s[12:13]
	s_and_saveexec_b64 s[10:11], s[8:9]
	s_cbranch_execz .LBB501_287
.LBB501_342:
	v_sub_u32_e32 v9, v42, v8
	v_lshlrev_b32_e32 v9, 3, v9
	ds_write_b64 v9, v[86:87]
	s_or_b64 exec, exec, s[10:11]
	s_and_saveexec_b64 s[8:9], s[6:7]
	s_cbranch_execz .LBB501_288
.LBB501_343:
	v_sub_u32_e32 v9, v41, v8
	v_lshlrev_b32_e32 v9, 3, v9
	ds_write_b64 v9, v[88:89]
	s_or_b64 exec, exec, s[8:9]
	s_and_saveexec_b64 s[6:7], s[4:5]
	s_cbranch_execz .LBB501_289
.LBB501_344:
	v_sub_u32_e32 v9, v40, v8
	v_lshlrev_b32_e32 v9, 3, v9
	ds_write_b64 v9, v[90:91]
	s_or_b64 exec, exec, s[6:7]
	s_and_saveexec_b64 s[4:5], s[2:3]
	s_cbranch_execnz .LBB501_290
	s_branch .LBB501_291
	.section	.rodata,"a",@progbits
	.p2align	6, 0x0
	.amdhsa_kernel _ZN7rocprim17ROCPRIM_400000_NS6detail17trampoline_kernelINS0_14default_configENS1_29reduce_by_key_config_selectorIxxN6thrust23THRUST_200600_302600_NS4plusIxEEEEZZNS1_33reduce_by_key_impl_wrapped_configILNS1_25lookback_scan_determinismE0ES3_S9_NS6_6detail15normal_iteratorINS6_10device_ptrIxEEEESG_SG_SG_PmS8_NS6_8equal_toIxEEEE10hipError_tPvRmT2_T3_mT4_T5_T6_T7_T8_P12ihipStream_tbENKUlT_T0_E_clISt17integral_constantIbLb0EES10_IbLb1EEEEDaSW_SX_EUlSW_E_NS1_11comp_targetILNS1_3genE4ELNS1_11target_archE910ELNS1_3gpuE8ELNS1_3repE0EEENS1_30default_config_static_selectorELNS0_4arch9wavefront6targetE1EEEvT1_
		.amdhsa_group_segment_fixed_size 30720
		.amdhsa_private_segment_fixed_size 0
		.amdhsa_kernarg_size 136
		.amdhsa_user_sgpr_count 6
		.amdhsa_user_sgpr_private_segment_buffer 1
		.amdhsa_user_sgpr_dispatch_ptr 0
		.amdhsa_user_sgpr_queue_ptr 0
		.amdhsa_user_sgpr_kernarg_segment_ptr 1
		.amdhsa_user_sgpr_dispatch_id 0
		.amdhsa_user_sgpr_flat_scratch_init 0
		.amdhsa_user_sgpr_kernarg_preload_length 0
		.amdhsa_user_sgpr_kernarg_preload_offset 0
		.amdhsa_user_sgpr_private_segment_size 0
		.amdhsa_uses_dynamic_stack 0
		.amdhsa_system_sgpr_private_segment_wavefront_offset 0
		.amdhsa_system_sgpr_workgroup_id_x 1
		.amdhsa_system_sgpr_workgroup_id_y 0
		.amdhsa_system_sgpr_workgroup_id_z 0
		.amdhsa_system_sgpr_workgroup_info 0
		.amdhsa_system_vgpr_workitem_id 0
		.amdhsa_next_free_vgpr 118
		.amdhsa_next_free_sgpr 66
		.amdhsa_accum_offset 120
		.amdhsa_reserve_vcc 1
		.amdhsa_reserve_flat_scratch 0
		.amdhsa_float_round_mode_32 0
		.amdhsa_float_round_mode_16_64 0
		.amdhsa_float_denorm_mode_32 3
		.amdhsa_float_denorm_mode_16_64 3
		.amdhsa_dx10_clamp 1
		.amdhsa_ieee_mode 1
		.amdhsa_fp16_overflow 0
		.amdhsa_tg_split 0
		.amdhsa_exception_fp_ieee_invalid_op 0
		.amdhsa_exception_fp_denorm_src 0
		.amdhsa_exception_fp_ieee_div_zero 0
		.amdhsa_exception_fp_ieee_overflow 0
		.amdhsa_exception_fp_ieee_underflow 0
		.amdhsa_exception_fp_ieee_inexact 0
		.amdhsa_exception_int_div_zero 0
	.end_amdhsa_kernel
	.section	.text._ZN7rocprim17ROCPRIM_400000_NS6detail17trampoline_kernelINS0_14default_configENS1_29reduce_by_key_config_selectorIxxN6thrust23THRUST_200600_302600_NS4plusIxEEEEZZNS1_33reduce_by_key_impl_wrapped_configILNS1_25lookback_scan_determinismE0ES3_S9_NS6_6detail15normal_iteratorINS6_10device_ptrIxEEEESG_SG_SG_PmS8_NS6_8equal_toIxEEEE10hipError_tPvRmT2_T3_mT4_T5_T6_T7_T8_P12ihipStream_tbENKUlT_T0_E_clISt17integral_constantIbLb0EES10_IbLb1EEEEDaSW_SX_EUlSW_E_NS1_11comp_targetILNS1_3genE4ELNS1_11target_archE910ELNS1_3gpuE8ELNS1_3repE0EEENS1_30default_config_static_selectorELNS0_4arch9wavefront6targetE1EEEvT1_,"axG",@progbits,_ZN7rocprim17ROCPRIM_400000_NS6detail17trampoline_kernelINS0_14default_configENS1_29reduce_by_key_config_selectorIxxN6thrust23THRUST_200600_302600_NS4plusIxEEEEZZNS1_33reduce_by_key_impl_wrapped_configILNS1_25lookback_scan_determinismE0ES3_S9_NS6_6detail15normal_iteratorINS6_10device_ptrIxEEEESG_SG_SG_PmS8_NS6_8equal_toIxEEEE10hipError_tPvRmT2_T3_mT4_T5_T6_T7_T8_P12ihipStream_tbENKUlT_T0_E_clISt17integral_constantIbLb0EES10_IbLb1EEEEDaSW_SX_EUlSW_E_NS1_11comp_targetILNS1_3genE4ELNS1_11target_archE910ELNS1_3gpuE8ELNS1_3repE0EEENS1_30default_config_static_selectorELNS0_4arch9wavefront6targetE1EEEvT1_,comdat
.Lfunc_end501:
	.size	_ZN7rocprim17ROCPRIM_400000_NS6detail17trampoline_kernelINS0_14default_configENS1_29reduce_by_key_config_selectorIxxN6thrust23THRUST_200600_302600_NS4plusIxEEEEZZNS1_33reduce_by_key_impl_wrapped_configILNS1_25lookback_scan_determinismE0ES3_S9_NS6_6detail15normal_iteratorINS6_10device_ptrIxEEEESG_SG_SG_PmS8_NS6_8equal_toIxEEEE10hipError_tPvRmT2_T3_mT4_T5_T6_T7_T8_P12ihipStream_tbENKUlT_T0_E_clISt17integral_constantIbLb0EES10_IbLb1EEEEDaSW_SX_EUlSW_E_NS1_11comp_targetILNS1_3genE4ELNS1_11target_archE910ELNS1_3gpuE8ELNS1_3repE0EEENS1_30default_config_static_selectorELNS0_4arch9wavefront6targetE1EEEvT1_, .Lfunc_end501-_ZN7rocprim17ROCPRIM_400000_NS6detail17trampoline_kernelINS0_14default_configENS1_29reduce_by_key_config_selectorIxxN6thrust23THRUST_200600_302600_NS4plusIxEEEEZZNS1_33reduce_by_key_impl_wrapped_configILNS1_25lookback_scan_determinismE0ES3_S9_NS6_6detail15normal_iteratorINS6_10device_ptrIxEEEESG_SG_SG_PmS8_NS6_8equal_toIxEEEE10hipError_tPvRmT2_T3_mT4_T5_T6_T7_T8_P12ihipStream_tbENKUlT_T0_E_clISt17integral_constantIbLb0EES10_IbLb1EEEEDaSW_SX_EUlSW_E_NS1_11comp_targetILNS1_3genE4ELNS1_11target_archE910ELNS1_3gpuE8ELNS1_3repE0EEENS1_30default_config_static_selectorELNS0_4arch9wavefront6targetE1EEEvT1_
                                        ; -- End function
	.section	.AMDGPU.csdata,"",@progbits
; Kernel info:
; codeLenInByte = 16756
; NumSgprs: 70
; NumVgprs: 118
; NumAgprs: 0
; TotalNumVgprs: 118
; ScratchSize: 0
; MemoryBound: 0
; FloatMode: 240
; IeeeMode: 1
; LDSByteSize: 30720 bytes/workgroup (compile time only)
; SGPRBlocks: 8
; VGPRBlocks: 14
; NumSGPRsForWavesPerEU: 70
; NumVGPRsForWavesPerEU: 118
; AccumOffset: 120
; Occupancy: 2
; WaveLimiterHint : 1
; COMPUTE_PGM_RSRC2:SCRATCH_EN: 0
; COMPUTE_PGM_RSRC2:USER_SGPR: 6
; COMPUTE_PGM_RSRC2:TRAP_HANDLER: 0
; COMPUTE_PGM_RSRC2:TGID_X_EN: 1
; COMPUTE_PGM_RSRC2:TGID_Y_EN: 0
; COMPUTE_PGM_RSRC2:TGID_Z_EN: 0
; COMPUTE_PGM_RSRC2:TIDIG_COMP_CNT: 0
; COMPUTE_PGM_RSRC3_GFX90A:ACCUM_OFFSET: 29
; COMPUTE_PGM_RSRC3_GFX90A:TG_SPLIT: 0
	.section	.text._ZN7rocprim17ROCPRIM_400000_NS6detail17trampoline_kernelINS0_14default_configENS1_29reduce_by_key_config_selectorIxxN6thrust23THRUST_200600_302600_NS4plusIxEEEEZZNS1_33reduce_by_key_impl_wrapped_configILNS1_25lookback_scan_determinismE0ES3_S9_NS6_6detail15normal_iteratorINS6_10device_ptrIxEEEESG_SG_SG_PmS8_NS6_8equal_toIxEEEE10hipError_tPvRmT2_T3_mT4_T5_T6_T7_T8_P12ihipStream_tbENKUlT_T0_E_clISt17integral_constantIbLb0EES10_IbLb1EEEEDaSW_SX_EUlSW_E_NS1_11comp_targetILNS1_3genE3ELNS1_11target_archE908ELNS1_3gpuE7ELNS1_3repE0EEENS1_30default_config_static_selectorELNS0_4arch9wavefront6targetE1EEEvT1_,"axG",@progbits,_ZN7rocprim17ROCPRIM_400000_NS6detail17trampoline_kernelINS0_14default_configENS1_29reduce_by_key_config_selectorIxxN6thrust23THRUST_200600_302600_NS4plusIxEEEEZZNS1_33reduce_by_key_impl_wrapped_configILNS1_25lookback_scan_determinismE0ES3_S9_NS6_6detail15normal_iteratorINS6_10device_ptrIxEEEESG_SG_SG_PmS8_NS6_8equal_toIxEEEE10hipError_tPvRmT2_T3_mT4_T5_T6_T7_T8_P12ihipStream_tbENKUlT_T0_E_clISt17integral_constantIbLb0EES10_IbLb1EEEEDaSW_SX_EUlSW_E_NS1_11comp_targetILNS1_3genE3ELNS1_11target_archE908ELNS1_3gpuE7ELNS1_3repE0EEENS1_30default_config_static_selectorELNS0_4arch9wavefront6targetE1EEEvT1_,comdat
	.protected	_ZN7rocprim17ROCPRIM_400000_NS6detail17trampoline_kernelINS0_14default_configENS1_29reduce_by_key_config_selectorIxxN6thrust23THRUST_200600_302600_NS4plusIxEEEEZZNS1_33reduce_by_key_impl_wrapped_configILNS1_25lookback_scan_determinismE0ES3_S9_NS6_6detail15normal_iteratorINS6_10device_ptrIxEEEESG_SG_SG_PmS8_NS6_8equal_toIxEEEE10hipError_tPvRmT2_T3_mT4_T5_T6_T7_T8_P12ihipStream_tbENKUlT_T0_E_clISt17integral_constantIbLb0EES10_IbLb1EEEEDaSW_SX_EUlSW_E_NS1_11comp_targetILNS1_3genE3ELNS1_11target_archE908ELNS1_3gpuE7ELNS1_3repE0EEENS1_30default_config_static_selectorELNS0_4arch9wavefront6targetE1EEEvT1_ ; -- Begin function _ZN7rocprim17ROCPRIM_400000_NS6detail17trampoline_kernelINS0_14default_configENS1_29reduce_by_key_config_selectorIxxN6thrust23THRUST_200600_302600_NS4plusIxEEEEZZNS1_33reduce_by_key_impl_wrapped_configILNS1_25lookback_scan_determinismE0ES3_S9_NS6_6detail15normal_iteratorINS6_10device_ptrIxEEEESG_SG_SG_PmS8_NS6_8equal_toIxEEEE10hipError_tPvRmT2_T3_mT4_T5_T6_T7_T8_P12ihipStream_tbENKUlT_T0_E_clISt17integral_constantIbLb0EES10_IbLb1EEEEDaSW_SX_EUlSW_E_NS1_11comp_targetILNS1_3genE3ELNS1_11target_archE908ELNS1_3gpuE7ELNS1_3repE0EEENS1_30default_config_static_selectorELNS0_4arch9wavefront6targetE1EEEvT1_
	.globl	_ZN7rocprim17ROCPRIM_400000_NS6detail17trampoline_kernelINS0_14default_configENS1_29reduce_by_key_config_selectorIxxN6thrust23THRUST_200600_302600_NS4plusIxEEEEZZNS1_33reduce_by_key_impl_wrapped_configILNS1_25lookback_scan_determinismE0ES3_S9_NS6_6detail15normal_iteratorINS6_10device_ptrIxEEEESG_SG_SG_PmS8_NS6_8equal_toIxEEEE10hipError_tPvRmT2_T3_mT4_T5_T6_T7_T8_P12ihipStream_tbENKUlT_T0_E_clISt17integral_constantIbLb0EES10_IbLb1EEEEDaSW_SX_EUlSW_E_NS1_11comp_targetILNS1_3genE3ELNS1_11target_archE908ELNS1_3gpuE7ELNS1_3repE0EEENS1_30default_config_static_selectorELNS0_4arch9wavefront6targetE1EEEvT1_
	.p2align	8
	.type	_ZN7rocprim17ROCPRIM_400000_NS6detail17trampoline_kernelINS0_14default_configENS1_29reduce_by_key_config_selectorIxxN6thrust23THRUST_200600_302600_NS4plusIxEEEEZZNS1_33reduce_by_key_impl_wrapped_configILNS1_25lookback_scan_determinismE0ES3_S9_NS6_6detail15normal_iteratorINS6_10device_ptrIxEEEESG_SG_SG_PmS8_NS6_8equal_toIxEEEE10hipError_tPvRmT2_T3_mT4_T5_T6_T7_T8_P12ihipStream_tbENKUlT_T0_E_clISt17integral_constantIbLb0EES10_IbLb1EEEEDaSW_SX_EUlSW_E_NS1_11comp_targetILNS1_3genE3ELNS1_11target_archE908ELNS1_3gpuE7ELNS1_3repE0EEENS1_30default_config_static_selectorELNS0_4arch9wavefront6targetE1EEEvT1_,@function
_ZN7rocprim17ROCPRIM_400000_NS6detail17trampoline_kernelINS0_14default_configENS1_29reduce_by_key_config_selectorIxxN6thrust23THRUST_200600_302600_NS4plusIxEEEEZZNS1_33reduce_by_key_impl_wrapped_configILNS1_25lookback_scan_determinismE0ES3_S9_NS6_6detail15normal_iteratorINS6_10device_ptrIxEEEESG_SG_SG_PmS8_NS6_8equal_toIxEEEE10hipError_tPvRmT2_T3_mT4_T5_T6_T7_T8_P12ihipStream_tbENKUlT_T0_E_clISt17integral_constantIbLb0EES10_IbLb1EEEEDaSW_SX_EUlSW_E_NS1_11comp_targetILNS1_3genE3ELNS1_11target_archE908ELNS1_3gpuE7ELNS1_3repE0EEENS1_30default_config_static_selectorELNS0_4arch9wavefront6targetE1EEEvT1_: ; @_ZN7rocprim17ROCPRIM_400000_NS6detail17trampoline_kernelINS0_14default_configENS1_29reduce_by_key_config_selectorIxxN6thrust23THRUST_200600_302600_NS4plusIxEEEEZZNS1_33reduce_by_key_impl_wrapped_configILNS1_25lookback_scan_determinismE0ES3_S9_NS6_6detail15normal_iteratorINS6_10device_ptrIxEEEESG_SG_SG_PmS8_NS6_8equal_toIxEEEE10hipError_tPvRmT2_T3_mT4_T5_T6_T7_T8_P12ihipStream_tbENKUlT_T0_E_clISt17integral_constantIbLb0EES10_IbLb1EEEEDaSW_SX_EUlSW_E_NS1_11comp_targetILNS1_3genE3ELNS1_11target_archE908ELNS1_3gpuE7ELNS1_3repE0EEENS1_30default_config_static_selectorELNS0_4arch9wavefront6targetE1EEEvT1_
; %bb.0:
	.section	.rodata,"a",@progbits
	.p2align	6, 0x0
	.amdhsa_kernel _ZN7rocprim17ROCPRIM_400000_NS6detail17trampoline_kernelINS0_14default_configENS1_29reduce_by_key_config_selectorIxxN6thrust23THRUST_200600_302600_NS4plusIxEEEEZZNS1_33reduce_by_key_impl_wrapped_configILNS1_25lookback_scan_determinismE0ES3_S9_NS6_6detail15normal_iteratorINS6_10device_ptrIxEEEESG_SG_SG_PmS8_NS6_8equal_toIxEEEE10hipError_tPvRmT2_T3_mT4_T5_T6_T7_T8_P12ihipStream_tbENKUlT_T0_E_clISt17integral_constantIbLb0EES10_IbLb1EEEEDaSW_SX_EUlSW_E_NS1_11comp_targetILNS1_3genE3ELNS1_11target_archE908ELNS1_3gpuE7ELNS1_3repE0EEENS1_30default_config_static_selectorELNS0_4arch9wavefront6targetE1EEEvT1_
		.amdhsa_group_segment_fixed_size 0
		.amdhsa_private_segment_fixed_size 0
		.amdhsa_kernarg_size 136
		.amdhsa_user_sgpr_count 6
		.amdhsa_user_sgpr_private_segment_buffer 1
		.amdhsa_user_sgpr_dispatch_ptr 0
		.amdhsa_user_sgpr_queue_ptr 0
		.amdhsa_user_sgpr_kernarg_segment_ptr 1
		.amdhsa_user_sgpr_dispatch_id 0
		.amdhsa_user_sgpr_flat_scratch_init 0
		.amdhsa_user_sgpr_kernarg_preload_length 0
		.amdhsa_user_sgpr_kernarg_preload_offset 0
		.amdhsa_user_sgpr_private_segment_size 0
		.amdhsa_uses_dynamic_stack 0
		.amdhsa_system_sgpr_private_segment_wavefront_offset 0
		.amdhsa_system_sgpr_workgroup_id_x 1
		.amdhsa_system_sgpr_workgroup_id_y 0
		.amdhsa_system_sgpr_workgroup_id_z 0
		.amdhsa_system_sgpr_workgroup_info 0
		.amdhsa_system_vgpr_workitem_id 0
		.amdhsa_next_free_vgpr 1
		.amdhsa_next_free_sgpr 0
		.amdhsa_accum_offset 4
		.amdhsa_reserve_vcc 0
		.amdhsa_reserve_flat_scratch 0
		.amdhsa_float_round_mode_32 0
		.amdhsa_float_round_mode_16_64 0
		.amdhsa_float_denorm_mode_32 3
		.amdhsa_float_denorm_mode_16_64 3
		.amdhsa_dx10_clamp 1
		.amdhsa_ieee_mode 1
		.amdhsa_fp16_overflow 0
		.amdhsa_tg_split 0
		.amdhsa_exception_fp_ieee_invalid_op 0
		.amdhsa_exception_fp_denorm_src 0
		.amdhsa_exception_fp_ieee_div_zero 0
		.amdhsa_exception_fp_ieee_overflow 0
		.amdhsa_exception_fp_ieee_underflow 0
		.amdhsa_exception_fp_ieee_inexact 0
		.amdhsa_exception_int_div_zero 0
	.end_amdhsa_kernel
	.section	.text._ZN7rocprim17ROCPRIM_400000_NS6detail17trampoline_kernelINS0_14default_configENS1_29reduce_by_key_config_selectorIxxN6thrust23THRUST_200600_302600_NS4plusIxEEEEZZNS1_33reduce_by_key_impl_wrapped_configILNS1_25lookback_scan_determinismE0ES3_S9_NS6_6detail15normal_iteratorINS6_10device_ptrIxEEEESG_SG_SG_PmS8_NS6_8equal_toIxEEEE10hipError_tPvRmT2_T3_mT4_T5_T6_T7_T8_P12ihipStream_tbENKUlT_T0_E_clISt17integral_constantIbLb0EES10_IbLb1EEEEDaSW_SX_EUlSW_E_NS1_11comp_targetILNS1_3genE3ELNS1_11target_archE908ELNS1_3gpuE7ELNS1_3repE0EEENS1_30default_config_static_selectorELNS0_4arch9wavefront6targetE1EEEvT1_,"axG",@progbits,_ZN7rocprim17ROCPRIM_400000_NS6detail17trampoline_kernelINS0_14default_configENS1_29reduce_by_key_config_selectorIxxN6thrust23THRUST_200600_302600_NS4plusIxEEEEZZNS1_33reduce_by_key_impl_wrapped_configILNS1_25lookback_scan_determinismE0ES3_S9_NS6_6detail15normal_iteratorINS6_10device_ptrIxEEEESG_SG_SG_PmS8_NS6_8equal_toIxEEEE10hipError_tPvRmT2_T3_mT4_T5_T6_T7_T8_P12ihipStream_tbENKUlT_T0_E_clISt17integral_constantIbLb0EES10_IbLb1EEEEDaSW_SX_EUlSW_E_NS1_11comp_targetILNS1_3genE3ELNS1_11target_archE908ELNS1_3gpuE7ELNS1_3repE0EEENS1_30default_config_static_selectorELNS0_4arch9wavefront6targetE1EEEvT1_,comdat
.Lfunc_end502:
	.size	_ZN7rocprim17ROCPRIM_400000_NS6detail17trampoline_kernelINS0_14default_configENS1_29reduce_by_key_config_selectorIxxN6thrust23THRUST_200600_302600_NS4plusIxEEEEZZNS1_33reduce_by_key_impl_wrapped_configILNS1_25lookback_scan_determinismE0ES3_S9_NS6_6detail15normal_iteratorINS6_10device_ptrIxEEEESG_SG_SG_PmS8_NS6_8equal_toIxEEEE10hipError_tPvRmT2_T3_mT4_T5_T6_T7_T8_P12ihipStream_tbENKUlT_T0_E_clISt17integral_constantIbLb0EES10_IbLb1EEEEDaSW_SX_EUlSW_E_NS1_11comp_targetILNS1_3genE3ELNS1_11target_archE908ELNS1_3gpuE7ELNS1_3repE0EEENS1_30default_config_static_selectorELNS0_4arch9wavefront6targetE1EEEvT1_, .Lfunc_end502-_ZN7rocprim17ROCPRIM_400000_NS6detail17trampoline_kernelINS0_14default_configENS1_29reduce_by_key_config_selectorIxxN6thrust23THRUST_200600_302600_NS4plusIxEEEEZZNS1_33reduce_by_key_impl_wrapped_configILNS1_25lookback_scan_determinismE0ES3_S9_NS6_6detail15normal_iteratorINS6_10device_ptrIxEEEESG_SG_SG_PmS8_NS6_8equal_toIxEEEE10hipError_tPvRmT2_T3_mT4_T5_T6_T7_T8_P12ihipStream_tbENKUlT_T0_E_clISt17integral_constantIbLb0EES10_IbLb1EEEEDaSW_SX_EUlSW_E_NS1_11comp_targetILNS1_3genE3ELNS1_11target_archE908ELNS1_3gpuE7ELNS1_3repE0EEENS1_30default_config_static_selectorELNS0_4arch9wavefront6targetE1EEEvT1_
                                        ; -- End function
	.section	.AMDGPU.csdata,"",@progbits
; Kernel info:
; codeLenInByte = 0
; NumSgprs: 4
; NumVgprs: 0
; NumAgprs: 0
; TotalNumVgprs: 0
; ScratchSize: 0
; MemoryBound: 0
; FloatMode: 240
; IeeeMode: 1
; LDSByteSize: 0 bytes/workgroup (compile time only)
; SGPRBlocks: 0
; VGPRBlocks: 0
; NumSGPRsForWavesPerEU: 4
; NumVGPRsForWavesPerEU: 1
; AccumOffset: 4
; Occupancy: 8
; WaveLimiterHint : 0
; COMPUTE_PGM_RSRC2:SCRATCH_EN: 0
; COMPUTE_PGM_RSRC2:USER_SGPR: 6
; COMPUTE_PGM_RSRC2:TRAP_HANDLER: 0
; COMPUTE_PGM_RSRC2:TGID_X_EN: 1
; COMPUTE_PGM_RSRC2:TGID_Y_EN: 0
; COMPUTE_PGM_RSRC2:TGID_Z_EN: 0
; COMPUTE_PGM_RSRC2:TIDIG_COMP_CNT: 0
; COMPUTE_PGM_RSRC3_GFX90A:ACCUM_OFFSET: 0
; COMPUTE_PGM_RSRC3_GFX90A:TG_SPLIT: 0
	.section	.text._ZN7rocprim17ROCPRIM_400000_NS6detail17trampoline_kernelINS0_14default_configENS1_29reduce_by_key_config_selectorIxxN6thrust23THRUST_200600_302600_NS4plusIxEEEEZZNS1_33reduce_by_key_impl_wrapped_configILNS1_25lookback_scan_determinismE0ES3_S9_NS6_6detail15normal_iteratorINS6_10device_ptrIxEEEESG_SG_SG_PmS8_NS6_8equal_toIxEEEE10hipError_tPvRmT2_T3_mT4_T5_T6_T7_T8_P12ihipStream_tbENKUlT_T0_E_clISt17integral_constantIbLb0EES10_IbLb1EEEEDaSW_SX_EUlSW_E_NS1_11comp_targetILNS1_3genE2ELNS1_11target_archE906ELNS1_3gpuE6ELNS1_3repE0EEENS1_30default_config_static_selectorELNS0_4arch9wavefront6targetE1EEEvT1_,"axG",@progbits,_ZN7rocprim17ROCPRIM_400000_NS6detail17trampoline_kernelINS0_14default_configENS1_29reduce_by_key_config_selectorIxxN6thrust23THRUST_200600_302600_NS4plusIxEEEEZZNS1_33reduce_by_key_impl_wrapped_configILNS1_25lookback_scan_determinismE0ES3_S9_NS6_6detail15normal_iteratorINS6_10device_ptrIxEEEESG_SG_SG_PmS8_NS6_8equal_toIxEEEE10hipError_tPvRmT2_T3_mT4_T5_T6_T7_T8_P12ihipStream_tbENKUlT_T0_E_clISt17integral_constantIbLb0EES10_IbLb1EEEEDaSW_SX_EUlSW_E_NS1_11comp_targetILNS1_3genE2ELNS1_11target_archE906ELNS1_3gpuE6ELNS1_3repE0EEENS1_30default_config_static_selectorELNS0_4arch9wavefront6targetE1EEEvT1_,comdat
	.protected	_ZN7rocprim17ROCPRIM_400000_NS6detail17trampoline_kernelINS0_14default_configENS1_29reduce_by_key_config_selectorIxxN6thrust23THRUST_200600_302600_NS4plusIxEEEEZZNS1_33reduce_by_key_impl_wrapped_configILNS1_25lookback_scan_determinismE0ES3_S9_NS6_6detail15normal_iteratorINS6_10device_ptrIxEEEESG_SG_SG_PmS8_NS6_8equal_toIxEEEE10hipError_tPvRmT2_T3_mT4_T5_T6_T7_T8_P12ihipStream_tbENKUlT_T0_E_clISt17integral_constantIbLb0EES10_IbLb1EEEEDaSW_SX_EUlSW_E_NS1_11comp_targetILNS1_3genE2ELNS1_11target_archE906ELNS1_3gpuE6ELNS1_3repE0EEENS1_30default_config_static_selectorELNS0_4arch9wavefront6targetE1EEEvT1_ ; -- Begin function _ZN7rocprim17ROCPRIM_400000_NS6detail17trampoline_kernelINS0_14default_configENS1_29reduce_by_key_config_selectorIxxN6thrust23THRUST_200600_302600_NS4plusIxEEEEZZNS1_33reduce_by_key_impl_wrapped_configILNS1_25lookback_scan_determinismE0ES3_S9_NS6_6detail15normal_iteratorINS6_10device_ptrIxEEEESG_SG_SG_PmS8_NS6_8equal_toIxEEEE10hipError_tPvRmT2_T3_mT4_T5_T6_T7_T8_P12ihipStream_tbENKUlT_T0_E_clISt17integral_constantIbLb0EES10_IbLb1EEEEDaSW_SX_EUlSW_E_NS1_11comp_targetILNS1_3genE2ELNS1_11target_archE906ELNS1_3gpuE6ELNS1_3repE0EEENS1_30default_config_static_selectorELNS0_4arch9wavefront6targetE1EEEvT1_
	.globl	_ZN7rocprim17ROCPRIM_400000_NS6detail17trampoline_kernelINS0_14default_configENS1_29reduce_by_key_config_selectorIxxN6thrust23THRUST_200600_302600_NS4plusIxEEEEZZNS1_33reduce_by_key_impl_wrapped_configILNS1_25lookback_scan_determinismE0ES3_S9_NS6_6detail15normal_iteratorINS6_10device_ptrIxEEEESG_SG_SG_PmS8_NS6_8equal_toIxEEEE10hipError_tPvRmT2_T3_mT4_T5_T6_T7_T8_P12ihipStream_tbENKUlT_T0_E_clISt17integral_constantIbLb0EES10_IbLb1EEEEDaSW_SX_EUlSW_E_NS1_11comp_targetILNS1_3genE2ELNS1_11target_archE906ELNS1_3gpuE6ELNS1_3repE0EEENS1_30default_config_static_selectorELNS0_4arch9wavefront6targetE1EEEvT1_
	.p2align	8
	.type	_ZN7rocprim17ROCPRIM_400000_NS6detail17trampoline_kernelINS0_14default_configENS1_29reduce_by_key_config_selectorIxxN6thrust23THRUST_200600_302600_NS4plusIxEEEEZZNS1_33reduce_by_key_impl_wrapped_configILNS1_25lookback_scan_determinismE0ES3_S9_NS6_6detail15normal_iteratorINS6_10device_ptrIxEEEESG_SG_SG_PmS8_NS6_8equal_toIxEEEE10hipError_tPvRmT2_T3_mT4_T5_T6_T7_T8_P12ihipStream_tbENKUlT_T0_E_clISt17integral_constantIbLb0EES10_IbLb1EEEEDaSW_SX_EUlSW_E_NS1_11comp_targetILNS1_3genE2ELNS1_11target_archE906ELNS1_3gpuE6ELNS1_3repE0EEENS1_30default_config_static_selectorELNS0_4arch9wavefront6targetE1EEEvT1_,@function
_ZN7rocprim17ROCPRIM_400000_NS6detail17trampoline_kernelINS0_14default_configENS1_29reduce_by_key_config_selectorIxxN6thrust23THRUST_200600_302600_NS4plusIxEEEEZZNS1_33reduce_by_key_impl_wrapped_configILNS1_25lookback_scan_determinismE0ES3_S9_NS6_6detail15normal_iteratorINS6_10device_ptrIxEEEESG_SG_SG_PmS8_NS6_8equal_toIxEEEE10hipError_tPvRmT2_T3_mT4_T5_T6_T7_T8_P12ihipStream_tbENKUlT_T0_E_clISt17integral_constantIbLb0EES10_IbLb1EEEEDaSW_SX_EUlSW_E_NS1_11comp_targetILNS1_3genE2ELNS1_11target_archE906ELNS1_3gpuE6ELNS1_3repE0EEENS1_30default_config_static_selectorELNS0_4arch9wavefront6targetE1EEEvT1_: ; @_ZN7rocprim17ROCPRIM_400000_NS6detail17trampoline_kernelINS0_14default_configENS1_29reduce_by_key_config_selectorIxxN6thrust23THRUST_200600_302600_NS4plusIxEEEEZZNS1_33reduce_by_key_impl_wrapped_configILNS1_25lookback_scan_determinismE0ES3_S9_NS6_6detail15normal_iteratorINS6_10device_ptrIxEEEESG_SG_SG_PmS8_NS6_8equal_toIxEEEE10hipError_tPvRmT2_T3_mT4_T5_T6_T7_T8_P12ihipStream_tbENKUlT_T0_E_clISt17integral_constantIbLb0EES10_IbLb1EEEEDaSW_SX_EUlSW_E_NS1_11comp_targetILNS1_3genE2ELNS1_11target_archE906ELNS1_3gpuE6ELNS1_3repE0EEENS1_30default_config_static_selectorELNS0_4arch9wavefront6targetE1EEEvT1_
; %bb.0:
	.section	.rodata,"a",@progbits
	.p2align	6, 0x0
	.amdhsa_kernel _ZN7rocprim17ROCPRIM_400000_NS6detail17trampoline_kernelINS0_14default_configENS1_29reduce_by_key_config_selectorIxxN6thrust23THRUST_200600_302600_NS4plusIxEEEEZZNS1_33reduce_by_key_impl_wrapped_configILNS1_25lookback_scan_determinismE0ES3_S9_NS6_6detail15normal_iteratorINS6_10device_ptrIxEEEESG_SG_SG_PmS8_NS6_8equal_toIxEEEE10hipError_tPvRmT2_T3_mT4_T5_T6_T7_T8_P12ihipStream_tbENKUlT_T0_E_clISt17integral_constantIbLb0EES10_IbLb1EEEEDaSW_SX_EUlSW_E_NS1_11comp_targetILNS1_3genE2ELNS1_11target_archE906ELNS1_3gpuE6ELNS1_3repE0EEENS1_30default_config_static_selectorELNS0_4arch9wavefront6targetE1EEEvT1_
		.amdhsa_group_segment_fixed_size 0
		.amdhsa_private_segment_fixed_size 0
		.amdhsa_kernarg_size 136
		.amdhsa_user_sgpr_count 6
		.amdhsa_user_sgpr_private_segment_buffer 1
		.amdhsa_user_sgpr_dispatch_ptr 0
		.amdhsa_user_sgpr_queue_ptr 0
		.amdhsa_user_sgpr_kernarg_segment_ptr 1
		.amdhsa_user_sgpr_dispatch_id 0
		.amdhsa_user_sgpr_flat_scratch_init 0
		.amdhsa_user_sgpr_kernarg_preload_length 0
		.amdhsa_user_sgpr_kernarg_preload_offset 0
		.amdhsa_user_sgpr_private_segment_size 0
		.amdhsa_uses_dynamic_stack 0
		.amdhsa_system_sgpr_private_segment_wavefront_offset 0
		.amdhsa_system_sgpr_workgroup_id_x 1
		.amdhsa_system_sgpr_workgroup_id_y 0
		.amdhsa_system_sgpr_workgroup_id_z 0
		.amdhsa_system_sgpr_workgroup_info 0
		.amdhsa_system_vgpr_workitem_id 0
		.amdhsa_next_free_vgpr 1
		.amdhsa_next_free_sgpr 0
		.amdhsa_accum_offset 4
		.amdhsa_reserve_vcc 0
		.amdhsa_reserve_flat_scratch 0
		.amdhsa_float_round_mode_32 0
		.amdhsa_float_round_mode_16_64 0
		.amdhsa_float_denorm_mode_32 3
		.amdhsa_float_denorm_mode_16_64 3
		.amdhsa_dx10_clamp 1
		.amdhsa_ieee_mode 1
		.amdhsa_fp16_overflow 0
		.amdhsa_tg_split 0
		.amdhsa_exception_fp_ieee_invalid_op 0
		.amdhsa_exception_fp_denorm_src 0
		.amdhsa_exception_fp_ieee_div_zero 0
		.amdhsa_exception_fp_ieee_overflow 0
		.amdhsa_exception_fp_ieee_underflow 0
		.amdhsa_exception_fp_ieee_inexact 0
		.amdhsa_exception_int_div_zero 0
	.end_amdhsa_kernel
	.section	.text._ZN7rocprim17ROCPRIM_400000_NS6detail17trampoline_kernelINS0_14default_configENS1_29reduce_by_key_config_selectorIxxN6thrust23THRUST_200600_302600_NS4plusIxEEEEZZNS1_33reduce_by_key_impl_wrapped_configILNS1_25lookback_scan_determinismE0ES3_S9_NS6_6detail15normal_iteratorINS6_10device_ptrIxEEEESG_SG_SG_PmS8_NS6_8equal_toIxEEEE10hipError_tPvRmT2_T3_mT4_T5_T6_T7_T8_P12ihipStream_tbENKUlT_T0_E_clISt17integral_constantIbLb0EES10_IbLb1EEEEDaSW_SX_EUlSW_E_NS1_11comp_targetILNS1_3genE2ELNS1_11target_archE906ELNS1_3gpuE6ELNS1_3repE0EEENS1_30default_config_static_selectorELNS0_4arch9wavefront6targetE1EEEvT1_,"axG",@progbits,_ZN7rocprim17ROCPRIM_400000_NS6detail17trampoline_kernelINS0_14default_configENS1_29reduce_by_key_config_selectorIxxN6thrust23THRUST_200600_302600_NS4plusIxEEEEZZNS1_33reduce_by_key_impl_wrapped_configILNS1_25lookback_scan_determinismE0ES3_S9_NS6_6detail15normal_iteratorINS6_10device_ptrIxEEEESG_SG_SG_PmS8_NS6_8equal_toIxEEEE10hipError_tPvRmT2_T3_mT4_T5_T6_T7_T8_P12ihipStream_tbENKUlT_T0_E_clISt17integral_constantIbLb0EES10_IbLb1EEEEDaSW_SX_EUlSW_E_NS1_11comp_targetILNS1_3genE2ELNS1_11target_archE906ELNS1_3gpuE6ELNS1_3repE0EEENS1_30default_config_static_selectorELNS0_4arch9wavefront6targetE1EEEvT1_,comdat
.Lfunc_end503:
	.size	_ZN7rocprim17ROCPRIM_400000_NS6detail17trampoline_kernelINS0_14default_configENS1_29reduce_by_key_config_selectorIxxN6thrust23THRUST_200600_302600_NS4plusIxEEEEZZNS1_33reduce_by_key_impl_wrapped_configILNS1_25lookback_scan_determinismE0ES3_S9_NS6_6detail15normal_iteratorINS6_10device_ptrIxEEEESG_SG_SG_PmS8_NS6_8equal_toIxEEEE10hipError_tPvRmT2_T3_mT4_T5_T6_T7_T8_P12ihipStream_tbENKUlT_T0_E_clISt17integral_constantIbLb0EES10_IbLb1EEEEDaSW_SX_EUlSW_E_NS1_11comp_targetILNS1_3genE2ELNS1_11target_archE906ELNS1_3gpuE6ELNS1_3repE0EEENS1_30default_config_static_selectorELNS0_4arch9wavefront6targetE1EEEvT1_, .Lfunc_end503-_ZN7rocprim17ROCPRIM_400000_NS6detail17trampoline_kernelINS0_14default_configENS1_29reduce_by_key_config_selectorIxxN6thrust23THRUST_200600_302600_NS4plusIxEEEEZZNS1_33reduce_by_key_impl_wrapped_configILNS1_25lookback_scan_determinismE0ES3_S9_NS6_6detail15normal_iteratorINS6_10device_ptrIxEEEESG_SG_SG_PmS8_NS6_8equal_toIxEEEE10hipError_tPvRmT2_T3_mT4_T5_T6_T7_T8_P12ihipStream_tbENKUlT_T0_E_clISt17integral_constantIbLb0EES10_IbLb1EEEEDaSW_SX_EUlSW_E_NS1_11comp_targetILNS1_3genE2ELNS1_11target_archE906ELNS1_3gpuE6ELNS1_3repE0EEENS1_30default_config_static_selectorELNS0_4arch9wavefront6targetE1EEEvT1_
                                        ; -- End function
	.section	.AMDGPU.csdata,"",@progbits
; Kernel info:
; codeLenInByte = 0
; NumSgprs: 4
; NumVgprs: 0
; NumAgprs: 0
; TotalNumVgprs: 0
; ScratchSize: 0
; MemoryBound: 0
; FloatMode: 240
; IeeeMode: 1
; LDSByteSize: 0 bytes/workgroup (compile time only)
; SGPRBlocks: 0
; VGPRBlocks: 0
; NumSGPRsForWavesPerEU: 4
; NumVGPRsForWavesPerEU: 1
; AccumOffset: 4
; Occupancy: 8
; WaveLimiterHint : 0
; COMPUTE_PGM_RSRC2:SCRATCH_EN: 0
; COMPUTE_PGM_RSRC2:USER_SGPR: 6
; COMPUTE_PGM_RSRC2:TRAP_HANDLER: 0
; COMPUTE_PGM_RSRC2:TGID_X_EN: 1
; COMPUTE_PGM_RSRC2:TGID_Y_EN: 0
; COMPUTE_PGM_RSRC2:TGID_Z_EN: 0
; COMPUTE_PGM_RSRC2:TIDIG_COMP_CNT: 0
; COMPUTE_PGM_RSRC3_GFX90A:ACCUM_OFFSET: 0
; COMPUTE_PGM_RSRC3_GFX90A:TG_SPLIT: 0
	.section	.text._ZN7rocprim17ROCPRIM_400000_NS6detail17trampoline_kernelINS0_14default_configENS1_29reduce_by_key_config_selectorIxxN6thrust23THRUST_200600_302600_NS4plusIxEEEEZZNS1_33reduce_by_key_impl_wrapped_configILNS1_25lookback_scan_determinismE0ES3_S9_NS6_6detail15normal_iteratorINS6_10device_ptrIxEEEESG_SG_SG_PmS8_NS6_8equal_toIxEEEE10hipError_tPvRmT2_T3_mT4_T5_T6_T7_T8_P12ihipStream_tbENKUlT_T0_E_clISt17integral_constantIbLb0EES10_IbLb1EEEEDaSW_SX_EUlSW_E_NS1_11comp_targetILNS1_3genE10ELNS1_11target_archE1201ELNS1_3gpuE5ELNS1_3repE0EEENS1_30default_config_static_selectorELNS0_4arch9wavefront6targetE1EEEvT1_,"axG",@progbits,_ZN7rocprim17ROCPRIM_400000_NS6detail17trampoline_kernelINS0_14default_configENS1_29reduce_by_key_config_selectorIxxN6thrust23THRUST_200600_302600_NS4plusIxEEEEZZNS1_33reduce_by_key_impl_wrapped_configILNS1_25lookback_scan_determinismE0ES3_S9_NS6_6detail15normal_iteratorINS6_10device_ptrIxEEEESG_SG_SG_PmS8_NS6_8equal_toIxEEEE10hipError_tPvRmT2_T3_mT4_T5_T6_T7_T8_P12ihipStream_tbENKUlT_T0_E_clISt17integral_constantIbLb0EES10_IbLb1EEEEDaSW_SX_EUlSW_E_NS1_11comp_targetILNS1_3genE10ELNS1_11target_archE1201ELNS1_3gpuE5ELNS1_3repE0EEENS1_30default_config_static_selectorELNS0_4arch9wavefront6targetE1EEEvT1_,comdat
	.protected	_ZN7rocprim17ROCPRIM_400000_NS6detail17trampoline_kernelINS0_14default_configENS1_29reduce_by_key_config_selectorIxxN6thrust23THRUST_200600_302600_NS4plusIxEEEEZZNS1_33reduce_by_key_impl_wrapped_configILNS1_25lookback_scan_determinismE0ES3_S9_NS6_6detail15normal_iteratorINS6_10device_ptrIxEEEESG_SG_SG_PmS8_NS6_8equal_toIxEEEE10hipError_tPvRmT2_T3_mT4_T5_T6_T7_T8_P12ihipStream_tbENKUlT_T0_E_clISt17integral_constantIbLb0EES10_IbLb1EEEEDaSW_SX_EUlSW_E_NS1_11comp_targetILNS1_3genE10ELNS1_11target_archE1201ELNS1_3gpuE5ELNS1_3repE0EEENS1_30default_config_static_selectorELNS0_4arch9wavefront6targetE1EEEvT1_ ; -- Begin function _ZN7rocprim17ROCPRIM_400000_NS6detail17trampoline_kernelINS0_14default_configENS1_29reduce_by_key_config_selectorIxxN6thrust23THRUST_200600_302600_NS4plusIxEEEEZZNS1_33reduce_by_key_impl_wrapped_configILNS1_25lookback_scan_determinismE0ES3_S9_NS6_6detail15normal_iteratorINS6_10device_ptrIxEEEESG_SG_SG_PmS8_NS6_8equal_toIxEEEE10hipError_tPvRmT2_T3_mT4_T5_T6_T7_T8_P12ihipStream_tbENKUlT_T0_E_clISt17integral_constantIbLb0EES10_IbLb1EEEEDaSW_SX_EUlSW_E_NS1_11comp_targetILNS1_3genE10ELNS1_11target_archE1201ELNS1_3gpuE5ELNS1_3repE0EEENS1_30default_config_static_selectorELNS0_4arch9wavefront6targetE1EEEvT1_
	.globl	_ZN7rocprim17ROCPRIM_400000_NS6detail17trampoline_kernelINS0_14default_configENS1_29reduce_by_key_config_selectorIxxN6thrust23THRUST_200600_302600_NS4plusIxEEEEZZNS1_33reduce_by_key_impl_wrapped_configILNS1_25lookback_scan_determinismE0ES3_S9_NS6_6detail15normal_iteratorINS6_10device_ptrIxEEEESG_SG_SG_PmS8_NS6_8equal_toIxEEEE10hipError_tPvRmT2_T3_mT4_T5_T6_T7_T8_P12ihipStream_tbENKUlT_T0_E_clISt17integral_constantIbLb0EES10_IbLb1EEEEDaSW_SX_EUlSW_E_NS1_11comp_targetILNS1_3genE10ELNS1_11target_archE1201ELNS1_3gpuE5ELNS1_3repE0EEENS1_30default_config_static_selectorELNS0_4arch9wavefront6targetE1EEEvT1_
	.p2align	8
	.type	_ZN7rocprim17ROCPRIM_400000_NS6detail17trampoline_kernelINS0_14default_configENS1_29reduce_by_key_config_selectorIxxN6thrust23THRUST_200600_302600_NS4plusIxEEEEZZNS1_33reduce_by_key_impl_wrapped_configILNS1_25lookback_scan_determinismE0ES3_S9_NS6_6detail15normal_iteratorINS6_10device_ptrIxEEEESG_SG_SG_PmS8_NS6_8equal_toIxEEEE10hipError_tPvRmT2_T3_mT4_T5_T6_T7_T8_P12ihipStream_tbENKUlT_T0_E_clISt17integral_constantIbLb0EES10_IbLb1EEEEDaSW_SX_EUlSW_E_NS1_11comp_targetILNS1_3genE10ELNS1_11target_archE1201ELNS1_3gpuE5ELNS1_3repE0EEENS1_30default_config_static_selectorELNS0_4arch9wavefront6targetE1EEEvT1_,@function
_ZN7rocprim17ROCPRIM_400000_NS6detail17trampoline_kernelINS0_14default_configENS1_29reduce_by_key_config_selectorIxxN6thrust23THRUST_200600_302600_NS4plusIxEEEEZZNS1_33reduce_by_key_impl_wrapped_configILNS1_25lookback_scan_determinismE0ES3_S9_NS6_6detail15normal_iteratorINS6_10device_ptrIxEEEESG_SG_SG_PmS8_NS6_8equal_toIxEEEE10hipError_tPvRmT2_T3_mT4_T5_T6_T7_T8_P12ihipStream_tbENKUlT_T0_E_clISt17integral_constantIbLb0EES10_IbLb1EEEEDaSW_SX_EUlSW_E_NS1_11comp_targetILNS1_3genE10ELNS1_11target_archE1201ELNS1_3gpuE5ELNS1_3repE0EEENS1_30default_config_static_selectorELNS0_4arch9wavefront6targetE1EEEvT1_: ; @_ZN7rocprim17ROCPRIM_400000_NS6detail17trampoline_kernelINS0_14default_configENS1_29reduce_by_key_config_selectorIxxN6thrust23THRUST_200600_302600_NS4plusIxEEEEZZNS1_33reduce_by_key_impl_wrapped_configILNS1_25lookback_scan_determinismE0ES3_S9_NS6_6detail15normal_iteratorINS6_10device_ptrIxEEEESG_SG_SG_PmS8_NS6_8equal_toIxEEEE10hipError_tPvRmT2_T3_mT4_T5_T6_T7_T8_P12ihipStream_tbENKUlT_T0_E_clISt17integral_constantIbLb0EES10_IbLb1EEEEDaSW_SX_EUlSW_E_NS1_11comp_targetILNS1_3genE10ELNS1_11target_archE1201ELNS1_3gpuE5ELNS1_3repE0EEENS1_30default_config_static_selectorELNS0_4arch9wavefront6targetE1EEEvT1_
; %bb.0:
	.section	.rodata,"a",@progbits
	.p2align	6, 0x0
	.amdhsa_kernel _ZN7rocprim17ROCPRIM_400000_NS6detail17trampoline_kernelINS0_14default_configENS1_29reduce_by_key_config_selectorIxxN6thrust23THRUST_200600_302600_NS4plusIxEEEEZZNS1_33reduce_by_key_impl_wrapped_configILNS1_25lookback_scan_determinismE0ES3_S9_NS6_6detail15normal_iteratorINS6_10device_ptrIxEEEESG_SG_SG_PmS8_NS6_8equal_toIxEEEE10hipError_tPvRmT2_T3_mT4_T5_T6_T7_T8_P12ihipStream_tbENKUlT_T0_E_clISt17integral_constantIbLb0EES10_IbLb1EEEEDaSW_SX_EUlSW_E_NS1_11comp_targetILNS1_3genE10ELNS1_11target_archE1201ELNS1_3gpuE5ELNS1_3repE0EEENS1_30default_config_static_selectorELNS0_4arch9wavefront6targetE1EEEvT1_
		.amdhsa_group_segment_fixed_size 0
		.amdhsa_private_segment_fixed_size 0
		.amdhsa_kernarg_size 136
		.amdhsa_user_sgpr_count 6
		.amdhsa_user_sgpr_private_segment_buffer 1
		.amdhsa_user_sgpr_dispatch_ptr 0
		.amdhsa_user_sgpr_queue_ptr 0
		.amdhsa_user_sgpr_kernarg_segment_ptr 1
		.amdhsa_user_sgpr_dispatch_id 0
		.amdhsa_user_sgpr_flat_scratch_init 0
		.amdhsa_user_sgpr_kernarg_preload_length 0
		.amdhsa_user_sgpr_kernarg_preload_offset 0
		.amdhsa_user_sgpr_private_segment_size 0
		.amdhsa_uses_dynamic_stack 0
		.amdhsa_system_sgpr_private_segment_wavefront_offset 0
		.amdhsa_system_sgpr_workgroup_id_x 1
		.amdhsa_system_sgpr_workgroup_id_y 0
		.amdhsa_system_sgpr_workgroup_id_z 0
		.amdhsa_system_sgpr_workgroup_info 0
		.amdhsa_system_vgpr_workitem_id 0
		.amdhsa_next_free_vgpr 1
		.amdhsa_next_free_sgpr 0
		.amdhsa_accum_offset 4
		.amdhsa_reserve_vcc 0
		.amdhsa_reserve_flat_scratch 0
		.amdhsa_float_round_mode_32 0
		.amdhsa_float_round_mode_16_64 0
		.amdhsa_float_denorm_mode_32 3
		.amdhsa_float_denorm_mode_16_64 3
		.amdhsa_dx10_clamp 1
		.amdhsa_ieee_mode 1
		.amdhsa_fp16_overflow 0
		.amdhsa_tg_split 0
		.amdhsa_exception_fp_ieee_invalid_op 0
		.amdhsa_exception_fp_denorm_src 0
		.amdhsa_exception_fp_ieee_div_zero 0
		.amdhsa_exception_fp_ieee_overflow 0
		.amdhsa_exception_fp_ieee_underflow 0
		.amdhsa_exception_fp_ieee_inexact 0
		.amdhsa_exception_int_div_zero 0
	.end_amdhsa_kernel
	.section	.text._ZN7rocprim17ROCPRIM_400000_NS6detail17trampoline_kernelINS0_14default_configENS1_29reduce_by_key_config_selectorIxxN6thrust23THRUST_200600_302600_NS4plusIxEEEEZZNS1_33reduce_by_key_impl_wrapped_configILNS1_25lookback_scan_determinismE0ES3_S9_NS6_6detail15normal_iteratorINS6_10device_ptrIxEEEESG_SG_SG_PmS8_NS6_8equal_toIxEEEE10hipError_tPvRmT2_T3_mT4_T5_T6_T7_T8_P12ihipStream_tbENKUlT_T0_E_clISt17integral_constantIbLb0EES10_IbLb1EEEEDaSW_SX_EUlSW_E_NS1_11comp_targetILNS1_3genE10ELNS1_11target_archE1201ELNS1_3gpuE5ELNS1_3repE0EEENS1_30default_config_static_selectorELNS0_4arch9wavefront6targetE1EEEvT1_,"axG",@progbits,_ZN7rocprim17ROCPRIM_400000_NS6detail17trampoline_kernelINS0_14default_configENS1_29reduce_by_key_config_selectorIxxN6thrust23THRUST_200600_302600_NS4plusIxEEEEZZNS1_33reduce_by_key_impl_wrapped_configILNS1_25lookback_scan_determinismE0ES3_S9_NS6_6detail15normal_iteratorINS6_10device_ptrIxEEEESG_SG_SG_PmS8_NS6_8equal_toIxEEEE10hipError_tPvRmT2_T3_mT4_T5_T6_T7_T8_P12ihipStream_tbENKUlT_T0_E_clISt17integral_constantIbLb0EES10_IbLb1EEEEDaSW_SX_EUlSW_E_NS1_11comp_targetILNS1_3genE10ELNS1_11target_archE1201ELNS1_3gpuE5ELNS1_3repE0EEENS1_30default_config_static_selectorELNS0_4arch9wavefront6targetE1EEEvT1_,comdat
.Lfunc_end504:
	.size	_ZN7rocprim17ROCPRIM_400000_NS6detail17trampoline_kernelINS0_14default_configENS1_29reduce_by_key_config_selectorIxxN6thrust23THRUST_200600_302600_NS4plusIxEEEEZZNS1_33reduce_by_key_impl_wrapped_configILNS1_25lookback_scan_determinismE0ES3_S9_NS6_6detail15normal_iteratorINS6_10device_ptrIxEEEESG_SG_SG_PmS8_NS6_8equal_toIxEEEE10hipError_tPvRmT2_T3_mT4_T5_T6_T7_T8_P12ihipStream_tbENKUlT_T0_E_clISt17integral_constantIbLb0EES10_IbLb1EEEEDaSW_SX_EUlSW_E_NS1_11comp_targetILNS1_3genE10ELNS1_11target_archE1201ELNS1_3gpuE5ELNS1_3repE0EEENS1_30default_config_static_selectorELNS0_4arch9wavefront6targetE1EEEvT1_, .Lfunc_end504-_ZN7rocprim17ROCPRIM_400000_NS6detail17trampoline_kernelINS0_14default_configENS1_29reduce_by_key_config_selectorIxxN6thrust23THRUST_200600_302600_NS4plusIxEEEEZZNS1_33reduce_by_key_impl_wrapped_configILNS1_25lookback_scan_determinismE0ES3_S9_NS6_6detail15normal_iteratorINS6_10device_ptrIxEEEESG_SG_SG_PmS8_NS6_8equal_toIxEEEE10hipError_tPvRmT2_T3_mT4_T5_T6_T7_T8_P12ihipStream_tbENKUlT_T0_E_clISt17integral_constantIbLb0EES10_IbLb1EEEEDaSW_SX_EUlSW_E_NS1_11comp_targetILNS1_3genE10ELNS1_11target_archE1201ELNS1_3gpuE5ELNS1_3repE0EEENS1_30default_config_static_selectorELNS0_4arch9wavefront6targetE1EEEvT1_
                                        ; -- End function
	.section	.AMDGPU.csdata,"",@progbits
; Kernel info:
; codeLenInByte = 0
; NumSgprs: 4
; NumVgprs: 0
; NumAgprs: 0
; TotalNumVgprs: 0
; ScratchSize: 0
; MemoryBound: 0
; FloatMode: 240
; IeeeMode: 1
; LDSByteSize: 0 bytes/workgroup (compile time only)
; SGPRBlocks: 0
; VGPRBlocks: 0
; NumSGPRsForWavesPerEU: 4
; NumVGPRsForWavesPerEU: 1
; AccumOffset: 4
; Occupancy: 8
; WaveLimiterHint : 0
; COMPUTE_PGM_RSRC2:SCRATCH_EN: 0
; COMPUTE_PGM_RSRC2:USER_SGPR: 6
; COMPUTE_PGM_RSRC2:TRAP_HANDLER: 0
; COMPUTE_PGM_RSRC2:TGID_X_EN: 1
; COMPUTE_PGM_RSRC2:TGID_Y_EN: 0
; COMPUTE_PGM_RSRC2:TGID_Z_EN: 0
; COMPUTE_PGM_RSRC2:TIDIG_COMP_CNT: 0
; COMPUTE_PGM_RSRC3_GFX90A:ACCUM_OFFSET: 0
; COMPUTE_PGM_RSRC3_GFX90A:TG_SPLIT: 0
	.section	.text._ZN7rocprim17ROCPRIM_400000_NS6detail17trampoline_kernelINS0_14default_configENS1_29reduce_by_key_config_selectorIxxN6thrust23THRUST_200600_302600_NS4plusIxEEEEZZNS1_33reduce_by_key_impl_wrapped_configILNS1_25lookback_scan_determinismE0ES3_S9_NS6_6detail15normal_iteratorINS6_10device_ptrIxEEEESG_SG_SG_PmS8_NS6_8equal_toIxEEEE10hipError_tPvRmT2_T3_mT4_T5_T6_T7_T8_P12ihipStream_tbENKUlT_T0_E_clISt17integral_constantIbLb0EES10_IbLb1EEEEDaSW_SX_EUlSW_E_NS1_11comp_targetILNS1_3genE10ELNS1_11target_archE1200ELNS1_3gpuE4ELNS1_3repE0EEENS1_30default_config_static_selectorELNS0_4arch9wavefront6targetE1EEEvT1_,"axG",@progbits,_ZN7rocprim17ROCPRIM_400000_NS6detail17trampoline_kernelINS0_14default_configENS1_29reduce_by_key_config_selectorIxxN6thrust23THRUST_200600_302600_NS4plusIxEEEEZZNS1_33reduce_by_key_impl_wrapped_configILNS1_25lookback_scan_determinismE0ES3_S9_NS6_6detail15normal_iteratorINS6_10device_ptrIxEEEESG_SG_SG_PmS8_NS6_8equal_toIxEEEE10hipError_tPvRmT2_T3_mT4_T5_T6_T7_T8_P12ihipStream_tbENKUlT_T0_E_clISt17integral_constantIbLb0EES10_IbLb1EEEEDaSW_SX_EUlSW_E_NS1_11comp_targetILNS1_3genE10ELNS1_11target_archE1200ELNS1_3gpuE4ELNS1_3repE0EEENS1_30default_config_static_selectorELNS0_4arch9wavefront6targetE1EEEvT1_,comdat
	.protected	_ZN7rocprim17ROCPRIM_400000_NS6detail17trampoline_kernelINS0_14default_configENS1_29reduce_by_key_config_selectorIxxN6thrust23THRUST_200600_302600_NS4plusIxEEEEZZNS1_33reduce_by_key_impl_wrapped_configILNS1_25lookback_scan_determinismE0ES3_S9_NS6_6detail15normal_iteratorINS6_10device_ptrIxEEEESG_SG_SG_PmS8_NS6_8equal_toIxEEEE10hipError_tPvRmT2_T3_mT4_T5_T6_T7_T8_P12ihipStream_tbENKUlT_T0_E_clISt17integral_constantIbLb0EES10_IbLb1EEEEDaSW_SX_EUlSW_E_NS1_11comp_targetILNS1_3genE10ELNS1_11target_archE1200ELNS1_3gpuE4ELNS1_3repE0EEENS1_30default_config_static_selectorELNS0_4arch9wavefront6targetE1EEEvT1_ ; -- Begin function _ZN7rocprim17ROCPRIM_400000_NS6detail17trampoline_kernelINS0_14default_configENS1_29reduce_by_key_config_selectorIxxN6thrust23THRUST_200600_302600_NS4plusIxEEEEZZNS1_33reduce_by_key_impl_wrapped_configILNS1_25lookback_scan_determinismE0ES3_S9_NS6_6detail15normal_iteratorINS6_10device_ptrIxEEEESG_SG_SG_PmS8_NS6_8equal_toIxEEEE10hipError_tPvRmT2_T3_mT4_T5_T6_T7_T8_P12ihipStream_tbENKUlT_T0_E_clISt17integral_constantIbLb0EES10_IbLb1EEEEDaSW_SX_EUlSW_E_NS1_11comp_targetILNS1_3genE10ELNS1_11target_archE1200ELNS1_3gpuE4ELNS1_3repE0EEENS1_30default_config_static_selectorELNS0_4arch9wavefront6targetE1EEEvT1_
	.globl	_ZN7rocprim17ROCPRIM_400000_NS6detail17trampoline_kernelINS0_14default_configENS1_29reduce_by_key_config_selectorIxxN6thrust23THRUST_200600_302600_NS4plusIxEEEEZZNS1_33reduce_by_key_impl_wrapped_configILNS1_25lookback_scan_determinismE0ES3_S9_NS6_6detail15normal_iteratorINS6_10device_ptrIxEEEESG_SG_SG_PmS8_NS6_8equal_toIxEEEE10hipError_tPvRmT2_T3_mT4_T5_T6_T7_T8_P12ihipStream_tbENKUlT_T0_E_clISt17integral_constantIbLb0EES10_IbLb1EEEEDaSW_SX_EUlSW_E_NS1_11comp_targetILNS1_3genE10ELNS1_11target_archE1200ELNS1_3gpuE4ELNS1_3repE0EEENS1_30default_config_static_selectorELNS0_4arch9wavefront6targetE1EEEvT1_
	.p2align	8
	.type	_ZN7rocprim17ROCPRIM_400000_NS6detail17trampoline_kernelINS0_14default_configENS1_29reduce_by_key_config_selectorIxxN6thrust23THRUST_200600_302600_NS4plusIxEEEEZZNS1_33reduce_by_key_impl_wrapped_configILNS1_25lookback_scan_determinismE0ES3_S9_NS6_6detail15normal_iteratorINS6_10device_ptrIxEEEESG_SG_SG_PmS8_NS6_8equal_toIxEEEE10hipError_tPvRmT2_T3_mT4_T5_T6_T7_T8_P12ihipStream_tbENKUlT_T0_E_clISt17integral_constantIbLb0EES10_IbLb1EEEEDaSW_SX_EUlSW_E_NS1_11comp_targetILNS1_3genE10ELNS1_11target_archE1200ELNS1_3gpuE4ELNS1_3repE0EEENS1_30default_config_static_selectorELNS0_4arch9wavefront6targetE1EEEvT1_,@function
_ZN7rocprim17ROCPRIM_400000_NS6detail17trampoline_kernelINS0_14default_configENS1_29reduce_by_key_config_selectorIxxN6thrust23THRUST_200600_302600_NS4plusIxEEEEZZNS1_33reduce_by_key_impl_wrapped_configILNS1_25lookback_scan_determinismE0ES3_S9_NS6_6detail15normal_iteratorINS6_10device_ptrIxEEEESG_SG_SG_PmS8_NS6_8equal_toIxEEEE10hipError_tPvRmT2_T3_mT4_T5_T6_T7_T8_P12ihipStream_tbENKUlT_T0_E_clISt17integral_constantIbLb0EES10_IbLb1EEEEDaSW_SX_EUlSW_E_NS1_11comp_targetILNS1_3genE10ELNS1_11target_archE1200ELNS1_3gpuE4ELNS1_3repE0EEENS1_30default_config_static_selectorELNS0_4arch9wavefront6targetE1EEEvT1_: ; @_ZN7rocprim17ROCPRIM_400000_NS6detail17trampoline_kernelINS0_14default_configENS1_29reduce_by_key_config_selectorIxxN6thrust23THRUST_200600_302600_NS4plusIxEEEEZZNS1_33reduce_by_key_impl_wrapped_configILNS1_25lookback_scan_determinismE0ES3_S9_NS6_6detail15normal_iteratorINS6_10device_ptrIxEEEESG_SG_SG_PmS8_NS6_8equal_toIxEEEE10hipError_tPvRmT2_T3_mT4_T5_T6_T7_T8_P12ihipStream_tbENKUlT_T0_E_clISt17integral_constantIbLb0EES10_IbLb1EEEEDaSW_SX_EUlSW_E_NS1_11comp_targetILNS1_3genE10ELNS1_11target_archE1200ELNS1_3gpuE4ELNS1_3repE0EEENS1_30default_config_static_selectorELNS0_4arch9wavefront6targetE1EEEvT1_
; %bb.0:
	.section	.rodata,"a",@progbits
	.p2align	6, 0x0
	.amdhsa_kernel _ZN7rocprim17ROCPRIM_400000_NS6detail17trampoline_kernelINS0_14default_configENS1_29reduce_by_key_config_selectorIxxN6thrust23THRUST_200600_302600_NS4plusIxEEEEZZNS1_33reduce_by_key_impl_wrapped_configILNS1_25lookback_scan_determinismE0ES3_S9_NS6_6detail15normal_iteratorINS6_10device_ptrIxEEEESG_SG_SG_PmS8_NS6_8equal_toIxEEEE10hipError_tPvRmT2_T3_mT4_T5_T6_T7_T8_P12ihipStream_tbENKUlT_T0_E_clISt17integral_constantIbLb0EES10_IbLb1EEEEDaSW_SX_EUlSW_E_NS1_11comp_targetILNS1_3genE10ELNS1_11target_archE1200ELNS1_3gpuE4ELNS1_3repE0EEENS1_30default_config_static_selectorELNS0_4arch9wavefront6targetE1EEEvT1_
		.amdhsa_group_segment_fixed_size 0
		.amdhsa_private_segment_fixed_size 0
		.amdhsa_kernarg_size 136
		.amdhsa_user_sgpr_count 6
		.amdhsa_user_sgpr_private_segment_buffer 1
		.amdhsa_user_sgpr_dispatch_ptr 0
		.amdhsa_user_sgpr_queue_ptr 0
		.amdhsa_user_sgpr_kernarg_segment_ptr 1
		.amdhsa_user_sgpr_dispatch_id 0
		.amdhsa_user_sgpr_flat_scratch_init 0
		.amdhsa_user_sgpr_kernarg_preload_length 0
		.amdhsa_user_sgpr_kernarg_preload_offset 0
		.amdhsa_user_sgpr_private_segment_size 0
		.amdhsa_uses_dynamic_stack 0
		.amdhsa_system_sgpr_private_segment_wavefront_offset 0
		.amdhsa_system_sgpr_workgroup_id_x 1
		.amdhsa_system_sgpr_workgroup_id_y 0
		.amdhsa_system_sgpr_workgroup_id_z 0
		.amdhsa_system_sgpr_workgroup_info 0
		.amdhsa_system_vgpr_workitem_id 0
		.amdhsa_next_free_vgpr 1
		.amdhsa_next_free_sgpr 0
		.amdhsa_accum_offset 4
		.amdhsa_reserve_vcc 0
		.amdhsa_reserve_flat_scratch 0
		.amdhsa_float_round_mode_32 0
		.amdhsa_float_round_mode_16_64 0
		.amdhsa_float_denorm_mode_32 3
		.amdhsa_float_denorm_mode_16_64 3
		.amdhsa_dx10_clamp 1
		.amdhsa_ieee_mode 1
		.amdhsa_fp16_overflow 0
		.amdhsa_tg_split 0
		.amdhsa_exception_fp_ieee_invalid_op 0
		.amdhsa_exception_fp_denorm_src 0
		.amdhsa_exception_fp_ieee_div_zero 0
		.amdhsa_exception_fp_ieee_overflow 0
		.amdhsa_exception_fp_ieee_underflow 0
		.amdhsa_exception_fp_ieee_inexact 0
		.amdhsa_exception_int_div_zero 0
	.end_amdhsa_kernel
	.section	.text._ZN7rocprim17ROCPRIM_400000_NS6detail17trampoline_kernelINS0_14default_configENS1_29reduce_by_key_config_selectorIxxN6thrust23THRUST_200600_302600_NS4plusIxEEEEZZNS1_33reduce_by_key_impl_wrapped_configILNS1_25lookback_scan_determinismE0ES3_S9_NS6_6detail15normal_iteratorINS6_10device_ptrIxEEEESG_SG_SG_PmS8_NS6_8equal_toIxEEEE10hipError_tPvRmT2_T3_mT4_T5_T6_T7_T8_P12ihipStream_tbENKUlT_T0_E_clISt17integral_constantIbLb0EES10_IbLb1EEEEDaSW_SX_EUlSW_E_NS1_11comp_targetILNS1_3genE10ELNS1_11target_archE1200ELNS1_3gpuE4ELNS1_3repE0EEENS1_30default_config_static_selectorELNS0_4arch9wavefront6targetE1EEEvT1_,"axG",@progbits,_ZN7rocprim17ROCPRIM_400000_NS6detail17trampoline_kernelINS0_14default_configENS1_29reduce_by_key_config_selectorIxxN6thrust23THRUST_200600_302600_NS4plusIxEEEEZZNS1_33reduce_by_key_impl_wrapped_configILNS1_25lookback_scan_determinismE0ES3_S9_NS6_6detail15normal_iteratorINS6_10device_ptrIxEEEESG_SG_SG_PmS8_NS6_8equal_toIxEEEE10hipError_tPvRmT2_T3_mT4_T5_T6_T7_T8_P12ihipStream_tbENKUlT_T0_E_clISt17integral_constantIbLb0EES10_IbLb1EEEEDaSW_SX_EUlSW_E_NS1_11comp_targetILNS1_3genE10ELNS1_11target_archE1200ELNS1_3gpuE4ELNS1_3repE0EEENS1_30default_config_static_selectorELNS0_4arch9wavefront6targetE1EEEvT1_,comdat
.Lfunc_end505:
	.size	_ZN7rocprim17ROCPRIM_400000_NS6detail17trampoline_kernelINS0_14default_configENS1_29reduce_by_key_config_selectorIxxN6thrust23THRUST_200600_302600_NS4plusIxEEEEZZNS1_33reduce_by_key_impl_wrapped_configILNS1_25lookback_scan_determinismE0ES3_S9_NS6_6detail15normal_iteratorINS6_10device_ptrIxEEEESG_SG_SG_PmS8_NS6_8equal_toIxEEEE10hipError_tPvRmT2_T3_mT4_T5_T6_T7_T8_P12ihipStream_tbENKUlT_T0_E_clISt17integral_constantIbLb0EES10_IbLb1EEEEDaSW_SX_EUlSW_E_NS1_11comp_targetILNS1_3genE10ELNS1_11target_archE1200ELNS1_3gpuE4ELNS1_3repE0EEENS1_30default_config_static_selectorELNS0_4arch9wavefront6targetE1EEEvT1_, .Lfunc_end505-_ZN7rocprim17ROCPRIM_400000_NS6detail17trampoline_kernelINS0_14default_configENS1_29reduce_by_key_config_selectorIxxN6thrust23THRUST_200600_302600_NS4plusIxEEEEZZNS1_33reduce_by_key_impl_wrapped_configILNS1_25lookback_scan_determinismE0ES3_S9_NS6_6detail15normal_iteratorINS6_10device_ptrIxEEEESG_SG_SG_PmS8_NS6_8equal_toIxEEEE10hipError_tPvRmT2_T3_mT4_T5_T6_T7_T8_P12ihipStream_tbENKUlT_T0_E_clISt17integral_constantIbLb0EES10_IbLb1EEEEDaSW_SX_EUlSW_E_NS1_11comp_targetILNS1_3genE10ELNS1_11target_archE1200ELNS1_3gpuE4ELNS1_3repE0EEENS1_30default_config_static_selectorELNS0_4arch9wavefront6targetE1EEEvT1_
                                        ; -- End function
	.section	.AMDGPU.csdata,"",@progbits
; Kernel info:
; codeLenInByte = 0
; NumSgprs: 4
; NumVgprs: 0
; NumAgprs: 0
; TotalNumVgprs: 0
; ScratchSize: 0
; MemoryBound: 0
; FloatMode: 240
; IeeeMode: 1
; LDSByteSize: 0 bytes/workgroup (compile time only)
; SGPRBlocks: 0
; VGPRBlocks: 0
; NumSGPRsForWavesPerEU: 4
; NumVGPRsForWavesPerEU: 1
; AccumOffset: 4
; Occupancy: 8
; WaveLimiterHint : 0
; COMPUTE_PGM_RSRC2:SCRATCH_EN: 0
; COMPUTE_PGM_RSRC2:USER_SGPR: 6
; COMPUTE_PGM_RSRC2:TRAP_HANDLER: 0
; COMPUTE_PGM_RSRC2:TGID_X_EN: 1
; COMPUTE_PGM_RSRC2:TGID_Y_EN: 0
; COMPUTE_PGM_RSRC2:TGID_Z_EN: 0
; COMPUTE_PGM_RSRC2:TIDIG_COMP_CNT: 0
; COMPUTE_PGM_RSRC3_GFX90A:ACCUM_OFFSET: 0
; COMPUTE_PGM_RSRC3_GFX90A:TG_SPLIT: 0
	.section	.text._ZN7rocprim17ROCPRIM_400000_NS6detail17trampoline_kernelINS0_14default_configENS1_29reduce_by_key_config_selectorIxxN6thrust23THRUST_200600_302600_NS4plusIxEEEEZZNS1_33reduce_by_key_impl_wrapped_configILNS1_25lookback_scan_determinismE0ES3_S9_NS6_6detail15normal_iteratorINS6_10device_ptrIxEEEESG_SG_SG_PmS8_NS6_8equal_toIxEEEE10hipError_tPvRmT2_T3_mT4_T5_T6_T7_T8_P12ihipStream_tbENKUlT_T0_E_clISt17integral_constantIbLb0EES10_IbLb1EEEEDaSW_SX_EUlSW_E_NS1_11comp_targetILNS1_3genE9ELNS1_11target_archE1100ELNS1_3gpuE3ELNS1_3repE0EEENS1_30default_config_static_selectorELNS0_4arch9wavefront6targetE1EEEvT1_,"axG",@progbits,_ZN7rocprim17ROCPRIM_400000_NS6detail17trampoline_kernelINS0_14default_configENS1_29reduce_by_key_config_selectorIxxN6thrust23THRUST_200600_302600_NS4plusIxEEEEZZNS1_33reduce_by_key_impl_wrapped_configILNS1_25lookback_scan_determinismE0ES3_S9_NS6_6detail15normal_iteratorINS6_10device_ptrIxEEEESG_SG_SG_PmS8_NS6_8equal_toIxEEEE10hipError_tPvRmT2_T3_mT4_T5_T6_T7_T8_P12ihipStream_tbENKUlT_T0_E_clISt17integral_constantIbLb0EES10_IbLb1EEEEDaSW_SX_EUlSW_E_NS1_11comp_targetILNS1_3genE9ELNS1_11target_archE1100ELNS1_3gpuE3ELNS1_3repE0EEENS1_30default_config_static_selectorELNS0_4arch9wavefront6targetE1EEEvT1_,comdat
	.protected	_ZN7rocprim17ROCPRIM_400000_NS6detail17trampoline_kernelINS0_14default_configENS1_29reduce_by_key_config_selectorIxxN6thrust23THRUST_200600_302600_NS4plusIxEEEEZZNS1_33reduce_by_key_impl_wrapped_configILNS1_25lookback_scan_determinismE0ES3_S9_NS6_6detail15normal_iteratorINS6_10device_ptrIxEEEESG_SG_SG_PmS8_NS6_8equal_toIxEEEE10hipError_tPvRmT2_T3_mT4_T5_T6_T7_T8_P12ihipStream_tbENKUlT_T0_E_clISt17integral_constantIbLb0EES10_IbLb1EEEEDaSW_SX_EUlSW_E_NS1_11comp_targetILNS1_3genE9ELNS1_11target_archE1100ELNS1_3gpuE3ELNS1_3repE0EEENS1_30default_config_static_selectorELNS0_4arch9wavefront6targetE1EEEvT1_ ; -- Begin function _ZN7rocprim17ROCPRIM_400000_NS6detail17trampoline_kernelINS0_14default_configENS1_29reduce_by_key_config_selectorIxxN6thrust23THRUST_200600_302600_NS4plusIxEEEEZZNS1_33reduce_by_key_impl_wrapped_configILNS1_25lookback_scan_determinismE0ES3_S9_NS6_6detail15normal_iteratorINS6_10device_ptrIxEEEESG_SG_SG_PmS8_NS6_8equal_toIxEEEE10hipError_tPvRmT2_T3_mT4_T5_T6_T7_T8_P12ihipStream_tbENKUlT_T0_E_clISt17integral_constantIbLb0EES10_IbLb1EEEEDaSW_SX_EUlSW_E_NS1_11comp_targetILNS1_3genE9ELNS1_11target_archE1100ELNS1_3gpuE3ELNS1_3repE0EEENS1_30default_config_static_selectorELNS0_4arch9wavefront6targetE1EEEvT1_
	.globl	_ZN7rocprim17ROCPRIM_400000_NS6detail17trampoline_kernelINS0_14default_configENS1_29reduce_by_key_config_selectorIxxN6thrust23THRUST_200600_302600_NS4plusIxEEEEZZNS1_33reduce_by_key_impl_wrapped_configILNS1_25lookback_scan_determinismE0ES3_S9_NS6_6detail15normal_iteratorINS6_10device_ptrIxEEEESG_SG_SG_PmS8_NS6_8equal_toIxEEEE10hipError_tPvRmT2_T3_mT4_T5_T6_T7_T8_P12ihipStream_tbENKUlT_T0_E_clISt17integral_constantIbLb0EES10_IbLb1EEEEDaSW_SX_EUlSW_E_NS1_11comp_targetILNS1_3genE9ELNS1_11target_archE1100ELNS1_3gpuE3ELNS1_3repE0EEENS1_30default_config_static_selectorELNS0_4arch9wavefront6targetE1EEEvT1_
	.p2align	8
	.type	_ZN7rocprim17ROCPRIM_400000_NS6detail17trampoline_kernelINS0_14default_configENS1_29reduce_by_key_config_selectorIxxN6thrust23THRUST_200600_302600_NS4plusIxEEEEZZNS1_33reduce_by_key_impl_wrapped_configILNS1_25lookback_scan_determinismE0ES3_S9_NS6_6detail15normal_iteratorINS6_10device_ptrIxEEEESG_SG_SG_PmS8_NS6_8equal_toIxEEEE10hipError_tPvRmT2_T3_mT4_T5_T6_T7_T8_P12ihipStream_tbENKUlT_T0_E_clISt17integral_constantIbLb0EES10_IbLb1EEEEDaSW_SX_EUlSW_E_NS1_11comp_targetILNS1_3genE9ELNS1_11target_archE1100ELNS1_3gpuE3ELNS1_3repE0EEENS1_30default_config_static_selectorELNS0_4arch9wavefront6targetE1EEEvT1_,@function
_ZN7rocprim17ROCPRIM_400000_NS6detail17trampoline_kernelINS0_14default_configENS1_29reduce_by_key_config_selectorIxxN6thrust23THRUST_200600_302600_NS4plusIxEEEEZZNS1_33reduce_by_key_impl_wrapped_configILNS1_25lookback_scan_determinismE0ES3_S9_NS6_6detail15normal_iteratorINS6_10device_ptrIxEEEESG_SG_SG_PmS8_NS6_8equal_toIxEEEE10hipError_tPvRmT2_T3_mT4_T5_T6_T7_T8_P12ihipStream_tbENKUlT_T0_E_clISt17integral_constantIbLb0EES10_IbLb1EEEEDaSW_SX_EUlSW_E_NS1_11comp_targetILNS1_3genE9ELNS1_11target_archE1100ELNS1_3gpuE3ELNS1_3repE0EEENS1_30default_config_static_selectorELNS0_4arch9wavefront6targetE1EEEvT1_: ; @_ZN7rocprim17ROCPRIM_400000_NS6detail17trampoline_kernelINS0_14default_configENS1_29reduce_by_key_config_selectorIxxN6thrust23THRUST_200600_302600_NS4plusIxEEEEZZNS1_33reduce_by_key_impl_wrapped_configILNS1_25lookback_scan_determinismE0ES3_S9_NS6_6detail15normal_iteratorINS6_10device_ptrIxEEEESG_SG_SG_PmS8_NS6_8equal_toIxEEEE10hipError_tPvRmT2_T3_mT4_T5_T6_T7_T8_P12ihipStream_tbENKUlT_T0_E_clISt17integral_constantIbLb0EES10_IbLb1EEEEDaSW_SX_EUlSW_E_NS1_11comp_targetILNS1_3genE9ELNS1_11target_archE1100ELNS1_3gpuE3ELNS1_3repE0EEENS1_30default_config_static_selectorELNS0_4arch9wavefront6targetE1EEEvT1_
; %bb.0:
	.section	.rodata,"a",@progbits
	.p2align	6, 0x0
	.amdhsa_kernel _ZN7rocprim17ROCPRIM_400000_NS6detail17trampoline_kernelINS0_14default_configENS1_29reduce_by_key_config_selectorIxxN6thrust23THRUST_200600_302600_NS4plusIxEEEEZZNS1_33reduce_by_key_impl_wrapped_configILNS1_25lookback_scan_determinismE0ES3_S9_NS6_6detail15normal_iteratorINS6_10device_ptrIxEEEESG_SG_SG_PmS8_NS6_8equal_toIxEEEE10hipError_tPvRmT2_T3_mT4_T5_T6_T7_T8_P12ihipStream_tbENKUlT_T0_E_clISt17integral_constantIbLb0EES10_IbLb1EEEEDaSW_SX_EUlSW_E_NS1_11comp_targetILNS1_3genE9ELNS1_11target_archE1100ELNS1_3gpuE3ELNS1_3repE0EEENS1_30default_config_static_selectorELNS0_4arch9wavefront6targetE1EEEvT1_
		.amdhsa_group_segment_fixed_size 0
		.amdhsa_private_segment_fixed_size 0
		.amdhsa_kernarg_size 136
		.amdhsa_user_sgpr_count 6
		.amdhsa_user_sgpr_private_segment_buffer 1
		.amdhsa_user_sgpr_dispatch_ptr 0
		.amdhsa_user_sgpr_queue_ptr 0
		.amdhsa_user_sgpr_kernarg_segment_ptr 1
		.amdhsa_user_sgpr_dispatch_id 0
		.amdhsa_user_sgpr_flat_scratch_init 0
		.amdhsa_user_sgpr_kernarg_preload_length 0
		.amdhsa_user_sgpr_kernarg_preload_offset 0
		.amdhsa_user_sgpr_private_segment_size 0
		.amdhsa_uses_dynamic_stack 0
		.amdhsa_system_sgpr_private_segment_wavefront_offset 0
		.amdhsa_system_sgpr_workgroup_id_x 1
		.amdhsa_system_sgpr_workgroup_id_y 0
		.amdhsa_system_sgpr_workgroup_id_z 0
		.amdhsa_system_sgpr_workgroup_info 0
		.amdhsa_system_vgpr_workitem_id 0
		.amdhsa_next_free_vgpr 1
		.amdhsa_next_free_sgpr 0
		.amdhsa_accum_offset 4
		.amdhsa_reserve_vcc 0
		.amdhsa_reserve_flat_scratch 0
		.amdhsa_float_round_mode_32 0
		.amdhsa_float_round_mode_16_64 0
		.amdhsa_float_denorm_mode_32 3
		.amdhsa_float_denorm_mode_16_64 3
		.amdhsa_dx10_clamp 1
		.amdhsa_ieee_mode 1
		.amdhsa_fp16_overflow 0
		.amdhsa_tg_split 0
		.amdhsa_exception_fp_ieee_invalid_op 0
		.amdhsa_exception_fp_denorm_src 0
		.amdhsa_exception_fp_ieee_div_zero 0
		.amdhsa_exception_fp_ieee_overflow 0
		.amdhsa_exception_fp_ieee_underflow 0
		.amdhsa_exception_fp_ieee_inexact 0
		.amdhsa_exception_int_div_zero 0
	.end_amdhsa_kernel
	.section	.text._ZN7rocprim17ROCPRIM_400000_NS6detail17trampoline_kernelINS0_14default_configENS1_29reduce_by_key_config_selectorIxxN6thrust23THRUST_200600_302600_NS4plusIxEEEEZZNS1_33reduce_by_key_impl_wrapped_configILNS1_25lookback_scan_determinismE0ES3_S9_NS6_6detail15normal_iteratorINS6_10device_ptrIxEEEESG_SG_SG_PmS8_NS6_8equal_toIxEEEE10hipError_tPvRmT2_T3_mT4_T5_T6_T7_T8_P12ihipStream_tbENKUlT_T0_E_clISt17integral_constantIbLb0EES10_IbLb1EEEEDaSW_SX_EUlSW_E_NS1_11comp_targetILNS1_3genE9ELNS1_11target_archE1100ELNS1_3gpuE3ELNS1_3repE0EEENS1_30default_config_static_selectorELNS0_4arch9wavefront6targetE1EEEvT1_,"axG",@progbits,_ZN7rocprim17ROCPRIM_400000_NS6detail17trampoline_kernelINS0_14default_configENS1_29reduce_by_key_config_selectorIxxN6thrust23THRUST_200600_302600_NS4plusIxEEEEZZNS1_33reduce_by_key_impl_wrapped_configILNS1_25lookback_scan_determinismE0ES3_S9_NS6_6detail15normal_iteratorINS6_10device_ptrIxEEEESG_SG_SG_PmS8_NS6_8equal_toIxEEEE10hipError_tPvRmT2_T3_mT4_T5_T6_T7_T8_P12ihipStream_tbENKUlT_T0_E_clISt17integral_constantIbLb0EES10_IbLb1EEEEDaSW_SX_EUlSW_E_NS1_11comp_targetILNS1_3genE9ELNS1_11target_archE1100ELNS1_3gpuE3ELNS1_3repE0EEENS1_30default_config_static_selectorELNS0_4arch9wavefront6targetE1EEEvT1_,comdat
.Lfunc_end506:
	.size	_ZN7rocprim17ROCPRIM_400000_NS6detail17trampoline_kernelINS0_14default_configENS1_29reduce_by_key_config_selectorIxxN6thrust23THRUST_200600_302600_NS4plusIxEEEEZZNS1_33reduce_by_key_impl_wrapped_configILNS1_25lookback_scan_determinismE0ES3_S9_NS6_6detail15normal_iteratorINS6_10device_ptrIxEEEESG_SG_SG_PmS8_NS6_8equal_toIxEEEE10hipError_tPvRmT2_T3_mT4_T5_T6_T7_T8_P12ihipStream_tbENKUlT_T0_E_clISt17integral_constantIbLb0EES10_IbLb1EEEEDaSW_SX_EUlSW_E_NS1_11comp_targetILNS1_3genE9ELNS1_11target_archE1100ELNS1_3gpuE3ELNS1_3repE0EEENS1_30default_config_static_selectorELNS0_4arch9wavefront6targetE1EEEvT1_, .Lfunc_end506-_ZN7rocprim17ROCPRIM_400000_NS6detail17trampoline_kernelINS0_14default_configENS1_29reduce_by_key_config_selectorIxxN6thrust23THRUST_200600_302600_NS4plusIxEEEEZZNS1_33reduce_by_key_impl_wrapped_configILNS1_25lookback_scan_determinismE0ES3_S9_NS6_6detail15normal_iteratorINS6_10device_ptrIxEEEESG_SG_SG_PmS8_NS6_8equal_toIxEEEE10hipError_tPvRmT2_T3_mT4_T5_T6_T7_T8_P12ihipStream_tbENKUlT_T0_E_clISt17integral_constantIbLb0EES10_IbLb1EEEEDaSW_SX_EUlSW_E_NS1_11comp_targetILNS1_3genE9ELNS1_11target_archE1100ELNS1_3gpuE3ELNS1_3repE0EEENS1_30default_config_static_selectorELNS0_4arch9wavefront6targetE1EEEvT1_
                                        ; -- End function
	.section	.AMDGPU.csdata,"",@progbits
; Kernel info:
; codeLenInByte = 0
; NumSgprs: 4
; NumVgprs: 0
; NumAgprs: 0
; TotalNumVgprs: 0
; ScratchSize: 0
; MemoryBound: 0
; FloatMode: 240
; IeeeMode: 1
; LDSByteSize: 0 bytes/workgroup (compile time only)
; SGPRBlocks: 0
; VGPRBlocks: 0
; NumSGPRsForWavesPerEU: 4
; NumVGPRsForWavesPerEU: 1
; AccumOffset: 4
; Occupancy: 8
; WaveLimiterHint : 0
; COMPUTE_PGM_RSRC2:SCRATCH_EN: 0
; COMPUTE_PGM_RSRC2:USER_SGPR: 6
; COMPUTE_PGM_RSRC2:TRAP_HANDLER: 0
; COMPUTE_PGM_RSRC2:TGID_X_EN: 1
; COMPUTE_PGM_RSRC2:TGID_Y_EN: 0
; COMPUTE_PGM_RSRC2:TGID_Z_EN: 0
; COMPUTE_PGM_RSRC2:TIDIG_COMP_CNT: 0
; COMPUTE_PGM_RSRC3_GFX90A:ACCUM_OFFSET: 0
; COMPUTE_PGM_RSRC3_GFX90A:TG_SPLIT: 0
	.section	.text._ZN7rocprim17ROCPRIM_400000_NS6detail17trampoline_kernelINS0_14default_configENS1_29reduce_by_key_config_selectorIxxN6thrust23THRUST_200600_302600_NS4plusIxEEEEZZNS1_33reduce_by_key_impl_wrapped_configILNS1_25lookback_scan_determinismE0ES3_S9_NS6_6detail15normal_iteratorINS6_10device_ptrIxEEEESG_SG_SG_PmS8_NS6_8equal_toIxEEEE10hipError_tPvRmT2_T3_mT4_T5_T6_T7_T8_P12ihipStream_tbENKUlT_T0_E_clISt17integral_constantIbLb0EES10_IbLb1EEEEDaSW_SX_EUlSW_E_NS1_11comp_targetILNS1_3genE8ELNS1_11target_archE1030ELNS1_3gpuE2ELNS1_3repE0EEENS1_30default_config_static_selectorELNS0_4arch9wavefront6targetE1EEEvT1_,"axG",@progbits,_ZN7rocprim17ROCPRIM_400000_NS6detail17trampoline_kernelINS0_14default_configENS1_29reduce_by_key_config_selectorIxxN6thrust23THRUST_200600_302600_NS4plusIxEEEEZZNS1_33reduce_by_key_impl_wrapped_configILNS1_25lookback_scan_determinismE0ES3_S9_NS6_6detail15normal_iteratorINS6_10device_ptrIxEEEESG_SG_SG_PmS8_NS6_8equal_toIxEEEE10hipError_tPvRmT2_T3_mT4_T5_T6_T7_T8_P12ihipStream_tbENKUlT_T0_E_clISt17integral_constantIbLb0EES10_IbLb1EEEEDaSW_SX_EUlSW_E_NS1_11comp_targetILNS1_3genE8ELNS1_11target_archE1030ELNS1_3gpuE2ELNS1_3repE0EEENS1_30default_config_static_selectorELNS0_4arch9wavefront6targetE1EEEvT1_,comdat
	.protected	_ZN7rocprim17ROCPRIM_400000_NS6detail17trampoline_kernelINS0_14default_configENS1_29reduce_by_key_config_selectorIxxN6thrust23THRUST_200600_302600_NS4plusIxEEEEZZNS1_33reduce_by_key_impl_wrapped_configILNS1_25lookback_scan_determinismE0ES3_S9_NS6_6detail15normal_iteratorINS6_10device_ptrIxEEEESG_SG_SG_PmS8_NS6_8equal_toIxEEEE10hipError_tPvRmT2_T3_mT4_T5_T6_T7_T8_P12ihipStream_tbENKUlT_T0_E_clISt17integral_constantIbLb0EES10_IbLb1EEEEDaSW_SX_EUlSW_E_NS1_11comp_targetILNS1_3genE8ELNS1_11target_archE1030ELNS1_3gpuE2ELNS1_3repE0EEENS1_30default_config_static_selectorELNS0_4arch9wavefront6targetE1EEEvT1_ ; -- Begin function _ZN7rocprim17ROCPRIM_400000_NS6detail17trampoline_kernelINS0_14default_configENS1_29reduce_by_key_config_selectorIxxN6thrust23THRUST_200600_302600_NS4plusIxEEEEZZNS1_33reduce_by_key_impl_wrapped_configILNS1_25lookback_scan_determinismE0ES3_S9_NS6_6detail15normal_iteratorINS6_10device_ptrIxEEEESG_SG_SG_PmS8_NS6_8equal_toIxEEEE10hipError_tPvRmT2_T3_mT4_T5_T6_T7_T8_P12ihipStream_tbENKUlT_T0_E_clISt17integral_constantIbLb0EES10_IbLb1EEEEDaSW_SX_EUlSW_E_NS1_11comp_targetILNS1_3genE8ELNS1_11target_archE1030ELNS1_3gpuE2ELNS1_3repE0EEENS1_30default_config_static_selectorELNS0_4arch9wavefront6targetE1EEEvT1_
	.globl	_ZN7rocprim17ROCPRIM_400000_NS6detail17trampoline_kernelINS0_14default_configENS1_29reduce_by_key_config_selectorIxxN6thrust23THRUST_200600_302600_NS4plusIxEEEEZZNS1_33reduce_by_key_impl_wrapped_configILNS1_25lookback_scan_determinismE0ES3_S9_NS6_6detail15normal_iteratorINS6_10device_ptrIxEEEESG_SG_SG_PmS8_NS6_8equal_toIxEEEE10hipError_tPvRmT2_T3_mT4_T5_T6_T7_T8_P12ihipStream_tbENKUlT_T0_E_clISt17integral_constantIbLb0EES10_IbLb1EEEEDaSW_SX_EUlSW_E_NS1_11comp_targetILNS1_3genE8ELNS1_11target_archE1030ELNS1_3gpuE2ELNS1_3repE0EEENS1_30default_config_static_selectorELNS0_4arch9wavefront6targetE1EEEvT1_
	.p2align	8
	.type	_ZN7rocprim17ROCPRIM_400000_NS6detail17trampoline_kernelINS0_14default_configENS1_29reduce_by_key_config_selectorIxxN6thrust23THRUST_200600_302600_NS4plusIxEEEEZZNS1_33reduce_by_key_impl_wrapped_configILNS1_25lookback_scan_determinismE0ES3_S9_NS6_6detail15normal_iteratorINS6_10device_ptrIxEEEESG_SG_SG_PmS8_NS6_8equal_toIxEEEE10hipError_tPvRmT2_T3_mT4_T5_T6_T7_T8_P12ihipStream_tbENKUlT_T0_E_clISt17integral_constantIbLb0EES10_IbLb1EEEEDaSW_SX_EUlSW_E_NS1_11comp_targetILNS1_3genE8ELNS1_11target_archE1030ELNS1_3gpuE2ELNS1_3repE0EEENS1_30default_config_static_selectorELNS0_4arch9wavefront6targetE1EEEvT1_,@function
_ZN7rocprim17ROCPRIM_400000_NS6detail17trampoline_kernelINS0_14default_configENS1_29reduce_by_key_config_selectorIxxN6thrust23THRUST_200600_302600_NS4plusIxEEEEZZNS1_33reduce_by_key_impl_wrapped_configILNS1_25lookback_scan_determinismE0ES3_S9_NS6_6detail15normal_iteratorINS6_10device_ptrIxEEEESG_SG_SG_PmS8_NS6_8equal_toIxEEEE10hipError_tPvRmT2_T3_mT4_T5_T6_T7_T8_P12ihipStream_tbENKUlT_T0_E_clISt17integral_constantIbLb0EES10_IbLb1EEEEDaSW_SX_EUlSW_E_NS1_11comp_targetILNS1_3genE8ELNS1_11target_archE1030ELNS1_3gpuE2ELNS1_3repE0EEENS1_30default_config_static_selectorELNS0_4arch9wavefront6targetE1EEEvT1_: ; @_ZN7rocprim17ROCPRIM_400000_NS6detail17trampoline_kernelINS0_14default_configENS1_29reduce_by_key_config_selectorIxxN6thrust23THRUST_200600_302600_NS4plusIxEEEEZZNS1_33reduce_by_key_impl_wrapped_configILNS1_25lookback_scan_determinismE0ES3_S9_NS6_6detail15normal_iteratorINS6_10device_ptrIxEEEESG_SG_SG_PmS8_NS6_8equal_toIxEEEE10hipError_tPvRmT2_T3_mT4_T5_T6_T7_T8_P12ihipStream_tbENKUlT_T0_E_clISt17integral_constantIbLb0EES10_IbLb1EEEEDaSW_SX_EUlSW_E_NS1_11comp_targetILNS1_3genE8ELNS1_11target_archE1030ELNS1_3gpuE2ELNS1_3repE0EEENS1_30default_config_static_selectorELNS0_4arch9wavefront6targetE1EEEvT1_
; %bb.0:
	.section	.rodata,"a",@progbits
	.p2align	6, 0x0
	.amdhsa_kernel _ZN7rocprim17ROCPRIM_400000_NS6detail17trampoline_kernelINS0_14default_configENS1_29reduce_by_key_config_selectorIxxN6thrust23THRUST_200600_302600_NS4plusIxEEEEZZNS1_33reduce_by_key_impl_wrapped_configILNS1_25lookback_scan_determinismE0ES3_S9_NS6_6detail15normal_iteratorINS6_10device_ptrIxEEEESG_SG_SG_PmS8_NS6_8equal_toIxEEEE10hipError_tPvRmT2_T3_mT4_T5_T6_T7_T8_P12ihipStream_tbENKUlT_T0_E_clISt17integral_constantIbLb0EES10_IbLb1EEEEDaSW_SX_EUlSW_E_NS1_11comp_targetILNS1_3genE8ELNS1_11target_archE1030ELNS1_3gpuE2ELNS1_3repE0EEENS1_30default_config_static_selectorELNS0_4arch9wavefront6targetE1EEEvT1_
		.amdhsa_group_segment_fixed_size 0
		.amdhsa_private_segment_fixed_size 0
		.amdhsa_kernarg_size 136
		.amdhsa_user_sgpr_count 6
		.amdhsa_user_sgpr_private_segment_buffer 1
		.amdhsa_user_sgpr_dispatch_ptr 0
		.amdhsa_user_sgpr_queue_ptr 0
		.amdhsa_user_sgpr_kernarg_segment_ptr 1
		.amdhsa_user_sgpr_dispatch_id 0
		.amdhsa_user_sgpr_flat_scratch_init 0
		.amdhsa_user_sgpr_kernarg_preload_length 0
		.amdhsa_user_sgpr_kernarg_preload_offset 0
		.amdhsa_user_sgpr_private_segment_size 0
		.amdhsa_uses_dynamic_stack 0
		.amdhsa_system_sgpr_private_segment_wavefront_offset 0
		.amdhsa_system_sgpr_workgroup_id_x 1
		.amdhsa_system_sgpr_workgroup_id_y 0
		.amdhsa_system_sgpr_workgroup_id_z 0
		.amdhsa_system_sgpr_workgroup_info 0
		.amdhsa_system_vgpr_workitem_id 0
		.amdhsa_next_free_vgpr 1
		.amdhsa_next_free_sgpr 0
		.amdhsa_accum_offset 4
		.amdhsa_reserve_vcc 0
		.amdhsa_reserve_flat_scratch 0
		.amdhsa_float_round_mode_32 0
		.amdhsa_float_round_mode_16_64 0
		.amdhsa_float_denorm_mode_32 3
		.amdhsa_float_denorm_mode_16_64 3
		.amdhsa_dx10_clamp 1
		.amdhsa_ieee_mode 1
		.amdhsa_fp16_overflow 0
		.amdhsa_tg_split 0
		.amdhsa_exception_fp_ieee_invalid_op 0
		.amdhsa_exception_fp_denorm_src 0
		.amdhsa_exception_fp_ieee_div_zero 0
		.amdhsa_exception_fp_ieee_overflow 0
		.amdhsa_exception_fp_ieee_underflow 0
		.amdhsa_exception_fp_ieee_inexact 0
		.amdhsa_exception_int_div_zero 0
	.end_amdhsa_kernel
	.section	.text._ZN7rocprim17ROCPRIM_400000_NS6detail17trampoline_kernelINS0_14default_configENS1_29reduce_by_key_config_selectorIxxN6thrust23THRUST_200600_302600_NS4plusIxEEEEZZNS1_33reduce_by_key_impl_wrapped_configILNS1_25lookback_scan_determinismE0ES3_S9_NS6_6detail15normal_iteratorINS6_10device_ptrIxEEEESG_SG_SG_PmS8_NS6_8equal_toIxEEEE10hipError_tPvRmT2_T3_mT4_T5_T6_T7_T8_P12ihipStream_tbENKUlT_T0_E_clISt17integral_constantIbLb0EES10_IbLb1EEEEDaSW_SX_EUlSW_E_NS1_11comp_targetILNS1_3genE8ELNS1_11target_archE1030ELNS1_3gpuE2ELNS1_3repE0EEENS1_30default_config_static_selectorELNS0_4arch9wavefront6targetE1EEEvT1_,"axG",@progbits,_ZN7rocprim17ROCPRIM_400000_NS6detail17trampoline_kernelINS0_14default_configENS1_29reduce_by_key_config_selectorIxxN6thrust23THRUST_200600_302600_NS4plusIxEEEEZZNS1_33reduce_by_key_impl_wrapped_configILNS1_25lookback_scan_determinismE0ES3_S9_NS6_6detail15normal_iteratorINS6_10device_ptrIxEEEESG_SG_SG_PmS8_NS6_8equal_toIxEEEE10hipError_tPvRmT2_T3_mT4_T5_T6_T7_T8_P12ihipStream_tbENKUlT_T0_E_clISt17integral_constantIbLb0EES10_IbLb1EEEEDaSW_SX_EUlSW_E_NS1_11comp_targetILNS1_3genE8ELNS1_11target_archE1030ELNS1_3gpuE2ELNS1_3repE0EEENS1_30default_config_static_selectorELNS0_4arch9wavefront6targetE1EEEvT1_,comdat
.Lfunc_end507:
	.size	_ZN7rocprim17ROCPRIM_400000_NS6detail17trampoline_kernelINS0_14default_configENS1_29reduce_by_key_config_selectorIxxN6thrust23THRUST_200600_302600_NS4plusIxEEEEZZNS1_33reduce_by_key_impl_wrapped_configILNS1_25lookback_scan_determinismE0ES3_S9_NS6_6detail15normal_iteratorINS6_10device_ptrIxEEEESG_SG_SG_PmS8_NS6_8equal_toIxEEEE10hipError_tPvRmT2_T3_mT4_T5_T6_T7_T8_P12ihipStream_tbENKUlT_T0_E_clISt17integral_constantIbLb0EES10_IbLb1EEEEDaSW_SX_EUlSW_E_NS1_11comp_targetILNS1_3genE8ELNS1_11target_archE1030ELNS1_3gpuE2ELNS1_3repE0EEENS1_30default_config_static_selectorELNS0_4arch9wavefront6targetE1EEEvT1_, .Lfunc_end507-_ZN7rocprim17ROCPRIM_400000_NS6detail17trampoline_kernelINS0_14default_configENS1_29reduce_by_key_config_selectorIxxN6thrust23THRUST_200600_302600_NS4plusIxEEEEZZNS1_33reduce_by_key_impl_wrapped_configILNS1_25lookback_scan_determinismE0ES3_S9_NS6_6detail15normal_iteratorINS6_10device_ptrIxEEEESG_SG_SG_PmS8_NS6_8equal_toIxEEEE10hipError_tPvRmT2_T3_mT4_T5_T6_T7_T8_P12ihipStream_tbENKUlT_T0_E_clISt17integral_constantIbLb0EES10_IbLb1EEEEDaSW_SX_EUlSW_E_NS1_11comp_targetILNS1_3genE8ELNS1_11target_archE1030ELNS1_3gpuE2ELNS1_3repE0EEENS1_30default_config_static_selectorELNS0_4arch9wavefront6targetE1EEEvT1_
                                        ; -- End function
	.section	.AMDGPU.csdata,"",@progbits
; Kernel info:
; codeLenInByte = 0
; NumSgprs: 4
; NumVgprs: 0
; NumAgprs: 0
; TotalNumVgprs: 0
; ScratchSize: 0
; MemoryBound: 0
; FloatMode: 240
; IeeeMode: 1
; LDSByteSize: 0 bytes/workgroup (compile time only)
; SGPRBlocks: 0
; VGPRBlocks: 0
; NumSGPRsForWavesPerEU: 4
; NumVGPRsForWavesPerEU: 1
; AccumOffset: 4
; Occupancy: 8
; WaveLimiterHint : 0
; COMPUTE_PGM_RSRC2:SCRATCH_EN: 0
; COMPUTE_PGM_RSRC2:USER_SGPR: 6
; COMPUTE_PGM_RSRC2:TRAP_HANDLER: 0
; COMPUTE_PGM_RSRC2:TGID_X_EN: 1
; COMPUTE_PGM_RSRC2:TGID_Y_EN: 0
; COMPUTE_PGM_RSRC2:TGID_Z_EN: 0
; COMPUTE_PGM_RSRC2:TIDIG_COMP_CNT: 0
; COMPUTE_PGM_RSRC3_GFX90A:ACCUM_OFFSET: 0
; COMPUTE_PGM_RSRC3_GFX90A:TG_SPLIT: 0
	.section	.text._ZN7rocprim17ROCPRIM_400000_NS6detail17trampoline_kernelINS0_14default_configENS1_29reduce_by_key_config_selectorIxxN6thrust23THRUST_200600_302600_NS4plusIxEEEEZZNS1_33reduce_by_key_impl_wrapped_configILNS1_25lookback_scan_determinismE0ES3_S9_NS6_6detail15normal_iteratorINS6_10device_ptrIxEEEESG_SG_SG_PmS8_22is_equal_div_10_reduceIxEEE10hipError_tPvRmT2_T3_mT4_T5_T6_T7_T8_P12ihipStream_tbENKUlT_T0_E_clISt17integral_constantIbLb0EES11_EEDaSW_SX_EUlSW_E_NS1_11comp_targetILNS1_3genE0ELNS1_11target_archE4294967295ELNS1_3gpuE0ELNS1_3repE0EEENS1_30default_config_static_selectorELNS0_4arch9wavefront6targetE1EEEvT1_,"axG",@progbits,_ZN7rocprim17ROCPRIM_400000_NS6detail17trampoline_kernelINS0_14default_configENS1_29reduce_by_key_config_selectorIxxN6thrust23THRUST_200600_302600_NS4plusIxEEEEZZNS1_33reduce_by_key_impl_wrapped_configILNS1_25lookback_scan_determinismE0ES3_S9_NS6_6detail15normal_iteratorINS6_10device_ptrIxEEEESG_SG_SG_PmS8_22is_equal_div_10_reduceIxEEE10hipError_tPvRmT2_T3_mT4_T5_T6_T7_T8_P12ihipStream_tbENKUlT_T0_E_clISt17integral_constantIbLb0EES11_EEDaSW_SX_EUlSW_E_NS1_11comp_targetILNS1_3genE0ELNS1_11target_archE4294967295ELNS1_3gpuE0ELNS1_3repE0EEENS1_30default_config_static_selectorELNS0_4arch9wavefront6targetE1EEEvT1_,comdat
	.protected	_ZN7rocprim17ROCPRIM_400000_NS6detail17trampoline_kernelINS0_14default_configENS1_29reduce_by_key_config_selectorIxxN6thrust23THRUST_200600_302600_NS4plusIxEEEEZZNS1_33reduce_by_key_impl_wrapped_configILNS1_25lookback_scan_determinismE0ES3_S9_NS6_6detail15normal_iteratorINS6_10device_ptrIxEEEESG_SG_SG_PmS8_22is_equal_div_10_reduceIxEEE10hipError_tPvRmT2_T3_mT4_T5_T6_T7_T8_P12ihipStream_tbENKUlT_T0_E_clISt17integral_constantIbLb0EES11_EEDaSW_SX_EUlSW_E_NS1_11comp_targetILNS1_3genE0ELNS1_11target_archE4294967295ELNS1_3gpuE0ELNS1_3repE0EEENS1_30default_config_static_selectorELNS0_4arch9wavefront6targetE1EEEvT1_ ; -- Begin function _ZN7rocprim17ROCPRIM_400000_NS6detail17trampoline_kernelINS0_14default_configENS1_29reduce_by_key_config_selectorIxxN6thrust23THRUST_200600_302600_NS4plusIxEEEEZZNS1_33reduce_by_key_impl_wrapped_configILNS1_25lookback_scan_determinismE0ES3_S9_NS6_6detail15normal_iteratorINS6_10device_ptrIxEEEESG_SG_SG_PmS8_22is_equal_div_10_reduceIxEEE10hipError_tPvRmT2_T3_mT4_T5_T6_T7_T8_P12ihipStream_tbENKUlT_T0_E_clISt17integral_constantIbLb0EES11_EEDaSW_SX_EUlSW_E_NS1_11comp_targetILNS1_3genE0ELNS1_11target_archE4294967295ELNS1_3gpuE0ELNS1_3repE0EEENS1_30default_config_static_selectorELNS0_4arch9wavefront6targetE1EEEvT1_
	.globl	_ZN7rocprim17ROCPRIM_400000_NS6detail17trampoline_kernelINS0_14default_configENS1_29reduce_by_key_config_selectorIxxN6thrust23THRUST_200600_302600_NS4plusIxEEEEZZNS1_33reduce_by_key_impl_wrapped_configILNS1_25lookback_scan_determinismE0ES3_S9_NS6_6detail15normal_iteratorINS6_10device_ptrIxEEEESG_SG_SG_PmS8_22is_equal_div_10_reduceIxEEE10hipError_tPvRmT2_T3_mT4_T5_T6_T7_T8_P12ihipStream_tbENKUlT_T0_E_clISt17integral_constantIbLb0EES11_EEDaSW_SX_EUlSW_E_NS1_11comp_targetILNS1_3genE0ELNS1_11target_archE4294967295ELNS1_3gpuE0ELNS1_3repE0EEENS1_30default_config_static_selectorELNS0_4arch9wavefront6targetE1EEEvT1_
	.p2align	8
	.type	_ZN7rocprim17ROCPRIM_400000_NS6detail17trampoline_kernelINS0_14default_configENS1_29reduce_by_key_config_selectorIxxN6thrust23THRUST_200600_302600_NS4plusIxEEEEZZNS1_33reduce_by_key_impl_wrapped_configILNS1_25lookback_scan_determinismE0ES3_S9_NS6_6detail15normal_iteratorINS6_10device_ptrIxEEEESG_SG_SG_PmS8_22is_equal_div_10_reduceIxEEE10hipError_tPvRmT2_T3_mT4_T5_T6_T7_T8_P12ihipStream_tbENKUlT_T0_E_clISt17integral_constantIbLb0EES11_EEDaSW_SX_EUlSW_E_NS1_11comp_targetILNS1_3genE0ELNS1_11target_archE4294967295ELNS1_3gpuE0ELNS1_3repE0EEENS1_30default_config_static_selectorELNS0_4arch9wavefront6targetE1EEEvT1_,@function
_ZN7rocprim17ROCPRIM_400000_NS6detail17trampoline_kernelINS0_14default_configENS1_29reduce_by_key_config_selectorIxxN6thrust23THRUST_200600_302600_NS4plusIxEEEEZZNS1_33reduce_by_key_impl_wrapped_configILNS1_25lookback_scan_determinismE0ES3_S9_NS6_6detail15normal_iteratorINS6_10device_ptrIxEEEESG_SG_SG_PmS8_22is_equal_div_10_reduceIxEEE10hipError_tPvRmT2_T3_mT4_T5_T6_T7_T8_P12ihipStream_tbENKUlT_T0_E_clISt17integral_constantIbLb0EES11_EEDaSW_SX_EUlSW_E_NS1_11comp_targetILNS1_3genE0ELNS1_11target_archE4294967295ELNS1_3gpuE0ELNS1_3repE0EEENS1_30default_config_static_selectorELNS0_4arch9wavefront6targetE1EEEvT1_: ; @_ZN7rocprim17ROCPRIM_400000_NS6detail17trampoline_kernelINS0_14default_configENS1_29reduce_by_key_config_selectorIxxN6thrust23THRUST_200600_302600_NS4plusIxEEEEZZNS1_33reduce_by_key_impl_wrapped_configILNS1_25lookback_scan_determinismE0ES3_S9_NS6_6detail15normal_iteratorINS6_10device_ptrIxEEEESG_SG_SG_PmS8_22is_equal_div_10_reduceIxEEE10hipError_tPvRmT2_T3_mT4_T5_T6_T7_T8_P12ihipStream_tbENKUlT_T0_E_clISt17integral_constantIbLb0EES11_EEDaSW_SX_EUlSW_E_NS1_11comp_targetILNS1_3genE0ELNS1_11target_archE4294967295ELNS1_3gpuE0ELNS1_3repE0EEENS1_30default_config_static_selectorELNS0_4arch9wavefront6targetE1EEEvT1_
; %bb.0:
	.section	.rodata,"a",@progbits
	.p2align	6, 0x0
	.amdhsa_kernel _ZN7rocprim17ROCPRIM_400000_NS6detail17trampoline_kernelINS0_14default_configENS1_29reduce_by_key_config_selectorIxxN6thrust23THRUST_200600_302600_NS4plusIxEEEEZZNS1_33reduce_by_key_impl_wrapped_configILNS1_25lookback_scan_determinismE0ES3_S9_NS6_6detail15normal_iteratorINS6_10device_ptrIxEEEESG_SG_SG_PmS8_22is_equal_div_10_reduceIxEEE10hipError_tPvRmT2_T3_mT4_T5_T6_T7_T8_P12ihipStream_tbENKUlT_T0_E_clISt17integral_constantIbLb0EES11_EEDaSW_SX_EUlSW_E_NS1_11comp_targetILNS1_3genE0ELNS1_11target_archE4294967295ELNS1_3gpuE0ELNS1_3repE0EEENS1_30default_config_static_selectorELNS0_4arch9wavefront6targetE1EEEvT1_
		.amdhsa_group_segment_fixed_size 0
		.amdhsa_private_segment_fixed_size 0
		.amdhsa_kernarg_size 136
		.amdhsa_user_sgpr_count 6
		.amdhsa_user_sgpr_private_segment_buffer 1
		.amdhsa_user_sgpr_dispatch_ptr 0
		.amdhsa_user_sgpr_queue_ptr 0
		.amdhsa_user_sgpr_kernarg_segment_ptr 1
		.amdhsa_user_sgpr_dispatch_id 0
		.amdhsa_user_sgpr_flat_scratch_init 0
		.amdhsa_user_sgpr_kernarg_preload_length 0
		.amdhsa_user_sgpr_kernarg_preload_offset 0
		.amdhsa_user_sgpr_private_segment_size 0
		.amdhsa_uses_dynamic_stack 0
		.amdhsa_system_sgpr_private_segment_wavefront_offset 0
		.amdhsa_system_sgpr_workgroup_id_x 1
		.amdhsa_system_sgpr_workgroup_id_y 0
		.amdhsa_system_sgpr_workgroup_id_z 0
		.amdhsa_system_sgpr_workgroup_info 0
		.amdhsa_system_vgpr_workitem_id 0
		.amdhsa_next_free_vgpr 1
		.amdhsa_next_free_sgpr 0
		.amdhsa_accum_offset 4
		.amdhsa_reserve_vcc 0
		.amdhsa_reserve_flat_scratch 0
		.amdhsa_float_round_mode_32 0
		.amdhsa_float_round_mode_16_64 0
		.amdhsa_float_denorm_mode_32 3
		.amdhsa_float_denorm_mode_16_64 3
		.amdhsa_dx10_clamp 1
		.amdhsa_ieee_mode 1
		.amdhsa_fp16_overflow 0
		.amdhsa_tg_split 0
		.amdhsa_exception_fp_ieee_invalid_op 0
		.amdhsa_exception_fp_denorm_src 0
		.amdhsa_exception_fp_ieee_div_zero 0
		.amdhsa_exception_fp_ieee_overflow 0
		.amdhsa_exception_fp_ieee_underflow 0
		.amdhsa_exception_fp_ieee_inexact 0
		.amdhsa_exception_int_div_zero 0
	.end_amdhsa_kernel
	.section	.text._ZN7rocprim17ROCPRIM_400000_NS6detail17trampoline_kernelINS0_14default_configENS1_29reduce_by_key_config_selectorIxxN6thrust23THRUST_200600_302600_NS4plusIxEEEEZZNS1_33reduce_by_key_impl_wrapped_configILNS1_25lookback_scan_determinismE0ES3_S9_NS6_6detail15normal_iteratorINS6_10device_ptrIxEEEESG_SG_SG_PmS8_22is_equal_div_10_reduceIxEEE10hipError_tPvRmT2_T3_mT4_T5_T6_T7_T8_P12ihipStream_tbENKUlT_T0_E_clISt17integral_constantIbLb0EES11_EEDaSW_SX_EUlSW_E_NS1_11comp_targetILNS1_3genE0ELNS1_11target_archE4294967295ELNS1_3gpuE0ELNS1_3repE0EEENS1_30default_config_static_selectorELNS0_4arch9wavefront6targetE1EEEvT1_,"axG",@progbits,_ZN7rocprim17ROCPRIM_400000_NS6detail17trampoline_kernelINS0_14default_configENS1_29reduce_by_key_config_selectorIxxN6thrust23THRUST_200600_302600_NS4plusIxEEEEZZNS1_33reduce_by_key_impl_wrapped_configILNS1_25lookback_scan_determinismE0ES3_S9_NS6_6detail15normal_iteratorINS6_10device_ptrIxEEEESG_SG_SG_PmS8_22is_equal_div_10_reduceIxEEE10hipError_tPvRmT2_T3_mT4_T5_T6_T7_T8_P12ihipStream_tbENKUlT_T0_E_clISt17integral_constantIbLb0EES11_EEDaSW_SX_EUlSW_E_NS1_11comp_targetILNS1_3genE0ELNS1_11target_archE4294967295ELNS1_3gpuE0ELNS1_3repE0EEENS1_30default_config_static_selectorELNS0_4arch9wavefront6targetE1EEEvT1_,comdat
.Lfunc_end508:
	.size	_ZN7rocprim17ROCPRIM_400000_NS6detail17trampoline_kernelINS0_14default_configENS1_29reduce_by_key_config_selectorIxxN6thrust23THRUST_200600_302600_NS4plusIxEEEEZZNS1_33reduce_by_key_impl_wrapped_configILNS1_25lookback_scan_determinismE0ES3_S9_NS6_6detail15normal_iteratorINS6_10device_ptrIxEEEESG_SG_SG_PmS8_22is_equal_div_10_reduceIxEEE10hipError_tPvRmT2_T3_mT4_T5_T6_T7_T8_P12ihipStream_tbENKUlT_T0_E_clISt17integral_constantIbLb0EES11_EEDaSW_SX_EUlSW_E_NS1_11comp_targetILNS1_3genE0ELNS1_11target_archE4294967295ELNS1_3gpuE0ELNS1_3repE0EEENS1_30default_config_static_selectorELNS0_4arch9wavefront6targetE1EEEvT1_, .Lfunc_end508-_ZN7rocprim17ROCPRIM_400000_NS6detail17trampoline_kernelINS0_14default_configENS1_29reduce_by_key_config_selectorIxxN6thrust23THRUST_200600_302600_NS4plusIxEEEEZZNS1_33reduce_by_key_impl_wrapped_configILNS1_25lookback_scan_determinismE0ES3_S9_NS6_6detail15normal_iteratorINS6_10device_ptrIxEEEESG_SG_SG_PmS8_22is_equal_div_10_reduceIxEEE10hipError_tPvRmT2_T3_mT4_T5_T6_T7_T8_P12ihipStream_tbENKUlT_T0_E_clISt17integral_constantIbLb0EES11_EEDaSW_SX_EUlSW_E_NS1_11comp_targetILNS1_3genE0ELNS1_11target_archE4294967295ELNS1_3gpuE0ELNS1_3repE0EEENS1_30default_config_static_selectorELNS0_4arch9wavefront6targetE1EEEvT1_
                                        ; -- End function
	.section	.AMDGPU.csdata,"",@progbits
; Kernel info:
; codeLenInByte = 0
; NumSgprs: 4
; NumVgprs: 0
; NumAgprs: 0
; TotalNumVgprs: 0
; ScratchSize: 0
; MemoryBound: 0
; FloatMode: 240
; IeeeMode: 1
; LDSByteSize: 0 bytes/workgroup (compile time only)
; SGPRBlocks: 0
; VGPRBlocks: 0
; NumSGPRsForWavesPerEU: 4
; NumVGPRsForWavesPerEU: 1
; AccumOffset: 4
; Occupancy: 8
; WaveLimiterHint : 0
; COMPUTE_PGM_RSRC2:SCRATCH_EN: 0
; COMPUTE_PGM_RSRC2:USER_SGPR: 6
; COMPUTE_PGM_RSRC2:TRAP_HANDLER: 0
; COMPUTE_PGM_RSRC2:TGID_X_EN: 1
; COMPUTE_PGM_RSRC2:TGID_Y_EN: 0
; COMPUTE_PGM_RSRC2:TGID_Z_EN: 0
; COMPUTE_PGM_RSRC2:TIDIG_COMP_CNT: 0
; COMPUTE_PGM_RSRC3_GFX90A:ACCUM_OFFSET: 0
; COMPUTE_PGM_RSRC3_GFX90A:TG_SPLIT: 0
	.section	.text._ZN7rocprim17ROCPRIM_400000_NS6detail17trampoline_kernelINS0_14default_configENS1_29reduce_by_key_config_selectorIxxN6thrust23THRUST_200600_302600_NS4plusIxEEEEZZNS1_33reduce_by_key_impl_wrapped_configILNS1_25lookback_scan_determinismE0ES3_S9_NS6_6detail15normal_iteratorINS6_10device_ptrIxEEEESG_SG_SG_PmS8_22is_equal_div_10_reduceIxEEE10hipError_tPvRmT2_T3_mT4_T5_T6_T7_T8_P12ihipStream_tbENKUlT_T0_E_clISt17integral_constantIbLb0EES11_EEDaSW_SX_EUlSW_E_NS1_11comp_targetILNS1_3genE5ELNS1_11target_archE942ELNS1_3gpuE9ELNS1_3repE0EEENS1_30default_config_static_selectorELNS0_4arch9wavefront6targetE1EEEvT1_,"axG",@progbits,_ZN7rocprim17ROCPRIM_400000_NS6detail17trampoline_kernelINS0_14default_configENS1_29reduce_by_key_config_selectorIxxN6thrust23THRUST_200600_302600_NS4plusIxEEEEZZNS1_33reduce_by_key_impl_wrapped_configILNS1_25lookback_scan_determinismE0ES3_S9_NS6_6detail15normal_iteratorINS6_10device_ptrIxEEEESG_SG_SG_PmS8_22is_equal_div_10_reduceIxEEE10hipError_tPvRmT2_T3_mT4_T5_T6_T7_T8_P12ihipStream_tbENKUlT_T0_E_clISt17integral_constantIbLb0EES11_EEDaSW_SX_EUlSW_E_NS1_11comp_targetILNS1_3genE5ELNS1_11target_archE942ELNS1_3gpuE9ELNS1_3repE0EEENS1_30default_config_static_selectorELNS0_4arch9wavefront6targetE1EEEvT1_,comdat
	.protected	_ZN7rocprim17ROCPRIM_400000_NS6detail17trampoline_kernelINS0_14default_configENS1_29reduce_by_key_config_selectorIxxN6thrust23THRUST_200600_302600_NS4plusIxEEEEZZNS1_33reduce_by_key_impl_wrapped_configILNS1_25lookback_scan_determinismE0ES3_S9_NS6_6detail15normal_iteratorINS6_10device_ptrIxEEEESG_SG_SG_PmS8_22is_equal_div_10_reduceIxEEE10hipError_tPvRmT2_T3_mT4_T5_T6_T7_T8_P12ihipStream_tbENKUlT_T0_E_clISt17integral_constantIbLb0EES11_EEDaSW_SX_EUlSW_E_NS1_11comp_targetILNS1_3genE5ELNS1_11target_archE942ELNS1_3gpuE9ELNS1_3repE0EEENS1_30default_config_static_selectorELNS0_4arch9wavefront6targetE1EEEvT1_ ; -- Begin function _ZN7rocprim17ROCPRIM_400000_NS6detail17trampoline_kernelINS0_14default_configENS1_29reduce_by_key_config_selectorIxxN6thrust23THRUST_200600_302600_NS4plusIxEEEEZZNS1_33reduce_by_key_impl_wrapped_configILNS1_25lookback_scan_determinismE0ES3_S9_NS6_6detail15normal_iteratorINS6_10device_ptrIxEEEESG_SG_SG_PmS8_22is_equal_div_10_reduceIxEEE10hipError_tPvRmT2_T3_mT4_T5_T6_T7_T8_P12ihipStream_tbENKUlT_T0_E_clISt17integral_constantIbLb0EES11_EEDaSW_SX_EUlSW_E_NS1_11comp_targetILNS1_3genE5ELNS1_11target_archE942ELNS1_3gpuE9ELNS1_3repE0EEENS1_30default_config_static_selectorELNS0_4arch9wavefront6targetE1EEEvT1_
	.globl	_ZN7rocprim17ROCPRIM_400000_NS6detail17trampoline_kernelINS0_14default_configENS1_29reduce_by_key_config_selectorIxxN6thrust23THRUST_200600_302600_NS4plusIxEEEEZZNS1_33reduce_by_key_impl_wrapped_configILNS1_25lookback_scan_determinismE0ES3_S9_NS6_6detail15normal_iteratorINS6_10device_ptrIxEEEESG_SG_SG_PmS8_22is_equal_div_10_reduceIxEEE10hipError_tPvRmT2_T3_mT4_T5_T6_T7_T8_P12ihipStream_tbENKUlT_T0_E_clISt17integral_constantIbLb0EES11_EEDaSW_SX_EUlSW_E_NS1_11comp_targetILNS1_3genE5ELNS1_11target_archE942ELNS1_3gpuE9ELNS1_3repE0EEENS1_30default_config_static_selectorELNS0_4arch9wavefront6targetE1EEEvT1_
	.p2align	8
	.type	_ZN7rocprim17ROCPRIM_400000_NS6detail17trampoline_kernelINS0_14default_configENS1_29reduce_by_key_config_selectorIxxN6thrust23THRUST_200600_302600_NS4plusIxEEEEZZNS1_33reduce_by_key_impl_wrapped_configILNS1_25lookback_scan_determinismE0ES3_S9_NS6_6detail15normal_iteratorINS6_10device_ptrIxEEEESG_SG_SG_PmS8_22is_equal_div_10_reduceIxEEE10hipError_tPvRmT2_T3_mT4_T5_T6_T7_T8_P12ihipStream_tbENKUlT_T0_E_clISt17integral_constantIbLb0EES11_EEDaSW_SX_EUlSW_E_NS1_11comp_targetILNS1_3genE5ELNS1_11target_archE942ELNS1_3gpuE9ELNS1_3repE0EEENS1_30default_config_static_selectorELNS0_4arch9wavefront6targetE1EEEvT1_,@function
_ZN7rocprim17ROCPRIM_400000_NS6detail17trampoline_kernelINS0_14default_configENS1_29reduce_by_key_config_selectorIxxN6thrust23THRUST_200600_302600_NS4plusIxEEEEZZNS1_33reduce_by_key_impl_wrapped_configILNS1_25lookback_scan_determinismE0ES3_S9_NS6_6detail15normal_iteratorINS6_10device_ptrIxEEEESG_SG_SG_PmS8_22is_equal_div_10_reduceIxEEE10hipError_tPvRmT2_T3_mT4_T5_T6_T7_T8_P12ihipStream_tbENKUlT_T0_E_clISt17integral_constantIbLb0EES11_EEDaSW_SX_EUlSW_E_NS1_11comp_targetILNS1_3genE5ELNS1_11target_archE942ELNS1_3gpuE9ELNS1_3repE0EEENS1_30default_config_static_selectorELNS0_4arch9wavefront6targetE1EEEvT1_: ; @_ZN7rocprim17ROCPRIM_400000_NS6detail17trampoline_kernelINS0_14default_configENS1_29reduce_by_key_config_selectorIxxN6thrust23THRUST_200600_302600_NS4plusIxEEEEZZNS1_33reduce_by_key_impl_wrapped_configILNS1_25lookback_scan_determinismE0ES3_S9_NS6_6detail15normal_iteratorINS6_10device_ptrIxEEEESG_SG_SG_PmS8_22is_equal_div_10_reduceIxEEE10hipError_tPvRmT2_T3_mT4_T5_T6_T7_T8_P12ihipStream_tbENKUlT_T0_E_clISt17integral_constantIbLb0EES11_EEDaSW_SX_EUlSW_E_NS1_11comp_targetILNS1_3genE5ELNS1_11target_archE942ELNS1_3gpuE9ELNS1_3repE0EEENS1_30default_config_static_selectorELNS0_4arch9wavefront6targetE1EEEvT1_
; %bb.0:
	.section	.rodata,"a",@progbits
	.p2align	6, 0x0
	.amdhsa_kernel _ZN7rocprim17ROCPRIM_400000_NS6detail17trampoline_kernelINS0_14default_configENS1_29reduce_by_key_config_selectorIxxN6thrust23THRUST_200600_302600_NS4plusIxEEEEZZNS1_33reduce_by_key_impl_wrapped_configILNS1_25lookback_scan_determinismE0ES3_S9_NS6_6detail15normal_iteratorINS6_10device_ptrIxEEEESG_SG_SG_PmS8_22is_equal_div_10_reduceIxEEE10hipError_tPvRmT2_T3_mT4_T5_T6_T7_T8_P12ihipStream_tbENKUlT_T0_E_clISt17integral_constantIbLb0EES11_EEDaSW_SX_EUlSW_E_NS1_11comp_targetILNS1_3genE5ELNS1_11target_archE942ELNS1_3gpuE9ELNS1_3repE0EEENS1_30default_config_static_selectorELNS0_4arch9wavefront6targetE1EEEvT1_
		.amdhsa_group_segment_fixed_size 0
		.amdhsa_private_segment_fixed_size 0
		.amdhsa_kernarg_size 136
		.amdhsa_user_sgpr_count 6
		.amdhsa_user_sgpr_private_segment_buffer 1
		.amdhsa_user_sgpr_dispatch_ptr 0
		.amdhsa_user_sgpr_queue_ptr 0
		.amdhsa_user_sgpr_kernarg_segment_ptr 1
		.amdhsa_user_sgpr_dispatch_id 0
		.amdhsa_user_sgpr_flat_scratch_init 0
		.amdhsa_user_sgpr_kernarg_preload_length 0
		.amdhsa_user_sgpr_kernarg_preload_offset 0
		.amdhsa_user_sgpr_private_segment_size 0
		.amdhsa_uses_dynamic_stack 0
		.amdhsa_system_sgpr_private_segment_wavefront_offset 0
		.amdhsa_system_sgpr_workgroup_id_x 1
		.amdhsa_system_sgpr_workgroup_id_y 0
		.amdhsa_system_sgpr_workgroup_id_z 0
		.amdhsa_system_sgpr_workgroup_info 0
		.amdhsa_system_vgpr_workitem_id 0
		.amdhsa_next_free_vgpr 1
		.amdhsa_next_free_sgpr 0
		.amdhsa_accum_offset 4
		.amdhsa_reserve_vcc 0
		.amdhsa_reserve_flat_scratch 0
		.amdhsa_float_round_mode_32 0
		.amdhsa_float_round_mode_16_64 0
		.amdhsa_float_denorm_mode_32 3
		.amdhsa_float_denorm_mode_16_64 3
		.amdhsa_dx10_clamp 1
		.amdhsa_ieee_mode 1
		.amdhsa_fp16_overflow 0
		.amdhsa_tg_split 0
		.amdhsa_exception_fp_ieee_invalid_op 0
		.amdhsa_exception_fp_denorm_src 0
		.amdhsa_exception_fp_ieee_div_zero 0
		.amdhsa_exception_fp_ieee_overflow 0
		.amdhsa_exception_fp_ieee_underflow 0
		.amdhsa_exception_fp_ieee_inexact 0
		.amdhsa_exception_int_div_zero 0
	.end_amdhsa_kernel
	.section	.text._ZN7rocprim17ROCPRIM_400000_NS6detail17trampoline_kernelINS0_14default_configENS1_29reduce_by_key_config_selectorIxxN6thrust23THRUST_200600_302600_NS4plusIxEEEEZZNS1_33reduce_by_key_impl_wrapped_configILNS1_25lookback_scan_determinismE0ES3_S9_NS6_6detail15normal_iteratorINS6_10device_ptrIxEEEESG_SG_SG_PmS8_22is_equal_div_10_reduceIxEEE10hipError_tPvRmT2_T3_mT4_T5_T6_T7_T8_P12ihipStream_tbENKUlT_T0_E_clISt17integral_constantIbLb0EES11_EEDaSW_SX_EUlSW_E_NS1_11comp_targetILNS1_3genE5ELNS1_11target_archE942ELNS1_3gpuE9ELNS1_3repE0EEENS1_30default_config_static_selectorELNS0_4arch9wavefront6targetE1EEEvT1_,"axG",@progbits,_ZN7rocprim17ROCPRIM_400000_NS6detail17trampoline_kernelINS0_14default_configENS1_29reduce_by_key_config_selectorIxxN6thrust23THRUST_200600_302600_NS4plusIxEEEEZZNS1_33reduce_by_key_impl_wrapped_configILNS1_25lookback_scan_determinismE0ES3_S9_NS6_6detail15normal_iteratorINS6_10device_ptrIxEEEESG_SG_SG_PmS8_22is_equal_div_10_reduceIxEEE10hipError_tPvRmT2_T3_mT4_T5_T6_T7_T8_P12ihipStream_tbENKUlT_T0_E_clISt17integral_constantIbLb0EES11_EEDaSW_SX_EUlSW_E_NS1_11comp_targetILNS1_3genE5ELNS1_11target_archE942ELNS1_3gpuE9ELNS1_3repE0EEENS1_30default_config_static_selectorELNS0_4arch9wavefront6targetE1EEEvT1_,comdat
.Lfunc_end509:
	.size	_ZN7rocprim17ROCPRIM_400000_NS6detail17trampoline_kernelINS0_14default_configENS1_29reduce_by_key_config_selectorIxxN6thrust23THRUST_200600_302600_NS4plusIxEEEEZZNS1_33reduce_by_key_impl_wrapped_configILNS1_25lookback_scan_determinismE0ES3_S9_NS6_6detail15normal_iteratorINS6_10device_ptrIxEEEESG_SG_SG_PmS8_22is_equal_div_10_reduceIxEEE10hipError_tPvRmT2_T3_mT4_T5_T6_T7_T8_P12ihipStream_tbENKUlT_T0_E_clISt17integral_constantIbLb0EES11_EEDaSW_SX_EUlSW_E_NS1_11comp_targetILNS1_3genE5ELNS1_11target_archE942ELNS1_3gpuE9ELNS1_3repE0EEENS1_30default_config_static_selectorELNS0_4arch9wavefront6targetE1EEEvT1_, .Lfunc_end509-_ZN7rocprim17ROCPRIM_400000_NS6detail17trampoline_kernelINS0_14default_configENS1_29reduce_by_key_config_selectorIxxN6thrust23THRUST_200600_302600_NS4plusIxEEEEZZNS1_33reduce_by_key_impl_wrapped_configILNS1_25lookback_scan_determinismE0ES3_S9_NS6_6detail15normal_iteratorINS6_10device_ptrIxEEEESG_SG_SG_PmS8_22is_equal_div_10_reduceIxEEE10hipError_tPvRmT2_T3_mT4_T5_T6_T7_T8_P12ihipStream_tbENKUlT_T0_E_clISt17integral_constantIbLb0EES11_EEDaSW_SX_EUlSW_E_NS1_11comp_targetILNS1_3genE5ELNS1_11target_archE942ELNS1_3gpuE9ELNS1_3repE0EEENS1_30default_config_static_selectorELNS0_4arch9wavefront6targetE1EEEvT1_
                                        ; -- End function
	.section	.AMDGPU.csdata,"",@progbits
; Kernel info:
; codeLenInByte = 0
; NumSgprs: 4
; NumVgprs: 0
; NumAgprs: 0
; TotalNumVgprs: 0
; ScratchSize: 0
; MemoryBound: 0
; FloatMode: 240
; IeeeMode: 1
; LDSByteSize: 0 bytes/workgroup (compile time only)
; SGPRBlocks: 0
; VGPRBlocks: 0
; NumSGPRsForWavesPerEU: 4
; NumVGPRsForWavesPerEU: 1
; AccumOffset: 4
; Occupancy: 8
; WaveLimiterHint : 0
; COMPUTE_PGM_RSRC2:SCRATCH_EN: 0
; COMPUTE_PGM_RSRC2:USER_SGPR: 6
; COMPUTE_PGM_RSRC2:TRAP_HANDLER: 0
; COMPUTE_PGM_RSRC2:TGID_X_EN: 1
; COMPUTE_PGM_RSRC2:TGID_Y_EN: 0
; COMPUTE_PGM_RSRC2:TGID_Z_EN: 0
; COMPUTE_PGM_RSRC2:TIDIG_COMP_CNT: 0
; COMPUTE_PGM_RSRC3_GFX90A:ACCUM_OFFSET: 0
; COMPUTE_PGM_RSRC3_GFX90A:TG_SPLIT: 0
	.section	.text._ZN7rocprim17ROCPRIM_400000_NS6detail17trampoline_kernelINS0_14default_configENS1_29reduce_by_key_config_selectorIxxN6thrust23THRUST_200600_302600_NS4plusIxEEEEZZNS1_33reduce_by_key_impl_wrapped_configILNS1_25lookback_scan_determinismE0ES3_S9_NS6_6detail15normal_iteratorINS6_10device_ptrIxEEEESG_SG_SG_PmS8_22is_equal_div_10_reduceIxEEE10hipError_tPvRmT2_T3_mT4_T5_T6_T7_T8_P12ihipStream_tbENKUlT_T0_E_clISt17integral_constantIbLb0EES11_EEDaSW_SX_EUlSW_E_NS1_11comp_targetILNS1_3genE4ELNS1_11target_archE910ELNS1_3gpuE8ELNS1_3repE0EEENS1_30default_config_static_selectorELNS0_4arch9wavefront6targetE1EEEvT1_,"axG",@progbits,_ZN7rocprim17ROCPRIM_400000_NS6detail17trampoline_kernelINS0_14default_configENS1_29reduce_by_key_config_selectorIxxN6thrust23THRUST_200600_302600_NS4plusIxEEEEZZNS1_33reduce_by_key_impl_wrapped_configILNS1_25lookback_scan_determinismE0ES3_S9_NS6_6detail15normal_iteratorINS6_10device_ptrIxEEEESG_SG_SG_PmS8_22is_equal_div_10_reduceIxEEE10hipError_tPvRmT2_T3_mT4_T5_T6_T7_T8_P12ihipStream_tbENKUlT_T0_E_clISt17integral_constantIbLb0EES11_EEDaSW_SX_EUlSW_E_NS1_11comp_targetILNS1_3genE4ELNS1_11target_archE910ELNS1_3gpuE8ELNS1_3repE0EEENS1_30default_config_static_selectorELNS0_4arch9wavefront6targetE1EEEvT1_,comdat
	.protected	_ZN7rocprim17ROCPRIM_400000_NS6detail17trampoline_kernelINS0_14default_configENS1_29reduce_by_key_config_selectorIxxN6thrust23THRUST_200600_302600_NS4plusIxEEEEZZNS1_33reduce_by_key_impl_wrapped_configILNS1_25lookback_scan_determinismE0ES3_S9_NS6_6detail15normal_iteratorINS6_10device_ptrIxEEEESG_SG_SG_PmS8_22is_equal_div_10_reduceIxEEE10hipError_tPvRmT2_T3_mT4_T5_T6_T7_T8_P12ihipStream_tbENKUlT_T0_E_clISt17integral_constantIbLb0EES11_EEDaSW_SX_EUlSW_E_NS1_11comp_targetILNS1_3genE4ELNS1_11target_archE910ELNS1_3gpuE8ELNS1_3repE0EEENS1_30default_config_static_selectorELNS0_4arch9wavefront6targetE1EEEvT1_ ; -- Begin function _ZN7rocprim17ROCPRIM_400000_NS6detail17trampoline_kernelINS0_14default_configENS1_29reduce_by_key_config_selectorIxxN6thrust23THRUST_200600_302600_NS4plusIxEEEEZZNS1_33reduce_by_key_impl_wrapped_configILNS1_25lookback_scan_determinismE0ES3_S9_NS6_6detail15normal_iteratorINS6_10device_ptrIxEEEESG_SG_SG_PmS8_22is_equal_div_10_reduceIxEEE10hipError_tPvRmT2_T3_mT4_T5_T6_T7_T8_P12ihipStream_tbENKUlT_T0_E_clISt17integral_constantIbLb0EES11_EEDaSW_SX_EUlSW_E_NS1_11comp_targetILNS1_3genE4ELNS1_11target_archE910ELNS1_3gpuE8ELNS1_3repE0EEENS1_30default_config_static_selectorELNS0_4arch9wavefront6targetE1EEEvT1_
	.globl	_ZN7rocprim17ROCPRIM_400000_NS6detail17trampoline_kernelINS0_14default_configENS1_29reduce_by_key_config_selectorIxxN6thrust23THRUST_200600_302600_NS4plusIxEEEEZZNS1_33reduce_by_key_impl_wrapped_configILNS1_25lookback_scan_determinismE0ES3_S9_NS6_6detail15normal_iteratorINS6_10device_ptrIxEEEESG_SG_SG_PmS8_22is_equal_div_10_reduceIxEEE10hipError_tPvRmT2_T3_mT4_T5_T6_T7_T8_P12ihipStream_tbENKUlT_T0_E_clISt17integral_constantIbLb0EES11_EEDaSW_SX_EUlSW_E_NS1_11comp_targetILNS1_3genE4ELNS1_11target_archE910ELNS1_3gpuE8ELNS1_3repE0EEENS1_30default_config_static_selectorELNS0_4arch9wavefront6targetE1EEEvT1_
	.p2align	8
	.type	_ZN7rocprim17ROCPRIM_400000_NS6detail17trampoline_kernelINS0_14default_configENS1_29reduce_by_key_config_selectorIxxN6thrust23THRUST_200600_302600_NS4plusIxEEEEZZNS1_33reduce_by_key_impl_wrapped_configILNS1_25lookback_scan_determinismE0ES3_S9_NS6_6detail15normal_iteratorINS6_10device_ptrIxEEEESG_SG_SG_PmS8_22is_equal_div_10_reduceIxEEE10hipError_tPvRmT2_T3_mT4_T5_T6_T7_T8_P12ihipStream_tbENKUlT_T0_E_clISt17integral_constantIbLb0EES11_EEDaSW_SX_EUlSW_E_NS1_11comp_targetILNS1_3genE4ELNS1_11target_archE910ELNS1_3gpuE8ELNS1_3repE0EEENS1_30default_config_static_selectorELNS0_4arch9wavefront6targetE1EEEvT1_,@function
_ZN7rocprim17ROCPRIM_400000_NS6detail17trampoline_kernelINS0_14default_configENS1_29reduce_by_key_config_selectorIxxN6thrust23THRUST_200600_302600_NS4plusIxEEEEZZNS1_33reduce_by_key_impl_wrapped_configILNS1_25lookback_scan_determinismE0ES3_S9_NS6_6detail15normal_iteratorINS6_10device_ptrIxEEEESG_SG_SG_PmS8_22is_equal_div_10_reduceIxEEE10hipError_tPvRmT2_T3_mT4_T5_T6_T7_T8_P12ihipStream_tbENKUlT_T0_E_clISt17integral_constantIbLb0EES11_EEDaSW_SX_EUlSW_E_NS1_11comp_targetILNS1_3genE4ELNS1_11target_archE910ELNS1_3gpuE8ELNS1_3repE0EEENS1_30default_config_static_selectorELNS0_4arch9wavefront6targetE1EEEvT1_: ; @_ZN7rocprim17ROCPRIM_400000_NS6detail17trampoline_kernelINS0_14default_configENS1_29reduce_by_key_config_selectorIxxN6thrust23THRUST_200600_302600_NS4plusIxEEEEZZNS1_33reduce_by_key_impl_wrapped_configILNS1_25lookback_scan_determinismE0ES3_S9_NS6_6detail15normal_iteratorINS6_10device_ptrIxEEEESG_SG_SG_PmS8_22is_equal_div_10_reduceIxEEE10hipError_tPvRmT2_T3_mT4_T5_T6_T7_T8_P12ihipStream_tbENKUlT_T0_E_clISt17integral_constantIbLb0EES11_EEDaSW_SX_EUlSW_E_NS1_11comp_targetILNS1_3genE4ELNS1_11target_archE910ELNS1_3gpuE8ELNS1_3repE0EEENS1_30default_config_static_selectorELNS0_4arch9wavefront6targetE1EEEvT1_
; %bb.0:
	s_load_dwordx8 s[52:59], s[4:5], 0x0
	s_load_dwordx4 s[60:63], s[4:5], 0x20
	s_load_dwordx16 s[36:51], s[4:5], 0x38
	v_mul_u32_u24_e32 v76, 15, v0
	s_waitcnt lgkmcnt(0)
	s_lshl_b64 s[0:1], s[54:55], 3
	s_add_u32 s2, s52, s0
	s_addc_u32 s3, s53, s1
	s_add_u32 s8, s56, s0
	s_addc_u32 s9, s57, s1
	s_mul_i32 s0, s44, s43
	s_mul_hi_u32 s1, s44, s42
	s_add_i32 s0, s1, s0
	s_mul_i32 s1, s45, s42
	s_add_i32 s10, s0, s1
	s_mul_i32 s0, s6, 0xf00
	s_mov_b32 s1, 0
	s_lshl_b64 s[0:1], s[0:1], 3
	s_add_u32 s7, s2, s0
	s_addc_u32 s56, s3, s1
	s_add_u32 s57, s8, s0
	s_mul_i32 s11, s44, s42
	s_addc_u32 s64, s9, s1
	s_add_u32 s52, s11, s6
	s_addc_u32 s53, s10, 0
	s_add_u32 s2, s46, -1
	s_addc_u32 s3, s47, -1
	s_cmp_eq_u64 s[52:53], s[2:3]
	s_cselect_b64 s[34:35], -1, 0
	s_cmp_lg_u64 s[52:53], s[2:3]
	s_mov_b64 s[0:1], -1
	s_cselect_b64 s[54:55], -1, 0
	s_mul_i32 s33, s2, 0xfffff100
	s_and_b64 vcc, exec, s[34:35]
	s_cbranch_vccnz .LBB510_2
; %bb.1:
	v_lshlrev_b32_e32 v66, 3, v0
	v_mov_b32_e32 v1, s56
	v_add_co_u32_e32 v2, vcc, s7, v66
	v_addc_co_u32_e32 v3, vcc, 0, v1, vcc
	v_add_co_u32_e32 v4, vcc, 0x1000, v2
	v_addc_co_u32_e32 v5, vcc, 0, v3, vcc
	flat_load_dwordx2 v[6:7], v[2:3]
	flat_load_dwordx2 v[8:9], v[2:3] offset:2048
	flat_load_dwordx2 v[10:11], v[4:5]
	flat_load_dwordx2 v[12:13], v[4:5] offset:2048
	v_add_co_u32_e32 v4, vcc, 0x2000, v2
	v_addc_co_u32_e32 v5, vcc, 0, v3, vcc
	v_add_co_u32_e32 v14, vcc, 0x3000, v2
	v_addc_co_u32_e32 v15, vcc, 0, v3, vcc
	flat_load_dwordx2 v[16:17], v[4:5]
	flat_load_dwordx2 v[18:19], v[4:5] offset:2048
	flat_load_dwordx2 v[20:21], v[14:15]
	flat_load_dwordx2 v[22:23], v[14:15] offset:2048
	;; [unrolled: 8-line block ×3, first 2 shown]
	v_add_co_u32_e32 v4, vcc, 0x6000, v2
	v_addc_co_u32_e32 v5, vcc, 0, v3, vcc
	v_add_co_u32_e32 v2, vcc, 0x7000, v2
	v_addc_co_u32_e32 v3, vcc, 0, v3, vcc
	flat_load_dwordx2 v[14:15], v[4:5]
	flat_load_dwordx2 v[32:33], v[4:5] offset:2048
	flat_load_dwordx2 v[34:35], v[2:3]
	v_mov_b32_e32 v36, s64
	s_movk_i32 s0, 0x1000
	s_movk_i32 s11, 0x70
	;; [unrolled: 1-line block ×3, first 2 shown]
	v_mad_u32_u24 v1, v0, s11, v66
	s_movk_i32 s2, 0x3000
	s_movk_i32 s3, 0x4000
	;; [unrolled: 1-line block ×5, first 2 shown]
	s_waitcnt vmcnt(0) lgkmcnt(0)
	ds_write2st64_b64 v66, v[6:7], v[8:9] offset1:4
	ds_write2st64_b64 v66, v[10:11], v[12:13] offset0:8 offset1:12
	ds_write2st64_b64 v66, v[16:17], v[18:19] offset0:16 offset1:20
	;; [unrolled: 1-line block ×6, first 2 shown]
	ds_write_b64 v66, v[34:35] offset:28672
	v_add_co_u32_e32 v30, vcc, s57, v66
	v_addc_co_u32_e32 v31, vcc, 0, v36, vcc
	v_add_co_u32_e32 v32, vcc, s0, v30
	v_addc_co_u32_e32 v33, vcc, 0, v31, vcc
	s_waitcnt lgkmcnt(0)
	s_barrier
	ds_read2_b64 v[26:29], v1 offset1:1
	ds_read2_b64 v[22:25], v1 offset0:2 offset1:3
	ds_read2_b64 v[18:21], v1 offset0:4 offset1:5
	;; [unrolled: 1-line block ×6, first 2 shown]
	ds_read_b64 v[58:59], v1 offset:112
	s_waitcnt lgkmcnt(0)
	s_barrier
	flat_load_dwordx2 v[34:35], v[30:31]
	flat_load_dwordx2 v[36:37], v[30:31] offset:2048
	flat_load_dwordx2 v[38:39], v[32:33]
	flat_load_dwordx2 v[40:41], v[32:33] offset:2048
	v_add_co_u32_e32 v32, vcc, s1, v30
	v_addc_co_u32_e32 v33, vcc, 0, v31, vcc
	v_add_co_u32_e32 v42, vcc, s2, v30
	v_addc_co_u32_e32 v43, vcc, 0, v31, vcc
	flat_load_dwordx2 v[44:45], v[32:33]
	flat_load_dwordx2 v[46:47], v[32:33] offset:2048
	flat_load_dwordx2 v[48:49], v[42:43]
	flat_load_dwordx2 v[50:51], v[42:43] offset:2048
	v_add_co_u32_e32 v32, vcc, s3, v30
	v_addc_co_u32_e32 v33, vcc, 0, v31, vcc
	v_add_co_u32_e32 v42, vcc, s8, v30
	v_addc_co_u32_e32 v43, vcc, 0, v31, vcc
	;; [unrolled: 8-line block ×3, first 2 shown]
	flat_load_dwordx2 v[42:43], v[32:33]
	flat_load_dwordx2 v[62:63], v[32:33] offset:2048
	flat_load_dwordx2 v[64:65], v[30:31]
	v_mul_u32_u24_e32 v30, 15, v0
	s_waitcnt vmcnt(0) lgkmcnt(0)
	ds_write2st64_b64 v66, v[34:35], v[36:37] offset1:4
	ds_write2st64_b64 v66, v[38:39], v[40:41] offset0:8 offset1:12
	ds_write2st64_b64 v66, v[44:45], v[46:47] offset0:16 offset1:20
	;; [unrolled: 1-line block ×6, first 2 shown]
	ds_write_b64 v66, v[64:65] offset:28672
	s_waitcnt lgkmcnt(0)
	s_barrier
	s_load_dwordx2 s[46:47], s[4:5], 0x78
	s_add_i32 s33, s33, s48
	s_cbranch_execz .LBB510_3
	s_branch .LBB510_50
.LBB510_2:
                                        ; implicit-def: $vgpr2_vgpr3_vgpr4_vgpr5
                                        ; implicit-def: $vgpr6_vgpr7_vgpr8_vgpr9
                                        ; implicit-def: $vgpr10_vgpr11_vgpr12_vgpr13
                                        ; implicit-def: $vgpr14_vgpr15_vgpr16_vgpr17
                                        ; implicit-def: $vgpr18_vgpr19_vgpr20_vgpr21
                                        ; implicit-def: $vgpr22_vgpr23_vgpr24_vgpr25
                                        ; implicit-def: $vgpr26_vgpr27_vgpr28_vgpr29
                                        ; implicit-def: $vgpr30
                                        ; implicit-def: $vgpr1
                                        ; implicit-def: $vgpr58_vgpr59
	s_load_dwordx2 s[46:47], s[4:5], 0x78
	s_andn2_b64 vcc, exec, s[0:1]
	s_add_i32 s33, s33, s48
	s_cbranch_vccnz .LBB510_50
.LBB510_3:
	v_cmp_gt_u32_e32 vcc, s33, v0
                                        ; implicit-def: $vgpr2_vgpr3
	s_and_saveexec_b64 s[2:3], vcc
	s_cbranch_execz .LBB510_5
; %bb.4:
	v_lshlrev_b32_e32 v1, 3, v0
	v_mov_b32_e32 v3, s56
	v_add_co_u32_e64 v2, s[0:1], s7, v1
	v_addc_co_u32_e64 v3, s[0:1], 0, v3, s[0:1]
	flat_load_dwordx2 v[2:3], v[2:3]
.LBB510_5:
	s_or_b64 exec, exec, s[2:3]
	v_or_b32_e32 v1, 0x100, v0
	v_cmp_gt_u32_e64 s[0:1], s33, v1
                                        ; implicit-def: $vgpr4_vgpr5
	s_and_saveexec_b64 s[4:5], s[0:1]
	s_cbranch_execz .LBB510_7
; %bb.6:
	v_lshlrev_b32_e32 v1, 3, v0
	v_mov_b32_e32 v5, s56
	v_add_co_u32_e64 v4, s[2:3], s7, v1
	v_addc_co_u32_e64 v5, s[2:3], 0, v5, s[2:3]
	flat_load_dwordx2 v[4:5], v[4:5] offset:2048
.LBB510_7:
	s_or_b64 exec, exec, s[4:5]
	v_or_b32_e32 v1, 0x200, v0
	v_cmp_gt_u32_e64 s[2:3], s33, v1
	v_lshlrev_b32_e32 v36, 3, v1
                                        ; implicit-def: $vgpr6_vgpr7
	s_and_saveexec_b64 s[8:9], s[2:3]
	s_cbranch_execz .LBB510_9
; %bb.8:
	v_mov_b32_e32 v1, s56
	v_add_co_u32_e64 v6, s[4:5], s7, v36
	v_addc_co_u32_e64 v7, s[4:5], 0, v1, s[4:5]
	flat_load_dwordx2 v[6:7], v[6:7]
.LBB510_9:
	s_or_b64 exec, exec, s[8:9]
	v_or_b32_e32 v1, 0x300, v0
	v_cmp_gt_u32_e64 s[4:5], s33, v1
	v_lshlrev_b32_e32 v38, 3, v1
                                        ; implicit-def: $vgpr8_vgpr9
	s_and_saveexec_b64 s[10:11], s[4:5]
	s_cbranch_execz .LBB510_11
; %bb.10:
	v_mov_b32_e32 v1, s56
	v_add_co_u32_e64 v8, s[8:9], s7, v38
	v_addc_co_u32_e64 v9, s[8:9], 0, v1, s[8:9]
	flat_load_dwordx2 v[8:9], v[8:9]
.LBB510_11:
	s_or_b64 exec, exec, s[10:11]
	v_or_b32_e32 v1, 0x400, v0
	v_cmp_gt_u32_e64 s[28:29], s33, v1
	v_lshlrev_b32_e32 v40, 3, v1
                                        ; implicit-def: $vgpr10_vgpr11
	s_and_saveexec_b64 s[10:11], s[28:29]
	s_cbranch_execz .LBB510_13
; %bb.12:
	v_mov_b32_e32 v1, s56
	v_add_co_u32_e64 v10, s[8:9], s7, v40
	v_addc_co_u32_e64 v11, s[8:9], 0, v1, s[8:9]
	flat_load_dwordx2 v[10:11], v[10:11]
.LBB510_13:
	s_or_b64 exec, exec, s[10:11]
	v_or_b32_e32 v1, 0x500, v0
	v_cmp_gt_u32_e64 s[8:9], s33, v1
	v_lshlrev_b32_e32 v42, 3, v1
                                        ; implicit-def: $vgpr12_vgpr13
	s_and_saveexec_b64 s[12:13], s[8:9]
	s_cbranch_execz .LBB510_15
; %bb.14:
	v_mov_b32_e32 v1, s56
	v_add_co_u32_e64 v12, s[10:11], s7, v42
	v_addc_co_u32_e64 v13, s[10:11], 0, v1, s[10:11]
	flat_load_dwordx2 v[12:13], v[12:13]
.LBB510_15:
	s_or_b64 exec, exec, s[12:13]
	v_or_b32_e32 v1, 0x600, v0
	v_cmp_gt_u32_e64 s[10:11], s33, v1
	v_lshlrev_b32_e32 v44, 3, v1
                                        ; implicit-def: $vgpr14_vgpr15
	s_and_saveexec_b64 s[14:15], s[10:11]
	s_cbranch_execz .LBB510_17
; %bb.16:
	v_mov_b32_e32 v1, s56
	v_add_co_u32_e64 v14, s[12:13], s7, v44
	v_addc_co_u32_e64 v15, s[12:13], 0, v1, s[12:13]
	flat_load_dwordx2 v[14:15], v[14:15]
.LBB510_17:
	s_or_b64 exec, exec, s[14:15]
	v_or_b32_e32 v1, 0x700, v0
	v_cmp_gt_u32_e64 s[12:13], s33, v1
	v_lshlrev_b32_e32 v46, 3, v1
                                        ; implicit-def: $vgpr16_vgpr17
	s_and_saveexec_b64 s[16:17], s[12:13]
	s_cbranch_execz .LBB510_19
; %bb.18:
	v_mov_b32_e32 v1, s56
	v_add_co_u32_e64 v16, s[14:15], s7, v46
	v_addc_co_u32_e64 v17, s[14:15], 0, v1, s[14:15]
	flat_load_dwordx2 v[16:17], v[16:17]
.LBB510_19:
	s_or_b64 exec, exec, s[16:17]
	v_or_b32_e32 v1, 0x800, v0
	v_cmp_gt_u32_e64 s[14:15], s33, v1
	v_lshlrev_b32_e32 v48, 3, v1
                                        ; implicit-def: $vgpr18_vgpr19
	s_and_saveexec_b64 s[18:19], s[14:15]
	s_cbranch_execz .LBB510_21
; %bb.20:
	v_mov_b32_e32 v1, s56
	v_add_co_u32_e64 v18, s[16:17], s7, v48
	v_addc_co_u32_e64 v19, s[16:17], 0, v1, s[16:17]
	flat_load_dwordx2 v[18:19], v[18:19]
.LBB510_21:
	s_or_b64 exec, exec, s[18:19]
	v_or_b32_e32 v1, 0x900, v0
	v_cmp_gt_u32_e64 s[16:17], s33, v1
	v_lshlrev_b32_e32 v50, 3, v1
                                        ; implicit-def: $vgpr20_vgpr21
	s_and_saveexec_b64 s[20:21], s[16:17]
	s_cbranch_execz .LBB510_23
; %bb.22:
	v_mov_b32_e32 v1, s56
	v_add_co_u32_e64 v20, s[18:19], s7, v50
	v_addc_co_u32_e64 v21, s[18:19], 0, v1, s[18:19]
	flat_load_dwordx2 v[20:21], v[20:21]
.LBB510_23:
	s_or_b64 exec, exec, s[20:21]
	v_or_b32_e32 v1, 0xa00, v0
	v_cmp_gt_u32_e64 s[18:19], s33, v1
	v_lshlrev_b32_e32 v52, 3, v1
                                        ; implicit-def: $vgpr22_vgpr23
	s_and_saveexec_b64 s[22:23], s[18:19]
	s_cbranch_execz .LBB510_25
; %bb.24:
	v_mov_b32_e32 v1, s56
	v_add_co_u32_e64 v22, s[20:21], s7, v52
	v_addc_co_u32_e64 v23, s[20:21], 0, v1, s[20:21]
	flat_load_dwordx2 v[22:23], v[22:23]
.LBB510_25:
	s_or_b64 exec, exec, s[22:23]
	v_or_b32_e32 v1, 0xb00, v0
	v_cmp_gt_u32_e64 s[20:21], s33, v1
	v_lshlrev_b32_e32 v54, 3, v1
                                        ; implicit-def: $vgpr24_vgpr25
	s_and_saveexec_b64 s[24:25], s[20:21]
	s_cbranch_execz .LBB510_27
; %bb.26:
	v_mov_b32_e32 v1, s56
	v_add_co_u32_e64 v24, s[22:23], s7, v54
	v_addc_co_u32_e64 v25, s[22:23], 0, v1, s[22:23]
	flat_load_dwordx2 v[24:25], v[24:25]
.LBB510_27:
	s_or_b64 exec, exec, s[24:25]
	v_or_b32_e32 v1, 0xc00, v0
	v_cmp_gt_u32_e64 s[22:23], s33, v1
	v_lshlrev_b32_e32 v56, 3, v1
                                        ; implicit-def: $vgpr26_vgpr27
	s_and_saveexec_b64 s[26:27], s[22:23]
	s_cbranch_execz .LBB510_29
; %bb.28:
	v_mov_b32_e32 v1, s56
	v_add_co_u32_e64 v26, s[24:25], s7, v56
	v_addc_co_u32_e64 v27, s[24:25], 0, v1, s[24:25]
	flat_load_dwordx2 v[26:27], v[26:27]
.LBB510_29:
	s_or_b64 exec, exec, s[26:27]
	v_or_b32_e32 v1, 0xd00, v0
	v_cmp_gt_u32_e64 s[24:25], s33, v1
	v_lshlrev_b32_e32 v60, 3, v1
                                        ; implicit-def: $vgpr28_vgpr29
	s_and_saveexec_b64 s[30:31], s[24:25]
	s_cbranch_execz .LBB510_31
; %bb.30:
	v_mov_b32_e32 v1, s56
	v_add_co_u32_e64 v28, s[26:27], s7, v60
	v_addc_co_u32_e64 v29, s[26:27], 0, v1, s[26:27]
	flat_load_dwordx2 v[28:29], v[28:29]
.LBB510_31:
	s_or_b64 exec, exec, s[30:31]
	v_or_b32_e32 v1, 0xe00, v0
	v_cmp_gt_u32_e64 s[26:27], s33, v1
	v_lshlrev_b32_e32 v62, 3, v1
                                        ; implicit-def: $vgpr30_vgpr31
	s_and_saveexec_b64 s[44:45], s[26:27]
	s_cbranch_execz .LBB510_33
; %bb.32:
	v_mov_b32_e32 v1, s56
	v_add_co_u32_e64 v30, s[30:31], s7, v62
	v_addc_co_u32_e64 v31, s[30:31], 0, v1, s[30:31]
	flat_load_dwordx2 v[30:31], v[30:31]
.LBB510_33:
	s_or_b64 exec, exec, s[44:45]
	v_lshlrev_b32_e32 v63, 3, v0
	s_movk_i32 s30, 0x70
	v_mad_u32_u24 v1, v0, s30, v63
	s_waitcnt vmcnt(0) lgkmcnt(0)
	ds_write2st64_b64 v63, v[2:3], v[4:5] offset1:4
	ds_write2st64_b64 v63, v[6:7], v[8:9] offset0:8 offset1:12
	ds_write2st64_b64 v63, v[10:11], v[12:13] offset0:16 offset1:20
	;; [unrolled: 1-line block ×6, first 2 shown]
	ds_write_b64 v63, v[30:31] offset:28672
	s_waitcnt lgkmcnt(0)
	s_barrier
	ds_read2_b64 v[26:29], v1 offset1:1
	ds_read2_b64 v[22:25], v1 offset0:2 offset1:3
	ds_read2_b64 v[18:21], v1 offset0:4 offset1:5
	;; [unrolled: 1-line block ×6, first 2 shown]
	ds_read_b64 v[58:59], v1 offset:112
	s_waitcnt lgkmcnt(0)
	s_barrier
	s_waitcnt lgkmcnt(0)
                                        ; implicit-def: $vgpr30_vgpr31
	s_and_saveexec_b64 s[30:31], vcc
	s_cbranch_execnz .LBB510_57
; %bb.34:
	s_or_b64 exec, exec, s[30:31]
                                        ; implicit-def: $vgpr32_vgpr33
	s_and_saveexec_b64 s[30:31], s[0:1]
	s_cbranch_execnz .LBB510_58
.LBB510_35:
	s_or_b64 exec, exec, s[30:31]
                                        ; implicit-def: $vgpr34_vgpr35
	s_and_saveexec_b64 s[0:1], s[2:3]
	s_cbranch_execnz .LBB510_59
.LBB510_36:
	s_or_b64 exec, exec, s[0:1]
                                        ; implicit-def: $vgpr36_vgpr37
	s_and_saveexec_b64 s[0:1], s[4:5]
	s_cbranch_execnz .LBB510_60
.LBB510_37:
	s_or_b64 exec, exec, s[0:1]
                                        ; implicit-def: $vgpr38_vgpr39
	s_and_saveexec_b64 s[0:1], s[28:29]
	s_cbranch_execnz .LBB510_61
.LBB510_38:
	s_or_b64 exec, exec, s[0:1]
                                        ; implicit-def: $vgpr40_vgpr41
	s_and_saveexec_b64 s[0:1], s[8:9]
	s_cbranch_execnz .LBB510_62
.LBB510_39:
	s_or_b64 exec, exec, s[0:1]
                                        ; implicit-def: $vgpr42_vgpr43
	s_and_saveexec_b64 s[0:1], s[10:11]
	s_cbranch_execnz .LBB510_63
.LBB510_40:
	s_or_b64 exec, exec, s[0:1]
                                        ; implicit-def: $vgpr44_vgpr45
	s_and_saveexec_b64 s[0:1], s[12:13]
	s_cbranch_execnz .LBB510_64
.LBB510_41:
	s_or_b64 exec, exec, s[0:1]
                                        ; implicit-def: $vgpr46_vgpr47
	s_and_saveexec_b64 s[0:1], s[14:15]
	s_cbranch_execnz .LBB510_65
.LBB510_42:
	s_or_b64 exec, exec, s[0:1]
                                        ; implicit-def: $vgpr48_vgpr49
	s_and_saveexec_b64 s[0:1], s[16:17]
	s_cbranch_execnz .LBB510_66
.LBB510_43:
	s_or_b64 exec, exec, s[0:1]
                                        ; implicit-def: $vgpr50_vgpr51
	s_and_saveexec_b64 s[0:1], s[18:19]
	s_cbranch_execnz .LBB510_67
.LBB510_44:
	s_or_b64 exec, exec, s[0:1]
                                        ; implicit-def: $vgpr52_vgpr53
	s_and_saveexec_b64 s[0:1], s[20:21]
	s_cbranch_execnz .LBB510_68
.LBB510_45:
	s_or_b64 exec, exec, s[0:1]
                                        ; implicit-def: $vgpr54_vgpr55
	s_and_saveexec_b64 s[0:1], s[22:23]
	s_cbranch_execnz .LBB510_69
.LBB510_46:
	s_or_b64 exec, exec, s[0:1]
                                        ; implicit-def: $vgpr56_vgpr57
	s_and_saveexec_b64 s[0:1], s[24:25]
	s_cbranch_execnz .LBB510_70
.LBB510_47:
	s_or_b64 exec, exec, s[0:1]
                                        ; implicit-def: $vgpr60_vgpr61
	s_and_saveexec_b64 s[0:1], s[26:27]
	s_cbranch_execz .LBB510_49
.LBB510_48:
	v_mov_b32_e32 v61, s64
	v_add_co_u32_e32 v60, vcc, s57, v62
	v_addc_co_u32_e32 v61, vcc, 0, v61, vcc
	flat_load_dwordx2 v[60:61], v[60:61]
.LBB510_49:
	s_or_b64 exec, exec, s[0:1]
	s_waitcnt vmcnt(0) lgkmcnt(0)
	ds_write2st64_b64 v63, v[30:31], v[32:33] offset1:4
	ds_write2st64_b64 v63, v[34:35], v[36:37] offset0:8 offset1:12
	ds_write2st64_b64 v63, v[38:39], v[40:41] offset0:16 offset1:20
	;; [unrolled: 1-line block ×6, first 2 shown]
	ds_write_b64 v63, v[60:61] offset:28672
	v_mov_b32_e32 v30, v76
	s_waitcnt lgkmcnt(0)
	s_barrier
.LBB510_50:
	v_lshlrev_b32_e32 v60, 3, v30
	s_waitcnt lgkmcnt(0)
	ds_read2_b64 v[50:53], v1 offset1:2
	ds_read2_b64 v[42:45], v1 offset0:4 offset1:6
	ds_read2_b64 v[54:57], v60 offset0:1 offset1:3
	;; [unrolled: 1-line block ×6, first 2 shown]
	ds_read_b64 v[60:61], v60 offset:104
	s_cmp_eq_u64 s[52:53], 0
	s_cselect_b64 s[44:45], -1, 0
	s_cmp_lg_u64 s[52:53], 0
	s_mov_b64 s[0:1], 0
	s_cselect_b64 s[30:31], -1, 0
	s_and_b64 vcc, exec, s[54:55]
	s_waitcnt lgkmcnt(0)
	s_barrier
	s_cbranch_vccz .LBB510_56
; %bb.51:
	s_and_b64 vcc, exec, s[30:31]
	s_cbranch_vccz .LBB510_71
; %bb.52:
	v_mov_b32_e32 v1, s56
	v_add_co_u32_e64 v62, vcc, -8, s7
	v_addc_co_u32_e32 v63, vcc, -1, v1, vcc
	flat_load_dwordx2 v[62:63], v[62:63]
	s_mov_b32 s57, 0x66666667
	s_waitcnt vmcnt(0) lgkmcnt(0)
	v_mul_hi_i32 v63, v4, s57
	v_lshrrev_b32_e32 v64, 31, v63
	v_ashrrev_i32_e32 v63, 2, v63
	v_add_u32_e32 v63, v63, v64
	v_mul_hi_i32 v64, v58, s57
	v_lshrrev_b32_e32 v65, 31, v64
	v_ashrrev_i32_e32 v64, 2, v64
	v_add_u32_e32 v64, v64, v65
	v_cmp_ne_u32_e32 vcc, v63, v64
	v_mul_hi_i32 v64, v2, s57
	v_lshrrev_b32_e32 v65, 31, v64
	v_ashrrev_i32_e32 v64, 2, v64
	v_add_u32_e32 v64, v64, v65
	v_cmp_ne_u32_e64 s[0:1], v64, v63
	v_mul_hi_i32 v63, v8, s57
	v_lshrrev_b32_e32 v65, 31, v63
	v_ashrrev_i32_e32 v63, 2, v63
	v_add_u32_e32 v63, v63, v65
	v_cmp_ne_u32_e64 s[2:3], v63, v64
	v_mul_hi_i32 v64, v6, s57
	v_lshrrev_b32_e32 v65, 31, v64
	v_ashrrev_i32_e32 v64, 2, v64
	v_add_u32_e32 v64, v64, v65
	v_cmp_ne_u32_e64 s[4:5], v64, v63
	v_mul_hi_i32 v63, v12, s57
	v_lshrrev_b32_e32 v65, 31, v63
	v_ashrrev_i32_e32 v63, 2, v63
	v_add_u32_e32 v63, v63, v65
	v_cmp_ne_u32_e64 s[26:27], v63, v64
	v_mul_hi_i32 v64, v10, s57
	v_lshrrev_b32_e32 v65, 31, v64
	v_ashrrev_i32_e32 v64, 2, v64
	v_add_u32_e32 v64, v64, v65
	v_cmp_ne_u32_e64 s[8:9], v64, v63
	v_mul_hi_i32 v63, v16, s57
	v_lshrrev_b32_e32 v65, 31, v63
	v_ashrrev_i32_e32 v63, 2, v63
	v_add_u32_e32 v63, v63, v65
	v_cmp_ne_u32_e64 s[10:11], v63, v64
	v_mul_hi_i32 v64, v14, s57
	v_lshrrev_b32_e32 v65, 31, v64
	v_ashrrev_i32_e32 v64, 2, v64
	v_add_u32_e32 v64, v64, v65
	v_cmp_ne_u32_e64 s[12:13], v64, v63
	v_mul_hi_i32 v63, v20, s57
	v_lshrrev_b32_e32 v65, 31, v63
	v_ashrrev_i32_e32 v63, 2, v63
	v_add_u32_e32 v63, v63, v65
	v_cmp_ne_u32_e64 s[14:15], v63, v64
	v_mul_hi_i32 v64, v18, s57
	v_lshrrev_b32_e32 v65, 31, v64
	v_ashrrev_i32_e32 v64, 2, v64
	v_add_u32_e32 v64, v64, v65
	v_cmp_ne_u32_e64 s[16:17], v64, v63
	v_mul_hi_i32 v63, v24, s57
	v_lshrrev_b32_e32 v65, 31, v63
	v_ashrrev_i32_e32 v63, 2, v63
	v_add_u32_e32 v63, v63, v65
	v_cmp_ne_u32_e64 s[18:19], v63, v64
	v_mul_hi_i32 v64, v22, s57
	v_lshrrev_b32_e32 v65, 31, v64
	v_ashrrev_i32_e32 v64, 2, v64
	v_add_u32_e32 v64, v64, v65
	v_cmp_ne_u32_e64 s[20:21], v64, v63
	v_mul_hi_i32 v63, v28, s57
	v_lshrrev_b32_e32 v65, 31, v63
	v_ashrrev_i32_e32 v63, 2, v63
	v_add_u32_e32 v63, v63, v65
	v_cmp_ne_u32_e64 s[22:23], v63, v64
	v_mul_hi_i32 v64, v26, s57
	v_lshrrev_b32_e32 v65, 31, v64
	v_ashrrev_i32_e32 v64, 2, v64
	v_add_u32_e32 v68, v64, v65
	v_lshlrev_b32_e32 v1, 3, v0
	v_cmp_ne_u32_e64 s[24:25], v68, v63
	v_cmp_ne_u32_e64 s[28:29], 0, v0
	ds_write_b64 v1, v[58:59]
	s_waitcnt lgkmcnt(0)
	s_barrier
	s_and_saveexec_b64 s[54:55], s[28:29]
	s_cbranch_execz .LBB510_54
; %bb.53:
	v_add_u32_e32 v1, -8, v1
	ds_read_b64 v[62:63], v1
.LBB510_54:
	s_or_b64 exec, exec, s[54:55]
	s_waitcnt lgkmcnt(0)
	v_mul_hi_i32 v62, v62, s57
	v_lshrrev_b32_e32 v69, 31, v62
	v_ashrrev_i32_e32 v62, 2, v62
	v_add_u32_e32 v62, v62, v69
	v_cndmask_b32_e64 v1, 0, 1, vcc
	v_cndmask_b32_e64 v79, 0, 1, s[0:1]
	v_cndmask_b32_e64 v110, 0, 1, s[2:3]
	;; [unrolled: 1-line block ×13, first 2 shown]
	v_cmp_ne_u32_e64 s[4:5], v62, v68
	s_mov_b64 s[0:1], -1
.LBB510_55:
                                        ; implicit-def: $sgpr8
	s_branch .LBB510_75
.LBB510_56:
                                        ; implicit-def: $sgpr4_sgpr5
                                        ; implicit-def: $vgpr1
                                        ; implicit-def: $vgpr79
                                        ; implicit-def: $vgpr110
                                        ; implicit-def: $vgpr63
                                        ; implicit-def: $vgpr111
                                        ; implicit-def: $vgpr65
                                        ; implicit-def: $vgpr64
                                        ; implicit-def: $vgpr67
                                        ; implicit-def: $vgpr66
                                        ; implicit-def: $vgpr71
                                        ; implicit-def: $vgpr70
                                        ; implicit-def: $vgpr73
                                        ; implicit-def: $vgpr72
                                        ; implicit-def: $vgpr75
                                        ; implicit-def: $vgpr69
                                        ; implicit-def: $sgpr8
	s_cbranch_execnz .LBB510_76
	s_branch .LBB510_111
.LBB510_57:
	v_mov_b32_e32 v31, s64
	v_add_co_u32_e32 v30, vcc, s57, v63
	v_addc_co_u32_e32 v31, vcc, 0, v31, vcc
	flat_load_dwordx2 v[30:31], v[30:31]
	s_or_b64 exec, exec, s[30:31]
                                        ; implicit-def: $vgpr32_vgpr33
	s_and_saveexec_b64 s[30:31], s[0:1]
	s_cbranch_execz .LBB510_35
.LBB510_58:
	v_mov_b32_e32 v33, s64
	v_add_co_u32_e32 v32, vcc, s57, v63
	v_addc_co_u32_e32 v33, vcc, 0, v33, vcc
	flat_load_dwordx2 v[32:33], v[32:33] offset:2048
	s_or_b64 exec, exec, s[30:31]
                                        ; implicit-def: $vgpr34_vgpr35
	s_and_saveexec_b64 s[0:1], s[2:3]
	s_cbranch_execz .LBB510_36
.LBB510_59:
	v_mov_b32_e32 v35, s64
	v_add_co_u32_e32 v34, vcc, s57, v36
	v_addc_co_u32_e32 v35, vcc, 0, v35, vcc
	flat_load_dwordx2 v[34:35], v[34:35]
	s_or_b64 exec, exec, s[0:1]
                                        ; implicit-def: $vgpr36_vgpr37
	s_and_saveexec_b64 s[0:1], s[4:5]
	s_cbranch_execz .LBB510_37
.LBB510_60:
	v_mov_b32_e32 v37, s64
	v_add_co_u32_e32 v36, vcc, s57, v38
	v_addc_co_u32_e32 v37, vcc, 0, v37, vcc
	flat_load_dwordx2 v[36:37], v[36:37]
	s_or_b64 exec, exec, s[0:1]
                                        ; implicit-def: $vgpr38_vgpr39
	s_and_saveexec_b64 s[0:1], s[28:29]
	s_cbranch_execz .LBB510_38
.LBB510_61:
	v_mov_b32_e32 v39, s64
	v_add_co_u32_e32 v38, vcc, s57, v40
	v_addc_co_u32_e32 v39, vcc, 0, v39, vcc
	flat_load_dwordx2 v[38:39], v[38:39]
	s_or_b64 exec, exec, s[0:1]
                                        ; implicit-def: $vgpr40_vgpr41
	s_and_saveexec_b64 s[0:1], s[8:9]
	s_cbranch_execz .LBB510_39
.LBB510_62:
	v_mov_b32_e32 v41, s64
	v_add_co_u32_e32 v40, vcc, s57, v42
	v_addc_co_u32_e32 v41, vcc, 0, v41, vcc
	flat_load_dwordx2 v[40:41], v[40:41]
	s_or_b64 exec, exec, s[0:1]
                                        ; implicit-def: $vgpr42_vgpr43
	s_and_saveexec_b64 s[0:1], s[10:11]
	s_cbranch_execz .LBB510_40
.LBB510_63:
	v_mov_b32_e32 v43, s64
	v_add_co_u32_e32 v42, vcc, s57, v44
	v_addc_co_u32_e32 v43, vcc, 0, v43, vcc
	flat_load_dwordx2 v[42:43], v[42:43]
	s_or_b64 exec, exec, s[0:1]
                                        ; implicit-def: $vgpr44_vgpr45
	s_and_saveexec_b64 s[0:1], s[12:13]
	s_cbranch_execz .LBB510_41
.LBB510_64:
	v_mov_b32_e32 v45, s64
	v_add_co_u32_e32 v44, vcc, s57, v46
	v_addc_co_u32_e32 v45, vcc, 0, v45, vcc
	flat_load_dwordx2 v[44:45], v[44:45]
	s_or_b64 exec, exec, s[0:1]
                                        ; implicit-def: $vgpr46_vgpr47
	s_and_saveexec_b64 s[0:1], s[14:15]
	s_cbranch_execz .LBB510_42
.LBB510_65:
	v_mov_b32_e32 v47, s64
	v_add_co_u32_e32 v46, vcc, s57, v48
	v_addc_co_u32_e32 v47, vcc, 0, v47, vcc
	flat_load_dwordx2 v[46:47], v[46:47]
	s_or_b64 exec, exec, s[0:1]
                                        ; implicit-def: $vgpr48_vgpr49
	s_and_saveexec_b64 s[0:1], s[16:17]
	s_cbranch_execz .LBB510_43
.LBB510_66:
	v_mov_b32_e32 v49, s64
	v_add_co_u32_e32 v48, vcc, s57, v50
	v_addc_co_u32_e32 v49, vcc, 0, v49, vcc
	flat_load_dwordx2 v[48:49], v[48:49]
	s_or_b64 exec, exec, s[0:1]
                                        ; implicit-def: $vgpr50_vgpr51
	s_and_saveexec_b64 s[0:1], s[18:19]
	s_cbranch_execz .LBB510_44
.LBB510_67:
	v_mov_b32_e32 v51, s64
	v_add_co_u32_e32 v50, vcc, s57, v52
	v_addc_co_u32_e32 v51, vcc, 0, v51, vcc
	flat_load_dwordx2 v[50:51], v[50:51]
	s_or_b64 exec, exec, s[0:1]
                                        ; implicit-def: $vgpr52_vgpr53
	s_and_saveexec_b64 s[0:1], s[20:21]
	s_cbranch_execz .LBB510_45
.LBB510_68:
	v_mov_b32_e32 v53, s64
	v_add_co_u32_e32 v52, vcc, s57, v54
	v_addc_co_u32_e32 v53, vcc, 0, v53, vcc
	flat_load_dwordx2 v[52:53], v[52:53]
	s_or_b64 exec, exec, s[0:1]
                                        ; implicit-def: $vgpr54_vgpr55
	s_and_saveexec_b64 s[0:1], s[22:23]
	s_cbranch_execz .LBB510_46
.LBB510_69:
	v_mov_b32_e32 v55, s64
	v_add_co_u32_e32 v54, vcc, s57, v56
	v_addc_co_u32_e32 v55, vcc, 0, v55, vcc
	flat_load_dwordx2 v[54:55], v[54:55]
	s_or_b64 exec, exec, s[0:1]
                                        ; implicit-def: $vgpr56_vgpr57
	s_and_saveexec_b64 s[0:1], s[24:25]
	s_cbranch_execz .LBB510_47
.LBB510_70:
	v_mov_b32_e32 v57, s64
	v_add_co_u32_e32 v56, vcc, s57, v60
	v_addc_co_u32_e32 v57, vcc, 0, v57, vcc
	flat_load_dwordx2 v[56:57], v[56:57]
	s_or_b64 exec, exec, s[0:1]
                                        ; implicit-def: $vgpr60_vgpr61
	s_and_saveexec_b64 s[0:1], s[26:27]
	s_cbranch_execnz .LBB510_48
	s_branch .LBB510_49
.LBB510_71:
                                        ; implicit-def: $sgpr4_sgpr5
                                        ; implicit-def: $vgpr1
                                        ; implicit-def: $vgpr79
                                        ; implicit-def: $vgpr110
                                        ; implicit-def: $vgpr63
                                        ; implicit-def: $vgpr111
                                        ; implicit-def: $vgpr65
                                        ; implicit-def: $vgpr64
                                        ; implicit-def: $vgpr67
                                        ; implicit-def: $vgpr66
                                        ; implicit-def: $vgpr71
                                        ; implicit-def: $vgpr70
                                        ; implicit-def: $vgpr73
                                        ; implicit-def: $vgpr72
                                        ; implicit-def: $vgpr75
	s_cbranch_execz .LBB510_55
; %bb.72:
	s_mov_b32 s8, 0x66666667
	v_mul_hi_i32 v1, v4, s8
	v_lshrrev_b32_e32 v63, 31, v1
	v_ashrrev_i32_e32 v1, 2, v1
	v_add_u32_e32 v63, v1, v63
	v_mul_hi_i32 v1, v58, s8
	v_lshrrev_b32_e32 v64, 31, v1
	v_ashrrev_i32_e32 v1, 2, v1
	v_add_u32_e32 v1, v1, v64
	v_mul_hi_i32 v64, v2, s8
	v_lshrrev_b32_e32 v65, 31, v64
	v_ashrrev_i32_e32 v64, 2, v64
	v_cmp_ne_u32_e32 vcc, v63, v1
	v_add_u32_e32 v64, v64, v65
	v_cndmask_b32_e64 v1, 0, 1, vcc
	v_cmp_ne_u32_e32 vcc, v64, v63
	v_mul_hi_i32 v63, v8, s8
	v_lshrrev_b32_e32 v65, 31, v63
	v_ashrrev_i32_e32 v63, 2, v63
	v_add_u32_e32 v63, v63, v65
	v_cndmask_b32_e64 v79, 0, 1, vcc
	v_cmp_ne_u32_e32 vcc, v63, v64
	v_mul_hi_i32 v64, v6, s8
	v_lshrrev_b32_e32 v65, 31, v64
	v_ashrrev_i32_e32 v64, 2, v64
	v_add_u32_e32 v64, v64, v65
	v_mul_hi_i32 v65, v12, s8
	v_lshrrev_b32_e32 v66, 31, v65
	v_ashrrev_i32_e32 v65, 2, v65
	v_cndmask_b32_e64 v110, 0, 1, vcc
	v_cmp_ne_u32_e32 vcc, v64, v63
	v_add_u32_e32 v65, v65, v66
	v_cndmask_b32_e64 v63, 0, 1, vcc
	v_cmp_ne_u32_e32 vcc, v65, v64
	v_mul_hi_i32 v64, v10, s8
	v_lshrrev_b32_e32 v66, 31, v64
	v_ashrrev_i32_e32 v64, 2, v64
	v_add_u32_e32 v64, v64, v66
	v_mul_hi_i32 v66, v16, s8
	v_lshrrev_b32_e32 v67, 31, v66
	v_ashrrev_i32_e32 v66, 2, v66
	v_add_u32_e32 v66, v66, v67
	v_mul_hi_i32 v67, v14, s8
	v_cndmask_b32_e64 v111, 0, 1, vcc
	v_cmp_ne_u32_e32 vcc, v64, v65
	v_lshrrev_b32_e32 v68, 31, v67
	v_ashrrev_i32_e32 v67, 2, v67
	v_cndmask_b32_e64 v65, 0, 1, vcc
	v_cmp_ne_u32_e32 vcc, v66, v64
	v_add_u32_e32 v68, v67, v68
	v_cndmask_b32_e64 v64, 0, 1, vcc
	v_cmp_ne_u32_e32 vcc, v68, v66
	v_mul_hi_i32 v66, v20, s8
	v_lshrrev_b32_e32 v69, 31, v66
	v_ashrrev_i32_e32 v66, 2, v66
	v_add_u32_e32 v69, v66, v69
	v_cndmask_b32_e64 v67, 0, 1, vcc
	v_cmp_ne_u32_e32 vcc, v69, v68
	v_mul_hi_i32 v68, v18, s8
	v_lshrrev_b32_e32 v70, 31, v68
	v_ashrrev_i32_e32 v68, 2, v68
	;; [unrolled: 6-line block ×6, first 2 shown]
	v_add_u32_e32 v68, v68, v74
	v_cndmask_b32_e64 v72, 0, 1, vcc
	v_cmp_ne_u32_e32 vcc, v68, v69
	v_lshlrev_b32_e32 v62, 3, v0
	v_cndmask_b32_e64 v75, 0, 1, vcc
	v_cmp_ne_u32_e32 vcc, 0, v0
	ds_write_b64 v62, v[58:59]
	s_waitcnt lgkmcnt(0)
	s_barrier
	s_waitcnt lgkmcnt(0)
                                        ; implicit-def: $sgpr4_sgpr5
	s_and_saveexec_b64 s[2:3], vcc
	s_xor_b64 s[2:3], exec, s[2:3]
	s_cbranch_execz .LBB510_74
; %bb.73:
	v_add_u32_e32 v62, -8, v62
	ds_read_b32 v62, v62
	s_or_b64 s[0:1], s[0:1], exec
	s_waitcnt lgkmcnt(0)
	v_mul_hi_i32 v62, v62, s8
	v_lshrrev_b32_e32 v69, 31, v62
	v_ashrrev_i32_e32 v62, 2, v62
	v_add_u32_e32 v62, v62, v69
	v_cmp_ne_u32_e32 vcc, v62, v68
	s_and_b64 s[4:5], vcc, exec
.LBB510_74:
	s_or_b64 exec, exec, s[2:3]
	s_mov_b32 s8, 1
.LBB510_75:
	v_mov_b32_e32 v69, v79
	s_branch .LBB510_111
.LBB510_76:
	s_mul_hi_u32 s3, s52, 0xfffff100
	s_mul_i32 s2, s53, 0xfffff100
	s_sub_i32 s3, s3, s52
	s_add_i32 s3, s3, s2
	s_mul_i32 s2, s52, 0xfffff100
	s_add_u32 s2, s2, s48
	s_addc_u32 s3, s3, s49
	s_and_b64 vcc, exec, s[30:31]
	v_mad_u32_u24 v68, v0, 15, 14
	s_cbranch_vccz .LBB510_248
; %bb.77:
	v_mov_b32_e32 v1, s56
	v_add_co_u32_e64 v62, vcc, -8, s7
	v_addc_co_u32_e32 v63, vcc, -1, v1, vcc
	flat_load_dwordx2 v[80:81], v[62:63]
	v_mov_b32_e32 v79, 0
	v_mov_b32_e32 v69, v79
	v_lshlrev_b32_e32 v77, 3, v0
	v_cmp_gt_u64_e32 vcc, s[2:3], v[68:69]
	v_mov_b32_e32 v1, 0
	ds_write_b64 v77, v[58:59]
	s_and_saveexec_b64 s[0:1], vcc
; %bb.78:
	s_mov_b32 s4, 0x66666667
	v_mul_hi_i32 v1, v4, s4
	v_lshrrev_b32_e32 v62, 31, v1
	v_ashrrev_i32_e32 v1, 2, v1
	v_add_u32_e32 v1, v1, v62
	v_mul_hi_i32 v62, v58, s4
	v_lshrrev_b32_e32 v63, 31, v62
	v_ashrrev_i32_e32 v62, 2, v62
	v_add_u32_e32 v62, v62, v63
	v_cmp_ne_u32_e32 vcc, v1, v62
	v_cndmask_b32_e64 v1, 0, 1, vcc
; %bb.79:
	s_or_b64 exec, exec, s[0:1]
	v_add_u32_e32 v78, 13, v76
	v_cmp_gt_u64_e32 vcc, s[2:3], v[78:79]
	s_and_saveexec_b64 s[0:1], vcc
; %bb.80:
	s_mov_b32 s4, 0x66666667
	v_mul_hi_i32 v62, v2, s4
	v_lshrrev_b32_e32 v63, 31, v62
	v_ashrrev_i32_e32 v62, 2, v62
	v_add_u32_e32 v62, v62, v63
	v_mul_hi_i32 v63, v4, s4
	v_lshrrev_b32_e32 v64, 31, v63
	v_ashrrev_i32_e32 v63, 2, v63
	v_add_u32_e32 v63, v63, v64
	v_cmp_ne_u32_e32 vcc, v62, v63
	v_cndmask_b32_e64 v79, 0, 1, vcc
; %bb.81:
	s_or_b64 exec, exec, s[0:1]
	v_add_u32_e32 v62, 12, v76
	v_mov_b32_e32 v63, 0
	v_cmp_gt_u64_e32 vcc, s[2:3], v[62:63]
	v_mov_b32_e32 v110, 0
	s_and_saveexec_b64 s[0:1], vcc
; %bb.82:
	s_mov_b32 s4, 0x66666667
	v_mul_hi_i32 v62, v8, s4
	v_lshrrev_b32_e32 v64, 31, v62
	v_ashrrev_i32_e32 v62, 2, v62
	v_add_u32_e32 v62, v62, v64
	v_mul_hi_i32 v64, v2, s4
	v_lshrrev_b32_e32 v65, 31, v64
	v_ashrrev_i32_e32 v64, 2, v64
	v_add_u32_e32 v64, v64, v65
	v_cmp_ne_u32_e32 vcc, v62, v64
	v_cndmask_b32_e64 v110, 0, 1, vcc
; %bb.83:
	s_or_b64 exec, exec, s[0:1]
	v_add_u32_e32 v62, 11, v76
	v_cmp_gt_u64_e32 vcc, s[2:3], v[62:63]
	s_and_saveexec_b64 s[0:1], vcc
; %bb.84:
	s_mov_b32 s4, 0x66666667
	v_mul_hi_i32 v62, v6, s4
	v_lshrrev_b32_e32 v63, 31, v62
	v_ashrrev_i32_e32 v62, 2, v62
	v_add_u32_e32 v62, v62, v63
	v_mul_hi_i32 v63, v8, s4
	v_lshrrev_b32_e32 v64, 31, v63
	v_ashrrev_i32_e32 v63, 2, v63
	v_add_u32_e32 v63, v63, v64
	v_cmp_ne_u32_e32 vcc, v62, v63
	v_cndmask_b32_e64 v63, 0, 1, vcc
; %bb.85:
	s_or_b64 exec, exec, s[0:1]
	v_add_u32_e32 v64, 10, v76
	v_mov_b32_e32 v65, 0
	v_cmp_gt_u64_e32 vcc, s[2:3], v[64:65]
	v_mov_b32_e32 v111, 0
	;; [unrolled: 36-line block ×6, first 2 shown]
	s_and_saveexec_b64 s[0:1], vcc
; %bb.102:
	s_mov_b32 s4, 0x66666667
	v_mul_hi_i32 v62, v28, s4
	v_lshrrev_b32_e32 v69, 31, v62
	v_ashrrev_i32_e32 v62, 2, v62
	v_add_u32_e32 v62, v62, v69
	v_mul_hi_i32 v69, v22, s4
	v_lshrrev_b32_e32 v72, 31, v69
	v_ashrrev_i32_e32 v69, 2, v69
	v_add_u32_e32 v69, v69, v72
	v_cmp_ne_u32_e32 vcc, v62, v69
	v_cndmask_b32_e64 v72, 0, 1, vcc
; %bb.103:
	s_or_b64 exec, exec, s[0:1]
	v_add_u32_e32 v74, 1, v76
	v_cmp_gt_u64_e32 vcc, s[2:3], v[74:75]
	s_and_saveexec_b64 s[0:1], vcc
; %bb.104:
	s_mov_b32 s4, 0x66666667
	v_mul_hi_i32 v62, v26, s4
	v_lshrrev_b32_e32 v69, 31, v62
	v_ashrrev_i32_e32 v62, 2, v62
	v_add_u32_e32 v62, v62, v69
	v_mul_hi_i32 v69, v28, s4
	v_lshrrev_b32_e32 v74, 31, v69
	v_ashrrev_i32_e32 v69, 2, v69
	v_add_u32_e32 v69, v69, v74
	v_cmp_ne_u32_e32 vcc, v62, v69
	v_cndmask_b32_e64 v75, 0, 1, vcc
; %bb.105:
	s_or_b64 exec, exec, s[0:1]
	v_cmp_ne_u32_e32 vcc, 0, v0
	s_waitcnt lgkmcnt(0)
	s_barrier
	s_and_saveexec_b64 s[0:1], vcc
	s_cbranch_execz .LBB510_107
; %bb.106:
	v_add_u32_e32 v62, -8, v77
	s_waitcnt vmcnt(0)
	ds_read_b64 v[80:81], v62
.LBB510_107:
	s_or_b64 exec, exec, s[0:1]
	v_mov_b32_e32 v77, 0
	v_cmp_gt_u64_e32 vcc, s[2:3], v[76:77]
	s_mov_b64 s[8:9], 0
	s_mov_b64 s[4:5], 0
	s_and_saveexec_b64 s[0:1], vcc
	s_cbranch_execz .LBB510_109
; %bb.108:
	s_mov_b32 s4, 0x66666667
	s_waitcnt vmcnt(0) lgkmcnt(0)
	v_mul_hi_i32 v62, v80, s4
	v_lshrrev_b32_e32 v69, 31, v62
	v_ashrrev_i32_e32 v62, 2, v62
	v_add_u32_e32 v62, v62, v69
	v_mul_hi_i32 v69, v26, s4
	v_lshrrev_b32_e32 v74, 31, v69
	v_ashrrev_i32_e32 v69, 2, v69
	v_add_u32_e32 v69, v69, v74
	v_cmp_ne_u32_e32 vcc, v62, v69
	s_and_b64 s[4:5], vcc, exec
.LBB510_109:
	s_or_b64 exec, exec, s[0:1]
	s_mov_b64 s[0:1], -1
	s_and_b64 vcc, exec, s[8:9]
	s_cbranch_vccnz .LBB510_249
.LBB510_110:
                                        ; implicit-def: $vgpr69
                                        ; implicit-def: $sgpr8
.LBB510_111:
	v_mov_b32_e32 v68, s8
	s_and_saveexec_b64 s[2:3], s[0:1]
.LBB510_112:
	v_cndmask_b32_e64 v68, 0, 1, s[4:5]
	v_mov_b32_e32 v69, v79
.LBB510_113:
	s_or_b64 exec, exec, s[2:3]
	s_cmp_eq_u64 s[42:43], 0
	v_add3_u32 v62, v75, v68, v72
	s_cselect_b64 s[30:31], -1, 0
	s_cmp_lg_u32 s6, 0
	v_cmp_eq_u32_e64 s[24:25], 0, v75
	v_cmp_eq_u32_e64 s[22:23], 0, v72
	v_cmp_eq_u32_e64 s[20:21], 0, v73
	v_add3_u32 v113, v62, v73, v70
	v_cmp_eq_u32_e64 s[18:19], 0, v70
	v_cmp_eq_u32_e64 s[16:17], 0, v71
	v_cmp_eq_u32_e64 s[14:15], 0, v66
	v_cmp_eq_u32_e64 s[12:13], 0, v67
	v_cmp_eq_u32_e64 s[10:11], 0, v64
	v_cmp_eq_u32_e64 s[8:9], 0, v65
	v_cmp_eq_u32_e64 s[28:29], 0, v111
	v_cmp_eq_u32_e64 s[4:5], 0, v63
	v_cmp_eq_u32_e64 s[2:3], 0, v110
	v_cmp_eq_u32_e64 s[0:1], 0, v69
	v_cmp_eq_u32_e32 vcc, 0, v1
	v_mbcnt_lo_u32_b32 v112, -1, 0
	s_cbranch_scc0 .LBB510_180
; %bb.114:
	v_cndmask_b32_e64 v74, 0, v50, s[24:25]
	v_cndmask_b32_e64 v62, 0, v51, s[24:25]
	v_add_co_u32_e64 v74, s[26:27], v74, v54
	v_addc_co_u32_e64 v62, s[26:27], v62, v55, s[26:27]
	v_cndmask_b32_e64 v74, 0, v74, s[22:23]
	v_cndmask_b32_e64 v62, 0, v62, s[22:23]
	v_add_co_u32_e64 v74, s[26:27], v74, v52
	v_addc_co_u32_e64 v62, s[26:27], v62, v53, s[26:27]
	v_cndmask_b32_e64 v74, 0, v74, s[20:21]
	v_cndmask_b32_e64 v62, 0, v62, s[20:21]
	v_add_co_u32_e64 v74, s[26:27], v74, v56
	v_addc_co_u32_e64 v62, s[26:27], v62, v57, s[26:27]
	v_cndmask_b32_e64 v74, 0, v74, s[18:19]
	v_cndmask_b32_e64 v62, 0, v62, s[18:19]
	v_add_co_u32_e64 v74, s[26:27], v74, v42
	v_addc_co_u32_e64 v62, s[26:27], v62, v43, s[26:27]
	v_cndmask_b32_e64 v74, 0, v74, s[16:17]
	v_cndmask_b32_e64 v62, 0, v62, s[16:17]
	v_add_co_u32_e64 v74, s[26:27], v74, v46
	v_addc_co_u32_e64 v62, s[26:27], v62, v47, s[26:27]
	v_cndmask_b32_e64 v74, 0, v74, s[14:15]
	v_cndmask_b32_e64 v62, 0, v62, s[14:15]
	v_add_co_u32_e64 v74, s[26:27], v74, v44
	v_addc_co_u32_e64 v62, s[26:27], v62, v45, s[26:27]
	v_cndmask_b32_e64 v74, 0, v74, s[12:13]
	v_cndmask_b32_e64 v62, 0, v62, s[12:13]
	v_add_co_u32_e64 v74, s[26:27], v74, v48
	v_addc_co_u32_e64 v62, s[26:27], v62, v49, s[26:27]
	v_cndmask_b32_e64 v74, 0, v74, s[10:11]
	v_cndmask_b32_e64 v62, 0, v62, s[10:11]
	v_add_co_u32_e64 v74, s[26:27], v74, v38
	v_addc_co_u32_e64 v62, s[26:27], v62, v39, s[26:27]
	v_cndmask_b32_e64 v74, 0, v74, s[8:9]
	v_cndmask_b32_e64 v62, 0, v62, s[8:9]
	v_add_co_u32_e64 v74, s[26:27], v74, v34
	v_addc_co_u32_e64 v62, s[26:27], v62, v35, s[26:27]
	v_cndmask_b32_e64 v74, 0, v74, s[28:29]
	v_cndmask_b32_e64 v62, 0, v62, s[28:29]
	v_add_co_u32_e64 v74, s[26:27], v74, v40
	v_addc_co_u32_e64 v62, s[26:27], v62, v41, s[26:27]
	v_cndmask_b32_e64 v74, 0, v74, s[4:5]
	v_cndmask_b32_e64 v62, 0, v62, s[4:5]
	v_add_co_u32_e64 v74, s[26:27], v74, v36
	v_add3_u32 v76, v113, v71, v66
	v_addc_co_u32_e64 v62, s[26:27], v62, v37, s[26:27]
	v_cndmask_b32_e64 v74, 0, v74, s[2:3]
	v_add3_u32 v76, v76, v67, v64
	v_cndmask_b32_e64 v62, 0, v62, s[2:3]
	v_add_co_u32_e64 v74, s[26:27], v74, v30
	v_add3_u32 v76, v76, v65, v111
	v_addc_co_u32_e64 v62, s[26:27], v62, v31, s[26:27]
	v_cndmask_b32_e64 v74, 0, v74, s[0:1]
	v_add3_u32 v76, v76, v63, v110
	v_cndmask_b32_e64 v62, 0, v62, s[0:1]
	v_add_co_u32_e64 v77, s[26:27], v74, v60
	v_addc_co_u32_e64 v62, s[26:27], v62, v61, s[26:27]
	v_add3_u32 v74, v76, v69, v1
	v_cndmask_b32_e32 v76, 0, v77, vcc
	v_cndmask_b32_e32 v62, 0, v62, vcc
	v_add_co_u32_e32 v78, vcc, v76, v32
	s_waitcnt vmcnt(0) lgkmcnt(0)
	v_mbcnt_hi_u32_b32 v81, -1, v112
	v_addc_co_u32_e32 v79, vcc, v62, v33, vcc
	v_and_b32_e32 v62, 15, v81
	v_mov_b32_dpp v77, v74 row_shr:1 row_mask:0xf bank_mask:0xf
	v_mov_b32_dpp v76, v78 row_shr:1 row_mask:0xf bank_mask:0xf
	;; [unrolled: 1-line block ×3, first 2 shown]
	v_cmp_ne_u32_e32 vcc, 0, v62
	s_and_saveexec_b64 s[26:27], vcc
; %bb.115:
	v_cmp_eq_u32_e32 vcc, 0, v74
	v_cndmask_b32_e32 v76, 0, v76, vcc
	v_add_u32_e32 v77, v77, v74
	v_cndmask_b32_e32 v74, 0, v80, vcc
	v_add_co_u32_e32 v78, vcc, v76, v78
	v_addc_co_u32_e32 v79, vcc, v74, v79, vcc
	v_mov_b32_e32 v74, v77
; %bb.116:
	s_or_b64 exec, exec, s[26:27]
	s_nop 0
	v_mov_b32_dpp v77, v74 row_shr:2 row_mask:0xf bank_mask:0xf
	v_mov_b32_dpp v76, v78 row_shr:2 row_mask:0xf bank_mask:0xf
	v_mov_b32_dpp v80, v79 row_shr:2 row_mask:0xf bank_mask:0xf
	v_cmp_lt_u32_e32 vcc, 1, v62
	s_and_saveexec_b64 s[26:27], vcc
; %bb.117:
	v_cmp_eq_u32_e32 vcc, 0, v74
	v_cndmask_b32_e32 v76, 0, v76, vcc
	v_add_u32_e32 v77, v77, v74
	v_cndmask_b32_e32 v74, 0, v80, vcc
	v_add_co_u32_e32 v78, vcc, v76, v78
	v_addc_co_u32_e32 v79, vcc, v74, v79, vcc
	v_mov_b32_e32 v74, v77
; %bb.118:
	s_or_b64 exec, exec, s[26:27]
	s_nop 0
	v_mov_b32_dpp v77, v74 row_shr:4 row_mask:0xf bank_mask:0xf
	v_mov_b32_dpp v76, v78 row_shr:4 row_mask:0xf bank_mask:0xf
	v_mov_b32_dpp v80, v79 row_shr:4 row_mask:0xf bank_mask:0xf
	v_cmp_lt_u32_e32 vcc, 3, v62
	;; [unrolled: 16-line block ×3, first 2 shown]
	s_and_saveexec_b64 s[26:27], vcc
; %bb.121:
	v_cmp_eq_u32_e32 vcc, 0, v74
	v_cndmask_b32_e32 v76, 0, v76, vcc
	v_add_u32_e32 v62, v77, v74
	v_cndmask_b32_e32 v74, 0, v80, vcc
	v_add_co_u32_e32 v78, vcc, v76, v78
	v_addc_co_u32_e32 v79, vcc, v74, v79, vcc
	v_mov_b32_e32 v74, v62
; %bb.122:
	s_or_b64 exec, exec, s[26:27]
	v_and_b32_e32 v80, 16, v81
	v_mov_b32_dpp v76, v74 row_bcast:15 row_mask:0xf bank_mask:0xf
	v_mov_b32_dpp v62, v78 row_bcast:15 row_mask:0xf bank_mask:0xf
	;; [unrolled: 1-line block ×3, first 2 shown]
	v_cmp_ne_u32_e32 vcc, 0, v80
	s_and_saveexec_b64 s[26:27], vcc
; %bb.123:
	v_cmp_eq_u32_e32 vcc, 0, v74
	v_cndmask_b32_e32 v62, 0, v62, vcc
	v_add_u32_e32 v76, v76, v74
	v_cndmask_b32_e32 v74, 0, v77, vcc
	v_add_co_u32_e32 v78, vcc, v62, v78
	v_addc_co_u32_e32 v79, vcc, v74, v79, vcc
	v_mov_b32_e32 v74, v76
; %bb.124:
	s_or_b64 exec, exec, s[26:27]
	s_nop 0
	v_mov_b32_dpp v76, v74 row_bcast:31 row_mask:0xf bank_mask:0xf
	v_mov_b32_dpp v62, v78 row_bcast:31 row_mask:0xf bank_mask:0xf
	;; [unrolled: 1-line block ×3, first 2 shown]
	v_cmp_lt_u32_e32 vcc, 31, v81
	s_and_saveexec_b64 s[26:27], vcc
; %bb.125:
	v_cmp_eq_u32_e32 vcc, 0, v74
	v_cndmask_b32_e32 v62, 0, v62, vcc
	v_add_u32_e32 v76, v76, v74
	v_cndmask_b32_e32 v74, 0, v77, vcc
	v_add_co_u32_e32 v78, vcc, v62, v78
	v_addc_co_u32_e32 v79, vcc, v74, v79, vcc
	v_mov_b32_e32 v74, v76
; %bb.126:
	s_or_b64 exec, exec, s[26:27]
	v_lshrrev_b32_e32 v62, 6, v0
	v_or_b32_e32 v76, 63, v0
	v_cmp_eq_u32_e32 vcc, v76, v0
	v_lshlrev_b32_e32 v80, 4, v62
	s_and_saveexec_b64 s[26:27], vcc
	s_cbranch_execz .LBB510_128
; %bb.127:
	ds_write_b32 v80, v74 offset:4128
	ds_write_b64 v80, v[78:79] offset:4136
.LBB510_128:
	s_or_b64 exec, exec, s[26:27]
	v_cmp_gt_u32_e32 vcc, 4, v0
	s_waitcnt lgkmcnt(0)
	s_barrier
	s_and_saveexec_b64 s[26:27], vcc
	s_cbranch_execz .LBB510_134
; %bb.129:
	v_lshlrev_b32_e32 v62, 4, v0
	ds_read_b32 v82, v62 offset:4128
	ds_read_b64 v[76:77], v62 offset:4136
	v_and_b32_e32 v83, 3, v81
	v_cmp_ne_u32_e32 vcc, 0, v83
	s_waitcnt lgkmcnt(1)
	v_mov_b32_dpp v85, v82 row_shr:1 row_mask:0xf bank_mask:0xf
	s_waitcnt lgkmcnt(0)
	v_mov_b32_dpp v84, v76 row_shr:1 row_mask:0xf bank_mask:0xf
	v_mov_b32_dpp v86, v77 row_shr:1 row_mask:0xf bank_mask:0xf
	s_and_saveexec_b64 s[42:43], vcc
; %bb.130:
	v_cmp_eq_u32_e32 vcc, 0, v82
	v_cndmask_b32_e32 v84, 0, v84, vcc
	v_add_u32_e32 v85, v85, v82
	v_cndmask_b32_e32 v82, 0, v86, vcc
	v_add_co_u32_e32 v76, vcc, v84, v76
	v_addc_co_u32_e32 v77, vcc, v82, v77, vcc
	v_mov_b32_e32 v82, v85
; %bb.131:
	s_or_b64 exec, exec, s[42:43]
	s_nop 0
	v_mov_b32_dpp v85, v82 row_shr:2 row_mask:0xf bank_mask:0xf
	v_mov_b32_dpp v84, v76 row_shr:2 row_mask:0xf bank_mask:0xf
	;; [unrolled: 1-line block ×3, first 2 shown]
	v_cmp_lt_u32_e32 vcc, 1, v83
	s_and_saveexec_b64 s[42:43], vcc
; %bb.132:
	v_cmp_eq_u32_e32 vcc, 0, v82
	v_cndmask_b32_e32 v84, 0, v84, vcc
	v_add_u32_e32 v83, v85, v82
	v_cndmask_b32_e32 v82, 0, v86, vcc
	v_add_co_u32_e32 v76, vcc, v84, v76
	v_addc_co_u32_e32 v77, vcc, v82, v77, vcc
	v_mov_b32_e32 v82, v83
; %bb.133:
	s_or_b64 exec, exec, s[42:43]
	ds_write_b32 v62, v82 offset:4128
	ds_write_b64 v62, v[76:77] offset:4136
.LBB510_134:
	s_or_b64 exec, exec, s[26:27]
	v_cmp_gt_u32_e32 vcc, 64, v0
	v_cmp_lt_u32_e64 s[26:27], 63, v0
	v_pk_mov_b32 v[76:77], 0, 0
	v_mov_b32_e32 v62, 0
	s_waitcnt lgkmcnt(0)
	s_barrier
	s_and_saveexec_b64 s[42:43], s[26:27]
	s_cbranch_execz .LBB510_136
; %bb.135:
	ds_read_b32 v62, v80 offset:4112
	ds_read_b64 v[76:77], v80 offset:4120
	v_cmp_eq_u32_e64 s[26:27], 0, v74
	s_waitcnt lgkmcnt(1)
	v_add_u32_e32 v80, v62, v74
	s_waitcnt lgkmcnt(0)
	v_cndmask_b32_e64 v82, 0, v76, s[26:27]
	v_cndmask_b32_e64 v74, 0, v77, s[26:27]
	v_add_co_u32_e64 v78, s[26:27], v82, v78
	v_addc_co_u32_e64 v79, s[26:27], v74, v79, s[26:27]
	v_mov_b32_e32 v74, v80
.LBB510_136:
	s_or_b64 exec, exec, s[42:43]
	v_add_u32_e32 v80, -1, v81
	v_and_b32_e32 v82, 64, v81
	v_cmp_lt_i32_e64 s[26:27], v80, v82
	v_cndmask_b32_e64 v80, v80, v81, s[26:27]
	v_lshlrev_b32_e32 v80, 2, v80
	ds_bpermute_b32 v74, v80, v74
	ds_bpermute_b32 v88, v80, v78
	;; [unrolled: 1-line block ×3, first 2 shown]
	v_cmp_eq_u32_e64 s[26:27], 0, v81
	s_and_saveexec_b64 s[42:43], vcc
	s_cbranch_execz .LBB510_179
; %bb.137:
	v_mov_b32_e32 v83, 0
	ds_read_b32 v90, v83 offset:4176
	ds_read_b64 v[78:79], v83 offset:4184
	s_and_saveexec_b64 s[48:49], s[26:27]
	s_cbranch_execz .LBB510_139
; %bb.138:
	s_add_i32 s52, s6, 64
	s_mov_b32 s53, 0
	s_lshl_b64 s[54:55], s[52:53], 4
	s_add_u32 s54, s36, s54
	s_addc_u32 s55, s37, s55
	v_mov_b32_e32 v80, s52
	v_mov_b32_e32 v82, 1
	s_waitcnt lgkmcnt(1)
	global_store_dword v83, v90, s[54:55]
	s_waitcnt lgkmcnt(0)
	global_store_dwordx2 v83, v[78:79], s[54:55] offset:8
	s_waitcnt vmcnt(0)
	buffer_wbinvl1_vol
	global_store_byte v80, v82, s[40:41]
.LBB510_139:
	s_or_b64 exec, exec, s[48:49]
	v_xad_u32 v80, v81, -1, s6
	v_add_u32_e32 v82, 64, v80
	global_load_ubyte v91, v82, s[40:41] glc
	s_waitcnt vmcnt(0)
	v_cmp_eq_u16_e32 vcc, 0, v91
	s_and_saveexec_b64 s[48:49], vcc
	s_cbranch_execz .LBB510_143
; %bb.140:
	v_mov_b32_e32 v85, s41
	v_add_co_u32_e32 v84, vcc, s40, v82
	v_addc_co_u32_e32 v85, vcc, 0, v85, vcc
	s_mov_b64 s[52:53], 0
.LBB510_141:                            ; =>This Inner Loop Header: Depth=1
	global_load_ubyte v91, v[84:85], off glc
	s_waitcnt vmcnt(0)
	v_cmp_ne_u16_e32 vcc, 0, v91
	s_or_b64 s[52:53], vcc, s[52:53]
	s_andn2_b64 exec, exec, s[52:53]
	s_cbranch_execnz .LBB510_141
; %bb.142:
	s_or_b64 exec, exec, s[52:53]
.LBB510_143:
	s_or_b64 exec, exec, s[48:49]
	v_mov_b32_e32 v84, s39
	v_mov_b32_e32 v85, s37
	v_cmp_eq_u16_e32 vcc, 1, v91
	v_cndmask_b32_e32 v84, v84, v85, vcc
	v_mov_b32_e32 v85, s38
	v_mov_b32_e32 v86, s36
	v_cndmask_b32_e32 v85, v85, v86, vcc
	v_lshlrev_b64 v[82:83], 4, v[82:83]
	v_add_co_u32_e32 v82, vcc, v85, v82
	v_addc_co_u32_e32 v83, vcc, v84, v83, vcc
	s_waitcnt lgkmcnt(0)
	buffer_wbinvl1_vol
	global_load_dword v106, v[82:83], off
	global_load_dwordx2 v[86:87], v[82:83], off offset:8
	v_cmp_eq_u16_e32 vcc, 2, v91
	v_lshlrev_b64 v[82:83], v81, -1
	v_and_b32_e32 v92, 63, v81
	v_and_b32_e32 v84, vcc_hi, v83
	v_and_b32_e32 v96, vcc_lo, v82
	v_cmp_ne_u32_e32 vcc, 63, v92
	v_addc_co_u32_e32 v85, vcc, 0, v81, vcc
	v_lshlrev_b32_e32 v93, 2, v85
	v_or_b32_e32 v84, 0x80000000, v84
	v_ffbl_b32_e32 v84, v84
	v_add_u32_e32 v84, 32, v84
	v_ffbl_b32_e32 v96, v96
	v_min_u32_e32 v84, v96, v84
	v_cmp_lt_u32_e32 vcc, v92, v84
	s_waitcnt vmcnt(1)
	ds_bpermute_b32 v94, v93, v106
	s_waitcnt vmcnt(0)
	ds_bpermute_b32 v85, v93, v86
	ds_bpermute_b32 v95, v93, v87
	s_and_saveexec_b64 s[48:49], vcc
	s_cbranch_execz .LBB510_145
; %bb.144:
	v_cmp_eq_u32_e32 vcc, 0, v106
	s_waitcnt lgkmcnt(1)
	v_cndmask_b32_e32 v85, 0, v85, vcc
	v_add_u32_e32 v94, v94, v106
	s_waitcnt lgkmcnt(0)
	v_cndmask_b32_e32 v95, 0, v95, vcc
	v_add_co_u32_e32 v86, vcc, v85, v86
	v_addc_co_u32_e32 v87, vcc, v95, v87, vcc
	v_mov_b32_e32 v106, v94
.LBB510_145:
	s_or_b64 exec, exec, s[48:49]
	v_cmp_gt_u32_e32 vcc, 62, v92
	s_waitcnt lgkmcnt(1)
	v_cndmask_b32_e64 v85, 0, 1, vcc
	v_lshlrev_b32_e32 v85, 1, v85
	v_add_lshl_u32 v94, v85, v81, 2
	ds_bpermute_b32 v96, v94, v106
	ds_bpermute_b32 v85, v94, v86
	ds_bpermute_b32 v97, v94, v87
	s_waitcnt lgkmcnt(3)
	v_add_u32_e32 v95, 2, v92
	v_cmp_le_u32_e32 vcc, v95, v84
	s_and_saveexec_b64 s[48:49], vcc
	s_cbranch_execz .LBB510_147
; %bb.146:
	v_cmp_eq_u32_e32 vcc, 0, v106
	s_waitcnt lgkmcnt(1)
	v_cndmask_b32_e32 v85, 0, v85, vcc
	v_add_u32_e32 v96, v96, v106
	s_waitcnt lgkmcnt(0)
	v_cndmask_b32_e32 v97, 0, v97, vcc
	v_add_co_u32_e32 v86, vcc, v85, v86
	v_addc_co_u32_e32 v87, vcc, v97, v87, vcc
	v_mov_b32_e32 v106, v96
.LBB510_147:
	s_or_b64 exec, exec, s[48:49]
	v_cmp_gt_u32_e32 vcc, 60, v92
	s_waitcnt lgkmcnt(1)
	v_cndmask_b32_e64 v85, 0, 1, vcc
	v_lshlrev_b32_e32 v85, 2, v85
	v_add_lshl_u32 v96, v85, v81, 2
	ds_bpermute_b32 v98, v96, v106
	ds_bpermute_b32 v85, v96, v86
	ds_bpermute_b32 v99, v96, v87
	s_waitcnt lgkmcnt(3)
	v_add_u32_e32 v97, 4, v92
	v_cmp_le_u32_e32 vcc, v97, v84
	;; [unrolled: 25-line block ×4, first 2 shown]
	s_and_saveexec_b64 s[48:49], vcc
	s_cbranch_execz .LBB510_153
; %bb.152:
	v_cmp_eq_u32_e32 vcc, 0, v106
	s_waitcnt lgkmcnt(1)
	v_cndmask_b32_e32 v85, 0, v85, vcc
	v_add_u32_e32 v102, v102, v106
	s_waitcnt lgkmcnt(0)
	v_cndmask_b32_e32 v103, 0, v103, vcc
	v_add_co_u32_e32 v86, vcc, v85, v86
	v_addc_co_u32_e32 v87, vcc, v103, v87, vcc
	v_mov_b32_e32 v106, v102
.LBB510_153:
	s_or_b64 exec, exec, s[48:49]
	v_cmp_gt_u32_e32 vcc, 32, v92
	s_waitcnt lgkmcnt(1)
	v_cndmask_b32_e64 v85, 0, 1, vcc
	v_lshlrev_b32_e32 v85, 5, v85
	v_add_lshl_u32 v102, v85, v81, 2
	ds_bpermute_b32 v85, v102, v106
	ds_bpermute_b32 v81, v102, v86
	s_waitcnt lgkmcnt(2)
	ds_bpermute_b32 v103, v102, v87
	v_add_u32_e32 v104, 32, v92
	v_cmp_le_u32_e32 vcc, v104, v84
	s_and_saveexec_b64 s[48:49], vcc
	s_cbranch_execz .LBB510_155
; %bb.154:
	v_cmp_eq_u32_e32 vcc, 0, v106
	s_waitcnt lgkmcnt(1)
	v_cndmask_b32_e32 v81, 0, v81, vcc
	v_add_u32_e32 v84, v85, v106
	s_waitcnt lgkmcnt(0)
	v_cndmask_b32_e32 v85, 0, v103, vcc
	v_add_co_u32_e32 v86, vcc, v81, v86
	v_addc_co_u32_e32 v87, vcc, v85, v87, vcc
	v_mov_b32_e32 v106, v84
.LBB510_155:
	s_or_b64 exec, exec, s[48:49]
	s_waitcnt lgkmcnt(1)
	v_mov_b32_e32 v81, 0
	v_mov_b32_e32 v105, 2
	s_branch .LBB510_157
.LBB510_156:                            ;   in Loop: Header=BB510_157 Depth=1
	s_or_b64 exec, exec, s[48:49]
	v_cmp_eq_u32_e32 vcc, 0, v103
	v_cndmask_b32_e32 v86, 0, v86, vcc
	v_cndmask_b32_e32 v87, 0, v87, vcc
	v_add_co_u32_e32 v86, vcc, v86, v84
	v_subrev_u32_e32 v80, 64, v80
	v_add_u32_e32 v106, v107, v103
	v_addc_co_u32_e32 v87, vcc, v87, v85, vcc
.LBB510_157:                            ; =>This Loop Header: Depth=1
                                        ;     Child Loop BB510_160 Depth 2
	v_cmp_ne_u16_sdwa s[48:49], v91, v105 src0_sel:BYTE_0 src1_sel:DWORD
	v_pk_mov_b32 v[84:85], v[86:87], v[86:87] op_sel:[0,1]
	v_cndmask_b32_e64 v86, 0, 1, s[48:49]
	;;#ASMSTART
	;;#ASMEND
	v_cmp_ne_u32_e32 vcc, 0, v86
	s_cmp_lg_u64 vcc, exec
	s_waitcnt lgkmcnt(0)
	v_mov_b32_e32 v103, v106
	s_cbranch_scc1 .LBB510_174
; %bb.158:                              ;   in Loop: Header=BB510_157 Depth=1
	global_load_ubyte v91, v80, s[40:41] glc
	s_waitcnt vmcnt(0)
	v_cmp_eq_u16_e32 vcc, 0, v91
	s_and_saveexec_b64 s[48:49], vcc
	s_cbranch_execz .LBB510_162
; %bb.159:                              ;   in Loop: Header=BB510_157 Depth=1
	v_mov_b32_e32 v87, s41
	v_add_co_u32_e32 v86, vcc, s40, v80
	v_addc_co_u32_e32 v87, vcc, 0, v87, vcc
	s_mov_b64 s[52:53], 0
.LBB510_160:                            ;   Parent Loop BB510_157 Depth=1
                                        ; =>  This Inner Loop Header: Depth=2
	global_load_ubyte v91, v[86:87], off glc
	s_waitcnt vmcnt(0)
	v_cmp_ne_u16_e32 vcc, 0, v91
	s_or_b64 s[52:53], vcc, s[52:53]
	s_andn2_b64 exec, exec, s[52:53]
	s_cbranch_execnz .LBB510_160
; %bb.161:                              ;   in Loop: Header=BB510_157 Depth=1
	s_or_b64 exec, exec, s[52:53]
.LBB510_162:                            ;   in Loop: Header=BB510_157 Depth=1
	s_or_b64 exec, exec, s[48:49]
	v_mov_b32_e32 v86, s39
	v_mov_b32_e32 v87, s37
	v_cmp_eq_u16_e32 vcc, 1, v91
	v_cndmask_b32_e32 v106, v86, v87, vcc
	v_mov_b32_e32 v86, s38
	v_mov_b32_e32 v87, s36
	v_cndmask_b32_e32 v107, v86, v87, vcc
	v_lshlrev_b64 v[86:87], 4, v[80:81]
	v_add_co_u32_e32 v86, vcc, v107, v86
	v_addc_co_u32_e32 v87, vcc, v106, v87, vcc
	buffer_wbinvl1_vol
	global_load_dword v107, v[86:87], off
	s_nop 0
	global_load_dwordx2 v[86:87], v[86:87], off offset:8
	v_cmp_eq_u16_e32 vcc, 2, v91
	v_and_b32_e32 v106, vcc_hi, v83
	v_or_b32_e32 v106, 0x80000000, v106
	v_and_b32_e32 v115, vcc_lo, v82
	v_ffbl_b32_e32 v106, v106
	v_add_u32_e32 v106, 32, v106
	v_ffbl_b32_e32 v115, v115
	v_min_u32_e32 v106, v115, v106
	v_cmp_lt_u32_e32 vcc, v92, v106
	s_waitcnt vmcnt(1)
	ds_bpermute_b32 v109, v93, v107
	s_waitcnt vmcnt(0)
	ds_bpermute_b32 v108, v93, v86
	ds_bpermute_b32 v114, v93, v87
	s_and_saveexec_b64 s[48:49], vcc
	s_cbranch_execz .LBB510_164
; %bb.163:                              ;   in Loop: Header=BB510_157 Depth=1
	v_cmp_eq_u32_e32 vcc, 0, v107
	s_waitcnt lgkmcnt(1)
	v_cndmask_b32_e32 v108, 0, v108, vcc
	v_add_u32_e32 v109, v109, v107
	s_waitcnt lgkmcnt(0)
	v_cndmask_b32_e32 v107, 0, v114, vcc
	v_add_co_u32_e32 v86, vcc, v108, v86
	v_addc_co_u32_e32 v87, vcc, v107, v87, vcc
	v_mov_b32_e32 v107, v109
.LBB510_164:                            ;   in Loop: Header=BB510_157 Depth=1
	s_or_b64 exec, exec, s[48:49]
	s_waitcnt lgkmcnt(2)
	ds_bpermute_b32 v109, v94, v107
	s_waitcnt lgkmcnt(2)
	ds_bpermute_b32 v108, v94, v86
	s_waitcnt lgkmcnt(2)
	ds_bpermute_b32 v114, v94, v87
	v_cmp_le_u32_e32 vcc, v95, v106
	s_and_saveexec_b64 s[48:49], vcc
	s_cbranch_execz .LBB510_166
; %bb.165:                              ;   in Loop: Header=BB510_157 Depth=1
	v_cmp_eq_u32_e32 vcc, 0, v107
	s_waitcnt lgkmcnt(1)
	v_cndmask_b32_e32 v108, 0, v108, vcc
	v_add_u32_e32 v109, v109, v107
	s_waitcnt lgkmcnt(0)
	v_cndmask_b32_e32 v107, 0, v114, vcc
	v_add_co_u32_e32 v86, vcc, v108, v86
	v_addc_co_u32_e32 v87, vcc, v107, v87, vcc
	v_mov_b32_e32 v107, v109
.LBB510_166:                            ;   in Loop: Header=BB510_157 Depth=1
	s_or_b64 exec, exec, s[48:49]
	s_waitcnt lgkmcnt(2)
	ds_bpermute_b32 v109, v96, v107
	s_waitcnt lgkmcnt(2)
	ds_bpermute_b32 v108, v96, v86
	s_waitcnt lgkmcnt(2)
	ds_bpermute_b32 v114, v96, v87
	v_cmp_le_u32_e32 vcc, v97, v106
	;; [unrolled: 21-line block ×5, first 2 shown]
	s_and_saveexec_b64 s[48:49], vcc
	s_cbranch_execz .LBB510_156
; %bb.173:                              ;   in Loop: Header=BB510_157 Depth=1
	v_cmp_eq_u32_e32 vcc, 0, v107
	s_waitcnt lgkmcnt(1)
	v_cndmask_b32_e32 v108, 0, v108, vcc
	v_add_u32_e32 v106, v109, v107
	s_waitcnt lgkmcnt(0)
	v_cndmask_b32_e32 v107, 0, v114, vcc
	v_add_co_u32_e32 v86, vcc, v108, v86
	v_addc_co_u32_e32 v87, vcc, v107, v87, vcc
	v_mov_b32_e32 v107, v106
	s_branch .LBB510_156
.LBB510_174:                            ;   in Loop: Header=BB510_157 Depth=1
                                        ; implicit-def: $vgpr86_vgpr87
                                        ; implicit-def: $vgpr106
                                        ; implicit-def: $vgpr91
	s_cbranch_execz .LBB510_157
; %bb.175:
	s_and_saveexec_b64 s[36:37], s[26:27]
	s_cbranch_execz .LBB510_177
; %bb.176:
	s_mov_b32 s7, 0
	v_cmp_eq_u32_e32 vcc, 0, v90
	s_add_i32 s6, s6, 64
	v_cndmask_b32_e32 v80, 0, v84, vcc
	s_lshl_b64 s[48:49], s[6:7], 4
	v_cndmask_b32_e32 v81, 0, v85, vcc
	v_add_co_u32_e32 v80, vcc, v80, v78
	s_add_u32 s48, s38, s48
	v_add_u32_e32 v82, v103, v90
	v_addc_co_u32_e32 v81, vcc, v81, v79, vcc
	s_addc_u32 s49, s39, s49
	v_mov_b32_e32 v83, 0
	global_store_dword v83, v82, s[48:49]
	global_store_dwordx2 v83, v[80:81], s[48:49] offset:8
	v_mov_b32_e32 v80, s6
	v_mov_b32_e32 v81, 2
	s_waitcnt vmcnt(0) lgkmcnt(0)
	buffer_wbinvl1_vol
	global_store_byte v80, v81, s[40:41]
	ds_write_b32 v83, v90 offset:4096
	ds_write_b64 v83, v[78:79] offset:4104
	ds_write_b32 v83, v103 offset:4112
	ds_write_b64 v83, v[84:85] offset:4120
.LBB510_177:
	s_or_b64 exec, exec, s[36:37]
	v_cmp_eq_u32_e32 vcc, 0, v0
	s_and_b64 exec, exec, vcc
	s_cbranch_execz .LBB510_179
; %bb.178:
	v_mov_b32_e32 v78, 0
	ds_write_b32 v78, v103 offset:4176
	ds_write_b64 v78, v[84:85] offset:4184
.LBB510_179:
	s_or_b64 exec, exec, s[42:43]
	v_mov_b32_e32 v106, 0
	s_waitcnt lgkmcnt(0)
	s_barrier
	ds_read_b32 v80, v106 offset:4176
	ds_read_b64 v[78:79], v106 offset:4184
	v_cndmask_b32_e64 v62, v74, v62, s[26:27]
	v_cmp_eq_u32_e32 vcc, 0, v62
	v_cndmask_b32_e64 v76, v88, v76, s[26:27]
	v_cndmask_b32_e64 v77, v89, v77, s[26:27]
	s_waitcnt lgkmcnt(0)
	v_cndmask_b32_e32 v81, 0, v78, vcc
	v_cndmask_b32_e32 v74, 0, v79, vcc
	v_add_co_u32_e32 v76, vcc, v81, v76
	v_addc_co_u32_e32 v77, vcc, v74, v77, vcc
	v_cmp_eq_u32_e32 vcc, 0, v0
	v_cndmask_b32_e64 v62, v62, 0, vcc
	v_cndmask_b32_e32 v105, v77, v79, vcc
	v_cndmask_b32_e32 v104, v76, v78, vcc
	v_cmp_eq_u32_e32 vcc, 0, v68
	v_cndmask_b32_e32 v76, 0, v104, vcc
	v_add_u32_e32 v74, v80, v62
	v_cndmask_b32_e32 v62, 0, v105, vcc
	v_add_co_u32_e32 v80, vcc, v76, v50
	v_addc_co_u32_e32 v81, vcc, v62, v51, vcc
	v_cndmask_b32_e64 v76, 0, v80, s[24:25]
	v_cndmask_b32_e64 v62, 0, v81, s[24:25]
	v_add_co_u32_e32 v82, vcc, v76, v54
	v_addc_co_u32_e32 v83, vcc, v62, v55, vcc
	v_cndmask_b32_e64 v76, 0, v82, s[22:23]
	v_cndmask_b32_e64 v62, 0, v83, s[22:23]
	;; [unrolled: 4-line block ×11, first 2 shown]
	v_add_co_u32_e32 v102, vcc, v76, v36
	v_addc_co_u32_e32 v103, vcc, v62, v37, vcc
	s_barrier
	ds_read_b32 v62, v106 offset:4096
	ds_read_b64 v[76:77], v106 offset:4104
	ds_read_b32 v78, v106 offset:4112
	ds_read_b64 v[114:115], v106 offset:4120
	v_cndmask_b32_e64 v107, 0, v102, s[2:3]
	v_cndmask_b32_e64 v79, 0, v103, s[2:3]
	v_add_co_u32_e32 v106, vcc, v107, v30
	v_addc_co_u32_e32 v107, vcc, v79, v31, vcc
	s_waitcnt lgkmcnt(3)
	v_cmp_eq_u32_e32 vcc, 0, v62
	s_waitcnt lgkmcnt(0)
	v_cndmask_b32_e32 v114, 0, v114, vcc
	v_cndmask_b32_e32 v79, 0, v115, vcc
	v_add_co_u32_e32 v76, vcc, v114, v76
	v_cndmask_b32_e64 v109, 0, v107, s[0:1]
	v_cndmask_b32_e64 v108, 0, v106, s[0:1]
	v_addc_co_u32_e32 v77, vcc, v79, v77, vcc
	s_branch .LBB510_208
.LBB510_180:
                                        ; implicit-def: $vgpr62
                                        ; implicit-def: $vgpr76_vgpr77
                                        ; implicit-def: $vgpr78
                                        ; implicit-def: $vgpr104_vgpr105
                                        ; implicit-def: $vgpr80_vgpr81
                                        ; implicit-def: $vgpr82_vgpr83
                                        ; implicit-def: $vgpr84_vgpr85
                                        ; implicit-def: $vgpr86_vgpr87
                                        ; implicit-def: $vgpr88_vgpr89
                                        ; implicit-def: $vgpr90_vgpr91
                                        ; implicit-def: $vgpr92_vgpr93
                                        ; implicit-def: $vgpr94_vgpr95
                                        ; implicit-def: $vgpr96_vgpr97
                                        ; implicit-def: $vgpr98_vgpr99
                                        ; implicit-def: $vgpr100_vgpr101
                                        ; implicit-def: $vgpr102_vgpr103
                                        ; implicit-def: $vgpr106_vgpr107
                                        ; implicit-def: $vgpr108_vgpr109
                                        ; implicit-def: $vgpr74
	s_cbranch_execz .LBB510_208
; %bb.181:
	s_and_b64 s[0:1], s[30:31], exec
	s_cselect_b32 s1, 0, s47
	s_cselect_b32 s0, 0, s46
	s_cmp_eq_u64 s[0:1], 0
	v_pk_mov_b32 v[78:79], v[50:51], v[50:51] op_sel:[0,1]
	s_cbranch_scc1 .LBB510_183
; %bb.182:
	v_mov_b32_e32 v62, 0
	global_load_dwordx2 v[78:79], v62, s[0:1]
.LBB510_183:
	v_cmp_eq_u32_e64 s[22:23], 0, v75
	v_cndmask_b32_e64 v74, 0, v50, s[22:23]
	v_cndmask_b32_e64 v62, 0, v51, s[22:23]
	v_add_co_u32_e32 v74, vcc, v74, v54
	v_cmp_eq_u32_e64 s[20:21], 0, v72
	v_addc_co_u32_e32 v62, vcc, v62, v55, vcc
	v_cndmask_b32_e64 v74, 0, v74, s[20:21]
	v_cndmask_b32_e64 v62, 0, v62, s[20:21]
	v_add_co_u32_e32 v74, vcc, v74, v52
	v_cmp_eq_u32_e64 s[18:19], 0, v73
	v_addc_co_u32_e32 v62, vcc, v62, v53, vcc
	;; [unrolled: 5-line block ×11, first 2 shown]
	v_cndmask_b32_e64 v74, 0, v74, s[2:3]
	v_cndmask_b32_e64 v62, 0, v62, s[2:3]
	v_add_co_u32_e32 v74, vcc, v74, v30
	v_addc_co_u32_e32 v62, vcc, v62, v31, vcc
	v_cmp_eq_u32_e32 vcc, 0, v69
	v_add3_u32 v76, v113, v71, v66
	v_cndmask_b32_e32 v74, 0, v74, vcc
	v_add3_u32 v76, v76, v67, v64
	v_cndmask_b32_e32 v62, 0, v62, vcc
	v_add_co_u32_e64 v77, s[24:25], v74, v60
	v_add3_u32 v76, v76, v65, v111
	v_addc_co_u32_e64 v62, s[24:25], v62, v61, s[24:25]
	v_add3_u32 v76, v76, v63, v110
	v_cmp_eq_u32_e64 s[24:25], 0, v1
	v_add3_u32 v74, v76, v69, v1
	v_cndmask_b32_e64 v76, 0, v77, s[24:25]
	v_cndmask_b32_e64 v62, 0, v62, s[24:25]
	v_add_co_u32_e64 v32, s[24:25], v76, v32
	v_addc_co_u32_e64 v33, s[24:25], v62, v33, s[24:25]
	v_mbcnt_hi_u32_b32 v62, -1, v112
	v_and_b32_e32 v76, 15, v62
	s_waitcnt vmcnt(0) lgkmcnt(0)
	v_mov_b32_dpp v80, v74 row_shr:1 row_mask:0xf bank_mask:0xf
	v_mov_b32_dpp v77, v32 row_shr:1 row_mask:0xf bank_mask:0xf
	;; [unrolled: 1-line block ×3, first 2 shown]
	v_cmp_ne_u32_e64 s[24:25], 0, v76
	s_and_saveexec_b64 s[26:27], s[24:25]
; %bb.184:
	v_cmp_eq_u32_e64 s[24:25], 0, v74
	v_cndmask_b32_e64 v77, 0, v77, s[24:25]
	v_add_u32_e32 v80, v80, v74
	v_cndmask_b32_e64 v74, 0, v81, s[24:25]
	v_add_co_u32_e64 v32, s[24:25], v77, v32
	v_addc_co_u32_e64 v33, s[24:25], v74, v33, s[24:25]
	v_mov_b32_e32 v74, v80
; %bb.185:
	s_or_b64 exec, exec, s[26:27]
	s_nop 0
	v_mov_b32_dpp v80, v74 row_shr:2 row_mask:0xf bank_mask:0xf
	v_mov_b32_dpp v77, v32 row_shr:2 row_mask:0xf bank_mask:0xf
	v_mov_b32_dpp v81, v33 row_shr:2 row_mask:0xf bank_mask:0xf
	v_cmp_lt_u32_e64 s[24:25], 1, v76
	s_and_saveexec_b64 s[26:27], s[24:25]
; %bb.186:
	v_cmp_eq_u32_e64 s[24:25], 0, v74
	v_cndmask_b32_e64 v77, 0, v77, s[24:25]
	v_add_u32_e32 v80, v80, v74
	v_cndmask_b32_e64 v74, 0, v81, s[24:25]
	v_add_co_u32_e64 v32, s[24:25], v77, v32
	v_addc_co_u32_e64 v33, s[24:25], v74, v33, s[24:25]
	v_mov_b32_e32 v74, v80
; %bb.187:
	s_or_b64 exec, exec, s[26:27]
	s_nop 0
	v_mov_b32_dpp v80, v74 row_shr:4 row_mask:0xf bank_mask:0xf
	v_mov_b32_dpp v77, v32 row_shr:4 row_mask:0xf bank_mask:0xf
	v_mov_b32_dpp v81, v33 row_shr:4 row_mask:0xf bank_mask:0xf
	v_cmp_lt_u32_e64 s[24:25], 3, v76
	;; [unrolled: 16-line block ×3, first 2 shown]
	s_and_saveexec_b64 s[26:27], s[24:25]
; %bb.190:
	v_cmp_eq_u32_e64 s[24:25], 0, v74
	v_cndmask_b32_e64 v77, 0, v77, s[24:25]
	v_add_u32_e32 v76, v80, v74
	v_cndmask_b32_e64 v74, 0, v81, s[24:25]
	v_add_co_u32_e64 v32, s[24:25], v77, v32
	v_addc_co_u32_e64 v33, s[24:25], v74, v33, s[24:25]
	v_mov_b32_e32 v74, v76
; %bb.191:
	s_or_b64 exec, exec, s[26:27]
	v_and_b32_e32 v81, 16, v62
	v_mov_b32_dpp v77, v74 row_bcast:15 row_mask:0xf bank_mask:0xf
	v_mov_b32_dpp v76, v32 row_bcast:15 row_mask:0xf bank_mask:0xf
	;; [unrolled: 1-line block ×3, first 2 shown]
	v_cmp_ne_u32_e64 s[24:25], 0, v81
	s_and_saveexec_b64 s[26:27], s[24:25]
; %bb.192:
	v_cmp_eq_u32_e64 s[24:25], 0, v74
	v_cndmask_b32_e64 v76, 0, v76, s[24:25]
	v_add_u32_e32 v77, v77, v74
	v_cndmask_b32_e64 v74, 0, v80, s[24:25]
	v_add_co_u32_e64 v32, s[24:25], v76, v32
	v_addc_co_u32_e64 v33, s[24:25], v74, v33, s[24:25]
	v_mov_b32_e32 v74, v77
; %bb.193:
	s_or_b64 exec, exec, s[26:27]
	s_nop 0
	v_mov_b32_dpp v77, v74 row_bcast:31 row_mask:0xf bank_mask:0xf
	v_mov_b32_dpp v76, v32 row_bcast:31 row_mask:0xf bank_mask:0xf
	;; [unrolled: 1-line block ×3, first 2 shown]
	v_cmp_lt_u32_e64 s[24:25], 31, v62
	s_and_saveexec_b64 s[26:27], s[24:25]
; %bb.194:
	v_cmp_eq_u32_e64 s[24:25], 0, v74
	v_cndmask_b32_e64 v76, 0, v76, s[24:25]
	v_add_u32_e32 v77, v77, v74
	v_cndmask_b32_e64 v74, 0, v80, s[24:25]
	v_add_co_u32_e64 v32, s[24:25], v76, v32
	v_addc_co_u32_e64 v33, s[24:25], v74, v33, s[24:25]
	v_mov_b32_e32 v74, v77
; %bb.195:
	s_or_b64 exec, exec, s[26:27]
	v_lshrrev_b32_e32 v76, 6, v0
	v_or_b32_e32 v77, 63, v0
	v_cmp_eq_u32_e64 s[24:25], v77, v0
	v_lshlrev_b32_e32 v80, 4, v76
	s_and_saveexec_b64 s[26:27], s[24:25]
	s_cbranch_execz .LBB510_197
; %bb.196:
	ds_write_b32 v80, v74 offset:4128
	ds_write_b64 v80, v[32:33] offset:4136
.LBB510_197:
	s_or_b64 exec, exec, s[26:27]
	v_cmp_gt_u32_e64 s[24:25], 4, v0
	s_waitcnt lgkmcnt(0)
	s_barrier
	s_and_saveexec_b64 s[26:27], s[24:25]
	s_cbranch_execz .LBB510_203
; %bb.198:
	v_lshlrev_b32_e32 v81, 4, v0
	ds_read_b32 v82, v81 offset:4128
	ds_read_b64 v[76:77], v81 offset:4136
	v_and_b32_e32 v83, 3, v62
	v_cmp_ne_u32_e64 s[24:25], 0, v83
	s_waitcnt lgkmcnt(1)
	v_mov_b32_dpp v85, v82 row_shr:1 row_mask:0xf bank_mask:0xf
	s_waitcnt lgkmcnt(0)
	v_mov_b32_dpp v84, v76 row_shr:1 row_mask:0xf bank_mask:0xf
	v_mov_b32_dpp v86, v77 row_shr:1 row_mask:0xf bank_mask:0xf
	s_and_saveexec_b64 s[28:29], s[24:25]
; %bb.199:
	v_cmp_eq_u32_e64 s[24:25], 0, v82
	v_cndmask_b32_e64 v84, 0, v84, s[24:25]
	v_add_u32_e32 v85, v85, v82
	v_cndmask_b32_e64 v82, 0, v86, s[24:25]
	v_add_co_u32_e64 v76, s[24:25], v84, v76
	v_addc_co_u32_e64 v77, s[24:25], v82, v77, s[24:25]
	v_mov_b32_e32 v82, v85
; %bb.200:
	s_or_b64 exec, exec, s[28:29]
	s_nop 0
	v_mov_b32_dpp v85, v82 row_shr:2 row_mask:0xf bank_mask:0xf
	v_mov_b32_dpp v84, v76 row_shr:2 row_mask:0xf bank_mask:0xf
	;; [unrolled: 1-line block ×3, first 2 shown]
	v_cmp_lt_u32_e64 s[24:25], 1, v83
	s_and_saveexec_b64 s[28:29], s[24:25]
; %bb.201:
	v_cmp_eq_u32_e64 s[24:25], 0, v82
	v_cndmask_b32_e64 v84, 0, v84, s[24:25]
	v_add_u32_e32 v83, v85, v82
	v_cndmask_b32_e64 v82, 0, v86, s[24:25]
	v_add_co_u32_e64 v76, s[24:25], v84, v76
	v_addc_co_u32_e64 v77, s[24:25], v82, v77, s[24:25]
	v_mov_b32_e32 v82, v83
; %bb.202:
	s_or_b64 exec, exec, s[28:29]
	ds_write_b32 v81, v82 offset:4128
	ds_write_b64 v81, v[76:77] offset:4136
.LBB510_203:
	s_or_b64 exec, exec, s[26:27]
	v_cmp_lt_u32_e64 s[24:25], 63, v0
	v_mov_b32_e32 v112, 0
	v_mov_b32_e32 v81, 0
	v_pk_mov_b32 v[76:77], v[78:79], v[78:79] op_sel:[0,1]
	s_waitcnt lgkmcnt(0)
	s_barrier
	s_and_saveexec_b64 s[26:27], s[24:25]
	s_cbranch_execz .LBB510_205
; %bb.204:
	ds_read_b32 v81, v80 offset:4112
	ds_read_b64 v[76:77], v80 offset:4120
	s_waitcnt lgkmcnt(1)
	v_cmp_eq_u32_e64 s[24:25], 0, v81
	v_cndmask_b32_e64 v82, 0, v78, s[24:25]
	v_cndmask_b32_e64 v80, 0, v79, s[24:25]
	s_waitcnt lgkmcnt(0)
	v_add_co_u32_e64 v76, s[24:25], v82, v76
	v_addc_co_u32_e64 v77, s[24:25], v80, v77, s[24:25]
.LBB510_205:
	s_or_b64 exec, exec, s[26:27]
	v_cmp_eq_u32_e64 s[24:25], 0, v74
	v_cndmask_b32_e64 v82, 0, v76, s[24:25]
	v_add_u32_e32 v80, v81, v74
	v_cndmask_b32_e64 v74, 0, v77, s[24:25]
	v_add_co_u32_e64 v32, s[24:25], v82, v32
	v_addc_co_u32_e64 v33, s[24:25], v74, v33, s[24:25]
	v_add_u32_e32 v74, -1, v62
	v_and_b32_e32 v82, 64, v62
	v_cmp_lt_i32_e64 s[24:25], v74, v82
	v_cndmask_b32_e64 v74, v74, v62, s[24:25]
	v_lshlrev_b32_e32 v74, 2, v74
	ds_bpermute_b32 v80, v74, v80
	ds_bpermute_b32 v33, v74, v33
	;; [unrolled: 1-line block ×3, first 2 shown]
	v_cmp_eq_u32_e64 s[24:25], 0, v62
	v_cmp_eq_u32_e64 s[26:27], 0, v68
	s_waitcnt lgkmcnt(2)
	v_cndmask_b32_e64 v74, v80, v81, s[24:25]
	s_waitcnt lgkmcnt(1)
	v_cndmask_b32_e64 v105, v33, v77, s[24:25]
	;; [unrolled: 2-line block ×3, first 2 shown]
	v_cmp_eq_u32_e64 s[24:25], 0, v0
	v_cndmask_b32_e64 v32, v104, v78, s[24:25]
	v_cndmask_b32_e64 v33, v105, v79, s[24:25]
	;; [unrolled: 1-line block ×4, first 2 shown]
	v_add_co_u32_e64 v80, s[26:27], v32, v50
	v_addc_co_u32_e64 v81, s[26:27], v33, v51, s[26:27]
	v_cndmask_b32_e64 v33, 0, v80, s[22:23]
	v_cndmask_b32_e64 v32, 0, v81, s[22:23]
	v_add_co_u32_e64 v82, s[22:23], v33, v54
	v_addc_co_u32_e64 v83, s[22:23], v32, v55, s[22:23]
	v_cndmask_b32_e64 v33, 0, v82, s[20:21]
	v_cndmask_b32_e64 v32, 0, v83, s[20:21]
	;; [unrolled: 4-line block ×11, first 2 shown]
	v_add_co_u32_e64 v102, s[0:1], v33, v36
	v_addc_co_u32_e64 v103, s[0:1], v32, v37, s[0:1]
	v_cndmask_b32_e64 v33, 0, v102, s[2:3]
	ds_read_b32 v62, v112 offset:4176
	v_cndmask_b32_e64 v32, 0, v103, s[2:3]
	v_add_co_u32_e64 v106, s[0:1], v33, v30
	v_addc_co_u32_e64 v107, s[0:1], v32, v31, s[0:1]
	ds_read_b64 v[30:31], v112 offset:4184
	v_cndmask_b32_e32 v109, 0, v107, vcc
	v_cndmask_b32_e32 v108, 0, v106, vcc
	s_waitcnt lgkmcnt(1)
	v_cmp_eq_u32_e32 vcc, 0, v62
	v_cndmask_b32_e32 v33, 0, v78, vcc
	v_cndmask_b32_e32 v32, 0, v79, vcc
	s_waitcnt lgkmcnt(0)
	v_add_co_u32_e32 v76, vcc, v33, v30
	v_addc_co_u32_e32 v77, vcc, v32, v31, vcc
	s_and_saveexec_b64 s[0:1], s[24:25]
	s_cbranch_execz .LBB510_207
; %bb.206:
	v_mov_b32_e32 v74, 0
	v_mov_b32_e32 v30, 2
	v_pk_mov_b32 v[104:105], v[78:79], v[78:79] op_sel:[0,1]
	global_store_dword v74, v62, s[38:39] offset:1024
	global_store_dwordx2 v74, v[76:77], s[38:39] offset:1032
	s_waitcnt vmcnt(0)
	buffer_wbinvl1_vol
	global_store_byte v74, v30, s[40:41] offset:64
.LBB510_207:
	s_or_b64 exec, exec, s[0:1]
	v_mov_b32_e32 v78, 0
.LBB510_208:
	s_and_b64 s[0:1], s[30:31], exec
	s_cselect_b32 s1, 0, s51
	s_cselect_b32 s0, 0, s50
	s_cmp_eq_u64 s[0:1], 0
	v_pk_mov_b32 v[30:31], 0, 0
	s_waitcnt lgkmcnt(0)
	s_barrier
	s_cbranch_scc1 .LBB510_210
; %bb.209:
	v_mov_b32_e32 v30, 0
	global_load_dwordx2 v[30:31], v30, s[0:1]
.LBB510_210:
	s_waitcnt vmcnt(0)
	v_lshlrev_b64 v[32:33], 3, v[30:31]
	v_mov_b32_e32 v34, s59
	v_add_co_u32_e32 v50, vcc, s58, v32
	v_mov_b32_e32 v79, 0
	v_addc_co_u32_e32 v51, vcc, v34, v33, vcc
	v_lshlrev_b64 v[34:35], 3, v[78:79]
	v_add_co_u32_e32 v50, vcc, v50, v34
	v_addc_co_u32_e32 v51, vcc, v51, v35, vcc
	v_cmp_eq_u32_e32 vcc, 0, v68
	v_cndmask_b32_e64 v52, 1, 2, vcc
	v_cmp_eq_u32_e32 vcc, 0, v75
	v_cndmask_b32_e64 v53, 1, 2, vcc
	v_cmp_eq_u32_e32 vcc, 0, v72
	v_and_b32_e32 v52, v53, v52
	v_cndmask_b32_e64 v53, 1, 2, vcc
	v_cmp_eq_u32_e32 vcc, 0, v73
	v_add_u32_e32 v49, v74, v68
	v_and_b32_e32 v52, v52, v53
	v_cndmask_b32_e64 v53, 1, 2, vcc
	v_cmp_eq_u32_e32 vcc, 0, v70
	v_add_u32_e32 v48, v49, v75
	v_and_b32_e32 v52, v52, v53
	v_cndmask_b32_e64 v53, 1, 2, vcc
	v_cmp_eq_u32_e32 vcc, 0, v71
	v_add_u32_e32 v47, v48, v72
	v_and_b32_e32 v52, v52, v53
	v_cndmask_b32_e64 v53, 1, 2, vcc
	v_cmp_eq_u32_e32 vcc, 0, v66
	v_add_u32_e32 v46, v47, v73
	v_and_b32_e32 v52, v52, v53
	v_cndmask_b32_e64 v53, 1, 2, vcc
	v_cmp_eq_u32_e32 vcc, 0, v67
	v_add_u32_e32 v45, v46, v70
	v_and_b32_e32 v52, v52, v53
	v_cndmask_b32_e64 v53, 1, 2, vcc
	v_cmp_eq_u32_e32 vcc, 0, v64
	v_add_u32_e32 v44, v45, v71
	v_and_b32_e32 v52, v52, v53
	v_cndmask_b32_e64 v53, 1, 2, vcc
	v_cmp_eq_u32_e32 vcc, 0, v65
	v_add_u32_e32 v43, v44, v66
	v_and_b32_e32 v52, v52, v53
	v_cndmask_b32_e64 v53, 1, 2, vcc
	v_cmp_eq_u32_e32 vcc, 0, v111
	v_add_u32_e32 v42, v43, v67
	v_and_b32_e32 v52, v52, v53
	v_cndmask_b32_e64 v53, 1, 2, vcc
	v_cmp_eq_u32_e32 vcc, 0, v63
	v_add_u32_e32 v41, v42, v64
	v_and_b32_e32 v52, v52, v53
	v_cndmask_b32_e64 v53, 1, 2, vcc
	v_cmp_eq_u32_e32 vcc, 0, v110
	v_add_u32_e32 v40, v41, v65
	v_and_b32_e32 v52, v52, v53
	v_cndmask_b32_e64 v53, 1, 2, vcc
	v_cmp_eq_u32_e32 vcc, 0, v69
	v_add_u32_e32 v39, v40, v111
	v_and_b32_e32 v52, v52, v53
	v_cndmask_b32_e64 v53, 1, 2, vcc
	v_cmp_eq_u32_e32 vcc, 0, v1
	v_add_u32_e32 v38, v39, v63
	v_and_b32_e32 v52, v52, v53
	v_cndmask_b32_e64 v53, 1, 2, vcc
	s_movk_i32 s30, 0x100
	v_add_u32_e32 v37, v38, v110
	v_and_b32_e32 v52, v52, v53
	v_cmp_gt_u32_e32 vcc, s30, v62
	v_add_u32_e32 v36, v37, v69
	v_cmp_ne_u32_e64 s[28:29], 0, v68
	v_cmp_ne_u32_e64 s[26:27], 0, v75
	;; [unrolled: 1-line block ×15, first 2 shown]
	s_mov_b64 s[36:37], -1
	v_cmp_gt_i16_e64 s[30:31], 2, v52
	s_cbranch_vccz .LBB510_217
; %bb.211:
	s_and_saveexec_b64 s[36:37], s[30:31]
	s_cbranch_execz .LBB510_216
; %bb.212:
	v_cmp_ne_u16_e32 vcc, 1, v52
	s_mov_b64 s[38:39], 0
	s_and_saveexec_b64 s[30:31], vcc
	s_xor_b64 s[30:31], exec, s[30:31]
	s_cbranch_execnz .LBB510_282
; %bb.213:
	s_andn2_saveexec_b64 s[30:31], s[30:31]
	s_cbranch_execnz .LBB510_298
.LBB510_214:
	s_or_b64 exec, exec, s[30:31]
	s_and_b64 exec, exec, s[38:39]
	s_cbranch_execz .LBB510_216
.LBB510_215:
	v_sub_u32_e32 v54, v36, v78
	v_mov_b32_e32 v55, 0
	v_lshlrev_b64 v[54:55], 3, v[54:55]
	v_add_co_u32_e32 v54, vcc, v50, v54
	v_addc_co_u32_e32 v55, vcc, v51, v55, vcc
	global_store_dwordx2 v[54:55], v[58:59], off
.LBB510_216:
	s_or_b64 exec, exec, s[36:37]
	s_mov_b64 s[36:37], 0
.LBB510_217:
	s_and_b64 vcc, exec, s[36:37]
	s_cbranch_vccz .LBB510_227
; %bb.218:
	v_cmp_gt_i16_e32 vcc, 2, v52
	s_and_saveexec_b64 s[30:31], vcc
	s_cbranch_execz .LBB510_223
; %bb.219:
	v_cmp_ne_u16_e32 vcc, 1, v52
	s_mov_b64 s[38:39], 0
	s_and_saveexec_b64 s[36:37], vcc
	s_xor_b64 s[36:37], exec, s[36:37]
	s_cbranch_execnz .LBB510_299
; %bb.220:
	s_andn2_saveexec_b64 s[0:1], s[36:37]
	s_cbranch_execnz .LBB510_315
.LBB510_221:
	s_or_b64 exec, exec, s[0:1]
	s_and_b64 exec, exec, s[38:39]
	s_cbranch_execz .LBB510_223
.LBB510_222:
	v_sub_u32_e32 v2, v36, v78
	v_lshlrev_b32_e32 v2, 3, v2
	ds_write_b64 v2, v[58:59]
.LBB510_223:
	s_or_b64 exec, exec, s[30:31]
	v_cmp_lt_u32_e32 vcc, v0, v62
	s_waitcnt lgkmcnt(0)
	s_barrier
	s_and_saveexec_b64 s[0:1], vcc
	s_cbranch_execz .LBB510_226
; %bb.224:
	v_lshlrev_b32_e32 v4, 3, v0
	s_mov_b64 s[2:3], 0
	v_mov_b32_e32 v3, 0
	v_mov_b32_e32 v2, v0
.LBB510_225:                            ; =>This Inner Loop Header: Depth=1
	v_lshlrev_b64 v[6:7], 3, v[2:3]
	ds_read_b64 v[8:9], v4
	v_add_co_u32_e32 v6, vcc, v50, v6
	v_add_u32_e32 v2, 0x100, v2
	v_addc_co_u32_e32 v7, vcc, v51, v7, vcc
	v_cmp_ge_u32_e32 vcc, v2, v62
	v_add_u32_e32 v4, 0x800, v4
	s_or_b64 s[2:3], vcc, s[2:3]
	s_waitcnt lgkmcnt(0)
	global_store_dwordx2 v[6:7], v[8:9], off
	s_andn2_b64 exec, exec, s[2:3]
	s_cbranch_execnz .LBB510_225
.LBB510_226:
	s_or_b64 exec, exec, s[0:1]
.LBB510_227:
	v_add_co_u32_e32 v2, vcc, v108, v60
	s_cmpk_lg_i32 s33, 0xf00
	v_addc_co_u32_e32 v3, vcc, v109, v61, vcc
	s_cselect_b64 s[0:1], -1, 0
	v_cndmask_b32_e64 v8, 0, 1, s[44:45]
	s_and_b64 s[0:1], s[34:35], s[0:1]
	v_cmp_eq_u32_e32 vcc, 0, v0
	v_sub_u32_e32 v4, v62, v8
	v_cndmask_b32_e64 v5, 0, 1, s[0:1]
	s_and_b64 s[0:1], vcc, s[44:45]
	v_add_u32_e32 v4, v4, v5
	v_cndmask_b32_e64 v5, v68, 0, s[0:1]
	s_mul_hi_u32 s0, s33, 0x88888889
	s_lshr_b32 s0, s0, 3
	v_mad_i32_i24 v6, v0, -15, s33
	v_cmp_eq_u32_e32 vcc, s0, v0
	v_cmp_ne_u32_e64 s[0:1], 0, v6
	v_cndmask_b32_e64 v7, 1, v5, s[0:1]
	v_cmp_ne_u32_e64 s[0:1], 1, v6
	v_cndmask_b32_e64 v9, 1, v75, s[0:1]
	;; [unrolled: 2-line block ×15, first 2 shown]
	s_and_b64 vcc, s[34:35], vcc
	v_cndmask_b32_e32 v22, v1, v6, vcc
	v_cndmask_b32_e32 v21, v69, v21, vcc
	v_cndmask_b32_e32 v20, v110, v20, vcc
	v_cndmask_b32_e32 v19, v63, v19, vcc
	v_cndmask_b32_e32 v18, v111, v18, vcc
	v_cndmask_b32_e32 v17, v65, v17, vcc
	v_cndmask_b32_e32 v16, v64, v16, vcc
	v_cndmask_b32_e32 v15, v67, v15, vcc
	v_cndmask_b32_e32 v14, v66, v14, vcc
	v_cndmask_b32_e32 v13, v71, v13, vcc
	v_cndmask_b32_e32 v12, v70, v12, vcc
	v_cndmask_b32_e32 v11, v73, v11, vcc
	v_cndmask_b32_e32 v10, v72, v10, vcc
	v_cndmask_b32_e32 v9, v75, v9, vcc
	v_cndmask_b32_e32 v23, v5, v7, vcc
	v_mov_b32_e32 v1, s61
	v_add_co_u32_e32 v5, vcc, s60, v32
	v_addc_co_u32_e32 v6, vcc, v1, v33, vcc
	v_add_co_u32_e32 v1, vcc, v5, v34
	v_addc_co_u32_e32 v5, vcc, v6, v35, vcc
	v_lshlrev_b32_e32 v6, 3, v8
	v_add_co_u32_e32 v6, vcc, v6, v1
	v_addc_co_u32_e32 v7, vcc, 0, v5, vcc
	v_add_co_u32_e32 v6, vcc, -8, v6
	v_addc_co_u32_e32 v7, vcc, -1, v7, vcc
	v_cmp_eq_u32_e32 vcc, 0, v23
	v_cmp_ne_u32_e64 s[28:29], 0, v23
	v_cndmask_b32_e64 v23, 1, 2, vcc
	v_cmp_eq_u32_e32 vcc, 0, v9
	v_cmp_ne_u32_e64 s[26:27], 0, v9
	v_cndmask_b32_e64 v9, 1, 2, vcc
	v_cmp_eq_u32_e32 vcc, 0, v10
	v_and_b32_e32 v9, v9, v23
	v_cmp_ne_u32_e64 s[24:25], 0, v10
	v_cndmask_b32_e64 v10, 1, 2, vcc
	v_cmp_eq_u32_e32 vcc, 0, v11
	v_and_b32_e32 v9, v9, v10
	v_cndmask_b32_e64 v10, 1, 2, vcc
	v_cmp_eq_u32_e32 vcc, 0, v12
	v_and_b32_e32 v9, v9, v10
	;; [unrolled: 3-line block ×12, first 2 shown]
	v_cndmask_b32_e64 v10, 1, 2, vcc
	s_movk_i32 s30, 0x100
	v_and_b32_e32 v9, v9, v10
	v_cmp_gt_u32_e32 vcc, s30, v4
	v_add_u32_e32 v8, v78, v8
	v_cmp_ne_u32_e64 s[22:23], 0, v11
	v_cmp_ne_u32_e64 s[20:21], 0, v12
	;; [unrolled: 1-line block ×12, first 2 shown]
	s_mov_b64 s[36:37], -1
	v_cmp_gt_i16_e64 s[30:31], 2, v9
	s_barrier
	s_cbranch_vccz .LBB510_234
; %bb.228:
	s_and_saveexec_b64 s[36:37], s[30:31]
	s_cbranch_execz .LBB510_233
; %bb.229:
	v_cmp_ne_u16_e32 vcc, 1, v9
	s_mov_b64 s[38:39], 0
	s_and_saveexec_b64 s[30:31], vcc
	s_xor_b64 s[30:31], exec, s[30:31]
	s_cbranch_execnz .LBB510_316
; %bb.230:
	s_andn2_saveexec_b64 s[30:31], s[30:31]
	s_cbranch_execnz .LBB510_332
.LBB510_231:
	s_or_b64 exec, exec, s[30:31]
	s_and_b64 exec, exec, s[38:39]
	s_cbranch_execz .LBB510_233
.LBB510_232:
	v_sub_u32_e32 v10, v36, v8
	v_mov_b32_e32 v11, 0
	v_lshlrev_b64 v[10:11], 3, v[10:11]
	v_add_co_u32_e32 v10, vcc, v6, v10
	v_addc_co_u32_e32 v11, vcc, v7, v11, vcc
	global_store_dwordx2 v[10:11], v[2:3], off
.LBB510_233:
	s_or_b64 exec, exec, s[36:37]
	s_mov_b64 s[36:37], 0
.LBB510_234:
	s_and_b64 vcc, exec, s[36:37]
	s_cbranch_vccz .LBB510_244
; %bb.235:
	v_cmp_gt_i16_e32 vcc, 2, v9
	s_and_saveexec_b64 s[30:31], vcc
	s_cbranch_execz .LBB510_240
; %bb.236:
	v_cmp_ne_u16_e32 vcc, 1, v9
	s_mov_b64 s[38:39], 0
	s_and_saveexec_b64 s[36:37], vcc
	s_xor_b64 s[36:37], exec, s[36:37]
	s_cbranch_execnz .LBB510_333
; %bb.237:
	s_andn2_saveexec_b64 s[0:1], s[36:37]
	s_cbranch_execnz .LBB510_349
.LBB510_238:
	s_or_b64 exec, exec, s[0:1]
	s_and_b64 exec, exec, s[38:39]
	s_cbranch_execz .LBB510_240
.LBB510_239:
	v_sub_u32_e32 v8, v36, v8
	v_lshlrev_b32_e32 v8, 3, v8
	ds_write_b64 v8, v[2:3]
.LBB510_240:
	s_or_b64 exec, exec, s[30:31]
	v_cmp_lt_u32_e32 vcc, v0, v4
	s_waitcnt lgkmcnt(0)
	s_barrier
	s_and_saveexec_b64 s[0:1], vcc
	s_cbranch_execz .LBB510_243
; %bb.241:
	v_lshlrev_b32_e32 v8, 3, v0
	s_mov_b64 s[2:3], 0
	v_mov_b32_e32 v3, 0
	v_mov_b32_e32 v2, v0
.LBB510_242:                            ; =>This Inner Loop Header: Depth=1
	v_lshlrev_b64 v[10:11], 3, v[2:3]
	ds_read_b64 v[12:13], v8
	v_add_co_u32_e32 v10, vcc, v6, v10
	v_add_u32_e32 v2, 0x100, v2
	v_addc_co_u32_e32 v11, vcc, v7, v11, vcc
	v_cmp_ge_u32_e32 vcc, v2, v4
	v_add_u32_e32 v8, 0x800, v8
	s_or_b64 s[2:3], vcc, s[2:3]
	s_waitcnt lgkmcnt(0)
	global_store_dwordx2 v[10:11], v[12:13], off
	s_andn2_b64 exec, exec, s[2:3]
	s_cbranch_execnz .LBB510_242
.LBB510_243:
	s_or_b64 exec, exec, s[0:1]
.LBB510_244:
	s_movk_i32 s0, 0xff
	v_cmp_eq_u32_e32 vcc, s0, v0
	s_and_b64 s[0:1], vcc, s[34:35]
	s_and_saveexec_b64 s[2:3], s[0:1]
	s_cbranch_execz .LBB510_247
; %bb.245:
	v_add_co_u32_e32 v0, vcc, v62, v78
	v_addc_co_u32_e64 v3, s[0:1], 0, 0, vcc
	v_add_co_u32_e32 v2, vcc, v0, v30
	v_mov_b32_e32 v63, 0
	v_addc_co_u32_e32 v3, vcc, v3, v31, vcc
	s_cmpk_lg_i32 s33, 0xf00
	global_store_dwordx2 v63, v[2:3], s[62:63]
	s_cbranch_scc1 .LBB510_247
; %bb.246:
	v_lshlrev_b64 v[2:3], 3, v[62:63]
	v_add_co_u32_e32 v0, vcc, v1, v2
	v_addc_co_u32_e32 v1, vcc, v5, v3, vcc
	global_store_dwordx2 v[0:1], v[76:77], off offset:-8
.LBB510_247:
	s_endpgm
.LBB510_248:
                                        ; implicit-def: $sgpr4_sgpr5
                                        ; implicit-def: $vgpr1
                                        ; implicit-def: $vgpr79
                                        ; implicit-def: $vgpr110
                                        ; implicit-def: $vgpr63
                                        ; implicit-def: $vgpr111
                                        ; implicit-def: $vgpr65
                                        ; implicit-def: $vgpr64
                                        ; implicit-def: $vgpr67
                                        ; implicit-def: $vgpr66
                                        ; implicit-def: $vgpr71
                                        ; implicit-def: $vgpr70
                                        ; implicit-def: $vgpr73
                                        ; implicit-def: $vgpr72
                                        ; implicit-def: $vgpr75
	s_cbranch_execz .LBB510_110
.LBB510_249:
	v_mov_b32_e32 v69, 0
	v_lshlrev_b32_e32 v78, 3, v0
	v_cmp_gt_u64_e32 vcc, s[2:3], v[68:69]
	v_mov_b32_e32 v1, 0
	ds_write_b64 v78, v[58:59]
	s_and_saveexec_b64 s[4:5], vcc
; %bb.250:
	s_mov_b32 s7, 0x66666667
	v_mul_hi_i32 v1, v4, s7
	v_lshrrev_b32_e32 v62, 31, v1
	v_ashrrev_i32_e32 v1, 2, v1
	v_add_u32_e32 v1, v1, v62
	v_mul_hi_i32 v62, v58, s7
	v_lshrrev_b32_e32 v63, 31, v62
	v_ashrrev_i32_e32 v62, 2, v62
	v_add_u32_e32 v62, v62, v63
	v_cmp_ne_u32_e32 vcc, v1, v62
	v_cndmask_b32_e64 v1, 0, 1, vcc
; %bb.251:
	s_or_b64 exec, exec, s[4:5]
	v_add_u32_e32 v68, 13, v76
	v_cmp_gt_u64_e32 vcc, s[2:3], v[68:69]
	s_and_saveexec_b64 s[4:5], vcc
; %bb.252:
	s_mov_b32 s7, 0x66666667
	v_mul_hi_i32 v62, v2, s7
	v_lshrrev_b32_e32 v63, 31, v62
	v_ashrrev_i32_e32 v62, 2, v62
	v_add_u32_e32 v62, v62, v63
	v_mul_hi_i32 v63, v4, s7
	v_lshrrev_b32_e32 v64, 31, v63
	v_ashrrev_i32_e32 v63, 2, v63
	v_add_u32_e32 v63, v63, v64
	v_cmp_ne_u32_e32 vcc, v62, v63
	v_cndmask_b32_e64 v69, 0, 1, vcc
; %bb.253:
	s_or_b64 exec, exec, s[4:5]
	v_add_u32_e32 v62, 12, v76
	v_mov_b32_e32 v63, 0
	v_cmp_gt_u64_e32 vcc, s[2:3], v[62:63]
	v_mov_b32_e32 v110, 0
	s_and_saveexec_b64 s[4:5], vcc
; %bb.254:
	s_mov_b32 s7, 0x66666667
	v_mul_hi_i32 v62, v8, s7
	v_lshrrev_b32_e32 v64, 31, v62
	v_ashrrev_i32_e32 v62, 2, v62
	v_add_u32_e32 v62, v62, v64
	v_mul_hi_i32 v64, v2, s7
	v_lshrrev_b32_e32 v65, 31, v64
	v_ashrrev_i32_e32 v64, 2, v64
	v_add_u32_e32 v64, v64, v65
	v_cmp_ne_u32_e32 vcc, v62, v64
	v_cndmask_b32_e64 v110, 0, 1, vcc
; %bb.255:
	s_or_b64 exec, exec, s[4:5]
	v_add_u32_e32 v62, 11, v76
	v_cmp_gt_u64_e32 vcc, s[2:3], v[62:63]
	s_and_saveexec_b64 s[4:5], vcc
; %bb.256:
	s_mov_b32 s7, 0x66666667
	v_mul_hi_i32 v62, v6, s7
	v_lshrrev_b32_e32 v63, 31, v62
	v_ashrrev_i32_e32 v62, 2, v62
	v_add_u32_e32 v62, v62, v63
	v_mul_hi_i32 v63, v8, s7
	v_lshrrev_b32_e32 v64, 31, v63
	v_ashrrev_i32_e32 v63, 2, v63
	v_add_u32_e32 v63, v63, v64
	v_cmp_ne_u32_e32 vcc, v62, v63
	v_cndmask_b32_e64 v63, 0, 1, vcc
; %bb.257:
	s_or_b64 exec, exec, s[4:5]
	v_add_u32_e32 v64, 10, v76
	v_mov_b32_e32 v65, 0
	v_cmp_gt_u64_e32 vcc, s[2:3], v[64:65]
	v_mov_b32_e32 v111, 0
	;; [unrolled: 36-line block ×6, first 2 shown]
	s_and_saveexec_b64 s[4:5], vcc
; %bb.274:
	s_mov_b32 s7, 0x66666667
	v_mul_hi_i32 v62, v28, s7
	v_lshrrev_b32_e32 v68, 31, v62
	v_ashrrev_i32_e32 v62, 2, v62
	v_add_u32_e32 v62, v62, v68
	v_mul_hi_i32 v68, v22, s7
	v_lshrrev_b32_e32 v72, 31, v68
	v_ashrrev_i32_e32 v68, 2, v68
	v_add_u32_e32 v68, v68, v72
	v_cmp_ne_u32_e32 vcc, v62, v68
	v_cndmask_b32_e64 v72, 0, 1, vcc
; %bb.275:
	s_or_b64 exec, exec, s[4:5]
	v_add_u32_e32 v74, 1, v76
	v_cmp_gt_u64_e32 vcc, s[2:3], v[74:75]
	s_and_saveexec_b64 s[4:5], vcc
; %bb.276:
	s_mov_b32 s7, 0x66666667
	v_mul_hi_i32 v62, v26, s7
	v_lshrrev_b32_e32 v68, 31, v62
	v_ashrrev_i32_e32 v62, 2, v62
	v_add_u32_e32 v62, v62, v68
	v_mul_hi_i32 v68, v28, s7
	v_lshrrev_b32_e32 v74, 31, v68
	v_ashrrev_i32_e32 v68, 2, v68
	v_add_u32_e32 v68, v68, v74
	v_cmp_ne_u32_e32 vcc, v62, v68
	v_cndmask_b32_e64 v75, 0, 1, vcc
; %bb.277:
	s_or_b64 exec, exec, s[4:5]
	v_cmp_ne_u32_e32 vcc, 0, v0
	s_waitcnt lgkmcnt(0)
	s_barrier
	s_waitcnt lgkmcnt(0)
                                        ; implicit-def: $sgpr4_sgpr5
	s_and_saveexec_b64 s[8:9], vcc
	s_cbranch_execz .LBB510_281
; %bb.278:
	v_mov_b32_e32 v77, 0
	v_cmp_gt_u64_e32 vcc, s[2:3], v[76:77]
	s_mov_b64 s[4:5], 0
	s_and_saveexec_b64 s[2:3], vcc
	s_cbranch_execz .LBB510_280
; %bb.279:
	v_add_u32_e32 v62, -8, v78
	ds_read_b32 v62, v62
	s_mov_b32 s4, 0x66666667
	v_mul_hi_i32 v68, v26, s4
	v_lshrrev_b32_e32 v74, 31, v68
	v_ashrrev_i32_e32 v68, 2, v68
	s_waitcnt lgkmcnt(0)
	v_mul_hi_i32 v62, v62, s4
	v_lshrrev_b32_e32 v76, 31, v62
	v_ashrrev_i32_e32 v62, 2, v62
	v_add_u32_e32 v62, v62, v76
	v_add_u32_e32 v68, v68, v74
	v_cmp_ne_u32_e32 vcc, v62, v68
	s_and_b64 s[4:5], vcc, exec
.LBB510_280:
	s_or_b64 exec, exec, s[2:3]
	s_and_b64 s[4:5], s[4:5], exec
	s_or_b64 s[0:1], s[0:1], exec
.LBB510_281:
	s_or_b64 exec, exec, s[8:9]
	s_mov_b32 s8, 1
	v_mov_b32_e32 v79, v69
	v_mov_b32_e32 v68, s8
	s_and_saveexec_b64 s[2:3], s[0:1]
	s_cbranch_execnz .LBB510_112
	s_branch .LBB510_113
.LBB510_282:
	s_and_saveexec_b64 s[38:39], s[28:29]
	s_cbranch_execnz .LBB510_350
; %bb.283:
	s_or_b64 exec, exec, s[38:39]
	s_and_saveexec_b64 s[38:39], s[26:27]
	s_cbranch_execnz .LBB510_351
.LBB510_284:
	s_or_b64 exec, exec, s[38:39]
	s_and_saveexec_b64 s[38:39], s[24:25]
	s_cbranch_execnz .LBB510_352
.LBB510_285:
	s_or_b64 exec, exec, s[38:39]
	s_and_saveexec_b64 s[38:39], s[22:23]
	s_cbranch_execnz .LBB510_353
.LBB510_286:
	s_or_b64 exec, exec, s[38:39]
	s_and_saveexec_b64 s[38:39], s[20:21]
	s_cbranch_execnz .LBB510_354
.LBB510_287:
	s_or_b64 exec, exec, s[38:39]
	s_and_saveexec_b64 s[38:39], s[18:19]
	s_cbranch_execnz .LBB510_355
.LBB510_288:
	s_or_b64 exec, exec, s[38:39]
	s_and_saveexec_b64 s[38:39], s[16:17]
	s_cbranch_execnz .LBB510_356
.LBB510_289:
	s_or_b64 exec, exec, s[38:39]
	s_and_saveexec_b64 s[38:39], s[14:15]
	s_cbranch_execnz .LBB510_357
.LBB510_290:
	s_or_b64 exec, exec, s[38:39]
	s_and_saveexec_b64 s[38:39], s[12:13]
	s_cbranch_execnz .LBB510_358
.LBB510_291:
	s_or_b64 exec, exec, s[38:39]
	s_and_saveexec_b64 s[38:39], s[10:11]
	s_cbranch_execnz .LBB510_359
.LBB510_292:
	s_or_b64 exec, exec, s[38:39]
	s_and_saveexec_b64 s[38:39], s[8:9]
	s_cbranch_execnz .LBB510_360
.LBB510_293:
	s_or_b64 exec, exec, s[38:39]
	s_and_saveexec_b64 s[38:39], s[6:7]
	s_cbranch_execnz .LBB510_361
.LBB510_294:
	s_or_b64 exec, exec, s[38:39]
	s_and_saveexec_b64 s[38:39], s[4:5]
	s_cbranch_execnz .LBB510_362
.LBB510_295:
	s_or_b64 exec, exec, s[38:39]
	s_and_saveexec_b64 s[38:39], s[2:3]
	s_cbranch_execz .LBB510_297
.LBB510_296:
	v_sub_u32_e32 v54, v37, v78
	v_mov_b32_e32 v55, 0
	v_lshlrev_b64 v[54:55], 3, v[54:55]
	v_add_co_u32_e32 v54, vcc, v50, v54
	v_addc_co_u32_e32 v55, vcc, v51, v55, vcc
	global_store_dwordx2 v[54:55], v[4:5], off
.LBB510_297:
	s_or_b64 exec, exec, s[38:39]
	s_and_b64 s[38:39], s[0:1], exec
	s_andn2_saveexec_b64 s[30:31], s[30:31]
	s_cbranch_execz .LBB510_214
.LBB510_298:
	v_sub_u32_e32 v54, v74, v78
	v_mov_b32_e32 v55, 0
	v_lshlrev_b64 v[56:57], 3, v[54:55]
	v_add_co_u32_e32 v56, vcc, v50, v56
	v_addc_co_u32_e32 v57, vcc, v51, v57, vcc
	v_sub_u32_e32 v54, v49, v78
	global_store_dwordx2 v[56:57], v[26:27], off
	v_lshlrev_b64 v[56:57], 3, v[54:55]
	v_add_co_u32_e32 v56, vcc, v50, v56
	v_addc_co_u32_e32 v57, vcc, v51, v57, vcc
	v_sub_u32_e32 v54, v48, v78
	global_store_dwordx2 v[56:57], v[28:29], off
	;; [unrolled: 5-line block ×12, first 2 shown]
	v_lshlrev_b64 v[56:57], 3, v[54:55]
	v_add_co_u32_e32 v56, vcc, v50, v56
	v_sub_u32_e32 v54, v37, v78
	v_addc_co_u32_e32 v57, vcc, v51, v57, vcc
	v_lshlrev_b64 v[54:55], 3, v[54:55]
	v_add_co_u32_e32 v54, vcc, v50, v54
	v_addc_co_u32_e32 v55, vcc, v51, v55, vcc
	s_or_b64 s[38:39], s[38:39], exec
	global_store_dwordx2 v[56:57], v[2:3], off
	global_store_dwordx2 v[54:55], v[4:5], off
	s_or_b64 exec, exec, s[30:31]
	s_and_b64 exec, exec, s[38:39]
	s_cbranch_execnz .LBB510_215
	s_branch .LBB510_216
.LBB510_299:
	s_and_saveexec_b64 s[38:39], s[28:29]
	s_cbranch_execnz .LBB510_363
; %bb.300:
	s_or_b64 exec, exec, s[38:39]
	s_and_saveexec_b64 s[28:29], s[26:27]
	s_cbranch_execnz .LBB510_364
.LBB510_301:
	s_or_b64 exec, exec, s[28:29]
	s_and_saveexec_b64 s[26:27], s[24:25]
	s_cbranch_execnz .LBB510_365
.LBB510_302:
	s_or_b64 exec, exec, s[26:27]
	s_and_saveexec_b64 s[24:25], s[22:23]
	s_cbranch_execnz .LBB510_366
.LBB510_303:
	s_or_b64 exec, exec, s[24:25]
	s_and_saveexec_b64 s[22:23], s[20:21]
	s_cbranch_execnz .LBB510_367
.LBB510_304:
	s_or_b64 exec, exec, s[22:23]
	s_and_saveexec_b64 s[20:21], s[18:19]
	s_cbranch_execnz .LBB510_368
.LBB510_305:
	s_or_b64 exec, exec, s[20:21]
	s_and_saveexec_b64 s[18:19], s[16:17]
	s_cbranch_execnz .LBB510_369
.LBB510_306:
	s_or_b64 exec, exec, s[18:19]
	s_and_saveexec_b64 s[16:17], s[14:15]
	s_cbranch_execnz .LBB510_370
.LBB510_307:
	s_or_b64 exec, exec, s[16:17]
	s_and_saveexec_b64 s[14:15], s[12:13]
	s_cbranch_execnz .LBB510_371
.LBB510_308:
	s_or_b64 exec, exec, s[14:15]
	s_and_saveexec_b64 s[12:13], s[10:11]
	s_cbranch_execnz .LBB510_372
.LBB510_309:
	s_or_b64 exec, exec, s[12:13]
	s_and_saveexec_b64 s[10:11], s[8:9]
	s_cbranch_execnz .LBB510_373
.LBB510_310:
	s_or_b64 exec, exec, s[10:11]
	s_and_saveexec_b64 s[8:9], s[6:7]
	s_cbranch_execnz .LBB510_374
.LBB510_311:
	s_or_b64 exec, exec, s[8:9]
	s_and_saveexec_b64 s[6:7], s[4:5]
	s_cbranch_execnz .LBB510_375
.LBB510_312:
	s_or_b64 exec, exec, s[6:7]
	s_and_saveexec_b64 s[4:5], s[2:3]
	s_cbranch_execz .LBB510_314
.LBB510_313:
	v_sub_u32_e32 v2, v37, v78
	v_lshlrev_b32_e32 v2, 3, v2
	ds_write_b64 v2, v[4:5]
.LBB510_314:
	s_or_b64 exec, exec, s[4:5]
	s_and_b64 s[38:39], s[0:1], exec
                                        ; implicit-def: $vgpr26_vgpr27_vgpr28_vgpr29
                                        ; implicit-def: $vgpr22_vgpr23_vgpr24_vgpr25
                                        ; implicit-def: $vgpr18_vgpr19_vgpr20_vgpr21
                                        ; implicit-def: $vgpr14_vgpr15_vgpr16_vgpr17
                                        ; implicit-def: $vgpr10_vgpr11_vgpr12_vgpr13
                                        ; implicit-def: $vgpr6_vgpr7_vgpr8_vgpr9
                                        ; implicit-def: $vgpr2_vgpr3_vgpr4_vgpr5
	s_andn2_saveexec_b64 s[0:1], s[36:37]
	s_cbranch_execz .LBB510_221
.LBB510_315:
	v_sub_u32_e32 v52, v74, v78
	v_lshlrev_b32_e32 v52, 3, v52
	ds_write_b64 v52, v[26:27]
	v_sub_u32_e32 v26, v49, v78
	v_lshlrev_b32_e32 v26, 3, v26
	ds_write_b64 v26, v[28:29]
	;; [unrolled: 3-line block ×13, first 2 shown]
	v_sub_u32_e32 v2, v37, v78
	v_lshlrev_b32_e32 v2, 3, v2
	s_or_b64 s[38:39], s[38:39], exec
	ds_write_b64 v2, v[4:5]
	s_or_b64 exec, exec, s[0:1]
	s_and_b64 exec, exec, s[38:39]
	s_cbranch_execnz .LBB510_222
	s_branch .LBB510_223
.LBB510_316:
	s_and_saveexec_b64 s[38:39], s[28:29]
	s_cbranch_execnz .LBB510_376
; %bb.317:
	s_or_b64 exec, exec, s[38:39]
	s_and_saveexec_b64 s[38:39], s[26:27]
	s_cbranch_execnz .LBB510_377
.LBB510_318:
	s_or_b64 exec, exec, s[38:39]
	s_and_saveexec_b64 s[38:39], s[24:25]
	s_cbranch_execnz .LBB510_378
.LBB510_319:
	s_or_b64 exec, exec, s[38:39]
	s_and_saveexec_b64 s[38:39], s[22:23]
	s_cbranch_execnz .LBB510_379
.LBB510_320:
	s_or_b64 exec, exec, s[38:39]
	s_and_saveexec_b64 s[38:39], s[20:21]
	s_cbranch_execnz .LBB510_380
.LBB510_321:
	s_or_b64 exec, exec, s[38:39]
	s_and_saveexec_b64 s[38:39], s[18:19]
	s_cbranch_execnz .LBB510_381
.LBB510_322:
	s_or_b64 exec, exec, s[38:39]
	s_and_saveexec_b64 s[38:39], s[16:17]
	s_cbranch_execnz .LBB510_382
.LBB510_323:
	s_or_b64 exec, exec, s[38:39]
	s_and_saveexec_b64 s[38:39], s[14:15]
	s_cbranch_execnz .LBB510_383
.LBB510_324:
	s_or_b64 exec, exec, s[38:39]
	s_and_saveexec_b64 s[38:39], s[12:13]
	s_cbranch_execnz .LBB510_384
.LBB510_325:
	s_or_b64 exec, exec, s[38:39]
	s_and_saveexec_b64 s[38:39], s[10:11]
	s_cbranch_execnz .LBB510_385
.LBB510_326:
	s_or_b64 exec, exec, s[38:39]
	s_and_saveexec_b64 s[38:39], s[8:9]
	s_cbranch_execnz .LBB510_386
.LBB510_327:
	s_or_b64 exec, exec, s[38:39]
	s_and_saveexec_b64 s[38:39], s[6:7]
	s_cbranch_execnz .LBB510_387
.LBB510_328:
	s_or_b64 exec, exec, s[38:39]
	s_and_saveexec_b64 s[38:39], s[4:5]
	s_cbranch_execnz .LBB510_388
.LBB510_329:
	s_or_b64 exec, exec, s[38:39]
	s_and_saveexec_b64 s[38:39], s[2:3]
	s_cbranch_execz .LBB510_331
.LBB510_330:
	v_sub_u32_e32 v10, v37, v8
	v_mov_b32_e32 v11, 0
	v_lshlrev_b64 v[10:11], 3, v[10:11]
	v_add_co_u32_e32 v10, vcc, v6, v10
	v_addc_co_u32_e32 v11, vcc, v7, v11, vcc
	global_store_dwordx2 v[10:11], v[106:107], off
.LBB510_331:
	s_or_b64 exec, exec, s[38:39]
	s_and_b64 s[38:39], s[0:1], exec
	s_andn2_saveexec_b64 s[30:31], s[30:31]
	s_cbranch_execz .LBB510_231
.LBB510_332:
	v_sub_u32_e32 v10, v74, v8
	v_mov_b32_e32 v11, 0
	v_lshlrev_b64 v[12:13], 3, v[10:11]
	v_add_co_u32_e32 v12, vcc, v6, v12
	v_addc_co_u32_e32 v13, vcc, v7, v13, vcc
	v_sub_u32_e32 v10, v49, v8
	global_store_dwordx2 v[12:13], v[104:105], off
	v_lshlrev_b64 v[12:13], 3, v[10:11]
	v_add_co_u32_e32 v12, vcc, v6, v12
	v_addc_co_u32_e32 v13, vcc, v7, v13, vcc
	v_sub_u32_e32 v10, v48, v8
	global_store_dwordx2 v[12:13], v[80:81], off
	;; [unrolled: 5-line block ×12, first 2 shown]
	v_lshlrev_b64 v[12:13], 3, v[10:11]
	v_add_co_u32_e32 v12, vcc, v6, v12
	v_sub_u32_e32 v10, v37, v8
	v_addc_co_u32_e32 v13, vcc, v7, v13, vcc
	v_lshlrev_b64 v[10:11], 3, v[10:11]
	v_add_co_u32_e32 v10, vcc, v6, v10
	v_addc_co_u32_e32 v11, vcc, v7, v11, vcc
	s_or_b64 s[38:39], s[38:39], exec
	global_store_dwordx2 v[12:13], v[102:103], off
	global_store_dwordx2 v[10:11], v[106:107], off
	s_or_b64 exec, exec, s[30:31]
	s_and_b64 exec, exec, s[38:39]
	s_cbranch_execnz .LBB510_232
	s_branch .LBB510_233
.LBB510_333:
	s_and_saveexec_b64 s[38:39], s[28:29]
	s_cbranch_execnz .LBB510_389
; %bb.334:
	s_or_b64 exec, exec, s[38:39]
	s_and_saveexec_b64 s[28:29], s[26:27]
	s_cbranch_execnz .LBB510_390
.LBB510_335:
	s_or_b64 exec, exec, s[28:29]
	s_and_saveexec_b64 s[26:27], s[24:25]
	s_cbranch_execnz .LBB510_391
.LBB510_336:
	s_or_b64 exec, exec, s[26:27]
	s_and_saveexec_b64 s[24:25], s[22:23]
	s_cbranch_execnz .LBB510_392
.LBB510_337:
	s_or_b64 exec, exec, s[24:25]
	s_and_saveexec_b64 s[22:23], s[20:21]
	s_cbranch_execnz .LBB510_393
.LBB510_338:
	s_or_b64 exec, exec, s[22:23]
	s_and_saveexec_b64 s[20:21], s[18:19]
	s_cbranch_execnz .LBB510_394
.LBB510_339:
	s_or_b64 exec, exec, s[20:21]
	s_and_saveexec_b64 s[18:19], s[16:17]
	s_cbranch_execnz .LBB510_395
.LBB510_340:
	s_or_b64 exec, exec, s[18:19]
	s_and_saveexec_b64 s[16:17], s[14:15]
	s_cbranch_execnz .LBB510_396
.LBB510_341:
	s_or_b64 exec, exec, s[16:17]
	s_and_saveexec_b64 s[14:15], s[12:13]
	s_cbranch_execnz .LBB510_397
.LBB510_342:
	s_or_b64 exec, exec, s[14:15]
	s_and_saveexec_b64 s[12:13], s[10:11]
	s_cbranch_execnz .LBB510_398
.LBB510_343:
	s_or_b64 exec, exec, s[12:13]
	s_and_saveexec_b64 s[10:11], s[8:9]
	s_cbranch_execnz .LBB510_399
.LBB510_344:
	s_or_b64 exec, exec, s[10:11]
	s_and_saveexec_b64 s[8:9], s[6:7]
	s_cbranch_execnz .LBB510_400
.LBB510_345:
	s_or_b64 exec, exec, s[8:9]
	s_and_saveexec_b64 s[6:7], s[4:5]
	s_cbranch_execnz .LBB510_401
.LBB510_346:
	s_or_b64 exec, exec, s[6:7]
	s_and_saveexec_b64 s[4:5], s[2:3]
	s_cbranch_execz .LBB510_348
.LBB510_347:
	v_sub_u32_e32 v9, v37, v8
	v_lshlrev_b32_e32 v9, 3, v9
	ds_write_b64 v9, v[106:107]
.LBB510_348:
	s_or_b64 exec, exec, s[4:5]
	s_and_b64 s[38:39], s[0:1], exec
                                        ; implicit-def: $vgpr104_vgpr105
                                        ; implicit-def: $vgpr80_vgpr81
                                        ; implicit-def: $vgpr82_vgpr83
                                        ; implicit-def: $vgpr84_vgpr85
                                        ; implicit-def: $vgpr86_vgpr87
                                        ; implicit-def: $vgpr88_vgpr89
                                        ; implicit-def: $vgpr90_vgpr91
                                        ; implicit-def: $vgpr92_vgpr93
                                        ; implicit-def: $vgpr94_vgpr95
                                        ; implicit-def: $vgpr96_vgpr97
                                        ; implicit-def: $vgpr98_vgpr99
                                        ; implicit-def: $vgpr100_vgpr101
                                        ; implicit-def: $vgpr102_vgpr103
                                        ; implicit-def: $vgpr106_vgpr107
                                        ; implicit-def: $vgpr74
                                        ; implicit-def: $vgpr49
                                        ; implicit-def: $vgpr48
                                        ; implicit-def: $vgpr47
                                        ; implicit-def: $vgpr46
                                        ; implicit-def: $vgpr45
                                        ; implicit-def: $vgpr44
                                        ; implicit-def: $vgpr43
                                        ; implicit-def: $vgpr42
                                        ; implicit-def: $vgpr41
                                        ; implicit-def: $vgpr40
                                        ; implicit-def: $vgpr39
                                        ; implicit-def: $vgpr38
                                        ; implicit-def: $vgpr37
	s_andn2_saveexec_b64 s[0:1], s[36:37]
	s_cbranch_execz .LBB510_238
.LBB510_349:
	v_sub_u32_e32 v9, v74, v8
	v_lshlrev_b32_e32 v9, 3, v9
	ds_write_b64 v9, v[104:105]
	v_sub_u32_e32 v9, v49, v8
	v_lshlrev_b32_e32 v9, 3, v9
	ds_write_b64 v9, v[80:81]
	;; [unrolled: 3-line block ×13, first 2 shown]
	v_sub_u32_e32 v9, v37, v8
	v_lshlrev_b32_e32 v9, 3, v9
	s_or_b64 s[38:39], s[38:39], exec
	ds_write_b64 v9, v[106:107]
	s_or_b64 exec, exec, s[0:1]
	s_and_b64 exec, exec, s[38:39]
	s_cbranch_execnz .LBB510_239
	s_branch .LBB510_240
.LBB510_350:
	v_sub_u32_e32 v54, v74, v78
	v_mov_b32_e32 v55, 0
	v_lshlrev_b64 v[54:55], 3, v[54:55]
	v_add_co_u32_e32 v54, vcc, v50, v54
	v_addc_co_u32_e32 v55, vcc, v51, v55, vcc
	global_store_dwordx2 v[54:55], v[26:27], off
	s_or_b64 exec, exec, s[38:39]
	s_and_saveexec_b64 s[38:39], s[26:27]
	s_cbranch_execz .LBB510_284
.LBB510_351:
	v_sub_u32_e32 v54, v49, v78
	v_mov_b32_e32 v55, 0
	v_lshlrev_b64 v[54:55], 3, v[54:55]
	v_add_co_u32_e32 v54, vcc, v50, v54
	v_addc_co_u32_e32 v55, vcc, v51, v55, vcc
	global_store_dwordx2 v[54:55], v[28:29], off
	s_or_b64 exec, exec, s[38:39]
	s_and_saveexec_b64 s[38:39], s[24:25]
	s_cbranch_execz .LBB510_285
.LBB510_352:
	v_sub_u32_e32 v54, v48, v78
	v_mov_b32_e32 v55, 0
	v_lshlrev_b64 v[54:55], 3, v[54:55]
	v_add_co_u32_e32 v54, vcc, v50, v54
	v_addc_co_u32_e32 v55, vcc, v51, v55, vcc
	global_store_dwordx2 v[54:55], v[22:23], off
	s_or_b64 exec, exec, s[38:39]
	s_and_saveexec_b64 s[38:39], s[22:23]
	s_cbranch_execz .LBB510_286
.LBB510_353:
	v_sub_u32_e32 v54, v47, v78
	v_mov_b32_e32 v55, 0
	v_lshlrev_b64 v[54:55], 3, v[54:55]
	v_add_co_u32_e32 v54, vcc, v50, v54
	v_addc_co_u32_e32 v55, vcc, v51, v55, vcc
	global_store_dwordx2 v[54:55], v[24:25], off
	s_or_b64 exec, exec, s[38:39]
	s_and_saveexec_b64 s[38:39], s[20:21]
	s_cbranch_execz .LBB510_287
.LBB510_354:
	v_sub_u32_e32 v54, v46, v78
	v_mov_b32_e32 v55, 0
	v_lshlrev_b64 v[54:55], 3, v[54:55]
	v_add_co_u32_e32 v54, vcc, v50, v54
	v_addc_co_u32_e32 v55, vcc, v51, v55, vcc
	global_store_dwordx2 v[54:55], v[18:19], off
	s_or_b64 exec, exec, s[38:39]
	s_and_saveexec_b64 s[38:39], s[18:19]
	s_cbranch_execz .LBB510_288
.LBB510_355:
	v_sub_u32_e32 v54, v45, v78
	v_mov_b32_e32 v55, 0
	v_lshlrev_b64 v[54:55], 3, v[54:55]
	v_add_co_u32_e32 v54, vcc, v50, v54
	v_addc_co_u32_e32 v55, vcc, v51, v55, vcc
	global_store_dwordx2 v[54:55], v[20:21], off
	s_or_b64 exec, exec, s[38:39]
	s_and_saveexec_b64 s[38:39], s[16:17]
	s_cbranch_execz .LBB510_289
.LBB510_356:
	v_sub_u32_e32 v54, v44, v78
	v_mov_b32_e32 v55, 0
	v_lshlrev_b64 v[54:55], 3, v[54:55]
	v_add_co_u32_e32 v54, vcc, v50, v54
	v_addc_co_u32_e32 v55, vcc, v51, v55, vcc
	global_store_dwordx2 v[54:55], v[14:15], off
	s_or_b64 exec, exec, s[38:39]
	s_and_saveexec_b64 s[38:39], s[14:15]
	s_cbranch_execz .LBB510_290
.LBB510_357:
	v_sub_u32_e32 v54, v43, v78
	v_mov_b32_e32 v55, 0
	v_lshlrev_b64 v[54:55], 3, v[54:55]
	v_add_co_u32_e32 v54, vcc, v50, v54
	v_addc_co_u32_e32 v55, vcc, v51, v55, vcc
	global_store_dwordx2 v[54:55], v[16:17], off
	s_or_b64 exec, exec, s[38:39]
	s_and_saveexec_b64 s[38:39], s[12:13]
	s_cbranch_execz .LBB510_291
.LBB510_358:
	v_sub_u32_e32 v54, v42, v78
	v_mov_b32_e32 v55, 0
	v_lshlrev_b64 v[54:55], 3, v[54:55]
	v_add_co_u32_e32 v54, vcc, v50, v54
	v_addc_co_u32_e32 v55, vcc, v51, v55, vcc
	global_store_dwordx2 v[54:55], v[10:11], off
	s_or_b64 exec, exec, s[38:39]
	s_and_saveexec_b64 s[38:39], s[10:11]
	s_cbranch_execz .LBB510_292
.LBB510_359:
	v_sub_u32_e32 v54, v41, v78
	v_mov_b32_e32 v55, 0
	v_lshlrev_b64 v[54:55], 3, v[54:55]
	v_add_co_u32_e32 v54, vcc, v50, v54
	v_addc_co_u32_e32 v55, vcc, v51, v55, vcc
	global_store_dwordx2 v[54:55], v[12:13], off
	s_or_b64 exec, exec, s[38:39]
	s_and_saveexec_b64 s[38:39], s[8:9]
	s_cbranch_execz .LBB510_293
.LBB510_360:
	v_sub_u32_e32 v54, v40, v78
	v_mov_b32_e32 v55, 0
	v_lshlrev_b64 v[54:55], 3, v[54:55]
	v_add_co_u32_e32 v54, vcc, v50, v54
	v_addc_co_u32_e32 v55, vcc, v51, v55, vcc
	global_store_dwordx2 v[54:55], v[6:7], off
	s_or_b64 exec, exec, s[38:39]
	s_and_saveexec_b64 s[38:39], s[6:7]
	s_cbranch_execz .LBB510_294
.LBB510_361:
	v_sub_u32_e32 v54, v39, v78
	v_mov_b32_e32 v55, 0
	v_lshlrev_b64 v[54:55], 3, v[54:55]
	v_add_co_u32_e32 v54, vcc, v50, v54
	v_addc_co_u32_e32 v55, vcc, v51, v55, vcc
	global_store_dwordx2 v[54:55], v[8:9], off
	s_or_b64 exec, exec, s[38:39]
	s_and_saveexec_b64 s[38:39], s[4:5]
	s_cbranch_execz .LBB510_295
.LBB510_362:
	v_sub_u32_e32 v54, v38, v78
	v_mov_b32_e32 v55, 0
	v_lshlrev_b64 v[54:55], 3, v[54:55]
	v_add_co_u32_e32 v54, vcc, v50, v54
	v_addc_co_u32_e32 v55, vcc, v51, v55, vcc
	global_store_dwordx2 v[54:55], v[2:3], off
	s_or_b64 exec, exec, s[38:39]
	s_and_saveexec_b64 s[38:39], s[2:3]
	s_cbranch_execnz .LBB510_296
	s_branch .LBB510_297
.LBB510_363:
	v_sub_u32_e32 v52, v74, v78
	v_lshlrev_b32_e32 v52, 3, v52
	ds_write_b64 v52, v[26:27]
	s_or_b64 exec, exec, s[38:39]
	s_and_saveexec_b64 s[28:29], s[26:27]
	s_cbranch_execz .LBB510_301
.LBB510_364:
	v_sub_u32_e32 v26, v49, v78
	v_lshlrev_b32_e32 v26, 3, v26
	ds_write_b64 v26, v[28:29]
	s_or_b64 exec, exec, s[28:29]
	s_and_saveexec_b64 s[26:27], s[24:25]
	s_cbranch_execz .LBB510_302
.LBB510_365:
	v_sub_u32_e32 v26, v48, v78
	v_lshlrev_b32_e32 v26, 3, v26
	ds_write_b64 v26, v[22:23]
	s_or_b64 exec, exec, s[26:27]
	s_and_saveexec_b64 s[24:25], s[22:23]
	s_cbranch_execz .LBB510_303
.LBB510_366:
	v_sub_u32_e32 v22, v47, v78
	v_lshlrev_b32_e32 v22, 3, v22
	ds_write_b64 v22, v[24:25]
	s_or_b64 exec, exec, s[24:25]
	s_and_saveexec_b64 s[22:23], s[20:21]
	s_cbranch_execz .LBB510_304
.LBB510_367:
	v_sub_u32_e32 v22, v46, v78
	v_lshlrev_b32_e32 v22, 3, v22
	ds_write_b64 v22, v[18:19]
	s_or_b64 exec, exec, s[22:23]
	s_and_saveexec_b64 s[20:21], s[18:19]
	s_cbranch_execz .LBB510_305
.LBB510_368:
	v_sub_u32_e32 v18, v45, v78
	v_lshlrev_b32_e32 v18, 3, v18
	ds_write_b64 v18, v[20:21]
	s_or_b64 exec, exec, s[20:21]
	s_and_saveexec_b64 s[18:19], s[16:17]
	s_cbranch_execz .LBB510_306
.LBB510_369:
	v_sub_u32_e32 v18, v44, v78
	v_lshlrev_b32_e32 v18, 3, v18
	ds_write_b64 v18, v[14:15]
	s_or_b64 exec, exec, s[18:19]
	s_and_saveexec_b64 s[16:17], s[14:15]
	s_cbranch_execz .LBB510_307
.LBB510_370:
	v_sub_u32_e32 v14, v43, v78
	v_lshlrev_b32_e32 v14, 3, v14
	ds_write_b64 v14, v[16:17]
	s_or_b64 exec, exec, s[16:17]
	s_and_saveexec_b64 s[14:15], s[12:13]
	s_cbranch_execz .LBB510_308
.LBB510_371:
	v_sub_u32_e32 v14, v42, v78
	v_lshlrev_b32_e32 v14, 3, v14
	ds_write_b64 v14, v[10:11]
	s_or_b64 exec, exec, s[14:15]
	s_and_saveexec_b64 s[12:13], s[10:11]
	s_cbranch_execz .LBB510_309
.LBB510_372:
	v_sub_u32_e32 v10, v41, v78
	v_lshlrev_b32_e32 v10, 3, v10
	ds_write_b64 v10, v[12:13]
	s_or_b64 exec, exec, s[12:13]
	s_and_saveexec_b64 s[10:11], s[8:9]
	s_cbranch_execz .LBB510_310
.LBB510_373:
	v_sub_u32_e32 v10, v40, v78
	v_lshlrev_b32_e32 v10, 3, v10
	ds_write_b64 v10, v[6:7]
	s_or_b64 exec, exec, s[10:11]
	s_and_saveexec_b64 s[8:9], s[6:7]
	s_cbranch_execz .LBB510_311
.LBB510_374:
	v_sub_u32_e32 v6, v39, v78
	v_lshlrev_b32_e32 v6, 3, v6
	ds_write_b64 v6, v[8:9]
	s_or_b64 exec, exec, s[8:9]
	s_and_saveexec_b64 s[6:7], s[4:5]
	s_cbranch_execz .LBB510_312
.LBB510_375:
	v_sub_u32_e32 v6, v38, v78
	v_lshlrev_b32_e32 v6, 3, v6
	ds_write_b64 v6, v[2:3]
	s_or_b64 exec, exec, s[6:7]
	s_and_saveexec_b64 s[4:5], s[2:3]
	s_cbranch_execnz .LBB510_313
	s_branch .LBB510_314
.LBB510_376:
	v_sub_u32_e32 v10, v74, v8
	v_mov_b32_e32 v11, 0
	v_lshlrev_b64 v[10:11], 3, v[10:11]
	v_add_co_u32_e32 v10, vcc, v6, v10
	v_addc_co_u32_e32 v11, vcc, v7, v11, vcc
	global_store_dwordx2 v[10:11], v[104:105], off
	s_or_b64 exec, exec, s[38:39]
	s_and_saveexec_b64 s[38:39], s[26:27]
	s_cbranch_execz .LBB510_318
.LBB510_377:
	v_sub_u32_e32 v10, v49, v8
	v_mov_b32_e32 v11, 0
	v_lshlrev_b64 v[10:11], 3, v[10:11]
	v_add_co_u32_e32 v10, vcc, v6, v10
	v_addc_co_u32_e32 v11, vcc, v7, v11, vcc
	global_store_dwordx2 v[10:11], v[80:81], off
	s_or_b64 exec, exec, s[38:39]
	s_and_saveexec_b64 s[38:39], s[24:25]
	s_cbranch_execz .LBB510_319
.LBB510_378:
	v_sub_u32_e32 v10, v48, v8
	v_mov_b32_e32 v11, 0
	v_lshlrev_b64 v[10:11], 3, v[10:11]
	v_add_co_u32_e32 v10, vcc, v6, v10
	v_addc_co_u32_e32 v11, vcc, v7, v11, vcc
	global_store_dwordx2 v[10:11], v[82:83], off
	s_or_b64 exec, exec, s[38:39]
	s_and_saveexec_b64 s[38:39], s[22:23]
	s_cbranch_execz .LBB510_320
.LBB510_379:
	v_sub_u32_e32 v10, v47, v8
	v_mov_b32_e32 v11, 0
	v_lshlrev_b64 v[10:11], 3, v[10:11]
	v_add_co_u32_e32 v10, vcc, v6, v10
	v_addc_co_u32_e32 v11, vcc, v7, v11, vcc
	global_store_dwordx2 v[10:11], v[84:85], off
	s_or_b64 exec, exec, s[38:39]
	s_and_saveexec_b64 s[38:39], s[20:21]
	s_cbranch_execz .LBB510_321
.LBB510_380:
	v_sub_u32_e32 v10, v46, v8
	v_mov_b32_e32 v11, 0
	v_lshlrev_b64 v[10:11], 3, v[10:11]
	v_add_co_u32_e32 v10, vcc, v6, v10
	v_addc_co_u32_e32 v11, vcc, v7, v11, vcc
	global_store_dwordx2 v[10:11], v[86:87], off
	s_or_b64 exec, exec, s[38:39]
	s_and_saveexec_b64 s[38:39], s[18:19]
	s_cbranch_execz .LBB510_322
.LBB510_381:
	v_sub_u32_e32 v10, v45, v8
	v_mov_b32_e32 v11, 0
	v_lshlrev_b64 v[10:11], 3, v[10:11]
	v_add_co_u32_e32 v10, vcc, v6, v10
	v_addc_co_u32_e32 v11, vcc, v7, v11, vcc
	global_store_dwordx2 v[10:11], v[88:89], off
	s_or_b64 exec, exec, s[38:39]
	s_and_saveexec_b64 s[38:39], s[16:17]
	s_cbranch_execz .LBB510_323
.LBB510_382:
	v_sub_u32_e32 v10, v44, v8
	v_mov_b32_e32 v11, 0
	v_lshlrev_b64 v[10:11], 3, v[10:11]
	v_add_co_u32_e32 v10, vcc, v6, v10
	v_addc_co_u32_e32 v11, vcc, v7, v11, vcc
	global_store_dwordx2 v[10:11], v[90:91], off
	s_or_b64 exec, exec, s[38:39]
	s_and_saveexec_b64 s[38:39], s[14:15]
	s_cbranch_execz .LBB510_324
.LBB510_383:
	v_sub_u32_e32 v10, v43, v8
	v_mov_b32_e32 v11, 0
	v_lshlrev_b64 v[10:11], 3, v[10:11]
	v_add_co_u32_e32 v10, vcc, v6, v10
	v_addc_co_u32_e32 v11, vcc, v7, v11, vcc
	global_store_dwordx2 v[10:11], v[92:93], off
	s_or_b64 exec, exec, s[38:39]
	s_and_saveexec_b64 s[38:39], s[12:13]
	s_cbranch_execz .LBB510_325
.LBB510_384:
	v_sub_u32_e32 v10, v42, v8
	v_mov_b32_e32 v11, 0
	v_lshlrev_b64 v[10:11], 3, v[10:11]
	v_add_co_u32_e32 v10, vcc, v6, v10
	v_addc_co_u32_e32 v11, vcc, v7, v11, vcc
	global_store_dwordx2 v[10:11], v[94:95], off
	s_or_b64 exec, exec, s[38:39]
	s_and_saveexec_b64 s[38:39], s[10:11]
	s_cbranch_execz .LBB510_326
.LBB510_385:
	v_sub_u32_e32 v10, v41, v8
	v_mov_b32_e32 v11, 0
	v_lshlrev_b64 v[10:11], 3, v[10:11]
	v_add_co_u32_e32 v10, vcc, v6, v10
	v_addc_co_u32_e32 v11, vcc, v7, v11, vcc
	global_store_dwordx2 v[10:11], v[96:97], off
	s_or_b64 exec, exec, s[38:39]
	s_and_saveexec_b64 s[38:39], s[8:9]
	s_cbranch_execz .LBB510_327
.LBB510_386:
	v_sub_u32_e32 v10, v40, v8
	v_mov_b32_e32 v11, 0
	v_lshlrev_b64 v[10:11], 3, v[10:11]
	v_add_co_u32_e32 v10, vcc, v6, v10
	v_addc_co_u32_e32 v11, vcc, v7, v11, vcc
	global_store_dwordx2 v[10:11], v[98:99], off
	s_or_b64 exec, exec, s[38:39]
	s_and_saveexec_b64 s[38:39], s[6:7]
	s_cbranch_execz .LBB510_328
.LBB510_387:
	v_sub_u32_e32 v10, v39, v8
	v_mov_b32_e32 v11, 0
	v_lshlrev_b64 v[10:11], 3, v[10:11]
	v_add_co_u32_e32 v10, vcc, v6, v10
	v_addc_co_u32_e32 v11, vcc, v7, v11, vcc
	global_store_dwordx2 v[10:11], v[100:101], off
	s_or_b64 exec, exec, s[38:39]
	s_and_saveexec_b64 s[38:39], s[4:5]
	s_cbranch_execz .LBB510_329
.LBB510_388:
	v_sub_u32_e32 v10, v38, v8
	v_mov_b32_e32 v11, 0
	v_lshlrev_b64 v[10:11], 3, v[10:11]
	v_add_co_u32_e32 v10, vcc, v6, v10
	v_addc_co_u32_e32 v11, vcc, v7, v11, vcc
	global_store_dwordx2 v[10:11], v[102:103], off
	s_or_b64 exec, exec, s[38:39]
	s_and_saveexec_b64 s[38:39], s[2:3]
	s_cbranch_execnz .LBB510_330
	s_branch .LBB510_331
.LBB510_389:
	v_sub_u32_e32 v9, v74, v8
	v_lshlrev_b32_e32 v9, 3, v9
	ds_write_b64 v9, v[104:105]
	s_or_b64 exec, exec, s[38:39]
	s_and_saveexec_b64 s[28:29], s[26:27]
	s_cbranch_execz .LBB510_335
.LBB510_390:
	v_sub_u32_e32 v9, v49, v8
	v_lshlrev_b32_e32 v9, 3, v9
	ds_write_b64 v9, v[80:81]
	s_or_b64 exec, exec, s[28:29]
	s_and_saveexec_b64 s[26:27], s[24:25]
	s_cbranch_execz .LBB510_336
.LBB510_391:
	v_sub_u32_e32 v9, v48, v8
	v_lshlrev_b32_e32 v9, 3, v9
	ds_write_b64 v9, v[82:83]
	s_or_b64 exec, exec, s[26:27]
	s_and_saveexec_b64 s[24:25], s[22:23]
	s_cbranch_execz .LBB510_337
.LBB510_392:
	v_sub_u32_e32 v9, v47, v8
	v_lshlrev_b32_e32 v9, 3, v9
	ds_write_b64 v9, v[84:85]
	s_or_b64 exec, exec, s[24:25]
	s_and_saveexec_b64 s[22:23], s[20:21]
	s_cbranch_execz .LBB510_338
.LBB510_393:
	v_sub_u32_e32 v9, v46, v8
	v_lshlrev_b32_e32 v9, 3, v9
	ds_write_b64 v9, v[86:87]
	s_or_b64 exec, exec, s[22:23]
	s_and_saveexec_b64 s[20:21], s[18:19]
	s_cbranch_execz .LBB510_339
.LBB510_394:
	v_sub_u32_e32 v9, v45, v8
	v_lshlrev_b32_e32 v9, 3, v9
	ds_write_b64 v9, v[88:89]
	s_or_b64 exec, exec, s[20:21]
	s_and_saveexec_b64 s[18:19], s[16:17]
	s_cbranch_execz .LBB510_340
.LBB510_395:
	v_sub_u32_e32 v9, v44, v8
	v_lshlrev_b32_e32 v9, 3, v9
	ds_write_b64 v9, v[90:91]
	s_or_b64 exec, exec, s[18:19]
	s_and_saveexec_b64 s[16:17], s[14:15]
	s_cbranch_execz .LBB510_341
.LBB510_396:
	v_sub_u32_e32 v9, v43, v8
	v_lshlrev_b32_e32 v9, 3, v9
	ds_write_b64 v9, v[92:93]
	s_or_b64 exec, exec, s[16:17]
	s_and_saveexec_b64 s[14:15], s[12:13]
	s_cbranch_execz .LBB510_342
.LBB510_397:
	v_sub_u32_e32 v9, v42, v8
	v_lshlrev_b32_e32 v9, 3, v9
	ds_write_b64 v9, v[94:95]
	s_or_b64 exec, exec, s[14:15]
	s_and_saveexec_b64 s[12:13], s[10:11]
	s_cbranch_execz .LBB510_343
.LBB510_398:
	v_sub_u32_e32 v9, v41, v8
	v_lshlrev_b32_e32 v9, 3, v9
	ds_write_b64 v9, v[96:97]
	s_or_b64 exec, exec, s[12:13]
	s_and_saveexec_b64 s[10:11], s[8:9]
	s_cbranch_execz .LBB510_344
.LBB510_399:
	v_sub_u32_e32 v9, v40, v8
	v_lshlrev_b32_e32 v9, 3, v9
	ds_write_b64 v9, v[98:99]
	s_or_b64 exec, exec, s[10:11]
	s_and_saveexec_b64 s[8:9], s[6:7]
	s_cbranch_execz .LBB510_345
.LBB510_400:
	v_sub_u32_e32 v9, v39, v8
	v_lshlrev_b32_e32 v9, 3, v9
	ds_write_b64 v9, v[100:101]
	s_or_b64 exec, exec, s[8:9]
	s_and_saveexec_b64 s[6:7], s[4:5]
	s_cbranch_execz .LBB510_346
.LBB510_401:
	v_sub_u32_e32 v9, v38, v8
	v_lshlrev_b32_e32 v9, 3, v9
	ds_write_b64 v9, v[102:103]
	s_or_b64 exec, exec, s[6:7]
	s_and_saveexec_b64 s[4:5], s[2:3]
	s_cbranch_execnz .LBB510_347
	s_branch .LBB510_348
	.section	.rodata,"a",@progbits
	.p2align	6, 0x0
	.amdhsa_kernel _ZN7rocprim17ROCPRIM_400000_NS6detail17trampoline_kernelINS0_14default_configENS1_29reduce_by_key_config_selectorIxxN6thrust23THRUST_200600_302600_NS4plusIxEEEEZZNS1_33reduce_by_key_impl_wrapped_configILNS1_25lookback_scan_determinismE0ES3_S9_NS6_6detail15normal_iteratorINS6_10device_ptrIxEEEESG_SG_SG_PmS8_22is_equal_div_10_reduceIxEEE10hipError_tPvRmT2_T3_mT4_T5_T6_T7_T8_P12ihipStream_tbENKUlT_T0_E_clISt17integral_constantIbLb0EES11_EEDaSW_SX_EUlSW_E_NS1_11comp_targetILNS1_3genE4ELNS1_11target_archE910ELNS1_3gpuE8ELNS1_3repE0EEENS1_30default_config_static_selectorELNS0_4arch9wavefront6targetE1EEEvT1_
		.amdhsa_group_segment_fixed_size 30720
		.amdhsa_private_segment_fixed_size 0
		.amdhsa_kernarg_size 136
		.amdhsa_user_sgpr_count 6
		.amdhsa_user_sgpr_private_segment_buffer 1
		.amdhsa_user_sgpr_dispatch_ptr 0
		.amdhsa_user_sgpr_queue_ptr 0
		.amdhsa_user_sgpr_kernarg_segment_ptr 1
		.amdhsa_user_sgpr_dispatch_id 0
		.amdhsa_user_sgpr_flat_scratch_init 0
		.amdhsa_user_sgpr_kernarg_preload_length 0
		.amdhsa_user_sgpr_kernarg_preload_offset 0
		.amdhsa_user_sgpr_private_segment_size 0
		.amdhsa_uses_dynamic_stack 0
		.amdhsa_system_sgpr_private_segment_wavefront_offset 0
		.amdhsa_system_sgpr_workgroup_id_x 1
		.amdhsa_system_sgpr_workgroup_id_y 0
		.amdhsa_system_sgpr_workgroup_id_z 0
		.amdhsa_system_sgpr_workgroup_info 0
		.amdhsa_system_vgpr_workitem_id 0
		.amdhsa_next_free_vgpr 116
		.amdhsa_next_free_sgpr 65
		.amdhsa_accum_offset 116
		.amdhsa_reserve_vcc 1
		.amdhsa_reserve_flat_scratch 0
		.amdhsa_float_round_mode_32 0
		.amdhsa_float_round_mode_16_64 0
		.amdhsa_float_denorm_mode_32 3
		.amdhsa_float_denorm_mode_16_64 3
		.amdhsa_dx10_clamp 1
		.amdhsa_ieee_mode 1
		.amdhsa_fp16_overflow 0
		.amdhsa_tg_split 0
		.amdhsa_exception_fp_ieee_invalid_op 0
		.amdhsa_exception_fp_denorm_src 0
		.amdhsa_exception_fp_ieee_div_zero 0
		.amdhsa_exception_fp_ieee_overflow 0
		.amdhsa_exception_fp_ieee_underflow 0
		.amdhsa_exception_fp_ieee_inexact 0
		.amdhsa_exception_int_div_zero 0
	.end_amdhsa_kernel
	.section	.text._ZN7rocprim17ROCPRIM_400000_NS6detail17trampoline_kernelINS0_14default_configENS1_29reduce_by_key_config_selectorIxxN6thrust23THRUST_200600_302600_NS4plusIxEEEEZZNS1_33reduce_by_key_impl_wrapped_configILNS1_25lookback_scan_determinismE0ES3_S9_NS6_6detail15normal_iteratorINS6_10device_ptrIxEEEESG_SG_SG_PmS8_22is_equal_div_10_reduceIxEEE10hipError_tPvRmT2_T3_mT4_T5_T6_T7_T8_P12ihipStream_tbENKUlT_T0_E_clISt17integral_constantIbLb0EES11_EEDaSW_SX_EUlSW_E_NS1_11comp_targetILNS1_3genE4ELNS1_11target_archE910ELNS1_3gpuE8ELNS1_3repE0EEENS1_30default_config_static_selectorELNS0_4arch9wavefront6targetE1EEEvT1_,"axG",@progbits,_ZN7rocprim17ROCPRIM_400000_NS6detail17trampoline_kernelINS0_14default_configENS1_29reduce_by_key_config_selectorIxxN6thrust23THRUST_200600_302600_NS4plusIxEEEEZZNS1_33reduce_by_key_impl_wrapped_configILNS1_25lookback_scan_determinismE0ES3_S9_NS6_6detail15normal_iteratorINS6_10device_ptrIxEEEESG_SG_SG_PmS8_22is_equal_div_10_reduceIxEEE10hipError_tPvRmT2_T3_mT4_T5_T6_T7_T8_P12ihipStream_tbENKUlT_T0_E_clISt17integral_constantIbLb0EES11_EEDaSW_SX_EUlSW_E_NS1_11comp_targetILNS1_3genE4ELNS1_11target_archE910ELNS1_3gpuE8ELNS1_3repE0EEENS1_30default_config_static_selectorELNS0_4arch9wavefront6targetE1EEEvT1_,comdat
.Lfunc_end510:
	.size	_ZN7rocprim17ROCPRIM_400000_NS6detail17trampoline_kernelINS0_14default_configENS1_29reduce_by_key_config_selectorIxxN6thrust23THRUST_200600_302600_NS4plusIxEEEEZZNS1_33reduce_by_key_impl_wrapped_configILNS1_25lookback_scan_determinismE0ES3_S9_NS6_6detail15normal_iteratorINS6_10device_ptrIxEEEESG_SG_SG_PmS8_22is_equal_div_10_reduceIxEEE10hipError_tPvRmT2_T3_mT4_T5_T6_T7_T8_P12ihipStream_tbENKUlT_T0_E_clISt17integral_constantIbLb0EES11_EEDaSW_SX_EUlSW_E_NS1_11comp_targetILNS1_3genE4ELNS1_11target_archE910ELNS1_3gpuE8ELNS1_3repE0EEENS1_30default_config_static_selectorELNS0_4arch9wavefront6targetE1EEEvT1_, .Lfunc_end510-_ZN7rocprim17ROCPRIM_400000_NS6detail17trampoline_kernelINS0_14default_configENS1_29reduce_by_key_config_selectorIxxN6thrust23THRUST_200600_302600_NS4plusIxEEEEZZNS1_33reduce_by_key_impl_wrapped_configILNS1_25lookback_scan_determinismE0ES3_S9_NS6_6detail15normal_iteratorINS6_10device_ptrIxEEEESG_SG_SG_PmS8_22is_equal_div_10_reduceIxEEE10hipError_tPvRmT2_T3_mT4_T5_T6_T7_T8_P12ihipStream_tbENKUlT_T0_E_clISt17integral_constantIbLb0EES11_EEDaSW_SX_EUlSW_E_NS1_11comp_targetILNS1_3genE4ELNS1_11target_archE910ELNS1_3gpuE8ELNS1_3repE0EEENS1_30default_config_static_selectorELNS0_4arch9wavefront6targetE1EEEvT1_
                                        ; -- End function
	.section	.AMDGPU.csdata,"",@progbits
; Kernel info:
; codeLenInByte = 18820
; NumSgprs: 69
; NumVgprs: 116
; NumAgprs: 0
; TotalNumVgprs: 116
; ScratchSize: 0
; MemoryBound: 0
; FloatMode: 240
; IeeeMode: 1
; LDSByteSize: 30720 bytes/workgroup (compile time only)
; SGPRBlocks: 8
; VGPRBlocks: 14
; NumSGPRsForWavesPerEU: 69
; NumVGPRsForWavesPerEU: 116
; AccumOffset: 116
; Occupancy: 2
; WaveLimiterHint : 1
; COMPUTE_PGM_RSRC2:SCRATCH_EN: 0
; COMPUTE_PGM_RSRC2:USER_SGPR: 6
; COMPUTE_PGM_RSRC2:TRAP_HANDLER: 0
; COMPUTE_PGM_RSRC2:TGID_X_EN: 1
; COMPUTE_PGM_RSRC2:TGID_Y_EN: 0
; COMPUTE_PGM_RSRC2:TGID_Z_EN: 0
; COMPUTE_PGM_RSRC2:TIDIG_COMP_CNT: 0
; COMPUTE_PGM_RSRC3_GFX90A:ACCUM_OFFSET: 28
; COMPUTE_PGM_RSRC3_GFX90A:TG_SPLIT: 0
	.section	.text._ZN7rocprim17ROCPRIM_400000_NS6detail17trampoline_kernelINS0_14default_configENS1_29reduce_by_key_config_selectorIxxN6thrust23THRUST_200600_302600_NS4plusIxEEEEZZNS1_33reduce_by_key_impl_wrapped_configILNS1_25lookback_scan_determinismE0ES3_S9_NS6_6detail15normal_iteratorINS6_10device_ptrIxEEEESG_SG_SG_PmS8_22is_equal_div_10_reduceIxEEE10hipError_tPvRmT2_T3_mT4_T5_T6_T7_T8_P12ihipStream_tbENKUlT_T0_E_clISt17integral_constantIbLb0EES11_EEDaSW_SX_EUlSW_E_NS1_11comp_targetILNS1_3genE3ELNS1_11target_archE908ELNS1_3gpuE7ELNS1_3repE0EEENS1_30default_config_static_selectorELNS0_4arch9wavefront6targetE1EEEvT1_,"axG",@progbits,_ZN7rocprim17ROCPRIM_400000_NS6detail17trampoline_kernelINS0_14default_configENS1_29reduce_by_key_config_selectorIxxN6thrust23THRUST_200600_302600_NS4plusIxEEEEZZNS1_33reduce_by_key_impl_wrapped_configILNS1_25lookback_scan_determinismE0ES3_S9_NS6_6detail15normal_iteratorINS6_10device_ptrIxEEEESG_SG_SG_PmS8_22is_equal_div_10_reduceIxEEE10hipError_tPvRmT2_T3_mT4_T5_T6_T7_T8_P12ihipStream_tbENKUlT_T0_E_clISt17integral_constantIbLb0EES11_EEDaSW_SX_EUlSW_E_NS1_11comp_targetILNS1_3genE3ELNS1_11target_archE908ELNS1_3gpuE7ELNS1_3repE0EEENS1_30default_config_static_selectorELNS0_4arch9wavefront6targetE1EEEvT1_,comdat
	.protected	_ZN7rocprim17ROCPRIM_400000_NS6detail17trampoline_kernelINS0_14default_configENS1_29reduce_by_key_config_selectorIxxN6thrust23THRUST_200600_302600_NS4plusIxEEEEZZNS1_33reduce_by_key_impl_wrapped_configILNS1_25lookback_scan_determinismE0ES3_S9_NS6_6detail15normal_iteratorINS6_10device_ptrIxEEEESG_SG_SG_PmS8_22is_equal_div_10_reduceIxEEE10hipError_tPvRmT2_T3_mT4_T5_T6_T7_T8_P12ihipStream_tbENKUlT_T0_E_clISt17integral_constantIbLb0EES11_EEDaSW_SX_EUlSW_E_NS1_11comp_targetILNS1_3genE3ELNS1_11target_archE908ELNS1_3gpuE7ELNS1_3repE0EEENS1_30default_config_static_selectorELNS0_4arch9wavefront6targetE1EEEvT1_ ; -- Begin function _ZN7rocprim17ROCPRIM_400000_NS6detail17trampoline_kernelINS0_14default_configENS1_29reduce_by_key_config_selectorIxxN6thrust23THRUST_200600_302600_NS4plusIxEEEEZZNS1_33reduce_by_key_impl_wrapped_configILNS1_25lookback_scan_determinismE0ES3_S9_NS6_6detail15normal_iteratorINS6_10device_ptrIxEEEESG_SG_SG_PmS8_22is_equal_div_10_reduceIxEEE10hipError_tPvRmT2_T3_mT4_T5_T6_T7_T8_P12ihipStream_tbENKUlT_T0_E_clISt17integral_constantIbLb0EES11_EEDaSW_SX_EUlSW_E_NS1_11comp_targetILNS1_3genE3ELNS1_11target_archE908ELNS1_3gpuE7ELNS1_3repE0EEENS1_30default_config_static_selectorELNS0_4arch9wavefront6targetE1EEEvT1_
	.globl	_ZN7rocprim17ROCPRIM_400000_NS6detail17trampoline_kernelINS0_14default_configENS1_29reduce_by_key_config_selectorIxxN6thrust23THRUST_200600_302600_NS4plusIxEEEEZZNS1_33reduce_by_key_impl_wrapped_configILNS1_25lookback_scan_determinismE0ES3_S9_NS6_6detail15normal_iteratorINS6_10device_ptrIxEEEESG_SG_SG_PmS8_22is_equal_div_10_reduceIxEEE10hipError_tPvRmT2_T3_mT4_T5_T6_T7_T8_P12ihipStream_tbENKUlT_T0_E_clISt17integral_constantIbLb0EES11_EEDaSW_SX_EUlSW_E_NS1_11comp_targetILNS1_3genE3ELNS1_11target_archE908ELNS1_3gpuE7ELNS1_3repE0EEENS1_30default_config_static_selectorELNS0_4arch9wavefront6targetE1EEEvT1_
	.p2align	8
	.type	_ZN7rocprim17ROCPRIM_400000_NS6detail17trampoline_kernelINS0_14default_configENS1_29reduce_by_key_config_selectorIxxN6thrust23THRUST_200600_302600_NS4plusIxEEEEZZNS1_33reduce_by_key_impl_wrapped_configILNS1_25lookback_scan_determinismE0ES3_S9_NS6_6detail15normal_iteratorINS6_10device_ptrIxEEEESG_SG_SG_PmS8_22is_equal_div_10_reduceIxEEE10hipError_tPvRmT2_T3_mT4_T5_T6_T7_T8_P12ihipStream_tbENKUlT_T0_E_clISt17integral_constantIbLb0EES11_EEDaSW_SX_EUlSW_E_NS1_11comp_targetILNS1_3genE3ELNS1_11target_archE908ELNS1_3gpuE7ELNS1_3repE0EEENS1_30default_config_static_selectorELNS0_4arch9wavefront6targetE1EEEvT1_,@function
_ZN7rocprim17ROCPRIM_400000_NS6detail17trampoline_kernelINS0_14default_configENS1_29reduce_by_key_config_selectorIxxN6thrust23THRUST_200600_302600_NS4plusIxEEEEZZNS1_33reduce_by_key_impl_wrapped_configILNS1_25lookback_scan_determinismE0ES3_S9_NS6_6detail15normal_iteratorINS6_10device_ptrIxEEEESG_SG_SG_PmS8_22is_equal_div_10_reduceIxEEE10hipError_tPvRmT2_T3_mT4_T5_T6_T7_T8_P12ihipStream_tbENKUlT_T0_E_clISt17integral_constantIbLb0EES11_EEDaSW_SX_EUlSW_E_NS1_11comp_targetILNS1_3genE3ELNS1_11target_archE908ELNS1_3gpuE7ELNS1_3repE0EEENS1_30default_config_static_selectorELNS0_4arch9wavefront6targetE1EEEvT1_: ; @_ZN7rocprim17ROCPRIM_400000_NS6detail17trampoline_kernelINS0_14default_configENS1_29reduce_by_key_config_selectorIxxN6thrust23THRUST_200600_302600_NS4plusIxEEEEZZNS1_33reduce_by_key_impl_wrapped_configILNS1_25lookback_scan_determinismE0ES3_S9_NS6_6detail15normal_iteratorINS6_10device_ptrIxEEEESG_SG_SG_PmS8_22is_equal_div_10_reduceIxEEE10hipError_tPvRmT2_T3_mT4_T5_T6_T7_T8_P12ihipStream_tbENKUlT_T0_E_clISt17integral_constantIbLb0EES11_EEDaSW_SX_EUlSW_E_NS1_11comp_targetILNS1_3genE3ELNS1_11target_archE908ELNS1_3gpuE7ELNS1_3repE0EEENS1_30default_config_static_selectorELNS0_4arch9wavefront6targetE1EEEvT1_
; %bb.0:
	.section	.rodata,"a",@progbits
	.p2align	6, 0x0
	.amdhsa_kernel _ZN7rocprim17ROCPRIM_400000_NS6detail17trampoline_kernelINS0_14default_configENS1_29reduce_by_key_config_selectorIxxN6thrust23THRUST_200600_302600_NS4plusIxEEEEZZNS1_33reduce_by_key_impl_wrapped_configILNS1_25lookback_scan_determinismE0ES3_S9_NS6_6detail15normal_iteratorINS6_10device_ptrIxEEEESG_SG_SG_PmS8_22is_equal_div_10_reduceIxEEE10hipError_tPvRmT2_T3_mT4_T5_T6_T7_T8_P12ihipStream_tbENKUlT_T0_E_clISt17integral_constantIbLb0EES11_EEDaSW_SX_EUlSW_E_NS1_11comp_targetILNS1_3genE3ELNS1_11target_archE908ELNS1_3gpuE7ELNS1_3repE0EEENS1_30default_config_static_selectorELNS0_4arch9wavefront6targetE1EEEvT1_
		.amdhsa_group_segment_fixed_size 0
		.amdhsa_private_segment_fixed_size 0
		.amdhsa_kernarg_size 136
		.amdhsa_user_sgpr_count 6
		.amdhsa_user_sgpr_private_segment_buffer 1
		.amdhsa_user_sgpr_dispatch_ptr 0
		.amdhsa_user_sgpr_queue_ptr 0
		.amdhsa_user_sgpr_kernarg_segment_ptr 1
		.amdhsa_user_sgpr_dispatch_id 0
		.amdhsa_user_sgpr_flat_scratch_init 0
		.amdhsa_user_sgpr_kernarg_preload_length 0
		.amdhsa_user_sgpr_kernarg_preload_offset 0
		.amdhsa_user_sgpr_private_segment_size 0
		.amdhsa_uses_dynamic_stack 0
		.amdhsa_system_sgpr_private_segment_wavefront_offset 0
		.amdhsa_system_sgpr_workgroup_id_x 1
		.amdhsa_system_sgpr_workgroup_id_y 0
		.amdhsa_system_sgpr_workgroup_id_z 0
		.amdhsa_system_sgpr_workgroup_info 0
		.amdhsa_system_vgpr_workitem_id 0
		.amdhsa_next_free_vgpr 1
		.amdhsa_next_free_sgpr 0
		.amdhsa_accum_offset 4
		.amdhsa_reserve_vcc 0
		.amdhsa_reserve_flat_scratch 0
		.amdhsa_float_round_mode_32 0
		.amdhsa_float_round_mode_16_64 0
		.amdhsa_float_denorm_mode_32 3
		.amdhsa_float_denorm_mode_16_64 3
		.amdhsa_dx10_clamp 1
		.amdhsa_ieee_mode 1
		.amdhsa_fp16_overflow 0
		.amdhsa_tg_split 0
		.amdhsa_exception_fp_ieee_invalid_op 0
		.amdhsa_exception_fp_denorm_src 0
		.amdhsa_exception_fp_ieee_div_zero 0
		.amdhsa_exception_fp_ieee_overflow 0
		.amdhsa_exception_fp_ieee_underflow 0
		.amdhsa_exception_fp_ieee_inexact 0
		.amdhsa_exception_int_div_zero 0
	.end_amdhsa_kernel
	.section	.text._ZN7rocprim17ROCPRIM_400000_NS6detail17trampoline_kernelINS0_14default_configENS1_29reduce_by_key_config_selectorIxxN6thrust23THRUST_200600_302600_NS4plusIxEEEEZZNS1_33reduce_by_key_impl_wrapped_configILNS1_25lookback_scan_determinismE0ES3_S9_NS6_6detail15normal_iteratorINS6_10device_ptrIxEEEESG_SG_SG_PmS8_22is_equal_div_10_reduceIxEEE10hipError_tPvRmT2_T3_mT4_T5_T6_T7_T8_P12ihipStream_tbENKUlT_T0_E_clISt17integral_constantIbLb0EES11_EEDaSW_SX_EUlSW_E_NS1_11comp_targetILNS1_3genE3ELNS1_11target_archE908ELNS1_3gpuE7ELNS1_3repE0EEENS1_30default_config_static_selectorELNS0_4arch9wavefront6targetE1EEEvT1_,"axG",@progbits,_ZN7rocprim17ROCPRIM_400000_NS6detail17trampoline_kernelINS0_14default_configENS1_29reduce_by_key_config_selectorIxxN6thrust23THRUST_200600_302600_NS4plusIxEEEEZZNS1_33reduce_by_key_impl_wrapped_configILNS1_25lookback_scan_determinismE0ES3_S9_NS6_6detail15normal_iteratorINS6_10device_ptrIxEEEESG_SG_SG_PmS8_22is_equal_div_10_reduceIxEEE10hipError_tPvRmT2_T3_mT4_T5_T6_T7_T8_P12ihipStream_tbENKUlT_T0_E_clISt17integral_constantIbLb0EES11_EEDaSW_SX_EUlSW_E_NS1_11comp_targetILNS1_3genE3ELNS1_11target_archE908ELNS1_3gpuE7ELNS1_3repE0EEENS1_30default_config_static_selectorELNS0_4arch9wavefront6targetE1EEEvT1_,comdat
.Lfunc_end511:
	.size	_ZN7rocprim17ROCPRIM_400000_NS6detail17trampoline_kernelINS0_14default_configENS1_29reduce_by_key_config_selectorIxxN6thrust23THRUST_200600_302600_NS4plusIxEEEEZZNS1_33reduce_by_key_impl_wrapped_configILNS1_25lookback_scan_determinismE0ES3_S9_NS6_6detail15normal_iteratorINS6_10device_ptrIxEEEESG_SG_SG_PmS8_22is_equal_div_10_reduceIxEEE10hipError_tPvRmT2_T3_mT4_T5_T6_T7_T8_P12ihipStream_tbENKUlT_T0_E_clISt17integral_constantIbLb0EES11_EEDaSW_SX_EUlSW_E_NS1_11comp_targetILNS1_3genE3ELNS1_11target_archE908ELNS1_3gpuE7ELNS1_3repE0EEENS1_30default_config_static_selectorELNS0_4arch9wavefront6targetE1EEEvT1_, .Lfunc_end511-_ZN7rocprim17ROCPRIM_400000_NS6detail17trampoline_kernelINS0_14default_configENS1_29reduce_by_key_config_selectorIxxN6thrust23THRUST_200600_302600_NS4plusIxEEEEZZNS1_33reduce_by_key_impl_wrapped_configILNS1_25lookback_scan_determinismE0ES3_S9_NS6_6detail15normal_iteratorINS6_10device_ptrIxEEEESG_SG_SG_PmS8_22is_equal_div_10_reduceIxEEE10hipError_tPvRmT2_T3_mT4_T5_T6_T7_T8_P12ihipStream_tbENKUlT_T0_E_clISt17integral_constantIbLb0EES11_EEDaSW_SX_EUlSW_E_NS1_11comp_targetILNS1_3genE3ELNS1_11target_archE908ELNS1_3gpuE7ELNS1_3repE0EEENS1_30default_config_static_selectorELNS0_4arch9wavefront6targetE1EEEvT1_
                                        ; -- End function
	.section	.AMDGPU.csdata,"",@progbits
; Kernel info:
; codeLenInByte = 0
; NumSgprs: 4
; NumVgprs: 0
; NumAgprs: 0
; TotalNumVgprs: 0
; ScratchSize: 0
; MemoryBound: 0
; FloatMode: 240
; IeeeMode: 1
; LDSByteSize: 0 bytes/workgroup (compile time only)
; SGPRBlocks: 0
; VGPRBlocks: 0
; NumSGPRsForWavesPerEU: 4
; NumVGPRsForWavesPerEU: 1
; AccumOffset: 4
; Occupancy: 8
; WaveLimiterHint : 0
; COMPUTE_PGM_RSRC2:SCRATCH_EN: 0
; COMPUTE_PGM_RSRC2:USER_SGPR: 6
; COMPUTE_PGM_RSRC2:TRAP_HANDLER: 0
; COMPUTE_PGM_RSRC2:TGID_X_EN: 1
; COMPUTE_PGM_RSRC2:TGID_Y_EN: 0
; COMPUTE_PGM_RSRC2:TGID_Z_EN: 0
; COMPUTE_PGM_RSRC2:TIDIG_COMP_CNT: 0
; COMPUTE_PGM_RSRC3_GFX90A:ACCUM_OFFSET: 0
; COMPUTE_PGM_RSRC3_GFX90A:TG_SPLIT: 0
	.section	.text._ZN7rocprim17ROCPRIM_400000_NS6detail17trampoline_kernelINS0_14default_configENS1_29reduce_by_key_config_selectorIxxN6thrust23THRUST_200600_302600_NS4plusIxEEEEZZNS1_33reduce_by_key_impl_wrapped_configILNS1_25lookback_scan_determinismE0ES3_S9_NS6_6detail15normal_iteratorINS6_10device_ptrIxEEEESG_SG_SG_PmS8_22is_equal_div_10_reduceIxEEE10hipError_tPvRmT2_T3_mT4_T5_T6_T7_T8_P12ihipStream_tbENKUlT_T0_E_clISt17integral_constantIbLb0EES11_EEDaSW_SX_EUlSW_E_NS1_11comp_targetILNS1_3genE2ELNS1_11target_archE906ELNS1_3gpuE6ELNS1_3repE0EEENS1_30default_config_static_selectorELNS0_4arch9wavefront6targetE1EEEvT1_,"axG",@progbits,_ZN7rocprim17ROCPRIM_400000_NS6detail17trampoline_kernelINS0_14default_configENS1_29reduce_by_key_config_selectorIxxN6thrust23THRUST_200600_302600_NS4plusIxEEEEZZNS1_33reduce_by_key_impl_wrapped_configILNS1_25lookback_scan_determinismE0ES3_S9_NS6_6detail15normal_iteratorINS6_10device_ptrIxEEEESG_SG_SG_PmS8_22is_equal_div_10_reduceIxEEE10hipError_tPvRmT2_T3_mT4_T5_T6_T7_T8_P12ihipStream_tbENKUlT_T0_E_clISt17integral_constantIbLb0EES11_EEDaSW_SX_EUlSW_E_NS1_11comp_targetILNS1_3genE2ELNS1_11target_archE906ELNS1_3gpuE6ELNS1_3repE0EEENS1_30default_config_static_selectorELNS0_4arch9wavefront6targetE1EEEvT1_,comdat
	.protected	_ZN7rocprim17ROCPRIM_400000_NS6detail17trampoline_kernelINS0_14default_configENS1_29reduce_by_key_config_selectorIxxN6thrust23THRUST_200600_302600_NS4plusIxEEEEZZNS1_33reduce_by_key_impl_wrapped_configILNS1_25lookback_scan_determinismE0ES3_S9_NS6_6detail15normal_iteratorINS6_10device_ptrIxEEEESG_SG_SG_PmS8_22is_equal_div_10_reduceIxEEE10hipError_tPvRmT2_T3_mT4_T5_T6_T7_T8_P12ihipStream_tbENKUlT_T0_E_clISt17integral_constantIbLb0EES11_EEDaSW_SX_EUlSW_E_NS1_11comp_targetILNS1_3genE2ELNS1_11target_archE906ELNS1_3gpuE6ELNS1_3repE0EEENS1_30default_config_static_selectorELNS0_4arch9wavefront6targetE1EEEvT1_ ; -- Begin function _ZN7rocprim17ROCPRIM_400000_NS6detail17trampoline_kernelINS0_14default_configENS1_29reduce_by_key_config_selectorIxxN6thrust23THRUST_200600_302600_NS4plusIxEEEEZZNS1_33reduce_by_key_impl_wrapped_configILNS1_25lookback_scan_determinismE0ES3_S9_NS6_6detail15normal_iteratorINS6_10device_ptrIxEEEESG_SG_SG_PmS8_22is_equal_div_10_reduceIxEEE10hipError_tPvRmT2_T3_mT4_T5_T6_T7_T8_P12ihipStream_tbENKUlT_T0_E_clISt17integral_constantIbLb0EES11_EEDaSW_SX_EUlSW_E_NS1_11comp_targetILNS1_3genE2ELNS1_11target_archE906ELNS1_3gpuE6ELNS1_3repE0EEENS1_30default_config_static_selectorELNS0_4arch9wavefront6targetE1EEEvT1_
	.globl	_ZN7rocprim17ROCPRIM_400000_NS6detail17trampoline_kernelINS0_14default_configENS1_29reduce_by_key_config_selectorIxxN6thrust23THRUST_200600_302600_NS4plusIxEEEEZZNS1_33reduce_by_key_impl_wrapped_configILNS1_25lookback_scan_determinismE0ES3_S9_NS6_6detail15normal_iteratorINS6_10device_ptrIxEEEESG_SG_SG_PmS8_22is_equal_div_10_reduceIxEEE10hipError_tPvRmT2_T3_mT4_T5_T6_T7_T8_P12ihipStream_tbENKUlT_T0_E_clISt17integral_constantIbLb0EES11_EEDaSW_SX_EUlSW_E_NS1_11comp_targetILNS1_3genE2ELNS1_11target_archE906ELNS1_3gpuE6ELNS1_3repE0EEENS1_30default_config_static_selectorELNS0_4arch9wavefront6targetE1EEEvT1_
	.p2align	8
	.type	_ZN7rocprim17ROCPRIM_400000_NS6detail17trampoline_kernelINS0_14default_configENS1_29reduce_by_key_config_selectorIxxN6thrust23THRUST_200600_302600_NS4plusIxEEEEZZNS1_33reduce_by_key_impl_wrapped_configILNS1_25lookback_scan_determinismE0ES3_S9_NS6_6detail15normal_iteratorINS6_10device_ptrIxEEEESG_SG_SG_PmS8_22is_equal_div_10_reduceIxEEE10hipError_tPvRmT2_T3_mT4_T5_T6_T7_T8_P12ihipStream_tbENKUlT_T0_E_clISt17integral_constantIbLb0EES11_EEDaSW_SX_EUlSW_E_NS1_11comp_targetILNS1_3genE2ELNS1_11target_archE906ELNS1_3gpuE6ELNS1_3repE0EEENS1_30default_config_static_selectorELNS0_4arch9wavefront6targetE1EEEvT1_,@function
_ZN7rocprim17ROCPRIM_400000_NS6detail17trampoline_kernelINS0_14default_configENS1_29reduce_by_key_config_selectorIxxN6thrust23THRUST_200600_302600_NS4plusIxEEEEZZNS1_33reduce_by_key_impl_wrapped_configILNS1_25lookback_scan_determinismE0ES3_S9_NS6_6detail15normal_iteratorINS6_10device_ptrIxEEEESG_SG_SG_PmS8_22is_equal_div_10_reduceIxEEE10hipError_tPvRmT2_T3_mT4_T5_T6_T7_T8_P12ihipStream_tbENKUlT_T0_E_clISt17integral_constantIbLb0EES11_EEDaSW_SX_EUlSW_E_NS1_11comp_targetILNS1_3genE2ELNS1_11target_archE906ELNS1_3gpuE6ELNS1_3repE0EEENS1_30default_config_static_selectorELNS0_4arch9wavefront6targetE1EEEvT1_: ; @_ZN7rocprim17ROCPRIM_400000_NS6detail17trampoline_kernelINS0_14default_configENS1_29reduce_by_key_config_selectorIxxN6thrust23THRUST_200600_302600_NS4plusIxEEEEZZNS1_33reduce_by_key_impl_wrapped_configILNS1_25lookback_scan_determinismE0ES3_S9_NS6_6detail15normal_iteratorINS6_10device_ptrIxEEEESG_SG_SG_PmS8_22is_equal_div_10_reduceIxEEE10hipError_tPvRmT2_T3_mT4_T5_T6_T7_T8_P12ihipStream_tbENKUlT_T0_E_clISt17integral_constantIbLb0EES11_EEDaSW_SX_EUlSW_E_NS1_11comp_targetILNS1_3genE2ELNS1_11target_archE906ELNS1_3gpuE6ELNS1_3repE0EEENS1_30default_config_static_selectorELNS0_4arch9wavefront6targetE1EEEvT1_
; %bb.0:
	.section	.rodata,"a",@progbits
	.p2align	6, 0x0
	.amdhsa_kernel _ZN7rocprim17ROCPRIM_400000_NS6detail17trampoline_kernelINS0_14default_configENS1_29reduce_by_key_config_selectorIxxN6thrust23THRUST_200600_302600_NS4plusIxEEEEZZNS1_33reduce_by_key_impl_wrapped_configILNS1_25lookback_scan_determinismE0ES3_S9_NS6_6detail15normal_iteratorINS6_10device_ptrIxEEEESG_SG_SG_PmS8_22is_equal_div_10_reduceIxEEE10hipError_tPvRmT2_T3_mT4_T5_T6_T7_T8_P12ihipStream_tbENKUlT_T0_E_clISt17integral_constantIbLb0EES11_EEDaSW_SX_EUlSW_E_NS1_11comp_targetILNS1_3genE2ELNS1_11target_archE906ELNS1_3gpuE6ELNS1_3repE0EEENS1_30default_config_static_selectorELNS0_4arch9wavefront6targetE1EEEvT1_
		.amdhsa_group_segment_fixed_size 0
		.amdhsa_private_segment_fixed_size 0
		.amdhsa_kernarg_size 136
		.amdhsa_user_sgpr_count 6
		.amdhsa_user_sgpr_private_segment_buffer 1
		.amdhsa_user_sgpr_dispatch_ptr 0
		.amdhsa_user_sgpr_queue_ptr 0
		.amdhsa_user_sgpr_kernarg_segment_ptr 1
		.amdhsa_user_sgpr_dispatch_id 0
		.amdhsa_user_sgpr_flat_scratch_init 0
		.amdhsa_user_sgpr_kernarg_preload_length 0
		.amdhsa_user_sgpr_kernarg_preload_offset 0
		.amdhsa_user_sgpr_private_segment_size 0
		.amdhsa_uses_dynamic_stack 0
		.amdhsa_system_sgpr_private_segment_wavefront_offset 0
		.amdhsa_system_sgpr_workgroup_id_x 1
		.amdhsa_system_sgpr_workgroup_id_y 0
		.amdhsa_system_sgpr_workgroup_id_z 0
		.amdhsa_system_sgpr_workgroup_info 0
		.amdhsa_system_vgpr_workitem_id 0
		.amdhsa_next_free_vgpr 1
		.amdhsa_next_free_sgpr 0
		.amdhsa_accum_offset 4
		.amdhsa_reserve_vcc 0
		.amdhsa_reserve_flat_scratch 0
		.amdhsa_float_round_mode_32 0
		.amdhsa_float_round_mode_16_64 0
		.amdhsa_float_denorm_mode_32 3
		.amdhsa_float_denorm_mode_16_64 3
		.amdhsa_dx10_clamp 1
		.amdhsa_ieee_mode 1
		.amdhsa_fp16_overflow 0
		.amdhsa_tg_split 0
		.amdhsa_exception_fp_ieee_invalid_op 0
		.amdhsa_exception_fp_denorm_src 0
		.amdhsa_exception_fp_ieee_div_zero 0
		.amdhsa_exception_fp_ieee_overflow 0
		.amdhsa_exception_fp_ieee_underflow 0
		.amdhsa_exception_fp_ieee_inexact 0
		.amdhsa_exception_int_div_zero 0
	.end_amdhsa_kernel
	.section	.text._ZN7rocprim17ROCPRIM_400000_NS6detail17trampoline_kernelINS0_14default_configENS1_29reduce_by_key_config_selectorIxxN6thrust23THRUST_200600_302600_NS4plusIxEEEEZZNS1_33reduce_by_key_impl_wrapped_configILNS1_25lookback_scan_determinismE0ES3_S9_NS6_6detail15normal_iteratorINS6_10device_ptrIxEEEESG_SG_SG_PmS8_22is_equal_div_10_reduceIxEEE10hipError_tPvRmT2_T3_mT4_T5_T6_T7_T8_P12ihipStream_tbENKUlT_T0_E_clISt17integral_constantIbLb0EES11_EEDaSW_SX_EUlSW_E_NS1_11comp_targetILNS1_3genE2ELNS1_11target_archE906ELNS1_3gpuE6ELNS1_3repE0EEENS1_30default_config_static_selectorELNS0_4arch9wavefront6targetE1EEEvT1_,"axG",@progbits,_ZN7rocprim17ROCPRIM_400000_NS6detail17trampoline_kernelINS0_14default_configENS1_29reduce_by_key_config_selectorIxxN6thrust23THRUST_200600_302600_NS4plusIxEEEEZZNS1_33reduce_by_key_impl_wrapped_configILNS1_25lookback_scan_determinismE0ES3_S9_NS6_6detail15normal_iteratorINS6_10device_ptrIxEEEESG_SG_SG_PmS8_22is_equal_div_10_reduceIxEEE10hipError_tPvRmT2_T3_mT4_T5_T6_T7_T8_P12ihipStream_tbENKUlT_T0_E_clISt17integral_constantIbLb0EES11_EEDaSW_SX_EUlSW_E_NS1_11comp_targetILNS1_3genE2ELNS1_11target_archE906ELNS1_3gpuE6ELNS1_3repE0EEENS1_30default_config_static_selectorELNS0_4arch9wavefront6targetE1EEEvT1_,comdat
.Lfunc_end512:
	.size	_ZN7rocprim17ROCPRIM_400000_NS6detail17trampoline_kernelINS0_14default_configENS1_29reduce_by_key_config_selectorIxxN6thrust23THRUST_200600_302600_NS4plusIxEEEEZZNS1_33reduce_by_key_impl_wrapped_configILNS1_25lookback_scan_determinismE0ES3_S9_NS6_6detail15normal_iteratorINS6_10device_ptrIxEEEESG_SG_SG_PmS8_22is_equal_div_10_reduceIxEEE10hipError_tPvRmT2_T3_mT4_T5_T6_T7_T8_P12ihipStream_tbENKUlT_T0_E_clISt17integral_constantIbLb0EES11_EEDaSW_SX_EUlSW_E_NS1_11comp_targetILNS1_3genE2ELNS1_11target_archE906ELNS1_3gpuE6ELNS1_3repE0EEENS1_30default_config_static_selectorELNS0_4arch9wavefront6targetE1EEEvT1_, .Lfunc_end512-_ZN7rocprim17ROCPRIM_400000_NS6detail17trampoline_kernelINS0_14default_configENS1_29reduce_by_key_config_selectorIxxN6thrust23THRUST_200600_302600_NS4plusIxEEEEZZNS1_33reduce_by_key_impl_wrapped_configILNS1_25lookback_scan_determinismE0ES3_S9_NS6_6detail15normal_iteratorINS6_10device_ptrIxEEEESG_SG_SG_PmS8_22is_equal_div_10_reduceIxEEE10hipError_tPvRmT2_T3_mT4_T5_T6_T7_T8_P12ihipStream_tbENKUlT_T0_E_clISt17integral_constantIbLb0EES11_EEDaSW_SX_EUlSW_E_NS1_11comp_targetILNS1_3genE2ELNS1_11target_archE906ELNS1_3gpuE6ELNS1_3repE0EEENS1_30default_config_static_selectorELNS0_4arch9wavefront6targetE1EEEvT1_
                                        ; -- End function
	.section	.AMDGPU.csdata,"",@progbits
; Kernel info:
; codeLenInByte = 0
; NumSgprs: 4
; NumVgprs: 0
; NumAgprs: 0
; TotalNumVgprs: 0
; ScratchSize: 0
; MemoryBound: 0
; FloatMode: 240
; IeeeMode: 1
; LDSByteSize: 0 bytes/workgroup (compile time only)
; SGPRBlocks: 0
; VGPRBlocks: 0
; NumSGPRsForWavesPerEU: 4
; NumVGPRsForWavesPerEU: 1
; AccumOffset: 4
; Occupancy: 8
; WaveLimiterHint : 0
; COMPUTE_PGM_RSRC2:SCRATCH_EN: 0
; COMPUTE_PGM_RSRC2:USER_SGPR: 6
; COMPUTE_PGM_RSRC2:TRAP_HANDLER: 0
; COMPUTE_PGM_RSRC2:TGID_X_EN: 1
; COMPUTE_PGM_RSRC2:TGID_Y_EN: 0
; COMPUTE_PGM_RSRC2:TGID_Z_EN: 0
; COMPUTE_PGM_RSRC2:TIDIG_COMP_CNT: 0
; COMPUTE_PGM_RSRC3_GFX90A:ACCUM_OFFSET: 0
; COMPUTE_PGM_RSRC3_GFX90A:TG_SPLIT: 0
	.section	.text._ZN7rocprim17ROCPRIM_400000_NS6detail17trampoline_kernelINS0_14default_configENS1_29reduce_by_key_config_selectorIxxN6thrust23THRUST_200600_302600_NS4plusIxEEEEZZNS1_33reduce_by_key_impl_wrapped_configILNS1_25lookback_scan_determinismE0ES3_S9_NS6_6detail15normal_iteratorINS6_10device_ptrIxEEEESG_SG_SG_PmS8_22is_equal_div_10_reduceIxEEE10hipError_tPvRmT2_T3_mT4_T5_T6_T7_T8_P12ihipStream_tbENKUlT_T0_E_clISt17integral_constantIbLb0EES11_EEDaSW_SX_EUlSW_E_NS1_11comp_targetILNS1_3genE10ELNS1_11target_archE1201ELNS1_3gpuE5ELNS1_3repE0EEENS1_30default_config_static_selectorELNS0_4arch9wavefront6targetE1EEEvT1_,"axG",@progbits,_ZN7rocprim17ROCPRIM_400000_NS6detail17trampoline_kernelINS0_14default_configENS1_29reduce_by_key_config_selectorIxxN6thrust23THRUST_200600_302600_NS4plusIxEEEEZZNS1_33reduce_by_key_impl_wrapped_configILNS1_25lookback_scan_determinismE0ES3_S9_NS6_6detail15normal_iteratorINS6_10device_ptrIxEEEESG_SG_SG_PmS8_22is_equal_div_10_reduceIxEEE10hipError_tPvRmT2_T3_mT4_T5_T6_T7_T8_P12ihipStream_tbENKUlT_T0_E_clISt17integral_constantIbLb0EES11_EEDaSW_SX_EUlSW_E_NS1_11comp_targetILNS1_3genE10ELNS1_11target_archE1201ELNS1_3gpuE5ELNS1_3repE0EEENS1_30default_config_static_selectorELNS0_4arch9wavefront6targetE1EEEvT1_,comdat
	.protected	_ZN7rocprim17ROCPRIM_400000_NS6detail17trampoline_kernelINS0_14default_configENS1_29reduce_by_key_config_selectorIxxN6thrust23THRUST_200600_302600_NS4plusIxEEEEZZNS1_33reduce_by_key_impl_wrapped_configILNS1_25lookback_scan_determinismE0ES3_S9_NS6_6detail15normal_iteratorINS6_10device_ptrIxEEEESG_SG_SG_PmS8_22is_equal_div_10_reduceIxEEE10hipError_tPvRmT2_T3_mT4_T5_T6_T7_T8_P12ihipStream_tbENKUlT_T0_E_clISt17integral_constantIbLb0EES11_EEDaSW_SX_EUlSW_E_NS1_11comp_targetILNS1_3genE10ELNS1_11target_archE1201ELNS1_3gpuE5ELNS1_3repE0EEENS1_30default_config_static_selectorELNS0_4arch9wavefront6targetE1EEEvT1_ ; -- Begin function _ZN7rocprim17ROCPRIM_400000_NS6detail17trampoline_kernelINS0_14default_configENS1_29reduce_by_key_config_selectorIxxN6thrust23THRUST_200600_302600_NS4plusIxEEEEZZNS1_33reduce_by_key_impl_wrapped_configILNS1_25lookback_scan_determinismE0ES3_S9_NS6_6detail15normal_iteratorINS6_10device_ptrIxEEEESG_SG_SG_PmS8_22is_equal_div_10_reduceIxEEE10hipError_tPvRmT2_T3_mT4_T5_T6_T7_T8_P12ihipStream_tbENKUlT_T0_E_clISt17integral_constantIbLb0EES11_EEDaSW_SX_EUlSW_E_NS1_11comp_targetILNS1_3genE10ELNS1_11target_archE1201ELNS1_3gpuE5ELNS1_3repE0EEENS1_30default_config_static_selectorELNS0_4arch9wavefront6targetE1EEEvT1_
	.globl	_ZN7rocprim17ROCPRIM_400000_NS6detail17trampoline_kernelINS0_14default_configENS1_29reduce_by_key_config_selectorIxxN6thrust23THRUST_200600_302600_NS4plusIxEEEEZZNS1_33reduce_by_key_impl_wrapped_configILNS1_25lookback_scan_determinismE0ES3_S9_NS6_6detail15normal_iteratorINS6_10device_ptrIxEEEESG_SG_SG_PmS8_22is_equal_div_10_reduceIxEEE10hipError_tPvRmT2_T3_mT4_T5_T6_T7_T8_P12ihipStream_tbENKUlT_T0_E_clISt17integral_constantIbLb0EES11_EEDaSW_SX_EUlSW_E_NS1_11comp_targetILNS1_3genE10ELNS1_11target_archE1201ELNS1_3gpuE5ELNS1_3repE0EEENS1_30default_config_static_selectorELNS0_4arch9wavefront6targetE1EEEvT1_
	.p2align	8
	.type	_ZN7rocprim17ROCPRIM_400000_NS6detail17trampoline_kernelINS0_14default_configENS1_29reduce_by_key_config_selectorIxxN6thrust23THRUST_200600_302600_NS4plusIxEEEEZZNS1_33reduce_by_key_impl_wrapped_configILNS1_25lookback_scan_determinismE0ES3_S9_NS6_6detail15normal_iteratorINS6_10device_ptrIxEEEESG_SG_SG_PmS8_22is_equal_div_10_reduceIxEEE10hipError_tPvRmT2_T3_mT4_T5_T6_T7_T8_P12ihipStream_tbENKUlT_T0_E_clISt17integral_constantIbLb0EES11_EEDaSW_SX_EUlSW_E_NS1_11comp_targetILNS1_3genE10ELNS1_11target_archE1201ELNS1_3gpuE5ELNS1_3repE0EEENS1_30default_config_static_selectorELNS0_4arch9wavefront6targetE1EEEvT1_,@function
_ZN7rocprim17ROCPRIM_400000_NS6detail17trampoline_kernelINS0_14default_configENS1_29reduce_by_key_config_selectorIxxN6thrust23THRUST_200600_302600_NS4plusIxEEEEZZNS1_33reduce_by_key_impl_wrapped_configILNS1_25lookback_scan_determinismE0ES3_S9_NS6_6detail15normal_iteratorINS6_10device_ptrIxEEEESG_SG_SG_PmS8_22is_equal_div_10_reduceIxEEE10hipError_tPvRmT2_T3_mT4_T5_T6_T7_T8_P12ihipStream_tbENKUlT_T0_E_clISt17integral_constantIbLb0EES11_EEDaSW_SX_EUlSW_E_NS1_11comp_targetILNS1_3genE10ELNS1_11target_archE1201ELNS1_3gpuE5ELNS1_3repE0EEENS1_30default_config_static_selectorELNS0_4arch9wavefront6targetE1EEEvT1_: ; @_ZN7rocprim17ROCPRIM_400000_NS6detail17trampoline_kernelINS0_14default_configENS1_29reduce_by_key_config_selectorIxxN6thrust23THRUST_200600_302600_NS4plusIxEEEEZZNS1_33reduce_by_key_impl_wrapped_configILNS1_25lookback_scan_determinismE0ES3_S9_NS6_6detail15normal_iteratorINS6_10device_ptrIxEEEESG_SG_SG_PmS8_22is_equal_div_10_reduceIxEEE10hipError_tPvRmT2_T3_mT4_T5_T6_T7_T8_P12ihipStream_tbENKUlT_T0_E_clISt17integral_constantIbLb0EES11_EEDaSW_SX_EUlSW_E_NS1_11comp_targetILNS1_3genE10ELNS1_11target_archE1201ELNS1_3gpuE5ELNS1_3repE0EEENS1_30default_config_static_selectorELNS0_4arch9wavefront6targetE1EEEvT1_
; %bb.0:
	.section	.rodata,"a",@progbits
	.p2align	6, 0x0
	.amdhsa_kernel _ZN7rocprim17ROCPRIM_400000_NS6detail17trampoline_kernelINS0_14default_configENS1_29reduce_by_key_config_selectorIxxN6thrust23THRUST_200600_302600_NS4plusIxEEEEZZNS1_33reduce_by_key_impl_wrapped_configILNS1_25lookback_scan_determinismE0ES3_S9_NS6_6detail15normal_iteratorINS6_10device_ptrIxEEEESG_SG_SG_PmS8_22is_equal_div_10_reduceIxEEE10hipError_tPvRmT2_T3_mT4_T5_T6_T7_T8_P12ihipStream_tbENKUlT_T0_E_clISt17integral_constantIbLb0EES11_EEDaSW_SX_EUlSW_E_NS1_11comp_targetILNS1_3genE10ELNS1_11target_archE1201ELNS1_3gpuE5ELNS1_3repE0EEENS1_30default_config_static_selectorELNS0_4arch9wavefront6targetE1EEEvT1_
		.amdhsa_group_segment_fixed_size 0
		.amdhsa_private_segment_fixed_size 0
		.amdhsa_kernarg_size 136
		.amdhsa_user_sgpr_count 6
		.amdhsa_user_sgpr_private_segment_buffer 1
		.amdhsa_user_sgpr_dispatch_ptr 0
		.amdhsa_user_sgpr_queue_ptr 0
		.amdhsa_user_sgpr_kernarg_segment_ptr 1
		.amdhsa_user_sgpr_dispatch_id 0
		.amdhsa_user_sgpr_flat_scratch_init 0
		.amdhsa_user_sgpr_kernarg_preload_length 0
		.amdhsa_user_sgpr_kernarg_preload_offset 0
		.amdhsa_user_sgpr_private_segment_size 0
		.amdhsa_uses_dynamic_stack 0
		.amdhsa_system_sgpr_private_segment_wavefront_offset 0
		.amdhsa_system_sgpr_workgroup_id_x 1
		.amdhsa_system_sgpr_workgroup_id_y 0
		.amdhsa_system_sgpr_workgroup_id_z 0
		.amdhsa_system_sgpr_workgroup_info 0
		.amdhsa_system_vgpr_workitem_id 0
		.amdhsa_next_free_vgpr 1
		.amdhsa_next_free_sgpr 0
		.amdhsa_accum_offset 4
		.amdhsa_reserve_vcc 0
		.amdhsa_reserve_flat_scratch 0
		.amdhsa_float_round_mode_32 0
		.amdhsa_float_round_mode_16_64 0
		.amdhsa_float_denorm_mode_32 3
		.amdhsa_float_denorm_mode_16_64 3
		.amdhsa_dx10_clamp 1
		.amdhsa_ieee_mode 1
		.amdhsa_fp16_overflow 0
		.amdhsa_tg_split 0
		.amdhsa_exception_fp_ieee_invalid_op 0
		.amdhsa_exception_fp_denorm_src 0
		.amdhsa_exception_fp_ieee_div_zero 0
		.amdhsa_exception_fp_ieee_overflow 0
		.amdhsa_exception_fp_ieee_underflow 0
		.amdhsa_exception_fp_ieee_inexact 0
		.amdhsa_exception_int_div_zero 0
	.end_amdhsa_kernel
	.section	.text._ZN7rocprim17ROCPRIM_400000_NS6detail17trampoline_kernelINS0_14default_configENS1_29reduce_by_key_config_selectorIxxN6thrust23THRUST_200600_302600_NS4plusIxEEEEZZNS1_33reduce_by_key_impl_wrapped_configILNS1_25lookback_scan_determinismE0ES3_S9_NS6_6detail15normal_iteratorINS6_10device_ptrIxEEEESG_SG_SG_PmS8_22is_equal_div_10_reduceIxEEE10hipError_tPvRmT2_T3_mT4_T5_T6_T7_T8_P12ihipStream_tbENKUlT_T0_E_clISt17integral_constantIbLb0EES11_EEDaSW_SX_EUlSW_E_NS1_11comp_targetILNS1_3genE10ELNS1_11target_archE1201ELNS1_3gpuE5ELNS1_3repE0EEENS1_30default_config_static_selectorELNS0_4arch9wavefront6targetE1EEEvT1_,"axG",@progbits,_ZN7rocprim17ROCPRIM_400000_NS6detail17trampoline_kernelINS0_14default_configENS1_29reduce_by_key_config_selectorIxxN6thrust23THRUST_200600_302600_NS4plusIxEEEEZZNS1_33reduce_by_key_impl_wrapped_configILNS1_25lookback_scan_determinismE0ES3_S9_NS6_6detail15normal_iteratorINS6_10device_ptrIxEEEESG_SG_SG_PmS8_22is_equal_div_10_reduceIxEEE10hipError_tPvRmT2_T3_mT4_T5_T6_T7_T8_P12ihipStream_tbENKUlT_T0_E_clISt17integral_constantIbLb0EES11_EEDaSW_SX_EUlSW_E_NS1_11comp_targetILNS1_3genE10ELNS1_11target_archE1201ELNS1_3gpuE5ELNS1_3repE0EEENS1_30default_config_static_selectorELNS0_4arch9wavefront6targetE1EEEvT1_,comdat
.Lfunc_end513:
	.size	_ZN7rocprim17ROCPRIM_400000_NS6detail17trampoline_kernelINS0_14default_configENS1_29reduce_by_key_config_selectorIxxN6thrust23THRUST_200600_302600_NS4plusIxEEEEZZNS1_33reduce_by_key_impl_wrapped_configILNS1_25lookback_scan_determinismE0ES3_S9_NS6_6detail15normal_iteratorINS6_10device_ptrIxEEEESG_SG_SG_PmS8_22is_equal_div_10_reduceIxEEE10hipError_tPvRmT2_T3_mT4_T5_T6_T7_T8_P12ihipStream_tbENKUlT_T0_E_clISt17integral_constantIbLb0EES11_EEDaSW_SX_EUlSW_E_NS1_11comp_targetILNS1_3genE10ELNS1_11target_archE1201ELNS1_3gpuE5ELNS1_3repE0EEENS1_30default_config_static_selectorELNS0_4arch9wavefront6targetE1EEEvT1_, .Lfunc_end513-_ZN7rocprim17ROCPRIM_400000_NS6detail17trampoline_kernelINS0_14default_configENS1_29reduce_by_key_config_selectorIxxN6thrust23THRUST_200600_302600_NS4plusIxEEEEZZNS1_33reduce_by_key_impl_wrapped_configILNS1_25lookback_scan_determinismE0ES3_S9_NS6_6detail15normal_iteratorINS6_10device_ptrIxEEEESG_SG_SG_PmS8_22is_equal_div_10_reduceIxEEE10hipError_tPvRmT2_T3_mT4_T5_T6_T7_T8_P12ihipStream_tbENKUlT_T0_E_clISt17integral_constantIbLb0EES11_EEDaSW_SX_EUlSW_E_NS1_11comp_targetILNS1_3genE10ELNS1_11target_archE1201ELNS1_3gpuE5ELNS1_3repE0EEENS1_30default_config_static_selectorELNS0_4arch9wavefront6targetE1EEEvT1_
                                        ; -- End function
	.section	.AMDGPU.csdata,"",@progbits
; Kernel info:
; codeLenInByte = 0
; NumSgprs: 4
; NumVgprs: 0
; NumAgprs: 0
; TotalNumVgprs: 0
; ScratchSize: 0
; MemoryBound: 0
; FloatMode: 240
; IeeeMode: 1
; LDSByteSize: 0 bytes/workgroup (compile time only)
; SGPRBlocks: 0
; VGPRBlocks: 0
; NumSGPRsForWavesPerEU: 4
; NumVGPRsForWavesPerEU: 1
; AccumOffset: 4
; Occupancy: 8
; WaveLimiterHint : 0
; COMPUTE_PGM_RSRC2:SCRATCH_EN: 0
; COMPUTE_PGM_RSRC2:USER_SGPR: 6
; COMPUTE_PGM_RSRC2:TRAP_HANDLER: 0
; COMPUTE_PGM_RSRC2:TGID_X_EN: 1
; COMPUTE_PGM_RSRC2:TGID_Y_EN: 0
; COMPUTE_PGM_RSRC2:TGID_Z_EN: 0
; COMPUTE_PGM_RSRC2:TIDIG_COMP_CNT: 0
; COMPUTE_PGM_RSRC3_GFX90A:ACCUM_OFFSET: 0
; COMPUTE_PGM_RSRC3_GFX90A:TG_SPLIT: 0
	.section	.text._ZN7rocprim17ROCPRIM_400000_NS6detail17trampoline_kernelINS0_14default_configENS1_29reduce_by_key_config_selectorIxxN6thrust23THRUST_200600_302600_NS4plusIxEEEEZZNS1_33reduce_by_key_impl_wrapped_configILNS1_25lookback_scan_determinismE0ES3_S9_NS6_6detail15normal_iteratorINS6_10device_ptrIxEEEESG_SG_SG_PmS8_22is_equal_div_10_reduceIxEEE10hipError_tPvRmT2_T3_mT4_T5_T6_T7_T8_P12ihipStream_tbENKUlT_T0_E_clISt17integral_constantIbLb0EES11_EEDaSW_SX_EUlSW_E_NS1_11comp_targetILNS1_3genE10ELNS1_11target_archE1200ELNS1_3gpuE4ELNS1_3repE0EEENS1_30default_config_static_selectorELNS0_4arch9wavefront6targetE1EEEvT1_,"axG",@progbits,_ZN7rocprim17ROCPRIM_400000_NS6detail17trampoline_kernelINS0_14default_configENS1_29reduce_by_key_config_selectorIxxN6thrust23THRUST_200600_302600_NS4plusIxEEEEZZNS1_33reduce_by_key_impl_wrapped_configILNS1_25lookback_scan_determinismE0ES3_S9_NS6_6detail15normal_iteratorINS6_10device_ptrIxEEEESG_SG_SG_PmS8_22is_equal_div_10_reduceIxEEE10hipError_tPvRmT2_T3_mT4_T5_T6_T7_T8_P12ihipStream_tbENKUlT_T0_E_clISt17integral_constantIbLb0EES11_EEDaSW_SX_EUlSW_E_NS1_11comp_targetILNS1_3genE10ELNS1_11target_archE1200ELNS1_3gpuE4ELNS1_3repE0EEENS1_30default_config_static_selectorELNS0_4arch9wavefront6targetE1EEEvT1_,comdat
	.protected	_ZN7rocprim17ROCPRIM_400000_NS6detail17trampoline_kernelINS0_14default_configENS1_29reduce_by_key_config_selectorIxxN6thrust23THRUST_200600_302600_NS4plusIxEEEEZZNS1_33reduce_by_key_impl_wrapped_configILNS1_25lookback_scan_determinismE0ES3_S9_NS6_6detail15normal_iteratorINS6_10device_ptrIxEEEESG_SG_SG_PmS8_22is_equal_div_10_reduceIxEEE10hipError_tPvRmT2_T3_mT4_T5_T6_T7_T8_P12ihipStream_tbENKUlT_T0_E_clISt17integral_constantIbLb0EES11_EEDaSW_SX_EUlSW_E_NS1_11comp_targetILNS1_3genE10ELNS1_11target_archE1200ELNS1_3gpuE4ELNS1_3repE0EEENS1_30default_config_static_selectorELNS0_4arch9wavefront6targetE1EEEvT1_ ; -- Begin function _ZN7rocprim17ROCPRIM_400000_NS6detail17trampoline_kernelINS0_14default_configENS1_29reduce_by_key_config_selectorIxxN6thrust23THRUST_200600_302600_NS4plusIxEEEEZZNS1_33reduce_by_key_impl_wrapped_configILNS1_25lookback_scan_determinismE0ES3_S9_NS6_6detail15normal_iteratorINS6_10device_ptrIxEEEESG_SG_SG_PmS8_22is_equal_div_10_reduceIxEEE10hipError_tPvRmT2_T3_mT4_T5_T6_T7_T8_P12ihipStream_tbENKUlT_T0_E_clISt17integral_constantIbLb0EES11_EEDaSW_SX_EUlSW_E_NS1_11comp_targetILNS1_3genE10ELNS1_11target_archE1200ELNS1_3gpuE4ELNS1_3repE0EEENS1_30default_config_static_selectorELNS0_4arch9wavefront6targetE1EEEvT1_
	.globl	_ZN7rocprim17ROCPRIM_400000_NS6detail17trampoline_kernelINS0_14default_configENS1_29reduce_by_key_config_selectorIxxN6thrust23THRUST_200600_302600_NS4plusIxEEEEZZNS1_33reduce_by_key_impl_wrapped_configILNS1_25lookback_scan_determinismE0ES3_S9_NS6_6detail15normal_iteratorINS6_10device_ptrIxEEEESG_SG_SG_PmS8_22is_equal_div_10_reduceIxEEE10hipError_tPvRmT2_T3_mT4_T5_T6_T7_T8_P12ihipStream_tbENKUlT_T0_E_clISt17integral_constantIbLb0EES11_EEDaSW_SX_EUlSW_E_NS1_11comp_targetILNS1_3genE10ELNS1_11target_archE1200ELNS1_3gpuE4ELNS1_3repE0EEENS1_30default_config_static_selectorELNS0_4arch9wavefront6targetE1EEEvT1_
	.p2align	8
	.type	_ZN7rocprim17ROCPRIM_400000_NS6detail17trampoline_kernelINS0_14default_configENS1_29reduce_by_key_config_selectorIxxN6thrust23THRUST_200600_302600_NS4plusIxEEEEZZNS1_33reduce_by_key_impl_wrapped_configILNS1_25lookback_scan_determinismE0ES3_S9_NS6_6detail15normal_iteratorINS6_10device_ptrIxEEEESG_SG_SG_PmS8_22is_equal_div_10_reduceIxEEE10hipError_tPvRmT2_T3_mT4_T5_T6_T7_T8_P12ihipStream_tbENKUlT_T0_E_clISt17integral_constantIbLb0EES11_EEDaSW_SX_EUlSW_E_NS1_11comp_targetILNS1_3genE10ELNS1_11target_archE1200ELNS1_3gpuE4ELNS1_3repE0EEENS1_30default_config_static_selectorELNS0_4arch9wavefront6targetE1EEEvT1_,@function
_ZN7rocprim17ROCPRIM_400000_NS6detail17trampoline_kernelINS0_14default_configENS1_29reduce_by_key_config_selectorIxxN6thrust23THRUST_200600_302600_NS4plusIxEEEEZZNS1_33reduce_by_key_impl_wrapped_configILNS1_25lookback_scan_determinismE0ES3_S9_NS6_6detail15normal_iteratorINS6_10device_ptrIxEEEESG_SG_SG_PmS8_22is_equal_div_10_reduceIxEEE10hipError_tPvRmT2_T3_mT4_T5_T6_T7_T8_P12ihipStream_tbENKUlT_T0_E_clISt17integral_constantIbLb0EES11_EEDaSW_SX_EUlSW_E_NS1_11comp_targetILNS1_3genE10ELNS1_11target_archE1200ELNS1_3gpuE4ELNS1_3repE0EEENS1_30default_config_static_selectorELNS0_4arch9wavefront6targetE1EEEvT1_: ; @_ZN7rocprim17ROCPRIM_400000_NS6detail17trampoline_kernelINS0_14default_configENS1_29reduce_by_key_config_selectorIxxN6thrust23THRUST_200600_302600_NS4plusIxEEEEZZNS1_33reduce_by_key_impl_wrapped_configILNS1_25lookback_scan_determinismE0ES3_S9_NS6_6detail15normal_iteratorINS6_10device_ptrIxEEEESG_SG_SG_PmS8_22is_equal_div_10_reduceIxEEE10hipError_tPvRmT2_T3_mT4_T5_T6_T7_T8_P12ihipStream_tbENKUlT_T0_E_clISt17integral_constantIbLb0EES11_EEDaSW_SX_EUlSW_E_NS1_11comp_targetILNS1_3genE10ELNS1_11target_archE1200ELNS1_3gpuE4ELNS1_3repE0EEENS1_30default_config_static_selectorELNS0_4arch9wavefront6targetE1EEEvT1_
; %bb.0:
	.section	.rodata,"a",@progbits
	.p2align	6, 0x0
	.amdhsa_kernel _ZN7rocprim17ROCPRIM_400000_NS6detail17trampoline_kernelINS0_14default_configENS1_29reduce_by_key_config_selectorIxxN6thrust23THRUST_200600_302600_NS4plusIxEEEEZZNS1_33reduce_by_key_impl_wrapped_configILNS1_25lookback_scan_determinismE0ES3_S9_NS6_6detail15normal_iteratorINS6_10device_ptrIxEEEESG_SG_SG_PmS8_22is_equal_div_10_reduceIxEEE10hipError_tPvRmT2_T3_mT4_T5_T6_T7_T8_P12ihipStream_tbENKUlT_T0_E_clISt17integral_constantIbLb0EES11_EEDaSW_SX_EUlSW_E_NS1_11comp_targetILNS1_3genE10ELNS1_11target_archE1200ELNS1_3gpuE4ELNS1_3repE0EEENS1_30default_config_static_selectorELNS0_4arch9wavefront6targetE1EEEvT1_
		.amdhsa_group_segment_fixed_size 0
		.amdhsa_private_segment_fixed_size 0
		.amdhsa_kernarg_size 136
		.amdhsa_user_sgpr_count 6
		.amdhsa_user_sgpr_private_segment_buffer 1
		.amdhsa_user_sgpr_dispatch_ptr 0
		.amdhsa_user_sgpr_queue_ptr 0
		.amdhsa_user_sgpr_kernarg_segment_ptr 1
		.amdhsa_user_sgpr_dispatch_id 0
		.amdhsa_user_sgpr_flat_scratch_init 0
		.amdhsa_user_sgpr_kernarg_preload_length 0
		.amdhsa_user_sgpr_kernarg_preload_offset 0
		.amdhsa_user_sgpr_private_segment_size 0
		.amdhsa_uses_dynamic_stack 0
		.amdhsa_system_sgpr_private_segment_wavefront_offset 0
		.amdhsa_system_sgpr_workgroup_id_x 1
		.amdhsa_system_sgpr_workgroup_id_y 0
		.amdhsa_system_sgpr_workgroup_id_z 0
		.amdhsa_system_sgpr_workgroup_info 0
		.amdhsa_system_vgpr_workitem_id 0
		.amdhsa_next_free_vgpr 1
		.amdhsa_next_free_sgpr 0
		.amdhsa_accum_offset 4
		.amdhsa_reserve_vcc 0
		.amdhsa_reserve_flat_scratch 0
		.amdhsa_float_round_mode_32 0
		.amdhsa_float_round_mode_16_64 0
		.amdhsa_float_denorm_mode_32 3
		.amdhsa_float_denorm_mode_16_64 3
		.amdhsa_dx10_clamp 1
		.amdhsa_ieee_mode 1
		.amdhsa_fp16_overflow 0
		.amdhsa_tg_split 0
		.amdhsa_exception_fp_ieee_invalid_op 0
		.amdhsa_exception_fp_denorm_src 0
		.amdhsa_exception_fp_ieee_div_zero 0
		.amdhsa_exception_fp_ieee_overflow 0
		.amdhsa_exception_fp_ieee_underflow 0
		.amdhsa_exception_fp_ieee_inexact 0
		.amdhsa_exception_int_div_zero 0
	.end_amdhsa_kernel
	.section	.text._ZN7rocprim17ROCPRIM_400000_NS6detail17trampoline_kernelINS0_14default_configENS1_29reduce_by_key_config_selectorIxxN6thrust23THRUST_200600_302600_NS4plusIxEEEEZZNS1_33reduce_by_key_impl_wrapped_configILNS1_25lookback_scan_determinismE0ES3_S9_NS6_6detail15normal_iteratorINS6_10device_ptrIxEEEESG_SG_SG_PmS8_22is_equal_div_10_reduceIxEEE10hipError_tPvRmT2_T3_mT4_T5_T6_T7_T8_P12ihipStream_tbENKUlT_T0_E_clISt17integral_constantIbLb0EES11_EEDaSW_SX_EUlSW_E_NS1_11comp_targetILNS1_3genE10ELNS1_11target_archE1200ELNS1_3gpuE4ELNS1_3repE0EEENS1_30default_config_static_selectorELNS0_4arch9wavefront6targetE1EEEvT1_,"axG",@progbits,_ZN7rocprim17ROCPRIM_400000_NS6detail17trampoline_kernelINS0_14default_configENS1_29reduce_by_key_config_selectorIxxN6thrust23THRUST_200600_302600_NS4plusIxEEEEZZNS1_33reduce_by_key_impl_wrapped_configILNS1_25lookback_scan_determinismE0ES3_S9_NS6_6detail15normal_iteratorINS6_10device_ptrIxEEEESG_SG_SG_PmS8_22is_equal_div_10_reduceIxEEE10hipError_tPvRmT2_T3_mT4_T5_T6_T7_T8_P12ihipStream_tbENKUlT_T0_E_clISt17integral_constantIbLb0EES11_EEDaSW_SX_EUlSW_E_NS1_11comp_targetILNS1_3genE10ELNS1_11target_archE1200ELNS1_3gpuE4ELNS1_3repE0EEENS1_30default_config_static_selectorELNS0_4arch9wavefront6targetE1EEEvT1_,comdat
.Lfunc_end514:
	.size	_ZN7rocprim17ROCPRIM_400000_NS6detail17trampoline_kernelINS0_14default_configENS1_29reduce_by_key_config_selectorIxxN6thrust23THRUST_200600_302600_NS4plusIxEEEEZZNS1_33reduce_by_key_impl_wrapped_configILNS1_25lookback_scan_determinismE0ES3_S9_NS6_6detail15normal_iteratorINS6_10device_ptrIxEEEESG_SG_SG_PmS8_22is_equal_div_10_reduceIxEEE10hipError_tPvRmT2_T3_mT4_T5_T6_T7_T8_P12ihipStream_tbENKUlT_T0_E_clISt17integral_constantIbLb0EES11_EEDaSW_SX_EUlSW_E_NS1_11comp_targetILNS1_3genE10ELNS1_11target_archE1200ELNS1_3gpuE4ELNS1_3repE0EEENS1_30default_config_static_selectorELNS0_4arch9wavefront6targetE1EEEvT1_, .Lfunc_end514-_ZN7rocprim17ROCPRIM_400000_NS6detail17trampoline_kernelINS0_14default_configENS1_29reduce_by_key_config_selectorIxxN6thrust23THRUST_200600_302600_NS4plusIxEEEEZZNS1_33reduce_by_key_impl_wrapped_configILNS1_25lookback_scan_determinismE0ES3_S9_NS6_6detail15normal_iteratorINS6_10device_ptrIxEEEESG_SG_SG_PmS8_22is_equal_div_10_reduceIxEEE10hipError_tPvRmT2_T3_mT4_T5_T6_T7_T8_P12ihipStream_tbENKUlT_T0_E_clISt17integral_constantIbLb0EES11_EEDaSW_SX_EUlSW_E_NS1_11comp_targetILNS1_3genE10ELNS1_11target_archE1200ELNS1_3gpuE4ELNS1_3repE0EEENS1_30default_config_static_selectorELNS0_4arch9wavefront6targetE1EEEvT1_
                                        ; -- End function
	.section	.AMDGPU.csdata,"",@progbits
; Kernel info:
; codeLenInByte = 0
; NumSgprs: 4
; NumVgprs: 0
; NumAgprs: 0
; TotalNumVgprs: 0
; ScratchSize: 0
; MemoryBound: 0
; FloatMode: 240
; IeeeMode: 1
; LDSByteSize: 0 bytes/workgroup (compile time only)
; SGPRBlocks: 0
; VGPRBlocks: 0
; NumSGPRsForWavesPerEU: 4
; NumVGPRsForWavesPerEU: 1
; AccumOffset: 4
; Occupancy: 8
; WaveLimiterHint : 0
; COMPUTE_PGM_RSRC2:SCRATCH_EN: 0
; COMPUTE_PGM_RSRC2:USER_SGPR: 6
; COMPUTE_PGM_RSRC2:TRAP_HANDLER: 0
; COMPUTE_PGM_RSRC2:TGID_X_EN: 1
; COMPUTE_PGM_RSRC2:TGID_Y_EN: 0
; COMPUTE_PGM_RSRC2:TGID_Z_EN: 0
; COMPUTE_PGM_RSRC2:TIDIG_COMP_CNT: 0
; COMPUTE_PGM_RSRC3_GFX90A:ACCUM_OFFSET: 0
; COMPUTE_PGM_RSRC3_GFX90A:TG_SPLIT: 0
	.section	.text._ZN7rocprim17ROCPRIM_400000_NS6detail17trampoline_kernelINS0_14default_configENS1_29reduce_by_key_config_selectorIxxN6thrust23THRUST_200600_302600_NS4plusIxEEEEZZNS1_33reduce_by_key_impl_wrapped_configILNS1_25lookback_scan_determinismE0ES3_S9_NS6_6detail15normal_iteratorINS6_10device_ptrIxEEEESG_SG_SG_PmS8_22is_equal_div_10_reduceIxEEE10hipError_tPvRmT2_T3_mT4_T5_T6_T7_T8_P12ihipStream_tbENKUlT_T0_E_clISt17integral_constantIbLb0EES11_EEDaSW_SX_EUlSW_E_NS1_11comp_targetILNS1_3genE9ELNS1_11target_archE1100ELNS1_3gpuE3ELNS1_3repE0EEENS1_30default_config_static_selectorELNS0_4arch9wavefront6targetE1EEEvT1_,"axG",@progbits,_ZN7rocprim17ROCPRIM_400000_NS6detail17trampoline_kernelINS0_14default_configENS1_29reduce_by_key_config_selectorIxxN6thrust23THRUST_200600_302600_NS4plusIxEEEEZZNS1_33reduce_by_key_impl_wrapped_configILNS1_25lookback_scan_determinismE0ES3_S9_NS6_6detail15normal_iteratorINS6_10device_ptrIxEEEESG_SG_SG_PmS8_22is_equal_div_10_reduceIxEEE10hipError_tPvRmT2_T3_mT4_T5_T6_T7_T8_P12ihipStream_tbENKUlT_T0_E_clISt17integral_constantIbLb0EES11_EEDaSW_SX_EUlSW_E_NS1_11comp_targetILNS1_3genE9ELNS1_11target_archE1100ELNS1_3gpuE3ELNS1_3repE0EEENS1_30default_config_static_selectorELNS0_4arch9wavefront6targetE1EEEvT1_,comdat
	.protected	_ZN7rocprim17ROCPRIM_400000_NS6detail17trampoline_kernelINS0_14default_configENS1_29reduce_by_key_config_selectorIxxN6thrust23THRUST_200600_302600_NS4plusIxEEEEZZNS1_33reduce_by_key_impl_wrapped_configILNS1_25lookback_scan_determinismE0ES3_S9_NS6_6detail15normal_iteratorINS6_10device_ptrIxEEEESG_SG_SG_PmS8_22is_equal_div_10_reduceIxEEE10hipError_tPvRmT2_T3_mT4_T5_T6_T7_T8_P12ihipStream_tbENKUlT_T0_E_clISt17integral_constantIbLb0EES11_EEDaSW_SX_EUlSW_E_NS1_11comp_targetILNS1_3genE9ELNS1_11target_archE1100ELNS1_3gpuE3ELNS1_3repE0EEENS1_30default_config_static_selectorELNS0_4arch9wavefront6targetE1EEEvT1_ ; -- Begin function _ZN7rocprim17ROCPRIM_400000_NS6detail17trampoline_kernelINS0_14default_configENS1_29reduce_by_key_config_selectorIxxN6thrust23THRUST_200600_302600_NS4plusIxEEEEZZNS1_33reduce_by_key_impl_wrapped_configILNS1_25lookback_scan_determinismE0ES3_S9_NS6_6detail15normal_iteratorINS6_10device_ptrIxEEEESG_SG_SG_PmS8_22is_equal_div_10_reduceIxEEE10hipError_tPvRmT2_T3_mT4_T5_T6_T7_T8_P12ihipStream_tbENKUlT_T0_E_clISt17integral_constantIbLb0EES11_EEDaSW_SX_EUlSW_E_NS1_11comp_targetILNS1_3genE9ELNS1_11target_archE1100ELNS1_3gpuE3ELNS1_3repE0EEENS1_30default_config_static_selectorELNS0_4arch9wavefront6targetE1EEEvT1_
	.globl	_ZN7rocprim17ROCPRIM_400000_NS6detail17trampoline_kernelINS0_14default_configENS1_29reduce_by_key_config_selectorIxxN6thrust23THRUST_200600_302600_NS4plusIxEEEEZZNS1_33reduce_by_key_impl_wrapped_configILNS1_25lookback_scan_determinismE0ES3_S9_NS6_6detail15normal_iteratorINS6_10device_ptrIxEEEESG_SG_SG_PmS8_22is_equal_div_10_reduceIxEEE10hipError_tPvRmT2_T3_mT4_T5_T6_T7_T8_P12ihipStream_tbENKUlT_T0_E_clISt17integral_constantIbLb0EES11_EEDaSW_SX_EUlSW_E_NS1_11comp_targetILNS1_3genE9ELNS1_11target_archE1100ELNS1_3gpuE3ELNS1_3repE0EEENS1_30default_config_static_selectorELNS0_4arch9wavefront6targetE1EEEvT1_
	.p2align	8
	.type	_ZN7rocprim17ROCPRIM_400000_NS6detail17trampoline_kernelINS0_14default_configENS1_29reduce_by_key_config_selectorIxxN6thrust23THRUST_200600_302600_NS4plusIxEEEEZZNS1_33reduce_by_key_impl_wrapped_configILNS1_25lookback_scan_determinismE0ES3_S9_NS6_6detail15normal_iteratorINS6_10device_ptrIxEEEESG_SG_SG_PmS8_22is_equal_div_10_reduceIxEEE10hipError_tPvRmT2_T3_mT4_T5_T6_T7_T8_P12ihipStream_tbENKUlT_T0_E_clISt17integral_constantIbLb0EES11_EEDaSW_SX_EUlSW_E_NS1_11comp_targetILNS1_3genE9ELNS1_11target_archE1100ELNS1_3gpuE3ELNS1_3repE0EEENS1_30default_config_static_selectorELNS0_4arch9wavefront6targetE1EEEvT1_,@function
_ZN7rocprim17ROCPRIM_400000_NS6detail17trampoline_kernelINS0_14default_configENS1_29reduce_by_key_config_selectorIxxN6thrust23THRUST_200600_302600_NS4plusIxEEEEZZNS1_33reduce_by_key_impl_wrapped_configILNS1_25lookback_scan_determinismE0ES3_S9_NS6_6detail15normal_iteratorINS6_10device_ptrIxEEEESG_SG_SG_PmS8_22is_equal_div_10_reduceIxEEE10hipError_tPvRmT2_T3_mT4_T5_T6_T7_T8_P12ihipStream_tbENKUlT_T0_E_clISt17integral_constantIbLb0EES11_EEDaSW_SX_EUlSW_E_NS1_11comp_targetILNS1_3genE9ELNS1_11target_archE1100ELNS1_3gpuE3ELNS1_3repE0EEENS1_30default_config_static_selectorELNS0_4arch9wavefront6targetE1EEEvT1_: ; @_ZN7rocprim17ROCPRIM_400000_NS6detail17trampoline_kernelINS0_14default_configENS1_29reduce_by_key_config_selectorIxxN6thrust23THRUST_200600_302600_NS4plusIxEEEEZZNS1_33reduce_by_key_impl_wrapped_configILNS1_25lookback_scan_determinismE0ES3_S9_NS6_6detail15normal_iteratorINS6_10device_ptrIxEEEESG_SG_SG_PmS8_22is_equal_div_10_reduceIxEEE10hipError_tPvRmT2_T3_mT4_T5_T6_T7_T8_P12ihipStream_tbENKUlT_T0_E_clISt17integral_constantIbLb0EES11_EEDaSW_SX_EUlSW_E_NS1_11comp_targetILNS1_3genE9ELNS1_11target_archE1100ELNS1_3gpuE3ELNS1_3repE0EEENS1_30default_config_static_selectorELNS0_4arch9wavefront6targetE1EEEvT1_
; %bb.0:
	.section	.rodata,"a",@progbits
	.p2align	6, 0x0
	.amdhsa_kernel _ZN7rocprim17ROCPRIM_400000_NS6detail17trampoline_kernelINS0_14default_configENS1_29reduce_by_key_config_selectorIxxN6thrust23THRUST_200600_302600_NS4plusIxEEEEZZNS1_33reduce_by_key_impl_wrapped_configILNS1_25lookback_scan_determinismE0ES3_S9_NS6_6detail15normal_iteratorINS6_10device_ptrIxEEEESG_SG_SG_PmS8_22is_equal_div_10_reduceIxEEE10hipError_tPvRmT2_T3_mT4_T5_T6_T7_T8_P12ihipStream_tbENKUlT_T0_E_clISt17integral_constantIbLb0EES11_EEDaSW_SX_EUlSW_E_NS1_11comp_targetILNS1_3genE9ELNS1_11target_archE1100ELNS1_3gpuE3ELNS1_3repE0EEENS1_30default_config_static_selectorELNS0_4arch9wavefront6targetE1EEEvT1_
		.amdhsa_group_segment_fixed_size 0
		.amdhsa_private_segment_fixed_size 0
		.amdhsa_kernarg_size 136
		.amdhsa_user_sgpr_count 6
		.amdhsa_user_sgpr_private_segment_buffer 1
		.amdhsa_user_sgpr_dispatch_ptr 0
		.amdhsa_user_sgpr_queue_ptr 0
		.amdhsa_user_sgpr_kernarg_segment_ptr 1
		.amdhsa_user_sgpr_dispatch_id 0
		.amdhsa_user_sgpr_flat_scratch_init 0
		.amdhsa_user_sgpr_kernarg_preload_length 0
		.amdhsa_user_sgpr_kernarg_preload_offset 0
		.amdhsa_user_sgpr_private_segment_size 0
		.amdhsa_uses_dynamic_stack 0
		.amdhsa_system_sgpr_private_segment_wavefront_offset 0
		.amdhsa_system_sgpr_workgroup_id_x 1
		.amdhsa_system_sgpr_workgroup_id_y 0
		.amdhsa_system_sgpr_workgroup_id_z 0
		.amdhsa_system_sgpr_workgroup_info 0
		.amdhsa_system_vgpr_workitem_id 0
		.amdhsa_next_free_vgpr 1
		.amdhsa_next_free_sgpr 0
		.amdhsa_accum_offset 4
		.amdhsa_reserve_vcc 0
		.amdhsa_reserve_flat_scratch 0
		.amdhsa_float_round_mode_32 0
		.amdhsa_float_round_mode_16_64 0
		.amdhsa_float_denorm_mode_32 3
		.amdhsa_float_denorm_mode_16_64 3
		.amdhsa_dx10_clamp 1
		.amdhsa_ieee_mode 1
		.amdhsa_fp16_overflow 0
		.amdhsa_tg_split 0
		.amdhsa_exception_fp_ieee_invalid_op 0
		.amdhsa_exception_fp_denorm_src 0
		.amdhsa_exception_fp_ieee_div_zero 0
		.amdhsa_exception_fp_ieee_overflow 0
		.amdhsa_exception_fp_ieee_underflow 0
		.amdhsa_exception_fp_ieee_inexact 0
		.amdhsa_exception_int_div_zero 0
	.end_amdhsa_kernel
	.section	.text._ZN7rocprim17ROCPRIM_400000_NS6detail17trampoline_kernelINS0_14default_configENS1_29reduce_by_key_config_selectorIxxN6thrust23THRUST_200600_302600_NS4plusIxEEEEZZNS1_33reduce_by_key_impl_wrapped_configILNS1_25lookback_scan_determinismE0ES3_S9_NS6_6detail15normal_iteratorINS6_10device_ptrIxEEEESG_SG_SG_PmS8_22is_equal_div_10_reduceIxEEE10hipError_tPvRmT2_T3_mT4_T5_T6_T7_T8_P12ihipStream_tbENKUlT_T0_E_clISt17integral_constantIbLb0EES11_EEDaSW_SX_EUlSW_E_NS1_11comp_targetILNS1_3genE9ELNS1_11target_archE1100ELNS1_3gpuE3ELNS1_3repE0EEENS1_30default_config_static_selectorELNS0_4arch9wavefront6targetE1EEEvT1_,"axG",@progbits,_ZN7rocprim17ROCPRIM_400000_NS6detail17trampoline_kernelINS0_14default_configENS1_29reduce_by_key_config_selectorIxxN6thrust23THRUST_200600_302600_NS4plusIxEEEEZZNS1_33reduce_by_key_impl_wrapped_configILNS1_25lookback_scan_determinismE0ES3_S9_NS6_6detail15normal_iteratorINS6_10device_ptrIxEEEESG_SG_SG_PmS8_22is_equal_div_10_reduceIxEEE10hipError_tPvRmT2_T3_mT4_T5_T6_T7_T8_P12ihipStream_tbENKUlT_T0_E_clISt17integral_constantIbLb0EES11_EEDaSW_SX_EUlSW_E_NS1_11comp_targetILNS1_3genE9ELNS1_11target_archE1100ELNS1_3gpuE3ELNS1_3repE0EEENS1_30default_config_static_selectorELNS0_4arch9wavefront6targetE1EEEvT1_,comdat
.Lfunc_end515:
	.size	_ZN7rocprim17ROCPRIM_400000_NS6detail17trampoline_kernelINS0_14default_configENS1_29reduce_by_key_config_selectorIxxN6thrust23THRUST_200600_302600_NS4plusIxEEEEZZNS1_33reduce_by_key_impl_wrapped_configILNS1_25lookback_scan_determinismE0ES3_S9_NS6_6detail15normal_iteratorINS6_10device_ptrIxEEEESG_SG_SG_PmS8_22is_equal_div_10_reduceIxEEE10hipError_tPvRmT2_T3_mT4_T5_T6_T7_T8_P12ihipStream_tbENKUlT_T0_E_clISt17integral_constantIbLb0EES11_EEDaSW_SX_EUlSW_E_NS1_11comp_targetILNS1_3genE9ELNS1_11target_archE1100ELNS1_3gpuE3ELNS1_3repE0EEENS1_30default_config_static_selectorELNS0_4arch9wavefront6targetE1EEEvT1_, .Lfunc_end515-_ZN7rocprim17ROCPRIM_400000_NS6detail17trampoline_kernelINS0_14default_configENS1_29reduce_by_key_config_selectorIxxN6thrust23THRUST_200600_302600_NS4plusIxEEEEZZNS1_33reduce_by_key_impl_wrapped_configILNS1_25lookback_scan_determinismE0ES3_S9_NS6_6detail15normal_iteratorINS6_10device_ptrIxEEEESG_SG_SG_PmS8_22is_equal_div_10_reduceIxEEE10hipError_tPvRmT2_T3_mT4_T5_T6_T7_T8_P12ihipStream_tbENKUlT_T0_E_clISt17integral_constantIbLb0EES11_EEDaSW_SX_EUlSW_E_NS1_11comp_targetILNS1_3genE9ELNS1_11target_archE1100ELNS1_3gpuE3ELNS1_3repE0EEENS1_30default_config_static_selectorELNS0_4arch9wavefront6targetE1EEEvT1_
                                        ; -- End function
	.section	.AMDGPU.csdata,"",@progbits
; Kernel info:
; codeLenInByte = 0
; NumSgprs: 4
; NumVgprs: 0
; NumAgprs: 0
; TotalNumVgprs: 0
; ScratchSize: 0
; MemoryBound: 0
; FloatMode: 240
; IeeeMode: 1
; LDSByteSize: 0 bytes/workgroup (compile time only)
; SGPRBlocks: 0
; VGPRBlocks: 0
; NumSGPRsForWavesPerEU: 4
; NumVGPRsForWavesPerEU: 1
; AccumOffset: 4
; Occupancy: 8
; WaveLimiterHint : 0
; COMPUTE_PGM_RSRC2:SCRATCH_EN: 0
; COMPUTE_PGM_RSRC2:USER_SGPR: 6
; COMPUTE_PGM_RSRC2:TRAP_HANDLER: 0
; COMPUTE_PGM_RSRC2:TGID_X_EN: 1
; COMPUTE_PGM_RSRC2:TGID_Y_EN: 0
; COMPUTE_PGM_RSRC2:TGID_Z_EN: 0
; COMPUTE_PGM_RSRC2:TIDIG_COMP_CNT: 0
; COMPUTE_PGM_RSRC3_GFX90A:ACCUM_OFFSET: 0
; COMPUTE_PGM_RSRC3_GFX90A:TG_SPLIT: 0
	.section	.text._ZN7rocprim17ROCPRIM_400000_NS6detail17trampoline_kernelINS0_14default_configENS1_29reduce_by_key_config_selectorIxxN6thrust23THRUST_200600_302600_NS4plusIxEEEEZZNS1_33reduce_by_key_impl_wrapped_configILNS1_25lookback_scan_determinismE0ES3_S9_NS6_6detail15normal_iteratorINS6_10device_ptrIxEEEESG_SG_SG_PmS8_22is_equal_div_10_reduceIxEEE10hipError_tPvRmT2_T3_mT4_T5_T6_T7_T8_P12ihipStream_tbENKUlT_T0_E_clISt17integral_constantIbLb0EES11_EEDaSW_SX_EUlSW_E_NS1_11comp_targetILNS1_3genE8ELNS1_11target_archE1030ELNS1_3gpuE2ELNS1_3repE0EEENS1_30default_config_static_selectorELNS0_4arch9wavefront6targetE1EEEvT1_,"axG",@progbits,_ZN7rocprim17ROCPRIM_400000_NS6detail17trampoline_kernelINS0_14default_configENS1_29reduce_by_key_config_selectorIxxN6thrust23THRUST_200600_302600_NS4plusIxEEEEZZNS1_33reduce_by_key_impl_wrapped_configILNS1_25lookback_scan_determinismE0ES3_S9_NS6_6detail15normal_iteratorINS6_10device_ptrIxEEEESG_SG_SG_PmS8_22is_equal_div_10_reduceIxEEE10hipError_tPvRmT2_T3_mT4_T5_T6_T7_T8_P12ihipStream_tbENKUlT_T0_E_clISt17integral_constantIbLb0EES11_EEDaSW_SX_EUlSW_E_NS1_11comp_targetILNS1_3genE8ELNS1_11target_archE1030ELNS1_3gpuE2ELNS1_3repE0EEENS1_30default_config_static_selectorELNS0_4arch9wavefront6targetE1EEEvT1_,comdat
	.protected	_ZN7rocprim17ROCPRIM_400000_NS6detail17trampoline_kernelINS0_14default_configENS1_29reduce_by_key_config_selectorIxxN6thrust23THRUST_200600_302600_NS4plusIxEEEEZZNS1_33reduce_by_key_impl_wrapped_configILNS1_25lookback_scan_determinismE0ES3_S9_NS6_6detail15normal_iteratorINS6_10device_ptrIxEEEESG_SG_SG_PmS8_22is_equal_div_10_reduceIxEEE10hipError_tPvRmT2_T3_mT4_T5_T6_T7_T8_P12ihipStream_tbENKUlT_T0_E_clISt17integral_constantIbLb0EES11_EEDaSW_SX_EUlSW_E_NS1_11comp_targetILNS1_3genE8ELNS1_11target_archE1030ELNS1_3gpuE2ELNS1_3repE0EEENS1_30default_config_static_selectorELNS0_4arch9wavefront6targetE1EEEvT1_ ; -- Begin function _ZN7rocprim17ROCPRIM_400000_NS6detail17trampoline_kernelINS0_14default_configENS1_29reduce_by_key_config_selectorIxxN6thrust23THRUST_200600_302600_NS4plusIxEEEEZZNS1_33reduce_by_key_impl_wrapped_configILNS1_25lookback_scan_determinismE0ES3_S9_NS6_6detail15normal_iteratorINS6_10device_ptrIxEEEESG_SG_SG_PmS8_22is_equal_div_10_reduceIxEEE10hipError_tPvRmT2_T3_mT4_T5_T6_T7_T8_P12ihipStream_tbENKUlT_T0_E_clISt17integral_constantIbLb0EES11_EEDaSW_SX_EUlSW_E_NS1_11comp_targetILNS1_3genE8ELNS1_11target_archE1030ELNS1_3gpuE2ELNS1_3repE0EEENS1_30default_config_static_selectorELNS0_4arch9wavefront6targetE1EEEvT1_
	.globl	_ZN7rocprim17ROCPRIM_400000_NS6detail17trampoline_kernelINS0_14default_configENS1_29reduce_by_key_config_selectorIxxN6thrust23THRUST_200600_302600_NS4plusIxEEEEZZNS1_33reduce_by_key_impl_wrapped_configILNS1_25lookback_scan_determinismE0ES3_S9_NS6_6detail15normal_iteratorINS6_10device_ptrIxEEEESG_SG_SG_PmS8_22is_equal_div_10_reduceIxEEE10hipError_tPvRmT2_T3_mT4_T5_T6_T7_T8_P12ihipStream_tbENKUlT_T0_E_clISt17integral_constantIbLb0EES11_EEDaSW_SX_EUlSW_E_NS1_11comp_targetILNS1_3genE8ELNS1_11target_archE1030ELNS1_3gpuE2ELNS1_3repE0EEENS1_30default_config_static_selectorELNS0_4arch9wavefront6targetE1EEEvT1_
	.p2align	8
	.type	_ZN7rocprim17ROCPRIM_400000_NS6detail17trampoline_kernelINS0_14default_configENS1_29reduce_by_key_config_selectorIxxN6thrust23THRUST_200600_302600_NS4plusIxEEEEZZNS1_33reduce_by_key_impl_wrapped_configILNS1_25lookback_scan_determinismE0ES3_S9_NS6_6detail15normal_iteratorINS6_10device_ptrIxEEEESG_SG_SG_PmS8_22is_equal_div_10_reduceIxEEE10hipError_tPvRmT2_T3_mT4_T5_T6_T7_T8_P12ihipStream_tbENKUlT_T0_E_clISt17integral_constantIbLb0EES11_EEDaSW_SX_EUlSW_E_NS1_11comp_targetILNS1_3genE8ELNS1_11target_archE1030ELNS1_3gpuE2ELNS1_3repE0EEENS1_30default_config_static_selectorELNS0_4arch9wavefront6targetE1EEEvT1_,@function
_ZN7rocprim17ROCPRIM_400000_NS6detail17trampoline_kernelINS0_14default_configENS1_29reduce_by_key_config_selectorIxxN6thrust23THRUST_200600_302600_NS4plusIxEEEEZZNS1_33reduce_by_key_impl_wrapped_configILNS1_25lookback_scan_determinismE0ES3_S9_NS6_6detail15normal_iteratorINS6_10device_ptrIxEEEESG_SG_SG_PmS8_22is_equal_div_10_reduceIxEEE10hipError_tPvRmT2_T3_mT4_T5_T6_T7_T8_P12ihipStream_tbENKUlT_T0_E_clISt17integral_constantIbLb0EES11_EEDaSW_SX_EUlSW_E_NS1_11comp_targetILNS1_3genE8ELNS1_11target_archE1030ELNS1_3gpuE2ELNS1_3repE0EEENS1_30default_config_static_selectorELNS0_4arch9wavefront6targetE1EEEvT1_: ; @_ZN7rocprim17ROCPRIM_400000_NS6detail17trampoline_kernelINS0_14default_configENS1_29reduce_by_key_config_selectorIxxN6thrust23THRUST_200600_302600_NS4plusIxEEEEZZNS1_33reduce_by_key_impl_wrapped_configILNS1_25lookback_scan_determinismE0ES3_S9_NS6_6detail15normal_iteratorINS6_10device_ptrIxEEEESG_SG_SG_PmS8_22is_equal_div_10_reduceIxEEE10hipError_tPvRmT2_T3_mT4_T5_T6_T7_T8_P12ihipStream_tbENKUlT_T0_E_clISt17integral_constantIbLb0EES11_EEDaSW_SX_EUlSW_E_NS1_11comp_targetILNS1_3genE8ELNS1_11target_archE1030ELNS1_3gpuE2ELNS1_3repE0EEENS1_30default_config_static_selectorELNS0_4arch9wavefront6targetE1EEEvT1_
; %bb.0:
	.section	.rodata,"a",@progbits
	.p2align	6, 0x0
	.amdhsa_kernel _ZN7rocprim17ROCPRIM_400000_NS6detail17trampoline_kernelINS0_14default_configENS1_29reduce_by_key_config_selectorIxxN6thrust23THRUST_200600_302600_NS4plusIxEEEEZZNS1_33reduce_by_key_impl_wrapped_configILNS1_25lookback_scan_determinismE0ES3_S9_NS6_6detail15normal_iteratorINS6_10device_ptrIxEEEESG_SG_SG_PmS8_22is_equal_div_10_reduceIxEEE10hipError_tPvRmT2_T3_mT4_T5_T6_T7_T8_P12ihipStream_tbENKUlT_T0_E_clISt17integral_constantIbLb0EES11_EEDaSW_SX_EUlSW_E_NS1_11comp_targetILNS1_3genE8ELNS1_11target_archE1030ELNS1_3gpuE2ELNS1_3repE0EEENS1_30default_config_static_selectorELNS0_4arch9wavefront6targetE1EEEvT1_
		.amdhsa_group_segment_fixed_size 0
		.amdhsa_private_segment_fixed_size 0
		.amdhsa_kernarg_size 136
		.amdhsa_user_sgpr_count 6
		.amdhsa_user_sgpr_private_segment_buffer 1
		.amdhsa_user_sgpr_dispatch_ptr 0
		.amdhsa_user_sgpr_queue_ptr 0
		.amdhsa_user_sgpr_kernarg_segment_ptr 1
		.amdhsa_user_sgpr_dispatch_id 0
		.amdhsa_user_sgpr_flat_scratch_init 0
		.amdhsa_user_sgpr_kernarg_preload_length 0
		.amdhsa_user_sgpr_kernarg_preload_offset 0
		.amdhsa_user_sgpr_private_segment_size 0
		.amdhsa_uses_dynamic_stack 0
		.amdhsa_system_sgpr_private_segment_wavefront_offset 0
		.amdhsa_system_sgpr_workgroup_id_x 1
		.amdhsa_system_sgpr_workgroup_id_y 0
		.amdhsa_system_sgpr_workgroup_id_z 0
		.amdhsa_system_sgpr_workgroup_info 0
		.amdhsa_system_vgpr_workitem_id 0
		.amdhsa_next_free_vgpr 1
		.amdhsa_next_free_sgpr 0
		.amdhsa_accum_offset 4
		.amdhsa_reserve_vcc 0
		.amdhsa_reserve_flat_scratch 0
		.amdhsa_float_round_mode_32 0
		.amdhsa_float_round_mode_16_64 0
		.amdhsa_float_denorm_mode_32 3
		.amdhsa_float_denorm_mode_16_64 3
		.amdhsa_dx10_clamp 1
		.amdhsa_ieee_mode 1
		.amdhsa_fp16_overflow 0
		.amdhsa_tg_split 0
		.amdhsa_exception_fp_ieee_invalid_op 0
		.amdhsa_exception_fp_denorm_src 0
		.amdhsa_exception_fp_ieee_div_zero 0
		.amdhsa_exception_fp_ieee_overflow 0
		.amdhsa_exception_fp_ieee_underflow 0
		.amdhsa_exception_fp_ieee_inexact 0
		.amdhsa_exception_int_div_zero 0
	.end_amdhsa_kernel
	.section	.text._ZN7rocprim17ROCPRIM_400000_NS6detail17trampoline_kernelINS0_14default_configENS1_29reduce_by_key_config_selectorIxxN6thrust23THRUST_200600_302600_NS4plusIxEEEEZZNS1_33reduce_by_key_impl_wrapped_configILNS1_25lookback_scan_determinismE0ES3_S9_NS6_6detail15normal_iteratorINS6_10device_ptrIxEEEESG_SG_SG_PmS8_22is_equal_div_10_reduceIxEEE10hipError_tPvRmT2_T3_mT4_T5_T6_T7_T8_P12ihipStream_tbENKUlT_T0_E_clISt17integral_constantIbLb0EES11_EEDaSW_SX_EUlSW_E_NS1_11comp_targetILNS1_3genE8ELNS1_11target_archE1030ELNS1_3gpuE2ELNS1_3repE0EEENS1_30default_config_static_selectorELNS0_4arch9wavefront6targetE1EEEvT1_,"axG",@progbits,_ZN7rocprim17ROCPRIM_400000_NS6detail17trampoline_kernelINS0_14default_configENS1_29reduce_by_key_config_selectorIxxN6thrust23THRUST_200600_302600_NS4plusIxEEEEZZNS1_33reduce_by_key_impl_wrapped_configILNS1_25lookback_scan_determinismE0ES3_S9_NS6_6detail15normal_iteratorINS6_10device_ptrIxEEEESG_SG_SG_PmS8_22is_equal_div_10_reduceIxEEE10hipError_tPvRmT2_T3_mT4_T5_T6_T7_T8_P12ihipStream_tbENKUlT_T0_E_clISt17integral_constantIbLb0EES11_EEDaSW_SX_EUlSW_E_NS1_11comp_targetILNS1_3genE8ELNS1_11target_archE1030ELNS1_3gpuE2ELNS1_3repE0EEENS1_30default_config_static_selectorELNS0_4arch9wavefront6targetE1EEEvT1_,comdat
.Lfunc_end516:
	.size	_ZN7rocprim17ROCPRIM_400000_NS6detail17trampoline_kernelINS0_14default_configENS1_29reduce_by_key_config_selectorIxxN6thrust23THRUST_200600_302600_NS4plusIxEEEEZZNS1_33reduce_by_key_impl_wrapped_configILNS1_25lookback_scan_determinismE0ES3_S9_NS6_6detail15normal_iteratorINS6_10device_ptrIxEEEESG_SG_SG_PmS8_22is_equal_div_10_reduceIxEEE10hipError_tPvRmT2_T3_mT4_T5_T6_T7_T8_P12ihipStream_tbENKUlT_T0_E_clISt17integral_constantIbLb0EES11_EEDaSW_SX_EUlSW_E_NS1_11comp_targetILNS1_3genE8ELNS1_11target_archE1030ELNS1_3gpuE2ELNS1_3repE0EEENS1_30default_config_static_selectorELNS0_4arch9wavefront6targetE1EEEvT1_, .Lfunc_end516-_ZN7rocprim17ROCPRIM_400000_NS6detail17trampoline_kernelINS0_14default_configENS1_29reduce_by_key_config_selectorIxxN6thrust23THRUST_200600_302600_NS4plusIxEEEEZZNS1_33reduce_by_key_impl_wrapped_configILNS1_25lookback_scan_determinismE0ES3_S9_NS6_6detail15normal_iteratorINS6_10device_ptrIxEEEESG_SG_SG_PmS8_22is_equal_div_10_reduceIxEEE10hipError_tPvRmT2_T3_mT4_T5_T6_T7_T8_P12ihipStream_tbENKUlT_T0_E_clISt17integral_constantIbLb0EES11_EEDaSW_SX_EUlSW_E_NS1_11comp_targetILNS1_3genE8ELNS1_11target_archE1030ELNS1_3gpuE2ELNS1_3repE0EEENS1_30default_config_static_selectorELNS0_4arch9wavefront6targetE1EEEvT1_
                                        ; -- End function
	.section	.AMDGPU.csdata,"",@progbits
; Kernel info:
; codeLenInByte = 0
; NumSgprs: 4
; NumVgprs: 0
; NumAgprs: 0
; TotalNumVgprs: 0
; ScratchSize: 0
; MemoryBound: 0
; FloatMode: 240
; IeeeMode: 1
; LDSByteSize: 0 bytes/workgroup (compile time only)
; SGPRBlocks: 0
; VGPRBlocks: 0
; NumSGPRsForWavesPerEU: 4
; NumVGPRsForWavesPerEU: 1
; AccumOffset: 4
; Occupancy: 8
; WaveLimiterHint : 0
; COMPUTE_PGM_RSRC2:SCRATCH_EN: 0
; COMPUTE_PGM_RSRC2:USER_SGPR: 6
; COMPUTE_PGM_RSRC2:TRAP_HANDLER: 0
; COMPUTE_PGM_RSRC2:TGID_X_EN: 1
; COMPUTE_PGM_RSRC2:TGID_Y_EN: 0
; COMPUTE_PGM_RSRC2:TGID_Z_EN: 0
; COMPUTE_PGM_RSRC2:TIDIG_COMP_CNT: 0
; COMPUTE_PGM_RSRC3_GFX90A:ACCUM_OFFSET: 0
; COMPUTE_PGM_RSRC3_GFX90A:TG_SPLIT: 0
	.section	.text._ZN7rocprim17ROCPRIM_400000_NS6detail17trampoline_kernelINS0_14default_configENS1_29reduce_by_key_config_selectorIxxN6thrust23THRUST_200600_302600_NS4plusIxEEEEZZNS1_33reduce_by_key_impl_wrapped_configILNS1_25lookback_scan_determinismE0ES3_S9_NS6_6detail15normal_iteratorINS6_10device_ptrIxEEEESG_SG_SG_PmS8_22is_equal_div_10_reduceIxEEE10hipError_tPvRmT2_T3_mT4_T5_T6_T7_T8_P12ihipStream_tbENKUlT_T0_E_clISt17integral_constantIbLb1EES11_EEDaSW_SX_EUlSW_E_NS1_11comp_targetILNS1_3genE0ELNS1_11target_archE4294967295ELNS1_3gpuE0ELNS1_3repE0EEENS1_30default_config_static_selectorELNS0_4arch9wavefront6targetE1EEEvT1_,"axG",@progbits,_ZN7rocprim17ROCPRIM_400000_NS6detail17trampoline_kernelINS0_14default_configENS1_29reduce_by_key_config_selectorIxxN6thrust23THRUST_200600_302600_NS4plusIxEEEEZZNS1_33reduce_by_key_impl_wrapped_configILNS1_25lookback_scan_determinismE0ES3_S9_NS6_6detail15normal_iteratorINS6_10device_ptrIxEEEESG_SG_SG_PmS8_22is_equal_div_10_reduceIxEEE10hipError_tPvRmT2_T3_mT4_T5_T6_T7_T8_P12ihipStream_tbENKUlT_T0_E_clISt17integral_constantIbLb1EES11_EEDaSW_SX_EUlSW_E_NS1_11comp_targetILNS1_3genE0ELNS1_11target_archE4294967295ELNS1_3gpuE0ELNS1_3repE0EEENS1_30default_config_static_selectorELNS0_4arch9wavefront6targetE1EEEvT1_,comdat
	.protected	_ZN7rocprim17ROCPRIM_400000_NS6detail17trampoline_kernelINS0_14default_configENS1_29reduce_by_key_config_selectorIxxN6thrust23THRUST_200600_302600_NS4plusIxEEEEZZNS1_33reduce_by_key_impl_wrapped_configILNS1_25lookback_scan_determinismE0ES3_S9_NS6_6detail15normal_iteratorINS6_10device_ptrIxEEEESG_SG_SG_PmS8_22is_equal_div_10_reduceIxEEE10hipError_tPvRmT2_T3_mT4_T5_T6_T7_T8_P12ihipStream_tbENKUlT_T0_E_clISt17integral_constantIbLb1EES11_EEDaSW_SX_EUlSW_E_NS1_11comp_targetILNS1_3genE0ELNS1_11target_archE4294967295ELNS1_3gpuE0ELNS1_3repE0EEENS1_30default_config_static_selectorELNS0_4arch9wavefront6targetE1EEEvT1_ ; -- Begin function _ZN7rocprim17ROCPRIM_400000_NS6detail17trampoline_kernelINS0_14default_configENS1_29reduce_by_key_config_selectorIxxN6thrust23THRUST_200600_302600_NS4plusIxEEEEZZNS1_33reduce_by_key_impl_wrapped_configILNS1_25lookback_scan_determinismE0ES3_S9_NS6_6detail15normal_iteratorINS6_10device_ptrIxEEEESG_SG_SG_PmS8_22is_equal_div_10_reduceIxEEE10hipError_tPvRmT2_T3_mT4_T5_T6_T7_T8_P12ihipStream_tbENKUlT_T0_E_clISt17integral_constantIbLb1EES11_EEDaSW_SX_EUlSW_E_NS1_11comp_targetILNS1_3genE0ELNS1_11target_archE4294967295ELNS1_3gpuE0ELNS1_3repE0EEENS1_30default_config_static_selectorELNS0_4arch9wavefront6targetE1EEEvT1_
	.globl	_ZN7rocprim17ROCPRIM_400000_NS6detail17trampoline_kernelINS0_14default_configENS1_29reduce_by_key_config_selectorIxxN6thrust23THRUST_200600_302600_NS4plusIxEEEEZZNS1_33reduce_by_key_impl_wrapped_configILNS1_25lookback_scan_determinismE0ES3_S9_NS6_6detail15normal_iteratorINS6_10device_ptrIxEEEESG_SG_SG_PmS8_22is_equal_div_10_reduceIxEEE10hipError_tPvRmT2_T3_mT4_T5_T6_T7_T8_P12ihipStream_tbENKUlT_T0_E_clISt17integral_constantIbLb1EES11_EEDaSW_SX_EUlSW_E_NS1_11comp_targetILNS1_3genE0ELNS1_11target_archE4294967295ELNS1_3gpuE0ELNS1_3repE0EEENS1_30default_config_static_selectorELNS0_4arch9wavefront6targetE1EEEvT1_
	.p2align	8
	.type	_ZN7rocprim17ROCPRIM_400000_NS6detail17trampoline_kernelINS0_14default_configENS1_29reduce_by_key_config_selectorIxxN6thrust23THRUST_200600_302600_NS4plusIxEEEEZZNS1_33reduce_by_key_impl_wrapped_configILNS1_25lookback_scan_determinismE0ES3_S9_NS6_6detail15normal_iteratorINS6_10device_ptrIxEEEESG_SG_SG_PmS8_22is_equal_div_10_reduceIxEEE10hipError_tPvRmT2_T3_mT4_T5_T6_T7_T8_P12ihipStream_tbENKUlT_T0_E_clISt17integral_constantIbLb1EES11_EEDaSW_SX_EUlSW_E_NS1_11comp_targetILNS1_3genE0ELNS1_11target_archE4294967295ELNS1_3gpuE0ELNS1_3repE0EEENS1_30default_config_static_selectorELNS0_4arch9wavefront6targetE1EEEvT1_,@function
_ZN7rocprim17ROCPRIM_400000_NS6detail17trampoline_kernelINS0_14default_configENS1_29reduce_by_key_config_selectorIxxN6thrust23THRUST_200600_302600_NS4plusIxEEEEZZNS1_33reduce_by_key_impl_wrapped_configILNS1_25lookback_scan_determinismE0ES3_S9_NS6_6detail15normal_iteratorINS6_10device_ptrIxEEEESG_SG_SG_PmS8_22is_equal_div_10_reduceIxEEE10hipError_tPvRmT2_T3_mT4_T5_T6_T7_T8_P12ihipStream_tbENKUlT_T0_E_clISt17integral_constantIbLb1EES11_EEDaSW_SX_EUlSW_E_NS1_11comp_targetILNS1_3genE0ELNS1_11target_archE4294967295ELNS1_3gpuE0ELNS1_3repE0EEENS1_30default_config_static_selectorELNS0_4arch9wavefront6targetE1EEEvT1_: ; @_ZN7rocprim17ROCPRIM_400000_NS6detail17trampoline_kernelINS0_14default_configENS1_29reduce_by_key_config_selectorIxxN6thrust23THRUST_200600_302600_NS4plusIxEEEEZZNS1_33reduce_by_key_impl_wrapped_configILNS1_25lookback_scan_determinismE0ES3_S9_NS6_6detail15normal_iteratorINS6_10device_ptrIxEEEESG_SG_SG_PmS8_22is_equal_div_10_reduceIxEEE10hipError_tPvRmT2_T3_mT4_T5_T6_T7_T8_P12ihipStream_tbENKUlT_T0_E_clISt17integral_constantIbLb1EES11_EEDaSW_SX_EUlSW_E_NS1_11comp_targetILNS1_3genE0ELNS1_11target_archE4294967295ELNS1_3gpuE0ELNS1_3repE0EEENS1_30default_config_static_selectorELNS0_4arch9wavefront6targetE1EEEvT1_
; %bb.0:
	.section	.rodata,"a",@progbits
	.p2align	6, 0x0
	.amdhsa_kernel _ZN7rocprim17ROCPRIM_400000_NS6detail17trampoline_kernelINS0_14default_configENS1_29reduce_by_key_config_selectorIxxN6thrust23THRUST_200600_302600_NS4plusIxEEEEZZNS1_33reduce_by_key_impl_wrapped_configILNS1_25lookback_scan_determinismE0ES3_S9_NS6_6detail15normal_iteratorINS6_10device_ptrIxEEEESG_SG_SG_PmS8_22is_equal_div_10_reduceIxEEE10hipError_tPvRmT2_T3_mT4_T5_T6_T7_T8_P12ihipStream_tbENKUlT_T0_E_clISt17integral_constantIbLb1EES11_EEDaSW_SX_EUlSW_E_NS1_11comp_targetILNS1_3genE0ELNS1_11target_archE4294967295ELNS1_3gpuE0ELNS1_3repE0EEENS1_30default_config_static_selectorELNS0_4arch9wavefront6targetE1EEEvT1_
		.amdhsa_group_segment_fixed_size 0
		.amdhsa_private_segment_fixed_size 0
		.amdhsa_kernarg_size 136
		.amdhsa_user_sgpr_count 6
		.amdhsa_user_sgpr_private_segment_buffer 1
		.amdhsa_user_sgpr_dispatch_ptr 0
		.amdhsa_user_sgpr_queue_ptr 0
		.amdhsa_user_sgpr_kernarg_segment_ptr 1
		.amdhsa_user_sgpr_dispatch_id 0
		.amdhsa_user_sgpr_flat_scratch_init 0
		.amdhsa_user_sgpr_kernarg_preload_length 0
		.amdhsa_user_sgpr_kernarg_preload_offset 0
		.amdhsa_user_sgpr_private_segment_size 0
		.amdhsa_uses_dynamic_stack 0
		.amdhsa_system_sgpr_private_segment_wavefront_offset 0
		.amdhsa_system_sgpr_workgroup_id_x 1
		.amdhsa_system_sgpr_workgroup_id_y 0
		.amdhsa_system_sgpr_workgroup_id_z 0
		.amdhsa_system_sgpr_workgroup_info 0
		.amdhsa_system_vgpr_workitem_id 0
		.amdhsa_next_free_vgpr 1
		.amdhsa_next_free_sgpr 0
		.amdhsa_accum_offset 4
		.amdhsa_reserve_vcc 0
		.amdhsa_reserve_flat_scratch 0
		.amdhsa_float_round_mode_32 0
		.amdhsa_float_round_mode_16_64 0
		.amdhsa_float_denorm_mode_32 3
		.amdhsa_float_denorm_mode_16_64 3
		.amdhsa_dx10_clamp 1
		.amdhsa_ieee_mode 1
		.amdhsa_fp16_overflow 0
		.amdhsa_tg_split 0
		.amdhsa_exception_fp_ieee_invalid_op 0
		.amdhsa_exception_fp_denorm_src 0
		.amdhsa_exception_fp_ieee_div_zero 0
		.amdhsa_exception_fp_ieee_overflow 0
		.amdhsa_exception_fp_ieee_underflow 0
		.amdhsa_exception_fp_ieee_inexact 0
		.amdhsa_exception_int_div_zero 0
	.end_amdhsa_kernel
	.section	.text._ZN7rocprim17ROCPRIM_400000_NS6detail17trampoline_kernelINS0_14default_configENS1_29reduce_by_key_config_selectorIxxN6thrust23THRUST_200600_302600_NS4plusIxEEEEZZNS1_33reduce_by_key_impl_wrapped_configILNS1_25lookback_scan_determinismE0ES3_S9_NS6_6detail15normal_iteratorINS6_10device_ptrIxEEEESG_SG_SG_PmS8_22is_equal_div_10_reduceIxEEE10hipError_tPvRmT2_T3_mT4_T5_T6_T7_T8_P12ihipStream_tbENKUlT_T0_E_clISt17integral_constantIbLb1EES11_EEDaSW_SX_EUlSW_E_NS1_11comp_targetILNS1_3genE0ELNS1_11target_archE4294967295ELNS1_3gpuE0ELNS1_3repE0EEENS1_30default_config_static_selectorELNS0_4arch9wavefront6targetE1EEEvT1_,"axG",@progbits,_ZN7rocprim17ROCPRIM_400000_NS6detail17trampoline_kernelINS0_14default_configENS1_29reduce_by_key_config_selectorIxxN6thrust23THRUST_200600_302600_NS4plusIxEEEEZZNS1_33reduce_by_key_impl_wrapped_configILNS1_25lookback_scan_determinismE0ES3_S9_NS6_6detail15normal_iteratorINS6_10device_ptrIxEEEESG_SG_SG_PmS8_22is_equal_div_10_reduceIxEEE10hipError_tPvRmT2_T3_mT4_T5_T6_T7_T8_P12ihipStream_tbENKUlT_T0_E_clISt17integral_constantIbLb1EES11_EEDaSW_SX_EUlSW_E_NS1_11comp_targetILNS1_3genE0ELNS1_11target_archE4294967295ELNS1_3gpuE0ELNS1_3repE0EEENS1_30default_config_static_selectorELNS0_4arch9wavefront6targetE1EEEvT1_,comdat
.Lfunc_end517:
	.size	_ZN7rocprim17ROCPRIM_400000_NS6detail17trampoline_kernelINS0_14default_configENS1_29reduce_by_key_config_selectorIxxN6thrust23THRUST_200600_302600_NS4plusIxEEEEZZNS1_33reduce_by_key_impl_wrapped_configILNS1_25lookback_scan_determinismE0ES3_S9_NS6_6detail15normal_iteratorINS6_10device_ptrIxEEEESG_SG_SG_PmS8_22is_equal_div_10_reduceIxEEE10hipError_tPvRmT2_T3_mT4_T5_T6_T7_T8_P12ihipStream_tbENKUlT_T0_E_clISt17integral_constantIbLb1EES11_EEDaSW_SX_EUlSW_E_NS1_11comp_targetILNS1_3genE0ELNS1_11target_archE4294967295ELNS1_3gpuE0ELNS1_3repE0EEENS1_30default_config_static_selectorELNS0_4arch9wavefront6targetE1EEEvT1_, .Lfunc_end517-_ZN7rocprim17ROCPRIM_400000_NS6detail17trampoline_kernelINS0_14default_configENS1_29reduce_by_key_config_selectorIxxN6thrust23THRUST_200600_302600_NS4plusIxEEEEZZNS1_33reduce_by_key_impl_wrapped_configILNS1_25lookback_scan_determinismE0ES3_S9_NS6_6detail15normal_iteratorINS6_10device_ptrIxEEEESG_SG_SG_PmS8_22is_equal_div_10_reduceIxEEE10hipError_tPvRmT2_T3_mT4_T5_T6_T7_T8_P12ihipStream_tbENKUlT_T0_E_clISt17integral_constantIbLb1EES11_EEDaSW_SX_EUlSW_E_NS1_11comp_targetILNS1_3genE0ELNS1_11target_archE4294967295ELNS1_3gpuE0ELNS1_3repE0EEENS1_30default_config_static_selectorELNS0_4arch9wavefront6targetE1EEEvT1_
                                        ; -- End function
	.section	.AMDGPU.csdata,"",@progbits
; Kernel info:
; codeLenInByte = 0
; NumSgprs: 4
; NumVgprs: 0
; NumAgprs: 0
; TotalNumVgprs: 0
; ScratchSize: 0
; MemoryBound: 0
; FloatMode: 240
; IeeeMode: 1
; LDSByteSize: 0 bytes/workgroup (compile time only)
; SGPRBlocks: 0
; VGPRBlocks: 0
; NumSGPRsForWavesPerEU: 4
; NumVGPRsForWavesPerEU: 1
; AccumOffset: 4
; Occupancy: 8
; WaveLimiterHint : 0
; COMPUTE_PGM_RSRC2:SCRATCH_EN: 0
; COMPUTE_PGM_RSRC2:USER_SGPR: 6
; COMPUTE_PGM_RSRC2:TRAP_HANDLER: 0
; COMPUTE_PGM_RSRC2:TGID_X_EN: 1
; COMPUTE_PGM_RSRC2:TGID_Y_EN: 0
; COMPUTE_PGM_RSRC2:TGID_Z_EN: 0
; COMPUTE_PGM_RSRC2:TIDIG_COMP_CNT: 0
; COMPUTE_PGM_RSRC3_GFX90A:ACCUM_OFFSET: 0
; COMPUTE_PGM_RSRC3_GFX90A:TG_SPLIT: 0
	.section	.text._ZN7rocprim17ROCPRIM_400000_NS6detail17trampoline_kernelINS0_14default_configENS1_29reduce_by_key_config_selectorIxxN6thrust23THRUST_200600_302600_NS4plusIxEEEEZZNS1_33reduce_by_key_impl_wrapped_configILNS1_25lookback_scan_determinismE0ES3_S9_NS6_6detail15normal_iteratorINS6_10device_ptrIxEEEESG_SG_SG_PmS8_22is_equal_div_10_reduceIxEEE10hipError_tPvRmT2_T3_mT4_T5_T6_T7_T8_P12ihipStream_tbENKUlT_T0_E_clISt17integral_constantIbLb1EES11_EEDaSW_SX_EUlSW_E_NS1_11comp_targetILNS1_3genE5ELNS1_11target_archE942ELNS1_3gpuE9ELNS1_3repE0EEENS1_30default_config_static_selectorELNS0_4arch9wavefront6targetE1EEEvT1_,"axG",@progbits,_ZN7rocprim17ROCPRIM_400000_NS6detail17trampoline_kernelINS0_14default_configENS1_29reduce_by_key_config_selectorIxxN6thrust23THRUST_200600_302600_NS4plusIxEEEEZZNS1_33reduce_by_key_impl_wrapped_configILNS1_25lookback_scan_determinismE0ES3_S9_NS6_6detail15normal_iteratorINS6_10device_ptrIxEEEESG_SG_SG_PmS8_22is_equal_div_10_reduceIxEEE10hipError_tPvRmT2_T3_mT4_T5_T6_T7_T8_P12ihipStream_tbENKUlT_T0_E_clISt17integral_constantIbLb1EES11_EEDaSW_SX_EUlSW_E_NS1_11comp_targetILNS1_3genE5ELNS1_11target_archE942ELNS1_3gpuE9ELNS1_3repE0EEENS1_30default_config_static_selectorELNS0_4arch9wavefront6targetE1EEEvT1_,comdat
	.protected	_ZN7rocprim17ROCPRIM_400000_NS6detail17trampoline_kernelINS0_14default_configENS1_29reduce_by_key_config_selectorIxxN6thrust23THRUST_200600_302600_NS4plusIxEEEEZZNS1_33reduce_by_key_impl_wrapped_configILNS1_25lookback_scan_determinismE0ES3_S9_NS6_6detail15normal_iteratorINS6_10device_ptrIxEEEESG_SG_SG_PmS8_22is_equal_div_10_reduceIxEEE10hipError_tPvRmT2_T3_mT4_T5_T6_T7_T8_P12ihipStream_tbENKUlT_T0_E_clISt17integral_constantIbLb1EES11_EEDaSW_SX_EUlSW_E_NS1_11comp_targetILNS1_3genE5ELNS1_11target_archE942ELNS1_3gpuE9ELNS1_3repE0EEENS1_30default_config_static_selectorELNS0_4arch9wavefront6targetE1EEEvT1_ ; -- Begin function _ZN7rocprim17ROCPRIM_400000_NS6detail17trampoline_kernelINS0_14default_configENS1_29reduce_by_key_config_selectorIxxN6thrust23THRUST_200600_302600_NS4plusIxEEEEZZNS1_33reduce_by_key_impl_wrapped_configILNS1_25lookback_scan_determinismE0ES3_S9_NS6_6detail15normal_iteratorINS6_10device_ptrIxEEEESG_SG_SG_PmS8_22is_equal_div_10_reduceIxEEE10hipError_tPvRmT2_T3_mT4_T5_T6_T7_T8_P12ihipStream_tbENKUlT_T0_E_clISt17integral_constantIbLb1EES11_EEDaSW_SX_EUlSW_E_NS1_11comp_targetILNS1_3genE5ELNS1_11target_archE942ELNS1_3gpuE9ELNS1_3repE0EEENS1_30default_config_static_selectorELNS0_4arch9wavefront6targetE1EEEvT1_
	.globl	_ZN7rocprim17ROCPRIM_400000_NS6detail17trampoline_kernelINS0_14default_configENS1_29reduce_by_key_config_selectorIxxN6thrust23THRUST_200600_302600_NS4plusIxEEEEZZNS1_33reduce_by_key_impl_wrapped_configILNS1_25lookback_scan_determinismE0ES3_S9_NS6_6detail15normal_iteratorINS6_10device_ptrIxEEEESG_SG_SG_PmS8_22is_equal_div_10_reduceIxEEE10hipError_tPvRmT2_T3_mT4_T5_T6_T7_T8_P12ihipStream_tbENKUlT_T0_E_clISt17integral_constantIbLb1EES11_EEDaSW_SX_EUlSW_E_NS1_11comp_targetILNS1_3genE5ELNS1_11target_archE942ELNS1_3gpuE9ELNS1_3repE0EEENS1_30default_config_static_selectorELNS0_4arch9wavefront6targetE1EEEvT1_
	.p2align	8
	.type	_ZN7rocprim17ROCPRIM_400000_NS6detail17trampoline_kernelINS0_14default_configENS1_29reduce_by_key_config_selectorIxxN6thrust23THRUST_200600_302600_NS4plusIxEEEEZZNS1_33reduce_by_key_impl_wrapped_configILNS1_25lookback_scan_determinismE0ES3_S9_NS6_6detail15normal_iteratorINS6_10device_ptrIxEEEESG_SG_SG_PmS8_22is_equal_div_10_reduceIxEEE10hipError_tPvRmT2_T3_mT4_T5_T6_T7_T8_P12ihipStream_tbENKUlT_T0_E_clISt17integral_constantIbLb1EES11_EEDaSW_SX_EUlSW_E_NS1_11comp_targetILNS1_3genE5ELNS1_11target_archE942ELNS1_3gpuE9ELNS1_3repE0EEENS1_30default_config_static_selectorELNS0_4arch9wavefront6targetE1EEEvT1_,@function
_ZN7rocprim17ROCPRIM_400000_NS6detail17trampoline_kernelINS0_14default_configENS1_29reduce_by_key_config_selectorIxxN6thrust23THRUST_200600_302600_NS4plusIxEEEEZZNS1_33reduce_by_key_impl_wrapped_configILNS1_25lookback_scan_determinismE0ES3_S9_NS6_6detail15normal_iteratorINS6_10device_ptrIxEEEESG_SG_SG_PmS8_22is_equal_div_10_reduceIxEEE10hipError_tPvRmT2_T3_mT4_T5_T6_T7_T8_P12ihipStream_tbENKUlT_T0_E_clISt17integral_constantIbLb1EES11_EEDaSW_SX_EUlSW_E_NS1_11comp_targetILNS1_3genE5ELNS1_11target_archE942ELNS1_3gpuE9ELNS1_3repE0EEENS1_30default_config_static_selectorELNS0_4arch9wavefront6targetE1EEEvT1_: ; @_ZN7rocprim17ROCPRIM_400000_NS6detail17trampoline_kernelINS0_14default_configENS1_29reduce_by_key_config_selectorIxxN6thrust23THRUST_200600_302600_NS4plusIxEEEEZZNS1_33reduce_by_key_impl_wrapped_configILNS1_25lookback_scan_determinismE0ES3_S9_NS6_6detail15normal_iteratorINS6_10device_ptrIxEEEESG_SG_SG_PmS8_22is_equal_div_10_reduceIxEEE10hipError_tPvRmT2_T3_mT4_T5_T6_T7_T8_P12ihipStream_tbENKUlT_T0_E_clISt17integral_constantIbLb1EES11_EEDaSW_SX_EUlSW_E_NS1_11comp_targetILNS1_3genE5ELNS1_11target_archE942ELNS1_3gpuE9ELNS1_3repE0EEENS1_30default_config_static_selectorELNS0_4arch9wavefront6targetE1EEEvT1_
; %bb.0:
	.section	.rodata,"a",@progbits
	.p2align	6, 0x0
	.amdhsa_kernel _ZN7rocprim17ROCPRIM_400000_NS6detail17trampoline_kernelINS0_14default_configENS1_29reduce_by_key_config_selectorIxxN6thrust23THRUST_200600_302600_NS4plusIxEEEEZZNS1_33reduce_by_key_impl_wrapped_configILNS1_25lookback_scan_determinismE0ES3_S9_NS6_6detail15normal_iteratorINS6_10device_ptrIxEEEESG_SG_SG_PmS8_22is_equal_div_10_reduceIxEEE10hipError_tPvRmT2_T3_mT4_T5_T6_T7_T8_P12ihipStream_tbENKUlT_T0_E_clISt17integral_constantIbLb1EES11_EEDaSW_SX_EUlSW_E_NS1_11comp_targetILNS1_3genE5ELNS1_11target_archE942ELNS1_3gpuE9ELNS1_3repE0EEENS1_30default_config_static_selectorELNS0_4arch9wavefront6targetE1EEEvT1_
		.amdhsa_group_segment_fixed_size 0
		.amdhsa_private_segment_fixed_size 0
		.amdhsa_kernarg_size 136
		.amdhsa_user_sgpr_count 6
		.amdhsa_user_sgpr_private_segment_buffer 1
		.amdhsa_user_sgpr_dispatch_ptr 0
		.amdhsa_user_sgpr_queue_ptr 0
		.amdhsa_user_sgpr_kernarg_segment_ptr 1
		.amdhsa_user_sgpr_dispatch_id 0
		.amdhsa_user_sgpr_flat_scratch_init 0
		.amdhsa_user_sgpr_kernarg_preload_length 0
		.amdhsa_user_sgpr_kernarg_preload_offset 0
		.amdhsa_user_sgpr_private_segment_size 0
		.amdhsa_uses_dynamic_stack 0
		.amdhsa_system_sgpr_private_segment_wavefront_offset 0
		.amdhsa_system_sgpr_workgroup_id_x 1
		.amdhsa_system_sgpr_workgroup_id_y 0
		.amdhsa_system_sgpr_workgroup_id_z 0
		.amdhsa_system_sgpr_workgroup_info 0
		.amdhsa_system_vgpr_workitem_id 0
		.amdhsa_next_free_vgpr 1
		.amdhsa_next_free_sgpr 0
		.amdhsa_accum_offset 4
		.amdhsa_reserve_vcc 0
		.amdhsa_reserve_flat_scratch 0
		.amdhsa_float_round_mode_32 0
		.amdhsa_float_round_mode_16_64 0
		.amdhsa_float_denorm_mode_32 3
		.amdhsa_float_denorm_mode_16_64 3
		.amdhsa_dx10_clamp 1
		.amdhsa_ieee_mode 1
		.amdhsa_fp16_overflow 0
		.amdhsa_tg_split 0
		.amdhsa_exception_fp_ieee_invalid_op 0
		.amdhsa_exception_fp_denorm_src 0
		.amdhsa_exception_fp_ieee_div_zero 0
		.amdhsa_exception_fp_ieee_overflow 0
		.amdhsa_exception_fp_ieee_underflow 0
		.amdhsa_exception_fp_ieee_inexact 0
		.amdhsa_exception_int_div_zero 0
	.end_amdhsa_kernel
	.section	.text._ZN7rocprim17ROCPRIM_400000_NS6detail17trampoline_kernelINS0_14default_configENS1_29reduce_by_key_config_selectorIxxN6thrust23THRUST_200600_302600_NS4plusIxEEEEZZNS1_33reduce_by_key_impl_wrapped_configILNS1_25lookback_scan_determinismE0ES3_S9_NS6_6detail15normal_iteratorINS6_10device_ptrIxEEEESG_SG_SG_PmS8_22is_equal_div_10_reduceIxEEE10hipError_tPvRmT2_T3_mT4_T5_T6_T7_T8_P12ihipStream_tbENKUlT_T0_E_clISt17integral_constantIbLb1EES11_EEDaSW_SX_EUlSW_E_NS1_11comp_targetILNS1_3genE5ELNS1_11target_archE942ELNS1_3gpuE9ELNS1_3repE0EEENS1_30default_config_static_selectorELNS0_4arch9wavefront6targetE1EEEvT1_,"axG",@progbits,_ZN7rocprim17ROCPRIM_400000_NS6detail17trampoline_kernelINS0_14default_configENS1_29reduce_by_key_config_selectorIxxN6thrust23THRUST_200600_302600_NS4plusIxEEEEZZNS1_33reduce_by_key_impl_wrapped_configILNS1_25lookback_scan_determinismE0ES3_S9_NS6_6detail15normal_iteratorINS6_10device_ptrIxEEEESG_SG_SG_PmS8_22is_equal_div_10_reduceIxEEE10hipError_tPvRmT2_T3_mT4_T5_T6_T7_T8_P12ihipStream_tbENKUlT_T0_E_clISt17integral_constantIbLb1EES11_EEDaSW_SX_EUlSW_E_NS1_11comp_targetILNS1_3genE5ELNS1_11target_archE942ELNS1_3gpuE9ELNS1_3repE0EEENS1_30default_config_static_selectorELNS0_4arch9wavefront6targetE1EEEvT1_,comdat
.Lfunc_end518:
	.size	_ZN7rocprim17ROCPRIM_400000_NS6detail17trampoline_kernelINS0_14default_configENS1_29reduce_by_key_config_selectorIxxN6thrust23THRUST_200600_302600_NS4plusIxEEEEZZNS1_33reduce_by_key_impl_wrapped_configILNS1_25lookback_scan_determinismE0ES3_S9_NS6_6detail15normal_iteratorINS6_10device_ptrIxEEEESG_SG_SG_PmS8_22is_equal_div_10_reduceIxEEE10hipError_tPvRmT2_T3_mT4_T5_T6_T7_T8_P12ihipStream_tbENKUlT_T0_E_clISt17integral_constantIbLb1EES11_EEDaSW_SX_EUlSW_E_NS1_11comp_targetILNS1_3genE5ELNS1_11target_archE942ELNS1_3gpuE9ELNS1_3repE0EEENS1_30default_config_static_selectorELNS0_4arch9wavefront6targetE1EEEvT1_, .Lfunc_end518-_ZN7rocprim17ROCPRIM_400000_NS6detail17trampoline_kernelINS0_14default_configENS1_29reduce_by_key_config_selectorIxxN6thrust23THRUST_200600_302600_NS4plusIxEEEEZZNS1_33reduce_by_key_impl_wrapped_configILNS1_25lookback_scan_determinismE0ES3_S9_NS6_6detail15normal_iteratorINS6_10device_ptrIxEEEESG_SG_SG_PmS8_22is_equal_div_10_reduceIxEEE10hipError_tPvRmT2_T3_mT4_T5_T6_T7_T8_P12ihipStream_tbENKUlT_T0_E_clISt17integral_constantIbLb1EES11_EEDaSW_SX_EUlSW_E_NS1_11comp_targetILNS1_3genE5ELNS1_11target_archE942ELNS1_3gpuE9ELNS1_3repE0EEENS1_30default_config_static_selectorELNS0_4arch9wavefront6targetE1EEEvT1_
                                        ; -- End function
	.section	.AMDGPU.csdata,"",@progbits
; Kernel info:
; codeLenInByte = 0
; NumSgprs: 4
; NumVgprs: 0
; NumAgprs: 0
; TotalNumVgprs: 0
; ScratchSize: 0
; MemoryBound: 0
; FloatMode: 240
; IeeeMode: 1
; LDSByteSize: 0 bytes/workgroup (compile time only)
; SGPRBlocks: 0
; VGPRBlocks: 0
; NumSGPRsForWavesPerEU: 4
; NumVGPRsForWavesPerEU: 1
; AccumOffset: 4
; Occupancy: 8
; WaveLimiterHint : 0
; COMPUTE_PGM_RSRC2:SCRATCH_EN: 0
; COMPUTE_PGM_RSRC2:USER_SGPR: 6
; COMPUTE_PGM_RSRC2:TRAP_HANDLER: 0
; COMPUTE_PGM_RSRC2:TGID_X_EN: 1
; COMPUTE_PGM_RSRC2:TGID_Y_EN: 0
; COMPUTE_PGM_RSRC2:TGID_Z_EN: 0
; COMPUTE_PGM_RSRC2:TIDIG_COMP_CNT: 0
; COMPUTE_PGM_RSRC3_GFX90A:ACCUM_OFFSET: 0
; COMPUTE_PGM_RSRC3_GFX90A:TG_SPLIT: 0
	.section	.text._ZN7rocprim17ROCPRIM_400000_NS6detail17trampoline_kernelINS0_14default_configENS1_29reduce_by_key_config_selectorIxxN6thrust23THRUST_200600_302600_NS4plusIxEEEEZZNS1_33reduce_by_key_impl_wrapped_configILNS1_25lookback_scan_determinismE0ES3_S9_NS6_6detail15normal_iteratorINS6_10device_ptrIxEEEESG_SG_SG_PmS8_22is_equal_div_10_reduceIxEEE10hipError_tPvRmT2_T3_mT4_T5_T6_T7_T8_P12ihipStream_tbENKUlT_T0_E_clISt17integral_constantIbLb1EES11_EEDaSW_SX_EUlSW_E_NS1_11comp_targetILNS1_3genE4ELNS1_11target_archE910ELNS1_3gpuE8ELNS1_3repE0EEENS1_30default_config_static_selectorELNS0_4arch9wavefront6targetE1EEEvT1_,"axG",@progbits,_ZN7rocprim17ROCPRIM_400000_NS6detail17trampoline_kernelINS0_14default_configENS1_29reduce_by_key_config_selectorIxxN6thrust23THRUST_200600_302600_NS4plusIxEEEEZZNS1_33reduce_by_key_impl_wrapped_configILNS1_25lookback_scan_determinismE0ES3_S9_NS6_6detail15normal_iteratorINS6_10device_ptrIxEEEESG_SG_SG_PmS8_22is_equal_div_10_reduceIxEEE10hipError_tPvRmT2_T3_mT4_T5_T6_T7_T8_P12ihipStream_tbENKUlT_T0_E_clISt17integral_constantIbLb1EES11_EEDaSW_SX_EUlSW_E_NS1_11comp_targetILNS1_3genE4ELNS1_11target_archE910ELNS1_3gpuE8ELNS1_3repE0EEENS1_30default_config_static_selectorELNS0_4arch9wavefront6targetE1EEEvT1_,comdat
	.protected	_ZN7rocprim17ROCPRIM_400000_NS6detail17trampoline_kernelINS0_14default_configENS1_29reduce_by_key_config_selectorIxxN6thrust23THRUST_200600_302600_NS4plusIxEEEEZZNS1_33reduce_by_key_impl_wrapped_configILNS1_25lookback_scan_determinismE0ES3_S9_NS6_6detail15normal_iteratorINS6_10device_ptrIxEEEESG_SG_SG_PmS8_22is_equal_div_10_reduceIxEEE10hipError_tPvRmT2_T3_mT4_T5_T6_T7_T8_P12ihipStream_tbENKUlT_T0_E_clISt17integral_constantIbLb1EES11_EEDaSW_SX_EUlSW_E_NS1_11comp_targetILNS1_3genE4ELNS1_11target_archE910ELNS1_3gpuE8ELNS1_3repE0EEENS1_30default_config_static_selectorELNS0_4arch9wavefront6targetE1EEEvT1_ ; -- Begin function _ZN7rocprim17ROCPRIM_400000_NS6detail17trampoline_kernelINS0_14default_configENS1_29reduce_by_key_config_selectorIxxN6thrust23THRUST_200600_302600_NS4plusIxEEEEZZNS1_33reduce_by_key_impl_wrapped_configILNS1_25lookback_scan_determinismE0ES3_S9_NS6_6detail15normal_iteratorINS6_10device_ptrIxEEEESG_SG_SG_PmS8_22is_equal_div_10_reduceIxEEE10hipError_tPvRmT2_T3_mT4_T5_T6_T7_T8_P12ihipStream_tbENKUlT_T0_E_clISt17integral_constantIbLb1EES11_EEDaSW_SX_EUlSW_E_NS1_11comp_targetILNS1_3genE4ELNS1_11target_archE910ELNS1_3gpuE8ELNS1_3repE0EEENS1_30default_config_static_selectorELNS0_4arch9wavefront6targetE1EEEvT1_
	.globl	_ZN7rocprim17ROCPRIM_400000_NS6detail17trampoline_kernelINS0_14default_configENS1_29reduce_by_key_config_selectorIxxN6thrust23THRUST_200600_302600_NS4plusIxEEEEZZNS1_33reduce_by_key_impl_wrapped_configILNS1_25lookback_scan_determinismE0ES3_S9_NS6_6detail15normal_iteratorINS6_10device_ptrIxEEEESG_SG_SG_PmS8_22is_equal_div_10_reduceIxEEE10hipError_tPvRmT2_T3_mT4_T5_T6_T7_T8_P12ihipStream_tbENKUlT_T0_E_clISt17integral_constantIbLb1EES11_EEDaSW_SX_EUlSW_E_NS1_11comp_targetILNS1_3genE4ELNS1_11target_archE910ELNS1_3gpuE8ELNS1_3repE0EEENS1_30default_config_static_selectorELNS0_4arch9wavefront6targetE1EEEvT1_
	.p2align	8
	.type	_ZN7rocprim17ROCPRIM_400000_NS6detail17trampoline_kernelINS0_14default_configENS1_29reduce_by_key_config_selectorIxxN6thrust23THRUST_200600_302600_NS4plusIxEEEEZZNS1_33reduce_by_key_impl_wrapped_configILNS1_25lookback_scan_determinismE0ES3_S9_NS6_6detail15normal_iteratorINS6_10device_ptrIxEEEESG_SG_SG_PmS8_22is_equal_div_10_reduceIxEEE10hipError_tPvRmT2_T3_mT4_T5_T6_T7_T8_P12ihipStream_tbENKUlT_T0_E_clISt17integral_constantIbLb1EES11_EEDaSW_SX_EUlSW_E_NS1_11comp_targetILNS1_3genE4ELNS1_11target_archE910ELNS1_3gpuE8ELNS1_3repE0EEENS1_30default_config_static_selectorELNS0_4arch9wavefront6targetE1EEEvT1_,@function
_ZN7rocprim17ROCPRIM_400000_NS6detail17trampoline_kernelINS0_14default_configENS1_29reduce_by_key_config_selectorIxxN6thrust23THRUST_200600_302600_NS4plusIxEEEEZZNS1_33reduce_by_key_impl_wrapped_configILNS1_25lookback_scan_determinismE0ES3_S9_NS6_6detail15normal_iteratorINS6_10device_ptrIxEEEESG_SG_SG_PmS8_22is_equal_div_10_reduceIxEEE10hipError_tPvRmT2_T3_mT4_T5_T6_T7_T8_P12ihipStream_tbENKUlT_T0_E_clISt17integral_constantIbLb1EES11_EEDaSW_SX_EUlSW_E_NS1_11comp_targetILNS1_3genE4ELNS1_11target_archE910ELNS1_3gpuE8ELNS1_3repE0EEENS1_30default_config_static_selectorELNS0_4arch9wavefront6targetE1EEEvT1_: ; @_ZN7rocprim17ROCPRIM_400000_NS6detail17trampoline_kernelINS0_14default_configENS1_29reduce_by_key_config_selectorIxxN6thrust23THRUST_200600_302600_NS4plusIxEEEEZZNS1_33reduce_by_key_impl_wrapped_configILNS1_25lookback_scan_determinismE0ES3_S9_NS6_6detail15normal_iteratorINS6_10device_ptrIxEEEESG_SG_SG_PmS8_22is_equal_div_10_reduceIxEEE10hipError_tPvRmT2_T3_mT4_T5_T6_T7_T8_P12ihipStream_tbENKUlT_T0_E_clISt17integral_constantIbLb1EES11_EEDaSW_SX_EUlSW_E_NS1_11comp_targetILNS1_3genE4ELNS1_11target_archE910ELNS1_3gpuE8ELNS1_3repE0EEENS1_30default_config_static_selectorELNS0_4arch9wavefront6targetE1EEEvT1_
; %bb.0:
	s_load_dwordx8 s[52:59], s[4:5], 0x0
	s_load_dwordx4 s[60:63], s[4:5], 0x20
	s_load_dwordx2 s[64:65], s[4:5], 0x78
	v_cmp_ne_u32_e64 s[2:3], 0, v0
	v_cmp_eq_u32_e64 s[0:1], 0, v0
	s_and_saveexec_b64 s[6:7], s[0:1]
	s_cbranch_execz .LBB519_4
; %bb.1:
	s_mov_b64 s[10:11], exec
	v_mbcnt_lo_u32_b32 v1, s10, 0
	v_mbcnt_hi_u32_b32 v1, s11, v1
	v_cmp_eq_u32_e32 vcc, 0, v1
                                        ; implicit-def: $vgpr2
	s_and_saveexec_b64 s[8:9], vcc
	s_cbranch_execz .LBB519_3
; %bb.2:
	s_load_dwordx2 s[12:13], s[4:5], 0x80
	s_bcnt1_i32_b64 s10, s[10:11]
	v_mov_b32_e32 v2, 0
	v_mov_b32_e32 v3, s10
	s_waitcnt lgkmcnt(0)
	global_atomic_add v2, v2, v3, s[12:13] glc
.LBB519_3:
	s_or_b64 exec, exec, s[8:9]
	s_waitcnt vmcnt(0)
	v_readfirstlane_b32 s8, v2
	v_add_u32_e32 v1, s8, v1
	v_mov_b32_e32 v2, 0
	ds_write_b32 v2, v1
.LBB519_4:
	s_or_b64 exec, exec, s[6:7]
	s_load_dwordx16 s[36:51], s[4:5], 0x38
	v_mov_b32_e32 v3, 0
	s_waitcnt lgkmcnt(0)
	s_lshl_b64 s[4:5], s[54:55], 3
	s_barrier
	ds_read_b32 v1, v3
	s_add_u32 s6, s52, s4
	s_addc_u32 s7, s53, s5
	s_add_u32 s4, s56, s4
	s_mul_i32 s8, s44, s43
	s_mul_hi_u32 s9, s44, s42
	s_addc_u32 s5, s57, s5
	s_add_i32 s8, s9, s8
	s_mul_i32 s9, s45, s42
	s_add_i32 s8, s8, s9
	s_mul_i32 s9, s44, s42
	s_waitcnt lgkmcnt(0)
	v_readfirstlane_b32 s56, v1
	s_movk_i32 s10, 0xf00
	v_mul_lo_u32 v2, v1, s10
	s_add_u32 s52, s9, s56
	v_lshlrev_b64 v[2:3], 3, v[2:3]
	s_addc_u32 s53, s8, 0
	v_mov_b32_e32 v1, s7
	v_add_co_u32_e32 v74, vcc, s6, v2
	s_add_u32 s6, s46, -1
	v_addc_co_u32_e32 v76, vcc, v1, v3, vcc
	s_addc_u32 s7, s47, -1
	v_mov_b32_e32 v4, s5
	v_add_co_u32_e32 v1, vcc, s4, v2
	s_cmp_eq_u64 s[52:53], s[6:7]
	v_addc_co_u32_e32 v62, vcc, v4, v3, vcc
	s_cselect_b64 s[44:45], -1, 0
	s_cmp_lg_u64 s[52:53], s[6:7]
	s_mov_b64 s[4:5], -1
	s_cselect_b64 s[54:55], -1, 0
	s_mul_i32 s33, s6, 0xfffff100
	s_and_b64 vcc, exec, s[44:45]
	s_barrier
	s_cbranch_vccnz .LBB519_6
; %bb.5:
	v_lshlrev_b32_e32 v65, 3, v0
	v_add_co_u32_e32 v2, vcc, v74, v65
	v_addc_co_u32_e32 v3, vcc, 0, v76, vcc
	v_add_co_u32_e32 v4, vcc, 0x1000, v2
	v_addc_co_u32_e32 v5, vcc, 0, v3, vcc
	flat_load_dwordx2 v[6:7], v[2:3]
	flat_load_dwordx2 v[8:9], v[2:3] offset:2048
	flat_load_dwordx2 v[10:11], v[4:5]
	flat_load_dwordx2 v[12:13], v[4:5] offset:2048
	v_add_co_u32_e32 v4, vcc, 0x2000, v2
	v_addc_co_u32_e32 v5, vcc, 0, v3, vcc
	v_add_co_u32_e32 v14, vcc, 0x3000, v2
	v_addc_co_u32_e32 v15, vcc, 0, v3, vcc
	flat_load_dwordx2 v[16:17], v[4:5]
	flat_load_dwordx2 v[18:19], v[4:5] offset:2048
	flat_load_dwordx2 v[20:21], v[14:15]
	flat_load_dwordx2 v[22:23], v[14:15] offset:2048
	;; [unrolled: 8-line block ×3, first 2 shown]
	v_add_co_u32_e32 v4, vcc, 0x6000, v2
	v_addc_co_u32_e32 v5, vcc, 0, v3, vcc
	v_add_co_u32_e32 v2, vcc, 0x7000, v2
	v_addc_co_u32_e32 v3, vcc, 0, v3, vcc
	flat_load_dwordx2 v[14:15], v[4:5]
	flat_load_dwordx2 v[32:33], v[4:5] offset:2048
	flat_load_dwordx2 v[34:35], v[2:3]
	v_add_co_u32_e32 v36, vcc, v1, v65
	s_movk_i32 s4, 0x1000
	v_addc_co_u32_e32 v37, vcc, 0, v62, vcc
	s_movk_i32 s11, 0x70
	s_movk_i32 s5, 0x2000
	v_mad_u32_u24 v63, v0, s11, v65
	s_movk_i32 s6, 0x3000
	s_movk_i32 s7, 0x4000
	s_movk_i32 s8, 0x5000
	s_movk_i32 s9, 0x6000
	s_movk_i32 s10, 0x7000
	v_mul_u32_u24_e32 v64, 15, v0
	s_waitcnt vmcnt(0) lgkmcnt(0)
	ds_write2st64_b64 v65, v[6:7], v[8:9] offset1:4
	ds_write2st64_b64 v65, v[10:11], v[12:13] offset0:8 offset1:12
	ds_write2st64_b64 v65, v[16:17], v[18:19] offset0:16 offset1:20
	;; [unrolled: 1-line block ×6, first 2 shown]
	ds_write_b64 v65, v[34:35] offset:28672
	v_add_co_u32_e32 v30, vcc, s4, v36
	v_addc_co_u32_e32 v31, vcc, 0, v37, vcc
	s_waitcnt lgkmcnt(0)
	s_barrier
	ds_read2_b64 v[26:29], v63 offset1:1
	ds_read2_b64 v[22:25], v63 offset0:2 offset1:3
	ds_read2_b64 v[18:21], v63 offset0:4 offset1:5
	;; [unrolled: 1-line block ×6, first 2 shown]
	ds_read_b64 v[58:59], v63 offset:112
	s_waitcnt lgkmcnt(0)
	s_barrier
	flat_load_dwordx2 v[32:33], v[36:37]
	flat_load_dwordx2 v[34:35], v[36:37] offset:2048
	flat_load_dwordx2 v[38:39], v[30:31]
	flat_load_dwordx2 v[40:41], v[30:31] offset:2048
	v_add_co_u32_e32 v30, vcc, s5, v36
	v_addc_co_u32_e32 v31, vcc, 0, v37, vcc
	v_add_co_u32_e32 v42, vcc, s6, v36
	v_addc_co_u32_e32 v43, vcc, 0, v37, vcc
	flat_load_dwordx2 v[44:45], v[30:31]
	flat_load_dwordx2 v[46:47], v[30:31] offset:2048
	flat_load_dwordx2 v[48:49], v[42:43]
	flat_load_dwordx2 v[50:51], v[42:43] offset:2048
	v_add_co_u32_e32 v30, vcc, s7, v36
	v_addc_co_u32_e32 v31, vcc, 0, v37, vcc
	v_add_co_u32_e32 v42, vcc, s8, v36
	v_addc_co_u32_e32 v43, vcc, 0, v37, vcc
	;; [unrolled: 8-line block ×3, first 2 shown]
	flat_load_dwordx2 v[42:43], v[30:31]
	flat_load_dwordx2 v[66:67], v[30:31] offset:2048
	flat_load_dwordx2 v[68:69], v[36:37]
	s_waitcnt vmcnt(0) lgkmcnt(0)
	ds_write2st64_b64 v65, v[32:33], v[34:35] offset1:4
	ds_write2st64_b64 v65, v[38:39], v[40:41] offset0:8 offset1:12
	ds_write2st64_b64 v65, v[44:45], v[46:47] offset0:16 offset1:20
	;; [unrolled: 1-line block ×6, first 2 shown]
	ds_write_b64 v65, v[68:69] offset:28672
	s_waitcnt lgkmcnt(0)
	s_barrier
	s_add_i32 s33, s33, s48
	s_cbranch_execz .LBB519_7
	s_branch .LBB519_54
.LBB519_6:
                                        ; implicit-def: $vgpr2_vgpr3_vgpr4_vgpr5
                                        ; implicit-def: $vgpr6_vgpr7_vgpr8_vgpr9
                                        ; implicit-def: $vgpr10_vgpr11_vgpr12_vgpr13
                                        ; implicit-def: $vgpr14_vgpr15_vgpr16_vgpr17
                                        ; implicit-def: $vgpr18_vgpr19_vgpr20_vgpr21
                                        ; implicit-def: $vgpr22_vgpr23_vgpr24_vgpr25
                                        ; implicit-def: $vgpr26_vgpr27_vgpr28_vgpr29
                                        ; implicit-def: $vgpr64
                                        ; implicit-def: $vgpr63
                                        ; implicit-def: $vgpr58_vgpr59
	s_andn2_b64 vcc, exec, s[4:5]
	s_add_i32 s33, s33, s48
	s_cbranch_vccnz .LBB519_54
.LBB519_7:
	v_cmp_gt_u32_e32 vcc, s33, v0
                                        ; implicit-def: $vgpr2_vgpr3
	s_and_saveexec_b64 s[6:7], vcc
	s_cbranch_execz .LBB519_9
; %bb.8:
	v_lshlrev_b32_e32 v2, 3, v0
	v_add_co_u32_e64 v2, s[4:5], v74, v2
	v_addc_co_u32_e64 v3, s[4:5], 0, v76, s[4:5]
	flat_load_dwordx2 v[2:3], v[2:3]
.LBB519_9:
	s_or_b64 exec, exec, s[6:7]
	v_or_b32_e32 v4, 0x100, v0
	v_cmp_gt_u32_e64 s[4:5], s33, v4
                                        ; implicit-def: $vgpr4_vgpr5
	s_and_saveexec_b64 s[8:9], s[4:5]
	s_cbranch_execz .LBB519_11
; %bb.10:
	v_lshlrev_b32_e32 v4, 3, v0
	v_add_co_u32_e64 v4, s[6:7], v74, v4
	v_addc_co_u32_e64 v5, s[6:7], 0, v76, s[6:7]
	flat_load_dwordx2 v[4:5], v[4:5] offset:2048
.LBB519_11:
	s_or_b64 exec, exec, s[8:9]
	v_or_b32_e32 v36, 0x200, v0
	v_cmp_gt_u32_e64 s[6:7], s33, v36
                                        ; implicit-def: $vgpr6_vgpr7
	s_and_saveexec_b64 s[10:11], s[6:7]
	s_cbranch_execz .LBB519_13
; %bb.12:
	v_lshlrev_b32_e32 v6, 3, v36
	v_add_co_u32_e64 v6, s[8:9], v74, v6
	v_addc_co_u32_e64 v7, s[8:9], 0, v76, s[8:9]
	flat_load_dwordx2 v[6:7], v[6:7]
.LBB519_13:
	s_or_b64 exec, exec, s[10:11]
	v_or_b32_e32 v38, 0x300, v0
	v_cmp_gt_u32_e64 s[8:9], s33, v38
                                        ; implicit-def: $vgpr8_vgpr9
	s_and_saveexec_b64 s[12:13], s[8:9]
	s_cbranch_execz .LBB519_15
; %bb.14:
	v_lshlrev_b32_e32 v8, 3, v38
	v_add_co_u32_e64 v8, s[10:11], v74, v8
	v_addc_co_u32_e64 v9, s[10:11], 0, v76, s[10:11]
	flat_load_dwordx2 v[8:9], v[8:9]
.LBB519_15:
	s_or_b64 exec, exec, s[12:13]
	v_or_b32_e32 v40, 0x400, v0
	v_cmp_gt_u32_e64 s[10:11], s33, v40
                                        ; implicit-def: $vgpr10_vgpr11
	s_and_saveexec_b64 s[14:15], s[10:11]
	s_cbranch_execz .LBB519_17
; %bb.16:
	v_lshlrev_b32_e32 v10, 3, v40
	v_add_co_u32_e64 v10, s[12:13], v74, v10
	v_addc_co_u32_e64 v11, s[12:13], 0, v76, s[12:13]
	flat_load_dwordx2 v[10:11], v[10:11]
.LBB519_17:
	s_or_b64 exec, exec, s[14:15]
	v_or_b32_e32 v42, 0x500, v0
	v_cmp_gt_u32_e64 s[12:13], s33, v42
                                        ; implicit-def: $vgpr12_vgpr13
	s_and_saveexec_b64 s[16:17], s[12:13]
	s_cbranch_execz .LBB519_19
; %bb.18:
	v_lshlrev_b32_e32 v12, 3, v42
	v_add_co_u32_e64 v12, s[14:15], v74, v12
	v_addc_co_u32_e64 v13, s[14:15], 0, v76, s[14:15]
	flat_load_dwordx2 v[12:13], v[12:13]
.LBB519_19:
	s_or_b64 exec, exec, s[16:17]
	v_or_b32_e32 v44, 0x600, v0
	v_cmp_gt_u32_e64 s[14:15], s33, v44
                                        ; implicit-def: $vgpr14_vgpr15
	s_and_saveexec_b64 s[18:19], s[14:15]
	s_cbranch_execz .LBB519_21
; %bb.20:
	v_lshlrev_b32_e32 v14, 3, v44
	v_add_co_u32_e64 v14, s[16:17], v74, v14
	v_addc_co_u32_e64 v15, s[16:17], 0, v76, s[16:17]
	flat_load_dwordx2 v[14:15], v[14:15]
.LBB519_21:
	s_or_b64 exec, exec, s[18:19]
	v_or_b32_e32 v46, 0x700, v0
	v_cmp_gt_u32_e64 s[16:17], s33, v46
                                        ; implicit-def: $vgpr16_vgpr17
	s_and_saveexec_b64 s[20:21], s[16:17]
	s_cbranch_execz .LBB519_23
; %bb.22:
	v_lshlrev_b32_e32 v16, 3, v46
	v_add_co_u32_e64 v16, s[18:19], v74, v16
	v_addc_co_u32_e64 v17, s[18:19], 0, v76, s[18:19]
	flat_load_dwordx2 v[16:17], v[16:17]
.LBB519_23:
	s_or_b64 exec, exec, s[20:21]
	v_or_b32_e32 v48, 0x800, v0
	v_cmp_gt_u32_e64 s[18:19], s33, v48
                                        ; implicit-def: $vgpr18_vgpr19
	s_and_saveexec_b64 s[22:23], s[18:19]
	s_cbranch_execz .LBB519_25
; %bb.24:
	v_lshlrev_b32_e32 v18, 3, v48
	v_add_co_u32_e64 v18, s[20:21], v74, v18
	v_addc_co_u32_e64 v19, s[20:21], 0, v76, s[20:21]
	flat_load_dwordx2 v[18:19], v[18:19]
.LBB519_25:
	s_or_b64 exec, exec, s[22:23]
	v_or_b32_e32 v50, 0x900, v0
	v_cmp_gt_u32_e64 s[20:21], s33, v50
                                        ; implicit-def: $vgpr20_vgpr21
	s_and_saveexec_b64 s[24:25], s[20:21]
	s_cbranch_execz .LBB519_27
; %bb.26:
	v_lshlrev_b32_e32 v20, 3, v50
	v_add_co_u32_e64 v20, s[22:23], v74, v20
	v_addc_co_u32_e64 v21, s[22:23], 0, v76, s[22:23]
	flat_load_dwordx2 v[20:21], v[20:21]
.LBB519_27:
	s_or_b64 exec, exec, s[24:25]
	v_or_b32_e32 v52, 0xa00, v0
	v_cmp_gt_u32_e64 s[22:23], s33, v52
                                        ; implicit-def: $vgpr22_vgpr23
	s_and_saveexec_b64 s[26:27], s[22:23]
	s_cbranch_execz .LBB519_29
; %bb.28:
	v_lshlrev_b32_e32 v22, 3, v52
	v_add_co_u32_e64 v22, s[24:25], v74, v22
	v_addc_co_u32_e64 v23, s[24:25], 0, v76, s[24:25]
	flat_load_dwordx2 v[22:23], v[22:23]
.LBB519_29:
	s_or_b64 exec, exec, s[26:27]
	v_or_b32_e32 v54, 0xb00, v0
	v_cmp_gt_u32_e64 s[24:25], s33, v54
                                        ; implicit-def: $vgpr24_vgpr25
	s_and_saveexec_b64 s[28:29], s[24:25]
	s_cbranch_execz .LBB519_31
; %bb.30:
	v_lshlrev_b32_e32 v24, 3, v54
	v_add_co_u32_e64 v24, s[26:27], v74, v24
	v_addc_co_u32_e64 v25, s[26:27], 0, v76, s[26:27]
	flat_load_dwordx2 v[24:25], v[24:25]
.LBB519_31:
	s_or_b64 exec, exec, s[28:29]
	v_or_b32_e32 v56, 0xc00, v0
	v_cmp_gt_u32_e64 s[26:27], s33, v56
                                        ; implicit-def: $vgpr26_vgpr27
	s_and_saveexec_b64 s[30:31], s[26:27]
	s_cbranch_execz .LBB519_33
; %bb.32:
	v_lshlrev_b32_e32 v26, 3, v56
	v_add_co_u32_e64 v26, s[28:29], v74, v26
	v_addc_co_u32_e64 v27, s[28:29], 0, v76, s[28:29]
	flat_load_dwordx2 v[26:27], v[26:27]
.LBB519_33:
	s_or_b64 exec, exec, s[30:31]
	v_or_b32_e32 v60, 0xd00, v0
	v_cmp_gt_u32_e64 s[28:29], s33, v60
                                        ; implicit-def: $vgpr28_vgpr29
	s_and_saveexec_b64 s[34:35], s[28:29]
	s_cbranch_execz .LBB519_35
; %bb.34:
	v_lshlrev_b32_e32 v28, 3, v60
	v_add_co_u32_e64 v28, s[30:31], v74, v28
	v_addc_co_u32_e64 v29, s[30:31], 0, v76, s[30:31]
	flat_load_dwordx2 v[28:29], v[28:29]
.LBB519_35:
	s_or_b64 exec, exec, s[34:35]
	v_or_b32_e32 v64, 0xe00, v0
	v_cmp_gt_u32_e64 s[30:31], s33, v64
                                        ; implicit-def: $vgpr30_vgpr31
	s_and_saveexec_b64 s[46:47], s[30:31]
	s_cbranch_execz .LBB519_37
; %bb.36:
	v_lshlrev_b32_e32 v30, 3, v64
	v_add_co_u32_e64 v30, s[34:35], v74, v30
	v_addc_co_u32_e64 v31, s[34:35], 0, v76, s[34:35]
	flat_load_dwordx2 v[30:31], v[30:31]
.LBB519_37:
	s_or_b64 exec, exec, s[46:47]
	v_lshlrev_b32_e32 v65, 3, v0
	s_movk_i32 s34, 0x70
	v_mad_u32_u24 v63, v0, s34, v65
	s_waitcnt vmcnt(0) lgkmcnt(0)
	ds_write2st64_b64 v65, v[2:3], v[4:5] offset1:4
	ds_write2st64_b64 v65, v[6:7], v[8:9] offset0:8 offset1:12
	ds_write2st64_b64 v65, v[10:11], v[12:13] offset0:16 offset1:20
	;; [unrolled: 1-line block ×6, first 2 shown]
	ds_write_b64 v65, v[30:31] offset:28672
	s_waitcnt lgkmcnt(0)
	s_barrier
	ds_read2_b64 v[26:29], v63 offset1:1
	ds_read2_b64 v[22:25], v63 offset0:2 offset1:3
	ds_read2_b64 v[18:21], v63 offset0:4 offset1:5
	;; [unrolled: 1-line block ×6, first 2 shown]
	ds_read_b64 v[58:59], v63 offset:112
	s_waitcnt lgkmcnt(0)
	s_barrier
	s_waitcnt lgkmcnt(0)
                                        ; implicit-def: $vgpr30_vgpr31
	s_and_saveexec_b64 s[34:35], vcc
	s_cbranch_execnz .LBB519_61
; %bb.38:
	s_or_b64 exec, exec, s[34:35]
                                        ; implicit-def: $vgpr32_vgpr33
	s_and_saveexec_b64 s[34:35], s[4:5]
	s_cbranch_execnz .LBB519_62
.LBB519_39:
	s_or_b64 exec, exec, s[34:35]
                                        ; implicit-def: $vgpr34_vgpr35
	s_and_saveexec_b64 s[4:5], s[6:7]
	s_cbranch_execnz .LBB519_63
.LBB519_40:
	s_or_b64 exec, exec, s[4:5]
                                        ; implicit-def: $vgpr36_vgpr37
	s_and_saveexec_b64 s[4:5], s[8:9]
	s_cbranch_execnz .LBB519_64
.LBB519_41:
	s_or_b64 exec, exec, s[4:5]
                                        ; implicit-def: $vgpr38_vgpr39
	s_and_saveexec_b64 s[4:5], s[10:11]
	s_cbranch_execnz .LBB519_65
.LBB519_42:
	s_or_b64 exec, exec, s[4:5]
                                        ; implicit-def: $vgpr40_vgpr41
	s_and_saveexec_b64 s[4:5], s[12:13]
	s_cbranch_execnz .LBB519_66
.LBB519_43:
	s_or_b64 exec, exec, s[4:5]
                                        ; implicit-def: $vgpr42_vgpr43
	s_and_saveexec_b64 s[4:5], s[14:15]
	s_cbranch_execnz .LBB519_67
.LBB519_44:
	s_or_b64 exec, exec, s[4:5]
                                        ; implicit-def: $vgpr44_vgpr45
	s_and_saveexec_b64 s[4:5], s[16:17]
	s_cbranch_execnz .LBB519_68
.LBB519_45:
	s_or_b64 exec, exec, s[4:5]
                                        ; implicit-def: $vgpr46_vgpr47
	s_and_saveexec_b64 s[4:5], s[18:19]
	s_cbranch_execnz .LBB519_69
.LBB519_46:
	s_or_b64 exec, exec, s[4:5]
                                        ; implicit-def: $vgpr48_vgpr49
	s_and_saveexec_b64 s[4:5], s[20:21]
	s_cbranch_execnz .LBB519_70
.LBB519_47:
	s_or_b64 exec, exec, s[4:5]
                                        ; implicit-def: $vgpr50_vgpr51
	s_and_saveexec_b64 s[4:5], s[22:23]
	s_cbranch_execnz .LBB519_71
.LBB519_48:
	s_or_b64 exec, exec, s[4:5]
                                        ; implicit-def: $vgpr52_vgpr53
	s_and_saveexec_b64 s[4:5], s[24:25]
	s_cbranch_execnz .LBB519_72
.LBB519_49:
	s_or_b64 exec, exec, s[4:5]
                                        ; implicit-def: $vgpr54_vgpr55
	s_and_saveexec_b64 s[4:5], s[26:27]
	s_cbranch_execnz .LBB519_73
.LBB519_50:
	s_or_b64 exec, exec, s[4:5]
                                        ; implicit-def: $vgpr56_vgpr57
	s_and_saveexec_b64 s[4:5], s[28:29]
	s_cbranch_execnz .LBB519_74
.LBB519_51:
	s_or_b64 exec, exec, s[4:5]
                                        ; implicit-def: $vgpr60_vgpr61
	s_and_saveexec_b64 s[4:5], s[30:31]
	s_cbranch_execz .LBB519_53
.LBB519_52:
	v_lshlrev_b32_e32 v60, 3, v64
	v_add_co_u32_e32 v60, vcc, v1, v60
	v_addc_co_u32_e32 v61, vcc, 0, v62, vcc
	flat_load_dwordx2 v[60:61], v[60:61]
.LBB519_53:
	s_or_b64 exec, exec, s[4:5]
	v_mul_u32_u24_e32 v64, 15, v0
	s_waitcnt vmcnt(0) lgkmcnt(0)
	ds_write2st64_b64 v65, v[30:31], v[32:33] offset1:4
	ds_write2st64_b64 v65, v[34:35], v[36:37] offset0:8 offset1:12
	ds_write2st64_b64 v65, v[38:39], v[40:41] offset0:16 offset1:20
	;; [unrolled: 1-line block ×6, first 2 shown]
	ds_write_b64 v65, v[60:61] offset:28672
	s_waitcnt lgkmcnt(0)
	s_barrier
.LBB519_54:
	v_lshlrev_b32_e32 v1, 3, v64
	ds_read2_b64 v[50:53], v63 offset1:2
	ds_read2_b64 v[42:45], v63 offset0:4 offset1:6
	ds_read2_b64 v[54:57], v1 offset0:1 offset1:3
	ds_read2_b64 v[46:49], v1 offset0:5 offset1:7
	ds_read2_b64 v[38:41], v63 offset0:8 offset1:10
	ds_read2_b64 v[34:37], v1 offset0:9 offset1:11
	ds_read2_b64 v[30:33], v63 offset0:12 offset1:14
	ds_read_b64 v[60:61], v1 offset:104
	s_cmp_eq_u64 s[52:53], 0
	s_cselect_b64 s[46:47], -1, 0
	s_cmp_lg_u64 s[52:53], 0
	s_mov_b64 s[4:5], 0
	s_cselect_b64 s[30:31], -1, 0
	s_and_b64 vcc, exec, s[54:55]
	s_waitcnt lgkmcnt(0)
	s_barrier
	s_cbranch_vccz .LBB519_60
; %bb.55:
	s_and_b64 vcc, exec, s[30:31]
	s_cbranch_vccz .LBB519_75
; %bb.56:
	v_add_co_u32_e32 v62, vcc, -8, v74
	v_addc_co_u32_e32 v63, vcc, -1, v76, vcc
	flat_load_dwordx2 v[62:63], v[62:63]
	s_mov_b32 s54, 0x66666667
	s_waitcnt vmcnt(0) lgkmcnt(0)
	v_mul_hi_i32 v63, v4, s54
	v_lshrrev_b32_e32 v64, 31, v63
	v_ashrrev_i32_e32 v63, 2, v63
	v_add_u32_e32 v63, v63, v64
	v_mul_hi_i32 v64, v58, s54
	v_lshrrev_b32_e32 v65, 31, v64
	v_ashrrev_i32_e32 v64, 2, v64
	v_add_u32_e32 v64, v64, v65
	v_cmp_ne_u32_e32 vcc, v63, v64
	v_mul_hi_i32 v64, v2, s54
	v_lshrrev_b32_e32 v65, 31, v64
	v_ashrrev_i32_e32 v64, 2, v64
	v_add_u32_e32 v64, v64, v65
	v_cmp_ne_u32_e64 s[4:5], v64, v63
	v_mul_hi_i32 v63, v8, s54
	v_lshrrev_b32_e32 v65, 31, v63
	v_ashrrev_i32_e32 v63, 2, v63
	v_add_u32_e32 v63, v63, v65
	v_cmp_ne_u32_e64 s[6:7], v63, v64
	;; [unrolled: 5-line block ×12, first 2 shown]
	v_mul_hi_i32 v64, v26, s54
	v_lshrrev_b32_e32 v65, 31, v64
	v_ashrrev_i32_e32 v64, 2, v64
	v_add_u32_e32 v77, v64, v65
	v_lshlrev_b32_e32 v1, 3, v0
	v_cmp_ne_u32_e64 s[28:29], v77, v63
	ds_write_b64 v1, v[58:59]
	s_waitcnt lgkmcnt(0)
	s_barrier
	s_and_saveexec_b64 s[34:35], s[2:3]
	s_cbranch_execz .LBB519_58
; %bb.57:
	v_add_u32_e32 v1, -8, v1
	ds_read_b64 v[62:63], v1
.LBB519_58:
	s_or_b64 exec, exec, s[34:35]
	s_waitcnt lgkmcnt(0)
	v_mul_hi_i32 v62, v62, s54
	v_lshrrev_b32_e32 v78, 31, v62
	v_ashrrev_i32_e32 v62, 2, v62
	v_add_u32_e32 v62, v62, v78
	v_cndmask_b32_e64 v1, 0, 1, vcc
	v_cndmask_b32_e64 v63, 0, 1, s[4:5]
	v_cndmask_b32_e64 v110, 0, 1, s[6:7]
	;; [unrolled: 1-line block ×13, first 2 shown]
	v_cmp_ne_u32_e64 s[8:9], v62, v77
	s_mov_b64 s[4:5], -1
.LBB519_59:
                                        ; implicit-def: $sgpr10
	s_branch .LBB519_114
.LBB519_60:
                                        ; implicit-def: $sgpr8_sgpr9
                                        ; implicit-def: $vgpr1
                                        ; implicit-def: $vgpr63
                                        ; implicit-def: $vgpr110
                                        ; implicit-def: $vgpr65
                                        ; implicit-def: $vgpr64
                                        ; implicit-def: $vgpr67
                                        ; implicit-def: $vgpr66
                                        ; implicit-def: $vgpr69
                                        ; implicit-def: $vgpr68
                                        ; implicit-def: $vgpr71
                                        ; implicit-def: $vgpr70
                                        ; implicit-def: $vgpr73
                                        ; implicit-def: $vgpr72
                                        ; implicit-def: $vgpr75
                                        ; implicit-def: $sgpr10
	s_cbranch_execnz .LBB519_79
	s_branch .LBB519_114
.LBB519_61:
	v_add_co_u32_e32 v30, vcc, v1, v65
	v_addc_co_u32_e32 v31, vcc, 0, v62, vcc
	flat_load_dwordx2 v[30:31], v[30:31]
	s_or_b64 exec, exec, s[34:35]
                                        ; implicit-def: $vgpr32_vgpr33
	s_and_saveexec_b64 s[34:35], s[4:5]
	s_cbranch_execz .LBB519_39
.LBB519_62:
	v_add_co_u32_e32 v32, vcc, v1, v65
	v_addc_co_u32_e32 v33, vcc, 0, v62, vcc
	flat_load_dwordx2 v[32:33], v[32:33] offset:2048
	s_or_b64 exec, exec, s[34:35]
                                        ; implicit-def: $vgpr34_vgpr35
	s_and_saveexec_b64 s[4:5], s[6:7]
	s_cbranch_execz .LBB519_40
.LBB519_63:
	v_lshlrev_b32_e32 v34, 3, v36
	v_add_co_u32_e32 v34, vcc, v1, v34
	v_addc_co_u32_e32 v35, vcc, 0, v62, vcc
	flat_load_dwordx2 v[34:35], v[34:35]
	s_or_b64 exec, exec, s[4:5]
                                        ; implicit-def: $vgpr36_vgpr37
	s_and_saveexec_b64 s[4:5], s[8:9]
	s_cbranch_execz .LBB519_41
.LBB519_64:
	v_lshlrev_b32_e32 v36, 3, v38
	v_add_co_u32_e32 v36, vcc, v1, v36
	v_addc_co_u32_e32 v37, vcc, 0, v62, vcc
	flat_load_dwordx2 v[36:37], v[36:37]
	s_or_b64 exec, exec, s[4:5]
                                        ; implicit-def: $vgpr38_vgpr39
	s_and_saveexec_b64 s[4:5], s[10:11]
	s_cbranch_execz .LBB519_42
.LBB519_65:
	v_lshlrev_b32_e32 v38, 3, v40
	v_add_co_u32_e32 v38, vcc, v1, v38
	v_addc_co_u32_e32 v39, vcc, 0, v62, vcc
	flat_load_dwordx2 v[38:39], v[38:39]
	s_or_b64 exec, exec, s[4:5]
                                        ; implicit-def: $vgpr40_vgpr41
	s_and_saveexec_b64 s[4:5], s[12:13]
	s_cbranch_execz .LBB519_43
.LBB519_66:
	v_lshlrev_b32_e32 v40, 3, v42
	v_add_co_u32_e32 v40, vcc, v1, v40
	v_addc_co_u32_e32 v41, vcc, 0, v62, vcc
	flat_load_dwordx2 v[40:41], v[40:41]
	s_or_b64 exec, exec, s[4:5]
                                        ; implicit-def: $vgpr42_vgpr43
	s_and_saveexec_b64 s[4:5], s[14:15]
	s_cbranch_execz .LBB519_44
.LBB519_67:
	v_lshlrev_b32_e32 v42, 3, v44
	v_add_co_u32_e32 v42, vcc, v1, v42
	v_addc_co_u32_e32 v43, vcc, 0, v62, vcc
	flat_load_dwordx2 v[42:43], v[42:43]
	s_or_b64 exec, exec, s[4:5]
                                        ; implicit-def: $vgpr44_vgpr45
	s_and_saveexec_b64 s[4:5], s[16:17]
	s_cbranch_execz .LBB519_45
.LBB519_68:
	v_lshlrev_b32_e32 v44, 3, v46
	v_add_co_u32_e32 v44, vcc, v1, v44
	v_addc_co_u32_e32 v45, vcc, 0, v62, vcc
	flat_load_dwordx2 v[44:45], v[44:45]
	s_or_b64 exec, exec, s[4:5]
                                        ; implicit-def: $vgpr46_vgpr47
	s_and_saveexec_b64 s[4:5], s[18:19]
	s_cbranch_execz .LBB519_46
.LBB519_69:
	v_lshlrev_b32_e32 v46, 3, v48
	v_add_co_u32_e32 v46, vcc, v1, v46
	v_addc_co_u32_e32 v47, vcc, 0, v62, vcc
	flat_load_dwordx2 v[46:47], v[46:47]
	s_or_b64 exec, exec, s[4:5]
                                        ; implicit-def: $vgpr48_vgpr49
	s_and_saveexec_b64 s[4:5], s[20:21]
	s_cbranch_execz .LBB519_47
.LBB519_70:
	v_lshlrev_b32_e32 v48, 3, v50
	v_add_co_u32_e32 v48, vcc, v1, v48
	v_addc_co_u32_e32 v49, vcc, 0, v62, vcc
	flat_load_dwordx2 v[48:49], v[48:49]
	s_or_b64 exec, exec, s[4:5]
                                        ; implicit-def: $vgpr50_vgpr51
	s_and_saveexec_b64 s[4:5], s[22:23]
	s_cbranch_execz .LBB519_48
.LBB519_71:
	v_lshlrev_b32_e32 v50, 3, v52
	v_add_co_u32_e32 v50, vcc, v1, v50
	v_addc_co_u32_e32 v51, vcc, 0, v62, vcc
	flat_load_dwordx2 v[50:51], v[50:51]
	s_or_b64 exec, exec, s[4:5]
                                        ; implicit-def: $vgpr52_vgpr53
	s_and_saveexec_b64 s[4:5], s[24:25]
	s_cbranch_execz .LBB519_49
.LBB519_72:
	v_lshlrev_b32_e32 v52, 3, v54
	v_add_co_u32_e32 v52, vcc, v1, v52
	v_addc_co_u32_e32 v53, vcc, 0, v62, vcc
	flat_load_dwordx2 v[52:53], v[52:53]
	s_or_b64 exec, exec, s[4:5]
                                        ; implicit-def: $vgpr54_vgpr55
	s_and_saveexec_b64 s[4:5], s[26:27]
	s_cbranch_execz .LBB519_50
.LBB519_73:
	v_lshlrev_b32_e32 v54, 3, v56
	v_add_co_u32_e32 v54, vcc, v1, v54
	v_addc_co_u32_e32 v55, vcc, 0, v62, vcc
	flat_load_dwordx2 v[54:55], v[54:55]
	s_or_b64 exec, exec, s[4:5]
                                        ; implicit-def: $vgpr56_vgpr57
	s_and_saveexec_b64 s[4:5], s[28:29]
	s_cbranch_execz .LBB519_51
.LBB519_74:
	v_lshlrev_b32_e32 v56, 3, v60
	v_add_co_u32_e32 v56, vcc, v1, v56
	v_addc_co_u32_e32 v57, vcc, 0, v62, vcc
	flat_load_dwordx2 v[56:57], v[56:57]
	s_or_b64 exec, exec, s[4:5]
                                        ; implicit-def: $vgpr60_vgpr61
	s_and_saveexec_b64 s[4:5], s[30:31]
	s_cbranch_execnz .LBB519_52
	s_branch .LBB519_53
.LBB519_75:
                                        ; implicit-def: $sgpr8_sgpr9
                                        ; implicit-def: $vgpr1
                                        ; implicit-def: $vgpr63
                                        ; implicit-def: $vgpr110
                                        ; implicit-def: $vgpr65
                                        ; implicit-def: $vgpr64
                                        ; implicit-def: $vgpr67
                                        ; implicit-def: $vgpr66
                                        ; implicit-def: $vgpr69
                                        ; implicit-def: $vgpr68
                                        ; implicit-def: $vgpr71
                                        ; implicit-def: $vgpr70
                                        ; implicit-def: $vgpr73
                                        ; implicit-def: $vgpr72
                                        ; implicit-def: $vgpr75
	s_cbranch_execz .LBB519_59
; %bb.76:
	s_mov_b32 s10, 0x66666667
	v_mul_hi_i32 v1, v4, s10
	v_lshrrev_b32_e32 v63, 31, v1
	v_ashrrev_i32_e32 v1, 2, v1
	v_add_u32_e32 v63, v1, v63
	v_mul_hi_i32 v1, v58, s10
	v_lshrrev_b32_e32 v64, 31, v1
	v_ashrrev_i32_e32 v1, 2, v1
	v_add_u32_e32 v1, v1, v64
	;; [unrolled: 4-line block ×3, first 2 shown]
	v_mul_hi_i32 v65, v8, s10
	v_cmp_ne_u32_e32 vcc, v63, v1
	v_lshrrev_b32_e32 v66, 31, v65
	v_ashrrev_i32_e32 v65, 2, v65
	v_cndmask_b32_e64 v1, 0, 1, vcc
	v_cmp_ne_u32_e32 vcc, v64, v63
	v_add_u32_e32 v65, v65, v66
	v_cndmask_b32_e64 v63, 0, 1, vcc
	v_cmp_ne_u32_e32 vcc, v65, v64
	v_mul_hi_i32 v64, v6, s10
	v_lshrrev_b32_e32 v66, 31, v64
	v_ashrrev_i32_e32 v64, 2, v64
	v_add_u32_e32 v64, v64, v66
	v_mul_hi_i32 v66, v12, s10
	v_lshrrev_b32_e32 v67, 31, v66
	v_ashrrev_i32_e32 v66, 2, v66
	v_add_u32_e32 v66, v66, v67
	v_mul_hi_i32 v67, v10, s10
	v_cndmask_b32_e64 v110, 0, 1, vcc
	v_cmp_ne_u32_e32 vcc, v64, v65
	v_lshrrev_b32_e32 v68, 31, v67
	v_ashrrev_i32_e32 v67, 2, v67
	v_cndmask_b32_e64 v65, 0, 1, vcc
	v_cmp_ne_u32_e32 vcc, v66, v64
	v_add_u32_e32 v68, v67, v68
	v_cndmask_b32_e64 v64, 0, 1, vcc
	v_cmp_ne_u32_e32 vcc, v68, v66
	v_mul_hi_i32 v66, v16, s10
	v_lshrrev_b32_e32 v69, 31, v66
	v_ashrrev_i32_e32 v66, 2, v66
	v_add_u32_e32 v69, v66, v69
	v_cndmask_b32_e64 v67, 0, 1, vcc
	v_cmp_ne_u32_e32 vcc, v69, v68
	v_mul_hi_i32 v68, v14, s10
	v_lshrrev_b32_e32 v70, 31, v68
	v_ashrrev_i32_e32 v68, 2, v68
	v_add_u32_e32 v68, v68, v70
	v_mul_hi_i32 v70, v20, s10
	v_lshrrev_b32_e32 v71, 31, v70
	v_ashrrev_i32_e32 v70, 2, v70
	v_add_u32_e32 v70, v70, v71
	v_mul_hi_i32 v71, v18, s10
	v_cndmask_b32_e64 v66, 0, 1, vcc
	v_cmp_ne_u32_e32 vcc, v68, v69
	v_lshrrev_b32_e32 v72, 31, v71
	v_ashrrev_i32_e32 v71, 2, v71
	v_cndmask_b32_e64 v69, 0, 1, vcc
	v_cmp_ne_u32_e32 vcc, v70, v68
	v_add_u32_e32 v72, v71, v72
	v_cndmask_b32_e64 v68, 0, 1, vcc
	v_cmp_ne_u32_e32 vcc, v72, v70
	v_mul_hi_i32 v70, v24, s10
	v_lshrrev_b32_e32 v73, 31, v70
	v_ashrrev_i32_e32 v70, 2, v70
	v_add_u32_e32 v73, v70, v73
	v_cndmask_b32_e64 v71, 0, 1, vcc
	v_cmp_ne_u32_e32 vcc, v73, v72
	v_mul_hi_i32 v72, v22, s10
	v_lshrrev_b32_e32 v75, 31, v72
	v_ashrrev_i32_e32 v72, 2, v72
	v_add_u32_e32 v72, v72, v75
	v_mul_hi_i32 v75, v28, s10
	v_lshrrev_b32_e32 v77, 31, v75
	v_ashrrev_i32_e32 v75, 2, v75
	v_add_u32_e32 v75, v75, v77
	v_mul_hi_i32 v77, v26, s10
	v_cndmask_b32_e64 v70, 0, 1, vcc
	v_cmp_ne_u32_e32 vcc, v72, v73
	v_lshrrev_b32_e32 v78, 31, v77
	v_ashrrev_i32_e32 v77, 2, v77
	v_cndmask_b32_e64 v73, 0, 1, vcc
	v_cmp_ne_u32_e32 vcc, v75, v72
	v_add_u32_e32 v77, v77, v78
	v_cndmask_b32_e64 v72, 0, 1, vcc
	v_cmp_ne_u32_e32 vcc, v77, v75
	v_lshlrev_b32_e32 v62, 3, v0
	v_cndmask_b32_e64 v75, 0, 1, vcc
	ds_write_b64 v62, v[58:59]
	s_waitcnt lgkmcnt(0)
	s_barrier
	s_waitcnt lgkmcnt(0)
                                        ; implicit-def: $sgpr8_sgpr9
	s_and_saveexec_b64 s[6:7], s[2:3]
	s_xor_b64 s[6:7], exec, s[6:7]
	s_cbranch_execz .LBB519_78
; %bb.77:
	v_add_u32_e32 v62, -8, v62
	ds_read_b32 v62, v62
	s_or_b64 s[4:5], s[4:5], exec
	s_waitcnt lgkmcnt(0)
	v_mul_hi_i32 v62, v62, s10
	v_lshrrev_b32_e32 v78, 31, v62
	v_ashrrev_i32_e32 v62, 2, v62
	v_add_u32_e32 v62, v62, v78
	v_cmp_ne_u32_e32 vcc, v62, v77
	s_and_b64 s[8:9], vcc, exec
.LBB519_78:
	s_or_b64 exec, exec, s[6:7]
	s_mov_b32 s10, 1
	s_branch .LBB519_114
.LBB519_79:
	s_mul_hi_u32 s7, s52, 0xfffff100
	s_mul_i32 s6, s53, 0xfffff100
	s_sub_i32 s7, s7, s52
	s_add_i32 s7, s7, s6
	s_mul_i32 s6, s52, 0xfffff100
	s_add_u32 s6, s6, s48
	s_addc_u32 s7, s7, s49
	s_and_b64 vcc, exec, s[30:31]
	s_cbranch_vccz .LBB519_255
; %bb.80:
	v_add_co_u32_e32 v62, vcc, -8, v74
	v_addc_co_u32_e32 v63, vcc, -1, v76, vcc
	flat_load_dwordx2 v[76:77], v[62:63]
	v_mad_u32_u24 v62, v0, 15, 14
	v_mov_b32_e32 v63, 0
	s_waitcnt vmcnt(0) lgkmcnt(0)
	v_lshlrev_b32_e32 v77, 3, v0
	v_mul_u32_u24_e32 v78, 15, v0
	v_cmp_gt_u64_e32 vcc, s[6:7], v[62:63]
	v_mov_b32_e32 v1, 0
	ds_write_b64 v77, v[58:59]
	s_and_saveexec_b64 s[4:5], vcc
; %bb.81:
	s_mov_b32 s8, 0x66666667
	v_mul_hi_i32 v1, v4, s8
	v_lshrrev_b32_e32 v62, 31, v1
	v_ashrrev_i32_e32 v1, 2, v1
	v_add_u32_e32 v1, v1, v62
	v_mul_hi_i32 v62, v58, s8
	v_lshrrev_b32_e32 v64, 31, v62
	v_ashrrev_i32_e32 v62, 2, v62
	v_add_u32_e32 v62, v62, v64
	v_cmp_ne_u32_e32 vcc, v1, v62
	v_cndmask_b32_e64 v1, 0, 1, vcc
; %bb.82:
	s_or_b64 exec, exec, s[4:5]
	v_add_u32_e32 v62, 13, v78
	v_cmp_gt_u64_e32 vcc, s[6:7], v[62:63]
	s_and_saveexec_b64 s[4:5], vcc
; %bb.83:
	s_mov_b32 s8, 0x66666667
	v_mul_hi_i32 v62, v2, s8
	v_lshrrev_b32_e32 v63, 31, v62
	v_ashrrev_i32_e32 v62, 2, v62
	v_add_u32_e32 v62, v62, v63
	v_mul_hi_i32 v63, v4, s8
	v_lshrrev_b32_e32 v64, 31, v63
	v_ashrrev_i32_e32 v63, 2, v63
	v_add_u32_e32 v63, v63, v64
	v_cmp_ne_u32_e32 vcc, v62, v63
	v_cndmask_b32_e64 v63, 0, 1, vcc
; %bb.84:
	s_or_b64 exec, exec, s[4:5]
	v_add_u32_e32 v64, 12, v78
	v_mov_b32_e32 v65, 0
	v_cmp_gt_u64_e32 vcc, s[6:7], v[64:65]
	v_mov_b32_e32 v110, 0
	s_and_saveexec_b64 s[4:5], vcc
; %bb.85:
	s_mov_b32 s8, 0x66666667
	v_mul_hi_i32 v62, v8, s8
	v_lshrrev_b32_e32 v64, 31, v62
	v_ashrrev_i32_e32 v62, 2, v62
	v_add_u32_e32 v62, v62, v64
	v_mul_hi_i32 v64, v2, s8
	v_lshrrev_b32_e32 v66, 31, v64
	v_ashrrev_i32_e32 v64, 2, v64
	v_add_u32_e32 v64, v64, v66
	v_cmp_ne_u32_e32 vcc, v62, v64
	v_cndmask_b32_e64 v110, 0, 1, vcc
; %bb.86:
	s_or_b64 exec, exec, s[4:5]
	v_add_u32_e32 v64, 11, v78
	v_cmp_gt_u64_e32 vcc, s[6:7], v[64:65]
	s_and_saveexec_b64 s[4:5], vcc
; %bb.87:
	s_mov_b32 s8, 0x66666667
	v_mul_hi_i32 v62, v6, s8
	v_lshrrev_b32_e32 v64, 31, v62
	v_ashrrev_i32_e32 v62, 2, v62
	v_add_u32_e32 v62, v62, v64
	v_mul_hi_i32 v64, v8, s8
	v_lshrrev_b32_e32 v65, 31, v64
	v_ashrrev_i32_e32 v64, 2, v64
	v_add_u32_e32 v64, v64, v65
	v_cmp_ne_u32_e32 vcc, v62, v64
	v_cndmask_b32_e64 v65, 0, 1, vcc
; %bb.88:
	s_or_b64 exec, exec, s[4:5]
	v_add_u32_e32 v66, 10, v78
	v_mov_b32_e32 v67, 0
	v_cmp_gt_u64_e32 vcc, s[6:7], v[66:67]
	v_mov_b32_e32 v64, 0
	s_and_saveexec_b64 s[4:5], vcc
; %bb.89:
	s_mov_b32 s8, 0x66666667
	v_mul_hi_i32 v62, v12, s8
	v_lshrrev_b32_e32 v64, 31, v62
	v_ashrrev_i32_e32 v62, 2, v62
	v_add_u32_e32 v62, v62, v64
	v_mul_hi_i32 v64, v6, s8
	v_lshrrev_b32_e32 v66, 31, v64
	v_ashrrev_i32_e32 v64, 2, v64
	v_add_u32_e32 v64, v64, v66
	v_cmp_ne_u32_e32 vcc, v62, v64
	v_cndmask_b32_e64 v64, 0, 1, vcc
; %bb.90:
	s_or_b64 exec, exec, s[4:5]
	v_add_u32_e32 v66, 9, v78
	v_cmp_gt_u64_e32 vcc, s[6:7], v[66:67]
	s_and_saveexec_b64 s[4:5], vcc
; %bb.91:
	s_mov_b32 s8, 0x66666667
	v_mul_hi_i32 v62, v10, s8
	v_lshrrev_b32_e32 v66, 31, v62
	v_ashrrev_i32_e32 v62, 2, v62
	v_add_u32_e32 v62, v62, v66
	v_mul_hi_i32 v66, v12, s8
	v_lshrrev_b32_e32 v67, 31, v66
	v_ashrrev_i32_e32 v66, 2, v66
	v_add_u32_e32 v66, v66, v67
	v_cmp_ne_u32_e32 vcc, v62, v66
	v_cndmask_b32_e64 v67, 0, 1, vcc
; %bb.92:
	s_or_b64 exec, exec, s[4:5]
	v_add_u32_e32 v68, 8, v78
	v_mov_b32_e32 v69, 0
	v_cmp_gt_u64_e32 vcc, s[6:7], v[68:69]
	v_mov_b32_e32 v66, 0
	s_and_saveexec_b64 s[4:5], vcc
; %bb.93:
	s_mov_b32 s8, 0x66666667
	v_mul_hi_i32 v62, v16, s8
	v_lshrrev_b32_e32 v66, 31, v62
	v_ashrrev_i32_e32 v62, 2, v62
	v_add_u32_e32 v62, v62, v66
	v_mul_hi_i32 v66, v10, s8
	v_lshrrev_b32_e32 v68, 31, v66
	v_ashrrev_i32_e32 v66, 2, v66
	v_add_u32_e32 v66, v66, v68
	v_cmp_ne_u32_e32 vcc, v62, v66
	v_cndmask_b32_e64 v66, 0, 1, vcc
; %bb.94:
	s_or_b64 exec, exec, s[4:5]
	v_add_u32_e32 v68, 7, v78
	v_cmp_gt_u64_e32 vcc, s[6:7], v[68:69]
	s_and_saveexec_b64 s[4:5], vcc
; %bb.95:
	s_mov_b32 s8, 0x66666667
	v_mul_hi_i32 v62, v14, s8
	v_lshrrev_b32_e32 v68, 31, v62
	v_ashrrev_i32_e32 v62, 2, v62
	v_add_u32_e32 v62, v62, v68
	v_mul_hi_i32 v68, v16, s8
	v_lshrrev_b32_e32 v69, 31, v68
	v_ashrrev_i32_e32 v68, 2, v68
	v_add_u32_e32 v68, v68, v69
	v_cmp_ne_u32_e32 vcc, v62, v68
	v_cndmask_b32_e64 v69, 0, 1, vcc
; %bb.96:
	s_or_b64 exec, exec, s[4:5]
	v_add_u32_e32 v70, 6, v78
	v_mov_b32_e32 v71, 0
	v_cmp_gt_u64_e32 vcc, s[6:7], v[70:71]
	v_mov_b32_e32 v68, 0
	s_and_saveexec_b64 s[4:5], vcc
; %bb.97:
	s_mov_b32 s8, 0x66666667
	v_mul_hi_i32 v62, v20, s8
	v_lshrrev_b32_e32 v68, 31, v62
	v_ashrrev_i32_e32 v62, 2, v62
	v_add_u32_e32 v62, v62, v68
	v_mul_hi_i32 v68, v14, s8
	v_lshrrev_b32_e32 v70, 31, v68
	v_ashrrev_i32_e32 v68, 2, v68
	v_add_u32_e32 v68, v68, v70
	v_cmp_ne_u32_e32 vcc, v62, v68
	v_cndmask_b32_e64 v68, 0, 1, vcc
; %bb.98:
	s_or_b64 exec, exec, s[4:5]
	v_add_u32_e32 v70, 5, v78
	v_cmp_gt_u64_e32 vcc, s[6:7], v[70:71]
	s_and_saveexec_b64 s[4:5], vcc
; %bb.99:
	s_mov_b32 s8, 0x66666667
	v_mul_hi_i32 v62, v18, s8
	v_lshrrev_b32_e32 v70, 31, v62
	v_ashrrev_i32_e32 v62, 2, v62
	v_add_u32_e32 v62, v62, v70
	v_mul_hi_i32 v70, v20, s8
	v_lshrrev_b32_e32 v71, 31, v70
	v_ashrrev_i32_e32 v70, 2, v70
	v_add_u32_e32 v70, v70, v71
	v_cmp_ne_u32_e32 vcc, v62, v70
	v_cndmask_b32_e64 v71, 0, 1, vcc
; %bb.100:
	s_or_b64 exec, exec, s[4:5]
	v_add_u32_e32 v72, 4, v78
	v_mov_b32_e32 v73, 0
	v_cmp_gt_u64_e32 vcc, s[6:7], v[72:73]
	v_mov_b32_e32 v70, 0
	s_and_saveexec_b64 s[4:5], vcc
; %bb.101:
	s_mov_b32 s8, 0x66666667
	v_mul_hi_i32 v62, v24, s8
	v_lshrrev_b32_e32 v70, 31, v62
	v_ashrrev_i32_e32 v62, 2, v62
	v_add_u32_e32 v62, v62, v70
	v_mul_hi_i32 v70, v18, s8
	v_lshrrev_b32_e32 v72, 31, v70
	v_ashrrev_i32_e32 v70, 2, v70
	v_add_u32_e32 v70, v70, v72
	v_cmp_ne_u32_e32 vcc, v62, v70
	v_cndmask_b32_e64 v70, 0, 1, vcc
; %bb.102:
	s_or_b64 exec, exec, s[4:5]
	v_add_u32_e32 v72, 3, v78
	v_cmp_gt_u64_e32 vcc, s[6:7], v[72:73]
	s_and_saveexec_b64 s[4:5], vcc
; %bb.103:
	s_mov_b32 s8, 0x66666667
	v_mul_hi_i32 v62, v22, s8
	v_lshrrev_b32_e32 v72, 31, v62
	v_ashrrev_i32_e32 v62, 2, v62
	v_add_u32_e32 v62, v62, v72
	v_mul_hi_i32 v72, v24, s8
	v_lshrrev_b32_e32 v73, 31, v72
	v_ashrrev_i32_e32 v72, 2, v72
	v_add_u32_e32 v72, v72, v73
	v_cmp_ne_u32_e32 vcc, v62, v72
	v_cndmask_b32_e64 v73, 0, 1, vcc
; %bb.104:
	s_or_b64 exec, exec, s[4:5]
	v_add_u32_e32 v74, 2, v78
	v_mov_b32_e32 v75, 0
	v_cmp_gt_u64_e32 vcc, s[6:7], v[74:75]
	v_mov_b32_e32 v72, 0
	s_and_saveexec_b64 s[4:5], vcc
; %bb.105:
	s_mov_b32 s8, 0x66666667
	v_mul_hi_i32 v62, v28, s8
	v_lshrrev_b32_e32 v72, 31, v62
	v_ashrrev_i32_e32 v62, 2, v62
	v_add_u32_e32 v62, v62, v72
	v_mul_hi_i32 v72, v22, s8
	v_lshrrev_b32_e32 v74, 31, v72
	v_ashrrev_i32_e32 v72, 2, v72
	v_add_u32_e32 v72, v72, v74
	v_cmp_ne_u32_e32 vcc, v62, v72
	v_cndmask_b32_e64 v72, 0, 1, vcc
; %bb.106:
	s_or_b64 exec, exec, s[4:5]
	v_add_u32_e32 v74, 1, v78
	v_cmp_gt_u64_e32 vcc, s[6:7], v[74:75]
	s_and_saveexec_b64 s[4:5], vcc
; %bb.107:
	s_mov_b32 s8, 0x66666667
	v_mul_hi_i32 v62, v26, s8
	v_lshrrev_b32_e32 v74, 31, v62
	v_ashrrev_i32_e32 v62, 2, v62
	v_add_u32_e32 v62, v62, v74
	v_mul_hi_i32 v74, v28, s8
	v_lshrrev_b32_e32 v75, 31, v74
	v_ashrrev_i32_e32 v74, 2, v74
	v_add_u32_e32 v74, v74, v75
	v_cmp_ne_u32_e32 vcc, v62, v74
	v_cndmask_b32_e64 v75, 0, 1, vcc
; %bb.108:
	s_or_b64 exec, exec, s[4:5]
	s_waitcnt lgkmcnt(0)
	s_barrier
	s_and_saveexec_b64 s[4:5], s[2:3]
	s_cbranch_execz .LBB519_110
; %bb.109:
	v_add_u32_e32 v62, -8, v77
	ds_read_b64 v[76:77], v62
.LBB519_110:
	s_or_b64 exec, exec, s[4:5]
	v_mov_b32_e32 v79, 0
	v_cmp_gt_u64_e32 vcc, s[6:7], v[78:79]
	s_mov_b64 s[10:11], 0
	s_mov_b64 s[8:9], 0
	s_and_saveexec_b64 s[4:5], vcc
	s_cbranch_execz .LBB519_112
; %bb.111:
	s_mov_b32 s8, 0x66666667
	s_waitcnt lgkmcnt(0)
	v_mul_hi_i32 v62, v76, s8
	v_lshrrev_b32_e32 v74, 31, v62
	v_ashrrev_i32_e32 v62, 2, v62
	v_add_u32_e32 v62, v62, v74
	v_mul_hi_i32 v74, v26, s8
	v_lshrrev_b32_e32 v76, 31, v74
	v_ashrrev_i32_e32 v74, 2, v74
	v_add_u32_e32 v74, v74, v76
	v_cmp_ne_u32_e32 vcc, v62, v74
	s_and_b64 s[8:9], vcc, exec
.LBB519_112:
	s_or_b64 exec, exec, s[4:5]
	s_mov_b64 s[4:5], -1
	s_and_b64 vcc, exec, s[10:11]
	s_cbranch_vccnz .LBB519_256
.LBB519_113:
                                        ; implicit-def: $sgpr10
.LBB519_114:
	v_mov_b32_e32 v74, s10
	s_and_saveexec_b64 s[2:3], s[4:5]
.LBB519_115:
	v_cndmask_b32_e64 v74, 0, 1, s[8:9]
.LBB519_116:
	s_or_b64 exec, exec, s[2:3]
	s_cmp_eq_u64 s[42:43], 0
	v_add3_u32 v62, v75, v74, v72
	s_cselect_b64 s[30:31], -1, 0
	s_cmp_lg_u32 s56, 0
	v_cmp_eq_u32_e64 s[26:27], 0, v75
	v_cmp_eq_u32_e64 s[24:25], 0, v72
	;; [unrolled: 1-line block ×3, first 2 shown]
	v_add3_u32 v113, v62, v73, v70
	v_cmp_eq_u32_e64 s[20:21], 0, v70
	v_cmp_eq_u32_e64 s[18:19], 0, v71
	;; [unrolled: 1-line block ×10, first 2 shown]
	v_cmp_eq_u32_e32 vcc, 0, v1
	v_mbcnt_lo_u32_b32 v112, -1, 0
	s_cbranch_scc0 .LBB519_187
; %bb.117:
	s_waitcnt lgkmcnt(0)
	v_cndmask_b32_e64 v76, 0, v50, s[26:27]
	v_cndmask_b32_e64 v62, 0, v51, s[26:27]
	v_add_co_u32_e64 v76, s[28:29], v76, v54
	v_addc_co_u32_e64 v62, s[28:29], v62, v55, s[28:29]
	v_cndmask_b32_e64 v76, 0, v76, s[24:25]
	v_cndmask_b32_e64 v62, 0, v62, s[24:25]
	v_add_co_u32_e64 v76, s[28:29], v76, v52
	v_addc_co_u32_e64 v62, s[28:29], v62, v53, s[28:29]
	;; [unrolled: 4-line block ×11, first 2 shown]
	v_cndmask_b32_e64 v76, 0, v76, s[4:5]
	v_cndmask_b32_e64 v62, 0, v62, s[4:5]
	v_add_co_u32_e64 v76, s[28:29], v76, v30
	v_add3_u32 v77, v113, v71, v68
	v_addc_co_u32_e64 v62, s[28:29], v62, v31, s[28:29]
	v_cndmask_b32_e64 v76, 0, v76, s[2:3]
	v_add3_u32 v77, v77, v69, v66
	v_cndmask_b32_e64 v62, 0, v62, s[2:3]
	v_add_co_u32_e64 v76, s[28:29], v76, v60
	v_add3_u32 v77, v77, v67, v64
	v_addc_co_u32_e64 v62, s[28:29], v62, v61, s[28:29]
	v_cndmask_b32_e32 v76, 0, v76, vcc
	v_add3_u32 v77, v77, v65, v110
	v_cndmask_b32_e32 v62, 0, v62, vcc
	v_add_co_u32_e32 v78, vcc, v76, v32
	v_mbcnt_hi_u32_b32 v81, -1, v112
	v_add3_u32 v80, v77, v63, v1
	v_addc_co_u32_e32 v79, vcc, v62, v33, vcc
	v_and_b32_e32 v62, 15, v81
	v_mov_b32_dpp v77, v80 row_shr:1 row_mask:0xf bank_mask:0xf
	v_mov_b32_dpp v76, v78 row_shr:1 row_mask:0xf bank_mask:0xf
	;; [unrolled: 1-line block ×3, first 2 shown]
	v_cmp_ne_u32_e32 vcc, 0, v62
	s_and_saveexec_b64 s[28:29], vcc
; %bb.118:
	v_cmp_eq_u32_e32 vcc, 0, v80
	v_cndmask_b32_e32 v76, 0, v76, vcc
	v_add_u32_e32 v77, v77, v80
	v_cndmask_b32_e32 v80, 0, v82, vcc
	v_add_co_u32_e32 v78, vcc, v76, v78
	v_addc_co_u32_e32 v79, vcc, v80, v79, vcc
	v_mov_b32_e32 v80, v77
; %bb.119:
	s_or_b64 exec, exec, s[28:29]
	s_nop 0
	v_mov_b32_dpp v77, v80 row_shr:2 row_mask:0xf bank_mask:0xf
	v_mov_b32_dpp v76, v78 row_shr:2 row_mask:0xf bank_mask:0xf
	v_mov_b32_dpp v82, v79 row_shr:2 row_mask:0xf bank_mask:0xf
	v_cmp_lt_u32_e32 vcc, 1, v62
	s_and_saveexec_b64 s[28:29], vcc
; %bb.120:
	v_cmp_eq_u32_e32 vcc, 0, v80
	v_cndmask_b32_e32 v76, 0, v76, vcc
	v_add_u32_e32 v77, v77, v80
	v_cndmask_b32_e32 v80, 0, v82, vcc
	v_add_co_u32_e32 v78, vcc, v76, v78
	v_addc_co_u32_e32 v79, vcc, v80, v79, vcc
	v_mov_b32_e32 v80, v77
; %bb.121:
	s_or_b64 exec, exec, s[28:29]
	s_nop 0
	v_mov_b32_dpp v77, v80 row_shr:4 row_mask:0xf bank_mask:0xf
	v_mov_b32_dpp v76, v78 row_shr:4 row_mask:0xf bank_mask:0xf
	v_mov_b32_dpp v82, v79 row_shr:4 row_mask:0xf bank_mask:0xf
	v_cmp_lt_u32_e32 vcc, 3, v62
	;; [unrolled: 16-line block ×3, first 2 shown]
	s_and_saveexec_b64 s[28:29], vcc
; %bb.124:
	v_cmp_eq_u32_e32 vcc, 0, v80
	v_cndmask_b32_e32 v76, 0, v76, vcc
	v_add_u32_e32 v62, v77, v80
	v_cndmask_b32_e32 v77, 0, v82, vcc
	v_add_co_u32_e32 v78, vcc, v76, v78
	v_addc_co_u32_e32 v79, vcc, v77, v79, vcc
	v_mov_b32_e32 v80, v62
; %bb.125:
	s_or_b64 exec, exec, s[28:29]
	v_and_b32_e32 v82, 16, v81
	v_mov_b32_dpp v76, v80 row_bcast:15 row_mask:0xf bank_mask:0xf
	v_mov_b32_dpp v62, v78 row_bcast:15 row_mask:0xf bank_mask:0xf
	;; [unrolled: 1-line block ×3, first 2 shown]
	v_cmp_ne_u32_e32 vcc, 0, v82
	s_and_saveexec_b64 s[28:29], vcc
; %bb.126:
	v_cmp_eq_u32_e32 vcc, 0, v80
	v_cndmask_b32_e32 v62, 0, v62, vcc
	v_add_u32_e32 v76, v76, v80
	v_cndmask_b32_e32 v77, 0, v77, vcc
	v_add_co_u32_e32 v78, vcc, v62, v78
	v_addc_co_u32_e32 v79, vcc, v77, v79, vcc
	v_mov_b32_e32 v80, v76
; %bb.127:
	s_or_b64 exec, exec, s[28:29]
	s_nop 0
	v_mov_b32_dpp v76, v80 row_bcast:31 row_mask:0xf bank_mask:0xf
	v_mov_b32_dpp v62, v78 row_bcast:31 row_mask:0xf bank_mask:0xf
	;; [unrolled: 1-line block ×3, first 2 shown]
	v_cmp_lt_u32_e32 vcc, 31, v81
	s_and_saveexec_b64 s[28:29], vcc
; %bb.128:
	v_cmp_eq_u32_e32 vcc, 0, v80
	v_cndmask_b32_e32 v62, 0, v62, vcc
	v_add_u32_e32 v76, v76, v80
	v_cndmask_b32_e32 v77, 0, v77, vcc
	v_add_co_u32_e32 v78, vcc, v62, v78
	v_addc_co_u32_e32 v79, vcc, v77, v79, vcc
	v_mov_b32_e32 v80, v76
; %bb.129:
	s_or_b64 exec, exec, s[28:29]
	v_lshrrev_b32_e32 v62, 6, v0
	v_or_b32_e32 v76, 63, v0
	v_cmp_eq_u32_e32 vcc, v76, v0
	v_lshlrev_b32_e32 v82, 4, v62
	s_and_saveexec_b64 s[28:29], vcc
	s_cbranch_execz .LBB519_131
; %bb.130:
	ds_write_b32 v82, v80 offset:4128
	ds_write_b64 v82, v[78:79] offset:4136
.LBB519_131:
	s_or_b64 exec, exec, s[28:29]
	v_cmp_gt_u32_e32 vcc, 4, v0
	s_waitcnt lgkmcnt(0)
	s_barrier
	s_and_saveexec_b64 s[28:29], vcc
	s_cbranch_execz .LBB519_137
; %bb.132:
	v_lshlrev_b32_e32 v62, 4, v0
	ds_read_b32 v83, v62 offset:4128
	ds_read_b64 v[76:77], v62 offset:4136
	v_and_b32_e32 v84, 3, v81
	v_cmp_ne_u32_e32 vcc, 0, v84
	s_waitcnt lgkmcnt(1)
	v_mov_b32_dpp v86, v83 row_shr:1 row_mask:0xf bank_mask:0xf
	s_waitcnt lgkmcnt(0)
	v_mov_b32_dpp v85, v76 row_shr:1 row_mask:0xf bank_mask:0xf
	v_mov_b32_dpp v87, v77 row_shr:1 row_mask:0xf bank_mask:0xf
	s_and_saveexec_b64 s[34:35], vcc
; %bb.133:
	v_cmp_eq_u32_e32 vcc, 0, v83
	v_cndmask_b32_e32 v85, 0, v85, vcc
	v_add_u32_e32 v86, v86, v83
	v_cndmask_b32_e32 v83, 0, v87, vcc
	v_add_co_u32_e32 v76, vcc, v85, v76
	v_addc_co_u32_e32 v77, vcc, v83, v77, vcc
	v_mov_b32_e32 v83, v86
; %bb.134:
	s_or_b64 exec, exec, s[34:35]
	s_nop 0
	v_mov_b32_dpp v86, v83 row_shr:2 row_mask:0xf bank_mask:0xf
	v_mov_b32_dpp v85, v76 row_shr:2 row_mask:0xf bank_mask:0xf
	;; [unrolled: 1-line block ×3, first 2 shown]
	v_cmp_lt_u32_e32 vcc, 1, v84
	s_and_saveexec_b64 s[34:35], vcc
; %bb.135:
	v_cmp_eq_u32_e32 vcc, 0, v83
	v_cndmask_b32_e32 v85, 0, v85, vcc
	v_add_u32_e32 v84, v86, v83
	v_cndmask_b32_e32 v83, 0, v87, vcc
	v_add_co_u32_e32 v76, vcc, v85, v76
	v_addc_co_u32_e32 v77, vcc, v83, v77, vcc
	v_mov_b32_e32 v83, v84
; %bb.136:
	s_or_b64 exec, exec, s[34:35]
	ds_write_b32 v62, v83 offset:4128
	ds_write_b64 v62, v[76:77] offset:4136
.LBB519_137:
	s_or_b64 exec, exec, s[28:29]
	v_cmp_gt_u32_e32 vcc, 64, v0
	v_cmp_lt_u32_e64 s[28:29], 63, v0
	v_pk_mov_b32 v[76:77], 0, 0
	v_mov_b32_e32 v62, 0
	s_waitcnt lgkmcnt(0)
	s_barrier
	s_and_saveexec_b64 s[34:35], s[28:29]
	s_cbranch_execz .LBB519_139
; %bb.138:
	ds_read_b32 v62, v82 offset:4112
	ds_read_b64 v[76:77], v82 offset:4120
	v_cmp_eq_u32_e64 s[28:29], 0, v80
	s_waitcnt lgkmcnt(1)
	v_add_u32_e32 v82, v62, v80
	s_waitcnt lgkmcnt(0)
	v_cndmask_b32_e64 v83, 0, v76, s[28:29]
	v_cndmask_b32_e64 v80, 0, v77, s[28:29]
	v_add_co_u32_e64 v78, s[28:29], v83, v78
	v_addc_co_u32_e64 v79, s[28:29], v80, v79, s[28:29]
	v_mov_b32_e32 v80, v82
.LBB519_139:
	s_or_b64 exec, exec, s[34:35]
	v_add_u32_e32 v82, -1, v81
	v_and_b32_e32 v83, 64, v81
	v_cmp_lt_i32_e64 s[28:29], v82, v83
	v_cndmask_b32_e64 v82, v82, v81, s[28:29]
	v_lshlrev_b32_e32 v82, 2, v82
	ds_bpermute_b32 v88, v82, v80
	ds_bpermute_b32 v89, v82, v78
	;; [unrolled: 1-line block ×3, first 2 shown]
	v_cmp_eq_u32_e64 s[28:29], 0, v81
	s_and_saveexec_b64 s[34:35], vcc
	s_cbranch_execz .LBB519_186
; %bb.140:
	v_mov_b32_e32 v83, 0
	ds_read_b32 v91, v83 offset:4176
	ds_read_b64 v[78:79], v83 offset:4184
	s_and_saveexec_b64 s[42:43], s[28:29]
	s_cbranch_execz .LBB519_142
; %bb.141:
	s_add_i32 s48, s56, 64
	s_mov_b32 s49, 0
	s_lshl_b64 s[52:53], s[48:49], 4
	s_add_u32 s52, s36, s52
	s_addc_u32 s53, s37, s53
	v_mov_b32_e32 v80, s48
	v_mov_b32_e32 v82, 1
	s_waitcnt lgkmcnt(1)
	global_store_dword v83, v91, s[52:53]
	s_waitcnt lgkmcnt(0)
	global_store_dwordx2 v83, v[78:79], s[52:53] offset:8
	s_waitcnt vmcnt(0)
	buffer_wbinvl1_vol
	global_store_byte v80, v82, s[40:41]
.LBB519_142:
	s_or_b64 exec, exec, s[42:43]
	v_xad_u32 v80, v81, -1, s56
	v_add_u32_e32 v82, 64, v80
	global_load_ubyte v92, v82, s[40:41] glc
	s_waitcnt vmcnt(0)
	v_cmp_eq_u16_e32 vcc, 0, v92
	s_and_saveexec_b64 s[42:43], vcc
	s_cbranch_execz .LBB519_148
; %bb.143:
	v_mov_b32_e32 v85, s41
	v_add_co_u32_e32 v84, vcc, s40, v82
	v_addc_co_u32_e32 v85, vcc, 0, v85, vcc
	s_mov_b32 s52, 1
	s_mov_b64 s[48:49], 0
.LBB519_144:                            ; =>This Loop Header: Depth=1
                                        ;     Child Loop BB519_145 Depth 2
	s_max_u32 s53, s52, 1
.LBB519_145:                            ;   Parent Loop BB519_144 Depth=1
                                        ; =>  This Inner Loop Header: Depth=2
	s_add_i32 s53, s53, -1
	s_cmp_eq_u32 s53, 0
	s_sleep 1
	s_cbranch_scc0 .LBB519_145
; %bb.146:                              ;   in Loop: Header=BB519_144 Depth=1
	global_load_ubyte v92, v[84:85], off glc
	s_cmp_lt_u32 s52, 32
	s_cselect_b64 s[54:55], -1, 0
	s_cmp_lg_u64 s[54:55], 0
	s_addc_u32 s52, s52, 0
	s_waitcnt vmcnt(0)
	v_cmp_ne_u16_e32 vcc, 0, v92
	s_or_b64 s[48:49], vcc, s[48:49]
	s_andn2_b64 exec, exec, s[48:49]
	s_cbranch_execnz .LBB519_144
; %bb.147:
	s_or_b64 exec, exec, s[48:49]
.LBB519_148:
	s_or_b64 exec, exec, s[42:43]
	v_mov_b32_e32 v84, s39
	v_mov_b32_e32 v85, s37
	v_cmp_eq_u16_e32 vcc, 1, v92
	v_cndmask_b32_e32 v84, v84, v85, vcc
	v_mov_b32_e32 v85, s38
	v_mov_b32_e32 v86, s36
	v_cndmask_b32_e32 v85, v85, v86, vcc
	v_lshlrev_b64 v[82:83], 4, v[82:83]
	v_add_co_u32_e32 v82, vcc, v85, v82
	v_addc_co_u32_e32 v83, vcc, v84, v83, vcc
	s_waitcnt lgkmcnt(0)
	buffer_wbinvl1_vol
	global_load_dword v107, v[82:83], off
	global_load_dwordx2 v[86:87], v[82:83], off offset:8
	v_cmp_eq_u16_e32 vcc, 2, v92
	v_lshlrev_b64 v[82:83], v81, -1
	v_and_b32_e32 v93, 63, v81
	v_and_b32_e32 v84, vcc_hi, v83
	v_and_b32_e32 v97, vcc_lo, v82
	v_cmp_ne_u32_e32 vcc, 63, v93
	v_addc_co_u32_e32 v85, vcc, 0, v81, vcc
	v_lshlrev_b32_e32 v94, 2, v85
	v_or_b32_e32 v84, 0x80000000, v84
	v_ffbl_b32_e32 v84, v84
	v_add_u32_e32 v84, 32, v84
	v_ffbl_b32_e32 v97, v97
	v_min_u32_e32 v84, v97, v84
	v_cmp_lt_u32_e32 vcc, v93, v84
	s_waitcnt vmcnt(1)
	ds_bpermute_b32 v95, v94, v107
	s_waitcnt vmcnt(0)
	ds_bpermute_b32 v85, v94, v86
	ds_bpermute_b32 v96, v94, v87
	s_and_saveexec_b64 s[42:43], vcc
	s_cbranch_execz .LBB519_150
; %bb.149:
	v_cmp_eq_u32_e32 vcc, 0, v107
	s_waitcnt lgkmcnt(1)
	v_cndmask_b32_e32 v85, 0, v85, vcc
	v_add_u32_e32 v95, v95, v107
	s_waitcnt lgkmcnt(0)
	v_cndmask_b32_e32 v96, 0, v96, vcc
	v_add_co_u32_e32 v86, vcc, v85, v86
	v_addc_co_u32_e32 v87, vcc, v96, v87, vcc
	v_mov_b32_e32 v107, v95
.LBB519_150:
	s_or_b64 exec, exec, s[42:43]
	v_cmp_gt_u32_e32 vcc, 62, v93
	s_waitcnt lgkmcnt(1)
	v_cndmask_b32_e64 v85, 0, 1, vcc
	v_lshlrev_b32_e32 v85, 1, v85
	v_add_lshl_u32 v95, v85, v81, 2
	ds_bpermute_b32 v97, v95, v107
	ds_bpermute_b32 v85, v95, v86
	ds_bpermute_b32 v98, v95, v87
	s_waitcnt lgkmcnt(3)
	v_add_u32_e32 v96, 2, v93
	v_cmp_le_u32_e32 vcc, v96, v84
	s_and_saveexec_b64 s[42:43], vcc
	s_cbranch_execz .LBB519_152
; %bb.151:
	v_cmp_eq_u32_e32 vcc, 0, v107
	s_waitcnt lgkmcnt(1)
	v_cndmask_b32_e32 v85, 0, v85, vcc
	v_add_u32_e32 v97, v97, v107
	s_waitcnt lgkmcnt(0)
	v_cndmask_b32_e32 v98, 0, v98, vcc
	v_add_co_u32_e32 v86, vcc, v85, v86
	v_addc_co_u32_e32 v87, vcc, v98, v87, vcc
	v_mov_b32_e32 v107, v97
.LBB519_152:
	s_or_b64 exec, exec, s[42:43]
	v_cmp_gt_u32_e32 vcc, 60, v93
	s_waitcnt lgkmcnt(1)
	v_cndmask_b32_e64 v85, 0, 1, vcc
	v_lshlrev_b32_e32 v85, 2, v85
	v_add_lshl_u32 v97, v85, v81, 2
	ds_bpermute_b32 v99, v97, v107
	ds_bpermute_b32 v85, v97, v86
	ds_bpermute_b32 v100, v97, v87
	s_waitcnt lgkmcnt(3)
	v_add_u32_e32 v98, 4, v93
	v_cmp_le_u32_e32 vcc, v98, v84
	;; [unrolled: 25-line block ×4, first 2 shown]
	s_and_saveexec_b64 s[42:43], vcc
	s_cbranch_execz .LBB519_158
; %bb.157:
	v_cmp_eq_u32_e32 vcc, 0, v107
	s_waitcnt lgkmcnt(1)
	v_cndmask_b32_e32 v85, 0, v85, vcc
	v_add_u32_e32 v103, v103, v107
	s_waitcnt lgkmcnt(0)
	v_cndmask_b32_e32 v104, 0, v104, vcc
	v_add_co_u32_e32 v86, vcc, v85, v86
	v_addc_co_u32_e32 v87, vcc, v104, v87, vcc
	v_mov_b32_e32 v107, v103
.LBB519_158:
	s_or_b64 exec, exec, s[42:43]
	v_cmp_gt_u32_e32 vcc, 32, v93
	s_waitcnt lgkmcnt(1)
	v_cndmask_b32_e64 v85, 0, 1, vcc
	v_lshlrev_b32_e32 v85, 5, v85
	v_add_lshl_u32 v103, v85, v81, 2
	ds_bpermute_b32 v85, v103, v107
	ds_bpermute_b32 v81, v103, v86
	s_waitcnt lgkmcnt(2)
	ds_bpermute_b32 v104, v103, v87
	v_add_u32_e32 v105, 32, v93
	v_cmp_le_u32_e32 vcc, v105, v84
	s_and_saveexec_b64 s[42:43], vcc
	s_cbranch_execz .LBB519_160
; %bb.159:
	v_cmp_eq_u32_e32 vcc, 0, v107
	s_waitcnt lgkmcnt(1)
	v_cndmask_b32_e32 v81, 0, v81, vcc
	v_add_u32_e32 v84, v85, v107
	s_waitcnt lgkmcnt(0)
	v_cndmask_b32_e32 v85, 0, v104, vcc
	v_add_co_u32_e32 v86, vcc, v81, v86
	v_addc_co_u32_e32 v87, vcc, v85, v87, vcc
	v_mov_b32_e32 v107, v84
.LBB519_160:
	s_or_b64 exec, exec, s[42:43]
	s_waitcnt lgkmcnt(1)
	v_mov_b32_e32 v81, 0
	v_mov_b32_e32 v106, 2
	s_branch .LBB519_162
.LBB519_161:                            ;   in Loop: Header=BB519_162 Depth=1
	s_or_b64 exec, exec, s[42:43]
	v_cmp_eq_u32_e32 vcc, 0, v104
	v_cndmask_b32_e32 v86, 0, v86, vcc
	v_cndmask_b32_e32 v87, 0, v87, vcc
	v_add_co_u32_e32 v86, vcc, v86, v84
	v_subrev_u32_e32 v80, 64, v80
	v_add_u32_e32 v107, v108, v104
	v_addc_co_u32_e32 v87, vcc, v87, v85, vcc
.LBB519_162:                            ; =>This Loop Header: Depth=1
                                        ;     Child Loop BB519_165 Depth 2
                                        ;       Child Loop BB519_166 Depth 3
	v_cmp_ne_u16_sdwa s[42:43], v92, v106 src0_sel:BYTE_0 src1_sel:DWORD
	v_pk_mov_b32 v[84:85], v[86:87], v[86:87] op_sel:[0,1]
	v_cndmask_b32_e64 v86, 0, 1, s[42:43]
	;;#ASMSTART
	;;#ASMEND
	v_cmp_ne_u32_e32 vcc, 0, v86
	s_cmp_lg_u64 vcc, exec
	s_waitcnt lgkmcnt(0)
	v_mov_b32_e32 v104, v107
	s_cbranch_scc1 .LBB519_181
; %bb.163:                              ;   in Loop: Header=BB519_162 Depth=1
	global_load_ubyte v92, v80, s[40:41] glc
	s_waitcnt vmcnt(0)
	v_cmp_eq_u16_e32 vcc, 0, v92
	s_and_saveexec_b64 s[42:43], vcc
	s_cbranch_execz .LBB519_169
; %bb.164:                              ;   in Loop: Header=BB519_162 Depth=1
	v_mov_b32_e32 v87, s41
	v_add_co_u32_e32 v86, vcc, s40, v80
	v_addc_co_u32_e32 v87, vcc, 0, v87, vcc
	s_mov_b32 s52, 1
	s_mov_b64 s[48:49], 0
.LBB519_165:                            ;   Parent Loop BB519_162 Depth=1
                                        ; =>  This Loop Header: Depth=2
                                        ;       Child Loop BB519_166 Depth 3
	s_max_u32 s53, s52, 1
.LBB519_166:                            ;   Parent Loop BB519_162 Depth=1
                                        ;     Parent Loop BB519_165 Depth=2
                                        ; =>    This Inner Loop Header: Depth=3
	s_add_i32 s53, s53, -1
	s_cmp_eq_u32 s53, 0
	s_sleep 1
	s_cbranch_scc0 .LBB519_166
; %bb.167:                              ;   in Loop: Header=BB519_165 Depth=2
	global_load_ubyte v92, v[86:87], off glc
	s_cmp_lt_u32 s52, 32
	s_cselect_b64 s[54:55], -1, 0
	s_cmp_lg_u64 s[54:55], 0
	s_addc_u32 s52, s52, 0
	s_waitcnt vmcnt(0)
	v_cmp_ne_u16_e32 vcc, 0, v92
	s_or_b64 s[48:49], vcc, s[48:49]
	s_andn2_b64 exec, exec, s[48:49]
	s_cbranch_execnz .LBB519_165
; %bb.168:                              ;   in Loop: Header=BB519_162 Depth=1
	s_or_b64 exec, exec, s[48:49]
.LBB519_169:                            ;   in Loop: Header=BB519_162 Depth=1
	s_or_b64 exec, exec, s[42:43]
	v_mov_b32_e32 v86, s39
	v_mov_b32_e32 v87, s37
	v_cmp_eq_u16_e32 vcc, 1, v92
	v_cndmask_b32_e32 v107, v86, v87, vcc
	v_mov_b32_e32 v86, s38
	v_mov_b32_e32 v87, s36
	v_cndmask_b32_e32 v108, v86, v87, vcc
	v_lshlrev_b64 v[86:87], 4, v[80:81]
	v_add_co_u32_e32 v86, vcc, v108, v86
	v_addc_co_u32_e32 v87, vcc, v107, v87, vcc
	buffer_wbinvl1_vol
	global_load_dword v108, v[86:87], off
	s_nop 0
	global_load_dwordx2 v[86:87], v[86:87], off offset:8
	v_cmp_eq_u16_e32 vcc, 2, v92
	v_and_b32_e32 v107, vcc_hi, v83
	v_or_b32_e32 v107, 0x80000000, v107
	v_and_b32_e32 v115, vcc_lo, v82
	v_ffbl_b32_e32 v107, v107
	v_add_u32_e32 v107, 32, v107
	v_ffbl_b32_e32 v115, v115
	v_min_u32_e32 v107, v115, v107
	v_cmp_lt_u32_e32 vcc, v93, v107
	s_waitcnt vmcnt(1)
	ds_bpermute_b32 v111, v94, v108
	s_waitcnt vmcnt(0)
	ds_bpermute_b32 v109, v94, v86
	ds_bpermute_b32 v114, v94, v87
	s_and_saveexec_b64 s[42:43], vcc
	s_cbranch_execz .LBB519_171
; %bb.170:                              ;   in Loop: Header=BB519_162 Depth=1
	v_cmp_eq_u32_e32 vcc, 0, v108
	s_waitcnt lgkmcnt(1)
	v_cndmask_b32_e32 v109, 0, v109, vcc
	v_add_u32_e32 v111, v111, v108
	s_waitcnt lgkmcnt(0)
	v_cndmask_b32_e32 v108, 0, v114, vcc
	v_add_co_u32_e32 v86, vcc, v109, v86
	v_addc_co_u32_e32 v87, vcc, v108, v87, vcc
	v_mov_b32_e32 v108, v111
.LBB519_171:                            ;   in Loop: Header=BB519_162 Depth=1
	s_or_b64 exec, exec, s[42:43]
	s_waitcnt lgkmcnt(2)
	ds_bpermute_b32 v111, v95, v108
	s_waitcnt lgkmcnt(2)
	ds_bpermute_b32 v109, v95, v86
	s_waitcnt lgkmcnt(2)
	ds_bpermute_b32 v114, v95, v87
	v_cmp_le_u32_e32 vcc, v96, v107
	s_and_saveexec_b64 s[42:43], vcc
	s_cbranch_execz .LBB519_173
; %bb.172:                              ;   in Loop: Header=BB519_162 Depth=1
	v_cmp_eq_u32_e32 vcc, 0, v108
	s_waitcnt lgkmcnt(1)
	v_cndmask_b32_e32 v109, 0, v109, vcc
	v_add_u32_e32 v111, v111, v108
	s_waitcnt lgkmcnt(0)
	v_cndmask_b32_e32 v108, 0, v114, vcc
	v_add_co_u32_e32 v86, vcc, v109, v86
	v_addc_co_u32_e32 v87, vcc, v108, v87, vcc
	v_mov_b32_e32 v108, v111
.LBB519_173:                            ;   in Loop: Header=BB519_162 Depth=1
	s_or_b64 exec, exec, s[42:43]
	s_waitcnt lgkmcnt(2)
	ds_bpermute_b32 v111, v97, v108
	s_waitcnt lgkmcnt(2)
	ds_bpermute_b32 v109, v97, v86
	s_waitcnt lgkmcnt(2)
	ds_bpermute_b32 v114, v97, v87
	v_cmp_le_u32_e32 vcc, v98, v107
	;; [unrolled: 21-line block ×5, first 2 shown]
	s_and_saveexec_b64 s[42:43], vcc
	s_cbranch_execz .LBB519_161
; %bb.180:                              ;   in Loop: Header=BB519_162 Depth=1
	v_cmp_eq_u32_e32 vcc, 0, v108
	s_waitcnt lgkmcnt(1)
	v_cndmask_b32_e32 v109, 0, v109, vcc
	v_add_u32_e32 v107, v111, v108
	s_waitcnt lgkmcnt(0)
	v_cndmask_b32_e32 v108, 0, v114, vcc
	v_add_co_u32_e32 v86, vcc, v109, v86
	v_addc_co_u32_e32 v87, vcc, v108, v87, vcc
	v_mov_b32_e32 v108, v107
	s_branch .LBB519_161
.LBB519_181:                            ;   in Loop: Header=BB519_162 Depth=1
                                        ; implicit-def: $vgpr86_vgpr87
                                        ; implicit-def: $vgpr107
                                        ; implicit-def: $vgpr92
	s_cbranch_execz .LBB519_162
; %bb.182:
	s_and_saveexec_b64 s[36:37], s[28:29]
	s_cbranch_execz .LBB519_184
; %bb.183:
	s_mov_b32 s43, 0
	v_cmp_eq_u32_e32 vcc, 0, v91
	s_add_i32 s42, s56, 64
	v_cndmask_b32_e32 v80, 0, v84, vcc
	s_lshl_b64 s[48:49], s[42:43], 4
	v_cndmask_b32_e32 v81, 0, v85, vcc
	v_add_co_u32_e32 v80, vcc, v80, v78
	s_add_u32 s48, s38, s48
	v_add_u32_e32 v82, v104, v91
	v_addc_co_u32_e32 v81, vcc, v81, v79, vcc
	s_addc_u32 s49, s39, s49
	v_mov_b32_e32 v83, 0
	global_store_dword v83, v82, s[48:49]
	global_store_dwordx2 v83, v[80:81], s[48:49] offset:8
	v_mov_b32_e32 v80, s42
	v_mov_b32_e32 v81, 2
	s_waitcnt vmcnt(0) lgkmcnt(0)
	buffer_wbinvl1_vol
	global_store_byte v80, v81, s[40:41]
	ds_write_b32 v83, v91 offset:4096
	ds_write_b64 v83, v[78:79] offset:4104
	ds_write_b32 v83, v104 offset:4112
	ds_write_b64 v83, v[84:85] offset:4120
.LBB519_184:
	s_or_b64 exec, exec, s[36:37]
	s_and_b64 exec, exec, s[0:1]
	s_cbranch_execz .LBB519_186
; %bb.185:
	v_mov_b32_e32 v78, 0
	ds_write_b32 v78, v104 offset:4176
	ds_write_b64 v78, v[84:85] offset:4184
.LBB519_186:
	s_or_b64 exec, exec, s[34:35]
	v_mov_b32_e32 v106, 0
	s_waitcnt lgkmcnt(0)
	s_barrier
	ds_read_b32 v80, v106 offset:4176
	ds_read_b64 v[78:79], v106 offset:4184
	v_cndmask_b32_e64 v62, v88, v62, s[28:29]
	v_cmp_eq_u32_e32 vcc, 0, v62
	v_cndmask_b32_e64 v76, v89, v76, s[28:29]
	v_cndmask_b32_e64 v77, v90, v77, s[28:29]
	s_waitcnt lgkmcnt(0)
	v_cndmask_b32_e32 v82, 0, v78, vcc
	v_cndmask_b32_e32 v81, 0, v79, vcc
	v_add_co_u32_e32 v76, vcc, v82, v76
	v_addc_co_u32_e32 v77, vcc, v81, v77, vcc
	v_cndmask_b32_e64 v104, v76, v78, s[0:1]
	v_cmp_eq_u32_e32 vcc, 0, v74
	v_cndmask_b32_e64 v62, v62, 0, s[0:1]
	v_cndmask_b32_e64 v105, v77, v79, s[0:1]
	v_cndmask_b32_e32 v76, 0, v104, vcc
	v_add_u32_e32 v111, v80, v62
	v_cndmask_b32_e32 v62, 0, v105, vcc
	v_add_co_u32_e32 v80, vcc, v76, v50
	v_addc_co_u32_e32 v81, vcc, v62, v51, vcc
	v_cndmask_b32_e64 v76, 0, v80, s[26:27]
	v_cndmask_b32_e64 v62, 0, v81, s[26:27]
	v_add_co_u32_e32 v82, vcc, v76, v54
	v_addc_co_u32_e32 v83, vcc, v62, v55, vcc
	v_cndmask_b32_e64 v76, 0, v82, s[24:25]
	v_cndmask_b32_e64 v62, 0, v83, s[24:25]
	;; [unrolled: 4-line block ×11, first 2 shown]
	v_add_co_u32_e32 v102, vcc, v76, v36
	v_addc_co_u32_e32 v103, vcc, v62, v37, vcc
	s_barrier
	ds_read_b32 v62, v106 offset:4096
	ds_read_b64 v[76:77], v106 offset:4104
	ds_read_b32 v78, v106 offset:4112
	ds_read_b64 v[114:115], v106 offset:4120
	v_cndmask_b32_e64 v107, 0, v102, s[4:5]
	v_cndmask_b32_e64 v79, 0, v103, s[4:5]
	v_add_co_u32_e32 v106, vcc, v107, v30
	v_addc_co_u32_e32 v107, vcc, v79, v31, vcc
	s_waitcnt lgkmcnt(3)
	v_cmp_eq_u32_e32 vcc, 0, v62
	s_waitcnt lgkmcnt(0)
	v_cndmask_b32_e32 v114, 0, v114, vcc
	v_cndmask_b32_e32 v79, 0, v115, vcc
	v_add_co_u32_e32 v76, vcc, v114, v76
	v_cndmask_b32_e64 v109, 0, v107, s[2:3]
	v_cndmask_b32_e64 v108, 0, v106, s[2:3]
	v_addc_co_u32_e32 v77, vcc, v79, v77, vcc
	s_branch .LBB519_215
.LBB519_187:
                                        ; implicit-def: $vgpr62
                                        ; implicit-def: $vgpr76_vgpr77
                                        ; implicit-def: $vgpr78
                                        ; implicit-def: $vgpr104_vgpr105
                                        ; implicit-def: $vgpr80_vgpr81
                                        ; implicit-def: $vgpr82_vgpr83
                                        ; implicit-def: $vgpr84_vgpr85
                                        ; implicit-def: $vgpr86_vgpr87
                                        ; implicit-def: $vgpr88_vgpr89
                                        ; implicit-def: $vgpr90_vgpr91
                                        ; implicit-def: $vgpr92_vgpr93
                                        ; implicit-def: $vgpr94_vgpr95
                                        ; implicit-def: $vgpr96_vgpr97
                                        ; implicit-def: $vgpr98_vgpr99
                                        ; implicit-def: $vgpr100_vgpr101
                                        ; implicit-def: $vgpr102_vgpr103
                                        ; implicit-def: $vgpr106_vgpr107
                                        ; implicit-def: $vgpr108_vgpr109
                                        ; implicit-def: $vgpr111
	s_cbranch_execz .LBB519_215
; %bb.188:
	s_and_b64 s[2:3], s[30:31], exec
	s_cselect_b32 s3, 0, s65
	s_cselect_b32 s2, 0, s64
	s_cmp_eq_u64 s[2:3], 0
	v_pk_mov_b32 v[78:79], v[50:51], v[50:51] op_sel:[0,1]
	s_cbranch_scc1 .LBB519_190
; %bb.189:
	v_mov_b32_e32 v62, 0
	global_load_dwordx2 v[78:79], v62, s[2:3]
.LBB519_190:
	v_cmp_eq_u32_e64 s[24:25], 0, v75
	s_waitcnt lgkmcnt(0)
	v_cndmask_b32_e64 v76, 0, v50, s[24:25]
	v_cndmask_b32_e64 v62, 0, v51, s[24:25]
	v_add_co_u32_e32 v76, vcc, v76, v54
	v_cmp_eq_u32_e64 s[22:23], 0, v72
	v_addc_co_u32_e32 v62, vcc, v62, v55, vcc
	v_cndmask_b32_e64 v76, 0, v76, s[22:23]
	v_cndmask_b32_e64 v62, 0, v62, s[22:23]
	v_add_co_u32_e32 v76, vcc, v76, v52
	v_cmp_eq_u32_e64 s[20:21], 0, v73
	v_addc_co_u32_e32 v62, vcc, v62, v53, vcc
	;; [unrolled: 5-line block ×11, first 2 shown]
	v_cndmask_b32_e64 v76, 0, v76, s[4:5]
	v_cndmask_b32_e64 v62, 0, v62, s[4:5]
	v_add_co_u32_e32 v76, vcc, v76, v30
	v_addc_co_u32_e32 v62, vcc, v62, v31, vcc
	v_cmp_eq_u32_e32 vcc, 0, v63
	v_cndmask_b32_e32 v76, 0, v76, vcc
	v_cndmask_b32_e32 v62, 0, v62, vcc
	v_add_co_u32_e64 v76, s[26:27], v76, v60
	v_addc_co_u32_e64 v62, s[26:27], v62, v61, s[26:27]
	v_add3_u32 v77, v113, v71, v68
	v_cmp_eq_u32_e64 s[26:27], 0, v1
	v_add3_u32 v77, v77, v69, v66
	v_cndmask_b32_e64 v76, 0, v76, s[26:27]
	v_add3_u32 v77, v77, v67, v64
	v_cndmask_b32_e64 v62, 0, v62, s[26:27]
	v_add_co_u32_e64 v32, s[26:27], v76, v32
	v_add3_u32 v77, v77, v65, v110
	v_addc_co_u32_e64 v33, s[26:27], v62, v33, s[26:27]
	v_mbcnt_hi_u32_b32 v62, -1, v112
	v_add3_u32 v80, v77, v63, v1
	v_and_b32_e32 v76, 15, v62
	v_mov_b32_dpp v77, v32 row_shr:1 row_mask:0xf bank_mask:0xf
	v_mov_b32_dpp v81, v80 row_shr:1 row_mask:0xf bank_mask:0xf
	;; [unrolled: 1-line block ×3, first 2 shown]
	v_cmp_ne_u32_e64 s[26:27], 0, v76
	s_and_saveexec_b64 s[28:29], s[26:27]
; %bb.191:
	v_cmp_eq_u32_e64 s[26:27], 0, v80
	v_cndmask_b32_e64 v77, 0, v77, s[26:27]
	v_add_u32_e32 v81, v81, v80
	v_cndmask_b32_e64 v80, 0, v82, s[26:27]
	v_add_co_u32_e64 v32, s[26:27], v77, v32
	v_addc_co_u32_e64 v33, s[26:27], v80, v33, s[26:27]
	v_mov_b32_e32 v80, v81
; %bb.192:
	s_or_b64 exec, exec, s[28:29]
	s_nop 0
	v_mov_b32_dpp v81, v80 row_shr:2 row_mask:0xf bank_mask:0xf
	v_mov_b32_dpp v77, v32 row_shr:2 row_mask:0xf bank_mask:0xf
	v_mov_b32_dpp v82, v33 row_shr:2 row_mask:0xf bank_mask:0xf
	v_cmp_lt_u32_e64 s[26:27], 1, v76
	s_and_saveexec_b64 s[28:29], s[26:27]
; %bb.193:
	v_cmp_eq_u32_e64 s[26:27], 0, v80
	v_cndmask_b32_e64 v77, 0, v77, s[26:27]
	v_add_u32_e32 v81, v81, v80
	v_cndmask_b32_e64 v80, 0, v82, s[26:27]
	v_add_co_u32_e64 v32, s[26:27], v77, v32
	v_addc_co_u32_e64 v33, s[26:27], v80, v33, s[26:27]
	v_mov_b32_e32 v80, v81
; %bb.194:
	s_or_b64 exec, exec, s[28:29]
	s_nop 0
	v_mov_b32_dpp v81, v80 row_shr:4 row_mask:0xf bank_mask:0xf
	v_mov_b32_dpp v77, v32 row_shr:4 row_mask:0xf bank_mask:0xf
	v_mov_b32_dpp v82, v33 row_shr:4 row_mask:0xf bank_mask:0xf
	v_cmp_lt_u32_e64 s[26:27], 3, v76
	s_and_saveexec_b64 s[28:29], s[26:27]
; %bb.195:
	v_cmp_eq_u32_e64 s[26:27], 0, v80
	v_cndmask_b32_e64 v77, 0, v77, s[26:27]
	v_add_u32_e32 v81, v81, v80
	v_cndmask_b32_e64 v80, 0, v82, s[26:27]
	v_add_co_u32_e64 v32, s[26:27], v77, v32
	v_addc_co_u32_e64 v33, s[26:27], v80, v33, s[26:27]
	v_mov_b32_e32 v80, v81
; %bb.196:
	s_or_b64 exec, exec, s[28:29]
	s_nop 0
	v_mov_b32_dpp v81, v80 row_shr:8 row_mask:0xf bank_mask:0xf
	v_mov_b32_dpp v77, v32 row_shr:8 row_mask:0xf bank_mask:0xf
	v_mov_b32_dpp v82, v33 row_shr:8 row_mask:0xf bank_mask:0xf
	v_cmp_lt_u32_e64 s[26:27], 7, v76
	s_and_saveexec_b64 s[28:29], s[26:27]
; %bb.197:
	v_cmp_eq_u32_e64 s[26:27], 0, v80
	v_cndmask_b32_e64 v77, 0, v77, s[26:27]
	v_add_u32_e32 v76, v81, v80
	v_cndmask_b32_e64 v80, 0, v82, s[26:27]
	v_add_co_u32_e64 v32, s[26:27], v77, v32
	v_addc_co_u32_e64 v33, s[26:27], v80, v33, s[26:27]
	v_mov_b32_e32 v80, v76
; %bb.198:
	s_or_b64 exec, exec, s[28:29]
	v_and_b32_e32 v82, 16, v62
	v_mov_b32_dpp v77, v80 row_bcast:15 row_mask:0xf bank_mask:0xf
	v_mov_b32_dpp v76, v32 row_bcast:15 row_mask:0xf bank_mask:0xf
	;; [unrolled: 1-line block ×3, first 2 shown]
	v_cmp_ne_u32_e64 s[26:27], 0, v82
	s_and_saveexec_b64 s[28:29], s[26:27]
; %bb.199:
	v_cmp_eq_u32_e64 s[26:27], 0, v80
	v_cndmask_b32_e64 v76, 0, v76, s[26:27]
	v_add_u32_e32 v77, v77, v80
	v_cndmask_b32_e64 v80, 0, v81, s[26:27]
	v_add_co_u32_e64 v32, s[26:27], v76, v32
	v_addc_co_u32_e64 v33, s[26:27], v80, v33, s[26:27]
	v_mov_b32_e32 v80, v77
; %bb.200:
	s_or_b64 exec, exec, s[28:29]
	s_nop 0
	v_mov_b32_dpp v77, v80 row_bcast:31 row_mask:0xf bank_mask:0xf
	v_mov_b32_dpp v76, v32 row_bcast:31 row_mask:0xf bank_mask:0xf
	;; [unrolled: 1-line block ×3, first 2 shown]
	v_cmp_lt_u32_e64 s[26:27], 31, v62
	s_and_saveexec_b64 s[28:29], s[26:27]
; %bb.201:
	v_cmp_eq_u32_e64 s[26:27], 0, v80
	v_cndmask_b32_e64 v76, 0, v76, s[26:27]
	v_add_u32_e32 v77, v77, v80
	v_cndmask_b32_e64 v80, 0, v81, s[26:27]
	v_add_co_u32_e64 v32, s[26:27], v76, v32
	v_addc_co_u32_e64 v33, s[26:27], v80, v33, s[26:27]
	v_mov_b32_e32 v80, v77
; %bb.202:
	s_or_b64 exec, exec, s[28:29]
	v_or_b32_e32 v76, 63, v0
	v_lshrrev_b32_e32 v81, 6, v0
	v_cmp_eq_u32_e64 s[26:27], v76, v0
	s_and_saveexec_b64 s[28:29], s[26:27]
	s_cbranch_execz .LBB519_204
; %bb.203:
	v_lshlrev_b32_e32 v76, 4, v81
	ds_write_b32 v76, v80 offset:4128
	ds_write_b64 v76, v[32:33] offset:4136
.LBB519_204:
	s_or_b64 exec, exec, s[28:29]
	v_cmp_gt_u32_e64 s[26:27], 4, v0
	s_waitcnt lgkmcnt(0)
	s_barrier
	s_and_saveexec_b64 s[28:29], s[26:27]
	s_cbranch_execz .LBB519_210
; %bb.205:
	v_lshlrev_b32_e32 v82, 4, v0
	ds_read_b32 v83, v82 offset:4128
	ds_read_b64 v[76:77], v82 offset:4136
	v_and_b32_e32 v84, 3, v62
	v_cmp_ne_u32_e64 s[26:27], 0, v84
	s_waitcnt lgkmcnt(1)
	v_mov_b32_dpp v86, v83 row_shr:1 row_mask:0xf bank_mask:0xf
	s_waitcnt lgkmcnt(0)
	v_mov_b32_dpp v85, v76 row_shr:1 row_mask:0xf bank_mask:0xf
	v_mov_b32_dpp v87, v77 row_shr:1 row_mask:0xf bank_mask:0xf
	s_and_saveexec_b64 s[34:35], s[26:27]
; %bb.206:
	v_cmp_eq_u32_e64 s[26:27], 0, v83
	v_cndmask_b32_e64 v85, 0, v85, s[26:27]
	v_add_u32_e32 v86, v86, v83
	v_cndmask_b32_e64 v83, 0, v87, s[26:27]
	v_add_co_u32_e64 v76, s[26:27], v85, v76
	v_addc_co_u32_e64 v77, s[26:27], v83, v77, s[26:27]
	v_mov_b32_e32 v83, v86
; %bb.207:
	s_or_b64 exec, exec, s[34:35]
	s_nop 0
	v_mov_b32_dpp v86, v83 row_shr:2 row_mask:0xf bank_mask:0xf
	v_mov_b32_dpp v85, v76 row_shr:2 row_mask:0xf bank_mask:0xf
	;; [unrolled: 1-line block ×3, first 2 shown]
	v_cmp_lt_u32_e64 s[26:27], 1, v84
	s_and_saveexec_b64 s[34:35], s[26:27]
; %bb.208:
	v_cmp_eq_u32_e64 s[26:27], 0, v83
	v_cndmask_b32_e64 v85, 0, v85, s[26:27]
	v_add_u32_e32 v84, v86, v83
	v_cndmask_b32_e64 v83, 0, v87, s[26:27]
	v_add_co_u32_e64 v76, s[26:27], v85, v76
	v_addc_co_u32_e64 v77, s[26:27], v83, v77, s[26:27]
	v_mov_b32_e32 v83, v84
; %bb.209:
	s_or_b64 exec, exec, s[34:35]
	ds_write_b32 v82, v83 offset:4128
	ds_write_b64 v82, v[76:77] offset:4136
.LBB519_210:
	s_or_b64 exec, exec, s[28:29]
	v_cmp_lt_u32_e64 s[26:27], 63, v0
	v_mov_b32_e32 v112, 0
	v_mov_b32_e32 v82, 0
	s_waitcnt vmcnt(0)
	v_pk_mov_b32 v[76:77], v[78:79], v[78:79] op_sel:[0,1]
	s_waitcnt lgkmcnt(0)
	s_barrier
	s_and_saveexec_b64 s[28:29], s[26:27]
	s_cbranch_execz .LBB519_212
; %bb.211:
	v_lshlrev_b32_e32 v76, 4, v81
	ds_read_b32 v82, v76 offset:4112
	ds_read_b64 v[76:77], v76 offset:4120
	s_waitcnt lgkmcnt(1)
	v_cmp_eq_u32_e64 s[26:27], 0, v82
	v_cndmask_b32_e64 v83, 0, v78, s[26:27]
	v_cndmask_b32_e64 v81, 0, v79, s[26:27]
	s_waitcnt lgkmcnt(0)
	v_add_co_u32_e64 v76, s[26:27], v83, v76
	v_addc_co_u32_e64 v77, s[26:27], v81, v77, s[26:27]
.LBB519_212:
	s_or_b64 exec, exec, s[28:29]
	v_cmp_eq_u32_e64 s[26:27], 0, v80
	v_cndmask_b32_e64 v83, 0, v76, s[26:27]
	v_add_u32_e32 v81, v82, v80
	v_cndmask_b32_e64 v80, 0, v77, s[26:27]
	v_add_co_u32_e64 v32, s[26:27], v83, v32
	v_addc_co_u32_e64 v33, s[26:27], v80, v33, s[26:27]
	v_add_u32_e32 v80, -1, v62
	v_and_b32_e32 v83, 64, v62
	v_cmp_lt_i32_e64 s[26:27], v80, v83
	v_cndmask_b32_e64 v80, v80, v62, s[26:27]
	v_lshlrev_b32_e32 v80, 2, v80
	ds_bpermute_b32 v32, v80, v32
	ds_bpermute_b32 v81, v80, v81
	;; [unrolled: 1-line block ×3, first 2 shown]
	v_cmp_eq_u32_e64 s[26:27], 0, v62
	ds_read_b32 v62, v112 offset:4176
	s_waitcnt lgkmcnt(3)
	v_cndmask_b32_e64 v104, v32, v76, s[26:27]
	s_waitcnt lgkmcnt(2)
	v_cndmask_b32_e64 v111, v81, v82, s[26:27]
	;; [unrolled: 2-line block ×3, first 2 shown]
	v_cndmask_b32_e64 v32, v104, v78, s[0:1]
	v_cmp_eq_u32_e64 s[26:27], 0, v74
	v_cndmask_b32_e64 v33, v105, v79, s[0:1]
	v_cndmask_b32_e64 v32, 0, v32, s[26:27]
	;; [unrolled: 1-line block ×3, first 2 shown]
	v_add_co_u32_e64 v80, s[26:27], v32, v50
	v_addc_co_u32_e64 v81, s[26:27], v33, v51, s[26:27]
	v_cndmask_b32_e64 v33, 0, v80, s[24:25]
	v_cndmask_b32_e64 v32, 0, v81, s[24:25]
	v_add_co_u32_e64 v82, s[24:25], v33, v54
	v_addc_co_u32_e64 v83, s[24:25], v32, v55, s[24:25]
	v_cndmask_b32_e64 v33, 0, v82, s[22:23]
	v_cndmask_b32_e64 v32, 0, v83, s[22:23]
	;; [unrolled: 4-line block ×12, first 2 shown]
	v_add_co_u32_e64 v106, s[2:3], v33, v30
	v_addc_co_u32_e64 v107, s[2:3], v32, v31, s[2:3]
	ds_read_b64 v[30:31], v112 offset:4184
	v_cndmask_b32_e32 v109, 0, v107, vcc
	v_cndmask_b32_e32 v108, 0, v106, vcc
	s_waitcnt lgkmcnt(1)
	v_cmp_eq_u32_e32 vcc, 0, v62
	v_cndmask_b32_e32 v33, 0, v78, vcc
	v_cndmask_b32_e32 v32, 0, v79, vcc
	s_waitcnt lgkmcnt(0)
	v_add_co_u32_e32 v76, vcc, v33, v30
	v_addc_co_u32_e32 v77, vcc, v32, v31, vcc
	s_and_saveexec_b64 s[2:3], s[0:1]
	s_cbranch_execz .LBB519_214
; %bb.213:
	v_mov_b32_e32 v111, 0
	v_mov_b32_e32 v30, 2
	v_pk_mov_b32 v[104:105], v[78:79], v[78:79] op_sel:[0,1]
	global_store_dword v111, v62, s[38:39] offset:1024
	global_store_dwordx2 v111, v[76:77], s[38:39] offset:1032
	s_waitcnt vmcnt(0)
	buffer_wbinvl1_vol
	global_store_byte v111, v30, s[40:41] offset:64
.LBB519_214:
	s_or_b64 exec, exec, s[2:3]
	v_mov_b32_e32 v78, 0
.LBB519_215:
	s_and_b64 s[2:3], s[30:31], exec
	s_cselect_b32 s3, 0, s51
	s_cselect_b32 s2, 0, s50
	s_cmp_eq_u64 s[2:3], 0
	v_pk_mov_b32 v[30:31], 0, 0
	s_waitcnt lgkmcnt(0)
	s_barrier
	s_cbranch_scc1 .LBB519_217
; %bb.216:
	v_mov_b32_e32 v30, 0
	global_load_dwordx2 v[30:31], v30, s[2:3]
.LBB519_217:
	s_waitcnt vmcnt(0)
	v_lshlrev_b64 v[32:33], 3, v[30:31]
	v_mov_b32_e32 v34, s59
	v_add_co_u32_e32 v50, vcc, s58, v32
	v_mov_b32_e32 v79, 0
	v_addc_co_u32_e32 v51, vcc, v34, v33, vcc
	v_lshlrev_b64 v[34:35], 3, v[78:79]
	v_add_co_u32_e32 v50, vcc, v50, v34
	v_addc_co_u32_e32 v51, vcc, v51, v35, vcc
	v_cmp_eq_u32_e32 vcc, 0, v74
	v_cndmask_b32_e64 v52, 1, 2, vcc
	v_cmp_eq_u32_e32 vcc, 0, v75
	v_cndmask_b32_e64 v53, 1, 2, vcc
	v_cmp_eq_u32_e32 vcc, 0, v72
	v_and_b32_e32 v52, v53, v52
	v_cndmask_b32_e64 v53, 1, 2, vcc
	v_cmp_eq_u32_e32 vcc, 0, v73
	v_add_u32_e32 v49, v111, v74
	v_and_b32_e32 v52, v52, v53
	v_cndmask_b32_e64 v53, 1, 2, vcc
	v_cmp_eq_u32_e32 vcc, 0, v70
	v_add_u32_e32 v48, v49, v75
	v_and_b32_e32 v52, v52, v53
	v_cndmask_b32_e64 v53, 1, 2, vcc
	v_cmp_eq_u32_e32 vcc, 0, v71
	v_add_u32_e32 v47, v48, v72
	v_and_b32_e32 v52, v52, v53
	v_cndmask_b32_e64 v53, 1, 2, vcc
	v_cmp_eq_u32_e32 vcc, 0, v68
	v_add_u32_e32 v46, v47, v73
	v_and_b32_e32 v52, v52, v53
	v_cndmask_b32_e64 v53, 1, 2, vcc
	v_cmp_eq_u32_e32 vcc, 0, v69
	v_add_u32_e32 v45, v46, v70
	v_and_b32_e32 v52, v52, v53
	v_cndmask_b32_e64 v53, 1, 2, vcc
	v_cmp_eq_u32_e32 vcc, 0, v66
	v_add_u32_e32 v44, v45, v71
	v_and_b32_e32 v52, v52, v53
	v_cndmask_b32_e64 v53, 1, 2, vcc
	v_cmp_eq_u32_e32 vcc, 0, v67
	v_add_u32_e32 v43, v44, v68
	v_and_b32_e32 v52, v52, v53
	v_cndmask_b32_e64 v53, 1, 2, vcc
	v_cmp_eq_u32_e32 vcc, 0, v64
	v_add_u32_e32 v42, v43, v69
	v_and_b32_e32 v52, v52, v53
	v_cndmask_b32_e64 v53, 1, 2, vcc
	v_cmp_eq_u32_e32 vcc, 0, v65
	v_add_u32_e32 v41, v42, v66
	v_and_b32_e32 v52, v52, v53
	v_cndmask_b32_e64 v53, 1, 2, vcc
	v_cmp_eq_u32_e32 vcc, 0, v110
	v_add_u32_e32 v40, v41, v67
	v_and_b32_e32 v52, v52, v53
	v_cndmask_b32_e64 v53, 1, 2, vcc
	v_cmp_eq_u32_e32 vcc, 0, v63
	v_add_u32_e32 v39, v40, v64
	v_and_b32_e32 v52, v52, v53
	v_cndmask_b32_e64 v53, 1, 2, vcc
	v_cmp_eq_u32_e32 vcc, 0, v1
	v_add_u32_e32 v38, v39, v65
	v_and_b32_e32 v52, v52, v53
	v_cndmask_b32_e64 v53, 1, 2, vcc
	s_movk_i32 s34, 0x100
	v_add_u32_e32 v37, v38, v110
	v_and_b32_e32 v52, v52, v53
	v_cmp_gt_u32_e32 vcc, s34, v62
	v_add_u32_e32 v36, v37, v63
	v_cmp_ne_u32_e64 s[30:31], 0, v74
	v_cmp_ne_u32_e64 s[28:29], 0, v75
	;; [unrolled: 1-line block ×15, first 2 shown]
	s_mov_b64 s[36:37], -1
	v_cmp_gt_i16_e64 s[34:35], 2, v52
	s_cbranch_vccz .LBB519_224
; %bb.218:
	s_and_saveexec_b64 s[36:37], s[34:35]
	s_cbranch_execz .LBB519_223
; %bb.219:
	v_cmp_ne_u16_e32 vcc, 1, v52
	s_mov_b64 s[38:39], 0
	s_and_saveexec_b64 s[34:35], vcc
	s_xor_b64 s[34:35], exec, s[34:35]
	s_cbranch_execnz .LBB519_289
; %bb.220:
	s_andn2_saveexec_b64 s[34:35], s[34:35]
	s_cbranch_execnz .LBB519_305
.LBB519_221:
	s_or_b64 exec, exec, s[34:35]
	s_and_b64 exec, exec, s[38:39]
	s_cbranch_execz .LBB519_223
.LBB519_222:
	v_sub_u32_e32 v54, v36, v78
	v_mov_b32_e32 v55, 0
	v_lshlrev_b64 v[54:55], 3, v[54:55]
	v_add_co_u32_e32 v54, vcc, v50, v54
	v_addc_co_u32_e32 v55, vcc, v51, v55, vcc
	global_store_dwordx2 v[54:55], v[58:59], off
.LBB519_223:
	s_or_b64 exec, exec, s[36:37]
	s_mov_b64 s[36:37], 0
.LBB519_224:
	s_and_b64 vcc, exec, s[36:37]
	s_cbranch_vccz .LBB519_234
; %bb.225:
	v_cmp_gt_i16_e32 vcc, 2, v52
	s_and_saveexec_b64 s[34:35], vcc
	s_cbranch_execz .LBB519_230
; %bb.226:
	v_cmp_ne_u16_e32 vcc, 1, v52
	s_mov_b64 s[38:39], 0
	s_and_saveexec_b64 s[36:37], vcc
	s_xor_b64 s[36:37], exec, s[36:37]
	s_cbranch_execnz .LBB519_306
; %bb.227:
	s_andn2_saveexec_b64 s[2:3], s[36:37]
	s_cbranch_execnz .LBB519_322
.LBB519_228:
	s_or_b64 exec, exec, s[2:3]
	s_and_b64 exec, exec, s[38:39]
	s_cbranch_execz .LBB519_230
.LBB519_229:
	v_sub_u32_e32 v2, v36, v78
	v_lshlrev_b32_e32 v2, 3, v2
	ds_write_b64 v2, v[58:59]
.LBB519_230:
	s_or_b64 exec, exec, s[34:35]
	v_cmp_lt_u32_e32 vcc, v0, v62
	s_waitcnt lgkmcnt(0)
	s_barrier
	s_and_saveexec_b64 s[2:3], vcc
	s_cbranch_execz .LBB519_233
; %bb.231:
	v_lshlrev_b32_e32 v4, 3, v0
	s_mov_b64 s[4:5], 0
	v_mov_b32_e32 v3, 0
	v_mov_b32_e32 v2, v0
.LBB519_232:                            ; =>This Inner Loop Header: Depth=1
	v_lshlrev_b64 v[6:7], 3, v[2:3]
	ds_read_b64 v[8:9], v4
	v_add_co_u32_e32 v6, vcc, v50, v6
	v_add_u32_e32 v2, 0x100, v2
	v_addc_co_u32_e32 v7, vcc, v51, v7, vcc
	v_cmp_ge_u32_e32 vcc, v2, v62
	v_add_u32_e32 v4, 0x800, v4
	s_or_b64 s[4:5], vcc, s[4:5]
	s_waitcnt lgkmcnt(0)
	global_store_dwordx2 v[6:7], v[8:9], off
	s_andn2_b64 exec, exec, s[4:5]
	s_cbranch_execnz .LBB519_232
.LBB519_233:
	s_or_b64 exec, exec, s[2:3]
.LBB519_234:
	s_cmpk_lg_i32 s33, 0xf00
	s_cselect_b64 s[2:3], -1, 0
	v_cndmask_b32_e64 v8, 0, 1, s[46:47]
	s_and_b64 s[2:3], s[2:3], s[44:45]
	v_sub_u32_e32 v4, v62, v8
	v_cndmask_b32_e64 v5, 0, 1, s[2:3]
	s_and_b64 s[0:1], s[0:1], s[46:47]
	v_add_co_u32_e32 v2, vcc, v108, v60
	v_add_u32_e32 v4, v4, v5
	v_cndmask_b32_e64 v5, v74, 0, s[0:1]
	s_mul_hi_u32 s0, s33, 0x88888889
	v_addc_co_u32_e32 v3, vcc, v109, v61, vcc
	s_lshr_b32 s0, s0, 3
	v_mad_i32_i24 v6, v0, -15, s33
	v_cmp_eq_u32_e32 vcc, s0, v0
	v_cmp_ne_u32_e64 s[0:1], 0, v6
	v_cndmask_b32_e64 v7, 1, v5, s[0:1]
	v_cmp_ne_u32_e64 s[0:1], 1, v6
	v_cndmask_b32_e64 v9, 1, v75, s[0:1]
	;; [unrolled: 2-line block ×15, first 2 shown]
	s_and_b64 vcc, vcc, s[44:45]
	v_cndmask_b32_e32 v22, v1, v6, vcc
	v_cndmask_b32_e32 v21, v63, v21, vcc
	;; [unrolled: 1-line block ×15, first 2 shown]
	v_mov_b32_e32 v1, s61
	v_add_co_u32_e32 v5, vcc, s60, v32
	v_addc_co_u32_e32 v6, vcc, v1, v33, vcc
	v_add_co_u32_e32 v1, vcc, v5, v34
	v_addc_co_u32_e32 v5, vcc, v6, v35, vcc
	v_lshlrev_b32_e32 v6, 3, v8
	v_add_co_u32_e32 v6, vcc, v6, v1
	v_addc_co_u32_e32 v7, vcc, 0, v5, vcc
	v_add_co_u32_e32 v6, vcc, -8, v6
	v_addc_co_u32_e32 v7, vcc, -1, v7, vcc
	v_cmp_eq_u32_e32 vcc, 0, v23
	v_cmp_ne_u32_e64 s[28:29], 0, v23
	v_cndmask_b32_e64 v23, 1, 2, vcc
	v_cmp_eq_u32_e32 vcc, 0, v9
	v_cmp_ne_u32_e64 s[26:27], 0, v9
	v_cndmask_b32_e64 v9, 1, 2, vcc
	v_cmp_eq_u32_e32 vcc, 0, v10
	v_and_b32_e32 v9, v9, v23
	v_cmp_ne_u32_e64 s[24:25], 0, v10
	v_cndmask_b32_e64 v10, 1, 2, vcc
	v_cmp_eq_u32_e32 vcc, 0, v11
	v_and_b32_e32 v9, v9, v10
	v_cndmask_b32_e64 v10, 1, 2, vcc
	v_cmp_eq_u32_e32 vcc, 0, v12
	v_and_b32_e32 v9, v9, v10
	;; [unrolled: 3-line block ×12, first 2 shown]
	v_cndmask_b32_e64 v10, 1, 2, vcc
	s_movk_i32 s30, 0x100
	v_and_b32_e32 v9, v9, v10
	v_cmp_gt_u32_e32 vcc, s30, v4
	v_add_u32_e32 v8, v78, v8
	v_cmp_ne_u32_e64 s[22:23], 0, v11
	v_cmp_ne_u32_e64 s[20:21], 0, v12
	;; [unrolled: 1-line block ×12, first 2 shown]
	s_mov_b64 s[34:35], -1
	v_cmp_gt_i16_e64 s[30:31], 2, v9
	s_barrier
	s_cbranch_vccz .LBB519_241
; %bb.235:
	s_and_saveexec_b64 s[34:35], s[30:31]
	s_cbranch_execz .LBB519_240
; %bb.236:
	v_cmp_ne_u16_e32 vcc, 1, v9
	s_mov_b64 s[36:37], 0
	s_and_saveexec_b64 s[30:31], vcc
	s_xor_b64 s[30:31], exec, s[30:31]
	s_cbranch_execnz .LBB519_323
; %bb.237:
	s_andn2_saveexec_b64 s[30:31], s[30:31]
	s_cbranch_execnz .LBB519_339
.LBB519_238:
	s_or_b64 exec, exec, s[30:31]
	s_and_b64 exec, exec, s[36:37]
	s_cbranch_execz .LBB519_240
.LBB519_239:
	v_sub_u32_e32 v10, v36, v8
	v_mov_b32_e32 v11, 0
	v_lshlrev_b64 v[10:11], 3, v[10:11]
	v_add_co_u32_e32 v10, vcc, v6, v10
	v_addc_co_u32_e32 v11, vcc, v7, v11, vcc
	global_store_dwordx2 v[10:11], v[2:3], off
.LBB519_240:
	s_or_b64 exec, exec, s[34:35]
	s_mov_b64 s[34:35], 0
.LBB519_241:
	s_and_b64 vcc, exec, s[34:35]
	s_cbranch_vccz .LBB519_251
; %bb.242:
	v_cmp_gt_i16_e32 vcc, 2, v9
	s_and_saveexec_b64 s[30:31], vcc
	s_cbranch_execz .LBB519_247
; %bb.243:
	v_cmp_ne_u16_e32 vcc, 1, v9
	s_mov_b64 s[36:37], 0
	s_and_saveexec_b64 s[34:35], vcc
	s_xor_b64 s[34:35], exec, s[34:35]
	s_cbranch_execnz .LBB519_340
; %bb.244:
	s_andn2_saveexec_b64 s[0:1], s[34:35]
	s_cbranch_execnz .LBB519_356
.LBB519_245:
	s_or_b64 exec, exec, s[0:1]
	s_and_b64 exec, exec, s[36:37]
	s_cbranch_execz .LBB519_247
.LBB519_246:
	v_sub_u32_e32 v8, v36, v8
	v_lshlrev_b32_e32 v8, 3, v8
	ds_write_b64 v8, v[2:3]
.LBB519_247:
	s_or_b64 exec, exec, s[30:31]
	v_cmp_lt_u32_e32 vcc, v0, v4
	s_waitcnt lgkmcnt(0)
	s_barrier
	s_and_saveexec_b64 s[0:1], vcc
	s_cbranch_execz .LBB519_250
; %bb.248:
	v_lshlrev_b32_e32 v8, 3, v0
	s_mov_b64 s[2:3], 0
	v_mov_b32_e32 v3, 0
	v_mov_b32_e32 v2, v0
.LBB519_249:                            ; =>This Inner Loop Header: Depth=1
	v_lshlrev_b64 v[10:11], 3, v[2:3]
	ds_read_b64 v[12:13], v8
	v_add_co_u32_e32 v10, vcc, v6, v10
	v_add_u32_e32 v2, 0x100, v2
	v_addc_co_u32_e32 v11, vcc, v7, v11, vcc
	v_cmp_ge_u32_e32 vcc, v2, v4
	v_add_u32_e32 v8, 0x800, v8
	s_or_b64 s[2:3], vcc, s[2:3]
	s_waitcnt lgkmcnt(0)
	global_store_dwordx2 v[10:11], v[12:13], off
	s_andn2_b64 exec, exec, s[2:3]
	s_cbranch_execnz .LBB519_249
.LBB519_250:
	s_or_b64 exec, exec, s[0:1]
.LBB519_251:
	s_movk_i32 s0, 0xff
	v_cmp_eq_u32_e32 vcc, s0, v0
	s_and_b64 s[0:1], vcc, s[44:45]
	s_and_saveexec_b64 s[2:3], s[0:1]
	s_cbranch_execz .LBB519_254
; %bb.252:
	v_add_co_u32_e32 v0, vcc, v62, v78
	v_addc_co_u32_e64 v3, s[0:1], 0, 0, vcc
	v_add_co_u32_e32 v2, vcc, v0, v30
	v_mov_b32_e32 v63, 0
	v_addc_co_u32_e32 v3, vcc, v3, v31, vcc
	s_cmpk_lg_i32 s33, 0xf00
	global_store_dwordx2 v63, v[2:3], s[62:63]
	s_cbranch_scc1 .LBB519_254
; %bb.253:
	v_lshlrev_b64 v[2:3], 3, v[62:63]
	v_add_co_u32_e32 v0, vcc, v1, v2
	v_addc_co_u32_e32 v1, vcc, v5, v3, vcc
	global_store_dwordx2 v[0:1], v[76:77], off offset:-8
.LBB519_254:
	s_endpgm
.LBB519_255:
                                        ; implicit-def: $sgpr8_sgpr9
                                        ; implicit-def: $vgpr1
                                        ; implicit-def: $vgpr63
                                        ; implicit-def: $vgpr110
                                        ; implicit-def: $vgpr65
                                        ; implicit-def: $vgpr64
                                        ; implicit-def: $vgpr67
                                        ; implicit-def: $vgpr66
                                        ; implicit-def: $vgpr69
                                        ; implicit-def: $vgpr68
                                        ; implicit-def: $vgpr71
                                        ; implicit-def: $vgpr70
                                        ; implicit-def: $vgpr73
                                        ; implicit-def: $vgpr72
                                        ; implicit-def: $vgpr75
	s_cbranch_execz .LBB519_113
.LBB519_256:
	v_mad_u32_u24 v62, v0, 15, 14
	v_mov_b32_e32 v63, 0
	v_lshlrev_b32_e32 v78, 3, v0
	s_waitcnt lgkmcnt(0)
	v_mul_u32_u24_e32 v76, 15, v0
	v_cmp_gt_u64_e32 vcc, s[6:7], v[62:63]
	v_mov_b32_e32 v1, 0
	ds_write_b64 v78, v[58:59]
	s_and_saveexec_b64 s[8:9], vcc
; %bb.257:
	s_mov_b32 s10, 0x66666667
	v_mul_hi_i32 v1, v4, s10
	v_lshrrev_b32_e32 v62, 31, v1
	v_ashrrev_i32_e32 v1, 2, v1
	v_add_u32_e32 v1, v1, v62
	v_mul_hi_i32 v62, v58, s10
	v_lshrrev_b32_e32 v64, 31, v62
	v_ashrrev_i32_e32 v62, 2, v62
	v_add_u32_e32 v62, v62, v64
	v_cmp_ne_u32_e32 vcc, v1, v62
	v_cndmask_b32_e64 v1, 0, 1, vcc
; %bb.258:
	s_or_b64 exec, exec, s[8:9]
	v_add_u32_e32 v62, 13, v76
	v_cmp_gt_u64_e32 vcc, s[6:7], v[62:63]
	s_and_saveexec_b64 s[8:9], vcc
; %bb.259:
	s_mov_b32 s10, 0x66666667
	v_mul_hi_i32 v62, v2, s10
	v_lshrrev_b32_e32 v63, 31, v62
	v_ashrrev_i32_e32 v62, 2, v62
	v_add_u32_e32 v62, v62, v63
	v_mul_hi_i32 v63, v4, s10
	v_lshrrev_b32_e32 v64, 31, v63
	v_ashrrev_i32_e32 v63, 2, v63
	v_add_u32_e32 v63, v63, v64
	v_cmp_ne_u32_e32 vcc, v62, v63
	v_cndmask_b32_e64 v63, 0, 1, vcc
; %bb.260:
	s_or_b64 exec, exec, s[8:9]
	v_add_u32_e32 v64, 12, v76
	v_mov_b32_e32 v65, 0
	v_cmp_gt_u64_e32 vcc, s[6:7], v[64:65]
	v_mov_b32_e32 v110, 0
	s_and_saveexec_b64 s[8:9], vcc
; %bb.261:
	s_mov_b32 s10, 0x66666667
	v_mul_hi_i32 v62, v8, s10
	v_lshrrev_b32_e32 v64, 31, v62
	v_ashrrev_i32_e32 v62, 2, v62
	v_add_u32_e32 v62, v62, v64
	v_mul_hi_i32 v64, v2, s10
	v_lshrrev_b32_e32 v66, 31, v64
	v_ashrrev_i32_e32 v64, 2, v64
	v_add_u32_e32 v64, v64, v66
	v_cmp_ne_u32_e32 vcc, v62, v64
	v_cndmask_b32_e64 v110, 0, 1, vcc
; %bb.262:
	s_or_b64 exec, exec, s[8:9]
	v_add_u32_e32 v64, 11, v76
	v_cmp_gt_u64_e32 vcc, s[6:7], v[64:65]
	s_and_saveexec_b64 s[8:9], vcc
; %bb.263:
	s_mov_b32 s10, 0x66666667
	v_mul_hi_i32 v62, v6, s10
	v_lshrrev_b32_e32 v64, 31, v62
	v_ashrrev_i32_e32 v62, 2, v62
	v_add_u32_e32 v62, v62, v64
	v_mul_hi_i32 v64, v8, s10
	v_lshrrev_b32_e32 v65, 31, v64
	v_ashrrev_i32_e32 v64, 2, v64
	v_add_u32_e32 v64, v64, v65
	v_cmp_ne_u32_e32 vcc, v62, v64
	v_cndmask_b32_e64 v65, 0, 1, vcc
; %bb.264:
	s_or_b64 exec, exec, s[8:9]
	v_add_u32_e32 v66, 10, v76
	v_mov_b32_e32 v67, 0
	v_cmp_gt_u64_e32 vcc, s[6:7], v[66:67]
	v_mov_b32_e32 v64, 0
	;; [unrolled: 36-line block ×6, first 2 shown]
	s_and_saveexec_b64 s[8:9], vcc
; %bb.281:
	s_mov_b32 s10, 0x66666667
	v_mul_hi_i32 v62, v28, s10
	v_lshrrev_b32_e32 v72, 31, v62
	v_ashrrev_i32_e32 v62, 2, v62
	v_add_u32_e32 v62, v62, v72
	v_mul_hi_i32 v72, v22, s10
	v_lshrrev_b32_e32 v74, 31, v72
	v_ashrrev_i32_e32 v72, 2, v72
	v_add_u32_e32 v72, v72, v74
	v_cmp_ne_u32_e32 vcc, v62, v72
	v_cndmask_b32_e64 v72, 0, 1, vcc
; %bb.282:
	s_or_b64 exec, exec, s[8:9]
	v_add_u32_e32 v74, 1, v76
	v_cmp_gt_u64_e32 vcc, s[6:7], v[74:75]
	s_and_saveexec_b64 s[8:9], vcc
; %bb.283:
	s_mov_b32 s10, 0x66666667
	v_mul_hi_i32 v62, v26, s10
	v_lshrrev_b32_e32 v74, 31, v62
	v_ashrrev_i32_e32 v62, 2, v62
	v_add_u32_e32 v62, v62, v74
	v_mul_hi_i32 v74, v28, s10
	v_lshrrev_b32_e32 v75, 31, v74
	v_ashrrev_i32_e32 v74, 2, v74
	v_add_u32_e32 v74, v74, v75
	v_cmp_ne_u32_e32 vcc, v62, v74
	v_cndmask_b32_e64 v75, 0, 1, vcc
; %bb.284:
	s_or_b64 exec, exec, s[8:9]
	s_waitcnt lgkmcnt(0)
	s_barrier
	s_waitcnt lgkmcnt(0)
                                        ; implicit-def: $sgpr8_sgpr9
	s_and_saveexec_b64 s[10:11], s[2:3]
	s_cbranch_execz .LBB519_288
; %bb.285:
	v_mov_b32_e32 v77, 0
	v_cmp_gt_u64_e32 vcc, s[6:7], v[76:77]
	s_mov_b64 s[6:7], 0
	s_and_saveexec_b64 s[2:3], vcc
	s_cbranch_execz .LBB519_287
; %bb.286:
	v_add_u32_e32 v62, -8, v78
	ds_read_b32 v62, v62
	s_mov_b32 s6, 0x66666667
	v_mul_hi_i32 v74, v26, s6
	v_lshrrev_b32_e32 v76, 31, v74
	v_ashrrev_i32_e32 v74, 2, v74
	s_waitcnt lgkmcnt(0)
	v_mul_hi_i32 v62, v62, s6
	v_lshrrev_b32_e32 v77, 31, v62
	v_ashrrev_i32_e32 v62, 2, v62
	v_add_u32_e32 v62, v62, v77
	v_add_u32_e32 v74, v74, v76
	v_cmp_ne_u32_e32 vcc, v62, v74
	s_and_b64 s[6:7], vcc, exec
.LBB519_287:
	s_or_b64 exec, exec, s[2:3]
	s_and_b64 s[8:9], s[6:7], exec
	s_or_b64 s[4:5], s[4:5], exec
.LBB519_288:
	s_or_b64 exec, exec, s[10:11]
	s_mov_b32 s10, 1
	v_mov_b32_e32 v74, s10
	s_and_saveexec_b64 s[2:3], s[4:5]
	s_cbranch_execnz .LBB519_115
	s_branch .LBB519_116
.LBB519_289:
	s_and_saveexec_b64 s[38:39], s[30:31]
	s_cbranch_execnz .LBB519_357
; %bb.290:
	s_or_b64 exec, exec, s[38:39]
	s_and_saveexec_b64 s[38:39], s[28:29]
	s_cbranch_execnz .LBB519_358
.LBB519_291:
	s_or_b64 exec, exec, s[38:39]
	s_and_saveexec_b64 s[38:39], s[26:27]
	s_cbranch_execnz .LBB519_359
.LBB519_292:
	s_or_b64 exec, exec, s[38:39]
	s_and_saveexec_b64 s[38:39], s[24:25]
	s_cbranch_execnz .LBB519_360
.LBB519_293:
	s_or_b64 exec, exec, s[38:39]
	s_and_saveexec_b64 s[38:39], s[22:23]
	s_cbranch_execnz .LBB519_361
.LBB519_294:
	s_or_b64 exec, exec, s[38:39]
	s_and_saveexec_b64 s[38:39], s[20:21]
	s_cbranch_execnz .LBB519_362
.LBB519_295:
	s_or_b64 exec, exec, s[38:39]
	s_and_saveexec_b64 s[38:39], s[18:19]
	s_cbranch_execnz .LBB519_363
.LBB519_296:
	s_or_b64 exec, exec, s[38:39]
	s_and_saveexec_b64 s[38:39], s[16:17]
	s_cbranch_execnz .LBB519_364
.LBB519_297:
	s_or_b64 exec, exec, s[38:39]
	s_and_saveexec_b64 s[38:39], s[14:15]
	s_cbranch_execnz .LBB519_365
.LBB519_298:
	s_or_b64 exec, exec, s[38:39]
	s_and_saveexec_b64 s[38:39], s[12:13]
	s_cbranch_execnz .LBB519_366
.LBB519_299:
	s_or_b64 exec, exec, s[38:39]
	s_and_saveexec_b64 s[38:39], s[10:11]
	s_cbranch_execnz .LBB519_367
.LBB519_300:
	s_or_b64 exec, exec, s[38:39]
	s_and_saveexec_b64 s[38:39], s[8:9]
	s_cbranch_execnz .LBB519_368
.LBB519_301:
	s_or_b64 exec, exec, s[38:39]
	s_and_saveexec_b64 s[38:39], s[6:7]
	s_cbranch_execnz .LBB519_369
.LBB519_302:
	s_or_b64 exec, exec, s[38:39]
	s_and_saveexec_b64 s[38:39], s[4:5]
	s_cbranch_execz .LBB519_304
.LBB519_303:
	v_sub_u32_e32 v54, v37, v78
	v_mov_b32_e32 v55, 0
	v_lshlrev_b64 v[54:55], 3, v[54:55]
	v_add_co_u32_e32 v54, vcc, v50, v54
	v_addc_co_u32_e32 v55, vcc, v51, v55, vcc
	global_store_dwordx2 v[54:55], v[4:5], off
.LBB519_304:
	s_or_b64 exec, exec, s[38:39]
	s_and_b64 s[38:39], s[2:3], exec
	s_andn2_saveexec_b64 s[34:35], s[34:35]
	s_cbranch_execz .LBB519_221
.LBB519_305:
	v_sub_u32_e32 v54, v111, v78
	v_mov_b32_e32 v55, 0
	v_lshlrev_b64 v[56:57], 3, v[54:55]
	v_add_co_u32_e32 v56, vcc, v50, v56
	v_addc_co_u32_e32 v57, vcc, v51, v57, vcc
	v_sub_u32_e32 v54, v49, v78
	global_store_dwordx2 v[56:57], v[26:27], off
	v_lshlrev_b64 v[56:57], 3, v[54:55]
	v_add_co_u32_e32 v56, vcc, v50, v56
	v_addc_co_u32_e32 v57, vcc, v51, v57, vcc
	v_sub_u32_e32 v54, v48, v78
	global_store_dwordx2 v[56:57], v[28:29], off
	;; [unrolled: 5-line block ×12, first 2 shown]
	v_lshlrev_b64 v[56:57], 3, v[54:55]
	v_add_co_u32_e32 v56, vcc, v50, v56
	v_sub_u32_e32 v54, v37, v78
	v_addc_co_u32_e32 v57, vcc, v51, v57, vcc
	v_lshlrev_b64 v[54:55], 3, v[54:55]
	v_add_co_u32_e32 v54, vcc, v50, v54
	v_addc_co_u32_e32 v55, vcc, v51, v55, vcc
	s_or_b64 s[38:39], s[38:39], exec
	global_store_dwordx2 v[56:57], v[2:3], off
	global_store_dwordx2 v[54:55], v[4:5], off
	s_or_b64 exec, exec, s[34:35]
	s_and_b64 exec, exec, s[38:39]
	s_cbranch_execnz .LBB519_222
	s_branch .LBB519_223
.LBB519_306:
	s_and_saveexec_b64 s[38:39], s[30:31]
	s_cbranch_execnz .LBB519_370
; %bb.307:
	s_or_b64 exec, exec, s[38:39]
	s_and_saveexec_b64 s[30:31], s[28:29]
	s_cbranch_execnz .LBB519_371
.LBB519_308:
	s_or_b64 exec, exec, s[30:31]
	s_and_saveexec_b64 s[28:29], s[26:27]
	s_cbranch_execnz .LBB519_372
.LBB519_309:
	s_or_b64 exec, exec, s[28:29]
	s_and_saveexec_b64 s[26:27], s[24:25]
	s_cbranch_execnz .LBB519_373
.LBB519_310:
	s_or_b64 exec, exec, s[26:27]
	s_and_saveexec_b64 s[24:25], s[22:23]
	s_cbranch_execnz .LBB519_374
.LBB519_311:
	s_or_b64 exec, exec, s[24:25]
	s_and_saveexec_b64 s[22:23], s[20:21]
	s_cbranch_execnz .LBB519_375
.LBB519_312:
	s_or_b64 exec, exec, s[22:23]
	s_and_saveexec_b64 s[20:21], s[18:19]
	s_cbranch_execnz .LBB519_376
.LBB519_313:
	s_or_b64 exec, exec, s[20:21]
	s_and_saveexec_b64 s[18:19], s[16:17]
	s_cbranch_execnz .LBB519_377
.LBB519_314:
	s_or_b64 exec, exec, s[18:19]
	s_and_saveexec_b64 s[16:17], s[14:15]
	s_cbranch_execnz .LBB519_378
.LBB519_315:
	s_or_b64 exec, exec, s[16:17]
	s_and_saveexec_b64 s[14:15], s[12:13]
	s_cbranch_execnz .LBB519_379
.LBB519_316:
	s_or_b64 exec, exec, s[14:15]
	s_and_saveexec_b64 s[12:13], s[10:11]
	s_cbranch_execnz .LBB519_380
.LBB519_317:
	s_or_b64 exec, exec, s[12:13]
	s_and_saveexec_b64 s[10:11], s[8:9]
	s_cbranch_execnz .LBB519_381
.LBB519_318:
	s_or_b64 exec, exec, s[10:11]
	s_and_saveexec_b64 s[8:9], s[6:7]
	s_cbranch_execnz .LBB519_382
.LBB519_319:
	s_or_b64 exec, exec, s[8:9]
	s_and_saveexec_b64 s[6:7], s[4:5]
	s_cbranch_execz .LBB519_321
.LBB519_320:
	v_sub_u32_e32 v2, v37, v78
	v_lshlrev_b32_e32 v2, 3, v2
	ds_write_b64 v2, v[4:5]
.LBB519_321:
	s_or_b64 exec, exec, s[6:7]
	s_and_b64 s[38:39], s[2:3], exec
                                        ; implicit-def: $vgpr26_vgpr27_vgpr28_vgpr29
                                        ; implicit-def: $vgpr22_vgpr23_vgpr24_vgpr25
                                        ; implicit-def: $vgpr18_vgpr19_vgpr20_vgpr21
                                        ; implicit-def: $vgpr14_vgpr15_vgpr16_vgpr17
                                        ; implicit-def: $vgpr10_vgpr11_vgpr12_vgpr13
                                        ; implicit-def: $vgpr6_vgpr7_vgpr8_vgpr9
                                        ; implicit-def: $vgpr2_vgpr3_vgpr4_vgpr5
	s_andn2_saveexec_b64 s[2:3], s[36:37]
	s_cbranch_execz .LBB519_228
.LBB519_322:
	v_sub_u32_e32 v52, v111, v78
	v_lshlrev_b32_e32 v52, 3, v52
	ds_write_b64 v52, v[26:27]
	v_sub_u32_e32 v26, v49, v78
	v_lshlrev_b32_e32 v26, 3, v26
	ds_write_b64 v26, v[28:29]
	;; [unrolled: 3-line block ×13, first 2 shown]
	v_sub_u32_e32 v2, v37, v78
	v_lshlrev_b32_e32 v2, 3, v2
	s_or_b64 s[38:39], s[38:39], exec
	ds_write_b64 v2, v[4:5]
	s_or_b64 exec, exec, s[2:3]
	s_and_b64 exec, exec, s[38:39]
	s_cbranch_execnz .LBB519_229
	s_branch .LBB519_230
.LBB519_323:
	s_and_saveexec_b64 s[36:37], s[28:29]
	s_cbranch_execnz .LBB519_383
; %bb.324:
	s_or_b64 exec, exec, s[36:37]
	s_and_saveexec_b64 s[36:37], s[26:27]
	s_cbranch_execnz .LBB519_384
.LBB519_325:
	s_or_b64 exec, exec, s[36:37]
	s_and_saveexec_b64 s[36:37], s[24:25]
	s_cbranch_execnz .LBB519_385
.LBB519_326:
	s_or_b64 exec, exec, s[36:37]
	s_and_saveexec_b64 s[36:37], s[22:23]
	s_cbranch_execnz .LBB519_386
.LBB519_327:
	s_or_b64 exec, exec, s[36:37]
	s_and_saveexec_b64 s[36:37], s[20:21]
	s_cbranch_execnz .LBB519_387
.LBB519_328:
	s_or_b64 exec, exec, s[36:37]
	s_and_saveexec_b64 s[36:37], s[18:19]
	s_cbranch_execnz .LBB519_388
.LBB519_329:
	s_or_b64 exec, exec, s[36:37]
	s_and_saveexec_b64 s[36:37], s[16:17]
	s_cbranch_execnz .LBB519_389
.LBB519_330:
	s_or_b64 exec, exec, s[36:37]
	s_and_saveexec_b64 s[36:37], s[14:15]
	s_cbranch_execnz .LBB519_390
.LBB519_331:
	s_or_b64 exec, exec, s[36:37]
	s_and_saveexec_b64 s[36:37], s[12:13]
	s_cbranch_execnz .LBB519_391
.LBB519_332:
	s_or_b64 exec, exec, s[36:37]
	s_and_saveexec_b64 s[36:37], s[10:11]
	s_cbranch_execnz .LBB519_392
.LBB519_333:
	s_or_b64 exec, exec, s[36:37]
	s_and_saveexec_b64 s[36:37], s[8:9]
	s_cbranch_execnz .LBB519_393
.LBB519_334:
	s_or_b64 exec, exec, s[36:37]
	s_and_saveexec_b64 s[36:37], s[6:7]
	s_cbranch_execnz .LBB519_394
.LBB519_335:
	s_or_b64 exec, exec, s[36:37]
	s_and_saveexec_b64 s[36:37], s[4:5]
	s_cbranch_execnz .LBB519_395
.LBB519_336:
	s_or_b64 exec, exec, s[36:37]
	s_and_saveexec_b64 s[36:37], s[2:3]
	s_cbranch_execz .LBB519_338
.LBB519_337:
	v_sub_u32_e32 v10, v37, v8
	v_mov_b32_e32 v11, 0
	v_lshlrev_b64 v[10:11], 3, v[10:11]
	v_add_co_u32_e32 v10, vcc, v6, v10
	v_addc_co_u32_e32 v11, vcc, v7, v11, vcc
	global_store_dwordx2 v[10:11], v[106:107], off
.LBB519_338:
	s_or_b64 exec, exec, s[36:37]
	s_and_b64 s[36:37], s[0:1], exec
	s_andn2_saveexec_b64 s[30:31], s[30:31]
	s_cbranch_execz .LBB519_238
.LBB519_339:
	v_sub_u32_e32 v10, v111, v8
	v_mov_b32_e32 v11, 0
	v_lshlrev_b64 v[12:13], 3, v[10:11]
	v_add_co_u32_e32 v12, vcc, v6, v12
	v_addc_co_u32_e32 v13, vcc, v7, v13, vcc
	v_sub_u32_e32 v10, v49, v8
	global_store_dwordx2 v[12:13], v[104:105], off
	v_lshlrev_b64 v[12:13], 3, v[10:11]
	v_add_co_u32_e32 v12, vcc, v6, v12
	v_addc_co_u32_e32 v13, vcc, v7, v13, vcc
	v_sub_u32_e32 v10, v48, v8
	global_store_dwordx2 v[12:13], v[80:81], off
	;; [unrolled: 5-line block ×12, first 2 shown]
	v_lshlrev_b64 v[12:13], 3, v[10:11]
	v_add_co_u32_e32 v12, vcc, v6, v12
	v_sub_u32_e32 v10, v37, v8
	v_addc_co_u32_e32 v13, vcc, v7, v13, vcc
	v_lshlrev_b64 v[10:11], 3, v[10:11]
	v_add_co_u32_e32 v10, vcc, v6, v10
	v_addc_co_u32_e32 v11, vcc, v7, v11, vcc
	s_or_b64 s[36:37], s[36:37], exec
	global_store_dwordx2 v[12:13], v[102:103], off
	global_store_dwordx2 v[10:11], v[106:107], off
	s_or_b64 exec, exec, s[30:31]
	s_and_b64 exec, exec, s[36:37]
	s_cbranch_execnz .LBB519_239
	s_branch .LBB519_240
.LBB519_340:
	s_and_saveexec_b64 s[36:37], s[28:29]
	s_cbranch_execnz .LBB519_396
; %bb.341:
	s_or_b64 exec, exec, s[36:37]
	s_and_saveexec_b64 s[28:29], s[26:27]
	s_cbranch_execnz .LBB519_397
.LBB519_342:
	s_or_b64 exec, exec, s[28:29]
	s_and_saveexec_b64 s[26:27], s[24:25]
	s_cbranch_execnz .LBB519_398
.LBB519_343:
	s_or_b64 exec, exec, s[26:27]
	s_and_saveexec_b64 s[24:25], s[22:23]
	s_cbranch_execnz .LBB519_399
.LBB519_344:
	s_or_b64 exec, exec, s[24:25]
	s_and_saveexec_b64 s[22:23], s[20:21]
	s_cbranch_execnz .LBB519_400
.LBB519_345:
	s_or_b64 exec, exec, s[22:23]
	s_and_saveexec_b64 s[20:21], s[18:19]
	s_cbranch_execnz .LBB519_401
.LBB519_346:
	s_or_b64 exec, exec, s[20:21]
	s_and_saveexec_b64 s[18:19], s[16:17]
	s_cbranch_execnz .LBB519_402
.LBB519_347:
	s_or_b64 exec, exec, s[18:19]
	s_and_saveexec_b64 s[16:17], s[14:15]
	s_cbranch_execnz .LBB519_403
.LBB519_348:
	s_or_b64 exec, exec, s[16:17]
	s_and_saveexec_b64 s[14:15], s[12:13]
	s_cbranch_execnz .LBB519_404
.LBB519_349:
	s_or_b64 exec, exec, s[14:15]
	s_and_saveexec_b64 s[12:13], s[10:11]
	s_cbranch_execnz .LBB519_405
.LBB519_350:
	s_or_b64 exec, exec, s[12:13]
	s_and_saveexec_b64 s[10:11], s[8:9]
	s_cbranch_execnz .LBB519_406
.LBB519_351:
	s_or_b64 exec, exec, s[10:11]
	s_and_saveexec_b64 s[8:9], s[6:7]
	s_cbranch_execnz .LBB519_407
.LBB519_352:
	s_or_b64 exec, exec, s[8:9]
	s_and_saveexec_b64 s[6:7], s[4:5]
	s_cbranch_execnz .LBB519_408
.LBB519_353:
	s_or_b64 exec, exec, s[6:7]
	s_and_saveexec_b64 s[4:5], s[2:3]
	s_cbranch_execz .LBB519_355
.LBB519_354:
	v_sub_u32_e32 v9, v37, v8
	v_lshlrev_b32_e32 v9, 3, v9
	ds_write_b64 v9, v[106:107]
.LBB519_355:
	s_or_b64 exec, exec, s[4:5]
	s_and_b64 s[36:37], s[0:1], exec
                                        ; implicit-def: $vgpr104_vgpr105
                                        ; implicit-def: $vgpr80_vgpr81
                                        ; implicit-def: $vgpr82_vgpr83
                                        ; implicit-def: $vgpr84_vgpr85
                                        ; implicit-def: $vgpr86_vgpr87
                                        ; implicit-def: $vgpr88_vgpr89
                                        ; implicit-def: $vgpr90_vgpr91
                                        ; implicit-def: $vgpr92_vgpr93
                                        ; implicit-def: $vgpr94_vgpr95
                                        ; implicit-def: $vgpr96_vgpr97
                                        ; implicit-def: $vgpr98_vgpr99
                                        ; implicit-def: $vgpr100_vgpr101
                                        ; implicit-def: $vgpr102_vgpr103
                                        ; implicit-def: $vgpr106_vgpr107
                                        ; implicit-def: $vgpr111
                                        ; implicit-def: $vgpr49
                                        ; implicit-def: $vgpr48
                                        ; implicit-def: $vgpr47
                                        ; implicit-def: $vgpr46
                                        ; implicit-def: $vgpr45
                                        ; implicit-def: $vgpr44
                                        ; implicit-def: $vgpr43
                                        ; implicit-def: $vgpr42
                                        ; implicit-def: $vgpr41
                                        ; implicit-def: $vgpr40
                                        ; implicit-def: $vgpr39
                                        ; implicit-def: $vgpr38
                                        ; implicit-def: $vgpr37
	s_andn2_saveexec_b64 s[0:1], s[34:35]
	s_cbranch_execz .LBB519_245
.LBB519_356:
	v_sub_u32_e32 v9, v111, v8
	v_lshlrev_b32_e32 v9, 3, v9
	ds_write_b64 v9, v[104:105]
	v_sub_u32_e32 v9, v49, v8
	v_lshlrev_b32_e32 v9, 3, v9
	ds_write_b64 v9, v[80:81]
	;; [unrolled: 3-line block ×13, first 2 shown]
	v_sub_u32_e32 v9, v37, v8
	v_lshlrev_b32_e32 v9, 3, v9
	s_or_b64 s[36:37], s[36:37], exec
	ds_write_b64 v9, v[106:107]
	s_or_b64 exec, exec, s[0:1]
	s_and_b64 exec, exec, s[36:37]
	s_cbranch_execnz .LBB519_246
	s_branch .LBB519_247
.LBB519_357:
	v_sub_u32_e32 v54, v111, v78
	v_mov_b32_e32 v55, 0
	v_lshlrev_b64 v[54:55], 3, v[54:55]
	v_add_co_u32_e32 v54, vcc, v50, v54
	v_addc_co_u32_e32 v55, vcc, v51, v55, vcc
	global_store_dwordx2 v[54:55], v[26:27], off
	s_or_b64 exec, exec, s[38:39]
	s_and_saveexec_b64 s[38:39], s[28:29]
	s_cbranch_execz .LBB519_291
.LBB519_358:
	v_sub_u32_e32 v54, v49, v78
	v_mov_b32_e32 v55, 0
	v_lshlrev_b64 v[54:55], 3, v[54:55]
	v_add_co_u32_e32 v54, vcc, v50, v54
	v_addc_co_u32_e32 v55, vcc, v51, v55, vcc
	global_store_dwordx2 v[54:55], v[28:29], off
	s_or_b64 exec, exec, s[38:39]
	s_and_saveexec_b64 s[38:39], s[26:27]
	s_cbranch_execz .LBB519_292
.LBB519_359:
	v_sub_u32_e32 v54, v48, v78
	v_mov_b32_e32 v55, 0
	v_lshlrev_b64 v[54:55], 3, v[54:55]
	v_add_co_u32_e32 v54, vcc, v50, v54
	v_addc_co_u32_e32 v55, vcc, v51, v55, vcc
	global_store_dwordx2 v[54:55], v[22:23], off
	s_or_b64 exec, exec, s[38:39]
	s_and_saveexec_b64 s[38:39], s[24:25]
	s_cbranch_execz .LBB519_293
.LBB519_360:
	v_sub_u32_e32 v54, v47, v78
	v_mov_b32_e32 v55, 0
	v_lshlrev_b64 v[54:55], 3, v[54:55]
	v_add_co_u32_e32 v54, vcc, v50, v54
	v_addc_co_u32_e32 v55, vcc, v51, v55, vcc
	global_store_dwordx2 v[54:55], v[24:25], off
	s_or_b64 exec, exec, s[38:39]
	s_and_saveexec_b64 s[38:39], s[22:23]
	s_cbranch_execz .LBB519_294
.LBB519_361:
	v_sub_u32_e32 v54, v46, v78
	v_mov_b32_e32 v55, 0
	v_lshlrev_b64 v[54:55], 3, v[54:55]
	v_add_co_u32_e32 v54, vcc, v50, v54
	v_addc_co_u32_e32 v55, vcc, v51, v55, vcc
	global_store_dwordx2 v[54:55], v[18:19], off
	s_or_b64 exec, exec, s[38:39]
	s_and_saveexec_b64 s[38:39], s[20:21]
	s_cbranch_execz .LBB519_295
.LBB519_362:
	v_sub_u32_e32 v54, v45, v78
	v_mov_b32_e32 v55, 0
	v_lshlrev_b64 v[54:55], 3, v[54:55]
	v_add_co_u32_e32 v54, vcc, v50, v54
	v_addc_co_u32_e32 v55, vcc, v51, v55, vcc
	global_store_dwordx2 v[54:55], v[20:21], off
	s_or_b64 exec, exec, s[38:39]
	s_and_saveexec_b64 s[38:39], s[18:19]
	s_cbranch_execz .LBB519_296
.LBB519_363:
	v_sub_u32_e32 v54, v44, v78
	v_mov_b32_e32 v55, 0
	v_lshlrev_b64 v[54:55], 3, v[54:55]
	v_add_co_u32_e32 v54, vcc, v50, v54
	v_addc_co_u32_e32 v55, vcc, v51, v55, vcc
	global_store_dwordx2 v[54:55], v[14:15], off
	s_or_b64 exec, exec, s[38:39]
	s_and_saveexec_b64 s[38:39], s[16:17]
	s_cbranch_execz .LBB519_297
.LBB519_364:
	v_sub_u32_e32 v54, v43, v78
	v_mov_b32_e32 v55, 0
	v_lshlrev_b64 v[54:55], 3, v[54:55]
	v_add_co_u32_e32 v54, vcc, v50, v54
	v_addc_co_u32_e32 v55, vcc, v51, v55, vcc
	global_store_dwordx2 v[54:55], v[16:17], off
	s_or_b64 exec, exec, s[38:39]
	s_and_saveexec_b64 s[38:39], s[14:15]
	s_cbranch_execz .LBB519_298
.LBB519_365:
	v_sub_u32_e32 v54, v42, v78
	v_mov_b32_e32 v55, 0
	v_lshlrev_b64 v[54:55], 3, v[54:55]
	v_add_co_u32_e32 v54, vcc, v50, v54
	v_addc_co_u32_e32 v55, vcc, v51, v55, vcc
	global_store_dwordx2 v[54:55], v[10:11], off
	s_or_b64 exec, exec, s[38:39]
	s_and_saveexec_b64 s[38:39], s[12:13]
	s_cbranch_execz .LBB519_299
.LBB519_366:
	v_sub_u32_e32 v54, v41, v78
	v_mov_b32_e32 v55, 0
	v_lshlrev_b64 v[54:55], 3, v[54:55]
	v_add_co_u32_e32 v54, vcc, v50, v54
	v_addc_co_u32_e32 v55, vcc, v51, v55, vcc
	global_store_dwordx2 v[54:55], v[12:13], off
	s_or_b64 exec, exec, s[38:39]
	s_and_saveexec_b64 s[38:39], s[10:11]
	s_cbranch_execz .LBB519_300
.LBB519_367:
	v_sub_u32_e32 v54, v40, v78
	v_mov_b32_e32 v55, 0
	v_lshlrev_b64 v[54:55], 3, v[54:55]
	v_add_co_u32_e32 v54, vcc, v50, v54
	v_addc_co_u32_e32 v55, vcc, v51, v55, vcc
	global_store_dwordx2 v[54:55], v[6:7], off
	s_or_b64 exec, exec, s[38:39]
	s_and_saveexec_b64 s[38:39], s[8:9]
	s_cbranch_execz .LBB519_301
.LBB519_368:
	v_sub_u32_e32 v54, v39, v78
	v_mov_b32_e32 v55, 0
	v_lshlrev_b64 v[54:55], 3, v[54:55]
	v_add_co_u32_e32 v54, vcc, v50, v54
	v_addc_co_u32_e32 v55, vcc, v51, v55, vcc
	global_store_dwordx2 v[54:55], v[8:9], off
	s_or_b64 exec, exec, s[38:39]
	s_and_saveexec_b64 s[38:39], s[6:7]
	s_cbranch_execz .LBB519_302
.LBB519_369:
	v_sub_u32_e32 v54, v38, v78
	v_mov_b32_e32 v55, 0
	v_lshlrev_b64 v[54:55], 3, v[54:55]
	v_add_co_u32_e32 v54, vcc, v50, v54
	v_addc_co_u32_e32 v55, vcc, v51, v55, vcc
	global_store_dwordx2 v[54:55], v[2:3], off
	s_or_b64 exec, exec, s[38:39]
	s_and_saveexec_b64 s[38:39], s[4:5]
	s_cbranch_execnz .LBB519_303
	s_branch .LBB519_304
.LBB519_370:
	v_sub_u32_e32 v52, v111, v78
	v_lshlrev_b32_e32 v52, 3, v52
	ds_write_b64 v52, v[26:27]
	s_or_b64 exec, exec, s[38:39]
	s_and_saveexec_b64 s[30:31], s[28:29]
	s_cbranch_execz .LBB519_308
.LBB519_371:
	v_sub_u32_e32 v26, v49, v78
	v_lshlrev_b32_e32 v26, 3, v26
	ds_write_b64 v26, v[28:29]
	s_or_b64 exec, exec, s[30:31]
	s_and_saveexec_b64 s[28:29], s[26:27]
	s_cbranch_execz .LBB519_309
.LBB519_372:
	v_sub_u32_e32 v26, v48, v78
	v_lshlrev_b32_e32 v26, 3, v26
	ds_write_b64 v26, v[22:23]
	s_or_b64 exec, exec, s[28:29]
	s_and_saveexec_b64 s[26:27], s[24:25]
	s_cbranch_execz .LBB519_310
.LBB519_373:
	v_sub_u32_e32 v22, v47, v78
	v_lshlrev_b32_e32 v22, 3, v22
	ds_write_b64 v22, v[24:25]
	s_or_b64 exec, exec, s[26:27]
	s_and_saveexec_b64 s[24:25], s[22:23]
	s_cbranch_execz .LBB519_311
.LBB519_374:
	v_sub_u32_e32 v22, v46, v78
	v_lshlrev_b32_e32 v22, 3, v22
	ds_write_b64 v22, v[18:19]
	s_or_b64 exec, exec, s[24:25]
	s_and_saveexec_b64 s[22:23], s[20:21]
	s_cbranch_execz .LBB519_312
.LBB519_375:
	v_sub_u32_e32 v18, v45, v78
	v_lshlrev_b32_e32 v18, 3, v18
	ds_write_b64 v18, v[20:21]
	s_or_b64 exec, exec, s[22:23]
	s_and_saveexec_b64 s[20:21], s[18:19]
	s_cbranch_execz .LBB519_313
.LBB519_376:
	v_sub_u32_e32 v18, v44, v78
	v_lshlrev_b32_e32 v18, 3, v18
	ds_write_b64 v18, v[14:15]
	s_or_b64 exec, exec, s[20:21]
	s_and_saveexec_b64 s[18:19], s[16:17]
	s_cbranch_execz .LBB519_314
.LBB519_377:
	v_sub_u32_e32 v14, v43, v78
	v_lshlrev_b32_e32 v14, 3, v14
	ds_write_b64 v14, v[16:17]
	s_or_b64 exec, exec, s[18:19]
	s_and_saveexec_b64 s[16:17], s[14:15]
	s_cbranch_execz .LBB519_315
.LBB519_378:
	v_sub_u32_e32 v14, v42, v78
	v_lshlrev_b32_e32 v14, 3, v14
	ds_write_b64 v14, v[10:11]
	s_or_b64 exec, exec, s[16:17]
	s_and_saveexec_b64 s[14:15], s[12:13]
	s_cbranch_execz .LBB519_316
.LBB519_379:
	v_sub_u32_e32 v10, v41, v78
	v_lshlrev_b32_e32 v10, 3, v10
	ds_write_b64 v10, v[12:13]
	s_or_b64 exec, exec, s[14:15]
	s_and_saveexec_b64 s[12:13], s[10:11]
	s_cbranch_execz .LBB519_317
.LBB519_380:
	v_sub_u32_e32 v10, v40, v78
	v_lshlrev_b32_e32 v10, 3, v10
	ds_write_b64 v10, v[6:7]
	s_or_b64 exec, exec, s[12:13]
	s_and_saveexec_b64 s[10:11], s[8:9]
	s_cbranch_execz .LBB519_318
.LBB519_381:
	v_sub_u32_e32 v6, v39, v78
	v_lshlrev_b32_e32 v6, 3, v6
	ds_write_b64 v6, v[8:9]
	s_or_b64 exec, exec, s[10:11]
	s_and_saveexec_b64 s[8:9], s[6:7]
	s_cbranch_execz .LBB519_319
.LBB519_382:
	v_sub_u32_e32 v6, v38, v78
	v_lshlrev_b32_e32 v6, 3, v6
	ds_write_b64 v6, v[2:3]
	s_or_b64 exec, exec, s[8:9]
	s_and_saveexec_b64 s[6:7], s[4:5]
	s_cbranch_execnz .LBB519_320
	s_branch .LBB519_321
.LBB519_383:
	v_sub_u32_e32 v10, v111, v8
	v_mov_b32_e32 v11, 0
	v_lshlrev_b64 v[10:11], 3, v[10:11]
	v_add_co_u32_e32 v10, vcc, v6, v10
	v_addc_co_u32_e32 v11, vcc, v7, v11, vcc
	global_store_dwordx2 v[10:11], v[104:105], off
	s_or_b64 exec, exec, s[36:37]
	s_and_saveexec_b64 s[36:37], s[26:27]
	s_cbranch_execz .LBB519_325
.LBB519_384:
	v_sub_u32_e32 v10, v49, v8
	v_mov_b32_e32 v11, 0
	v_lshlrev_b64 v[10:11], 3, v[10:11]
	v_add_co_u32_e32 v10, vcc, v6, v10
	v_addc_co_u32_e32 v11, vcc, v7, v11, vcc
	global_store_dwordx2 v[10:11], v[80:81], off
	s_or_b64 exec, exec, s[36:37]
	s_and_saveexec_b64 s[36:37], s[24:25]
	s_cbranch_execz .LBB519_326
.LBB519_385:
	v_sub_u32_e32 v10, v48, v8
	v_mov_b32_e32 v11, 0
	v_lshlrev_b64 v[10:11], 3, v[10:11]
	v_add_co_u32_e32 v10, vcc, v6, v10
	v_addc_co_u32_e32 v11, vcc, v7, v11, vcc
	global_store_dwordx2 v[10:11], v[82:83], off
	s_or_b64 exec, exec, s[36:37]
	s_and_saveexec_b64 s[36:37], s[22:23]
	s_cbranch_execz .LBB519_327
.LBB519_386:
	v_sub_u32_e32 v10, v47, v8
	v_mov_b32_e32 v11, 0
	v_lshlrev_b64 v[10:11], 3, v[10:11]
	v_add_co_u32_e32 v10, vcc, v6, v10
	v_addc_co_u32_e32 v11, vcc, v7, v11, vcc
	global_store_dwordx2 v[10:11], v[84:85], off
	s_or_b64 exec, exec, s[36:37]
	s_and_saveexec_b64 s[36:37], s[20:21]
	s_cbranch_execz .LBB519_328
.LBB519_387:
	v_sub_u32_e32 v10, v46, v8
	v_mov_b32_e32 v11, 0
	v_lshlrev_b64 v[10:11], 3, v[10:11]
	v_add_co_u32_e32 v10, vcc, v6, v10
	v_addc_co_u32_e32 v11, vcc, v7, v11, vcc
	global_store_dwordx2 v[10:11], v[86:87], off
	s_or_b64 exec, exec, s[36:37]
	s_and_saveexec_b64 s[36:37], s[18:19]
	s_cbranch_execz .LBB519_329
.LBB519_388:
	v_sub_u32_e32 v10, v45, v8
	v_mov_b32_e32 v11, 0
	v_lshlrev_b64 v[10:11], 3, v[10:11]
	v_add_co_u32_e32 v10, vcc, v6, v10
	v_addc_co_u32_e32 v11, vcc, v7, v11, vcc
	global_store_dwordx2 v[10:11], v[88:89], off
	s_or_b64 exec, exec, s[36:37]
	s_and_saveexec_b64 s[36:37], s[16:17]
	s_cbranch_execz .LBB519_330
.LBB519_389:
	v_sub_u32_e32 v10, v44, v8
	v_mov_b32_e32 v11, 0
	v_lshlrev_b64 v[10:11], 3, v[10:11]
	v_add_co_u32_e32 v10, vcc, v6, v10
	v_addc_co_u32_e32 v11, vcc, v7, v11, vcc
	global_store_dwordx2 v[10:11], v[90:91], off
	s_or_b64 exec, exec, s[36:37]
	s_and_saveexec_b64 s[36:37], s[14:15]
	s_cbranch_execz .LBB519_331
.LBB519_390:
	v_sub_u32_e32 v10, v43, v8
	v_mov_b32_e32 v11, 0
	v_lshlrev_b64 v[10:11], 3, v[10:11]
	v_add_co_u32_e32 v10, vcc, v6, v10
	v_addc_co_u32_e32 v11, vcc, v7, v11, vcc
	global_store_dwordx2 v[10:11], v[92:93], off
	s_or_b64 exec, exec, s[36:37]
	s_and_saveexec_b64 s[36:37], s[12:13]
	s_cbranch_execz .LBB519_332
.LBB519_391:
	v_sub_u32_e32 v10, v42, v8
	v_mov_b32_e32 v11, 0
	v_lshlrev_b64 v[10:11], 3, v[10:11]
	v_add_co_u32_e32 v10, vcc, v6, v10
	v_addc_co_u32_e32 v11, vcc, v7, v11, vcc
	global_store_dwordx2 v[10:11], v[94:95], off
	s_or_b64 exec, exec, s[36:37]
	s_and_saveexec_b64 s[36:37], s[10:11]
	s_cbranch_execz .LBB519_333
.LBB519_392:
	v_sub_u32_e32 v10, v41, v8
	v_mov_b32_e32 v11, 0
	v_lshlrev_b64 v[10:11], 3, v[10:11]
	v_add_co_u32_e32 v10, vcc, v6, v10
	v_addc_co_u32_e32 v11, vcc, v7, v11, vcc
	global_store_dwordx2 v[10:11], v[96:97], off
	s_or_b64 exec, exec, s[36:37]
	s_and_saveexec_b64 s[36:37], s[8:9]
	s_cbranch_execz .LBB519_334
.LBB519_393:
	v_sub_u32_e32 v10, v40, v8
	v_mov_b32_e32 v11, 0
	v_lshlrev_b64 v[10:11], 3, v[10:11]
	v_add_co_u32_e32 v10, vcc, v6, v10
	v_addc_co_u32_e32 v11, vcc, v7, v11, vcc
	global_store_dwordx2 v[10:11], v[98:99], off
	s_or_b64 exec, exec, s[36:37]
	s_and_saveexec_b64 s[36:37], s[6:7]
	s_cbranch_execz .LBB519_335
.LBB519_394:
	v_sub_u32_e32 v10, v39, v8
	v_mov_b32_e32 v11, 0
	v_lshlrev_b64 v[10:11], 3, v[10:11]
	v_add_co_u32_e32 v10, vcc, v6, v10
	v_addc_co_u32_e32 v11, vcc, v7, v11, vcc
	global_store_dwordx2 v[10:11], v[100:101], off
	s_or_b64 exec, exec, s[36:37]
	s_and_saveexec_b64 s[36:37], s[4:5]
	s_cbranch_execz .LBB519_336
.LBB519_395:
	v_sub_u32_e32 v10, v38, v8
	v_mov_b32_e32 v11, 0
	v_lshlrev_b64 v[10:11], 3, v[10:11]
	v_add_co_u32_e32 v10, vcc, v6, v10
	v_addc_co_u32_e32 v11, vcc, v7, v11, vcc
	global_store_dwordx2 v[10:11], v[102:103], off
	s_or_b64 exec, exec, s[36:37]
	s_and_saveexec_b64 s[36:37], s[2:3]
	s_cbranch_execnz .LBB519_337
	s_branch .LBB519_338
.LBB519_396:
	v_sub_u32_e32 v9, v111, v8
	v_lshlrev_b32_e32 v9, 3, v9
	ds_write_b64 v9, v[104:105]
	s_or_b64 exec, exec, s[36:37]
	s_and_saveexec_b64 s[28:29], s[26:27]
	s_cbranch_execz .LBB519_342
.LBB519_397:
	v_sub_u32_e32 v9, v49, v8
	v_lshlrev_b32_e32 v9, 3, v9
	ds_write_b64 v9, v[80:81]
	s_or_b64 exec, exec, s[28:29]
	s_and_saveexec_b64 s[26:27], s[24:25]
	s_cbranch_execz .LBB519_343
.LBB519_398:
	v_sub_u32_e32 v9, v48, v8
	v_lshlrev_b32_e32 v9, 3, v9
	ds_write_b64 v9, v[82:83]
	s_or_b64 exec, exec, s[26:27]
	s_and_saveexec_b64 s[24:25], s[22:23]
	s_cbranch_execz .LBB519_344
.LBB519_399:
	v_sub_u32_e32 v9, v47, v8
	v_lshlrev_b32_e32 v9, 3, v9
	ds_write_b64 v9, v[84:85]
	s_or_b64 exec, exec, s[24:25]
	s_and_saveexec_b64 s[22:23], s[20:21]
	s_cbranch_execz .LBB519_345
.LBB519_400:
	v_sub_u32_e32 v9, v46, v8
	v_lshlrev_b32_e32 v9, 3, v9
	ds_write_b64 v9, v[86:87]
	s_or_b64 exec, exec, s[22:23]
	s_and_saveexec_b64 s[20:21], s[18:19]
	s_cbranch_execz .LBB519_346
.LBB519_401:
	v_sub_u32_e32 v9, v45, v8
	v_lshlrev_b32_e32 v9, 3, v9
	ds_write_b64 v9, v[88:89]
	s_or_b64 exec, exec, s[20:21]
	s_and_saveexec_b64 s[18:19], s[16:17]
	s_cbranch_execz .LBB519_347
.LBB519_402:
	v_sub_u32_e32 v9, v44, v8
	v_lshlrev_b32_e32 v9, 3, v9
	ds_write_b64 v9, v[90:91]
	s_or_b64 exec, exec, s[18:19]
	s_and_saveexec_b64 s[16:17], s[14:15]
	s_cbranch_execz .LBB519_348
.LBB519_403:
	v_sub_u32_e32 v9, v43, v8
	v_lshlrev_b32_e32 v9, 3, v9
	ds_write_b64 v9, v[92:93]
	s_or_b64 exec, exec, s[16:17]
	s_and_saveexec_b64 s[14:15], s[12:13]
	s_cbranch_execz .LBB519_349
.LBB519_404:
	v_sub_u32_e32 v9, v42, v8
	v_lshlrev_b32_e32 v9, 3, v9
	ds_write_b64 v9, v[94:95]
	s_or_b64 exec, exec, s[14:15]
	s_and_saveexec_b64 s[12:13], s[10:11]
	s_cbranch_execz .LBB519_350
.LBB519_405:
	v_sub_u32_e32 v9, v41, v8
	v_lshlrev_b32_e32 v9, 3, v9
	ds_write_b64 v9, v[96:97]
	s_or_b64 exec, exec, s[12:13]
	s_and_saveexec_b64 s[10:11], s[8:9]
	s_cbranch_execz .LBB519_351
.LBB519_406:
	v_sub_u32_e32 v9, v40, v8
	v_lshlrev_b32_e32 v9, 3, v9
	ds_write_b64 v9, v[98:99]
	s_or_b64 exec, exec, s[10:11]
	s_and_saveexec_b64 s[8:9], s[6:7]
	s_cbranch_execz .LBB519_352
.LBB519_407:
	v_sub_u32_e32 v9, v39, v8
	v_lshlrev_b32_e32 v9, 3, v9
	ds_write_b64 v9, v[100:101]
	s_or_b64 exec, exec, s[8:9]
	s_and_saveexec_b64 s[6:7], s[4:5]
	s_cbranch_execz .LBB519_353
.LBB519_408:
	v_sub_u32_e32 v9, v38, v8
	v_lshlrev_b32_e32 v9, 3, v9
	ds_write_b64 v9, v[102:103]
	s_or_b64 exec, exec, s[6:7]
	s_and_saveexec_b64 s[4:5], s[2:3]
	s_cbranch_execnz .LBB519_354
	s_branch .LBB519_355
	.section	.rodata,"a",@progbits
	.p2align	6, 0x0
	.amdhsa_kernel _ZN7rocprim17ROCPRIM_400000_NS6detail17trampoline_kernelINS0_14default_configENS1_29reduce_by_key_config_selectorIxxN6thrust23THRUST_200600_302600_NS4plusIxEEEEZZNS1_33reduce_by_key_impl_wrapped_configILNS1_25lookback_scan_determinismE0ES3_S9_NS6_6detail15normal_iteratorINS6_10device_ptrIxEEEESG_SG_SG_PmS8_22is_equal_div_10_reduceIxEEE10hipError_tPvRmT2_T3_mT4_T5_T6_T7_T8_P12ihipStream_tbENKUlT_T0_E_clISt17integral_constantIbLb1EES11_EEDaSW_SX_EUlSW_E_NS1_11comp_targetILNS1_3genE4ELNS1_11target_archE910ELNS1_3gpuE8ELNS1_3repE0EEENS1_30default_config_static_selectorELNS0_4arch9wavefront6targetE1EEEvT1_
		.amdhsa_group_segment_fixed_size 30720
		.amdhsa_private_segment_fixed_size 0
		.amdhsa_kernarg_size 136
		.amdhsa_user_sgpr_count 6
		.amdhsa_user_sgpr_private_segment_buffer 1
		.amdhsa_user_sgpr_dispatch_ptr 0
		.amdhsa_user_sgpr_queue_ptr 0
		.amdhsa_user_sgpr_kernarg_segment_ptr 1
		.amdhsa_user_sgpr_dispatch_id 0
		.amdhsa_user_sgpr_flat_scratch_init 0
		.amdhsa_user_sgpr_kernarg_preload_length 0
		.amdhsa_user_sgpr_kernarg_preload_offset 0
		.amdhsa_user_sgpr_private_segment_size 0
		.amdhsa_uses_dynamic_stack 0
		.amdhsa_system_sgpr_private_segment_wavefront_offset 0
		.amdhsa_system_sgpr_workgroup_id_x 1
		.amdhsa_system_sgpr_workgroup_id_y 0
		.amdhsa_system_sgpr_workgroup_id_z 0
		.amdhsa_system_sgpr_workgroup_info 0
		.amdhsa_system_vgpr_workitem_id 0
		.amdhsa_next_free_vgpr 116
		.amdhsa_next_free_sgpr 66
		.amdhsa_accum_offset 116
		.amdhsa_reserve_vcc 1
		.amdhsa_reserve_flat_scratch 0
		.amdhsa_float_round_mode_32 0
		.amdhsa_float_round_mode_16_64 0
		.amdhsa_float_denorm_mode_32 3
		.amdhsa_float_denorm_mode_16_64 3
		.amdhsa_dx10_clamp 1
		.amdhsa_ieee_mode 1
		.amdhsa_fp16_overflow 0
		.amdhsa_tg_split 0
		.amdhsa_exception_fp_ieee_invalid_op 0
		.amdhsa_exception_fp_denorm_src 0
		.amdhsa_exception_fp_ieee_div_zero 0
		.amdhsa_exception_fp_ieee_overflow 0
		.amdhsa_exception_fp_ieee_underflow 0
		.amdhsa_exception_fp_ieee_inexact 0
		.amdhsa_exception_int_div_zero 0
	.end_amdhsa_kernel
	.section	.text._ZN7rocprim17ROCPRIM_400000_NS6detail17trampoline_kernelINS0_14default_configENS1_29reduce_by_key_config_selectorIxxN6thrust23THRUST_200600_302600_NS4plusIxEEEEZZNS1_33reduce_by_key_impl_wrapped_configILNS1_25lookback_scan_determinismE0ES3_S9_NS6_6detail15normal_iteratorINS6_10device_ptrIxEEEESG_SG_SG_PmS8_22is_equal_div_10_reduceIxEEE10hipError_tPvRmT2_T3_mT4_T5_T6_T7_T8_P12ihipStream_tbENKUlT_T0_E_clISt17integral_constantIbLb1EES11_EEDaSW_SX_EUlSW_E_NS1_11comp_targetILNS1_3genE4ELNS1_11target_archE910ELNS1_3gpuE8ELNS1_3repE0EEENS1_30default_config_static_selectorELNS0_4arch9wavefront6targetE1EEEvT1_,"axG",@progbits,_ZN7rocprim17ROCPRIM_400000_NS6detail17trampoline_kernelINS0_14default_configENS1_29reduce_by_key_config_selectorIxxN6thrust23THRUST_200600_302600_NS4plusIxEEEEZZNS1_33reduce_by_key_impl_wrapped_configILNS1_25lookback_scan_determinismE0ES3_S9_NS6_6detail15normal_iteratorINS6_10device_ptrIxEEEESG_SG_SG_PmS8_22is_equal_div_10_reduceIxEEE10hipError_tPvRmT2_T3_mT4_T5_T6_T7_T8_P12ihipStream_tbENKUlT_T0_E_clISt17integral_constantIbLb1EES11_EEDaSW_SX_EUlSW_E_NS1_11comp_targetILNS1_3genE4ELNS1_11target_archE910ELNS1_3gpuE8ELNS1_3repE0EEENS1_30default_config_static_selectorELNS0_4arch9wavefront6targetE1EEEvT1_,comdat
.Lfunc_end519:
	.size	_ZN7rocprim17ROCPRIM_400000_NS6detail17trampoline_kernelINS0_14default_configENS1_29reduce_by_key_config_selectorIxxN6thrust23THRUST_200600_302600_NS4plusIxEEEEZZNS1_33reduce_by_key_impl_wrapped_configILNS1_25lookback_scan_determinismE0ES3_S9_NS6_6detail15normal_iteratorINS6_10device_ptrIxEEEESG_SG_SG_PmS8_22is_equal_div_10_reduceIxEEE10hipError_tPvRmT2_T3_mT4_T5_T6_T7_T8_P12ihipStream_tbENKUlT_T0_E_clISt17integral_constantIbLb1EES11_EEDaSW_SX_EUlSW_E_NS1_11comp_targetILNS1_3genE4ELNS1_11target_archE910ELNS1_3gpuE8ELNS1_3repE0EEENS1_30default_config_static_selectorELNS0_4arch9wavefront6targetE1EEEvT1_, .Lfunc_end519-_ZN7rocprim17ROCPRIM_400000_NS6detail17trampoline_kernelINS0_14default_configENS1_29reduce_by_key_config_selectorIxxN6thrust23THRUST_200600_302600_NS4plusIxEEEEZZNS1_33reduce_by_key_impl_wrapped_configILNS1_25lookback_scan_determinismE0ES3_S9_NS6_6detail15normal_iteratorINS6_10device_ptrIxEEEESG_SG_SG_PmS8_22is_equal_div_10_reduceIxEEE10hipError_tPvRmT2_T3_mT4_T5_T6_T7_T8_P12ihipStream_tbENKUlT_T0_E_clISt17integral_constantIbLb1EES11_EEDaSW_SX_EUlSW_E_NS1_11comp_targetILNS1_3genE4ELNS1_11target_archE910ELNS1_3gpuE8ELNS1_3repE0EEENS1_30default_config_static_selectorELNS0_4arch9wavefront6targetE1EEEvT1_
                                        ; -- End function
	.section	.AMDGPU.csdata,"",@progbits
; Kernel info:
; codeLenInByte = 18932
; NumSgprs: 70
; NumVgprs: 116
; NumAgprs: 0
; TotalNumVgprs: 116
; ScratchSize: 0
; MemoryBound: 0
; FloatMode: 240
; IeeeMode: 1
; LDSByteSize: 30720 bytes/workgroup (compile time only)
; SGPRBlocks: 8
; VGPRBlocks: 14
; NumSGPRsForWavesPerEU: 70
; NumVGPRsForWavesPerEU: 116
; AccumOffset: 116
; Occupancy: 2
; WaveLimiterHint : 1
; COMPUTE_PGM_RSRC2:SCRATCH_EN: 0
; COMPUTE_PGM_RSRC2:USER_SGPR: 6
; COMPUTE_PGM_RSRC2:TRAP_HANDLER: 0
; COMPUTE_PGM_RSRC2:TGID_X_EN: 1
; COMPUTE_PGM_RSRC2:TGID_Y_EN: 0
; COMPUTE_PGM_RSRC2:TGID_Z_EN: 0
; COMPUTE_PGM_RSRC2:TIDIG_COMP_CNT: 0
; COMPUTE_PGM_RSRC3_GFX90A:ACCUM_OFFSET: 28
; COMPUTE_PGM_RSRC3_GFX90A:TG_SPLIT: 0
	.section	.text._ZN7rocprim17ROCPRIM_400000_NS6detail17trampoline_kernelINS0_14default_configENS1_29reduce_by_key_config_selectorIxxN6thrust23THRUST_200600_302600_NS4plusIxEEEEZZNS1_33reduce_by_key_impl_wrapped_configILNS1_25lookback_scan_determinismE0ES3_S9_NS6_6detail15normal_iteratorINS6_10device_ptrIxEEEESG_SG_SG_PmS8_22is_equal_div_10_reduceIxEEE10hipError_tPvRmT2_T3_mT4_T5_T6_T7_T8_P12ihipStream_tbENKUlT_T0_E_clISt17integral_constantIbLb1EES11_EEDaSW_SX_EUlSW_E_NS1_11comp_targetILNS1_3genE3ELNS1_11target_archE908ELNS1_3gpuE7ELNS1_3repE0EEENS1_30default_config_static_selectorELNS0_4arch9wavefront6targetE1EEEvT1_,"axG",@progbits,_ZN7rocprim17ROCPRIM_400000_NS6detail17trampoline_kernelINS0_14default_configENS1_29reduce_by_key_config_selectorIxxN6thrust23THRUST_200600_302600_NS4plusIxEEEEZZNS1_33reduce_by_key_impl_wrapped_configILNS1_25lookback_scan_determinismE0ES3_S9_NS6_6detail15normal_iteratorINS6_10device_ptrIxEEEESG_SG_SG_PmS8_22is_equal_div_10_reduceIxEEE10hipError_tPvRmT2_T3_mT4_T5_T6_T7_T8_P12ihipStream_tbENKUlT_T0_E_clISt17integral_constantIbLb1EES11_EEDaSW_SX_EUlSW_E_NS1_11comp_targetILNS1_3genE3ELNS1_11target_archE908ELNS1_3gpuE7ELNS1_3repE0EEENS1_30default_config_static_selectorELNS0_4arch9wavefront6targetE1EEEvT1_,comdat
	.protected	_ZN7rocprim17ROCPRIM_400000_NS6detail17trampoline_kernelINS0_14default_configENS1_29reduce_by_key_config_selectorIxxN6thrust23THRUST_200600_302600_NS4plusIxEEEEZZNS1_33reduce_by_key_impl_wrapped_configILNS1_25lookback_scan_determinismE0ES3_S9_NS6_6detail15normal_iteratorINS6_10device_ptrIxEEEESG_SG_SG_PmS8_22is_equal_div_10_reduceIxEEE10hipError_tPvRmT2_T3_mT4_T5_T6_T7_T8_P12ihipStream_tbENKUlT_T0_E_clISt17integral_constantIbLb1EES11_EEDaSW_SX_EUlSW_E_NS1_11comp_targetILNS1_3genE3ELNS1_11target_archE908ELNS1_3gpuE7ELNS1_3repE0EEENS1_30default_config_static_selectorELNS0_4arch9wavefront6targetE1EEEvT1_ ; -- Begin function _ZN7rocprim17ROCPRIM_400000_NS6detail17trampoline_kernelINS0_14default_configENS1_29reduce_by_key_config_selectorIxxN6thrust23THRUST_200600_302600_NS4plusIxEEEEZZNS1_33reduce_by_key_impl_wrapped_configILNS1_25lookback_scan_determinismE0ES3_S9_NS6_6detail15normal_iteratorINS6_10device_ptrIxEEEESG_SG_SG_PmS8_22is_equal_div_10_reduceIxEEE10hipError_tPvRmT2_T3_mT4_T5_T6_T7_T8_P12ihipStream_tbENKUlT_T0_E_clISt17integral_constantIbLb1EES11_EEDaSW_SX_EUlSW_E_NS1_11comp_targetILNS1_3genE3ELNS1_11target_archE908ELNS1_3gpuE7ELNS1_3repE0EEENS1_30default_config_static_selectorELNS0_4arch9wavefront6targetE1EEEvT1_
	.globl	_ZN7rocprim17ROCPRIM_400000_NS6detail17trampoline_kernelINS0_14default_configENS1_29reduce_by_key_config_selectorIxxN6thrust23THRUST_200600_302600_NS4plusIxEEEEZZNS1_33reduce_by_key_impl_wrapped_configILNS1_25lookback_scan_determinismE0ES3_S9_NS6_6detail15normal_iteratorINS6_10device_ptrIxEEEESG_SG_SG_PmS8_22is_equal_div_10_reduceIxEEE10hipError_tPvRmT2_T3_mT4_T5_T6_T7_T8_P12ihipStream_tbENKUlT_T0_E_clISt17integral_constantIbLb1EES11_EEDaSW_SX_EUlSW_E_NS1_11comp_targetILNS1_3genE3ELNS1_11target_archE908ELNS1_3gpuE7ELNS1_3repE0EEENS1_30default_config_static_selectorELNS0_4arch9wavefront6targetE1EEEvT1_
	.p2align	8
	.type	_ZN7rocprim17ROCPRIM_400000_NS6detail17trampoline_kernelINS0_14default_configENS1_29reduce_by_key_config_selectorIxxN6thrust23THRUST_200600_302600_NS4plusIxEEEEZZNS1_33reduce_by_key_impl_wrapped_configILNS1_25lookback_scan_determinismE0ES3_S9_NS6_6detail15normal_iteratorINS6_10device_ptrIxEEEESG_SG_SG_PmS8_22is_equal_div_10_reduceIxEEE10hipError_tPvRmT2_T3_mT4_T5_T6_T7_T8_P12ihipStream_tbENKUlT_T0_E_clISt17integral_constantIbLb1EES11_EEDaSW_SX_EUlSW_E_NS1_11comp_targetILNS1_3genE3ELNS1_11target_archE908ELNS1_3gpuE7ELNS1_3repE0EEENS1_30default_config_static_selectorELNS0_4arch9wavefront6targetE1EEEvT1_,@function
_ZN7rocprim17ROCPRIM_400000_NS6detail17trampoline_kernelINS0_14default_configENS1_29reduce_by_key_config_selectorIxxN6thrust23THRUST_200600_302600_NS4plusIxEEEEZZNS1_33reduce_by_key_impl_wrapped_configILNS1_25lookback_scan_determinismE0ES3_S9_NS6_6detail15normal_iteratorINS6_10device_ptrIxEEEESG_SG_SG_PmS8_22is_equal_div_10_reduceIxEEE10hipError_tPvRmT2_T3_mT4_T5_T6_T7_T8_P12ihipStream_tbENKUlT_T0_E_clISt17integral_constantIbLb1EES11_EEDaSW_SX_EUlSW_E_NS1_11comp_targetILNS1_3genE3ELNS1_11target_archE908ELNS1_3gpuE7ELNS1_3repE0EEENS1_30default_config_static_selectorELNS0_4arch9wavefront6targetE1EEEvT1_: ; @_ZN7rocprim17ROCPRIM_400000_NS6detail17trampoline_kernelINS0_14default_configENS1_29reduce_by_key_config_selectorIxxN6thrust23THRUST_200600_302600_NS4plusIxEEEEZZNS1_33reduce_by_key_impl_wrapped_configILNS1_25lookback_scan_determinismE0ES3_S9_NS6_6detail15normal_iteratorINS6_10device_ptrIxEEEESG_SG_SG_PmS8_22is_equal_div_10_reduceIxEEE10hipError_tPvRmT2_T3_mT4_T5_T6_T7_T8_P12ihipStream_tbENKUlT_T0_E_clISt17integral_constantIbLb1EES11_EEDaSW_SX_EUlSW_E_NS1_11comp_targetILNS1_3genE3ELNS1_11target_archE908ELNS1_3gpuE7ELNS1_3repE0EEENS1_30default_config_static_selectorELNS0_4arch9wavefront6targetE1EEEvT1_
; %bb.0:
	.section	.rodata,"a",@progbits
	.p2align	6, 0x0
	.amdhsa_kernel _ZN7rocprim17ROCPRIM_400000_NS6detail17trampoline_kernelINS0_14default_configENS1_29reduce_by_key_config_selectorIxxN6thrust23THRUST_200600_302600_NS4plusIxEEEEZZNS1_33reduce_by_key_impl_wrapped_configILNS1_25lookback_scan_determinismE0ES3_S9_NS6_6detail15normal_iteratorINS6_10device_ptrIxEEEESG_SG_SG_PmS8_22is_equal_div_10_reduceIxEEE10hipError_tPvRmT2_T3_mT4_T5_T6_T7_T8_P12ihipStream_tbENKUlT_T0_E_clISt17integral_constantIbLb1EES11_EEDaSW_SX_EUlSW_E_NS1_11comp_targetILNS1_3genE3ELNS1_11target_archE908ELNS1_3gpuE7ELNS1_3repE0EEENS1_30default_config_static_selectorELNS0_4arch9wavefront6targetE1EEEvT1_
		.amdhsa_group_segment_fixed_size 0
		.amdhsa_private_segment_fixed_size 0
		.amdhsa_kernarg_size 136
		.amdhsa_user_sgpr_count 6
		.amdhsa_user_sgpr_private_segment_buffer 1
		.amdhsa_user_sgpr_dispatch_ptr 0
		.amdhsa_user_sgpr_queue_ptr 0
		.amdhsa_user_sgpr_kernarg_segment_ptr 1
		.amdhsa_user_sgpr_dispatch_id 0
		.amdhsa_user_sgpr_flat_scratch_init 0
		.amdhsa_user_sgpr_kernarg_preload_length 0
		.amdhsa_user_sgpr_kernarg_preload_offset 0
		.amdhsa_user_sgpr_private_segment_size 0
		.amdhsa_uses_dynamic_stack 0
		.amdhsa_system_sgpr_private_segment_wavefront_offset 0
		.amdhsa_system_sgpr_workgroup_id_x 1
		.amdhsa_system_sgpr_workgroup_id_y 0
		.amdhsa_system_sgpr_workgroup_id_z 0
		.amdhsa_system_sgpr_workgroup_info 0
		.amdhsa_system_vgpr_workitem_id 0
		.amdhsa_next_free_vgpr 1
		.amdhsa_next_free_sgpr 0
		.amdhsa_accum_offset 4
		.amdhsa_reserve_vcc 0
		.amdhsa_reserve_flat_scratch 0
		.amdhsa_float_round_mode_32 0
		.amdhsa_float_round_mode_16_64 0
		.amdhsa_float_denorm_mode_32 3
		.amdhsa_float_denorm_mode_16_64 3
		.amdhsa_dx10_clamp 1
		.amdhsa_ieee_mode 1
		.amdhsa_fp16_overflow 0
		.amdhsa_tg_split 0
		.amdhsa_exception_fp_ieee_invalid_op 0
		.amdhsa_exception_fp_denorm_src 0
		.amdhsa_exception_fp_ieee_div_zero 0
		.amdhsa_exception_fp_ieee_overflow 0
		.amdhsa_exception_fp_ieee_underflow 0
		.amdhsa_exception_fp_ieee_inexact 0
		.amdhsa_exception_int_div_zero 0
	.end_amdhsa_kernel
	.section	.text._ZN7rocprim17ROCPRIM_400000_NS6detail17trampoline_kernelINS0_14default_configENS1_29reduce_by_key_config_selectorIxxN6thrust23THRUST_200600_302600_NS4plusIxEEEEZZNS1_33reduce_by_key_impl_wrapped_configILNS1_25lookback_scan_determinismE0ES3_S9_NS6_6detail15normal_iteratorINS6_10device_ptrIxEEEESG_SG_SG_PmS8_22is_equal_div_10_reduceIxEEE10hipError_tPvRmT2_T3_mT4_T5_T6_T7_T8_P12ihipStream_tbENKUlT_T0_E_clISt17integral_constantIbLb1EES11_EEDaSW_SX_EUlSW_E_NS1_11comp_targetILNS1_3genE3ELNS1_11target_archE908ELNS1_3gpuE7ELNS1_3repE0EEENS1_30default_config_static_selectorELNS0_4arch9wavefront6targetE1EEEvT1_,"axG",@progbits,_ZN7rocprim17ROCPRIM_400000_NS6detail17trampoline_kernelINS0_14default_configENS1_29reduce_by_key_config_selectorIxxN6thrust23THRUST_200600_302600_NS4plusIxEEEEZZNS1_33reduce_by_key_impl_wrapped_configILNS1_25lookback_scan_determinismE0ES3_S9_NS6_6detail15normal_iteratorINS6_10device_ptrIxEEEESG_SG_SG_PmS8_22is_equal_div_10_reduceIxEEE10hipError_tPvRmT2_T3_mT4_T5_T6_T7_T8_P12ihipStream_tbENKUlT_T0_E_clISt17integral_constantIbLb1EES11_EEDaSW_SX_EUlSW_E_NS1_11comp_targetILNS1_3genE3ELNS1_11target_archE908ELNS1_3gpuE7ELNS1_3repE0EEENS1_30default_config_static_selectorELNS0_4arch9wavefront6targetE1EEEvT1_,comdat
.Lfunc_end520:
	.size	_ZN7rocprim17ROCPRIM_400000_NS6detail17trampoline_kernelINS0_14default_configENS1_29reduce_by_key_config_selectorIxxN6thrust23THRUST_200600_302600_NS4plusIxEEEEZZNS1_33reduce_by_key_impl_wrapped_configILNS1_25lookback_scan_determinismE0ES3_S9_NS6_6detail15normal_iteratorINS6_10device_ptrIxEEEESG_SG_SG_PmS8_22is_equal_div_10_reduceIxEEE10hipError_tPvRmT2_T3_mT4_T5_T6_T7_T8_P12ihipStream_tbENKUlT_T0_E_clISt17integral_constantIbLb1EES11_EEDaSW_SX_EUlSW_E_NS1_11comp_targetILNS1_3genE3ELNS1_11target_archE908ELNS1_3gpuE7ELNS1_3repE0EEENS1_30default_config_static_selectorELNS0_4arch9wavefront6targetE1EEEvT1_, .Lfunc_end520-_ZN7rocprim17ROCPRIM_400000_NS6detail17trampoline_kernelINS0_14default_configENS1_29reduce_by_key_config_selectorIxxN6thrust23THRUST_200600_302600_NS4plusIxEEEEZZNS1_33reduce_by_key_impl_wrapped_configILNS1_25lookback_scan_determinismE0ES3_S9_NS6_6detail15normal_iteratorINS6_10device_ptrIxEEEESG_SG_SG_PmS8_22is_equal_div_10_reduceIxEEE10hipError_tPvRmT2_T3_mT4_T5_T6_T7_T8_P12ihipStream_tbENKUlT_T0_E_clISt17integral_constantIbLb1EES11_EEDaSW_SX_EUlSW_E_NS1_11comp_targetILNS1_3genE3ELNS1_11target_archE908ELNS1_3gpuE7ELNS1_3repE0EEENS1_30default_config_static_selectorELNS0_4arch9wavefront6targetE1EEEvT1_
                                        ; -- End function
	.section	.AMDGPU.csdata,"",@progbits
; Kernel info:
; codeLenInByte = 0
; NumSgprs: 4
; NumVgprs: 0
; NumAgprs: 0
; TotalNumVgprs: 0
; ScratchSize: 0
; MemoryBound: 0
; FloatMode: 240
; IeeeMode: 1
; LDSByteSize: 0 bytes/workgroup (compile time only)
; SGPRBlocks: 0
; VGPRBlocks: 0
; NumSGPRsForWavesPerEU: 4
; NumVGPRsForWavesPerEU: 1
; AccumOffset: 4
; Occupancy: 8
; WaveLimiterHint : 0
; COMPUTE_PGM_RSRC2:SCRATCH_EN: 0
; COMPUTE_PGM_RSRC2:USER_SGPR: 6
; COMPUTE_PGM_RSRC2:TRAP_HANDLER: 0
; COMPUTE_PGM_RSRC2:TGID_X_EN: 1
; COMPUTE_PGM_RSRC2:TGID_Y_EN: 0
; COMPUTE_PGM_RSRC2:TGID_Z_EN: 0
; COMPUTE_PGM_RSRC2:TIDIG_COMP_CNT: 0
; COMPUTE_PGM_RSRC3_GFX90A:ACCUM_OFFSET: 0
; COMPUTE_PGM_RSRC3_GFX90A:TG_SPLIT: 0
	.section	.text._ZN7rocprim17ROCPRIM_400000_NS6detail17trampoline_kernelINS0_14default_configENS1_29reduce_by_key_config_selectorIxxN6thrust23THRUST_200600_302600_NS4plusIxEEEEZZNS1_33reduce_by_key_impl_wrapped_configILNS1_25lookback_scan_determinismE0ES3_S9_NS6_6detail15normal_iteratorINS6_10device_ptrIxEEEESG_SG_SG_PmS8_22is_equal_div_10_reduceIxEEE10hipError_tPvRmT2_T3_mT4_T5_T6_T7_T8_P12ihipStream_tbENKUlT_T0_E_clISt17integral_constantIbLb1EES11_EEDaSW_SX_EUlSW_E_NS1_11comp_targetILNS1_3genE2ELNS1_11target_archE906ELNS1_3gpuE6ELNS1_3repE0EEENS1_30default_config_static_selectorELNS0_4arch9wavefront6targetE1EEEvT1_,"axG",@progbits,_ZN7rocprim17ROCPRIM_400000_NS6detail17trampoline_kernelINS0_14default_configENS1_29reduce_by_key_config_selectorIxxN6thrust23THRUST_200600_302600_NS4plusIxEEEEZZNS1_33reduce_by_key_impl_wrapped_configILNS1_25lookback_scan_determinismE0ES3_S9_NS6_6detail15normal_iteratorINS6_10device_ptrIxEEEESG_SG_SG_PmS8_22is_equal_div_10_reduceIxEEE10hipError_tPvRmT2_T3_mT4_T5_T6_T7_T8_P12ihipStream_tbENKUlT_T0_E_clISt17integral_constantIbLb1EES11_EEDaSW_SX_EUlSW_E_NS1_11comp_targetILNS1_3genE2ELNS1_11target_archE906ELNS1_3gpuE6ELNS1_3repE0EEENS1_30default_config_static_selectorELNS0_4arch9wavefront6targetE1EEEvT1_,comdat
	.protected	_ZN7rocprim17ROCPRIM_400000_NS6detail17trampoline_kernelINS0_14default_configENS1_29reduce_by_key_config_selectorIxxN6thrust23THRUST_200600_302600_NS4plusIxEEEEZZNS1_33reduce_by_key_impl_wrapped_configILNS1_25lookback_scan_determinismE0ES3_S9_NS6_6detail15normal_iteratorINS6_10device_ptrIxEEEESG_SG_SG_PmS8_22is_equal_div_10_reduceIxEEE10hipError_tPvRmT2_T3_mT4_T5_T6_T7_T8_P12ihipStream_tbENKUlT_T0_E_clISt17integral_constantIbLb1EES11_EEDaSW_SX_EUlSW_E_NS1_11comp_targetILNS1_3genE2ELNS1_11target_archE906ELNS1_3gpuE6ELNS1_3repE0EEENS1_30default_config_static_selectorELNS0_4arch9wavefront6targetE1EEEvT1_ ; -- Begin function _ZN7rocprim17ROCPRIM_400000_NS6detail17trampoline_kernelINS0_14default_configENS1_29reduce_by_key_config_selectorIxxN6thrust23THRUST_200600_302600_NS4plusIxEEEEZZNS1_33reduce_by_key_impl_wrapped_configILNS1_25lookback_scan_determinismE0ES3_S9_NS6_6detail15normal_iteratorINS6_10device_ptrIxEEEESG_SG_SG_PmS8_22is_equal_div_10_reduceIxEEE10hipError_tPvRmT2_T3_mT4_T5_T6_T7_T8_P12ihipStream_tbENKUlT_T0_E_clISt17integral_constantIbLb1EES11_EEDaSW_SX_EUlSW_E_NS1_11comp_targetILNS1_3genE2ELNS1_11target_archE906ELNS1_3gpuE6ELNS1_3repE0EEENS1_30default_config_static_selectorELNS0_4arch9wavefront6targetE1EEEvT1_
	.globl	_ZN7rocprim17ROCPRIM_400000_NS6detail17trampoline_kernelINS0_14default_configENS1_29reduce_by_key_config_selectorIxxN6thrust23THRUST_200600_302600_NS4plusIxEEEEZZNS1_33reduce_by_key_impl_wrapped_configILNS1_25lookback_scan_determinismE0ES3_S9_NS6_6detail15normal_iteratorINS6_10device_ptrIxEEEESG_SG_SG_PmS8_22is_equal_div_10_reduceIxEEE10hipError_tPvRmT2_T3_mT4_T5_T6_T7_T8_P12ihipStream_tbENKUlT_T0_E_clISt17integral_constantIbLb1EES11_EEDaSW_SX_EUlSW_E_NS1_11comp_targetILNS1_3genE2ELNS1_11target_archE906ELNS1_3gpuE6ELNS1_3repE0EEENS1_30default_config_static_selectorELNS0_4arch9wavefront6targetE1EEEvT1_
	.p2align	8
	.type	_ZN7rocprim17ROCPRIM_400000_NS6detail17trampoline_kernelINS0_14default_configENS1_29reduce_by_key_config_selectorIxxN6thrust23THRUST_200600_302600_NS4plusIxEEEEZZNS1_33reduce_by_key_impl_wrapped_configILNS1_25lookback_scan_determinismE0ES3_S9_NS6_6detail15normal_iteratorINS6_10device_ptrIxEEEESG_SG_SG_PmS8_22is_equal_div_10_reduceIxEEE10hipError_tPvRmT2_T3_mT4_T5_T6_T7_T8_P12ihipStream_tbENKUlT_T0_E_clISt17integral_constantIbLb1EES11_EEDaSW_SX_EUlSW_E_NS1_11comp_targetILNS1_3genE2ELNS1_11target_archE906ELNS1_3gpuE6ELNS1_3repE0EEENS1_30default_config_static_selectorELNS0_4arch9wavefront6targetE1EEEvT1_,@function
_ZN7rocprim17ROCPRIM_400000_NS6detail17trampoline_kernelINS0_14default_configENS1_29reduce_by_key_config_selectorIxxN6thrust23THRUST_200600_302600_NS4plusIxEEEEZZNS1_33reduce_by_key_impl_wrapped_configILNS1_25lookback_scan_determinismE0ES3_S9_NS6_6detail15normal_iteratorINS6_10device_ptrIxEEEESG_SG_SG_PmS8_22is_equal_div_10_reduceIxEEE10hipError_tPvRmT2_T3_mT4_T5_T6_T7_T8_P12ihipStream_tbENKUlT_T0_E_clISt17integral_constantIbLb1EES11_EEDaSW_SX_EUlSW_E_NS1_11comp_targetILNS1_3genE2ELNS1_11target_archE906ELNS1_3gpuE6ELNS1_3repE0EEENS1_30default_config_static_selectorELNS0_4arch9wavefront6targetE1EEEvT1_: ; @_ZN7rocprim17ROCPRIM_400000_NS6detail17trampoline_kernelINS0_14default_configENS1_29reduce_by_key_config_selectorIxxN6thrust23THRUST_200600_302600_NS4plusIxEEEEZZNS1_33reduce_by_key_impl_wrapped_configILNS1_25lookback_scan_determinismE0ES3_S9_NS6_6detail15normal_iteratorINS6_10device_ptrIxEEEESG_SG_SG_PmS8_22is_equal_div_10_reduceIxEEE10hipError_tPvRmT2_T3_mT4_T5_T6_T7_T8_P12ihipStream_tbENKUlT_T0_E_clISt17integral_constantIbLb1EES11_EEDaSW_SX_EUlSW_E_NS1_11comp_targetILNS1_3genE2ELNS1_11target_archE906ELNS1_3gpuE6ELNS1_3repE0EEENS1_30default_config_static_selectorELNS0_4arch9wavefront6targetE1EEEvT1_
; %bb.0:
	.section	.rodata,"a",@progbits
	.p2align	6, 0x0
	.amdhsa_kernel _ZN7rocprim17ROCPRIM_400000_NS6detail17trampoline_kernelINS0_14default_configENS1_29reduce_by_key_config_selectorIxxN6thrust23THRUST_200600_302600_NS4plusIxEEEEZZNS1_33reduce_by_key_impl_wrapped_configILNS1_25lookback_scan_determinismE0ES3_S9_NS6_6detail15normal_iteratorINS6_10device_ptrIxEEEESG_SG_SG_PmS8_22is_equal_div_10_reduceIxEEE10hipError_tPvRmT2_T3_mT4_T5_T6_T7_T8_P12ihipStream_tbENKUlT_T0_E_clISt17integral_constantIbLb1EES11_EEDaSW_SX_EUlSW_E_NS1_11comp_targetILNS1_3genE2ELNS1_11target_archE906ELNS1_3gpuE6ELNS1_3repE0EEENS1_30default_config_static_selectorELNS0_4arch9wavefront6targetE1EEEvT1_
		.amdhsa_group_segment_fixed_size 0
		.amdhsa_private_segment_fixed_size 0
		.amdhsa_kernarg_size 136
		.amdhsa_user_sgpr_count 6
		.amdhsa_user_sgpr_private_segment_buffer 1
		.amdhsa_user_sgpr_dispatch_ptr 0
		.amdhsa_user_sgpr_queue_ptr 0
		.amdhsa_user_sgpr_kernarg_segment_ptr 1
		.amdhsa_user_sgpr_dispatch_id 0
		.amdhsa_user_sgpr_flat_scratch_init 0
		.amdhsa_user_sgpr_kernarg_preload_length 0
		.amdhsa_user_sgpr_kernarg_preload_offset 0
		.amdhsa_user_sgpr_private_segment_size 0
		.amdhsa_uses_dynamic_stack 0
		.amdhsa_system_sgpr_private_segment_wavefront_offset 0
		.amdhsa_system_sgpr_workgroup_id_x 1
		.amdhsa_system_sgpr_workgroup_id_y 0
		.amdhsa_system_sgpr_workgroup_id_z 0
		.amdhsa_system_sgpr_workgroup_info 0
		.amdhsa_system_vgpr_workitem_id 0
		.amdhsa_next_free_vgpr 1
		.amdhsa_next_free_sgpr 0
		.amdhsa_accum_offset 4
		.amdhsa_reserve_vcc 0
		.amdhsa_reserve_flat_scratch 0
		.amdhsa_float_round_mode_32 0
		.amdhsa_float_round_mode_16_64 0
		.amdhsa_float_denorm_mode_32 3
		.amdhsa_float_denorm_mode_16_64 3
		.amdhsa_dx10_clamp 1
		.amdhsa_ieee_mode 1
		.amdhsa_fp16_overflow 0
		.amdhsa_tg_split 0
		.amdhsa_exception_fp_ieee_invalid_op 0
		.amdhsa_exception_fp_denorm_src 0
		.amdhsa_exception_fp_ieee_div_zero 0
		.amdhsa_exception_fp_ieee_overflow 0
		.amdhsa_exception_fp_ieee_underflow 0
		.amdhsa_exception_fp_ieee_inexact 0
		.amdhsa_exception_int_div_zero 0
	.end_amdhsa_kernel
	.section	.text._ZN7rocprim17ROCPRIM_400000_NS6detail17trampoline_kernelINS0_14default_configENS1_29reduce_by_key_config_selectorIxxN6thrust23THRUST_200600_302600_NS4plusIxEEEEZZNS1_33reduce_by_key_impl_wrapped_configILNS1_25lookback_scan_determinismE0ES3_S9_NS6_6detail15normal_iteratorINS6_10device_ptrIxEEEESG_SG_SG_PmS8_22is_equal_div_10_reduceIxEEE10hipError_tPvRmT2_T3_mT4_T5_T6_T7_T8_P12ihipStream_tbENKUlT_T0_E_clISt17integral_constantIbLb1EES11_EEDaSW_SX_EUlSW_E_NS1_11comp_targetILNS1_3genE2ELNS1_11target_archE906ELNS1_3gpuE6ELNS1_3repE0EEENS1_30default_config_static_selectorELNS0_4arch9wavefront6targetE1EEEvT1_,"axG",@progbits,_ZN7rocprim17ROCPRIM_400000_NS6detail17trampoline_kernelINS0_14default_configENS1_29reduce_by_key_config_selectorIxxN6thrust23THRUST_200600_302600_NS4plusIxEEEEZZNS1_33reduce_by_key_impl_wrapped_configILNS1_25lookback_scan_determinismE0ES3_S9_NS6_6detail15normal_iteratorINS6_10device_ptrIxEEEESG_SG_SG_PmS8_22is_equal_div_10_reduceIxEEE10hipError_tPvRmT2_T3_mT4_T5_T6_T7_T8_P12ihipStream_tbENKUlT_T0_E_clISt17integral_constantIbLb1EES11_EEDaSW_SX_EUlSW_E_NS1_11comp_targetILNS1_3genE2ELNS1_11target_archE906ELNS1_3gpuE6ELNS1_3repE0EEENS1_30default_config_static_selectorELNS0_4arch9wavefront6targetE1EEEvT1_,comdat
.Lfunc_end521:
	.size	_ZN7rocprim17ROCPRIM_400000_NS6detail17trampoline_kernelINS0_14default_configENS1_29reduce_by_key_config_selectorIxxN6thrust23THRUST_200600_302600_NS4plusIxEEEEZZNS1_33reduce_by_key_impl_wrapped_configILNS1_25lookback_scan_determinismE0ES3_S9_NS6_6detail15normal_iteratorINS6_10device_ptrIxEEEESG_SG_SG_PmS8_22is_equal_div_10_reduceIxEEE10hipError_tPvRmT2_T3_mT4_T5_T6_T7_T8_P12ihipStream_tbENKUlT_T0_E_clISt17integral_constantIbLb1EES11_EEDaSW_SX_EUlSW_E_NS1_11comp_targetILNS1_3genE2ELNS1_11target_archE906ELNS1_3gpuE6ELNS1_3repE0EEENS1_30default_config_static_selectorELNS0_4arch9wavefront6targetE1EEEvT1_, .Lfunc_end521-_ZN7rocprim17ROCPRIM_400000_NS6detail17trampoline_kernelINS0_14default_configENS1_29reduce_by_key_config_selectorIxxN6thrust23THRUST_200600_302600_NS4plusIxEEEEZZNS1_33reduce_by_key_impl_wrapped_configILNS1_25lookback_scan_determinismE0ES3_S9_NS6_6detail15normal_iteratorINS6_10device_ptrIxEEEESG_SG_SG_PmS8_22is_equal_div_10_reduceIxEEE10hipError_tPvRmT2_T3_mT4_T5_T6_T7_T8_P12ihipStream_tbENKUlT_T0_E_clISt17integral_constantIbLb1EES11_EEDaSW_SX_EUlSW_E_NS1_11comp_targetILNS1_3genE2ELNS1_11target_archE906ELNS1_3gpuE6ELNS1_3repE0EEENS1_30default_config_static_selectorELNS0_4arch9wavefront6targetE1EEEvT1_
                                        ; -- End function
	.section	.AMDGPU.csdata,"",@progbits
; Kernel info:
; codeLenInByte = 0
; NumSgprs: 4
; NumVgprs: 0
; NumAgprs: 0
; TotalNumVgprs: 0
; ScratchSize: 0
; MemoryBound: 0
; FloatMode: 240
; IeeeMode: 1
; LDSByteSize: 0 bytes/workgroup (compile time only)
; SGPRBlocks: 0
; VGPRBlocks: 0
; NumSGPRsForWavesPerEU: 4
; NumVGPRsForWavesPerEU: 1
; AccumOffset: 4
; Occupancy: 8
; WaveLimiterHint : 0
; COMPUTE_PGM_RSRC2:SCRATCH_EN: 0
; COMPUTE_PGM_RSRC2:USER_SGPR: 6
; COMPUTE_PGM_RSRC2:TRAP_HANDLER: 0
; COMPUTE_PGM_RSRC2:TGID_X_EN: 1
; COMPUTE_PGM_RSRC2:TGID_Y_EN: 0
; COMPUTE_PGM_RSRC2:TGID_Z_EN: 0
; COMPUTE_PGM_RSRC2:TIDIG_COMP_CNT: 0
; COMPUTE_PGM_RSRC3_GFX90A:ACCUM_OFFSET: 0
; COMPUTE_PGM_RSRC3_GFX90A:TG_SPLIT: 0
	.section	.text._ZN7rocprim17ROCPRIM_400000_NS6detail17trampoline_kernelINS0_14default_configENS1_29reduce_by_key_config_selectorIxxN6thrust23THRUST_200600_302600_NS4plusIxEEEEZZNS1_33reduce_by_key_impl_wrapped_configILNS1_25lookback_scan_determinismE0ES3_S9_NS6_6detail15normal_iteratorINS6_10device_ptrIxEEEESG_SG_SG_PmS8_22is_equal_div_10_reduceIxEEE10hipError_tPvRmT2_T3_mT4_T5_T6_T7_T8_P12ihipStream_tbENKUlT_T0_E_clISt17integral_constantIbLb1EES11_EEDaSW_SX_EUlSW_E_NS1_11comp_targetILNS1_3genE10ELNS1_11target_archE1201ELNS1_3gpuE5ELNS1_3repE0EEENS1_30default_config_static_selectorELNS0_4arch9wavefront6targetE1EEEvT1_,"axG",@progbits,_ZN7rocprim17ROCPRIM_400000_NS6detail17trampoline_kernelINS0_14default_configENS1_29reduce_by_key_config_selectorIxxN6thrust23THRUST_200600_302600_NS4plusIxEEEEZZNS1_33reduce_by_key_impl_wrapped_configILNS1_25lookback_scan_determinismE0ES3_S9_NS6_6detail15normal_iteratorINS6_10device_ptrIxEEEESG_SG_SG_PmS8_22is_equal_div_10_reduceIxEEE10hipError_tPvRmT2_T3_mT4_T5_T6_T7_T8_P12ihipStream_tbENKUlT_T0_E_clISt17integral_constantIbLb1EES11_EEDaSW_SX_EUlSW_E_NS1_11comp_targetILNS1_3genE10ELNS1_11target_archE1201ELNS1_3gpuE5ELNS1_3repE0EEENS1_30default_config_static_selectorELNS0_4arch9wavefront6targetE1EEEvT1_,comdat
	.protected	_ZN7rocprim17ROCPRIM_400000_NS6detail17trampoline_kernelINS0_14default_configENS1_29reduce_by_key_config_selectorIxxN6thrust23THRUST_200600_302600_NS4plusIxEEEEZZNS1_33reduce_by_key_impl_wrapped_configILNS1_25lookback_scan_determinismE0ES3_S9_NS6_6detail15normal_iteratorINS6_10device_ptrIxEEEESG_SG_SG_PmS8_22is_equal_div_10_reduceIxEEE10hipError_tPvRmT2_T3_mT4_T5_T6_T7_T8_P12ihipStream_tbENKUlT_T0_E_clISt17integral_constantIbLb1EES11_EEDaSW_SX_EUlSW_E_NS1_11comp_targetILNS1_3genE10ELNS1_11target_archE1201ELNS1_3gpuE5ELNS1_3repE0EEENS1_30default_config_static_selectorELNS0_4arch9wavefront6targetE1EEEvT1_ ; -- Begin function _ZN7rocprim17ROCPRIM_400000_NS6detail17trampoline_kernelINS0_14default_configENS1_29reduce_by_key_config_selectorIxxN6thrust23THRUST_200600_302600_NS4plusIxEEEEZZNS1_33reduce_by_key_impl_wrapped_configILNS1_25lookback_scan_determinismE0ES3_S9_NS6_6detail15normal_iteratorINS6_10device_ptrIxEEEESG_SG_SG_PmS8_22is_equal_div_10_reduceIxEEE10hipError_tPvRmT2_T3_mT4_T5_T6_T7_T8_P12ihipStream_tbENKUlT_T0_E_clISt17integral_constantIbLb1EES11_EEDaSW_SX_EUlSW_E_NS1_11comp_targetILNS1_3genE10ELNS1_11target_archE1201ELNS1_3gpuE5ELNS1_3repE0EEENS1_30default_config_static_selectorELNS0_4arch9wavefront6targetE1EEEvT1_
	.globl	_ZN7rocprim17ROCPRIM_400000_NS6detail17trampoline_kernelINS0_14default_configENS1_29reduce_by_key_config_selectorIxxN6thrust23THRUST_200600_302600_NS4plusIxEEEEZZNS1_33reduce_by_key_impl_wrapped_configILNS1_25lookback_scan_determinismE0ES3_S9_NS6_6detail15normal_iteratorINS6_10device_ptrIxEEEESG_SG_SG_PmS8_22is_equal_div_10_reduceIxEEE10hipError_tPvRmT2_T3_mT4_T5_T6_T7_T8_P12ihipStream_tbENKUlT_T0_E_clISt17integral_constantIbLb1EES11_EEDaSW_SX_EUlSW_E_NS1_11comp_targetILNS1_3genE10ELNS1_11target_archE1201ELNS1_3gpuE5ELNS1_3repE0EEENS1_30default_config_static_selectorELNS0_4arch9wavefront6targetE1EEEvT1_
	.p2align	8
	.type	_ZN7rocprim17ROCPRIM_400000_NS6detail17trampoline_kernelINS0_14default_configENS1_29reduce_by_key_config_selectorIxxN6thrust23THRUST_200600_302600_NS4plusIxEEEEZZNS1_33reduce_by_key_impl_wrapped_configILNS1_25lookback_scan_determinismE0ES3_S9_NS6_6detail15normal_iteratorINS6_10device_ptrIxEEEESG_SG_SG_PmS8_22is_equal_div_10_reduceIxEEE10hipError_tPvRmT2_T3_mT4_T5_T6_T7_T8_P12ihipStream_tbENKUlT_T0_E_clISt17integral_constantIbLb1EES11_EEDaSW_SX_EUlSW_E_NS1_11comp_targetILNS1_3genE10ELNS1_11target_archE1201ELNS1_3gpuE5ELNS1_3repE0EEENS1_30default_config_static_selectorELNS0_4arch9wavefront6targetE1EEEvT1_,@function
_ZN7rocprim17ROCPRIM_400000_NS6detail17trampoline_kernelINS0_14default_configENS1_29reduce_by_key_config_selectorIxxN6thrust23THRUST_200600_302600_NS4plusIxEEEEZZNS1_33reduce_by_key_impl_wrapped_configILNS1_25lookback_scan_determinismE0ES3_S9_NS6_6detail15normal_iteratorINS6_10device_ptrIxEEEESG_SG_SG_PmS8_22is_equal_div_10_reduceIxEEE10hipError_tPvRmT2_T3_mT4_T5_T6_T7_T8_P12ihipStream_tbENKUlT_T0_E_clISt17integral_constantIbLb1EES11_EEDaSW_SX_EUlSW_E_NS1_11comp_targetILNS1_3genE10ELNS1_11target_archE1201ELNS1_3gpuE5ELNS1_3repE0EEENS1_30default_config_static_selectorELNS0_4arch9wavefront6targetE1EEEvT1_: ; @_ZN7rocprim17ROCPRIM_400000_NS6detail17trampoline_kernelINS0_14default_configENS1_29reduce_by_key_config_selectorIxxN6thrust23THRUST_200600_302600_NS4plusIxEEEEZZNS1_33reduce_by_key_impl_wrapped_configILNS1_25lookback_scan_determinismE0ES3_S9_NS6_6detail15normal_iteratorINS6_10device_ptrIxEEEESG_SG_SG_PmS8_22is_equal_div_10_reduceIxEEE10hipError_tPvRmT2_T3_mT4_T5_T6_T7_T8_P12ihipStream_tbENKUlT_T0_E_clISt17integral_constantIbLb1EES11_EEDaSW_SX_EUlSW_E_NS1_11comp_targetILNS1_3genE10ELNS1_11target_archE1201ELNS1_3gpuE5ELNS1_3repE0EEENS1_30default_config_static_selectorELNS0_4arch9wavefront6targetE1EEEvT1_
; %bb.0:
	.section	.rodata,"a",@progbits
	.p2align	6, 0x0
	.amdhsa_kernel _ZN7rocprim17ROCPRIM_400000_NS6detail17trampoline_kernelINS0_14default_configENS1_29reduce_by_key_config_selectorIxxN6thrust23THRUST_200600_302600_NS4plusIxEEEEZZNS1_33reduce_by_key_impl_wrapped_configILNS1_25lookback_scan_determinismE0ES3_S9_NS6_6detail15normal_iteratorINS6_10device_ptrIxEEEESG_SG_SG_PmS8_22is_equal_div_10_reduceIxEEE10hipError_tPvRmT2_T3_mT4_T5_T6_T7_T8_P12ihipStream_tbENKUlT_T0_E_clISt17integral_constantIbLb1EES11_EEDaSW_SX_EUlSW_E_NS1_11comp_targetILNS1_3genE10ELNS1_11target_archE1201ELNS1_3gpuE5ELNS1_3repE0EEENS1_30default_config_static_selectorELNS0_4arch9wavefront6targetE1EEEvT1_
		.amdhsa_group_segment_fixed_size 0
		.amdhsa_private_segment_fixed_size 0
		.amdhsa_kernarg_size 136
		.amdhsa_user_sgpr_count 6
		.amdhsa_user_sgpr_private_segment_buffer 1
		.amdhsa_user_sgpr_dispatch_ptr 0
		.amdhsa_user_sgpr_queue_ptr 0
		.amdhsa_user_sgpr_kernarg_segment_ptr 1
		.amdhsa_user_sgpr_dispatch_id 0
		.amdhsa_user_sgpr_flat_scratch_init 0
		.amdhsa_user_sgpr_kernarg_preload_length 0
		.amdhsa_user_sgpr_kernarg_preload_offset 0
		.amdhsa_user_sgpr_private_segment_size 0
		.amdhsa_uses_dynamic_stack 0
		.amdhsa_system_sgpr_private_segment_wavefront_offset 0
		.amdhsa_system_sgpr_workgroup_id_x 1
		.amdhsa_system_sgpr_workgroup_id_y 0
		.amdhsa_system_sgpr_workgroup_id_z 0
		.amdhsa_system_sgpr_workgroup_info 0
		.amdhsa_system_vgpr_workitem_id 0
		.amdhsa_next_free_vgpr 1
		.amdhsa_next_free_sgpr 0
		.amdhsa_accum_offset 4
		.amdhsa_reserve_vcc 0
		.amdhsa_reserve_flat_scratch 0
		.amdhsa_float_round_mode_32 0
		.amdhsa_float_round_mode_16_64 0
		.amdhsa_float_denorm_mode_32 3
		.amdhsa_float_denorm_mode_16_64 3
		.amdhsa_dx10_clamp 1
		.amdhsa_ieee_mode 1
		.amdhsa_fp16_overflow 0
		.amdhsa_tg_split 0
		.amdhsa_exception_fp_ieee_invalid_op 0
		.amdhsa_exception_fp_denorm_src 0
		.amdhsa_exception_fp_ieee_div_zero 0
		.amdhsa_exception_fp_ieee_overflow 0
		.amdhsa_exception_fp_ieee_underflow 0
		.amdhsa_exception_fp_ieee_inexact 0
		.amdhsa_exception_int_div_zero 0
	.end_amdhsa_kernel
	.section	.text._ZN7rocprim17ROCPRIM_400000_NS6detail17trampoline_kernelINS0_14default_configENS1_29reduce_by_key_config_selectorIxxN6thrust23THRUST_200600_302600_NS4plusIxEEEEZZNS1_33reduce_by_key_impl_wrapped_configILNS1_25lookback_scan_determinismE0ES3_S9_NS6_6detail15normal_iteratorINS6_10device_ptrIxEEEESG_SG_SG_PmS8_22is_equal_div_10_reduceIxEEE10hipError_tPvRmT2_T3_mT4_T5_T6_T7_T8_P12ihipStream_tbENKUlT_T0_E_clISt17integral_constantIbLb1EES11_EEDaSW_SX_EUlSW_E_NS1_11comp_targetILNS1_3genE10ELNS1_11target_archE1201ELNS1_3gpuE5ELNS1_3repE0EEENS1_30default_config_static_selectorELNS0_4arch9wavefront6targetE1EEEvT1_,"axG",@progbits,_ZN7rocprim17ROCPRIM_400000_NS6detail17trampoline_kernelINS0_14default_configENS1_29reduce_by_key_config_selectorIxxN6thrust23THRUST_200600_302600_NS4plusIxEEEEZZNS1_33reduce_by_key_impl_wrapped_configILNS1_25lookback_scan_determinismE0ES3_S9_NS6_6detail15normal_iteratorINS6_10device_ptrIxEEEESG_SG_SG_PmS8_22is_equal_div_10_reduceIxEEE10hipError_tPvRmT2_T3_mT4_T5_T6_T7_T8_P12ihipStream_tbENKUlT_T0_E_clISt17integral_constantIbLb1EES11_EEDaSW_SX_EUlSW_E_NS1_11comp_targetILNS1_3genE10ELNS1_11target_archE1201ELNS1_3gpuE5ELNS1_3repE0EEENS1_30default_config_static_selectorELNS0_4arch9wavefront6targetE1EEEvT1_,comdat
.Lfunc_end522:
	.size	_ZN7rocprim17ROCPRIM_400000_NS6detail17trampoline_kernelINS0_14default_configENS1_29reduce_by_key_config_selectorIxxN6thrust23THRUST_200600_302600_NS4plusIxEEEEZZNS1_33reduce_by_key_impl_wrapped_configILNS1_25lookback_scan_determinismE0ES3_S9_NS6_6detail15normal_iteratorINS6_10device_ptrIxEEEESG_SG_SG_PmS8_22is_equal_div_10_reduceIxEEE10hipError_tPvRmT2_T3_mT4_T5_T6_T7_T8_P12ihipStream_tbENKUlT_T0_E_clISt17integral_constantIbLb1EES11_EEDaSW_SX_EUlSW_E_NS1_11comp_targetILNS1_3genE10ELNS1_11target_archE1201ELNS1_3gpuE5ELNS1_3repE0EEENS1_30default_config_static_selectorELNS0_4arch9wavefront6targetE1EEEvT1_, .Lfunc_end522-_ZN7rocprim17ROCPRIM_400000_NS6detail17trampoline_kernelINS0_14default_configENS1_29reduce_by_key_config_selectorIxxN6thrust23THRUST_200600_302600_NS4plusIxEEEEZZNS1_33reduce_by_key_impl_wrapped_configILNS1_25lookback_scan_determinismE0ES3_S9_NS6_6detail15normal_iteratorINS6_10device_ptrIxEEEESG_SG_SG_PmS8_22is_equal_div_10_reduceIxEEE10hipError_tPvRmT2_T3_mT4_T5_T6_T7_T8_P12ihipStream_tbENKUlT_T0_E_clISt17integral_constantIbLb1EES11_EEDaSW_SX_EUlSW_E_NS1_11comp_targetILNS1_3genE10ELNS1_11target_archE1201ELNS1_3gpuE5ELNS1_3repE0EEENS1_30default_config_static_selectorELNS0_4arch9wavefront6targetE1EEEvT1_
                                        ; -- End function
	.section	.AMDGPU.csdata,"",@progbits
; Kernel info:
; codeLenInByte = 0
; NumSgprs: 4
; NumVgprs: 0
; NumAgprs: 0
; TotalNumVgprs: 0
; ScratchSize: 0
; MemoryBound: 0
; FloatMode: 240
; IeeeMode: 1
; LDSByteSize: 0 bytes/workgroup (compile time only)
; SGPRBlocks: 0
; VGPRBlocks: 0
; NumSGPRsForWavesPerEU: 4
; NumVGPRsForWavesPerEU: 1
; AccumOffset: 4
; Occupancy: 8
; WaveLimiterHint : 0
; COMPUTE_PGM_RSRC2:SCRATCH_EN: 0
; COMPUTE_PGM_RSRC2:USER_SGPR: 6
; COMPUTE_PGM_RSRC2:TRAP_HANDLER: 0
; COMPUTE_PGM_RSRC2:TGID_X_EN: 1
; COMPUTE_PGM_RSRC2:TGID_Y_EN: 0
; COMPUTE_PGM_RSRC2:TGID_Z_EN: 0
; COMPUTE_PGM_RSRC2:TIDIG_COMP_CNT: 0
; COMPUTE_PGM_RSRC3_GFX90A:ACCUM_OFFSET: 0
; COMPUTE_PGM_RSRC3_GFX90A:TG_SPLIT: 0
	.section	.text._ZN7rocprim17ROCPRIM_400000_NS6detail17trampoline_kernelINS0_14default_configENS1_29reduce_by_key_config_selectorIxxN6thrust23THRUST_200600_302600_NS4plusIxEEEEZZNS1_33reduce_by_key_impl_wrapped_configILNS1_25lookback_scan_determinismE0ES3_S9_NS6_6detail15normal_iteratorINS6_10device_ptrIxEEEESG_SG_SG_PmS8_22is_equal_div_10_reduceIxEEE10hipError_tPvRmT2_T3_mT4_T5_T6_T7_T8_P12ihipStream_tbENKUlT_T0_E_clISt17integral_constantIbLb1EES11_EEDaSW_SX_EUlSW_E_NS1_11comp_targetILNS1_3genE10ELNS1_11target_archE1200ELNS1_3gpuE4ELNS1_3repE0EEENS1_30default_config_static_selectorELNS0_4arch9wavefront6targetE1EEEvT1_,"axG",@progbits,_ZN7rocprim17ROCPRIM_400000_NS6detail17trampoline_kernelINS0_14default_configENS1_29reduce_by_key_config_selectorIxxN6thrust23THRUST_200600_302600_NS4plusIxEEEEZZNS1_33reduce_by_key_impl_wrapped_configILNS1_25lookback_scan_determinismE0ES3_S9_NS6_6detail15normal_iteratorINS6_10device_ptrIxEEEESG_SG_SG_PmS8_22is_equal_div_10_reduceIxEEE10hipError_tPvRmT2_T3_mT4_T5_T6_T7_T8_P12ihipStream_tbENKUlT_T0_E_clISt17integral_constantIbLb1EES11_EEDaSW_SX_EUlSW_E_NS1_11comp_targetILNS1_3genE10ELNS1_11target_archE1200ELNS1_3gpuE4ELNS1_3repE0EEENS1_30default_config_static_selectorELNS0_4arch9wavefront6targetE1EEEvT1_,comdat
	.protected	_ZN7rocprim17ROCPRIM_400000_NS6detail17trampoline_kernelINS0_14default_configENS1_29reduce_by_key_config_selectorIxxN6thrust23THRUST_200600_302600_NS4plusIxEEEEZZNS1_33reduce_by_key_impl_wrapped_configILNS1_25lookback_scan_determinismE0ES3_S9_NS6_6detail15normal_iteratorINS6_10device_ptrIxEEEESG_SG_SG_PmS8_22is_equal_div_10_reduceIxEEE10hipError_tPvRmT2_T3_mT4_T5_T6_T7_T8_P12ihipStream_tbENKUlT_T0_E_clISt17integral_constantIbLb1EES11_EEDaSW_SX_EUlSW_E_NS1_11comp_targetILNS1_3genE10ELNS1_11target_archE1200ELNS1_3gpuE4ELNS1_3repE0EEENS1_30default_config_static_selectorELNS0_4arch9wavefront6targetE1EEEvT1_ ; -- Begin function _ZN7rocprim17ROCPRIM_400000_NS6detail17trampoline_kernelINS0_14default_configENS1_29reduce_by_key_config_selectorIxxN6thrust23THRUST_200600_302600_NS4plusIxEEEEZZNS1_33reduce_by_key_impl_wrapped_configILNS1_25lookback_scan_determinismE0ES3_S9_NS6_6detail15normal_iteratorINS6_10device_ptrIxEEEESG_SG_SG_PmS8_22is_equal_div_10_reduceIxEEE10hipError_tPvRmT2_T3_mT4_T5_T6_T7_T8_P12ihipStream_tbENKUlT_T0_E_clISt17integral_constantIbLb1EES11_EEDaSW_SX_EUlSW_E_NS1_11comp_targetILNS1_3genE10ELNS1_11target_archE1200ELNS1_3gpuE4ELNS1_3repE0EEENS1_30default_config_static_selectorELNS0_4arch9wavefront6targetE1EEEvT1_
	.globl	_ZN7rocprim17ROCPRIM_400000_NS6detail17trampoline_kernelINS0_14default_configENS1_29reduce_by_key_config_selectorIxxN6thrust23THRUST_200600_302600_NS4plusIxEEEEZZNS1_33reduce_by_key_impl_wrapped_configILNS1_25lookback_scan_determinismE0ES3_S9_NS6_6detail15normal_iteratorINS6_10device_ptrIxEEEESG_SG_SG_PmS8_22is_equal_div_10_reduceIxEEE10hipError_tPvRmT2_T3_mT4_T5_T6_T7_T8_P12ihipStream_tbENKUlT_T0_E_clISt17integral_constantIbLb1EES11_EEDaSW_SX_EUlSW_E_NS1_11comp_targetILNS1_3genE10ELNS1_11target_archE1200ELNS1_3gpuE4ELNS1_3repE0EEENS1_30default_config_static_selectorELNS0_4arch9wavefront6targetE1EEEvT1_
	.p2align	8
	.type	_ZN7rocprim17ROCPRIM_400000_NS6detail17trampoline_kernelINS0_14default_configENS1_29reduce_by_key_config_selectorIxxN6thrust23THRUST_200600_302600_NS4plusIxEEEEZZNS1_33reduce_by_key_impl_wrapped_configILNS1_25lookback_scan_determinismE0ES3_S9_NS6_6detail15normal_iteratorINS6_10device_ptrIxEEEESG_SG_SG_PmS8_22is_equal_div_10_reduceIxEEE10hipError_tPvRmT2_T3_mT4_T5_T6_T7_T8_P12ihipStream_tbENKUlT_T0_E_clISt17integral_constantIbLb1EES11_EEDaSW_SX_EUlSW_E_NS1_11comp_targetILNS1_3genE10ELNS1_11target_archE1200ELNS1_3gpuE4ELNS1_3repE0EEENS1_30default_config_static_selectorELNS0_4arch9wavefront6targetE1EEEvT1_,@function
_ZN7rocprim17ROCPRIM_400000_NS6detail17trampoline_kernelINS0_14default_configENS1_29reduce_by_key_config_selectorIxxN6thrust23THRUST_200600_302600_NS4plusIxEEEEZZNS1_33reduce_by_key_impl_wrapped_configILNS1_25lookback_scan_determinismE0ES3_S9_NS6_6detail15normal_iteratorINS6_10device_ptrIxEEEESG_SG_SG_PmS8_22is_equal_div_10_reduceIxEEE10hipError_tPvRmT2_T3_mT4_T5_T6_T7_T8_P12ihipStream_tbENKUlT_T0_E_clISt17integral_constantIbLb1EES11_EEDaSW_SX_EUlSW_E_NS1_11comp_targetILNS1_3genE10ELNS1_11target_archE1200ELNS1_3gpuE4ELNS1_3repE0EEENS1_30default_config_static_selectorELNS0_4arch9wavefront6targetE1EEEvT1_: ; @_ZN7rocprim17ROCPRIM_400000_NS6detail17trampoline_kernelINS0_14default_configENS1_29reduce_by_key_config_selectorIxxN6thrust23THRUST_200600_302600_NS4plusIxEEEEZZNS1_33reduce_by_key_impl_wrapped_configILNS1_25lookback_scan_determinismE0ES3_S9_NS6_6detail15normal_iteratorINS6_10device_ptrIxEEEESG_SG_SG_PmS8_22is_equal_div_10_reduceIxEEE10hipError_tPvRmT2_T3_mT4_T5_T6_T7_T8_P12ihipStream_tbENKUlT_T0_E_clISt17integral_constantIbLb1EES11_EEDaSW_SX_EUlSW_E_NS1_11comp_targetILNS1_3genE10ELNS1_11target_archE1200ELNS1_3gpuE4ELNS1_3repE0EEENS1_30default_config_static_selectorELNS0_4arch9wavefront6targetE1EEEvT1_
; %bb.0:
	.section	.rodata,"a",@progbits
	.p2align	6, 0x0
	.amdhsa_kernel _ZN7rocprim17ROCPRIM_400000_NS6detail17trampoline_kernelINS0_14default_configENS1_29reduce_by_key_config_selectorIxxN6thrust23THRUST_200600_302600_NS4plusIxEEEEZZNS1_33reduce_by_key_impl_wrapped_configILNS1_25lookback_scan_determinismE0ES3_S9_NS6_6detail15normal_iteratorINS6_10device_ptrIxEEEESG_SG_SG_PmS8_22is_equal_div_10_reduceIxEEE10hipError_tPvRmT2_T3_mT4_T5_T6_T7_T8_P12ihipStream_tbENKUlT_T0_E_clISt17integral_constantIbLb1EES11_EEDaSW_SX_EUlSW_E_NS1_11comp_targetILNS1_3genE10ELNS1_11target_archE1200ELNS1_3gpuE4ELNS1_3repE0EEENS1_30default_config_static_selectorELNS0_4arch9wavefront6targetE1EEEvT1_
		.amdhsa_group_segment_fixed_size 0
		.amdhsa_private_segment_fixed_size 0
		.amdhsa_kernarg_size 136
		.amdhsa_user_sgpr_count 6
		.amdhsa_user_sgpr_private_segment_buffer 1
		.amdhsa_user_sgpr_dispatch_ptr 0
		.amdhsa_user_sgpr_queue_ptr 0
		.amdhsa_user_sgpr_kernarg_segment_ptr 1
		.amdhsa_user_sgpr_dispatch_id 0
		.amdhsa_user_sgpr_flat_scratch_init 0
		.amdhsa_user_sgpr_kernarg_preload_length 0
		.amdhsa_user_sgpr_kernarg_preload_offset 0
		.amdhsa_user_sgpr_private_segment_size 0
		.amdhsa_uses_dynamic_stack 0
		.amdhsa_system_sgpr_private_segment_wavefront_offset 0
		.amdhsa_system_sgpr_workgroup_id_x 1
		.amdhsa_system_sgpr_workgroup_id_y 0
		.amdhsa_system_sgpr_workgroup_id_z 0
		.amdhsa_system_sgpr_workgroup_info 0
		.amdhsa_system_vgpr_workitem_id 0
		.amdhsa_next_free_vgpr 1
		.amdhsa_next_free_sgpr 0
		.amdhsa_accum_offset 4
		.amdhsa_reserve_vcc 0
		.amdhsa_reserve_flat_scratch 0
		.amdhsa_float_round_mode_32 0
		.amdhsa_float_round_mode_16_64 0
		.amdhsa_float_denorm_mode_32 3
		.amdhsa_float_denorm_mode_16_64 3
		.amdhsa_dx10_clamp 1
		.amdhsa_ieee_mode 1
		.amdhsa_fp16_overflow 0
		.amdhsa_tg_split 0
		.amdhsa_exception_fp_ieee_invalid_op 0
		.amdhsa_exception_fp_denorm_src 0
		.amdhsa_exception_fp_ieee_div_zero 0
		.amdhsa_exception_fp_ieee_overflow 0
		.amdhsa_exception_fp_ieee_underflow 0
		.amdhsa_exception_fp_ieee_inexact 0
		.amdhsa_exception_int_div_zero 0
	.end_amdhsa_kernel
	.section	.text._ZN7rocprim17ROCPRIM_400000_NS6detail17trampoline_kernelINS0_14default_configENS1_29reduce_by_key_config_selectorIxxN6thrust23THRUST_200600_302600_NS4plusIxEEEEZZNS1_33reduce_by_key_impl_wrapped_configILNS1_25lookback_scan_determinismE0ES3_S9_NS6_6detail15normal_iteratorINS6_10device_ptrIxEEEESG_SG_SG_PmS8_22is_equal_div_10_reduceIxEEE10hipError_tPvRmT2_T3_mT4_T5_T6_T7_T8_P12ihipStream_tbENKUlT_T0_E_clISt17integral_constantIbLb1EES11_EEDaSW_SX_EUlSW_E_NS1_11comp_targetILNS1_3genE10ELNS1_11target_archE1200ELNS1_3gpuE4ELNS1_3repE0EEENS1_30default_config_static_selectorELNS0_4arch9wavefront6targetE1EEEvT1_,"axG",@progbits,_ZN7rocprim17ROCPRIM_400000_NS6detail17trampoline_kernelINS0_14default_configENS1_29reduce_by_key_config_selectorIxxN6thrust23THRUST_200600_302600_NS4plusIxEEEEZZNS1_33reduce_by_key_impl_wrapped_configILNS1_25lookback_scan_determinismE0ES3_S9_NS6_6detail15normal_iteratorINS6_10device_ptrIxEEEESG_SG_SG_PmS8_22is_equal_div_10_reduceIxEEE10hipError_tPvRmT2_T3_mT4_T5_T6_T7_T8_P12ihipStream_tbENKUlT_T0_E_clISt17integral_constantIbLb1EES11_EEDaSW_SX_EUlSW_E_NS1_11comp_targetILNS1_3genE10ELNS1_11target_archE1200ELNS1_3gpuE4ELNS1_3repE0EEENS1_30default_config_static_selectorELNS0_4arch9wavefront6targetE1EEEvT1_,comdat
.Lfunc_end523:
	.size	_ZN7rocprim17ROCPRIM_400000_NS6detail17trampoline_kernelINS0_14default_configENS1_29reduce_by_key_config_selectorIxxN6thrust23THRUST_200600_302600_NS4plusIxEEEEZZNS1_33reduce_by_key_impl_wrapped_configILNS1_25lookback_scan_determinismE0ES3_S9_NS6_6detail15normal_iteratorINS6_10device_ptrIxEEEESG_SG_SG_PmS8_22is_equal_div_10_reduceIxEEE10hipError_tPvRmT2_T3_mT4_T5_T6_T7_T8_P12ihipStream_tbENKUlT_T0_E_clISt17integral_constantIbLb1EES11_EEDaSW_SX_EUlSW_E_NS1_11comp_targetILNS1_3genE10ELNS1_11target_archE1200ELNS1_3gpuE4ELNS1_3repE0EEENS1_30default_config_static_selectorELNS0_4arch9wavefront6targetE1EEEvT1_, .Lfunc_end523-_ZN7rocprim17ROCPRIM_400000_NS6detail17trampoline_kernelINS0_14default_configENS1_29reduce_by_key_config_selectorIxxN6thrust23THRUST_200600_302600_NS4plusIxEEEEZZNS1_33reduce_by_key_impl_wrapped_configILNS1_25lookback_scan_determinismE0ES3_S9_NS6_6detail15normal_iteratorINS6_10device_ptrIxEEEESG_SG_SG_PmS8_22is_equal_div_10_reduceIxEEE10hipError_tPvRmT2_T3_mT4_T5_T6_T7_T8_P12ihipStream_tbENKUlT_T0_E_clISt17integral_constantIbLb1EES11_EEDaSW_SX_EUlSW_E_NS1_11comp_targetILNS1_3genE10ELNS1_11target_archE1200ELNS1_3gpuE4ELNS1_3repE0EEENS1_30default_config_static_selectorELNS0_4arch9wavefront6targetE1EEEvT1_
                                        ; -- End function
	.section	.AMDGPU.csdata,"",@progbits
; Kernel info:
; codeLenInByte = 0
; NumSgprs: 4
; NumVgprs: 0
; NumAgprs: 0
; TotalNumVgprs: 0
; ScratchSize: 0
; MemoryBound: 0
; FloatMode: 240
; IeeeMode: 1
; LDSByteSize: 0 bytes/workgroup (compile time only)
; SGPRBlocks: 0
; VGPRBlocks: 0
; NumSGPRsForWavesPerEU: 4
; NumVGPRsForWavesPerEU: 1
; AccumOffset: 4
; Occupancy: 8
; WaveLimiterHint : 0
; COMPUTE_PGM_RSRC2:SCRATCH_EN: 0
; COMPUTE_PGM_RSRC2:USER_SGPR: 6
; COMPUTE_PGM_RSRC2:TRAP_HANDLER: 0
; COMPUTE_PGM_RSRC2:TGID_X_EN: 1
; COMPUTE_PGM_RSRC2:TGID_Y_EN: 0
; COMPUTE_PGM_RSRC2:TGID_Z_EN: 0
; COMPUTE_PGM_RSRC2:TIDIG_COMP_CNT: 0
; COMPUTE_PGM_RSRC3_GFX90A:ACCUM_OFFSET: 0
; COMPUTE_PGM_RSRC3_GFX90A:TG_SPLIT: 0
	.section	.text._ZN7rocprim17ROCPRIM_400000_NS6detail17trampoline_kernelINS0_14default_configENS1_29reduce_by_key_config_selectorIxxN6thrust23THRUST_200600_302600_NS4plusIxEEEEZZNS1_33reduce_by_key_impl_wrapped_configILNS1_25lookback_scan_determinismE0ES3_S9_NS6_6detail15normal_iteratorINS6_10device_ptrIxEEEESG_SG_SG_PmS8_22is_equal_div_10_reduceIxEEE10hipError_tPvRmT2_T3_mT4_T5_T6_T7_T8_P12ihipStream_tbENKUlT_T0_E_clISt17integral_constantIbLb1EES11_EEDaSW_SX_EUlSW_E_NS1_11comp_targetILNS1_3genE9ELNS1_11target_archE1100ELNS1_3gpuE3ELNS1_3repE0EEENS1_30default_config_static_selectorELNS0_4arch9wavefront6targetE1EEEvT1_,"axG",@progbits,_ZN7rocprim17ROCPRIM_400000_NS6detail17trampoline_kernelINS0_14default_configENS1_29reduce_by_key_config_selectorIxxN6thrust23THRUST_200600_302600_NS4plusIxEEEEZZNS1_33reduce_by_key_impl_wrapped_configILNS1_25lookback_scan_determinismE0ES3_S9_NS6_6detail15normal_iteratorINS6_10device_ptrIxEEEESG_SG_SG_PmS8_22is_equal_div_10_reduceIxEEE10hipError_tPvRmT2_T3_mT4_T5_T6_T7_T8_P12ihipStream_tbENKUlT_T0_E_clISt17integral_constantIbLb1EES11_EEDaSW_SX_EUlSW_E_NS1_11comp_targetILNS1_3genE9ELNS1_11target_archE1100ELNS1_3gpuE3ELNS1_3repE0EEENS1_30default_config_static_selectorELNS0_4arch9wavefront6targetE1EEEvT1_,comdat
	.protected	_ZN7rocprim17ROCPRIM_400000_NS6detail17trampoline_kernelINS0_14default_configENS1_29reduce_by_key_config_selectorIxxN6thrust23THRUST_200600_302600_NS4plusIxEEEEZZNS1_33reduce_by_key_impl_wrapped_configILNS1_25lookback_scan_determinismE0ES3_S9_NS6_6detail15normal_iteratorINS6_10device_ptrIxEEEESG_SG_SG_PmS8_22is_equal_div_10_reduceIxEEE10hipError_tPvRmT2_T3_mT4_T5_T6_T7_T8_P12ihipStream_tbENKUlT_T0_E_clISt17integral_constantIbLb1EES11_EEDaSW_SX_EUlSW_E_NS1_11comp_targetILNS1_3genE9ELNS1_11target_archE1100ELNS1_3gpuE3ELNS1_3repE0EEENS1_30default_config_static_selectorELNS0_4arch9wavefront6targetE1EEEvT1_ ; -- Begin function _ZN7rocprim17ROCPRIM_400000_NS6detail17trampoline_kernelINS0_14default_configENS1_29reduce_by_key_config_selectorIxxN6thrust23THRUST_200600_302600_NS4plusIxEEEEZZNS1_33reduce_by_key_impl_wrapped_configILNS1_25lookback_scan_determinismE0ES3_S9_NS6_6detail15normal_iteratorINS6_10device_ptrIxEEEESG_SG_SG_PmS8_22is_equal_div_10_reduceIxEEE10hipError_tPvRmT2_T3_mT4_T5_T6_T7_T8_P12ihipStream_tbENKUlT_T0_E_clISt17integral_constantIbLb1EES11_EEDaSW_SX_EUlSW_E_NS1_11comp_targetILNS1_3genE9ELNS1_11target_archE1100ELNS1_3gpuE3ELNS1_3repE0EEENS1_30default_config_static_selectorELNS0_4arch9wavefront6targetE1EEEvT1_
	.globl	_ZN7rocprim17ROCPRIM_400000_NS6detail17trampoline_kernelINS0_14default_configENS1_29reduce_by_key_config_selectorIxxN6thrust23THRUST_200600_302600_NS4plusIxEEEEZZNS1_33reduce_by_key_impl_wrapped_configILNS1_25lookback_scan_determinismE0ES3_S9_NS6_6detail15normal_iteratorINS6_10device_ptrIxEEEESG_SG_SG_PmS8_22is_equal_div_10_reduceIxEEE10hipError_tPvRmT2_T3_mT4_T5_T6_T7_T8_P12ihipStream_tbENKUlT_T0_E_clISt17integral_constantIbLb1EES11_EEDaSW_SX_EUlSW_E_NS1_11comp_targetILNS1_3genE9ELNS1_11target_archE1100ELNS1_3gpuE3ELNS1_3repE0EEENS1_30default_config_static_selectorELNS0_4arch9wavefront6targetE1EEEvT1_
	.p2align	8
	.type	_ZN7rocprim17ROCPRIM_400000_NS6detail17trampoline_kernelINS0_14default_configENS1_29reduce_by_key_config_selectorIxxN6thrust23THRUST_200600_302600_NS4plusIxEEEEZZNS1_33reduce_by_key_impl_wrapped_configILNS1_25lookback_scan_determinismE0ES3_S9_NS6_6detail15normal_iteratorINS6_10device_ptrIxEEEESG_SG_SG_PmS8_22is_equal_div_10_reduceIxEEE10hipError_tPvRmT2_T3_mT4_T5_T6_T7_T8_P12ihipStream_tbENKUlT_T0_E_clISt17integral_constantIbLb1EES11_EEDaSW_SX_EUlSW_E_NS1_11comp_targetILNS1_3genE9ELNS1_11target_archE1100ELNS1_3gpuE3ELNS1_3repE0EEENS1_30default_config_static_selectorELNS0_4arch9wavefront6targetE1EEEvT1_,@function
_ZN7rocprim17ROCPRIM_400000_NS6detail17trampoline_kernelINS0_14default_configENS1_29reduce_by_key_config_selectorIxxN6thrust23THRUST_200600_302600_NS4plusIxEEEEZZNS1_33reduce_by_key_impl_wrapped_configILNS1_25lookback_scan_determinismE0ES3_S9_NS6_6detail15normal_iteratorINS6_10device_ptrIxEEEESG_SG_SG_PmS8_22is_equal_div_10_reduceIxEEE10hipError_tPvRmT2_T3_mT4_T5_T6_T7_T8_P12ihipStream_tbENKUlT_T0_E_clISt17integral_constantIbLb1EES11_EEDaSW_SX_EUlSW_E_NS1_11comp_targetILNS1_3genE9ELNS1_11target_archE1100ELNS1_3gpuE3ELNS1_3repE0EEENS1_30default_config_static_selectorELNS0_4arch9wavefront6targetE1EEEvT1_: ; @_ZN7rocprim17ROCPRIM_400000_NS6detail17trampoline_kernelINS0_14default_configENS1_29reduce_by_key_config_selectorIxxN6thrust23THRUST_200600_302600_NS4plusIxEEEEZZNS1_33reduce_by_key_impl_wrapped_configILNS1_25lookback_scan_determinismE0ES3_S9_NS6_6detail15normal_iteratorINS6_10device_ptrIxEEEESG_SG_SG_PmS8_22is_equal_div_10_reduceIxEEE10hipError_tPvRmT2_T3_mT4_T5_T6_T7_T8_P12ihipStream_tbENKUlT_T0_E_clISt17integral_constantIbLb1EES11_EEDaSW_SX_EUlSW_E_NS1_11comp_targetILNS1_3genE9ELNS1_11target_archE1100ELNS1_3gpuE3ELNS1_3repE0EEENS1_30default_config_static_selectorELNS0_4arch9wavefront6targetE1EEEvT1_
; %bb.0:
	.section	.rodata,"a",@progbits
	.p2align	6, 0x0
	.amdhsa_kernel _ZN7rocprim17ROCPRIM_400000_NS6detail17trampoline_kernelINS0_14default_configENS1_29reduce_by_key_config_selectorIxxN6thrust23THRUST_200600_302600_NS4plusIxEEEEZZNS1_33reduce_by_key_impl_wrapped_configILNS1_25lookback_scan_determinismE0ES3_S9_NS6_6detail15normal_iteratorINS6_10device_ptrIxEEEESG_SG_SG_PmS8_22is_equal_div_10_reduceIxEEE10hipError_tPvRmT2_T3_mT4_T5_T6_T7_T8_P12ihipStream_tbENKUlT_T0_E_clISt17integral_constantIbLb1EES11_EEDaSW_SX_EUlSW_E_NS1_11comp_targetILNS1_3genE9ELNS1_11target_archE1100ELNS1_3gpuE3ELNS1_3repE0EEENS1_30default_config_static_selectorELNS0_4arch9wavefront6targetE1EEEvT1_
		.amdhsa_group_segment_fixed_size 0
		.amdhsa_private_segment_fixed_size 0
		.amdhsa_kernarg_size 136
		.amdhsa_user_sgpr_count 6
		.amdhsa_user_sgpr_private_segment_buffer 1
		.amdhsa_user_sgpr_dispatch_ptr 0
		.amdhsa_user_sgpr_queue_ptr 0
		.amdhsa_user_sgpr_kernarg_segment_ptr 1
		.amdhsa_user_sgpr_dispatch_id 0
		.amdhsa_user_sgpr_flat_scratch_init 0
		.amdhsa_user_sgpr_kernarg_preload_length 0
		.amdhsa_user_sgpr_kernarg_preload_offset 0
		.amdhsa_user_sgpr_private_segment_size 0
		.amdhsa_uses_dynamic_stack 0
		.amdhsa_system_sgpr_private_segment_wavefront_offset 0
		.amdhsa_system_sgpr_workgroup_id_x 1
		.amdhsa_system_sgpr_workgroup_id_y 0
		.amdhsa_system_sgpr_workgroup_id_z 0
		.amdhsa_system_sgpr_workgroup_info 0
		.amdhsa_system_vgpr_workitem_id 0
		.amdhsa_next_free_vgpr 1
		.amdhsa_next_free_sgpr 0
		.amdhsa_accum_offset 4
		.amdhsa_reserve_vcc 0
		.amdhsa_reserve_flat_scratch 0
		.amdhsa_float_round_mode_32 0
		.amdhsa_float_round_mode_16_64 0
		.amdhsa_float_denorm_mode_32 3
		.amdhsa_float_denorm_mode_16_64 3
		.amdhsa_dx10_clamp 1
		.amdhsa_ieee_mode 1
		.amdhsa_fp16_overflow 0
		.amdhsa_tg_split 0
		.amdhsa_exception_fp_ieee_invalid_op 0
		.amdhsa_exception_fp_denorm_src 0
		.amdhsa_exception_fp_ieee_div_zero 0
		.amdhsa_exception_fp_ieee_overflow 0
		.amdhsa_exception_fp_ieee_underflow 0
		.amdhsa_exception_fp_ieee_inexact 0
		.amdhsa_exception_int_div_zero 0
	.end_amdhsa_kernel
	.section	.text._ZN7rocprim17ROCPRIM_400000_NS6detail17trampoline_kernelINS0_14default_configENS1_29reduce_by_key_config_selectorIxxN6thrust23THRUST_200600_302600_NS4plusIxEEEEZZNS1_33reduce_by_key_impl_wrapped_configILNS1_25lookback_scan_determinismE0ES3_S9_NS6_6detail15normal_iteratorINS6_10device_ptrIxEEEESG_SG_SG_PmS8_22is_equal_div_10_reduceIxEEE10hipError_tPvRmT2_T3_mT4_T5_T6_T7_T8_P12ihipStream_tbENKUlT_T0_E_clISt17integral_constantIbLb1EES11_EEDaSW_SX_EUlSW_E_NS1_11comp_targetILNS1_3genE9ELNS1_11target_archE1100ELNS1_3gpuE3ELNS1_3repE0EEENS1_30default_config_static_selectorELNS0_4arch9wavefront6targetE1EEEvT1_,"axG",@progbits,_ZN7rocprim17ROCPRIM_400000_NS6detail17trampoline_kernelINS0_14default_configENS1_29reduce_by_key_config_selectorIxxN6thrust23THRUST_200600_302600_NS4plusIxEEEEZZNS1_33reduce_by_key_impl_wrapped_configILNS1_25lookback_scan_determinismE0ES3_S9_NS6_6detail15normal_iteratorINS6_10device_ptrIxEEEESG_SG_SG_PmS8_22is_equal_div_10_reduceIxEEE10hipError_tPvRmT2_T3_mT4_T5_T6_T7_T8_P12ihipStream_tbENKUlT_T0_E_clISt17integral_constantIbLb1EES11_EEDaSW_SX_EUlSW_E_NS1_11comp_targetILNS1_3genE9ELNS1_11target_archE1100ELNS1_3gpuE3ELNS1_3repE0EEENS1_30default_config_static_selectorELNS0_4arch9wavefront6targetE1EEEvT1_,comdat
.Lfunc_end524:
	.size	_ZN7rocprim17ROCPRIM_400000_NS6detail17trampoline_kernelINS0_14default_configENS1_29reduce_by_key_config_selectorIxxN6thrust23THRUST_200600_302600_NS4plusIxEEEEZZNS1_33reduce_by_key_impl_wrapped_configILNS1_25lookback_scan_determinismE0ES3_S9_NS6_6detail15normal_iteratorINS6_10device_ptrIxEEEESG_SG_SG_PmS8_22is_equal_div_10_reduceIxEEE10hipError_tPvRmT2_T3_mT4_T5_T6_T7_T8_P12ihipStream_tbENKUlT_T0_E_clISt17integral_constantIbLb1EES11_EEDaSW_SX_EUlSW_E_NS1_11comp_targetILNS1_3genE9ELNS1_11target_archE1100ELNS1_3gpuE3ELNS1_3repE0EEENS1_30default_config_static_selectorELNS0_4arch9wavefront6targetE1EEEvT1_, .Lfunc_end524-_ZN7rocprim17ROCPRIM_400000_NS6detail17trampoline_kernelINS0_14default_configENS1_29reduce_by_key_config_selectorIxxN6thrust23THRUST_200600_302600_NS4plusIxEEEEZZNS1_33reduce_by_key_impl_wrapped_configILNS1_25lookback_scan_determinismE0ES3_S9_NS6_6detail15normal_iteratorINS6_10device_ptrIxEEEESG_SG_SG_PmS8_22is_equal_div_10_reduceIxEEE10hipError_tPvRmT2_T3_mT4_T5_T6_T7_T8_P12ihipStream_tbENKUlT_T0_E_clISt17integral_constantIbLb1EES11_EEDaSW_SX_EUlSW_E_NS1_11comp_targetILNS1_3genE9ELNS1_11target_archE1100ELNS1_3gpuE3ELNS1_3repE0EEENS1_30default_config_static_selectorELNS0_4arch9wavefront6targetE1EEEvT1_
                                        ; -- End function
	.section	.AMDGPU.csdata,"",@progbits
; Kernel info:
; codeLenInByte = 0
; NumSgprs: 4
; NumVgprs: 0
; NumAgprs: 0
; TotalNumVgprs: 0
; ScratchSize: 0
; MemoryBound: 0
; FloatMode: 240
; IeeeMode: 1
; LDSByteSize: 0 bytes/workgroup (compile time only)
; SGPRBlocks: 0
; VGPRBlocks: 0
; NumSGPRsForWavesPerEU: 4
; NumVGPRsForWavesPerEU: 1
; AccumOffset: 4
; Occupancy: 8
; WaveLimiterHint : 0
; COMPUTE_PGM_RSRC2:SCRATCH_EN: 0
; COMPUTE_PGM_RSRC2:USER_SGPR: 6
; COMPUTE_PGM_RSRC2:TRAP_HANDLER: 0
; COMPUTE_PGM_RSRC2:TGID_X_EN: 1
; COMPUTE_PGM_RSRC2:TGID_Y_EN: 0
; COMPUTE_PGM_RSRC2:TGID_Z_EN: 0
; COMPUTE_PGM_RSRC2:TIDIG_COMP_CNT: 0
; COMPUTE_PGM_RSRC3_GFX90A:ACCUM_OFFSET: 0
; COMPUTE_PGM_RSRC3_GFX90A:TG_SPLIT: 0
	.section	.text._ZN7rocprim17ROCPRIM_400000_NS6detail17trampoline_kernelINS0_14default_configENS1_29reduce_by_key_config_selectorIxxN6thrust23THRUST_200600_302600_NS4plusIxEEEEZZNS1_33reduce_by_key_impl_wrapped_configILNS1_25lookback_scan_determinismE0ES3_S9_NS6_6detail15normal_iteratorINS6_10device_ptrIxEEEESG_SG_SG_PmS8_22is_equal_div_10_reduceIxEEE10hipError_tPvRmT2_T3_mT4_T5_T6_T7_T8_P12ihipStream_tbENKUlT_T0_E_clISt17integral_constantIbLb1EES11_EEDaSW_SX_EUlSW_E_NS1_11comp_targetILNS1_3genE8ELNS1_11target_archE1030ELNS1_3gpuE2ELNS1_3repE0EEENS1_30default_config_static_selectorELNS0_4arch9wavefront6targetE1EEEvT1_,"axG",@progbits,_ZN7rocprim17ROCPRIM_400000_NS6detail17trampoline_kernelINS0_14default_configENS1_29reduce_by_key_config_selectorIxxN6thrust23THRUST_200600_302600_NS4plusIxEEEEZZNS1_33reduce_by_key_impl_wrapped_configILNS1_25lookback_scan_determinismE0ES3_S9_NS6_6detail15normal_iteratorINS6_10device_ptrIxEEEESG_SG_SG_PmS8_22is_equal_div_10_reduceIxEEE10hipError_tPvRmT2_T3_mT4_T5_T6_T7_T8_P12ihipStream_tbENKUlT_T0_E_clISt17integral_constantIbLb1EES11_EEDaSW_SX_EUlSW_E_NS1_11comp_targetILNS1_3genE8ELNS1_11target_archE1030ELNS1_3gpuE2ELNS1_3repE0EEENS1_30default_config_static_selectorELNS0_4arch9wavefront6targetE1EEEvT1_,comdat
	.protected	_ZN7rocprim17ROCPRIM_400000_NS6detail17trampoline_kernelINS0_14default_configENS1_29reduce_by_key_config_selectorIxxN6thrust23THRUST_200600_302600_NS4plusIxEEEEZZNS1_33reduce_by_key_impl_wrapped_configILNS1_25lookback_scan_determinismE0ES3_S9_NS6_6detail15normal_iteratorINS6_10device_ptrIxEEEESG_SG_SG_PmS8_22is_equal_div_10_reduceIxEEE10hipError_tPvRmT2_T3_mT4_T5_T6_T7_T8_P12ihipStream_tbENKUlT_T0_E_clISt17integral_constantIbLb1EES11_EEDaSW_SX_EUlSW_E_NS1_11comp_targetILNS1_3genE8ELNS1_11target_archE1030ELNS1_3gpuE2ELNS1_3repE0EEENS1_30default_config_static_selectorELNS0_4arch9wavefront6targetE1EEEvT1_ ; -- Begin function _ZN7rocprim17ROCPRIM_400000_NS6detail17trampoline_kernelINS0_14default_configENS1_29reduce_by_key_config_selectorIxxN6thrust23THRUST_200600_302600_NS4plusIxEEEEZZNS1_33reduce_by_key_impl_wrapped_configILNS1_25lookback_scan_determinismE0ES3_S9_NS6_6detail15normal_iteratorINS6_10device_ptrIxEEEESG_SG_SG_PmS8_22is_equal_div_10_reduceIxEEE10hipError_tPvRmT2_T3_mT4_T5_T6_T7_T8_P12ihipStream_tbENKUlT_T0_E_clISt17integral_constantIbLb1EES11_EEDaSW_SX_EUlSW_E_NS1_11comp_targetILNS1_3genE8ELNS1_11target_archE1030ELNS1_3gpuE2ELNS1_3repE0EEENS1_30default_config_static_selectorELNS0_4arch9wavefront6targetE1EEEvT1_
	.globl	_ZN7rocprim17ROCPRIM_400000_NS6detail17trampoline_kernelINS0_14default_configENS1_29reduce_by_key_config_selectorIxxN6thrust23THRUST_200600_302600_NS4plusIxEEEEZZNS1_33reduce_by_key_impl_wrapped_configILNS1_25lookback_scan_determinismE0ES3_S9_NS6_6detail15normal_iteratorINS6_10device_ptrIxEEEESG_SG_SG_PmS8_22is_equal_div_10_reduceIxEEE10hipError_tPvRmT2_T3_mT4_T5_T6_T7_T8_P12ihipStream_tbENKUlT_T0_E_clISt17integral_constantIbLb1EES11_EEDaSW_SX_EUlSW_E_NS1_11comp_targetILNS1_3genE8ELNS1_11target_archE1030ELNS1_3gpuE2ELNS1_3repE0EEENS1_30default_config_static_selectorELNS0_4arch9wavefront6targetE1EEEvT1_
	.p2align	8
	.type	_ZN7rocprim17ROCPRIM_400000_NS6detail17trampoline_kernelINS0_14default_configENS1_29reduce_by_key_config_selectorIxxN6thrust23THRUST_200600_302600_NS4plusIxEEEEZZNS1_33reduce_by_key_impl_wrapped_configILNS1_25lookback_scan_determinismE0ES3_S9_NS6_6detail15normal_iteratorINS6_10device_ptrIxEEEESG_SG_SG_PmS8_22is_equal_div_10_reduceIxEEE10hipError_tPvRmT2_T3_mT4_T5_T6_T7_T8_P12ihipStream_tbENKUlT_T0_E_clISt17integral_constantIbLb1EES11_EEDaSW_SX_EUlSW_E_NS1_11comp_targetILNS1_3genE8ELNS1_11target_archE1030ELNS1_3gpuE2ELNS1_3repE0EEENS1_30default_config_static_selectorELNS0_4arch9wavefront6targetE1EEEvT1_,@function
_ZN7rocprim17ROCPRIM_400000_NS6detail17trampoline_kernelINS0_14default_configENS1_29reduce_by_key_config_selectorIxxN6thrust23THRUST_200600_302600_NS4plusIxEEEEZZNS1_33reduce_by_key_impl_wrapped_configILNS1_25lookback_scan_determinismE0ES3_S9_NS6_6detail15normal_iteratorINS6_10device_ptrIxEEEESG_SG_SG_PmS8_22is_equal_div_10_reduceIxEEE10hipError_tPvRmT2_T3_mT4_T5_T6_T7_T8_P12ihipStream_tbENKUlT_T0_E_clISt17integral_constantIbLb1EES11_EEDaSW_SX_EUlSW_E_NS1_11comp_targetILNS1_3genE8ELNS1_11target_archE1030ELNS1_3gpuE2ELNS1_3repE0EEENS1_30default_config_static_selectorELNS0_4arch9wavefront6targetE1EEEvT1_: ; @_ZN7rocprim17ROCPRIM_400000_NS6detail17trampoline_kernelINS0_14default_configENS1_29reduce_by_key_config_selectorIxxN6thrust23THRUST_200600_302600_NS4plusIxEEEEZZNS1_33reduce_by_key_impl_wrapped_configILNS1_25lookback_scan_determinismE0ES3_S9_NS6_6detail15normal_iteratorINS6_10device_ptrIxEEEESG_SG_SG_PmS8_22is_equal_div_10_reduceIxEEE10hipError_tPvRmT2_T3_mT4_T5_T6_T7_T8_P12ihipStream_tbENKUlT_T0_E_clISt17integral_constantIbLb1EES11_EEDaSW_SX_EUlSW_E_NS1_11comp_targetILNS1_3genE8ELNS1_11target_archE1030ELNS1_3gpuE2ELNS1_3repE0EEENS1_30default_config_static_selectorELNS0_4arch9wavefront6targetE1EEEvT1_
; %bb.0:
	.section	.rodata,"a",@progbits
	.p2align	6, 0x0
	.amdhsa_kernel _ZN7rocprim17ROCPRIM_400000_NS6detail17trampoline_kernelINS0_14default_configENS1_29reduce_by_key_config_selectorIxxN6thrust23THRUST_200600_302600_NS4plusIxEEEEZZNS1_33reduce_by_key_impl_wrapped_configILNS1_25lookback_scan_determinismE0ES3_S9_NS6_6detail15normal_iteratorINS6_10device_ptrIxEEEESG_SG_SG_PmS8_22is_equal_div_10_reduceIxEEE10hipError_tPvRmT2_T3_mT4_T5_T6_T7_T8_P12ihipStream_tbENKUlT_T0_E_clISt17integral_constantIbLb1EES11_EEDaSW_SX_EUlSW_E_NS1_11comp_targetILNS1_3genE8ELNS1_11target_archE1030ELNS1_3gpuE2ELNS1_3repE0EEENS1_30default_config_static_selectorELNS0_4arch9wavefront6targetE1EEEvT1_
		.amdhsa_group_segment_fixed_size 0
		.amdhsa_private_segment_fixed_size 0
		.amdhsa_kernarg_size 136
		.amdhsa_user_sgpr_count 6
		.amdhsa_user_sgpr_private_segment_buffer 1
		.amdhsa_user_sgpr_dispatch_ptr 0
		.amdhsa_user_sgpr_queue_ptr 0
		.amdhsa_user_sgpr_kernarg_segment_ptr 1
		.amdhsa_user_sgpr_dispatch_id 0
		.amdhsa_user_sgpr_flat_scratch_init 0
		.amdhsa_user_sgpr_kernarg_preload_length 0
		.amdhsa_user_sgpr_kernarg_preload_offset 0
		.amdhsa_user_sgpr_private_segment_size 0
		.amdhsa_uses_dynamic_stack 0
		.amdhsa_system_sgpr_private_segment_wavefront_offset 0
		.amdhsa_system_sgpr_workgroup_id_x 1
		.amdhsa_system_sgpr_workgroup_id_y 0
		.amdhsa_system_sgpr_workgroup_id_z 0
		.amdhsa_system_sgpr_workgroup_info 0
		.amdhsa_system_vgpr_workitem_id 0
		.amdhsa_next_free_vgpr 1
		.amdhsa_next_free_sgpr 0
		.amdhsa_accum_offset 4
		.amdhsa_reserve_vcc 0
		.amdhsa_reserve_flat_scratch 0
		.amdhsa_float_round_mode_32 0
		.amdhsa_float_round_mode_16_64 0
		.amdhsa_float_denorm_mode_32 3
		.amdhsa_float_denorm_mode_16_64 3
		.amdhsa_dx10_clamp 1
		.amdhsa_ieee_mode 1
		.amdhsa_fp16_overflow 0
		.amdhsa_tg_split 0
		.amdhsa_exception_fp_ieee_invalid_op 0
		.amdhsa_exception_fp_denorm_src 0
		.amdhsa_exception_fp_ieee_div_zero 0
		.amdhsa_exception_fp_ieee_overflow 0
		.amdhsa_exception_fp_ieee_underflow 0
		.amdhsa_exception_fp_ieee_inexact 0
		.amdhsa_exception_int_div_zero 0
	.end_amdhsa_kernel
	.section	.text._ZN7rocprim17ROCPRIM_400000_NS6detail17trampoline_kernelINS0_14default_configENS1_29reduce_by_key_config_selectorIxxN6thrust23THRUST_200600_302600_NS4plusIxEEEEZZNS1_33reduce_by_key_impl_wrapped_configILNS1_25lookback_scan_determinismE0ES3_S9_NS6_6detail15normal_iteratorINS6_10device_ptrIxEEEESG_SG_SG_PmS8_22is_equal_div_10_reduceIxEEE10hipError_tPvRmT2_T3_mT4_T5_T6_T7_T8_P12ihipStream_tbENKUlT_T0_E_clISt17integral_constantIbLb1EES11_EEDaSW_SX_EUlSW_E_NS1_11comp_targetILNS1_3genE8ELNS1_11target_archE1030ELNS1_3gpuE2ELNS1_3repE0EEENS1_30default_config_static_selectorELNS0_4arch9wavefront6targetE1EEEvT1_,"axG",@progbits,_ZN7rocprim17ROCPRIM_400000_NS6detail17trampoline_kernelINS0_14default_configENS1_29reduce_by_key_config_selectorIxxN6thrust23THRUST_200600_302600_NS4plusIxEEEEZZNS1_33reduce_by_key_impl_wrapped_configILNS1_25lookback_scan_determinismE0ES3_S9_NS6_6detail15normal_iteratorINS6_10device_ptrIxEEEESG_SG_SG_PmS8_22is_equal_div_10_reduceIxEEE10hipError_tPvRmT2_T3_mT4_T5_T6_T7_T8_P12ihipStream_tbENKUlT_T0_E_clISt17integral_constantIbLb1EES11_EEDaSW_SX_EUlSW_E_NS1_11comp_targetILNS1_3genE8ELNS1_11target_archE1030ELNS1_3gpuE2ELNS1_3repE0EEENS1_30default_config_static_selectorELNS0_4arch9wavefront6targetE1EEEvT1_,comdat
.Lfunc_end525:
	.size	_ZN7rocprim17ROCPRIM_400000_NS6detail17trampoline_kernelINS0_14default_configENS1_29reduce_by_key_config_selectorIxxN6thrust23THRUST_200600_302600_NS4plusIxEEEEZZNS1_33reduce_by_key_impl_wrapped_configILNS1_25lookback_scan_determinismE0ES3_S9_NS6_6detail15normal_iteratorINS6_10device_ptrIxEEEESG_SG_SG_PmS8_22is_equal_div_10_reduceIxEEE10hipError_tPvRmT2_T3_mT4_T5_T6_T7_T8_P12ihipStream_tbENKUlT_T0_E_clISt17integral_constantIbLb1EES11_EEDaSW_SX_EUlSW_E_NS1_11comp_targetILNS1_3genE8ELNS1_11target_archE1030ELNS1_3gpuE2ELNS1_3repE0EEENS1_30default_config_static_selectorELNS0_4arch9wavefront6targetE1EEEvT1_, .Lfunc_end525-_ZN7rocprim17ROCPRIM_400000_NS6detail17trampoline_kernelINS0_14default_configENS1_29reduce_by_key_config_selectorIxxN6thrust23THRUST_200600_302600_NS4plusIxEEEEZZNS1_33reduce_by_key_impl_wrapped_configILNS1_25lookback_scan_determinismE0ES3_S9_NS6_6detail15normal_iteratorINS6_10device_ptrIxEEEESG_SG_SG_PmS8_22is_equal_div_10_reduceIxEEE10hipError_tPvRmT2_T3_mT4_T5_T6_T7_T8_P12ihipStream_tbENKUlT_T0_E_clISt17integral_constantIbLb1EES11_EEDaSW_SX_EUlSW_E_NS1_11comp_targetILNS1_3genE8ELNS1_11target_archE1030ELNS1_3gpuE2ELNS1_3repE0EEENS1_30default_config_static_selectorELNS0_4arch9wavefront6targetE1EEEvT1_
                                        ; -- End function
	.section	.AMDGPU.csdata,"",@progbits
; Kernel info:
; codeLenInByte = 0
; NumSgprs: 4
; NumVgprs: 0
; NumAgprs: 0
; TotalNumVgprs: 0
; ScratchSize: 0
; MemoryBound: 0
; FloatMode: 240
; IeeeMode: 1
; LDSByteSize: 0 bytes/workgroup (compile time only)
; SGPRBlocks: 0
; VGPRBlocks: 0
; NumSGPRsForWavesPerEU: 4
; NumVGPRsForWavesPerEU: 1
; AccumOffset: 4
; Occupancy: 8
; WaveLimiterHint : 0
; COMPUTE_PGM_RSRC2:SCRATCH_EN: 0
; COMPUTE_PGM_RSRC2:USER_SGPR: 6
; COMPUTE_PGM_RSRC2:TRAP_HANDLER: 0
; COMPUTE_PGM_RSRC2:TGID_X_EN: 1
; COMPUTE_PGM_RSRC2:TGID_Y_EN: 0
; COMPUTE_PGM_RSRC2:TGID_Z_EN: 0
; COMPUTE_PGM_RSRC2:TIDIG_COMP_CNT: 0
; COMPUTE_PGM_RSRC3_GFX90A:ACCUM_OFFSET: 0
; COMPUTE_PGM_RSRC3_GFX90A:TG_SPLIT: 0
	.section	.text._ZN7rocprim17ROCPRIM_400000_NS6detail17trampoline_kernelINS0_14default_configENS1_29reduce_by_key_config_selectorIxxN6thrust23THRUST_200600_302600_NS4plusIxEEEEZZNS1_33reduce_by_key_impl_wrapped_configILNS1_25lookback_scan_determinismE0ES3_S9_NS6_6detail15normal_iteratorINS6_10device_ptrIxEEEESG_SG_SG_PmS8_22is_equal_div_10_reduceIxEEE10hipError_tPvRmT2_T3_mT4_T5_T6_T7_T8_P12ihipStream_tbENKUlT_T0_E_clISt17integral_constantIbLb1EES10_IbLb0EEEEDaSW_SX_EUlSW_E_NS1_11comp_targetILNS1_3genE0ELNS1_11target_archE4294967295ELNS1_3gpuE0ELNS1_3repE0EEENS1_30default_config_static_selectorELNS0_4arch9wavefront6targetE1EEEvT1_,"axG",@progbits,_ZN7rocprim17ROCPRIM_400000_NS6detail17trampoline_kernelINS0_14default_configENS1_29reduce_by_key_config_selectorIxxN6thrust23THRUST_200600_302600_NS4plusIxEEEEZZNS1_33reduce_by_key_impl_wrapped_configILNS1_25lookback_scan_determinismE0ES3_S9_NS6_6detail15normal_iteratorINS6_10device_ptrIxEEEESG_SG_SG_PmS8_22is_equal_div_10_reduceIxEEE10hipError_tPvRmT2_T3_mT4_T5_T6_T7_T8_P12ihipStream_tbENKUlT_T0_E_clISt17integral_constantIbLb1EES10_IbLb0EEEEDaSW_SX_EUlSW_E_NS1_11comp_targetILNS1_3genE0ELNS1_11target_archE4294967295ELNS1_3gpuE0ELNS1_3repE0EEENS1_30default_config_static_selectorELNS0_4arch9wavefront6targetE1EEEvT1_,comdat
	.protected	_ZN7rocprim17ROCPRIM_400000_NS6detail17trampoline_kernelINS0_14default_configENS1_29reduce_by_key_config_selectorIxxN6thrust23THRUST_200600_302600_NS4plusIxEEEEZZNS1_33reduce_by_key_impl_wrapped_configILNS1_25lookback_scan_determinismE0ES3_S9_NS6_6detail15normal_iteratorINS6_10device_ptrIxEEEESG_SG_SG_PmS8_22is_equal_div_10_reduceIxEEE10hipError_tPvRmT2_T3_mT4_T5_T6_T7_T8_P12ihipStream_tbENKUlT_T0_E_clISt17integral_constantIbLb1EES10_IbLb0EEEEDaSW_SX_EUlSW_E_NS1_11comp_targetILNS1_3genE0ELNS1_11target_archE4294967295ELNS1_3gpuE0ELNS1_3repE0EEENS1_30default_config_static_selectorELNS0_4arch9wavefront6targetE1EEEvT1_ ; -- Begin function _ZN7rocprim17ROCPRIM_400000_NS6detail17trampoline_kernelINS0_14default_configENS1_29reduce_by_key_config_selectorIxxN6thrust23THRUST_200600_302600_NS4plusIxEEEEZZNS1_33reduce_by_key_impl_wrapped_configILNS1_25lookback_scan_determinismE0ES3_S9_NS6_6detail15normal_iteratorINS6_10device_ptrIxEEEESG_SG_SG_PmS8_22is_equal_div_10_reduceIxEEE10hipError_tPvRmT2_T3_mT4_T5_T6_T7_T8_P12ihipStream_tbENKUlT_T0_E_clISt17integral_constantIbLb1EES10_IbLb0EEEEDaSW_SX_EUlSW_E_NS1_11comp_targetILNS1_3genE0ELNS1_11target_archE4294967295ELNS1_3gpuE0ELNS1_3repE0EEENS1_30default_config_static_selectorELNS0_4arch9wavefront6targetE1EEEvT1_
	.globl	_ZN7rocprim17ROCPRIM_400000_NS6detail17trampoline_kernelINS0_14default_configENS1_29reduce_by_key_config_selectorIxxN6thrust23THRUST_200600_302600_NS4plusIxEEEEZZNS1_33reduce_by_key_impl_wrapped_configILNS1_25lookback_scan_determinismE0ES3_S9_NS6_6detail15normal_iteratorINS6_10device_ptrIxEEEESG_SG_SG_PmS8_22is_equal_div_10_reduceIxEEE10hipError_tPvRmT2_T3_mT4_T5_T6_T7_T8_P12ihipStream_tbENKUlT_T0_E_clISt17integral_constantIbLb1EES10_IbLb0EEEEDaSW_SX_EUlSW_E_NS1_11comp_targetILNS1_3genE0ELNS1_11target_archE4294967295ELNS1_3gpuE0ELNS1_3repE0EEENS1_30default_config_static_selectorELNS0_4arch9wavefront6targetE1EEEvT1_
	.p2align	8
	.type	_ZN7rocprim17ROCPRIM_400000_NS6detail17trampoline_kernelINS0_14default_configENS1_29reduce_by_key_config_selectorIxxN6thrust23THRUST_200600_302600_NS4plusIxEEEEZZNS1_33reduce_by_key_impl_wrapped_configILNS1_25lookback_scan_determinismE0ES3_S9_NS6_6detail15normal_iteratorINS6_10device_ptrIxEEEESG_SG_SG_PmS8_22is_equal_div_10_reduceIxEEE10hipError_tPvRmT2_T3_mT4_T5_T6_T7_T8_P12ihipStream_tbENKUlT_T0_E_clISt17integral_constantIbLb1EES10_IbLb0EEEEDaSW_SX_EUlSW_E_NS1_11comp_targetILNS1_3genE0ELNS1_11target_archE4294967295ELNS1_3gpuE0ELNS1_3repE0EEENS1_30default_config_static_selectorELNS0_4arch9wavefront6targetE1EEEvT1_,@function
_ZN7rocprim17ROCPRIM_400000_NS6detail17trampoline_kernelINS0_14default_configENS1_29reduce_by_key_config_selectorIxxN6thrust23THRUST_200600_302600_NS4plusIxEEEEZZNS1_33reduce_by_key_impl_wrapped_configILNS1_25lookback_scan_determinismE0ES3_S9_NS6_6detail15normal_iteratorINS6_10device_ptrIxEEEESG_SG_SG_PmS8_22is_equal_div_10_reduceIxEEE10hipError_tPvRmT2_T3_mT4_T5_T6_T7_T8_P12ihipStream_tbENKUlT_T0_E_clISt17integral_constantIbLb1EES10_IbLb0EEEEDaSW_SX_EUlSW_E_NS1_11comp_targetILNS1_3genE0ELNS1_11target_archE4294967295ELNS1_3gpuE0ELNS1_3repE0EEENS1_30default_config_static_selectorELNS0_4arch9wavefront6targetE1EEEvT1_: ; @_ZN7rocprim17ROCPRIM_400000_NS6detail17trampoline_kernelINS0_14default_configENS1_29reduce_by_key_config_selectorIxxN6thrust23THRUST_200600_302600_NS4plusIxEEEEZZNS1_33reduce_by_key_impl_wrapped_configILNS1_25lookback_scan_determinismE0ES3_S9_NS6_6detail15normal_iteratorINS6_10device_ptrIxEEEESG_SG_SG_PmS8_22is_equal_div_10_reduceIxEEE10hipError_tPvRmT2_T3_mT4_T5_T6_T7_T8_P12ihipStream_tbENKUlT_T0_E_clISt17integral_constantIbLb1EES10_IbLb0EEEEDaSW_SX_EUlSW_E_NS1_11comp_targetILNS1_3genE0ELNS1_11target_archE4294967295ELNS1_3gpuE0ELNS1_3repE0EEENS1_30default_config_static_selectorELNS0_4arch9wavefront6targetE1EEEvT1_
; %bb.0:
	.section	.rodata,"a",@progbits
	.p2align	6, 0x0
	.amdhsa_kernel _ZN7rocprim17ROCPRIM_400000_NS6detail17trampoline_kernelINS0_14default_configENS1_29reduce_by_key_config_selectorIxxN6thrust23THRUST_200600_302600_NS4plusIxEEEEZZNS1_33reduce_by_key_impl_wrapped_configILNS1_25lookback_scan_determinismE0ES3_S9_NS6_6detail15normal_iteratorINS6_10device_ptrIxEEEESG_SG_SG_PmS8_22is_equal_div_10_reduceIxEEE10hipError_tPvRmT2_T3_mT4_T5_T6_T7_T8_P12ihipStream_tbENKUlT_T0_E_clISt17integral_constantIbLb1EES10_IbLb0EEEEDaSW_SX_EUlSW_E_NS1_11comp_targetILNS1_3genE0ELNS1_11target_archE4294967295ELNS1_3gpuE0ELNS1_3repE0EEENS1_30default_config_static_selectorELNS0_4arch9wavefront6targetE1EEEvT1_
		.amdhsa_group_segment_fixed_size 0
		.amdhsa_private_segment_fixed_size 0
		.amdhsa_kernarg_size 136
		.amdhsa_user_sgpr_count 6
		.amdhsa_user_sgpr_private_segment_buffer 1
		.amdhsa_user_sgpr_dispatch_ptr 0
		.amdhsa_user_sgpr_queue_ptr 0
		.amdhsa_user_sgpr_kernarg_segment_ptr 1
		.amdhsa_user_sgpr_dispatch_id 0
		.amdhsa_user_sgpr_flat_scratch_init 0
		.amdhsa_user_sgpr_kernarg_preload_length 0
		.amdhsa_user_sgpr_kernarg_preload_offset 0
		.amdhsa_user_sgpr_private_segment_size 0
		.amdhsa_uses_dynamic_stack 0
		.amdhsa_system_sgpr_private_segment_wavefront_offset 0
		.amdhsa_system_sgpr_workgroup_id_x 1
		.amdhsa_system_sgpr_workgroup_id_y 0
		.amdhsa_system_sgpr_workgroup_id_z 0
		.amdhsa_system_sgpr_workgroup_info 0
		.amdhsa_system_vgpr_workitem_id 0
		.amdhsa_next_free_vgpr 1
		.amdhsa_next_free_sgpr 0
		.amdhsa_accum_offset 4
		.amdhsa_reserve_vcc 0
		.amdhsa_reserve_flat_scratch 0
		.amdhsa_float_round_mode_32 0
		.amdhsa_float_round_mode_16_64 0
		.amdhsa_float_denorm_mode_32 3
		.amdhsa_float_denorm_mode_16_64 3
		.amdhsa_dx10_clamp 1
		.amdhsa_ieee_mode 1
		.amdhsa_fp16_overflow 0
		.amdhsa_tg_split 0
		.amdhsa_exception_fp_ieee_invalid_op 0
		.amdhsa_exception_fp_denorm_src 0
		.amdhsa_exception_fp_ieee_div_zero 0
		.amdhsa_exception_fp_ieee_overflow 0
		.amdhsa_exception_fp_ieee_underflow 0
		.amdhsa_exception_fp_ieee_inexact 0
		.amdhsa_exception_int_div_zero 0
	.end_amdhsa_kernel
	.section	.text._ZN7rocprim17ROCPRIM_400000_NS6detail17trampoline_kernelINS0_14default_configENS1_29reduce_by_key_config_selectorIxxN6thrust23THRUST_200600_302600_NS4plusIxEEEEZZNS1_33reduce_by_key_impl_wrapped_configILNS1_25lookback_scan_determinismE0ES3_S9_NS6_6detail15normal_iteratorINS6_10device_ptrIxEEEESG_SG_SG_PmS8_22is_equal_div_10_reduceIxEEE10hipError_tPvRmT2_T3_mT4_T5_T6_T7_T8_P12ihipStream_tbENKUlT_T0_E_clISt17integral_constantIbLb1EES10_IbLb0EEEEDaSW_SX_EUlSW_E_NS1_11comp_targetILNS1_3genE0ELNS1_11target_archE4294967295ELNS1_3gpuE0ELNS1_3repE0EEENS1_30default_config_static_selectorELNS0_4arch9wavefront6targetE1EEEvT1_,"axG",@progbits,_ZN7rocprim17ROCPRIM_400000_NS6detail17trampoline_kernelINS0_14default_configENS1_29reduce_by_key_config_selectorIxxN6thrust23THRUST_200600_302600_NS4plusIxEEEEZZNS1_33reduce_by_key_impl_wrapped_configILNS1_25lookback_scan_determinismE0ES3_S9_NS6_6detail15normal_iteratorINS6_10device_ptrIxEEEESG_SG_SG_PmS8_22is_equal_div_10_reduceIxEEE10hipError_tPvRmT2_T3_mT4_T5_T6_T7_T8_P12ihipStream_tbENKUlT_T0_E_clISt17integral_constantIbLb1EES10_IbLb0EEEEDaSW_SX_EUlSW_E_NS1_11comp_targetILNS1_3genE0ELNS1_11target_archE4294967295ELNS1_3gpuE0ELNS1_3repE0EEENS1_30default_config_static_selectorELNS0_4arch9wavefront6targetE1EEEvT1_,comdat
.Lfunc_end526:
	.size	_ZN7rocprim17ROCPRIM_400000_NS6detail17trampoline_kernelINS0_14default_configENS1_29reduce_by_key_config_selectorIxxN6thrust23THRUST_200600_302600_NS4plusIxEEEEZZNS1_33reduce_by_key_impl_wrapped_configILNS1_25lookback_scan_determinismE0ES3_S9_NS6_6detail15normal_iteratorINS6_10device_ptrIxEEEESG_SG_SG_PmS8_22is_equal_div_10_reduceIxEEE10hipError_tPvRmT2_T3_mT4_T5_T6_T7_T8_P12ihipStream_tbENKUlT_T0_E_clISt17integral_constantIbLb1EES10_IbLb0EEEEDaSW_SX_EUlSW_E_NS1_11comp_targetILNS1_3genE0ELNS1_11target_archE4294967295ELNS1_3gpuE0ELNS1_3repE0EEENS1_30default_config_static_selectorELNS0_4arch9wavefront6targetE1EEEvT1_, .Lfunc_end526-_ZN7rocprim17ROCPRIM_400000_NS6detail17trampoline_kernelINS0_14default_configENS1_29reduce_by_key_config_selectorIxxN6thrust23THRUST_200600_302600_NS4plusIxEEEEZZNS1_33reduce_by_key_impl_wrapped_configILNS1_25lookback_scan_determinismE0ES3_S9_NS6_6detail15normal_iteratorINS6_10device_ptrIxEEEESG_SG_SG_PmS8_22is_equal_div_10_reduceIxEEE10hipError_tPvRmT2_T3_mT4_T5_T6_T7_T8_P12ihipStream_tbENKUlT_T0_E_clISt17integral_constantIbLb1EES10_IbLb0EEEEDaSW_SX_EUlSW_E_NS1_11comp_targetILNS1_3genE0ELNS1_11target_archE4294967295ELNS1_3gpuE0ELNS1_3repE0EEENS1_30default_config_static_selectorELNS0_4arch9wavefront6targetE1EEEvT1_
                                        ; -- End function
	.section	.AMDGPU.csdata,"",@progbits
; Kernel info:
; codeLenInByte = 0
; NumSgprs: 4
; NumVgprs: 0
; NumAgprs: 0
; TotalNumVgprs: 0
; ScratchSize: 0
; MemoryBound: 0
; FloatMode: 240
; IeeeMode: 1
; LDSByteSize: 0 bytes/workgroup (compile time only)
; SGPRBlocks: 0
; VGPRBlocks: 0
; NumSGPRsForWavesPerEU: 4
; NumVGPRsForWavesPerEU: 1
; AccumOffset: 4
; Occupancy: 8
; WaveLimiterHint : 0
; COMPUTE_PGM_RSRC2:SCRATCH_EN: 0
; COMPUTE_PGM_RSRC2:USER_SGPR: 6
; COMPUTE_PGM_RSRC2:TRAP_HANDLER: 0
; COMPUTE_PGM_RSRC2:TGID_X_EN: 1
; COMPUTE_PGM_RSRC2:TGID_Y_EN: 0
; COMPUTE_PGM_RSRC2:TGID_Z_EN: 0
; COMPUTE_PGM_RSRC2:TIDIG_COMP_CNT: 0
; COMPUTE_PGM_RSRC3_GFX90A:ACCUM_OFFSET: 0
; COMPUTE_PGM_RSRC3_GFX90A:TG_SPLIT: 0
	.section	.text._ZN7rocprim17ROCPRIM_400000_NS6detail17trampoline_kernelINS0_14default_configENS1_29reduce_by_key_config_selectorIxxN6thrust23THRUST_200600_302600_NS4plusIxEEEEZZNS1_33reduce_by_key_impl_wrapped_configILNS1_25lookback_scan_determinismE0ES3_S9_NS6_6detail15normal_iteratorINS6_10device_ptrIxEEEESG_SG_SG_PmS8_22is_equal_div_10_reduceIxEEE10hipError_tPvRmT2_T3_mT4_T5_T6_T7_T8_P12ihipStream_tbENKUlT_T0_E_clISt17integral_constantIbLb1EES10_IbLb0EEEEDaSW_SX_EUlSW_E_NS1_11comp_targetILNS1_3genE5ELNS1_11target_archE942ELNS1_3gpuE9ELNS1_3repE0EEENS1_30default_config_static_selectorELNS0_4arch9wavefront6targetE1EEEvT1_,"axG",@progbits,_ZN7rocprim17ROCPRIM_400000_NS6detail17trampoline_kernelINS0_14default_configENS1_29reduce_by_key_config_selectorIxxN6thrust23THRUST_200600_302600_NS4plusIxEEEEZZNS1_33reduce_by_key_impl_wrapped_configILNS1_25lookback_scan_determinismE0ES3_S9_NS6_6detail15normal_iteratorINS6_10device_ptrIxEEEESG_SG_SG_PmS8_22is_equal_div_10_reduceIxEEE10hipError_tPvRmT2_T3_mT4_T5_T6_T7_T8_P12ihipStream_tbENKUlT_T0_E_clISt17integral_constantIbLb1EES10_IbLb0EEEEDaSW_SX_EUlSW_E_NS1_11comp_targetILNS1_3genE5ELNS1_11target_archE942ELNS1_3gpuE9ELNS1_3repE0EEENS1_30default_config_static_selectorELNS0_4arch9wavefront6targetE1EEEvT1_,comdat
	.protected	_ZN7rocprim17ROCPRIM_400000_NS6detail17trampoline_kernelINS0_14default_configENS1_29reduce_by_key_config_selectorIxxN6thrust23THRUST_200600_302600_NS4plusIxEEEEZZNS1_33reduce_by_key_impl_wrapped_configILNS1_25lookback_scan_determinismE0ES3_S9_NS6_6detail15normal_iteratorINS6_10device_ptrIxEEEESG_SG_SG_PmS8_22is_equal_div_10_reduceIxEEE10hipError_tPvRmT2_T3_mT4_T5_T6_T7_T8_P12ihipStream_tbENKUlT_T0_E_clISt17integral_constantIbLb1EES10_IbLb0EEEEDaSW_SX_EUlSW_E_NS1_11comp_targetILNS1_3genE5ELNS1_11target_archE942ELNS1_3gpuE9ELNS1_3repE0EEENS1_30default_config_static_selectorELNS0_4arch9wavefront6targetE1EEEvT1_ ; -- Begin function _ZN7rocprim17ROCPRIM_400000_NS6detail17trampoline_kernelINS0_14default_configENS1_29reduce_by_key_config_selectorIxxN6thrust23THRUST_200600_302600_NS4plusIxEEEEZZNS1_33reduce_by_key_impl_wrapped_configILNS1_25lookback_scan_determinismE0ES3_S9_NS6_6detail15normal_iteratorINS6_10device_ptrIxEEEESG_SG_SG_PmS8_22is_equal_div_10_reduceIxEEE10hipError_tPvRmT2_T3_mT4_T5_T6_T7_T8_P12ihipStream_tbENKUlT_T0_E_clISt17integral_constantIbLb1EES10_IbLb0EEEEDaSW_SX_EUlSW_E_NS1_11comp_targetILNS1_3genE5ELNS1_11target_archE942ELNS1_3gpuE9ELNS1_3repE0EEENS1_30default_config_static_selectorELNS0_4arch9wavefront6targetE1EEEvT1_
	.globl	_ZN7rocprim17ROCPRIM_400000_NS6detail17trampoline_kernelINS0_14default_configENS1_29reduce_by_key_config_selectorIxxN6thrust23THRUST_200600_302600_NS4plusIxEEEEZZNS1_33reduce_by_key_impl_wrapped_configILNS1_25lookback_scan_determinismE0ES3_S9_NS6_6detail15normal_iteratorINS6_10device_ptrIxEEEESG_SG_SG_PmS8_22is_equal_div_10_reduceIxEEE10hipError_tPvRmT2_T3_mT4_T5_T6_T7_T8_P12ihipStream_tbENKUlT_T0_E_clISt17integral_constantIbLb1EES10_IbLb0EEEEDaSW_SX_EUlSW_E_NS1_11comp_targetILNS1_3genE5ELNS1_11target_archE942ELNS1_3gpuE9ELNS1_3repE0EEENS1_30default_config_static_selectorELNS0_4arch9wavefront6targetE1EEEvT1_
	.p2align	8
	.type	_ZN7rocprim17ROCPRIM_400000_NS6detail17trampoline_kernelINS0_14default_configENS1_29reduce_by_key_config_selectorIxxN6thrust23THRUST_200600_302600_NS4plusIxEEEEZZNS1_33reduce_by_key_impl_wrapped_configILNS1_25lookback_scan_determinismE0ES3_S9_NS6_6detail15normal_iteratorINS6_10device_ptrIxEEEESG_SG_SG_PmS8_22is_equal_div_10_reduceIxEEE10hipError_tPvRmT2_T3_mT4_T5_T6_T7_T8_P12ihipStream_tbENKUlT_T0_E_clISt17integral_constantIbLb1EES10_IbLb0EEEEDaSW_SX_EUlSW_E_NS1_11comp_targetILNS1_3genE5ELNS1_11target_archE942ELNS1_3gpuE9ELNS1_3repE0EEENS1_30default_config_static_selectorELNS0_4arch9wavefront6targetE1EEEvT1_,@function
_ZN7rocprim17ROCPRIM_400000_NS6detail17trampoline_kernelINS0_14default_configENS1_29reduce_by_key_config_selectorIxxN6thrust23THRUST_200600_302600_NS4plusIxEEEEZZNS1_33reduce_by_key_impl_wrapped_configILNS1_25lookback_scan_determinismE0ES3_S9_NS6_6detail15normal_iteratorINS6_10device_ptrIxEEEESG_SG_SG_PmS8_22is_equal_div_10_reduceIxEEE10hipError_tPvRmT2_T3_mT4_T5_T6_T7_T8_P12ihipStream_tbENKUlT_T0_E_clISt17integral_constantIbLb1EES10_IbLb0EEEEDaSW_SX_EUlSW_E_NS1_11comp_targetILNS1_3genE5ELNS1_11target_archE942ELNS1_3gpuE9ELNS1_3repE0EEENS1_30default_config_static_selectorELNS0_4arch9wavefront6targetE1EEEvT1_: ; @_ZN7rocprim17ROCPRIM_400000_NS6detail17trampoline_kernelINS0_14default_configENS1_29reduce_by_key_config_selectorIxxN6thrust23THRUST_200600_302600_NS4plusIxEEEEZZNS1_33reduce_by_key_impl_wrapped_configILNS1_25lookback_scan_determinismE0ES3_S9_NS6_6detail15normal_iteratorINS6_10device_ptrIxEEEESG_SG_SG_PmS8_22is_equal_div_10_reduceIxEEE10hipError_tPvRmT2_T3_mT4_T5_T6_T7_T8_P12ihipStream_tbENKUlT_T0_E_clISt17integral_constantIbLb1EES10_IbLb0EEEEDaSW_SX_EUlSW_E_NS1_11comp_targetILNS1_3genE5ELNS1_11target_archE942ELNS1_3gpuE9ELNS1_3repE0EEENS1_30default_config_static_selectorELNS0_4arch9wavefront6targetE1EEEvT1_
; %bb.0:
	.section	.rodata,"a",@progbits
	.p2align	6, 0x0
	.amdhsa_kernel _ZN7rocprim17ROCPRIM_400000_NS6detail17trampoline_kernelINS0_14default_configENS1_29reduce_by_key_config_selectorIxxN6thrust23THRUST_200600_302600_NS4plusIxEEEEZZNS1_33reduce_by_key_impl_wrapped_configILNS1_25lookback_scan_determinismE0ES3_S9_NS6_6detail15normal_iteratorINS6_10device_ptrIxEEEESG_SG_SG_PmS8_22is_equal_div_10_reduceIxEEE10hipError_tPvRmT2_T3_mT4_T5_T6_T7_T8_P12ihipStream_tbENKUlT_T0_E_clISt17integral_constantIbLb1EES10_IbLb0EEEEDaSW_SX_EUlSW_E_NS1_11comp_targetILNS1_3genE5ELNS1_11target_archE942ELNS1_3gpuE9ELNS1_3repE0EEENS1_30default_config_static_selectorELNS0_4arch9wavefront6targetE1EEEvT1_
		.amdhsa_group_segment_fixed_size 0
		.amdhsa_private_segment_fixed_size 0
		.amdhsa_kernarg_size 136
		.amdhsa_user_sgpr_count 6
		.amdhsa_user_sgpr_private_segment_buffer 1
		.amdhsa_user_sgpr_dispatch_ptr 0
		.amdhsa_user_sgpr_queue_ptr 0
		.amdhsa_user_sgpr_kernarg_segment_ptr 1
		.amdhsa_user_sgpr_dispatch_id 0
		.amdhsa_user_sgpr_flat_scratch_init 0
		.amdhsa_user_sgpr_kernarg_preload_length 0
		.amdhsa_user_sgpr_kernarg_preload_offset 0
		.amdhsa_user_sgpr_private_segment_size 0
		.amdhsa_uses_dynamic_stack 0
		.amdhsa_system_sgpr_private_segment_wavefront_offset 0
		.amdhsa_system_sgpr_workgroup_id_x 1
		.amdhsa_system_sgpr_workgroup_id_y 0
		.amdhsa_system_sgpr_workgroup_id_z 0
		.amdhsa_system_sgpr_workgroup_info 0
		.amdhsa_system_vgpr_workitem_id 0
		.amdhsa_next_free_vgpr 1
		.amdhsa_next_free_sgpr 0
		.amdhsa_accum_offset 4
		.amdhsa_reserve_vcc 0
		.amdhsa_reserve_flat_scratch 0
		.amdhsa_float_round_mode_32 0
		.amdhsa_float_round_mode_16_64 0
		.amdhsa_float_denorm_mode_32 3
		.amdhsa_float_denorm_mode_16_64 3
		.amdhsa_dx10_clamp 1
		.amdhsa_ieee_mode 1
		.amdhsa_fp16_overflow 0
		.amdhsa_tg_split 0
		.amdhsa_exception_fp_ieee_invalid_op 0
		.amdhsa_exception_fp_denorm_src 0
		.amdhsa_exception_fp_ieee_div_zero 0
		.amdhsa_exception_fp_ieee_overflow 0
		.amdhsa_exception_fp_ieee_underflow 0
		.amdhsa_exception_fp_ieee_inexact 0
		.amdhsa_exception_int_div_zero 0
	.end_amdhsa_kernel
	.section	.text._ZN7rocprim17ROCPRIM_400000_NS6detail17trampoline_kernelINS0_14default_configENS1_29reduce_by_key_config_selectorIxxN6thrust23THRUST_200600_302600_NS4plusIxEEEEZZNS1_33reduce_by_key_impl_wrapped_configILNS1_25lookback_scan_determinismE0ES3_S9_NS6_6detail15normal_iteratorINS6_10device_ptrIxEEEESG_SG_SG_PmS8_22is_equal_div_10_reduceIxEEE10hipError_tPvRmT2_T3_mT4_T5_T6_T7_T8_P12ihipStream_tbENKUlT_T0_E_clISt17integral_constantIbLb1EES10_IbLb0EEEEDaSW_SX_EUlSW_E_NS1_11comp_targetILNS1_3genE5ELNS1_11target_archE942ELNS1_3gpuE9ELNS1_3repE0EEENS1_30default_config_static_selectorELNS0_4arch9wavefront6targetE1EEEvT1_,"axG",@progbits,_ZN7rocprim17ROCPRIM_400000_NS6detail17trampoline_kernelINS0_14default_configENS1_29reduce_by_key_config_selectorIxxN6thrust23THRUST_200600_302600_NS4plusIxEEEEZZNS1_33reduce_by_key_impl_wrapped_configILNS1_25lookback_scan_determinismE0ES3_S9_NS6_6detail15normal_iteratorINS6_10device_ptrIxEEEESG_SG_SG_PmS8_22is_equal_div_10_reduceIxEEE10hipError_tPvRmT2_T3_mT4_T5_T6_T7_T8_P12ihipStream_tbENKUlT_T0_E_clISt17integral_constantIbLb1EES10_IbLb0EEEEDaSW_SX_EUlSW_E_NS1_11comp_targetILNS1_3genE5ELNS1_11target_archE942ELNS1_3gpuE9ELNS1_3repE0EEENS1_30default_config_static_selectorELNS0_4arch9wavefront6targetE1EEEvT1_,comdat
.Lfunc_end527:
	.size	_ZN7rocprim17ROCPRIM_400000_NS6detail17trampoline_kernelINS0_14default_configENS1_29reduce_by_key_config_selectorIxxN6thrust23THRUST_200600_302600_NS4plusIxEEEEZZNS1_33reduce_by_key_impl_wrapped_configILNS1_25lookback_scan_determinismE0ES3_S9_NS6_6detail15normal_iteratorINS6_10device_ptrIxEEEESG_SG_SG_PmS8_22is_equal_div_10_reduceIxEEE10hipError_tPvRmT2_T3_mT4_T5_T6_T7_T8_P12ihipStream_tbENKUlT_T0_E_clISt17integral_constantIbLb1EES10_IbLb0EEEEDaSW_SX_EUlSW_E_NS1_11comp_targetILNS1_3genE5ELNS1_11target_archE942ELNS1_3gpuE9ELNS1_3repE0EEENS1_30default_config_static_selectorELNS0_4arch9wavefront6targetE1EEEvT1_, .Lfunc_end527-_ZN7rocprim17ROCPRIM_400000_NS6detail17trampoline_kernelINS0_14default_configENS1_29reduce_by_key_config_selectorIxxN6thrust23THRUST_200600_302600_NS4plusIxEEEEZZNS1_33reduce_by_key_impl_wrapped_configILNS1_25lookback_scan_determinismE0ES3_S9_NS6_6detail15normal_iteratorINS6_10device_ptrIxEEEESG_SG_SG_PmS8_22is_equal_div_10_reduceIxEEE10hipError_tPvRmT2_T3_mT4_T5_T6_T7_T8_P12ihipStream_tbENKUlT_T0_E_clISt17integral_constantIbLb1EES10_IbLb0EEEEDaSW_SX_EUlSW_E_NS1_11comp_targetILNS1_3genE5ELNS1_11target_archE942ELNS1_3gpuE9ELNS1_3repE0EEENS1_30default_config_static_selectorELNS0_4arch9wavefront6targetE1EEEvT1_
                                        ; -- End function
	.section	.AMDGPU.csdata,"",@progbits
; Kernel info:
; codeLenInByte = 0
; NumSgprs: 4
; NumVgprs: 0
; NumAgprs: 0
; TotalNumVgprs: 0
; ScratchSize: 0
; MemoryBound: 0
; FloatMode: 240
; IeeeMode: 1
; LDSByteSize: 0 bytes/workgroup (compile time only)
; SGPRBlocks: 0
; VGPRBlocks: 0
; NumSGPRsForWavesPerEU: 4
; NumVGPRsForWavesPerEU: 1
; AccumOffset: 4
; Occupancy: 8
; WaveLimiterHint : 0
; COMPUTE_PGM_RSRC2:SCRATCH_EN: 0
; COMPUTE_PGM_RSRC2:USER_SGPR: 6
; COMPUTE_PGM_RSRC2:TRAP_HANDLER: 0
; COMPUTE_PGM_RSRC2:TGID_X_EN: 1
; COMPUTE_PGM_RSRC2:TGID_Y_EN: 0
; COMPUTE_PGM_RSRC2:TGID_Z_EN: 0
; COMPUTE_PGM_RSRC2:TIDIG_COMP_CNT: 0
; COMPUTE_PGM_RSRC3_GFX90A:ACCUM_OFFSET: 0
; COMPUTE_PGM_RSRC3_GFX90A:TG_SPLIT: 0
	.section	.text._ZN7rocprim17ROCPRIM_400000_NS6detail17trampoline_kernelINS0_14default_configENS1_29reduce_by_key_config_selectorIxxN6thrust23THRUST_200600_302600_NS4plusIxEEEEZZNS1_33reduce_by_key_impl_wrapped_configILNS1_25lookback_scan_determinismE0ES3_S9_NS6_6detail15normal_iteratorINS6_10device_ptrIxEEEESG_SG_SG_PmS8_22is_equal_div_10_reduceIxEEE10hipError_tPvRmT2_T3_mT4_T5_T6_T7_T8_P12ihipStream_tbENKUlT_T0_E_clISt17integral_constantIbLb1EES10_IbLb0EEEEDaSW_SX_EUlSW_E_NS1_11comp_targetILNS1_3genE4ELNS1_11target_archE910ELNS1_3gpuE8ELNS1_3repE0EEENS1_30default_config_static_selectorELNS0_4arch9wavefront6targetE1EEEvT1_,"axG",@progbits,_ZN7rocprim17ROCPRIM_400000_NS6detail17trampoline_kernelINS0_14default_configENS1_29reduce_by_key_config_selectorIxxN6thrust23THRUST_200600_302600_NS4plusIxEEEEZZNS1_33reduce_by_key_impl_wrapped_configILNS1_25lookback_scan_determinismE0ES3_S9_NS6_6detail15normal_iteratorINS6_10device_ptrIxEEEESG_SG_SG_PmS8_22is_equal_div_10_reduceIxEEE10hipError_tPvRmT2_T3_mT4_T5_T6_T7_T8_P12ihipStream_tbENKUlT_T0_E_clISt17integral_constantIbLb1EES10_IbLb0EEEEDaSW_SX_EUlSW_E_NS1_11comp_targetILNS1_3genE4ELNS1_11target_archE910ELNS1_3gpuE8ELNS1_3repE0EEENS1_30default_config_static_selectorELNS0_4arch9wavefront6targetE1EEEvT1_,comdat
	.protected	_ZN7rocprim17ROCPRIM_400000_NS6detail17trampoline_kernelINS0_14default_configENS1_29reduce_by_key_config_selectorIxxN6thrust23THRUST_200600_302600_NS4plusIxEEEEZZNS1_33reduce_by_key_impl_wrapped_configILNS1_25lookback_scan_determinismE0ES3_S9_NS6_6detail15normal_iteratorINS6_10device_ptrIxEEEESG_SG_SG_PmS8_22is_equal_div_10_reduceIxEEE10hipError_tPvRmT2_T3_mT4_T5_T6_T7_T8_P12ihipStream_tbENKUlT_T0_E_clISt17integral_constantIbLb1EES10_IbLb0EEEEDaSW_SX_EUlSW_E_NS1_11comp_targetILNS1_3genE4ELNS1_11target_archE910ELNS1_3gpuE8ELNS1_3repE0EEENS1_30default_config_static_selectorELNS0_4arch9wavefront6targetE1EEEvT1_ ; -- Begin function _ZN7rocprim17ROCPRIM_400000_NS6detail17trampoline_kernelINS0_14default_configENS1_29reduce_by_key_config_selectorIxxN6thrust23THRUST_200600_302600_NS4plusIxEEEEZZNS1_33reduce_by_key_impl_wrapped_configILNS1_25lookback_scan_determinismE0ES3_S9_NS6_6detail15normal_iteratorINS6_10device_ptrIxEEEESG_SG_SG_PmS8_22is_equal_div_10_reduceIxEEE10hipError_tPvRmT2_T3_mT4_T5_T6_T7_T8_P12ihipStream_tbENKUlT_T0_E_clISt17integral_constantIbLb1EES10_IbLb0EEEEDaSW_SX_EUlSW_E_NS1_11comp_targetILNS1_3genE4ELNS1_11target_archE910ELNS1_3gpuE8ELNS1_3repE0EEENS1_30default_config_static_selectorELNS0_4arch9wavefront6targetE1EEEvT1_
	.globl	_ZN7rocprim17ROCPRIM_400000_NS6detail17trampoline_kernelINS0_14default_configENS1_29reduce_by_key_config_selectorIxxN6thrust23THRUST_200600_302600_NS4plusIxEEEEZZNS1_33reduce_by_key_impl_wrapped_configILNS1_25lookback_scan_determinismE0ES3_S9_NS6_6detail15normal_iteratorINS6_10device_ptrIxEEEESG_SG_SG_PmS8_22is_equal_div_10_reduceIxEEE10hipError_tPvRmT2_T3_mT4_T5_T6_T7_T8_P12ihipStream_tbENKUlT_T0_E_clISt17integral_constantIbLb1EES10_IbLb0EEEEDaSW_SX_EUlSW_E_NS1_11comp_targetILNS1_3genE4ELNS1_11target_archE910ELNS1_3gpuE8ELNS1_3repE0EEENS1_30default_config_static_selectorELNS0_4arch9wavefront6targetE1EEEvT1_
	.p2align	8
	.type	_ZN7rocprim17ROCPRIM_400000_NS6detail17trampoline_kernelINS0_14default_configENS1_29reduce_by_key_config_selectorIxxN6thrust23THRUST_200600_302600_NS4plusIxEEEEZZNS1_33reduce_by_key_impl_wrapped_configILNS1_25lookback_scan_determinismE0ES3_S9_NS6_6detail15normal_iteratorINS6_10device_ptrIxEEEESG_SG_SG_PmS8_22is_equal_div_10_reduceIxEEE10hipError_tPvRmT2_T3_mT4_T5_T6_T7_T8_P12ihipStream_tbENKUlT_T0_E_clISt17integral_constantIbLb1EES10_IbLb0EEEEDaSW_SX_EUlSW_E_NS1_11comp_targetILNS1_3genE4ELNS1_11target_archE910ELNS1_3gpuE8ELNS1_3repE0EEENS1_30default_config_static_selectorELNS0_4arch9wavefront6targetE1EEEvT1_,@function
_ZN7rocprim17ROCPRIM_400000_NS6detail17trampoline_kernelINS0_14default_configENS1_29reduce_by_key_config_selectorIxxN6thrust23THRUST_200600_302600_NS4plusIxEEEEZZNS1_33reduce_by_key_impl_wrapped_configILNS1_25lookback_scan_determinismE0ES3_S9_NS6_6detail15normal_iteratorINS6_10device_ptrIxEEEESG_SG_SG_PmS8_22is_equal_div_10_reduceIxEEE10hipError_tPvRmT2_T3_mT4_T5_T6_T7_T8_P12ihipStream_tbENKUlT_T0_E_clISt17integral_constantIbLb1EES10_IbLb0EEEEDaSW_SX_EUlSW_E_NS1_11comp_targetILNS1_3genE4ELNS1_11target_archE910ELNS1_3gpuE8ELNS1_3repE0EEENS1_30default_config_static_selectorELNS0_4arch9wavefront6targetE1EEEvT1_: ; @_ZN7rocprim17ROCPRIM_400000_NS6detail17trampoline_kernelINS0_14default_configENS1_29reduce_by_key_config_selectorIxxN6thrust23THRUST_200600_302600_NS4plusIxEEEEZZNS1_33reduce_by_key_impl_wrapped_configILNS1_25lookback_scan_determinismE0ES3_S9_NS6_6detail15normal_iteratorINS6_10device_ptrIxEEEESG_SG_SG_PmS8_22is_equal_div_10_reduceIxEEE10hipError_tPvRmT2_T3_mT4_T5_T6_T7_T8_P12ihipStream_tbENKUlT_T0_E_clISt17integral_constantIbLb1EES10_IbLb0EEEEDaSW_SX_EUlSW_E_NS1_11comp_targetILNS1_3genE4ELNS1_11target_archE910ELNS1_3gpuE8ELNS1_3repE0EEENS1_30default_config_static_selectorELNS0_4arch9wavefront6targetE1EEEvT1_
; %bb.0:
	s_load_dwordx8 s[52:59], s[4:5], 0x0
	s_load_dwordx4 s[60:63], s[4:5], 0x20
	s_load_dwordx16 s[36:51], s[4:5], 0x38
	s_waitcnt lgkmcnt(0)
	s_lshl_b64 s[0:1], s[54:55], 3
	s_add_u32 s2, s52, s0
	s_addc_u32 s3, s53, s1
	s_add_u32 s8, s56, s0
	s_addc_u32 s9, s57, s1
	s_mul_i32 s0, s44, s43
	s_mul_hi_u32 s1, s44, s42
	s_add_i32 s0, s1, s0
	s_mul_i32 s1, s45, s42
	s_add_i32 s10, s0, s1
	s_mul_i32 s0, s6, 0xf00
	s_mov_b32 s1, 0
	s_lshl_b64 s[0:1], s[0:1], 3
	s_add_u32 s7, s2, s0
	s_addc_u32 s56, s3, s1
	s_add_u32 s57, s8, s0
	s_mul_i32 s11, s44, s42
	s_addc_u32 s64, s9, s1
	s_add_u32 s52, s11, s6
	s_addc_u32 s53, s10, 0
	s_add_u32 s2, s46, -1
	s_addc_u32 s3, s47, -1
	s_cmp_eq_u64 s[52:53], s[2:3]
	s_cselect_b64 s[34:35], -1, 0
	s_cmp_lg_u64 s[52:53], s[2:3]
	s_mov_b64 s[0:1], -1
	s_cselect_b64 s[54:55], -1, 0
	s_mul_i32 s33, s2, 0xfffff100
	s_and_b64 vcc, exec, s[34:35]
	s_cbranch_vccnz .LBB528_2
; %bb.1:
	v_lshlrev_b32_e32 v63, 3, v0
	v_mov_b32_e32 v1, s56
	v_add_co_u32_e32 v2, vcc, s7, v63
	v_addc_co_u32_e32 v3, vcc, 0, v1, vcc
	v_add_co_u32_e32 v4, vcc, 0x1000, v2
	v_addc_co_u32_e32 v5, vcc, 0, v3, vcc
	flat_load_dwordx2 v[6:7], v[2:3]
	flat_load_dwordx2 v[8:9], v[2:3] offset:2048
	flat_load_dwordx2 v[10:11], v[4:5]
	flat_load_dwordx2 v[12:13], v[4:5] offset:2048
	v_add_co_u32_e32 v4, vcc, 0x2000, v2
	v_addc_co_u32_e32 v5, vcc, 0, v3, vcc
	v_add_co_u32_e32 v14, vcc, 0x3000, v2
	v_addc_co_u32_e32 v15, vcc, 0, v3, vcc
	flat_load_dwordx2 v[16:17], v[4:5]
	flat_load_dwordx2 v[18:19], v[4:5] offset:2048
	flat_load_dwordx2 v[20:21], v[14:15]
	flat_load_dwordx2 v[22:23], v[14:15] offset:2048
	;; [unrolled: 8-line block ×3, first 2 shown]
	v_add_co_u32_e32 v4, vcc, 0x6000, v2
	v_addc_co_u32_e32 v5, vcc, 0, v3, vcc
	v_add_co_u32_e32 v2, vcc, 0x7000, v2
	v_addc_co_u32_e32 v3, vcc, 0, v3, vcc
	flat_load_dwordx2 v[14:15], v[4:5]
	flat_load_dwordx2 v[32:33], v[4:5] offset:2048
	flat_load_dwordx2 v[34:35], v[2:3]
	v_mov_b32_e32 v36, s64
	s_movk_i32 s0, 0x1000
	s_movk_i32 s11, 0x70
	;; [unrolled: 1-line block ×3, first 2 shown]
	v_mad_u32_u24 v1, v0, s11, v63
	s_movk_i32 s2, 0x3000
	s_movk_i32 s3, 0x4000
	;; [unrolled: 1-line block ×5, first 2 shown]
	v_mul_u32_u24_e32 v62, 15, v0
	s_waitcnt vmcnt(0) lgkmcnt(0)
	ds_write2st64_b64 v63, v[6:7], v[8:9] offset1:4
	ds_write2st64_b64 v63, v[10:11], v[12:13] offset0:8 offset1:12
	ds_write2st64_b64 v63, v[16:17], v[18:19] offset0:16 offset1:20
	;; [unrolled: 1-line block ×6, first 2 shown]
	ds_write_b64 v63, v[34:35] offset:28672
	v_add_co_u32_e32 v30, vcc, s57, v63
	v_addc_co_u32_e32 v31, vcc, 0, v36, vcc
	v_add_co_u32_e32 v32, vcc, s0, v30
	v_addc_co_u32_e32 v33, vcc, 0, v31, vcc
	s_waitcnt lgkmcnt(0)
	s_barrier
	ds_read2_b64 v[26:29], v1 offset1:1
	ds_read2_b64 v[22:25], v1 offset0:2 offset1:3
	ds_read2_b64 v[18:21], v1 offset0:4 offset1:5
	;; [unrolled: 1-line block ×6, first 2 shown]
	ds_read_b64 v[58:59], v1 offset:112
	s_waitcnt lgkmcnt(0)
	s_barrier
	flat_load_dwordx2 v[34:35], v[30:31]
	flat_load_dwordx2 v[36:37], v[30:31] offset:2048
	flat_load_dwordx2 v[38:39], v[32:33]
	flat_load_dwordx2 v[40:41], v[32:33] offset:2048
	v_add_co_u32_e32 v32, vcc, s1, v30
	v_addc_co_u32_e32 v33, vcc, 0, v31, vcc
	v_add_co_u32_e32 v42, vcc, s2, v30
	v_addc_co_u32_e32 v43, vcc, 0, v31, vcc
	flat_load_dwordx2 v[44:45], v[32:33]
	flat_load_dwordx2 v[46:47], v[32:33] offset:2048
	flat_load_dwordx2 v[48:49], v[42:43]
	flat_load_dwordx2 v[50:51], v[42:43] offset:2048
	v_add_co_u32_e32 v32, vcc, s3, v30
	v_addc_co_u32_e32 v33, vcc, 0, v31, vcc
	v_add_co_u32_e32 v42, vcc, s8, v30
	v_addc_co_u32_e32 v43, vcc, 0, v31, vcc
	;; [unrolled: 8-line block ×3, first 2 shown]
	flat_load_dwordx2 v[42:43], v[32:33]
	flat_load_dwordx2 v[64:65], v[32:33] offset:2048
	flat_load_dwordx2 v[66:67], v[30:31]
	s_waitcnt vmcnt(0) lgkmcnt(0)
	ds_write2st64_b64 v63, v[34:35], v[36:37] offset1:4
	ds_write2st64_b64 v63, v[38:39], v[40:41] offset0:8 offset1:12
	ds_write2st64_b64 v63, v[44:45], v[46:47] offset0:16 offset1:20
	;; [unrolled: 1-line block ×6, first 2 shown]
	ds_write_b64 v63, v[66:67] offset:28672
	s_waitcnt lgkmcnt(0)
	s_barrier
	s_load_dwordx2 s[46:47], s[4:5], 0x78
	s_add_i32 s33, s33, s48
	s_cbranch_execz .LBB528_3
	s_branch .LBB528_50
.LBB528_2:
                                        ; implicit-def: $vgpr2_vgpr3_vgpr4_vgpr5
                                        ; implicit-def: $vgpr6_vgpr7_vgpr8_vgpr9
                                        ; implicit-def: $vgpr10_vgpr11_vgpr12_vgpr13
                                        ; implicit-def: $vgpr14_vgpr15_vgpr16_vgpr17
                                        ; implicit-def: $vgpr18_vgpr19_vgpr20_vgpr21
                                        ; implicit-def: $vgpr22_vgpr23_vgpr24_vgpr25
                                        ; implicit-def: $vgpr26_vgpr27_vgpr28_vgpr29
                                        ; implicit-def: $vgpr62
                                        ; implicit-def: $vgpr1
                                        ; implicit-def: $vgpr58_vgpr59
	s_load_dwordx2 s[46:47], s[4:5], 0x78
	s_andn2_b64 vcc, exec, s[0:1]
	s_add_i32 s33, s33, s48
	s_cbranch_vccnz .LBB528_50
.LBB528_3:
	v_cmp_gt_u32_e32 vcc, s33, v0
                                        ; implicit-def: $vgpr2_vgpr3
	s_and_saveexec_b64 s[2:3], vcc
	s_cbranch_execz .LBB528_5
; %bb.4:
	v_lshlrev_b32_e32 v1, 3, v0
	v_mov_b32_e32 v3, s56
	v_add_co_u32_e64 v2, s[0:1], s7, v1
	v_addc_co_u32_e64 v3, s[0:1], 0, v3, s[0:1]
	flat_load_dwordx2 v[2:3], v[2:3]
.LBB528_5:
	s_or_b64 exec, exec, s[2:3]
	v_or_b32_e32 v1, 0x100, v0
	v_cmp_gt_u32_e64 s[0:1], s33, v1
                                        ; implicit-def: $vgpr4_vgpr5
	s_and_saveexec_b64 s[4:5], s[0:1]
	s_cbranch_execz .LBB528_7
; %bb.6:
	v_lshlrev_b32_e32 v1, 3, v0
	v_mov_b32_e32 v5, s56
	v_add_co_u32_e64 v4, s[2:3], s7, v1
	v_addc_co_u32_e64 v5, s[2:3], 0, v5, s[2:3]
	flat_load_dwordx2 v[4:5], v[4:5] offset:2048
.LBB528_7:
	s_or_b64 exec, exec, s[4:5]
	v_or_b32_e32 v36, 0x200, v0
	v_cmp_gt_u32_e64 s[2:3], s33, v36
                                        ; implicit-def: $vgpr6_vgpr7
	s_and_saveexec_b64 s[8:9], s[2:3]
	s_cbranch_execz .LBB528_9
; %bb.8:
	v_lshlrev_b32_e32 v1, 3, v36
	v_mov_b32_e32 v7, s56
	v_add_co_u32_e64 v6, s[4:5], s7, v1
	v_addc_co_u32_e64 v7, s[4:5], 0, v7, s[4:5]
	flat_load_dwordx2 v[6:7], v[6:7]
.LBB528_9:
	s_or_b64 exec, exec, s[8:9]
	v_or_b32_e32 v38, 0x300, v0
	v_cmp_gt_u32_e64 s[4:5], s33, v38
                                        ; implicit-def: $vgpr8_vgpr9
	s_and_saveexec_b64 s[10:11], s[4:5]
	s_cbranch_execz .LBB528_11
; %bb.10:
	v_lshlrev_b32_e32 v1, 3, v38
	v_mov_b32_e32 v9, s56
	v_add_co_u32_e64 v8, s[8:9], s7, v1
	v_addc_co_u32_e64 v9, s[8:9], 0, v9, s[8:9]
	flat_load_dwordx2 v[8:9], v[8:9]
.LBB528_11:
	s_or_b64 exec, exec, s[10:11]
	v_or_b32_e32 v40, 0x400, v0
	v_cmp_gt_u32_e64 s[28:29], s33, v40
                                        ; implicit-def: $vgpr10_vgpr11
	s_and_saveexec_b64 s[10:11], s[28:29]
	s_cbranch_execz .LBB528_13
; %bb.12:
	v_lshlrev_b32_e32 v1, 3, v40
	v_mov_b32_e32 v11, s56
	v_add_co_u32_e64 v10, s[8:9], s7, v1
	v_addc_co_u32_e64 v11, s[8:9], 0, v11, s[8:9]
	flat_load_dwordx2 v[10:11], v[10:11]
.LBB528_13:
	s_or_b64 exec, exec, s[10:11]
	v_or_b32_e32 v42, 0x500, v0
	v_cmp_gt_u32_e64 s[8:9], s33, v42
                                        ; implicit-def: $vgpr12_vgpr13
	s_and_saveexec_b64 s[12:13], s[8:9]
	s_cbranch_execz .LBB528_15
; %bb.14:
	v_lshlrev_b32_e32 v1, 3, v42
	v_mov_b32_e32 v13, s56
	v_add_co_u32_e64 v12, s[10:11], s7, v1
	v_addc_co_u32_e64 v13, s[10:11], 0, v13, s[10:11]
	flat_load_dwordx2 v[12:13], v[12:13]
.LBB528_15:
	s_or_b64 exec, exec, s[12:13]
	v_or_b32_e32 v44, 0x600, v0
	v_cmp_gt_u32_e64 s[10:11], s33, v44
                                        ; implicit-def: $vgpr14_vgpr15
	s_and_saveexec_b64 s[14:15], s[10:11]
	s_cbranch_execz .LBB528_17
; %bb.16:
	v_lshlrev_b32_e32 v1, 3, v44
	v_mov_b32_e32 v15, s56
	v_add_co_u32_e64 v14, s[12:13], s7, v1
	v_addc_co_u32_e64 v15, s[12:13], 0, v15, s[12:13]
	flat_load_dwordx2 v[14:15], v[14:15]
.LBB528_17:
	s_or_b64 exec, exec, s[14:15]
	v_or_b32_e32 v46, 0x700, v0
	v_cmp_gt_u32_e64 s[12:13], s33, v46
                                        ; implicit-def: $vgpr16_vgpr17
	s_and_saveexec_b64 s[16:17], s[12:13]
	s_cbranch_execz .LBB528_19
; %bb.18:
	v_lshlrev_b32_e32 v1, 3, v46
	v_mov_b32_e32 v17, s56
	v_add_co_u32_e64 v16, s[14:15], s7, v1
	v_addc_co_u32_e64 v17, s[14:15], 0, v17, s[14:15]
	flat_load_dwordx2 v[16:17], v[16:17]
.LBB528_19:
	s_or_b64 exec, exec, s[16:17]
	v_or_b32_e32 v48, 0x800, v0
	v_cmp_gt_u32_e64 s[14:15], s33, v48
                                        ; implicit-def: $vgpr18_vgpr19
	s_and_saveexec_b64 s[18:19], s[14:15]
	s_cbranch_execz .LBB528_21
; %bb.20:
	v_lshlrev_b32_e32 v1, 3, v48
	v_mov_b32_e32 v19, s56
	v_add_co_u32_e64 v18, s[16:17], s7, v1
	v_addc_co_u32_e64 v19, s[16:17], 0, v19, s[16:17]
	flat_load_dwordx2 v[18:19], v[18:19]
.LBB528_21:
	s_or_b64 exec, exec, s[18:19]
	v_or_b32_e32 v50, 0x900, v0
	v_cmp_gt_u32_e64 s[16:17], s33, v50
                                        ; implicit-def: $vgpr20_vgpr21
	s_and_saveexec_b64 s[20:21], s[16:17]
	s_cbranch_execz .LBB528_23
; %bb.22:
	v_lshlrev_b32_e32 v1, 3, v50
	v_mov_b32_e32 v21, s56
	v_add_co_u32_e64 v20, s[18:19], s7, v1
	v_addc_co_u32_e64 v21, s[18:19], 0, v21, s[18:19]
	flat_load_dwordx2 v[20:21], v[20:21]
.LBB528_23:
	s_or_b64 exec, exec, s[20:21]
	v_or_b32_e32 v52, 0xa00, v0
	v_cmp_gt_u32_e64 s[18:19], s33, v52
                                        ; implicit-def: $vgpr22_vgpr23
	s_and_saveexec_b64 s[22:23], s[18:19]
	s_cbranch_execz .LBB528_25
; %bb.24:
	v_lshlrev_b32_e32 v1, 3, v52
	v_mov_b32_e32 v23, s56
	v_add_co_u32_e64 v22, s[20:21], s7, v1
	v_addc_co_u32_e64 v23, s[20:21], 0, v23, s[20:21]
	flat_load_dwordx2 v[22:23], v[22:23]
.LBB528_25:
	s_or_b64 exec, exec, s[22:23]
	v_or_b32_e32 v54, 0xb00, v0
	v_cmp_gt_u32_e64 s[20:21], s33, v54
                                        ; implicit-def: $vgpr24_vgpr25
	s_and_saveexec_b64 s[24:25], s[20:21]
	s_cbranch_execz .LBB528_27
; %bb.26:
	v_lshlrev_b32_e32 v1, 3, v54
	v_mov_b32_e32 v25, s56
	v_add_co_u32_e64 v24, s[22:23], s7, v1
	v_addc_co_u32_e64 v25, s[22:23], 0, v25, s[22:23]
	flat_load_dwordx2 v[24:25], v[24:25]
.LBB528_27:
	s_or_b64 exec, exec, s[24:25]
	v_or_b32_e32 v56, 0xc00, v0
	v_cmp_gt_u32_e64 s[22:23], s33, v56
                                        ; implicit-def: $vgpr26_vgpr27
	s_and_saveexec_b64 s[26:27], s[22:23]
	s_cbranch_execz .LBB528_29
; %bb.28:
	v_lshlrev_b32_e32 v1, 3, v56
	v_mov_b32_e32 v27, s56
	v_add_co_u32_e64 v26, s[24:25], s7, v1
	v_addc_co_u32_e64 v27, s[24:25], 0, v27, s[24:25]
	flat_load_dwordx2 v[26:27], v[26:27]
.LBB528_29:
	s_or_b64 exec, exec, s[26:27]
	v_or_b32_e32 v60, 0xd00, v0
	v_cmp_gt_u32_e64 s[24:25], s33, v60
                                        ; implicit-def: $vgpr28_vgpr29
	s_and_saveexec_b64 s[30:31], s[24:25]
	s_cbranch_execz .LBB528_31
; %bb.30:
	v_lshlrev_b32_e32 v1, 3, v60
	v_mov_b32_e32 v29, s56
	v_add_co_u32_e64 v28, s[26:27], s7, v1
	v_addc_co_u32_e64 v29, s[26:27], 0, v29, s[26:27]
	flat_load_dwordx2 v[28:29], v[28:29]
.LBB528_31:
	s_or_b64 exec, exec, s[30:31]
	v_or_b32_e32 v62, 0xe00, v0
	v_cmp_gt_u32_e64 s[26:27], s33, v62
                                        ; implicit-def: $vgpr30_vgpr31
	s_and_saveexec_b64 s[44:45], s[26:27]
	s_cbranch_execz .LBB528_33
; %bb.32:
	v_lshlrev_b32_e32 v1, 3, v62
	v_mov_b32_e32 v31, s56
	v_add_co_u32_e64 v30, s[30:31], s7, v1
	v_addc_co_u32_e64 v31, s[30:31], 0, v31, s[30:31]
	flat_load_dwordx2 v[30:31], v[30:31]
.LBB528_33:
	s_or_b64 exec, exec, s[44:45]
	v_lshlrev_b32_e32 v63, 3, v0
	s_movk_i32 s30, 0x70
	v_mad_u32_u24 v1, v0, s30, v63
	s_waitcnt vmcnt(0) lgkmcnt(0)
	ds_write2st64_b64 v63, v[2:3], v[4:5] offset1:4
	ds_write2st64_b64 v63, v[6:7], v[8:9] offset0:8 offset1:12
	ds_write2st64_b64 v63, v[10:11], v[12:13] offset0:16 offset1:20
	;; [unrolled: 1-line block ×6, first 2 shown]
	ds_write_b64 v63, v[30:31] offset:28672
	s_waitcnt lgkmcnt(0)
	s_barrier
	ds_read2_b64 v[26:29], v1 offset1:1
	ds_read2_b64 v[22:25], v1 offset0:2 offset1:3
	ds_read2_b64 v[18:21], v1 offset0:4 offset1:5
	;; [unrolled: 1-line block ×6, first 2 shown]
	ds_read_b64 v[58:59], v1 offset:112
	s_waitcnt lgkmcnt(0)
	s_barrier
	s_waitcnt lgkmcnt(0)
                                        ; implicit-def: $vgpr30_vgpr31
	s_and_saveexec_b64 s[30:31], vcc
	s_cbranch_execnz .LBB528_57
; %bb.34:
	s_or_b64 exec, exec, s[30:31]
                                        ; implicit-def: $vgpr32_vgpr33
	s_and_saveexec_b64 s[30:31], s[0:1]
	s_cbranch_execnz .LBB528_58
.LBB528_35:
	s_or_b64 exec, exec, s[30:31]
                                        ; implicit-def: $vgpr34_vgpr35
	s_and_saveexec_b64 s[0:1], s[2:3]
	s_cbranch_execnz .LBB528_59
.LBB528_36:
	s_or_b64 exec, exec, s[0:1]
                                        ; implicit-def: $vgpr36_vgpr37
	s_and_saveexec_b64 s[0:1], s[4:5]
	s_cbranch_execnz .LBB528_60
.LBB528_37:
	s_or_b64 exec, exec, s[0:1]
                                        ; implicit-def: $vgpr38_vgpr39
	s_and_saveexec_b64 s[0:1], s[28:29]
	s_cbranch_execnz .LBB528_61
.LBB528_38:
	s_or_b64 exec, exec, s[0:1]
                                        ; implicit-def: $vgpr40_vgpr41
	s_and_saveexec_b64 s[0:1], s[8:9]
	s_cbranch_execnz .LBB528_62
.LBB528_39:
	s_or_b64 exec, exec, s[0:1]
                                        ; implicit-def: $vgpr42_vgpr43
	s_and_saveexec_b64 s[0:1], s[10:11]
	s_cbranch_execnz .LBB528_63
.LBB528_40:
	s_or_b64 exec, exec, s[0:1]
                                        ; implicit-def: $vgpr44_vgpr45
	s_and_saveexec_b64 s[0:1], s[12:13]
	s_cbranch_execnz .LBB528_64
.LBB528_41:
	s_or_b64 exec, exec, s[0:1]
                                        ; implicit-def: $vgpr46_vgpr47
	s_and_saveexec_b64 s[0:1], s[14:15]
	s_cbranch_execnz .LBB528_65
.LBB528_42:
	s_or_b64 exec, exec, s[0:1]
                                        ; implicit-def: $vgpr48_vgpr49
	s_and_saveexec_b64 s[0:1], s[16:17]
	s_cbranch_execnz .LBB528_66
.LBB528_43:
	s_or_b64 exec, exec, s[0:1]
                                        ; implicit-def: $vgpr50_vgpr51
	s_and_saveexec_b64 s[0:1], s[18:19]
	s_cbranch_execnz .LBB528_67
.LBB528_44:
	s_or_b64 exec, exec, s[0:1]
                                        ; implicit-def: $vgpr52_vgpr53
	s_and_saveexec_b64 s[0:1], s[20:21]
	s_cbranch_execnz .LBB528_68
.LBB528_45:
	s_or_b64 exec, exec, s[0:1]
                                        ; implicit-def: $vgpr54_vgpr55
	s_and_saveexec_b64 s[0:1], s[22:23]
	s_cbranch_execnz .LBB528_69
.LBB528_46:
	s_or_b64 exec, exec, s[0:1]
                                        ; implicit-def: $vgpr56_vgpr57
	s_and_saveexec_b64 s[0:1], s[24:25]
	s_cbranch_execnz .LBB528_70
.LBB528_47:
	s_or_b64 exec, exec, s[0:1]
                                        ; implicit-def: $vgpr60_vgpr61
	s_and_saveexec_b64 s[0:1], s[26:27]
	s_cbranch_execz .LBB528_49
.LBB528_48:
	v_lshlrev_b32_e32 v60, 3, v62
	v_mov_b32_e32 v61, s64
	v_add_co_u32_e32 v60, vcc, s57, v60
	v_addc_co_u32_e32 v61, vcc, 0, v61, vcc
	flat_load_dwordx2 v[60:61], v[60:61]
.LBB528_49:
	s_or_b64 exec, exec, s[0:1]
	v_mul_u32_u24_e32 v62, 15, v0
	s_waitcnt vmcnt(0) lgkmcnt(0)
	ds_write2st64_b64 v63, v[30:31], v[32:33] offset1:4
	ds_write2st64_b64 v63, v[34:35], v[36:37] offset0:8 offset1:12
	ds_write2st64_b64 v63, v[38:39], v[40:41] offset0:16 offset1:20
	;; [unrolled: 1-line block ×6, first 2 shown]
	ds_write_b64 v63, v[60:61] offset:28672
	s_waitcnt lgkmcnt(0)
	s_barrier
.LBB528_50:
	v_lshlrev_b32_e32 v60, 3, v62
	s_waitcnt lgkmcnt(0)
	ds_read2_b64 v[50:53], v1 offset1:2
	ds_read2_b64 v[42:45], v1 offset0:4 offset1:6
	ds_read2_b64 v[54:57], v60 offset0:1 offset1:3
	;; [unrolled: 1-line block ×6, first 2 shown]
	ds_read_b64 v[60:61], v60 offset:104
	s_cmp_eq_u64 s[52:53], 0
	s_cselect_b64 s[44:45], -1, 0
	s_cmp_lg_u64 s[52:53], 0
	s_mov_b64 s[0:1], 0
	s_cselect_b64 s[30:31], -1, 0
	s_and_b64 vcc, exec, s[54:55]
	s_waitcnt lgkmcnt(0)
	s_barrier
	s_cbranch_vccz .LBB528_56
; %bb.51:
	s_and_b64 vcc, exec, s[30:31]
	s_cbranch_vccz .LBB528_71
; %bb.52:
	v_mov_b32_e32 v1, s56
	v_add_co_u32_e64 v62, vcc, -8, s7
	v_addc_co_u32_e32 v63, vcc, -1, v1, vcc
	flat_load_dwordx2 v[62:63], v[62:63]
	s_mov_b32 s57, 0x66666667
	s_waitcnt vmcnt(0) lgkmcnt(0)
	v_mul_hi_i32 v63, v4, s57
	v_lshrrev_b32_e32 v64, 31, v63
	v_ashrrev_i32_e32 v63, 2, v63
	v_add_u32_e32 v63, v63, v64
	v_mul_hi_i32 v64, v58, s57
	v_lshrrev_b32_e32 v65, 31, v64
	v_ashrrev_i32_e32 v64, 2, v64
	v_add_u32_e32 v64, v64, v65
	v_cmp_ne_u32_e32 vcc, v63, v64
	v_mul_hi_i32 v64, v2, s57
	v_lshrrev_b32_e32 v65, 31, v64
	v_ashrrev_i32_e32 v64, 2, v64
	v_add_u32_e32 v64, v64, v65
	v_cmp_ne_u32_e64 s[0:1], v64, v63
	v_mul_hi_i32 v63, v8, s57
	v_lshrrev_b32_e32 v65, 31, v63
	v_ashrrev_i32_e32 v63, 2, v63
	v_add_u32_e32 v63, v63, v65
	v_cmp_ne_u32_e64 s[2:3], v63, v64
	v_mul_hi_i32 v64, v6, s57
	v_lshrrev_b32_e32 v65, 31, v64
	v_ashrrev_i32_e32 v64, 2, v64
	v_add_u32_e32 v64, v64, v65
	v_cmp_ne_u32_e64 s[4:5], v64, v63
	v_mul_hi_i32 v63, v12, s57
	v_lshrrev_b32_e32 v65, 31, v63
	v_ashrrev_i32_e32 v63, 2, v63
	v_add_u32_e32 v63, v63, v65
	v_cmp_ne_u32_e64 s[26:27], v63, v64
	v_mul_hi_i32 v64, v10, s57
	v_lshrrev_b32_e32 v65, 31, v64
	v_ashrrev_i32_e32 v64, 2, v64
	v_add_u32_e32 v64, v64, v65
	v_cmp_ne_u32_e64 s[8:9], v64, v63
	v_mul_hi_i32 v63, v16, s57
	v_lshrrev_b32_e32 v65, 31, v63
	v_ashrrev_i32_e32 v63, 2, v63
	v_add_u32_e32 v63, v63, v65
	v_cmp_ne_u32_e64 s[10:11], v63, v64
	v_mul_hi_i32 v64, v14, s57
	v_lshrrev_b32_e32 v65, 31, v64
	v_ashrrev_i32_e32 v64, 2, v64
	v_add_u32_e32 v64, v64, v65
	v_cmp_ne_u32_e64 s[12:13], v64, v63
	v_mul_hi_i32 v63, v20, s57
	v_lshrrev_b32_e32 v65, 31, v63
	v_ashrrev_i32_e32 v63, 2, v63
	v_add_u32_e32 v63, v63, v65
	v_cmp_ne_u32_e64 s[14:15], v63, v64
	v_mul_hi_i32 v64, v18, s57
	v_lshrrev_b32_e32 v65, 31, v64
	v_ashrrev_i32_e32 v64, 2, v64
	v_add_u32_e32 v64, v64, v65
	v_cmp_ne_u32_e64 s[16:17], v64, v63
	v_mul_hi_i32 v63, v24, s57
	v_lshrrev_b32_e32 v65, 31, v63
	v_ashrrev_i32_e32 v63, 2, v63
	v_add_u32_e32 v63, v63, v65
	v_cmp_ne_u32_e64 s[18:19], v63, v64
	v_mul_hi_i32 v64, v22, s57
	v_lshrrev_b32_e32 v65, 31, v64
	v_ashrrev_i32_e32 v64, 2, v64
	v_add_u32_e32 v64, v64, v65
	v_cmp_ne_u32_e64 s[20:21], v64, v63
	v_mul_hi_i32 v63, v28, s57
	v_lshrrev_b32_e32 v65, 31, v63
	v_ashrrev_i32_e32 v63, 2, v63
	v_add_u32_e32 v63, v63, v65
	v_cmp_ne_u32_e64 s[22:23], v63, v64
	v_mul_hi_i32 v64, v26, s57
	v_lshrrev_b32_e32 v65, 31, v64
	v_ashrrev_i32_e32 v64, 2, v64
	v_add_u32_e32 v74, v64, v65
	v_lshlrev_b32_e32 v1, 3, v0
	v_cmp_ne_u32_e64 s[24:25], v74, v63
	v_cmp_ne_u32_e64 s[28:29], 0, v0
	ds_write_b64 v1, v[58:59]
	s_waitcnt lgkmcnt(0)
	s_barrier
	s_and_saveexec_b64 s[54:55], s[28:29]
	s_cbranch_execz .LBB528_54
; %bb.53:
	v_add_u32_e32 v1, -8, v1
	ds_read_b64 v[62:63], v1
.LBB528_54:
	s_or_b64 exec, exec, s[54:55]
	s_waitcnt lgkmcnt(0)
	v_mul_hi_i32 v62, v62, s57
	v_lshrrev_b32_e32 v76, 31, v62
	v_ashrrev_i32_e32 v62, 2, v62
	v_add_u32_e32 v62, v62, v76
	v_cndmask_b32_e64 v1, 0, 1, vcc
	v_cndmask_b32_e64 v63, 0, 1, s[0:1]
	v_cndmask_b32_e64 v110, 0, 1, s[2:3]
	;; [unrolled: 1-line block ×13, first 2 shown]
	v_cmp_ne_u32_e64 s[4:5], v62, v74
	s_mov_b64 s[0:1], -1
.LBB528_55:
                                        ; implicit-def: $sgpr8
	s_branch .LBB528_110
.LBB528_56:
                                        ; implicit-def: $sgpr4_sgpr5
                                        ; implicit-def: $vgpr1
                                        ; implicit-def: $vgpr63
                                        ; implicit-def: $vgpr110
                                        ; implicit-def: $vgpr65
                                        ; implicit-def: $vgpr64
                                        ; implicit-def: $vgpr67
                                        ; implicit-def: $vgpr66
                                        ; implicit-def: $vgpr69
                                        ; implicit-def: $vgpr68
                                        ; implicit-def: $vgpr71
                                        ; implicit-def: $vgpr70
                                        ; implicit-def: $vgpr73
                                        ; implicit-def: $vgpr72
                                        ; implicit-def: $vgpr75
                                        ; implicit-def: $sgpr8
	s_cbranch_execnz .LBB528_75
	s_branch .LBB528_110
.LBB528_57:
	v_mov_b32_e32 v31, s64
	v_add_co_u32_e32 v30, vcc, s57, v63
	v_addc_co_u32_e32 v31, vcc, 0, v31, vcc
	flat_load_dwordx2 v[30:31], v[30:31]
	s_or_b64 exec, exec, s[30:31]
                                        ; implicit-def: $vgpr32_vgpr33
	s_and_saveexec_b64 s[30:31], s[0:1]
	s_cbranch_execz .LBB528_35
.LBB528_58:
	v_mov_b32_e32 v33, s64
	v_add_co_u32_e32 v32, vcc, s57, v63
	v_addc_co_u32_e32 v33, vcc, 0, v33, vcc
	flat_load_dwordx2 v[32:33], v[32:33] offset:2048
	s_or_b64 exec, exec, s[30:31]
                                        ; implicit-def: $vgpr34_vgpr35
	s_and_saveexec_b64 s[0:1], s[2:3]
	s_cbranch_execz .LBB528_36
.LBB528_59:
	v_lshlrev_b32_e32 v34, 3, v36
	v_mov_b32_e32 v35, s64
	v_add_co_u32_e32 v34, vcc, s57, v34
	v_addc_co_u32_e32 v35, vcc, 0, v35, vcc
	flat_load_dwordx2 v[34:35], v[34:35]
	s_or_b64 exec, exec, s[0:1]
                                        ; implicit-def: $vgpr36_vgpr37
	s_and_saveexec_b64 s[0:1], s[4:5]
	s_cbranch_execz .LBB528_37
.LBB528_60:
	v_lshlrev_b32_e32 v36, 3, v38
	v_mov_b32_e32 v37, s64
	v_add_co_u32_e32 v36, vcc, s57, v36
	v_addc_co_u32_e32 v37, vcc, 0, v37, vcc
	flat_load_dwordx2 v[36:37], v[36:37]
	s_or_b64 exec, exec, s[0:1]
                                        ; implicit-def: $vgpr38_vgpr39
	s_and_saveexec_b64 s[0:1], s[28:29]
	s_cbranch_execz .LBB528_38
.LBB528_61:
	v_lshlrev_b32_e32 v38, 3, v40
	v_mov_b32_e32 v39, s64
	v_add_co_u32_e32 v38, vcc, s57, v38
	v_addc_co_u32_e32 v39, vcc, 0, v39, vcc
	flat_load_dwordx2 v[38:39], v[38:39]
	s_or_b64 exec, exec, s[0:1]
                                        ; implicit-def: $vgpr40_vgpr41
	s_and_saveexec_b64 s[0:1], s[8:9]
	s_cbranch_execz .LBB528_39
.LBB528_62:
	v_lshlrev_b32_e32 v40, 3, v42
	v_mov_b32_e32 v41, s64
	v_add_co_u32_e32 v40, vcc, s57, v40
	v_addc_co_u32_e32 v41, vcc, 0, v41, vcc
	flat_load_dwordx2 v[40:41], v[40:41]
	s_or_b64 exec, exec, s[0:1]
                                        ; implicit-def: $vgpr42_vgpr43
	s_and_saveexec_b64 s[0:1], s[10:11]
	s_cbranch_execz .LBB528_40
.LBB528_63:
	v_lshlrev_b32_e32 v42, 3, v44
	v_mov_b32_e32 v43, s64
	v_add_co_u32_e32 v42, vcc, s57, v42
	v_addc_co_u32_e32 v43, vcc, 0, v43, vcc
	flat_load_dwordx2 v[42:43], v[42:43]
	s_or_b64 exec, exec, s[0:1]
                                        ; implicit-def: $vgpr44_vgpr45
	s_and_saveexec_b64 s[0:1], s[12:13]
	s_cbranch_execz .LBB528_41
.LBB528_64:
	v_lshlrev_b32_e32 v44, 3, v46
	v_mov_b32_e32 v45, s64
	v_add_co_u32_e32 v44, vcc, s57, v44
	v_addc_co_u32_e32 v45, vcc, 0, v45, vcc
	flat_load_dwordx2 v[44:45], v[44:45]
	s_or_b64 exec, exec, s[0:1]
                                        ; implicit-def: $vgpr46_vgpr47
	s_and_saveexec_b64 s[0:1], s[14:15]
	s_cbranch_execz .LBB528_42
.LBB528_65:
	v_lshlrev_b32_e32 v46, 3, v48
	v_mov_b32_e32 v47, s64
	v_add_co_u32_e32 v46, vcc, s57, v46
	v_addc_co_u32_e32 v47, vcc, 0, v47, vcc
	flat_load_dwordx2 v[46:47], v[46:47]
	s_or_b64 exec, exec, s[0:1]
                                        ; implicit-def: $vgpr48_vgpr49
	s_and_saveexec_b64 s[0:1], s[16:17]
	s_cbranch_execz .LBB528_43
.LBB528_66:
	v_lshlrev_b32_e32 v48, 3, v50
	v_mov_b32_e32 v49, s64
	v_add_co_u32_e32 v48, vcc, s57, v48
	v_addc_co_u32_e32 v49, vcc, 0, v49, vcc
	flat_load_dwordx2 v[48:49], v[48:49]
	s_or_b64 exec, exec, s[0:1]
                                        ; implicit-def: $vgpr50_vgpr51
	s_and_saveexec_b64 s[0:1], s[18:19]
	s_cbranch_execz .LBB528_44
.LBB528_67:
	v_lshlrev_b32_e32 v50, 3, v52
	v_mov_b32_e32 v51, s64
	v_add_co_u32_e32 v50, vcc, s57, v50
	v_addc_co_u32_e32 v51, vcc, 0, v51, vcc
	flat_load_dwordx2 v[50:51], v[50:51]
	s_or_b64 exec, exec, s[0:1]
                                        ; implicit-def: $vgpr52_vgpr53
	s_and_saveexec_b64 s[0:1], s[20:21]
	s_cbranch_execz .LBB528_45
.LBB528_68:
	v_lshlrev_b32_e32 v52, 3, v54
	v_mov_b32_e32 v53, s64
	v_add_co_u32_e32 v52, vcc, s57, v52
	v_addc_co_u32_e32 v53, vcc, 0, v53, vcc
	flat_load_dwordx2 v[52:53], v[52:53]
	s_or_b64 exec, exec, s[0:1]
                                        ; implicit-def: $vgpr54_vgpr55
	s_and_saveexec_b64 s[0:1], s[22:23]
	s_cbranch_execz .LBB528_46
.LBB528_69:
	v_lshlrev_b32_e32 v54, 3, v56
	v_mov_b32_e32 v55, s64
	v_add_co_u32_e32 v54, vcc, s57, v54
	v_addc_co_u32_e32 v55, vcc, 0, v55, vcc
	flat_load_dwordx2 v[54:55], v[54:55]
	s_or_b64 exec, exec, s[0:1]
                                        ; implicit-def: $vgpr56_vgpr57
	s_and_saveexec_b64 s[0:1], s[24:25]
	s_cbranch_execz .LBB528_47
.LBB528_70:
	v_lshlrev_b32_e32 v56, 3, v60
	v_mov_b32_e32 v57, s64
	v_add_co_u32_e32 v56, vcc, s57, v56
	v_addc_co_u32_e32 v57, vcc, 0, v57, vcc
	flat_load_dwordx2 v[56:57], v[56:57]
	s_or_b64 exec, exec, s[0:1]
                                        ; implicit-def: $vgpr60_vgpr61
	s_and_saveexec_b64 s[0:1], s[26:27]
	s_cbranch_execnz .LBB528_48
	s_branch .LBB528_49
.LBB528_71:
                                        ; implicit-def: $sgpr4_sgpr5
                                        ; implicit-def: $vgpr1
                                        ; implicit-def: $vgpr63
                                        ; implicit-def: $vgpr110
                                        ; implicit-def: $vgpr65
                                        ; implicit-def: $vgpr64
                                        ; implicit-def: $vgpr67
                                        ; implicit-def: $vgpr66
                                        ; implicit-def: $vgpr69
                                        ; implicit-def: $vgpr68
                                        ; implicit-def: $vgpr71
                                        ; implicit-def: $vgpr70
                                        ; implicit-def: $vgpr73
                                        ; implicit-def: $vgpr72
                                        ; implicit-def: $vgpr75
	s_cbranch_execz .LBB528_55
; %bb.72:
	s_mov_b32 s8, 0x66666667
	v_mul_hi_i32 v1, v4, s8
	v_lshrrev_b32_e32 v63, 31, v1
	v_ashrrev_i32_e32 v1, 2, v1
	v_add_u32_e32 v63, v1, v63
	v_mul_hi_i32 v1, v58, s8
	v_lshrrev_b32_e32 v64, 31, v1
	v_ashrrev_i32_e32 v1, 2, v1
	v_add_u32_e32 v1, v1, v64
	;; [unrolled: 4-line block ×3, first 2 shown]
	v_mul_hi_i32 v65, v8, s8
	v_cmp_ne_u32_e32 vcc, v63, v1
	v_lshrrev_b32_e32 v66, 31, v65
	v_ashrrev_i32_e32 v65, 2, v65
	v_cndmask_b32_e64 v1, 0, 1, vcc
	v_cmp_ne_u32_e32 vcc, v64, v63
	v_add_u32_e32 v65, v65, v66
	v_cndmask_b32_e64 v63, 0, 1, vcc
	v_cmp_ne_u32_e32 vcc, v65, v64
	v_mul_hi_i32 v64, v6, s8
	v_lshrrev_b32_e32 v66, 31, v64
	v_ashrrev_i32_e32 v64, 2, v64
	v_add_u32_e32 v64, v64, v66
	v_mul_hi_i32 v66, v12, s8
	v_lshrrev_b32_e32 v67, 31, v66
	v_ashrrev_i32_e32 v66, 2, v66
	v_add_u32_e32 v66, v66, v67
	v_mul_hi_i32 v67, v10, s8
	v_cndmask_b32_e64 v110, 0, 1, vcc
	v_cmp_ne_u32_e32 vcc, v64, v65
	v_lshrrev_b32_e32 v68, 31, v67
	v_ashrrev_i32_e32 v67, 2, v67
	v_cndmask_b32_e64 v65, 0, 1, vcc
	v_cmp_ne_u32_e32 vcc, v66, v64
	v_add_u32_e32 v68, v67, v68
	v_cndmask_b32_e64 v64, 0, 1, vcc
	v_cmp_ne_u32_e32 vcc, v68, v66
	v_mul_hi_i32 v66, v16, s8
	v_lshrrev_b32_e32 v69, 31, v66
	v_ashrrev_i32_e32 v66, 2, v66
	v_add_u32_e32 v69, v66, v69
	v_cndmask_b32_e64 v67, 0, 1, vcc
	v_cmp_ne_u32_e32 vcc, v69, v68
	v_mul_hi_i32 v68, v14, s8
	v_lshrrev_b32_e32 v70, 31, v68
	v_ashrrev_i32_e32 v68, 2, v68
	v_add_u32_e32 v68, v68, v70
	v_mul_hi_i32 v70, v20, s8
	v_lshrrev_b32_e32 v71, 31, v70
	v_ashrrev_i32_e32 v70, 2, v70
	v_add_u32_e32 v70, v70, v71
	v_mul_hi_i32 v71, v18, s8
	v_cndmask_b32_e64 v66, 0, 1, vcc
	v_cmp_ne_u32_e32 vcc, v68, v69
	v_lshrrev_b32_e32 v72, 31, v71
	v_ashrrev_i32_e32 v71, 2, v71
	v_cndmask_b32_e64 v69, 0, 1, vcc
	v_cmp_ne_u32_e32 vcc, v70, v68
	v_add_u32_e32 v72, v71, v72
	v_cndmask_b32_e64 v68, 0, 1, vcc
	v_cmp_ne_u32_e32 vcc, v72, v70
	v_mul_hi_i32 v70, v24, s8
	v_lshrrev_b32_e32 v73, 31, v70
	v_ashrrev_i32_e32 v70, 2, v70
	v_add_u32_e32 v73, v70, v73
	v_cndmask_b32_e64 v71, 0, 1, vcc
	v_cmp_ne_u32_e32 vcc, v73, v72
	v_mul_hi_i32 v72, v22, s8
	v_lshrrev_b32_e32 v74, 31, v72
	v_ashrrev_i32_e32 v72, 2, v72
	v_add_u32_e32 v72, v72, v74
	v_mul_hi_i32 v74, v28, s8
	v_lshrrev_b32_e32 v75, 31, v74
	v_ashrrev_i32_e32 v74, 2, v74
	v_add_u32_e32 v75, v74, v75
	v_mul_hi_i32 v74, v26, s8
	v_cndmask_b32_e64 v70, 0, 1, vcc
	v_cmp_ne_u32_e32 vcc, v72, v73
	v_lshrrev_b32_e32 v76, 31, v74
	v_ashrrev_i32_e32 v74, 2, v74
	v_cndmask_b32_e64 v73, 0, 1, vcc
	v_cmp_ne_u32_e32 vcc, v75, v72
	v_add_u32_e32 v74, v74, v76
	v_cndmask_b32_e64 v72, 0, 1, vcc
	v_cmp_ne_u32_e32 vcc, v74, v75
	v_lshlrev_b32_e32 v62, 3, v0
	v_cndmask_b32_e64 v75, 0, 1, vcc
	v_cmp_ne_u32_e32 vcc, 0, v0
	ds_write_b64 v62, v[58:59]
	s_waitcnt lgkmcnt(0)
	s_barrier
	s_waitcnt lgkmcnt(0)
                                        ; implicit-def: $sgpr4_sgpr5
	s_and_saveexec_b64 s[2:3], vcc
	s_xor_b64 s[2:3], exec, s[2:3]
	s_cbranch_execz .LBB528_74
; %bb.73:
	v_add_u32_e32 v62, -8, v62
	ds_read_b32 v62, v62
	s_or_b64 s[0:1], s[0:1], exec
	s_waitcnt lgkmcnt(0)
	v_mul_hi_i32 v62, v62, s8
	v_lshrrev_b32_e32 v76, 31, v62
	v_ashrrev_i32_e32 v62, 2, v62
	v_add_u32_e32 v62, v62, v76
	v_cmp_ne_u32_e32 vcc, v62, v74
	s_and_b64 s[4:5], vcc, exec
.LBB528_74:
	s_or_b64 exec, exec, s[2:3]
	s_mov_b32 s8, 1
	s_branch .LBB528_110
.LBB528_75:
	s_mul_hi_u32 s3, s52, 0xfffff100
	s_mul_i32 s2, s53, 0xfffff100
	s_sub_i32 s3, s3, s52
	s_add_i32 s3, s3, s2
	s_mul_i32 s2, s52, 0xfffff100
	s_add_u32 s2, s2, s48
	s_addc_u32 s3, s3, s49
	s_and_b64 vcc, exec, s[30:31]
	s_cbranch_vccz .LBB528_251
; %bb.76:
	v_mov_b32_e32 v1, s56
	v_add_co_u32_e64 v62, vcc, -8, s7
	v_addc_co_u32_e32 v63, vcc, -1, v1, vcc
	flat_load_dwordx2 v[76:77], v[62:63]
	v_mad_u32_u24 v62, v0, 15, 14
	v_mov_b32_e32 v63, 0
	s_waitcnt vmcnt(0) lgkmcnt(0)
	v_lshlrev_b32_e32 v77, 3, v0
	v_mul_u32_u24_e32 v78, 15, v0
	v_cmp_gt_u64_e32 vcc, s[2:3], v[62:63]
	v_mov_b32_e32 v1, 0
	ds_write_b64 v77, v[58:59]
	s_and_saveexec_b64 s[0:1], vcc
; %bb.77:
	s_mov_b32 s4, 0x66666667
	v_mul_hi_i32 v1, v4, s4
	v_lshrrev_b32_e32 v62, 31, v1
	v_ashrrev_i32_e32 v1, 2, v1
	v_add_u32_e32 v1, v1, v62
	v_mul_hi_i32 v62, v58, s4
	v_lshrrev_b32_e32 v64, 31, v62
	v_ashrrev_i32_e32 v62, 2, v62
	v_add_u32_e32 v62, v62, v64
	v_cmp_ne_u32_e32 vcc, v1, v62
	v_cndmask_b32_e64 v1, 0, 1, vcc
; %bb.78:
	s_or_b64 exec, exec, s[0:1]
	v_add_u32_e32 v62, 13, v78
	v_cmp_gt_u64_e32 vcc, s[2:3], v[62:63]
	s_and_saveexec_b64 s[0:1], vcc
; %bb.79:
	s_mov_b32 s4, 0x66666667
	v_mul_hi_i32 v62, v2, s4
	v_lshrrev_b32_e32 v63, 31, v62
	v_ashrrev_i32_e32 v62, 2, v62
	v_add_u32_e32 v62, v62, v63
	v_mul_hi_i32 v63, v4, s4
	v_lshrrev_b32_e32 v64, 31, v63
	v_ashrrev_i32_e32 v63, 2, v63
	v_add_u32_e32 v63, v63, v64
	v_cmp_ne_u32_e32 vcc, v62, v63
	v_cndmask_b32_e64 v63, 0, 1, vcc
; %bb.80:
	s_or_b64 exec, exec, s[0:1]
	v_add_u32_e32 v64, 12, v78
	v_mov_b32_e32 v65, 0
	v_cmp_gt_u64_e32 vcc, s[2:3], v[64:65]
	v_mov_b32_e32 v110, 0
	s_and_saveexec_b64 s[0:1], vcc
; %bb.81:
	s_mov_b32 s4, 0x66666667
	v_mul_hi_i32 v62, v8, s4
	v_lshrrev_b32_e32 v64, 31, v62
	v_ashrrev_i32_e32 v62, 2, v62
	v_add_u32_e32 v62, v62, v64
	v_mul_hi_i32 v64, v2, s4
	v_lshrrev_b32_e32 v66, 31, v64
	v_ashrrev_i32_e32 v64, 2, v64
	v_add_u32_e32 v64, v64, v66
	v_cmp_ne_u32_e32 vcc, v62, v64
	v_cndmask_b32_e64 v110, 0, 1, vcc
; %bb.82:
	s_or_b64 exec, exec, s[0:1]
	v_add_u32_e32 v64, 11, v78
	v_cmp_gt_u64_e32 vcc, s[2:3], v[64:65]
	s_and_saveexec_b64 s[0:1], vcc
; %bb.83:
	s_mov_b32 s4, 0x66666667
	v_mul_hi_i32 v62, v6, s4
	v_lshrrev_b32_e32 v64, 31, v62
	v_ashrrev_i32_e32 v62, 2, v62
	v_add_u32_e32 v62, v62, v64
	v_mul_hi_i32 v64, v8, s4
	v_lshrrev_b32_e32 v65, 31, v64
	v_ashrrev_i32_e32 v64, 2, v64
	v_add_u32_e32 v64, v64, v65
	v_cmp_ne_u32_e32 vcc, v62, v64
	v_cndmask_b32_e64 v65, 0, 1, vcc
; %bb.84:
	s_or_b64 exec, exec, s[0:1]
	v_add_u32_e32 v66, 10, v78
	v_mov_b32_e32 v67, 0
	v_cmp_gt_u64_e32 vcc, s[2:3], v[66:67]
	v_mov_b32_e32 v64, 0
	;; [unrolled: 36-line block ×6, first 2 shown]
	s_and_saveexec_b64 s[0:1], vcc
; %bb.101:
	s_mov_b32 s4, 0x66666667
	v_mul_hi_i32 v62, v28, s4
	v_lshrrev_b32_e32 v72, 31, v62
	v_ashrrev_i32_e32 v62, 2, v62
	v_add_u32_e32 v62, v62, v72
	v_mul_hi_i32 v72, v22, s4
	v_lshrrev_b32_e32 v74, 31, v72
	v_ashrrev_i32_e32 v72, 2, v72
	v_add_u32_e32 v72, v72, v74
	v_cmp_ne_u32_e32 vcc, v62, v72
	v_cndmask_b32_e64 v72, 0, 1, vcc
; %bb.102:
	s_or_b64 exec, exec, s[0:1]
	v_add_u32_e32 v74, 1, v78
	v_cmp_gt_u64_e32 vcc, s[2:3], v[74:75]
	s_and_saveexec_b64 s[0:1], vcc
; %bb.103:
	s_mov_b32 s4, 0x66666667
	v_mul_hi_i32 v62, v26, s4
	v_lshrrev_b32_e32 v74, 31, v62
	v_ashrrev_i32_e32 v62, 2, v62
	v_add_u32_e32 v62, v62, v74
	v_mul_hi_i32 v74, v28, s4
	v_lshrrev_b32_e32 v75, 31, v74
	v_ashrrev_i32_e32 v74, 2, v74
	v_add_u32_e32 v74, v74, v75
	v_cmp_ne_u32_e32 vcc, v62, v74
	v_cndmask_b32_e64 v75, 0, 1, vcc
; %bb.104:
	s_or_b64 exec, exec, s[0:1]
	v_cmp_ne_u32_e32 vcc, 0, v0
	s_waitcnt lgkmcnt(0)
	s_barrier
	s_and_saveexec_b64 s[0:1], vcc
	s_cbranch_execz .LBB528_106
; %bb.105:
	v_add_u32_e32 v62, -8, v77
	ds_read_b64 v[76:77], v62
.LBB528_106:
	s_or_b64 exec, exec, s[0:1]
	v_mov_b32_e32 v79, 0
	v_cmp_gt_u64_e32 vcc, s[2:3], v[78:79]
	s_mov_b64 s[8:9], 0
	s_mov_b64 s[4:5], 0
	s_and_saveexec_b64 s[0:1], vcc
	s_cbranch_execz .LBB528_108
; %bb.107:
	s_mov_b32 s4, 0x66666667
	s_waitcnt lgkmcnt(0)
	v_mul_hi_i32 v62, v76, s4
	v_lshrrev_b32_e32 v74, 31, v62
	v_ashrrev_i32_e32 v62, 2, v62
	v_add_u32_e32 v62, v62, v74
	v_mul_hi_i32 v74, v26, s4
	v_lshrrev_b32_e32 v76, 31, v74
	v_ashrrev_i32_e32 v74, 2, v74
	v_add_u32_e32 v74, v74, v76
	v_cmp_ne_u32_e32 vcc, v62, v74
	s_and_b64 s[4:5], vcc, exec
.LBB528_108:
	s_or_b64 exec, exec, s[0:1]
	s_mov_b64 s[0:1], -1
	s_and_b64 vcc, exec, s[8:9]
	s_cbranch_vccnz .LBB528_252
.LBB528_109:
                                        ; implicit-def: $sgpr8
.LBB528_110:
	v_mov_b32_e32 v74, s8
	s_and_saveexec_b64 s[2:3], s[0:1]
.LBB528_111:
	v_cndmask_b32_e64 v74, 0, 1, s[4:5]
.LBB528_112:
	s_or_b64 exec, exec, s[2:3]
	s_cmp_eq_u64 s[42:43], 0
	v_add3_u32 v62, v75, v74, v72
	s_cselect_b64 s[30:31], -1, 0
	s_cmp_lg_u32 s6, 0
	v_cmp_eq_u32_e64 s[24:25], 0, v75
	v_cmp_eq_u32_e64 s[22:23], 0, v72
	v_cmp_eq_u32_e64 s[20:21], 0, v73
	v_add3_u32 v113, v62, v73, v70
	v_cmp_eq_u32_e64 s[18:19], 0, v70
	v_cmp_eq_u32_e64 s[16:17], 0, v71
	;; [unrolled: 1-line block ×10, first 2 shown]
	v_cmp_eq_u32_e32 vcc, 0, v1
	v_mbcnt_lo_u32_b32 v112, -1, 0
	s_cbranch_scc0 .LBB528_183
; %bb.113:
	s_waitcnt lgkmcnt(0)
	v_cndmask_b32_e64 v76, 0, v50, s[24:25]
	v_cndmask_b32_e64 v62, 0, v51, s[24:25]
	v_add_co_u32_e64 v76, s[26:27], v76, v54
	v_addc_co_u32_e64 v62, s[26:27], v62, v55, s[26:27]
	v_cndmask_b32_e64 v76, 0, v76, s[22:23]
	v_cndmask_b32_e64 v62, 0, v62, s[22:23]
	v_add_co_u32_e64 v76, s[26:27], v76, v52
	v_addc_co_u32_e64 v62, s[26:27], v62, v53, s[26:27]
	;; [unrolled: 4-line block ×11, first 2 shown]
	v_cndmask_b32_e64 v76, 0, v76, s[2:3]
	v_cndmask_b32_e64 v62, 0, v62, s[2:3]
	v_add_co_u32_e64 v76, s[26:27], v76, v30
	v_add3_u32 v77, v113, v71, v68
	v_addc_co_u32_e64 v62, s[26:27], v62, v31, s[26:27]
	v_cndmask_b32_e64 v76, 0, v76, s[0:1]
	v_add3_u32 v77, v77, v69, v66
	v_cndmask_b32_e64 v62, 0, v62, s[0:1]
	v_add_co_u32_e64 v76, s[26:27], v76, v60
	v_add3_u32 v77, v77, v67, v64
	v_addc_co_u32_e64 v62, s[26:27], v62, v61, s[26:27]
	v_cndmask_b32_e32 v76, 0, v76, vcc
	v_add3_u32 v77, v77, v65, v110
	v_cndmask_b32_e32 v62, 0, v62, vcc
	v_add_co_u32_e32 v78, vcc, v76, v32
	v_mbcnt_hi_u32_b32 v81, -1, v112
	v_add3_u32 v80, v77, v63, v1
	v_addc_co_u32_e32 v79, vcc, v62, v33, vcc
	v_and_b32_e32 v62, 15, v81
	v_mov_b32_dpp v77, v80 row_shr:1 row_mask:0xf bank_mask:0xf
	v_mov_b32_dpp v76, v78 row_shr:1 row_mask:0xf bank_mask:0xf
	;; [unrolled: 1-line block ×3, first 2 shown]
	v_cmp_ne_u32_e32 vcc, 0, v62
	s_and_saveexec_b64 s[26:27], vcc
; %bb.114:
	v_cmp_eq_u32_e32 vcc, 0, v80
	v_cndmask_b32_e32 v76, 0, v76, vcc
	v_add_u32_e32 v77, v77, v80
	v_cndmask_b32_e32 v80, 0, v82, vcc
	v_add_co_u32_e32 v78, vcc, v76, v78
	v_addc_co_u32_e32 v79, vcc, v80, v79, vcc
	v_mov_b32_e32 v80, v77
; %bb.115:
	s_or_b64 exec, exec, s[26:27]
	s_nop 0
	v_mov_b32_dpp v77, v80 row_shr:2 row_mask:0xf bank_mask:0xf
	v_mov_b32_dpp v76, v78 row_shr:2 row_mask:0xf bank_mask:0xf
	v_mov_b32_dpp v82, v79 row_shr:2 row_mask:0xf bank_mask:0xf
	v_cmp_lt_u32_e32 vcc, 1, v62
	s_and_saveexec_b64 s[26:27], vcc
; %bb.116:
	v_cmp_eq_u32_e32 vcc, 0, v80
	v_cndmask_b32_e32 v76, 0, v76, vcc
	v_add_u32_e32 v77, v77, v80
	v_cndmask_b32_e32 v80, 0, v82, vcc
	v_add_co_u32_e32 v78, vcc, v76, v78
	v_addc_co_u32_e32 v79, vcc, v80, v79, vcc
	v_mov_b32_e32 v80, v77
; %bb.117:
	s_or_b64 exec, exec, s[26:27]
	s_nop 0
	v_mov_b32_dpp v77, v80 row_shr:4 row_mask:0xf bank_mask:0xf
	v_mov_b32_dpp v76, v78 row_shr:4 row_mask:0xf bank_mask:0xf
	v_mov_b32_dpp v82, v79 row_shr:4 row_mask:0xf bank_mask:0xf
	v_cmp_lt_u32_e32 vcc, 3, v62
	;; [unrolled: 16-line block ×3, first 2 shown]
	s_and_saveexec_b64 s[26:27], vcc
; %bb.120:
	v_cmp_eq_u32_e32 vcc, 0, v80
	v_cndmask_b32_e32 v76, 0, v76, vcc
	v_add_u32_e32 v62, v77, v80
	v_cndmask_b32_e32 v77, 0, v82, vcc
	v_add_co_u32_e32 v78, vcc, v76, v78
	v_addc_co_u32_e32 v79, vcc, v77, v79, vcc
	v_mov_b32_e32 v80, v62
; %bb.121:
	s_or_b64 exec, exec, s[26:27]
	v_and_b32_e32 v82, 16, v81
	v_mov_b32_dpp v76, v80 row_bcast:15 row_mask:0xf bank_mask:0xf
	v_mov_b32_dpp v62, v78 row_bcast:15 row_mask:0xf bank_mask:0xf
	;; [unrolled: 1-line block ×3, first 2 shown]
	v_cmp_ne_u32_e32 vcc, 0, v82
	s_and_saveexec_b64 s[26:27], vcc
; %bb.122:
	v_cmp_eq_u32_e32 vcc, 0, v80
	v_cndmask_b32_e32 v62, 0, v62, vcc
	v_add_u32_e32 v76, v76, v80
	v_cndmask_b32_e32 v77, 0, v77, vcc
	v_add_co_u32_e32 v78, vcc, v62, v78
	v_addc_co_u32_e32 v79, vcc, v77, v79, vcc
	v_mov_b32_e32 v80, v76
; %bb.123:
	s_or_b64 exec, exec, s[26:27]
	s_nop 0
	v_mov_b32_dpp v76, v80 row_bcast:31 row_mask:0xf bank_mask:0xf
	v_mov_b32_dpp v62, v78 row_bcast:31 row_mask:0xf bank_mask:0xf
	;; [unrolled: 1-line block ×3, first 2 shown]
	v_cmp_lt_u32_e32 vcc, 31, v81
	s_and_saveexec_b64 s[26:27], vcc
; %bb.124:
	v_cmp_eq_u32_e32 vcc, 0, v80
	v_cndmask_b32_e32 v62, 0, v62, vcc
	v_add_u32_e32 v76, v76, v80
	v_cndmask_b32_e32 v77, 0, v77, vcc
	v_add_co_u32_e32 v78, vcc, v62, v78
	v_addc_co_u32_e32 v79, vcc, v77, v79, vcc
	v_mov_b32_e32 v80, v76
; %bb.125:
	s_or_b64 exec, exec, s[26:27]
	v_lshrrev_b32_e32 v62, 6, v0
	v_or_b32_e32 v76, 63, v0
	v_cmp_eq_u32_e32 vcc, v76, v0
	v_lshlrev_b32_e32 v82, 4, v62
	s_and_saveexec_b64 s[26:27], vcc
	s_cbranch_execz .LBB528_127
; %bb.126:
	ds_write_b32 v82, v80 offset:4128
	ds_write_b64 v82, v[78:79] offset:4136
.LBB528_127:
	s_or_b64 exec, exec, s[26:27]
	v_cmp_gt_u32_e32 vcc, 4, v0
	s_waitcnt lgkmcnt(0)
	s_barrier
	s_and_saveexec_b64 s[26:27], vcc
	s_cbranch_execz .LBB528_133
; %bb.128:
	v_lshlrev_b32_e32 v62, 4, v0
	ds_read_b32 v83, v62 offset:4128
	ds_read_b64 v[76:77], v62 offset:4136
	v_and_b32_e32 v84, 3, v81
	v_cmp_ne_u32_e32 vcc, 0, v84
	s_waitcnt lgkmcnt(1)
	v_mov_b32_dpp v86, v83 row_shr:1 row_mask:0xf bank_mask:0xf
	s_waitcnt lgkmcnt(0)
	v_mov_b32_dpp v85, v76 row_shr:1 row_mask:0xf bank_mask:0xf
	v_mov_b32_dpp v87, v77 row_shr:1 row_mask:0xf bank_mask:0xf
	s_and_saveexec_b64 s[42:43], vcc
; %bb.129:
	v_cmp_eq_u32_e32 vcc, 0, v83
	v_cndmask_b32_e32 v85, 0, v85, vcc
	v_add_u32_e32 v86, v86, v83
	v_cndmask_b32_e32 v83, 0, v87, vcc
	v_add_co_u32_e32 v76, vcc, v85, v76
	v_addc_co_u32_e32 v77, vcc, v83, v77, vcc
	v_mov_b32_e32 v83, v86
; %bb.130:
	s_or_b64 exec, exec, s[42:43]
	s_nop 0
	v_mov_b32_dpp v86, v83 row_shr:2 row_mask:0xf bank_mask:0xf
	v_mov_b32_dpp v85, v76 row_shr:2 row_mask:0xf bank_mask:0xf
	;; [unrolled: 1-line block ×3, first 2 shown]
	v_cmp_lt_u32_e32 vcc, 1, v84
	s_and_saveexec_b64 s[42:43], vcc
; %bb.131:
	v_cmp_eq_u32_e32 vcc, 0, v83
	v_cndmask_b32_e32 v85, 0, v85, vcc
	v_add_u32_e32 v84, v86, v83
	v_cndmask_b32_e32 v83, 0, v87, vcc
	v_add_co_u32_e32 v76, vcc, v85, v76
	v_addc_co_u32_e32 v77, vcc, v83, v77, vcc
	v_mov_b32_e32 v83, v84
; %bb.132:
	s_or_b64 exec, exec, s[42:43]
	ds_write_b32 v62, v83 offset:4128
	ds_write_b64 v62, v[76:77] offset:4136
.LBB528_133:
	s_or_b64 exec, exec, s[26:27]
	v_cmp_gt_u32_e32 vcc, 64, v0
	v_cmp_lt_u32_e64 s[26:27], 63, v0
	v_pk_mov_b32 v[76:77], 0, 0
	v_mov_b32_e32 v62, 0
	s_waitcnt lgkmcnt(0)
	s_barrier
	s_and_saveexec_b64 s[42:43], s[26:27]
	s_cbranch_execz .LBB528_135
; %bb.134:
	ds_read_b32 v62, v82 offset:4112
	ds_read_b64 v[76:77], v82 offset:4120
	v_cmp_eq_u32_e64 s[26:27], 0, v80
	s_waitcnt lgkmcnt(1)
	v_add_u32_e32 v82, v62, v80
	s_waitcnt lgkmcnt(0)
	v_cndmask_b32_e64 v83, 0, v76, s[26:27]
	v_cndmask_b32_e64 v80, 0, v77, s[26:27]
	v_add_co_u32_e64 v78, s[26:27], v83, v78
	v_addc_co_u32_e64 v79, s[26:27], v80, v79, s[26:27]
	v_mov_b32_e32 v80, v82
.LBB528_135:
	s_or_b64 exec, exec, s[42:43]
	v_add_u32_e32 v82, -1, v81
	v_and_b32_e32 v83, 64, v81
	v_cmp_lt_i32_e64 s[26:27], v82, v83
	v_cndmask_b32_e64 v82, v82, v81, s[26:27]
	v_lshlrev_b32_e32 v82, 2, v82
	ds_bpermute_b32 v88, v82, v80
	ds_bpermute_b32 v89, v82, v78
	;; [unrolled: 1-line block ×3, first 2 shown]
	v_cmp_eq_u32_e64 s[26:27], 0, v81
	s_and_saveexec_b64 s[42:43], vcc
	s_cbranch_execz .LBB528_182
; %bb.136:
	v_mov_b32_e32 v83, 0
	ds_read_b32 v91, v83 offset:4176
	ds_read_b64 v[78:79], v83 offset:4184
	s_and_saveexec_b64 s[48:49], s[26:27]
	s_cbranch_execz .LBB528_138
; %bb.137:
	s_add_i32 s52, s6, 64
	s_mov_b32 s53, 0
	s_lshl_b64 s[54:55], s[52:53], 4
	s_add_u32 s54, s36, s54
	s_addc_u32 s55, s37, s55
	v_mov_b32_e32 v80, s52
	v_mov_b32_e32 v82, 1
	s_waitcnt lgkmcnt(1)
	global_store_dword v83, v91, s[54:55]
	s_waitcnt lgkmcnt(0)
	global_store_dwordx2 v83, v[78:79], s[54:55] offset:8
	s_waitcnt vmcnt(0)
	buffer_wbinvl1_vol
	global_store_byte v80, v82, s[40:41]
.LBB528_138:
	s_or_b64 exec, exec, s[48:49]
	v_xad_u32 v80, v81, -1, s6
	v_add_u32_e32 v82, 64, v80
	global_load_ubyte v92, v82, s[40:41] glc
	s_waitcnt vmcnt(0)
	v_cmp_eq_u16_e32 vcc, 0, v92
	s_and_saveexec_b64 s[48:49], vcc
	s_cbranch_execz .LBB528_144
; %bb.139:
	v_mov_b32_e32 v85, s41
	v_add_co_u32_e32 v84, vcc, s40, v82
	v_addc_co_u32_e32 v85, vcc, 0, v85, vcc
	s_mov_b32 s7, 1
	s_mov_b64 s[52:53], 0
.LBB528_140:                            ; =>This Loop Header: Depth=1
                                        ;     Child Loop BB528_141 Depth 2
	s_max_u32 s54, s7, 1
.LBB528_141:                            ;   Parent Loop BB528_140 Depth=1
                                        ; =>  This Inner Loop Header: Depth=2
	s_add_i32 s54, s54, -1
	s_cmp_eq_u32 s54, 0
	s_sleep 1
	s_cbranch_scc0 .LBB528_141
; %bb.142:                              ;   in Loop: Header=BB528_140 Depth=1
	global_load_ubyte v92, v[84:85], off glc
	s_cmp_lt_u32 s7, 32
	s_cselect_b64 s[54:55], -1, 0
	s_cmp_lg_u64 s[54:55], 0
	s_addc_u32 s7, s7, 0
	s_waitcnt vmcnt(0)
	v_cmp_ne_u16_e32 vcc, 0, v92
	s_or_b64 s[52:53], vcc, s[52:53]
	s_andn2_b64 exec, exec, s[52:53]
	s_cbranch_execnz .LBB528_140
; %bb.143:
	s_or_b64 exec, exec, s[52:53]
.LBB528_144:
	s_or_b64 exec, exec, s[48:49]
	v_mov_b32_e32 v84, s39
	v_mov_b32_e32 v85, s37
	v_cmp_eq_u16_e32 vcc, 1, v92
	v_cndmask_b32_e32 v84, v84, v85, vcc
	v_mov_b32_e32 v85, s38
	v_mov_b32_e32 v86, s36
	v_cndmask_b32_e32 v85, v85, v86, vcc
	v_lshlrev_b64 v[82:83], 4, v[82:83]
	v_add_co_u32_e32 v82, vcc, v85, v82
	v_addc_co_u32_e32 v83, vcc, v84, v83, vcc
	s_waitcnt lgkmcnt(0)
	buffer_wbinvl1_vol
	global_load_dword v107, v[82:83], off
	global_load_dwordx2 v[86:87], v[82:83], off offset:8
	v_cmp_eq_u16_e32 vcc, 2, v92
	v_lshlrev_b64 v[82:83], v81, -1
	v_and_b32_e32 v93, 63, v81
	v_and_b32_e32 v84, vcc_hi, v83
	v_and_b32_e32 v97, vcc_lo, v82
	v_cmp_ne_u32_e32 vcc, 63, v93
	v_addc_co_u32_e32 v85, vcc, 0, v81, vcc
	v_lshlrev_b32_e32 v94, 2, v85
	v_or_b32_e32 v84, 0x80000000, v84
	v_ffbl_b32_e32 v84, v84
	v_add_u32_e32 v84, 32, v84
	v_ffbl_b32_e32 v97, v97
	v_min_u32_e32 v84, v97, v84
	v_cmp_lt_u32_e32 vcc, v93, v84
	s_waitcnt vmcnt(1)
	ds_bpermute_b32 v95, v94, v107
	s_waitcnt vmcnt(0)
	ds_bpermute_b32 v85, v94, v86
	ds_bpermute_b32 v96, v94, v87
	s_and_saveexec_b64 s[48:49], vcc
	s_cbranch_execz .LBB528_146
; %bb.145:
	v_cmp_eq_u32_e32 vcc, 0, v107
	s_waitcnt lgkmcnt(1)
	v_cndmask_b32_e32 v85, 0, v85, vcc
	v_add_u32_e32 v95, v95, v107
	s_waitcnt lgkmcnt(0)
	v_cndmask_b32_e32 v96, 0, v96, vcc
	v_add_co_u32_e32 v86, vcc, v85, v86
	v_addc_co_u32_e32 v87, vcc, v96, v87, vcc
	v_mov_b32_e32 v107, v95
.LBB528_146:
	s_or_b64 exec, exec, s[48:49]
	v_cmp_gt_u32_e32 vcc, 62, v93
	s_waitcnt lgkmcnt(1)
	v_cndmask_b32_e64 v85, 0, 1, vcc
	v_lshlrev_b32_e32 v85, 1, v85
	v_add_lshl_u32 v95, v85, v81, 2
	ds_bpermute_b32 v97, v95, v107
	ds_bpermute_b32 v85, v95, v86
	ds_bpermute_b32 v98, v95, v87
	s_waitcnt lgkmcnt(3)
	v_add_u32_e32 v96, 2, v93
	v_cmp_le_u32_e32 vcc, v96, v84
	s_and_saveexec_b64 s[48:49], vcc
	s_cbranch_execz .LBB528_148
; %bb.147:
	v_cmp_eq_u32_e32 vcc, 0, v107
	s_waitcnt lgkmcnt(1)
	v_cndmask_b32_e32 v85, 0, v85, vcc
	v_add_u32_e32 v97, v97, v107
	s_waitcnt lgkmcnt(0)
	v_cndmask_b32_e32 v98, 0, v98, vcc
	v_add_co_u32_e32 v86, vcc, v85, v86
	v_addc_co_u32_e32 v87, vcc, v98, v87, vcc
	v_mov_b32_e32 v107, v97
.LBB528_148:
	s_or_b64 exec, exec, s[48:49]
	v_cmp_gt_u32_e32 vcc, 60, v93
	s_waitcnt lgkmcnt(1)
	v_cndmask_b32_e64 v85, 0, 1, vcc
	v_lshlrev_b32_e32 v85, 2, v85
	v_add_lshl_u32 v97, v85, v81, 2
	ds_bpermute_b32 v99, v97, v107
	ds_bpermute_b32 v85, v97, v86
	ds_bpermute_b32 v100, v97, v87
	s_waitcnt lgkmcnt(3)
	v_add_u32_e32 v98, 4, v93
	v_cmp_le_u32_e32 vcc, v98, v84
	;; [unrolled: 25-line block ×4, first 2 shown]
	s_and_saveexec_b64 s[48:49], vcc
	s_cbranch_execz .LBB528_154
; %bb.153:
	v_cmp_eq_u32_e32 vcc, 0, v107
	s_waitcnt lgkmcnt(1)
	v_cndmask_b32_e32 v85, 0, v85, vcc
	v_add_u32_e32 v103, v103, v107
	s_waitcnt lgkmcnt(0)
	v_cndmask_b32_e32 v104, 0, v104, vcc
	v_add_co_u32_e32 v86, vcc, v85, v86
	v_addc_co_u32_e32 v87, vcc, v104, v87, vcc
	v_mov_b32_e32 v107, v103
.LBB528_154:
	s_or_b64 exec, exec, s[48:49]
	v_cmp_gt_u32_e32 vcc, 32, v93
	s_waitcnt lgkmcnt(1)
	v_cndmask_b32_e64 v85, 0, 1, vcc
	v_lshlrev_b32_e32 v85, 5, v85
	v_add_lshl_u32 v103, v85, v81, 2
	ds_bpermute_b32 v85, v103, v107
	ds_bpermute_b32 v81, v103, v86
	s_waitcnt lgkmcnt(2)
	ds_bpermute_b32 v104, v103, v87
	v_add_u32_e32 v105, 32, v93
	v_cmp_le_u32_e32 vcc, v105, v84
	s_and_saveexec_b64 s[48:49], vcc
	s_cbranch_execz .LBB528_156
; %bb.155:
	v_cmp_eq_u32_e32 vcc, 0, v107
	s_waitcnt lgkmcnt(1)
	v_cndmask_b32_e32 v81, 0, v81, vcc
	v_add_u32_e32 v84, v85, v107
	s_waitcnt lgkmcnt(0)
	v_cndmask_b32_e32 v85, 0, v104, vcc
	v_add_co_u32_e32 v86, vcc, v81, v86
	v_addc_co_u32_e32 v87, vcc, v85, v87, vcc
	v_mov_b32_e32 v107, v84
.LBB528_156:
	s_or_b64 exec, exec, s[48:49]
	s_waitcnt lgkmcnt(1)
	v_mov_b32_e32 v81, 0
	v_mov_b32_e32 v106, 2
	s_branch .LBB528_158
.LBB528_157:                            ;   in Loop: Header=BB528_158 Depth=1
	s_or_b64 exec, exec, s[48:49]
	v_cmp_eq_u32_e32 vcc, 0, v104
	v_cndmask_b32_e32 v86, 0, v86, vcc
	v_cndmask_b32_e32 v87, 0, v87, vcc
	v_add_co_u32_e32 v86, vcc, v86, v84
	v_subrev_u32_e32 v80, 64, v80
	v_add_u32_e32 v107, v108, v104
	v_addc_co_u32_e32 v87, vcc, v87, v85, vcc
.LBB528_158:                            ; =>This Loop Header: Depth=1
                                        ;     Child Loop BB528_161 Depth 2
                                        ;       Child Loop BB528_162 Depth 3
	v_cmp_ne_u16_sdwa s[48:49], v92, v106 src0_sel:BYTE_0 src1_sel:DWORD
	v_pk_mov_b32 v[84:85], v[86:87], v[86:87] op_sel:[0,1]
	v_cndmask_b32_e64 v86, 0, 1, s[48:49]
	;;#ASMSTART
	;;#ASMEND
	v_cmp_ne_u32_e32 vcc, 0, v86
	s_cmp_lg_u64 vcc, exec
	s_waitcnt lgkmcnt(0)
	v_mov_b32_e32 v104, v107
	s_cbranch_scc1 .LBB528_177
; %bb.159:                              ;   in Loop: Header=BB528_158 Depth=1
	global_load_ubyte v92, v80, s[40:41] glc
	s_waitcnt vmcnt(0)
	v_cmp_eq_u16_e32 vcc, 0, v92
	s_and_saveexec_b64 s[48:49], vcc
	s_cbranch_execz .LBB528_165
; %bb.160:                              ;   in Loop: Header=BB528_158 Depth=1
	v_mov_b32_e32 v87, s41
	v_add_co_u32_e32 v86, vcc, s40, v80
	v_addc_co_u32_e32 v87, vcc, 0, v87, vcc
	s_mov_b32 s7, 1
	s_mov_b64 s[52:53], 0
.LBB528_161:                            ;   Parent Loop BB528_158 Depth=1
                                        ; =>  This Loop Header: Depth=2
                                        ;       Child Loop BB528_162 Depth 3
	s_max_u32 s54, s7, 1
.LBB528_162:                            ;   Parent Loop BB528_158 Depth=1
                                        ;     Parent Loop BB528_161 Depth=2
                                        ; =>    This Inner Loop Header: Depth=3
	s_add_i32 s54, s54, -1
	s_cmp_eq_u32 s54, 0
	s_sleep 1
	s_cbranch_scc0 .LBB528_162
; %bb.163:                              ;   in Loop: Header=BB528_161 Depth=2
	global_load_ubyte v92, v[86:87], off glc
	s_cmp_lt_u32 s7, 32
	s_cselect_b64 s[54:55], -1, 0
	s_cmp_lg_u64 s[54:55], 0
	s_addc_u32 s7, s7, 0
	s_waitcnt vmcnt(0)
	v_cmp_ne_u16_e32 vcc, 0, v92
	s_or_b64 s[52:53], vcc, s[52:53]
	s_andn2_b64 exec, exec, s[52:53]
	s_cbranch_execnz .LBB528_161
; %bb.164:                              ;   in Loop: Header=BB528_158 Depth=1
	s_or_b64 exec, exec, s[52:53]
.LBB528_165:                            ;   in Loop: Header=BB528_158 Depth=1
	s_or_b64 exec, exec, s[48:49]
	v_mov_b32_e32 v86, s39
	v_mov_b32_e32 v87, s37
	v_cmp_eq_u16_e32 vcc, 1, v92
	v_cndmask_b32_e32 v107, v86, v87, vcc
	v_mov_b32_e32 v86, s38
	v_mov_b32_e32 v87, s36
	v_cndmask_b32_e32 v108, v86, v87, vcc
	v_lshlrev_b64 v[86:87], 4, v[80:81]
	v_add_co_u32_e32 v86, vcc, v108, v86
	v_addc_co_u32_e32 v87, vcc, v107, v87, vcc
	buffer_wbinvl1_vol
	global_load_dword v108, v[86:87], off
	s_nop 0
	global_load_dwordx2 v[86:87], v[86:87], off offset:8
	v_cmp_eq_u16_e32 vcc, 2, v92
	v_and_b32_e32 v107, vcc_hi, v83
	v_or_b32_e32 v107, 0x80000000, v107
	v_and_b32_e32 v115, vcc_lo, v82
	v_ffbl_b32_e32 v107, v107
	v_add_u32_e32 v107, 32, v107
	v_ffbl_b32_e32 v115, v115
	v_min_u32_e32 v107, v115, v107
	v_cmp_lt_u32_e32 vcc, v93, v107
	s_waitcnt vmcnt(1)
	ds_bpermute_b32 v111, v94, v108
	s_waitcnt vmcnt(0)
	ds_bpermute_b32 v109, v94, v86
	ds_bpermute_b32 v114, v94, v87
	s_and_saveexec_b64 s[48:49], vcc
	s_cbranch_execz .LBB528_167
; %bb.166:                              ;   in Loop: Header=BB528_158 Depth=1
	v_cmp_eq_u32_e32 vcc, 0, v108
	s_waitcnt lgkmcnt(1)
	v_cndmask_b32_e32 v109, 0, v109, vcc
	v_add_u32_e32 v111, v111, v108
	s_waitcnt lgkmcnt(0)
	v_cndmask_b32_e32 v108, 0, v114, vcc
	v_add_co_u32_e32 v86, vcc, v109, v86
	v_addc_co_u32_e32 v87, vcc, v108, v87, vcc
	v_mov_b32_e32 v108, v111
.LBB528_167:                            ;   in Loop: Header=BB528_158 Depth=1
	s_or_b64 exec, exec, s[48:49]
	s_waitcnt lgkmcnt(2)
	ds_bpermute_b32 v111, v95, v108
	s_waitcnt lgkmcnt(2)
	ds_bpermute_b32 v109, v95, v86
	s_waitcnt lgkmcnt(2)
	ds_bpermute_b32 v114, v95, v87
	v_cmp_le_u32_e32 vcc, v96, v107
	s_and_saveexec_b64 s[48:49], vcc
	s_cbranch_execz .LBB528_169
; %bb.168:                              ;   in Loop: Header=BB528_158 Depth=1
	v_cmp_eq_u32_e32 vcc, 0, v108
	s_waitcnt lgkmcnt(1)
	v_cndmask_b32_e32 v109, 0, v109, vcc
	v_add_u32_e32 v111, v111, v108
	s_waitcnt lgkmcnt(0)
	v_cndmask_b32_e32 v108, 0, v114, vcc
	v_add_co_u32_e32 v86, vcc, v109, v86
	v_addc_co_u32_e32 v87, vcc, v108, v87, vcc
	v_mov_b32_e32 v108, v111
.LBB528_169:                            ;   in Loop: Header=BB528_158 Depth=1
	s_or_b64 exec, exec, s[48:49]
	s_waitcnt lgkmcnt(2)
	ds_bpermute_b32 v111, v97, v108
	s_waitcnt lgkmcnt(2)
	ds_bpermute_b32 v109, v97, v86
	s_waitcnt lgkmcnt(2)
	ds_bpermute_b32 v114, v97, v87
	v_cmp_le_u32_e32 vcc, v98, v107
	s_and_saveexec_b64 s[48:49], vcc
	s_cbranch_execz .LBB528_171
; %bb.170:                              ;   in Loop: Header=BB528_158 Depth=1
	v_cmp_eq_u32_e32 vcc, 0, v108
	s_waitcnt lgkmcnt(1)
	v_cndmask_b32_e32 v109, 0, v109, vcc
	v_add_u32_e32 v111, v111, v108
	s_waitcnt lgkmcnt(0)
	v_cndmask_b32_e32 v108, 0, v114, vcc
	v_add_co_u32_e32 v86, vcc, v109, v86
	v_addc_co_u32_e32 v87, vcc, v108, v87, vcc
	v_mov_b32_e32 v108, v111
.LBB528_171:                            ;   in Loop: Header=BB528_158 Depth=1
	s_or_b64 exec, exec, s[48:49]
	s_waitcnt lgkmcnt(2)
	ds_bpermute_b32 v111, v99, v108
	s_waitcnt lgkmcnt(2)
	ds_bpermute_b32 v109, v99, v86
	s_waitcnt lgkmcnt(2)
	ds_bpermute_b32 v114, v99, v87
	v_cmp_le_u32_e32 vcc, v100, v107
	s_and_saveexec_b64 s[48:49], vcc
	s_cbranch_execz .LBB528_173
; %bb.172:                              ;   in Loop: Header=BB528_158 Depth=1
	v_cmp_eq_u32_e32 vcc, 0, v108
	s_waitcnt lgkmcnt(1)
	v_cndmask_b32_e32 v109, 0, v109, vcc
	v_add_u32_e32 v111, v111, v108
	s_waitcnt lgkmcnt(0)
	v_cndmask_b32_e32 v108, 0, v114, vcc
	v_add_co_u32_e32 v86, vcc, v109, v86
	v_addc_co_u32_e32 v87, vcc, v108, v87, vcc
	v_mov_b32_e32 v108, v111
.LBB528_173:                            ;   in Loop: Header=BB528_158 Depth=1
	s_or_b64 exec, exec, s[48:49]
	s_waitcnt lgkmcnt(2)
	ds_bpermute_b32 v111, v101, v108
	s_waitcnt lgkmcnt(2)
	ds_bpermute_b32 v109, v101, v86
	s_waitcnt lgkmcnt(2)
	ds_bpermute_b32 v114, v101, v87
	v_cmp_le_u32_e32 vcc, v102, v107
	s_and_saveexec_b64 s[48:49], vcc
	s_cbranch_execz .LBB528_175
; %bb.174:                              ;   in Loop: Header=BB528_158 Depth=1
	v_cmp_eq_u32_e32 vcc, 0, v108
	s_waitcnt lgkmcnt(1)
	v_cndmask_b32_e32 v109, 0, v109, vcc
	v_add_u32_e32 v111, v111, v108
	s_waitcnt lgkmcnt(0)
	v_cndmask_b32_e32 v108, 0, v114, vcc
	v_add_co_u32_e32 v86, vcc, v109, v86
	v_addc_co_u32_e32 v87, vcc, v108, v87, vcc
	v_mov_b32_e32 v108, v111
.LBB528_175:                            ;   in Loop: Header=BB528_158 Depth=1
	s_or_b64 exec, exec, s[48:49]
	s_waitcnt lgkmcnt(2)
	ds_bpermute_b32 v111, v103, v108
	s_waitcnt lgkmcnt(2)
	ds_bpermute_b32 v109, v103, v86
	s_waitcnt lgkmcnt(2)
	ds_bpermute_b32 v114, v103, v87
	v_cmp_le_u32_e32 vcc, v105, v107
	s_and_saveexec_b64 s[48:49], vcc
	s_cbranch_execz .LBB528_157
; %bb.176:                              ;   in Loop: Header=BB528_158 Depth=1
	v_cmp_eq_u32_e32 vcc, 0, v108
	s_waitcnt lgkmcnt(1)
	v_cndmask_b32_e32 v109, 0, v109, vcc
	v_add_u32_e32 v107, v111, v108
	s_waitcnt lgkmcnt(0)
	v_cndmask_b32_e32 v108, 0, v114, vcc
	v_add_co_u32_e32 v86, vcc, v109, v86
	v_addc_co_u32_e32 v87, vcc, v108, v87, vcc
	v_mov_b32_e32 v108, v107
	s_branch .LBB528_157
.LBB528_177:                            ;   in Loop: Header=BB528_158 Depth=1
                                        ; implicit-def: $vgpr86_vgpr87
                                        ; implicit-def: $vgpr107
                                        ; implicit-def: $vgpr92
	s_cbranch_execz .LBB528_158
; %bb.178:
	s_and_saveexec_b64 s[36:37], s[26:27]
	s_cbranch_execz .LBB528_180
; %bb.179:
	s_mov_b32 s7, 0
	v_cmp_eq_u32_e32 vcc, 0, v91
	s_add_i32 s6, s6, 64
	v_cndmask_b32_e32 v80, 0, v84, vcc
	s_lshl_b64 s[48:49], s[6:7], 4
	v_cndmask_b32_e32 v81, 0, v85, vcc
	v_add_co_u32_e32 v80, vcc, v80, v78
	s_add_u32 s48, s38, s48
	v_add_u32_e32 v82, v104, v91
	v_addc_co_u32_e32 v81, vcc, v81, v79, vcc
	s_addc_u32 s49, s39, s49
	v_mov_b32_e32 v83, 0
	global_store_dword v83, v82, s[48:49]
	global_store_dwordx2 v83, v[80:81], s[48:49] offset:8
	v_mov_b32_e32 v80, s6
	v_mov_b32_e32 v81, 2
	s_waitcnt vmcnt(0) lgkmcnt(0)
	buffer_wbinvl1_vol
	global_store_byte v80, v81, s[40:41]
	ds_write_b32 v83, v91 offset:4096
	ds_write_b64 v83, v[78:79] offset:4104
	ds_write_b32 v83, v104 offset:4112
	ds_write_b64 v83, v[84:85] offset:4120
.LBB528_180:
	s_or_b64 exec, exec, s[36:37]
	v_cmp_eq_u32_e32 vcc, 0, v0
	s_and_b64 exec, exec, vcc
	s_cbranch_execz .LBB528_182
; %bb.181:
	v_mov_b32_e32 v78, 0
	ds_write_b32 v78, v104 offset:4176
	ds_write_b64 v78, v[84:85] offset:4184
.LBB528_182:
	s_or_b64 exec, exec, s[42:43]
	v_mov_b32_e32 v106, 0
	s_waitcnt lgkmcnt(0)
	s_barrier
	ds_read_b32 v80, v106 offset:4176
	ds_read_b64 v[78:79], v106 offset:4184
	v_cndmask_b32_e64 v62, v88, v62, s[26:27]
	v_cmp_eq_u32_e32 vcc, 0, v62
	v_cndmask_b32_e64 v76, v89, v76, s[26:27]
	v_cndmask_b32_e64 v77, v90, v77, s[26:27]
	s_waitcnt lgkmcnt(0)
	v_cndmask_b32_e32 v82, 0, v78, vcc
	v_cndmask_b32_e32 v81, 0, v79, vcc
	v_add_co_u32_e32 v76, vcc, v82, v76
	v_addc_co_u32_e32 v77, vcc, v81, v77, vcc
	v_cmp_eq_u32_e32 vcc, 0, v0
	v_cndmask_b32_e64 v62, v62, 0, vcc
	v_cndmask_b32_e32 v105, v77, v79, vcc
	v_cndmask_b32_e32 v104, v76, v78, vcc
	v_cmp_eq_u32_e32 vcc, 0, v74
	v_cndmask_b32_e32 v76, 0, v104, vcc
	v_add_u32_e32 v111, v80, v62
	v_cndmask_b32_e32 v62, 0, v105, vcc
	v_add_co_u32_e32 v80, vcc, v76, v50
	v_addc_co_u32_e32 v81, vcc, v62, v51, vcc
	v_cndmask_b32_e64 v76, 0, v80, s[24:25]
	v_cndmask_b32_e64 v62, 0, v81, s[24:25]
	v_add_co_u32_e32 v82, vcc, v76, v54
	v_addc_co_u32_e32 v83, vcc, v62, v55, vcc
	v_cndmask_b32_e64 v76, 0, v82, s[22:23]
	v_cndmask_b32_e64 v62, 0, v83, s[22:23]
	;; [unrolled: 4-line block ×11, first 2 shown]
	v_add_co_u32_e32 v102, vcc, v76, v36
	v_addc_co_u32_e32 v103, vcc, v62, v37, vcc
	s_barrier
	ds_read_b32 v62, v106 offset:4096
	ds_read_b64 v[76:77], v106 offset:4104
	ds_read_b32 v78, v106 offset:4112
	ds_read_b64 v[114:115], v106 offset:4120
	v_cndmask_b32_e64 v107, 0, v102, s[2:3]
	v_cndmask_b32_e64 v79, 0, v103, s[2:3]
	v_add_co_u32_e32 v106, vcc, v107, v30
	v_addc_co_u32_e32 v107, vcc, v79, v31, vcc
	s_waitcnt lgkmcnt(3)
	v_cmp_eq_u32_e32 vcc, 0, v62
	s_waitcnt lgkmcnt(0)
	v_cndmask_b32_e32 v114, 0, v114, vcc
	v_cndmask_b32_e32 v79, 0, v115, vcc
	v_add_co_u32_e32 v76, vcc, v114, v76
	v_cndmask_b32_e64 v109, 0, v107, s[0:1]
	v_cndmask_b32_e64 v108, 0, v106, s[0:1]
	v_addc_co_u32_e32 v77, vcc, v79, v77, vcc
	s_branch .LBB528_211
.LBB528_183:
                                        ; implicit-def: $vgpr62
                                        ; implicit-def: $vgpr76_vgpr77
                                        ; implicit-def: $vgpr78
                                        ; implicit-def: $vgpr104_vgpr105
                                        ; implicit-def: $vgpr80_vgpr81
                                        ; implicit-def: $vgpr82_vgpr83
                                        ; implicit-def: $vgpr84_vgpr85
                                        ; implicit-def: $vgpr86_vgpr87
                                        ; implicit-def: $vgpr88_vgpr89
                                        ; implicit-def: $vgpr90_vgpr91
                                        ; implicit-def: $vgpr92_vgpr93
                                        ; implicit-def: $vgpr94_vgpr95
                                        ; implicit-def: $vgpr96_vgpr97
                                        ; implicit-def: $vgpr98_vgpr99
                                        ; implicit-def: $vgpr100_vgpr101
                                        ; implicit-def: $vgpr102_vgpr103
                                        ; implicit-def: $vgpr106_vgpr107
                                        ; implicit-def: $vgpr108_vgpr109
                                        ; implicit-def: $vgpr111
	s_cbranch_execz .LBB528_211
; %bb.184:
	s_and_b64 s[0:1], s[30:31], exec
	s_cselect_b32 s1, 0, s47
	s_cselect_b32 s0, 0, s46
	s_cmp_eq_u64 s[0:1], 0
	v_pk_mov_b32 v[78:79], v[50:51], v[50:51] op_sel:[0,1]
	s_cbranch_scc1 .LBB528_186
; %bb.185:
	v_mov_b32_e32 v62, 0
	global_load_dwordx2 v[78:79], v62, s[0:1]
.LBB528_186:
	v_cmp_eq_u32_e64 s[22:23], 0, v75
	s_waitcnt lgkmcnt(0)
	v_cndmask_b32_e64 v76, 0, v50, s[22:23]
	v_cndmask_b32_e64 v62, 0, v51, s[22:23]
	v_add_co_u32_e32 v76, vcc, v76, v54
	v_cmp_eq_u32_e64 s[20:21], 0, v72
	v_addc_co_u32_e32 v62, vcc, v62, v55, vcc
	v_cndmask_b32_e64 v76, 0, v76, s[20:21]
	v_cndmask_b32_e64 v62, 0, v62, s[20:21]
	v_add_co_u32_e32 v76, vcc, v76, v52
	v_cmp_eq_u32_e64 s[18:19], 0, v73
	v_addc_co_u32_e32 v62, vcc, v62, v53, vcc
	;; [unrolled: 5-line block ×11, first 2 shown]
	v_cndmask_b32_e64 v76, 0, v76, s[2:3]
	v_cndmask_b32_e64 v62, 0, v62, s[2:3]
	v_add_co_u32_e32 v76, vcc, v76, v30
	v_addc_co_u32_e32 v62, vcc, v62, v31, vcc
	v_cmp_eq_u32_e32 vcc, 0, v63
	v_cndmask_b32_e32 v76, 0, v76, vcc
	v_cndmask_b32_e32 v62, 0, v62, vcc
	v_add_co_u32_e64 v76, s[24:25], v76, v60
	v_addc_co_u32_e64 v62, s[24:25], v62, v61, s[24:25]
	v_add3_u32 v77, v113, v71, v68
	v_cmp_eq_u32_e64 s[24:25], 0, v1
	v_add3_u32 v77, v77, v69, v66
	v_cndmask_b32_e64 v76, 0, v76, s[24:25]
	v_add3_u32 v77, v77, v67, v64
	v_cndmask_b32_e64 v62, 0, v62, s[24:25]
	v_add_co_u32_e64 v32, s[24:25], v76, v32
	v_add3_u32 v77, v77, v65, v110
	v_addc_co_u32_e64 v33, s[24:25], v62, v33, s[24:25]
	v_mbcnt_hi_u32_b32 v62, -1, v112
	v_add3_u32 v80, v77, v63, v1
	v_and_b32_e32 v76, 15, v62
	v_mov_b32_dpp v77, v32 row_shr:1 row_mask:0xf bank_mask:0xf
	v_mov_b32_dpp v81, v80 row_shr:1 row_mask:0xf bank_mask:0xf
	;; [unrolled: 1-line block ×3, first 2 shown]
	v_cmp_ne_u32_e64 s[24:25], 0, v76
	s_and_saveexec_b64 s[26:27], s[24:25]
; %bb.187:
	v_cmp_eq_u32_e64 s[24:25], 0, v80
	v_cndmask_b32_e64 v77, 0, v77, s[24:25]
	v_add_u32_e32 v81, v81, v80
	v_cndmask_b32_e64 v80, 0, v82, s[24:25]
	v_add_co_u32_e64 v32, s[24:25], v77, v32
	v_addc_co_u32_e64 v33, s[24:25], v80, v33, s[24:25]
	v_mov_b32_e32 v80, v81
; %bb.188:
	s_or_b64 exec, exec, s[26:27]
	s_nop 0
	v_mov_b32_dpp v81, v80 row_shr:2 row_mask:0xf bank_mask:0xf
	v_mov_b32_dpp v77, v32 row_shr:2 row_mask:0xf bank_mask:0xf
	v_mov_b32_dpp v82, v33 row_shr:2 row_mask:0xf bank_mask:0xf
	v_cmp_lt_u32_e64 s[24:25], 1, v76
	s_and_saveexec_b64 s[26:27], s[24:25]
; %bb.189:
	v_cmp_eq_u32_e64 s[24:25], 0, v80
	v_cndmask_b32_e64 v77, 0, v77, s[24:25]
	v_add_u32_e32 v81, v81, v80
	v_cndmask_b32_e64 v80, 0, v82, s[24:25]
	v_add_co_u32_e64 v32, s[24:25], v77, v32
	v_addc_co_u32_e64 v33, s[24:25], v80, v33, s[24:25]
	v_mov_b32_e32 v80, v81
; %bb.190:
	s_or_b64 exec, exec, s[26:27]
	s_nop 0
	v_mov_b32_dpp v81, v80 row_shr:4 row_mask:0xf bank_mask:0xf
	v_mov_b32_dpp v77, v32 row_shr:4 row_mask:0xf bank_mask:0xf
	v_mov_b32_dpp v82, v33 row_shr:4 row_mask:0xf bank_mask:0xf
	v_cmp_lt_u32_e64 s[24:25], 3, v76
	;; [unrolled: 16-line block ×3, first 2 shown]
	s_and_saveexec_b64 s[26:27], s[24:25]
; %bb.193:
	v_cmp_eq_u32_e64 s[24:25], 0, v80
	v_cndmask_b32_e64 v77, 0, v77, s[24:25]
	v_add_u32_e32 v76, v81, v80
	v_cndmask_b32_e64 v80, 0, v82, s[24:25]
	v_add_co_u32_e64 v32, s[24:25], v77, v32
	v_addc_co_u32_e64 v33, s[24:25], v80, v33, s[24:25]
	v_mov_b32_e32 v80, v76
; %bb.194:
	s_or_b64 exec, exec, s[26:27]
	v_and_b32_e32 v82, 16, v62
	v_mov_b32_dpp v77, v80 row_bcast:15 row_mask:0xf bank_mask:0xf
	v_mov_b32_dpp v76, v32 row_bcast:15 row_mask:0xf bank_mask:0xf
	;; [unrolled: 1-line block ×3, first 2 shown]
	v_cmp_ne_u32_e64 s[24:25], 0, v82
	s_and_saveexec_b64 s[26:27], s[24:25]
; %bb.195:
	v_cmp_eq_u32_e64 s[24:25], 0, v80
	v_cndmask_b32_e64 v76, 0, v76, s[24:25]
	v_add_u32_e32 v77, v77, v80
	v_cndmask_b32_e64 v80, 0, v81, s[24:25]
	v_add_co_u32_e64 v32, s[24:25], v76, v32
	v_addc_co_u32_e64 v33, s[24:25], v80, v33, s[24:25]
	v_mov_b32_e32 v80, v77
; %bb.196:
	s_or_b64 exec, exec, s[26:27]
	s_nop 0
	v_mov_b32_dpp v77, v80 row_bcast:31 row_mask:0xf bank_mask:0xf
	v_mov_b32_dpp v76, v32 row_bcast:31 row_mask:0xf bank_mask:0xf
	;; [unrolled: 1-line block ×3, first 2 shown]
	v_cmp_lt_u32_e64 s[24:25], 31, v62
	s_and_saveexec_b64 s[26:27], s[24:25]
; %bb.197:
	v_cmp_eq_u32_e64 s[24:25], 0, v80
	v_cndmask_b32_e64 v76, 0, v76, s[24:25]
	v_add_u32_e32 v77, v77, v80
	v_cndmask_b32_e64 v80, 0, v81, s[24:25]
	v_add_co_u32_e64 v32, s[24:25], v76, v32
	v_addc_co_u32_e64 v33, s[24:25], v80, v33, s[24:25]
	v_mov_b32_e32 v80, v77
; %bb.198:
	s_or_b64 exec, exec, s[26:27]
	v_or_b32_e32 v76, 63, v0
	v_lshrrev_b32_e32 v81, 6, v0
	v_cmp_eq_u32_e64 s[24:25], v76, v0
	s_and_saveexec_b64 s[26:27], s[24:25]
	s_cbranch_execz .LBB528_200
; %bb.199:
	v_lshlrev_b32_e32 v76, 4, v81
	ds_write_b32 v76, v80 offset:4128
	ds_write_b64 v76, v[32:33] offset:4136
.LBB528_200:
	s_or_b64 exec, exec, s[26:27]
	v_cmp_gt_u32_e64 s[24:25], 4, v0
	s_waitcnt lgkmcnt(0)
	s_barrier
	s_and_saveexec_b64 s[26:27], s[24:25]
	s_cbranch_execz .LBB528_206
; %bb.201:
	v_lshlrev_b32_e32 v82, 4, v0
	ds_read_b32 v83, v82 offset:4128
	ds_read_b64 v[76:77], v82 offset:4136
	v_and_b32_e32 v84, 3, v62
	v_cmp_ne_u32_e64 s[24:25], 0, v84
	s_waitcnt lgkmcnt(1)
	v_mov_b32_dpp v86, v83 row_shr:1 row_mask:0xf bank_mask:0xf
	s_waitcnt lgkmcnt(0)
	v_mov_b32_dpp v85, v76 row_shr:1 row_mask:0xf bank_mask:0xf
	v_mov_b32_dpp v87, v77 row_shr:1 row_mask:0xf bank_mask:0xf
	s_and_saveexec_b64 s[28:29], s[24:25]
; %bb.202:
	v_cmp_eq_u32_e64 s[24:25], 0, v83
	v_cndmask_b32_e64 v85, 0, v85, s[24:25]
	v_add_u32_e32 v86, v86, v83
	v_cndmask_b32_e64 v83, 0, v87, s[24:25]
	v_add_co_u32_e64 v76, s[24:25], v85, v76
	v_addc_co_u32_e64 v77, s[24:25], v83, v77, s[24:25]
	v_mov_b32_e32 v83, v86
; %bb.203:
	s_or_b64 exec, exec, s[28:29]
	s_nop 0
	v_mov_b32_dpp v86, v83 row_shr:2 row_mask:0xf bank_mask:0xf
	v_mov_b32_dpp v85, v76 row_shr:2 row_mask:0xf bank_mask:0xf
	;; [unrolled: 1-line block ×3, first 2 shown]
	v_cmp_lt_u32_e64 s[24:25], 1, v84
	s_and_saveexec_b64 s[28:29], s[24:25]
; %bb.204:
	v_cmp_eq_u32_e64 s[24:25], 0, v83
	v_cndmask_b32_e64 v85, 0, v85, s[24:25]
	v_add_u32_e32 v84, v86, v83
	v_cndmask_b32_e64 v83, 0, v87, s[24:25]
	v_add_co_u32_e64 v76, s[24:25], v85, v76
	v_addc_co_u32_e64 v77, s[24:25], v83, v77, s[24:25]
	v_mov_b32_e32 v83, v84
; %bb.205:
	s_or_b64 exec, exec, s[28:29]
	ds_write_b32 v82, v83 offset:4128
	ds_write_b64 v82, v[76:77] offset:4136
.LBB528_206:
	s_or_b64 exec, exec, s[26:27]
	v_cmp_lt_u32_e64 s[24:25], 63, v0
	v_mov_b32_e32 v112, 0
	v_mov_b32_e32 v82, 0
	s_waitcnt vmcnt(0)
	v_pk_mov_b32 v[76:77], v[78:79], v[78:79] op_sel:[0,1]
	s_waitcnt lgkmcnt(0)
	s_barrier
	s_and_saveexec_b64 s[26:27], s[24:25]
	s_cbranch_execz .LBB528_208
; %bb.207:
	v_lshlrev_b32_e32 v76, 4, v81
	ds_read_b32 v82, v76 offset:4112
	ds_read_b64 v[76:77], v76 offset:4120
	s_waitcnt lgkmcnt(1)
	v_cmp_eq_u32_e64 s[24:25], 0, v82
	v_cndmask_b32_e64 v83, 0, v78, s[24:25]
	v_cndmask_b32_e64 v81, 0, v79, s[24:25]
	s_waitcnt lgkmcnt(0)
	v_add_co_u32_e64 v76, s[24:25], v83, v76
	v_addc_co_u32_e64 v77, s[24:25], v81, v77, s[24:25]
.LBB528_208:
	s_or_b64 exec, exec, s[26:27]
	v_cmp_eq_u32_e64 s[24:25], 0, v80
	v_cndmask_b32_e64 v83, 0, v76, s[24:25]
	v_add_u32_e32 v81, v82, v80
	v_cndmask_b32_e64 v80, 0, v77, s[24:25]
	v_add_co_u32_e64 v32, s[24:25], v83, v32
	v_addc_co_u32_e64 v33, s[24:25], v80, v33, s[24:25]
	v_add_u32_e32 v80, -1, v62
	v_and_b32_e32 v83, 64, v62
	v_cmp_lt_i32_e64 s[24:25], v80, v83
	v_cndmask_b32_e64 v80, v80, v62, s[24:25]
	v_lshlrev_b32_e32 v80, 2, v80
	ds_bpermute_b32 v81, v80, v81
	ds_bpermute_b32 v33, v80, v33
	;; [unrolled: 1-line block ×3, first 2 shown]
	v_cmp_eq_u32_e64 s[24:25], 0, v62
	v_cmp_eq_u32_e64 s[26:27], 0, v74
	s_waitcnt lgkmcnt(2)
	v_cndmask_b32_e64 v111, v81, v82, s[24:25]
	s_waitcnt lgkmcnt(1)
	v_cndmask_b32_e64 v105, v33, v77, s[24:25]
	;; [unrolled: 2-line block ×3, first 2 shown]
	v_cmp_eq_u32_e64 s[24:25], 0, v0
	v_cndmask_b32_e64 v32, v104, v78, s[24:25]
	v_cndmask_b32_e64 v33, v105, v79, s[24:25]
	;; [unrolled: 1-line block ×4, first 2 shown]
	v_add_co_u32_e64 v80, s[26:27], v32, v50
	v_addc_co_u32_e64 v81, s[26:27], v33, v51, s[26:27]
	v_cndmask_b32_e64 v33, 0, v80, s[22:23]
	v_cndmask_b32_e64 v32, 0, v81, s[22:23]
	v_add_co_u32_e64 v82, s[22:23], v33, v54
	v_addc_co_u32_e64 v83, s[22:23], v32, v55, s[22:23]
	v_cndmask_b32_e64 v33, 0, v82, s[20:21]
	v_cndmask_b32_e64 v32, 0, v83, s[20:21]
	;; [unrolled: 4-line block ×11, first 2 shown]
	v_add_co_u32_e64 v102, s[0:1], v33, v36
	v_addc_co_u32_e64 v103, s[0:1], v32, v37, s[0:1]
	v_cndmask_b32_e64 v33, 0, v102, s[2:3]
	ds_read_b32 v62, v112 offset:4176
	v_cndmask_b32_e64 v32, 0, v103, s[2:3]
	v_add_co_u32_e64 v106, s[0:1], v33, v30
	v_addc_co_u32_e64 v107, s[0:1], v32, v31, s[0:1]
	ds_read_b64 v[30:31], v112 offset:4184
	v_cndmask_b32_e32 v109, 0, v107, vcc
	v_cndmask_b32_e32 v108, 0, v106, vcc
	s_waitcnt lgkmcnt(1)
	v_cmp_eq_u32_e32 vcc, 0, v62
	v_cndmask_b32_e32 v33, 0, v78, vcc
	v_cndmask_b32_e32 v32, 0, v79, vcc
	s_waitcnt lgkmcnt(0)
	v_add_co_u32_e32 v76, vcc, v33, v30
	v_addc_co_u32_e32 v77, vcc, v32, v31, vcc
	s_and_saveexec_b64 s[0:1], s[24:25]
	s_cbranch_execz .LBB528_210
; %bb.209:
	v_mov_b32_e32 v111, 0
	v_mov_b32_e32 v30, 2
	v_pk_mov_b32 v[104:105], v[78:79], v[78:79] op_sel:[0,1]
	global_store_dword v111, v62, s[38:39] offset:1024
	global_store_dwordx2 v111, v[76:77], s[38:39] offset:1032
	s_waitcnt vmcnt(0)
	buffer_wbinvl1_vol
	global_store_byte v111, v30, s[40:41] offset:64
.LBB528_210:
	s_or_b64 exec, exec, s[0:1]
	v_mov_b32_e32 v78, 0
.LBB528_211:
	s_and_b64 s[0:1], s[30:31], exec
	s_cselect_b32 s1, 0, s51
	s_cselect_b32 s0, 0, s50
	s_cmp_eq_u64 s[0:1], 0
	v_pk_mov_b32 v[30:31], 0, 0
	s_waitcnt lgkmcnt(0)
	s_barrier
	s_cbranch_scc1 .LBB528_213
; %bb.212:
	v_mov_b32_e32 v30, 0
	global_load_dwordx2 v[30:31], v30, s[0:1]
.LBB528_213:
	s_waitcnt vmcnt(0)
	v_lshlrev_b64 v[32:33], 3, v[30:31]
	v_mov_b32_e32 v34, s59
	v_add_co_u32_e32 v50, vcc, s58, v32
	v_mov_b32_e32 v79, 0
	v_addc_co_u32_e32 v51, vcc, v34, v33, vcc
	v_lshlrev_b64 v[34:35], 3, v[78:79]
	v_add_co_u32_e32 v50, vcc, v50, v34
	v_addc_co_u32_e32 v51, vcc, v51, v35, vcc
	v_cmp_eq_u32_e32 vcc, 0, v74
	v_cndmask_b32_e64 v52, 1, 2, vcc
	v_cmp_eq_u32_e32 vcc, 0, v75
	v_cndmask_b32_e64 v53, 1, 2, vcc
	v_cmp_eq_u32_e32 vcc, 0, v72
	v_and_b32_e32 v52, v53, v52
	v_cndmask_b32_e64 v53, 1, 2, vcc
	v_cmp_eq_u32_e32 vcc, 0, v73
	v_add_u32_e32 v49, v111, v74
	v_and_b32_e32 v52, v52, v53
	v_cndmask_b32_e64 v53, 1, 2, vcc
	v_cmp_eq_u32_e32 vcc, 0, v70
	v_add_u32_e32 v48, v49, v75
	;; [unrolled: 4-line block ×12, first 2 shown]
	v_and_b32_e32 v52, v52, v53
	v_cndmask_b32_e64 v53, 1, 2, vcc
	s_movk_i32 s30, 0x100
	v_add_u32_e32 v37, v38, v110
	v_and_b32_e32 v52, v52, v53
	v_cmp_gt_u32_e32 vcc, s30, v62
	v_add_u32_e32 v36, v37, v63
	v_cmp_ne_u32_e64 s[28:29], 0, v74
	v_cmp_ne_u32_e64 s[26:27], 0, v75
	;; [unrolled: 1-line block ×15, first 2 shown]
	s_mov_b64 s[36:37], -1
	v_cmp_gt_i16_e64 s[30:31], 2, v52
	s_cbranch_vccz .LBB528_220
; %bb.214:
	s_and_saveexec_b64 s[36:37], s[30:31]
	s_cbranch_execz .LBB528_219
; %bb.215:
	v_cmp_ne_u16_e32 vcc, 1, v52
	s_mov_b64 s[38:39], 0
	s_and_saveexec_b64 s[30:31], vcc
	s_xor_b64 s[30:31], exec, s[30:31]
	s_cbranch_execnz .LBB528_285
; %bb.216:
	s_andn2_saveexec_b64 s[30:31], s[30:31]
	s_cbranch_execnz .LBB528_301
.LBB528_217:
	s_or_b64 exec, exec, s[30:31]
	s_and_b64 exec, exec, s[38:39]
	s_cbranch_execz .LBB528_219
.LBB528_218:
	v_sub_u32_e32 v54, v36, v78
	v_mov_b32_e32 v55, 0
	v_lshlrev_b64 v[54:55], 3, v[54:55]
	v_add_co_u32_e32 v54, vcc, v50, v54
	v_addc_co_u32_e32 v55, vcc, v51, v55, vcc
	global_store_dwordx2 v[54:55], v[58:59], off
.LBB528_219:
	s_or_b64 exec, exec, s[36:37]
	s_mov_b64 s[36:37], 0
.LBB528_220:
	s_and_b64 vcc, exec, s[36:37]
	s_cbranch_vccz .LBB528_230
; %bb.221:
	v_cmp_gt_i16_e32 vcc, 2, v52
	s_and_saveexec_b64 s[30:31], vcc
	s_cbranch_execz .LBB528_226
; %bb.222:
	v_cmp_ne_u16_e32 vcc, 1, v52
	s_mov_b64 s[38:39], 0
	s_and_saveexec_b64 s[36:37], vcc
	s_xor_b64 s[36:37], exec, s[36:37]
	s_cbranch_execnz .LBB528_302
; %bb.223:
	s_andn2_saveexec_b64 s[0:1], s[36:37]
	s_cbranch_execnz .LBB528_318
.LBB528_224:
	s_or_b64 exec, exec, s[0:1]
	s_and_b64 exec, exec, s[38:39]
	s_cbranch_execz .LBB528_226
.LBB528_225:
	v_sub_u32_e32 v2, v36, v78
	v_lshlrev_b32_e32 v2, 3, v2
	ds_write_b64 v2, v[58:59]
.LBB528_226:
	s_or_b64 exec, exec, s[30:31]
	v_cmp_lt_u32_e32 vcc, v0, v62
	s_waitcnt lgkmcnt(0)
	s_barrier
	s_and_saveexec_b64 s[0:1], vcc
	s_cbranch_execz .LBB528_229
; %bb.227:
	v_lshlrev_b32_e32 v4, 3, v0
	s_mov_b64 s[2:3], 0
	v_mov_b32_e32 v3, 0
	v_mov_b32_e32 v2, v0
.LBB528_228:                            ; =>This Inner Loop Header: Depth=1
	v_lshlrev_b64 v[6:7], 3, v[2:3]
	ds_read_b64 v[8:9], v4
	v_add_co_u32_e32 v6, vcc, v50, v6
	v_add_u32_e32 v2, 0x100, v2
	v_addc_co_u32_e32 v7, vcc, v51, v7, vcc
	v_cmp_ge_u32_e32 vcc, v2, v62
	v_add_u32_e32 v4, 0x800, v4
	s_or_b64 s[2:3], vcc, s[2:3]
	s_waitcnt lgkmcnt(0)
	global_store_dwordx2 v[6:7], v[8:9], off
	s_andn2_b64 exec, exec, s[2:3]
	s_cbranch_execnz .LBB528_228
.LBB528_229:
	s_or_b64 exec, exec, s[0:1]
.LBB528_230:
	v_add_co_u32_e32 v2, vcc, v108, v60
	s_cmpk_lg_i32 s33, 0xf00
	v_addc_co_u32_e32 v3, vcc, v109, v61, vcc
	s_cselect_b64 s[0:1], -1, 0
	v_cndmask_b32_e64 v8, 0, 1, s[44:45]
	s_and_b64 s[0:1], s[34:35], s[0:1]
	v_cmp_eq_u32_e32 vcc, 0, v0
	v_sub_u32_e32 v4, v62, v8
	v_cndmask_b32_e64 v5, 0, 1, s[0:1]
	s_and_b64 s[0:1], vcc, s[44:45]
	v_add_u32_e32 v4, v4, v5
	v_cndmask_b32_e64 v5, v74, 0, s[0:1]
	s_mul_hi_u32 s0, s33, 0x88888889
	s_lshr_b32 s0, s0, 3
	v_mad_i32_i24 v6, v0, -15, s33
	v_cmp_eq_u32_e32 vcc, s0, v0
	v_cmp_ne_u32_e64 s[0:1], 0, v6
	v_cndmask_b32_e64 v7, 1, v5, s[0:1]
	v_cmp_ne_u32_e64 s[0:1], 1, v6
	v_cndmask_b32_e64 v9, 1, v75, s[0:1]
	;; [unrolled: 2-line block ×15, first 2 shown]
	s_and_b64 vcc, s[34:35], vcc
	v_cndmask_b32_e32 v22, v1, v6, vcc
	v_cndmask_b32_e32 v21, v63, v21, vcc
	;; [unrolled: 1-line block ×15, first 2 shown]
	v_mov_b32_e32 v1, s61
	v_add_co_u32_e32 v5, vcc, s60, v32
	v_addc_co_u32_e32 v6, vcc, v1, v33, vcc
	v_add_co_u32_e32 v1, vcc, v5, v34
	v_addc_co_u32_e32 v5, vcc, v6, v35, vcc
	v_lshlrev_b32_e32 v6, 3, v8
	v_add_co_u32_e32 v6, vcc, v6, v1
	v_addc_co_u32_e32 v7, vcc, 0, v5, vcc
	v_add_co_u32_e32 v6, vcc, -8, v6
	v_addc_co_u32_e32 v7, vcc, -1, v7, vcc
	v_cmp_eq_u32_e32 vcc, 0, v23
	v_cmp_ne_u32_e64 s[28:29], 0, v23
	v_cndmask_b32_e64 v23, 1, 2, vcc
	v_cmp_eq_u32_e32 vcc, 0, v9
	v_cmp_ne_u32_e64 s[26:27], 0, v9
	v_cndmask_b32_e64 v9, 1, 2, vcc
	v_cmp_eq_u32_e32 vcc, 0, v10
	v_and_b32_e32 v9, v9, v23
	v_cmp_ne_u32_e64 s[24:25], 0, v10
	v_cndmask_b32_e64 v10, 1, 2, vcc
	v_cmp_eq_u32_e32 vcc, 0, v11
	v_and_b32_e32 v9, v9, v10
	v_cndmask_b32_e64 v10, 1, 2, vcc
	v_cmp_eq_u32_e32 vcc, 0, v12
	v_and_b32_e32 v9, v9, v10
	;; [unrolled: 3-line block ×12, first 2 shown]
	v_cndmask_b32_e64 v10, 1, 2, vcc
	s_movk_i32 s30, 0x100
	v_and_b32_e32 v9, v9, v10
	v_cmp_gt_u32_e32 vcc, s30, v4
	v_add_u32_e32 v8, v78, v8
	v_cmp_ne_u32_e64 s[22:23], 0, v11
	v_cmp_ne_u32_e64 s[20:21], 0, v12
	;; [unrolled: 1-line block ×12, first 2 shown]
	s_mov_b64 s[36:37], -1
	v_cmp_gt_i16_e64 s[30:31], 2, v9
	s_barrier
	s_cbranch_vccz .LBB528_237
; %bb.231:
	s_and_saveexec_b64 s[36:37], s[30:31]
	s_cbranch_execz .LBB528_236
; %bb.232:
	v_cmp_ne_u16_e32 vcc, 1, v9
	s_mov_b64 s[38:39], 0
	s_and_saveexec_b64 s[30:31], vcc
	s_xor_b64 s[30:31], exec, s[30:31]
	s_cbranch_execnz .LBB528_319
; %bb.233:
	s_andn2_saveexec_b64 s[30:31], s[30:31]
	s_cbranch_execnz .LBB528_335
.LBB528_234:
	s_or_b64 exec, exec, s[30:31]
	s_and_b64 exec, exec, s[38:39]
	s_cbranch_execz .LBB528_236
.LBB528_235:
	v_sub_u32_e32 v10, v36, v8
	v_mov_b32_e32 v11, 0
	v_lshlrev_b64 v[10:11], 3, v[10:11]
	v_add_co_u32_e32 v10, vcc, v6, v10
	v_addc_co_u32_e32 v11, vcc, v7, v11, vcc
	global_store_dwordx2 v[10:11], v[2:3], off
.LBB528_236:
	s_or_b64 exec, exec, s[36:37]
	s_mov_b64 s[36:37], 0
.LBB528_237:
	s_and_b64 vcc, exec, s[36:37]
	s_cbranch_vccz .LBB528_247
; %bb.238:
	v_cmp_gt_i16_e32 vcc, 2, v9
	s_and_saveexec_b64 s[30:31], vcc
	s_cbranch_execz .LBB528_243
; %bb.239:
	v_cmp_ne_u16_e32 vcc, 1, v9
	s_mov_b64 s[38:39], 0
	s_and_saveexec_b64 s[36:37], vcc
	s_xor_b64 s[36:37], exec, s[36:37]
	s_cbranch_execnz .LBB528_336
; %bb.240:
	s_andn2_saveexec_b64 s[0:1], s[36:37]
	s_cbranch_execnz .LBB528_352
.LBB528_241:
	s_or_b64 exec, exec, s[0:1]
	s_and_b64 exec, exec, s[38:39]
	s_cbranch_execz .LBB528_243
.LBB528_242:
	v_sub_u32_e32 v8, v36, v8
	v_lshlrev_b32_e32 v8, 3, v8
	ds_write_b64 v8, v[2:3]
.LBB528_243:
	s_or_b64 exec, exec, s[30:31]
	v_cmp_lt_u32_e32 vcc, v0, v4
	s_waitcnt lgkmcnt(0)
	s_barrier
	s_and_saveexec_b64 s[0:1], vcc
	s_cbranch_execz .LBB528_246
; %bb.244:
	v_lshlrev_b32_e32 v8, 3, v0
	s_mov_b64 s[2:3], 0
	v_mov_b32_e32 v3, 0
	v_mov_b32_e32 v2, v0
.LBB528_245:                            ; =>This Inner Loop Header: Depth=1
	v_lshlrev_b64 v[10:11], 3, v[2:3]
	ds_read_b64 v[12:13], v8
	v_add_co_u32_e32 v10, vcc, v6, v10
	v_add_u32_e32 v2, 0x100, v2
	v_addc_co_u32_e32 v11, vcc, v7, v11, vcc
	v_cmp_ge_u32_e32 vcc, v2, v4
	v_add_u32_e32 v8, 0x800, v8
	s_or_b64 s[2:3], vcc, s[2:3]
	s_waitcnt lgkmcnt(0)
	global_store_dwordx2 v[10:11], v[12:13], off
	s_andn2_b64 exec, exec, s[2:3]
	s_cbranch_execnz .LBB528_245
.LBB528_246:
	s_or_b64 exec, exec, s[0:1]
.LBB528_247:
	s_movk_i32 s0, 0xff
	v_cmp_eq_u32_e32 vcc, s0, v0
	s_and_b64 s[0:1], vcc, s[34:35]
	s_and_saveexec_b64 s[2:3], s[0:1]
	s_cbranch_execz .LBB528_250
; %bb.248:
	v_add_co_u32_e32 v0, vcc, v62, v78
	v_addc_co_u32_e64 v3, s[0:1], 0, 0, vcc
	v_add_co_u32_e32 v2, vcc, v0, v30
	v_mov_b32_e32 v63, 0
	v_addc_co_u32_e32 v3, vcc, v3, v31, vcc
	s_cmpk_lg_i32 s33, 0xf00
	global_store_dwordx2 v63, v[2:3], s[62:63]
	s_cbranch_scc1 .LBB528_250
; %bb.249:
	v_lshlrev_b64 v[2:3], 3, v[62:63]
	v_add_co_u32_e32 v0, vcc, v1, v2
	v_addc_co_u32_e32 v1, vcc, v5, v3, vcc
	global_store_dwordx2 v[0:1], v[76:77], off offset:-8
.LBB528_250:
	s_endpgm
.LBB528_251:
                                        ; implicit-def: $sgpr4_sgpr5
                                        ; implicit-def: $vgpr1
                                        ; implicit-def: $vgpr63
                                        ; implicit-def: $vgpr110
                                        ; implicit-def: $vgpr65
                                        ; implicit-def: $vgpr64
                                        ; implicit-def: $vgpr67
                                        ; implicit-def: $vgpr66
                                        ; implicit-def: $vgpr69
                                        ; implicit-def: $vgpr68
                                        ; implicit-def: $vgpr71
                                        ; implicit-def: $vgpr70
                                        ; implicit-def: $vgpr73
                                        ; implicit-def: $vgpr72
                                        ; implicit-def: $vgpr75
	s_cbranch_execz .LBB528_109
.LBB528_252:
	v_mad_u32_u24 v62, v0, 15, 14
	v_mov_b32_e32 v63, 0
	v_lshlrev_b32_e32 v78, 3, v0
	s_waitcnt lgkmcnt(0)
	v_mul_u32_u24_e32 v76, 15, v0
	v_cmp_gt_u64_e32 vcc, s[2:3], v[62:63]
	v_mov_b32_e32 v1, 0
	ds_write_b64 v78, v[58:59]
	s_and_saveexec_b64 s[4:5], vcc
; %bb.253:
	s_mov_b32 s7, 0x66666667
	v_mul_hi_i32 v1, v4, s7
	v_lshrrev_b32_e32 v62, 31, v1
	v_ashrrev_i32_e32 v1, 2, v1
	v_add_u32_e32 v1, v1, v62
	v_mul_hi_i32 v62, v58, s7
	v_lshrrev_b32_e32 v64, 31, v62
	v_ashrrev_i32_e32 v62, 2, v62
	v_add_u32_e32 v62, v62, v64
	v_cmp_ne_u32_e32 vcc, v1, v62
	v_cndmask_b32_e64 v1, 0, 1, vcc
; %bb.254:
	s_or_b64 exec, exec, s[4:5]
	v_add_u32_e32 v62, 13, v76
	v_cmp_gt_u64_e32 vcc, s[2:3], v[62:63]
	s_and_saveexec_b64 s[4:5], vcc
; %bb.255:
	s_mov_b32 s7, 0x66666667
	v_mul_hi_i32 v62, v2, s7
	v_lshrrev_b32_e32 v63, 31, v62
	v_ashrrev_i32_e32 v62, 2, v62
	v_add_u32_e32 v62, v62, v63
	v_mul_hi_i32 v63, v4, s7
	v_lshrrev_b32_e32 v64, 31, v63
	v_ashrrev_i32_e32 v63, 2, v63
	v_add_u32_e32 v63, v63, v64
	v_cmp_ne_u32_e32 vcc, v62, v63
	v_cndmask_b32_e64 v63, 0, 1, vcc
; %bb.256:
	s_or_b64 exec, exec, s[4:5]
	v_add_u32_e32 v64, 12, v76
	v_mov_b32_e32 v65, 0
	v_cmp_gt_u64_e32 vcc, s[2:3], v[64:65]
	v_mov_b32_e32 v110, 0
	s_and_saveexec_b64 s[4:5], vcc
; %bb.257:
	s_mov_b32 s7, 0x66666667
	v_mul_hi_i32 v62, v8, s7
	v_lshrrev_b32_e32 v64, 31, v62
	v_ashrrev_i32_e32 v62, 2, v62
	v_add_u32_e32 v62, v62, v64
	v_mul_hi_i32 v64, v2, s7
	v_lshrrev_b32_e32 v66, 31, v64
	v_ashrrev_i32_e32 v64, 2, v64
	v_add_u32_e32 v64, v64, v66
	v_cmp_ne_u32_e32 vcc, v62, v64
	v_cndmask_b32_e64 v110, 0, 1, vcc
; %bb.258:
	s_or_b64 exec, exec, s[4:5]
	v_add_u32_e32 v64, 11, v76
	v_cmp_gt_u64_e32 vcc, s[2:3], v[64:65]
	s_and_saveexec_b64 s[4:5], vcc
; %bb.259:
	s_mov_b32 s7, 0x66666667
	v_mul_hi_i32 v62, v6, s7
	v_lshrrev_b32_e32 v64, 31, v62
	v_ashrrev_i32_e32 v62, 2, v62
	v_add_u32_e32 v62, v62, v64
	v_mul_hi_i32 v64, v8, s7
	v_lshrrev_b32_e32 v65, 31, v64
	v_ashrrev_i32_e32 v64, 2, v64
	v_add_u32_e32 v64, v64, v65
	v_cmp_ne_u32_e32 vcc, v62, v64
	v_cndmask_b32_e64 v65, 0, 1, vcc
; %bb.260:
	s_or_b64 exec, exec, s[4:5]
	v_add_u32_e32 v66, 10, v76
	v_mov_b32_e32 v67, 0
	v_cmp_gt_u64_e32 vcc, s[2:3], v[66:67]
	v_mov_b32_e32 v64, 0
	;; [unrolled: 36-line block ×6, first 2 shown]
	s_and_saveexec_b64 s[4:5], vcc
; %bb.277:
	s_mov_b32 s7, 0x66666667
	v_mul_hi_i32 v62, v28, s7
	v_lshrrev_b32_e32 v72, 31, v62
	v_ashrrev_i32_e32 v62, 2, v62
	v_add_u32_e32 v62, v62, v72
	v_mul_hi_i32 v72, v22, s7
	v_lshrrev_b32_e32 v74, 31, v72
	v_ashrrev_i32_e32 v72, 2, v72
	v_add_u32_e32 v72, v72, v74
	v_cmp_ne_u32_e32 vcc, v62, v72
	v_cndmask_b32_e64 v72, 0, 1, vcc
; %bb.278:
	s_or_b64 exec, exec, s[4:5]
	v_add_u32_e32 v74, 1, v76
	v_cmp_gt_u64_e32 vcc, s[2:3], v[74:75]
	s_and_saveexec_b64 s[4:5], vcc
; %bb.279:
	s_mov_b32 s7, 0x66666667
	v_mul_hi_i32 v62, v26, s7
	v_lshrrev_b32_e32 v74, 31, v62
	v_ashrrev_i32_e32 v62, 2, v62
	v_add_u32_e32 v62, v62, v74
	v_mul_hi_i32 v74, v28, s7
	v_lshrrev_b32_e32 v75, 31, v74
	v_ashrrev_i32_e32 v74, 2, v74
	v_add_u32_e32 v74, v74, v75
	v_cmp_ne_u32_e32 vcc, v62, v74
	v_cndmask_b32_e64 v75, 0, 1, vcc
; %bb.280:
	s_or_b64 exec, exec, s[4:5]
	v_cmp_ne_u32_e32 vcc, 0, v0
	s_waitcnt lgkmcnt(0)
	s_barrier
	s_waitcnt lgkmcnt(0)
                                        ; implicit-def: $sgpr4_sgpr5
	s_and_saveexec_b64 s[8:9], vcc
	s_cbranch_execz .LBB528_284
; %bb.281:
	v_mov_b32_e32 v77, 0
	v_cmp_gt_u64_e32 vcc, s[2:3], v[76:77]
	s_mov_b64 s[4:5], 0
	s_and_saveexec_b64 s[2:3], vcc
	s_cbranch_execz .LBB528_283
; %bb.282:
	v_add_u32_e32 v62, -8, v78
	ds_read_b32 v62, v62
	s_mov_b32 s4, 0x66666667
	v_mul_hi_i32 v74, v26, s4
	v_lshrrev_b32_e32 v76, 31, v74
	v_ashrrev_i32_e32 v74, 2, v74
	s_waitcnt lgkmcnt(0)
	v_mul_hi_i32 v62, v62, s4
	v_lshrrev_b32_e32 v77, 31, v62
	v_ashrrev_i32_e32 v62, 2, v62
	v_add_u32_e32 v62, v62, v77
	v_add_u32_e32 v74, v74, v76
	v_cmp_ne_u32_e32 vcc, v62, v74
	s_and_b64 s[4:5], vcc, exec
.LBB528_283:
	s_or_b64 exec, exec, s[2:3]
	s_and_b64 s[4:5], s[4:5], exec
	s_or_b64 s[0:1], s[0:1], exec
.LBB528_284:
	s_or_b64 exec, exec, s[8:9]
	s_mov_b32 s8, 1
	v_mov_b32_e32 v74, s8
	s_and_saveexec_b64 s[2:3], s[0:1]
	s_cbranch_execnz .LBB528_111
	s_branch .LBB528_112
.LBB528_285:
	s_and_saveexec_b64 s[38:39], s[28:29]
	s_cbranch_execnz .LBB528_353
; %bb.286:
	s_or_b64 exec, exec, s[38:39]
	s_and_saveexec_b64 s[38:39], s[26:27]
	s_cbranch_execnz .LBB528_354
.LBB528_287:
	s_or_b64 exec, exec, s[38:39]
	s_and_saveexec_b64 s[38:39], s[24:25]
	s_cbranch_execnz .LBB528_355
.LBB528_288:
	s_or_b64 exec, exec, s[38:39]
	s_and_saveexec_b64 s[38:39], s[22:23]
	s_cbranch_execnz .LBB528_356
.LBB528_289:
	s_or_b64 exec, exec, s[38:39]
	s_and_saveexec_b64 s[38:39], s[20:21]
	s_cbranch_execnz .LBB528_357
.LBB528_290:
	s_or_b64 exec, exec, s[38:39]
	s_and_saveexec_b64 s[38:39], s[18:19]
	s_cbranch_execnz .LBB528_358
.LBB528_291:
	s_or_b64 exec, exec, s[38:39]
	s_and_saveexec_b64 s[38:39], s[16:17]
	s_cbranch_execnz .LBB528_359
.LBB528_292:
	s_or_b64 exec, exec, s[38:39]
	s_and_saveexec_b64 s[38:39], s[14:15]
	s_cbranch_execnz .LBB528_360
.LBB528_293:
	s_or_b64 exec, exec, s[38:39]
	s_and_saveexec_b64 s[38:39], s[12:13]
	s_cbranch_execnz .LBB528_361
.LBB528_294:
	s_or_b64 exec, exec, s[38:39]
	s_and_saveexec_b64 s[38:39], s[10:11]
	s_cbranch_execnz .LBB528_362
.LBB528_295:
	s_or_b64 exec, exec, s[38:39]
	s_and_saveexec_b64 s[38:39], s[8:9]
	s_cbranch_execnz .LBB528_363
.LBB528_296:
	s_or_b64 exec, exec, s[38:39]
	s_and_saveexec_b64 s[38:39], s[6:7]
	s_cbranch_execnz .LBB528_364
.LBB528_297:
	s_or_b64 exec, exec, s[38:39]
	s_and_saveexec_b64 s[38:39], s[4:5]
	s_cbranch_execnz .LBB528_365
.LBB528_298:
	s_or_b64 exec, exec, s[38:39]
	s_and_saveexec_b64 s[38:39], s[2:3]
	s_cbranch_execz .LBB528_300
.LBB528_299:
	v_sub_u32_e32 v54, v37, v78
	v_mov_b32_e32 v55, 0
	v_lshlrev_b64 v[54:55], 3, v[54:55]
	v_add_co_u32_e32 v54, vcc, v50, v54
	v_addc_co_u32_e32 v55, vcc, v51, v55, vcc
	global_store_dwordx2 v[54:55], v[4:5], off
.LBB528_300:
	s_or_b64 exec, exec, s[38:39]
	s_and_b64 s[38:39], s[0:1], exec
	s_andn2_saveexec_b64 s[30:31], s[30:31]
	s_cbranch_execz .LBB528_217
.LBB528_301:
	v_sub_u32_e32 v54, v111, v78
	v_mov_b32_e32 v55, 0
	v_lshlrev_b64 v[56:57], 3, v[54:55]
	v_add_co_u32_e32 v56, vcc, v50, v56
	v_addc_co_u32_e32 v57, vcc, v51, v57, vcc
	v_sub_u32_e32 v54, v49, v78
	global_store_dwordx2 v[56:57], v[26:27], off
	v_lshlrev_b64 v[56:57], 3, v[54:55]
	v_add_co_u32_e32 v56, vcc, v50, v56
	v_addc_co_u32_e32 v57, vcc, v51, v57, vcc
	v_sub_u32_e32 v54, v48, v78
	global_store_dwordx2 v[56:57], v[28:29], off
	;; [unrolled: 5-line block ×12, first 2 shown]
	v_lshlrev_b64 v[56:57], 3, v[54:55]
	v_add_co_u32_e32 v56, vcc, v50, v56
	v_sub_u32_e32 v54, v37, v78
	v_addc_co_u32_e32 v57, vcc, v51, v57, vcc
	v_lshlrev_b64 v[54:55], 3, v[54:55]
	v_add_co_u32_e32 v54, vcc, v50, v54
	v_addc_co_u32_e32 v55, vcc, v51, v55, vcc
	s_or_b64 s[38:39], s[38:39], exec
	global_store_dwordx2 v[56:57], v[2:3], off
	global_store_dwordx2 v[54:55], v[4:5], off
	s_or_b64 exec, exec, s[30:31]
	s_and_b64 exec, exec, s[38:39]
	s_cbranch_execnz .LBB528_218
	s_branch .LBB528_219
.LBB528_302:
	s_and_saveexec_b64 s[38:39], s[28:29]
	s_cbranch_execnz .LBB528_366
; %bb.303:
	s_or_b64 exec, exec, s[38:39]
	s_and_saveexec_b64 s[28:29], s[26:27]
	s_cbranch_execnz .LBB528_367
.LBB528_304:
	s_or_b64 exec, exec, s[28:29]
	s_and_saveexec_b64 s[26:27], s[24:25]
	s_cbranch_execnz .LBB528_368
.LBB528_305:
	s_or_b64 exec, exec, s[26:27]
	s_and_saveexec_b64 s[24:25], s[22:23]
	s_cbranch_execnz .LBB528_369
.LBB528_306:
	s_or_b64 exec, exec, s[24:25]
	s_and_saveexec_b64 s[22:23], s[20:21]
	s_cbranch_execnz .LBB528_370
.LBB528_307:
	s_or_b64 exec, exec, s[22:23]
	s_and_saveexec_b64 s[20:21], s[18:19]
	s_cbranch_execnz .LBB528_371
.LBB528_308:
	s_or_b64 exec, exec, s[20:21]
	s_and_saveexec_b64 s[18:19], s[16:17]
	s_cbranch_execnz .LBB528_372
.LBB528_309:
	s_or_b64 exec, exec, s[18:19]
	s_and_saveexec_b64 s[16:17], s[14:15]
	s_cbranch_execnz .LBB528_373
.LBB528_310:
	s_or_b64 exec, exec, s[16:17]
	s_and_saveexec_b64 s[14:15], s[12:13]
	s_cbranch_execnz .LBB528_374
.LBB528_311:
	s_or_b64 exec, exec, s[14:15]
	s_and_saveexec_b64 s[12:13], s[10:11]
	s_cbranch_execnz .LBB528_375
.LBB528_312:
	s_or_b64 exec, exec, s[12:13]
	s_and_saveexec_b64 s[10:11], s[8:9]
	s_cbranch_execnz .LBB528_376
.LBB528_313:
	s_or_b64 exec, exec, s[10:11]
	s_and_saveexec_b64 s[8:9], s[6:7]
	s_cbranch_execnz .LBB528_377
.LBB528_314:
	s_or_b64 exec, exec, s[8:9]
	s_and_saveexec_b64 s[6:7], s[4:5]
	s_cbranch_execnz .LBB528_378
.LBB528_315:
	s_or_b64 exec, exec, s[6:7]
	s_and_saveexec_b64 s[4:5], s[2:3]
	s_cbranch_execz .LBB528_317
.LBB528_316:
	v_sub_u32_e32 v2, v37, v78
	v_lshlrev_b32_e32 v2, 3, v2
	ds_write_b64 v2, v[4:5]
.LBB528_317:
	s_or_b64 exec, exec, s[4:5]
	s_and_b64 s[38:39], s[0:1], exec
                                        ; implicit-def: $vgpr26_vgpr27_vgpr28_vgpr29
                                        ; implicit-def: $vgpr22_vgpr23_vgpr24_vgpr25
                                        ; implicit-def: $vgpr18_vgpr19_vgpr20_vgpr21
                                        ; implicit-def: $vgpr14_vgpr15_vgpr16_vgpr17
                                        ; implicit-def: $vgpr10_vgpr11_vgpr12_vgpr13
                                        ; implicit-def: $vgpr6_vgpr7_vgpr8_vgpr9
                                        ; implicit-def: $vgpr2_vgpr3_vgpr4_vgpr5
	s_andn2_saveexec_b64 s[0:1], s[36:37]
	s_cbranch_execz .LBB528_224
.LBB528_318:
	v_sub_u32_e32 v52, v111, v78
	v_lshlrev_b32_e32 v52, 3, v52
	ds_write_b64 v52, v[26:27]
	v_sub_u32_e32 v26, v49, v78
	v_lshlrev_b32_e32 v26, 3, v26
	ds_write_b64 v26, v[28:29]
	;; [unrolled: 3-line block ×13, first 2 shown]
	v_sub_u32_e32 v2, v37, v78
	v_lshlrev_b32_e32 v2, 3, v2
	s_or_b64 s[38:39], s[38:39], exec
	ds_write_b64 v2, v[4:5]
	s_or_b64 exec, exec, s[0:1]
	s_and_b64 exec, exec, s[38:39]
	s_cbranch_execnz .LBB528_225
	s_branch .LBB528_226
.LBB528_319:
	s_and_saveexec_b64 s[38:39], s[28:29]
	s_cbranch_execnz .LBB528_379
; %bb.320:
	s_or_b64 exec, exec, s[38:39]
	s_and_saveexec_b64 s[38:39], s[26:27]
	s_cbranch_execnz .LBB528_380
.LBB528_321:
	s_or_b64 exec, exec, s[38:39]
	s_and_saveexec_b64 s[38:39], s[24:25]
	s_cbranch_execnz .LBB528_381
.LBB528_322:
	s_or_b64 exec, exec, s[38:39]
	s_and_saveexec_b64 s[38:39], s[22:23]
	s_cbranch_execnz .LBB528_382
.LBB528_323:
	s_or_b64 exec, exec, s[38:39]
	s_and_saveexec_b64 s[38:39], s[20:21]
	s_cbranch_execnz .LBB528_383
.LBB528_324:
	s_or_b64 exec, exec, s[38:39]
	s_and_saveexec_b64 s[38:39], s[18:19]
	s_cbranch_execnz .LBB528_384
.LBB528_325:
	s_or_b64 exec, exec, s[38:39]
	s_and_saveexec_b64 s[38:39], s[16:17]
	s_cbranch_execnz .LBB528_385
.LBB528_326:
	s_or_b64 exec, exec, s[38:39]
	s_and_saveexec_b64 s[38:39], s[14:15]
	s_cbranch_execnz .LBB528_386
.LBB528_327:
	s_or_b64 exec, exec, s[38:39]
	s_and_saveexec_b64 s[38:39], s[12:13]
	s_cbranch_execnz .LBB528_387
.LBB528_328:
	s_or_b64 exec, exec, s[38:39]
	s_and_saveexec_b64 s[38:39], s[10:11]
	s_cbranch_execnz .LBB528_388
.LBB528_329:
	s_or_b64 exec, exec, s[38:39]
	s_and_saveexec_b64 s[38:39], s[8:9]
	s_cbranch_execnz .LBB528_389
.LBB528_330:
	s_or_b64 exec, exec, s[38:39]
	s_and_saveexec_b64 s[38:39], s[6:7]
	s_cbranch_execnz .LBB528_390
.LBB528_331:
	s_or_b64 exec, exec, s[38:39]
	s_and_saveexec_b64 s[38:39], s[4:5]
	s_cbranch_execnz .LBB528_391
.LBB528_332:
	s_or_b64 exec, exec, s[38:39]
	s_and_saveexec_b64 s[38:39], s[2:3]
	s_cbranch_execz .LBB528_334
.LBB528_333:
	v_sub_u32_e32 v10, v37, v8
	v_mov_b32_e32 v11, 0
	v_lshlrev_b64 v[10:11], 3, v[10:11]
	v_add_co_u32_e32 v10, vcc, v6, v10
	v_addc_co_u32_e32 v11, vcc, v7, v11, vcc
	global_store_dwordx2 v[10:11], v[106:107], off
.LBB528_334:
	s_or_b64 exec, exec, s[38:39]
	s_and_b64 s[38:39], s[0:1], exec
	s_andn2_saveexec_b64 s[30:31], s[30:31]
	s_cbranch_execz .LBB528_234
.LBB528_335:
	v_sub_u32_e32 v10, v111, v8
	v_mov_b32_e32 v11, 0
	v_lshlrev_b64 v[12:13], 3, v[10:11]
	v_add_co_u32_e32 v12, vcc, v6, v12
	v_addc_co_u32_e32 v13, vcc, v7, v13, vcc
	v_sub_u32_e32 v10, v49, v8
	global_store_dwordx2 v[12:13], v[104:105], off
	v_lshlrev_b64 v[12:13], 3, v[10:11]
	v_add_co_u32_e32 v12, vcc, v6, v12
	v_addc_co_u32_e32 v13, vcc, v7, v13, vcc
	v_sub_u32_e32 v10, v48, v8
	global_store_dwordx2 v[12:13], v[80:81], off
	;; [unrolled: 5-line block ×12, first 2 shown]
	v_lshlrev_b64 v[12:13], 3, v[10:11]
	v_add_co_u32_e32 v12, vcc, v6, v12
	v_sub_u32_e32 v10, v37, v8
	v_addc_co_u32_e32 v13, vcc, v7, v13, vcc
	v_lshlrev_b64 v[10:11], 3, v[10:11]
	v_add_co_u32_e32 v10, vcc, v6, v10
	v_addc_co_u32_e32 v11, vcc, v7, v11, vcc
	s_or_b64 s[38:39], s[38:39], exec
	global_store_dwordx2 v[12:13], v[102:103], off
	global_store_dwordx2 v[10:11], v[106:107], off
	s_or_b64 exec, exec, s[30:31]
	s_and_b64 exec, exec, s[38:39]
	s_cbranch_execnz .LBB528_235
	s_branch .LBB528_236
.LBB528_336:
	s_and_saveexec_b64 s[38:39], s[28:29]
	s_cbranch_execnz .LBB528_392
; %bb.337:
	s_or_b64 exec, exec, s[38:39]
	s_and_saveexec_b64 s[28:29], s[26:27]
	s_cbranch_execnz .LBB528_393
.LBB528_338:
	s_or_b64 exec, exec, s[28:29]
	s_and_saveexec_b64 s[26:27], s[24:25]
	s_cbranch_execnz .LBB528_394
.LBB528_339:
	s_or_b64 exec, exec, s[26:27]
	s_and_saveexec_b64 s[24:25], s[22:23]
	s_cbranch_execnz .LBB528_395
.LBB528_340:
	s_or_b64 exec, exec, s[24:25]
	s_and_saveexec_b64 s[22:23], s[20:21]
	s_cbranch_execnz .LBB528_396
.LBB528_341:
	s_or_b64 exec, exec, s[22:23]
	s_and_saveexec_b64 s[20:21], s[18:19]
	s_cbranch_execnz .LBB528_397
.LBB528_342:
	s_or_b64 exec, exec, s[20:21]
	s_and_saveexec_b64 s[18:19], s[16:17]
	s_cbranch_execnz .LBB528_398
.LBB528_343:
	s_or_b64 exec, exec, s[18:19]
	s_and_saveexec_b64 s[16:17], s[14:15]
	s_cbranch_execnz .LBB528_399
.LBB528_344:
	s_or_b64 exec, exec, s[16:17]
	s_and_saveexec_b64 s[14:15], s[12:13]
	s_cbranch_execnz .LBB528_400
.LBB528_345:
	s_or_b64 exec, exec, s[14:15]
	s_and_saveexec_b64 s[12:13], s[10:11]
	s_cbranch_execnz .LBB528_401
.LBB528_346:
	s_or_b64 exec, exec, s[12:13]
	s_and_saveexec_b64 s[10:11], s[8:9]
	s_cbranch_execnz .LBB528_402
.LBB528_347:
	s_or_b64 exec, exec, s[10:11]
	s_and_saveexec_b64 s[8:9], s[6:7]
	s_cbranch_execnz .LBB528_403
.LBB528_348:
	s_or_b64 exec, exec, s[8:9]
	s_and_saveexec_b64 s[6:7], s[4:5]
	s_cbranch_execnz .LBB528_404
.LBB528_349:
	s_or_b64 exec, exec, s[6:7]
	s_and_saveexec_b64 s[4:5], s[2:3]
	s_cbranch_execz .LBB528_351
.LBB528_350:
	v_sub_u32_e32 v9, v37, v8
	v_lshlrev_b32_e32 v9, 3, v9
	ds_write_b64 v9, v[106:107]
.LBB528_351:
	s_or_b64 exec, exec, s[4:5]
	s_and_b64 s[38:39], s[0:1], exec
                                        ; implicit-def: $vgpr104_vgpr105
                                        ; implicit-def: $vgpr80_vgpr81
                                        ; implicit-def: $vgpr82_vgpr83
                                        ; implicit-def: $vgpr84_vgpr85
                                        ; implicit-def: $vgpr86_vgpr87
                                        ; implicit-def: $vgpr88_vgpr89
                                        ; implicit-def: $vgpr90_vgpr91
                                        ; implicit-def: $vgpr92_vgpr93
                                        ; implicit-def: $vgpr94_vgpr95
                                        ; implicit-def: $vgpr96_vgpr97
                                        ; implicit-def: $vgpr98_vgpr99
                                        ; implicit-def: $vgpr100_vgpr101
                                        ; implicit-def: $vgpr102_vgpr103
                                        ; implicit-def: $vgpr106_vgpr107
                                        ; implicit-def: $vgpr111
                                        ; implicit-def: $vgpr49
                                        ; implicit-def: $vgpr48
                                        ; implicit-def: $vgpr47
                                        ; implicit-def: $vgpr46
                                        ; implicit-def: $vgpr45
                                        ; implicit-def: $vgpr44
                                        ; implicit-def: $vgpr43
                                        ; implicit-def: $vgpr42
                                        ; implicit-def: $vgpr41
                                        ; implicit-def: $vgpr40
                                        ; implicit-def: $vgpr39
                                        ; implicit-def: $vgpr38
                                        ; implicit-def: $vgpr37
	s_andn2_saveexec_b64 s[0:1], s[36:37]
	s_cbranch_execz .LBB528_241
.LBB528_352:
	v_sub_u32_e32 v9, v111, v8
	v_lshlrev_b32_e32 v9, 3, v9
	ds_write_b64 v9, v[104:105]
	v_sub_u32_e32 v9, v49, v8
	v_lshlrev_b32_e32 v9, 3, v9
	ds_write_b64 v9, v[80:81]
	;; [unrolled: 3-line block ×13, first 2 shown]
	v_sub_u32_e32 v9, v37, v8
	v_lshlrev_b32_e32 v9, 3, v9
	s_or_b64 s[38:39], s[38:39], exec
	ds_write_b64 v9, v[106:107]
	s_or_b64 exec, exec, s[0:1]
	s_and_b64 exec, exec, s[38:39]
	s_cbranch_execnz .LBB528_242
	s_branch .LBB528_243
.LBB528_353:
	v_sub_u32_e32 v54, v111, v78
	v_mov_b32_e32 v55, 0
	v_lshlrev_b64 v[54:55], 3, v[54:55]
	v_add_co_u32_e32 v54, vcc, v50, v54
	v_addc_co_u32_e32 v55, vcc, v51, v55, vcc
	global_store_dwordx2 v[54:55], v[26:27], off
	s_or_b64 exec, exec, s[38:39]
	s_and_saveexec_b64 s[38:39], s[26:27]
	s_cbranch_execz .LBB528_287
.LBB528_354:
	v_sub_u32_e32 v54, v49, v78
	v_mov_b32_e32 v55, 0
	v_lshlrev_b64 v[54:55], 3, v[54:55]
	v_add_co_u32_e32 v54, vcc, v50, v54
	v_addc_co_u32_e32 v55, vcc, v51, v55, vcc
	global_store_dwordx2 v[54:55], v[28:29], off
	s_or_b64 exec, exec, s[38:39]
	s_and_saveexec_b64 s[38:39], s[24:25]
	s_cbranch_execz .LBB528_288
.LBB528_355:
	v_sub_u32_e32 v54, v48, v78
	v_mov_b32_e32 v55, 0
	v_lshlrev_b64 v[54:55], 3, v[54:55]
	v_add_co_u32_e32 v54, vcc, v50, v54
	v_addc_co_u32_e32 v55, vcc, v51, v55, vcc
	global_store_dwordx2 v[54:55], v[22:23], off
	s_or_b64 exec, exec, s[38:39]
	s_and_saveexec_b64 s[38:39], s[22:23]
	s_cbranch_execz .LBB528_289
.LBB528_356:
	v_sub_u32_e32 v54, v47, v78
	v_mov_b32_e32 v55, 0
	v_lshlrev_b64 v[54:55], 3, v[54:55]
	v_add_co_u32_e32 v54, vcc, v50, v54
	v_addc_co_u32_e32 v55, vcc, v51, v55, vcc
	global_store_dwordx2 v[54:55], v[24:25], off
	s_or_b64 exec, exec, s[38:39]
	s_and_saveexec_b64 s[38:39], s[20:21]
	s_cbranch_execz .LBB528_290
.LBB528_357:
	v_sub_u32_e32 v54, v46, v78
	v_mov_b32_e32 v55, 0
	v_lshlrev_b64 v[54:55], 3, v[54:55]
	v_add_co_u32_e32 v54, vcc, v50, v54
	v_addc_co_u32_e32 v55, vcc, v51, v55, vcc
	global_store_dwordx2 v[54:55], v[18:19], off
	s_or_b64 exec, exec, s[38:39]
	s_and_saveexec_b64 s[38:39], s[18:19]
	s_cbranch_execz .LBB528_291
.LBB528_358:
	v_sub_u32_e32 v54, v45, v78
	v_mov_b32_e32 v55, 0
	v_lshlrev_b64 v[54:55], 3, v[54:55]
	v_add_co_u32_e32 v54, vcc, v50, v54
	v_addc_co_u32_e32 v55, vcc, v51, v55, vcc
	global_store_dwordx2 v[54:55], v[20:21], off
	s_or_b64 exec, exec, s[38:39]
	s_and_saveexec_b64 s[38:39], s[16:17]
	s_cbranch_execz .LBB528_292
.LBB528_359:
	v_sub_u32_e32 v54, v44, v78
	v_mov_b32_e32 v55, 0
	v_lshlrev_b64 v[54:55], 3, v[54:55]
	v_add_co_u32_e32 v54, vcc, v50, v54
	v_addc_co_u32_e32 v55, vcc, v51, v55, vcc
	global_store_dwordx2 v[54:55], v[14:15], off
	s_or_b64 exec, exec, s[38:39]
	s_and_saveexec_b64 s[38:39], s[14:15]
	s_cbranch_execz .LBB528_293
.LBB528_360:
	v_sub_u32_e32 v54, v43, v78
	v_mov_b32_e32 v55, 0
	v_lshlrev_b64 v[54:55], 3, v[54:55]
	v_add_co_u32_e32 v54, vcc, v50, v54
	v_addc_co_u32_e32 v55, vcc, v51, v55, vcc
	global_store_dwordx2 v[54:55], v[16:17], off
	s_or_b64 exec, exec, s[38:39]
	s_and_saveexec_b64 s[38:39], s[12:13]
	s_cbranch_execz .LBB528_294
.LBB528_361:
	v_sub_u32_e32 v54, v42, v78
	v_mov_b32_e32 v55, 0
	v_lshlrev_b64 v[54:55], 3, v[54:55]
	v_add_co_u32_e32 v54, vcc, v50, v54
	v_addc_co_u32_e32 v55, vcc, v51, v55, vcc
	global_store_dwordx2 v[54:55], v[10:11], off
	s_or_b64 exec, exec, s[38:39]
	s_and_saveexec_b64 s[38:39], s[10:11]
	s_cbranch_execz .LBB528_295
.LBB528_362:
	v_sub_u32_e32 v54, v41, v78
	v_mov_b32_e32 v55, 0
	v_lshlrev_b64 v[54:55], 3, v[54:55]
	v_add_co_u32_e32 v54, vcc, v50, v54
	v_addc_co_u32_e32 v55, vcc, v51, v55, vcc
	global_store_dwordx2 v[54:55], v[12:13], off
	s_or_b64 exec, exec, s[38:39]
	s_and_saveexec_b64 s[38:39], s[8:9]
	s_cbranch_execz .LBB528_296
.LBB528_363:
	v_sub_u32_e32 v54, v40, v78
	v_mov_b32_e32 v55, 0
	v_lshlrev_b64 v[54:55], 3, v[54:55]
	v_add_co_u32_e32 v54, vcc, v50, v54
	v_addc_co_u32_e32 v55, vcc, v51, v55, vcc
	global_store_dwordx2 v[54:55], v[6:7], off
	s_or_b64 exec, exec, s[38:39]
	s_and_saveexec_b64 s[38:39], s[6:7]
	s_cbranch_execz .LBB528_297
.LBB528_364:
	v_sub_u32_e32 v54, v39, v78
	v_mov_b32_e32 v55, 0
	v_lshlrev_b64 v[54:55], 3, v[54:55]
	v_add_co_u32_e32 v54, vcc, v50, v54
	v_addc_co_u32_e32 v55, vcc, v51, v55, vcc
	global_store_dwordx2 v[54:55], v[8:9], off
	s_or_b64 exec, exec, s[38:39]
	s_and_saveexec_b64 s[38:39], s[4:5]
	s_cbranch_execz .LBB528_298
.LBB528_365:
	v_sub_u32_e32 v54, v38, v78
	v_mov_b32_e32 v55, 0
	v_lshlrev_b64 v[54:55], 3, v[54:55]
	v_add_co_u32_e32 v54, vcc, v50, v54
	v_addc_co_u32_e32 v55, vcc, v51, v55, vcc
	global_store_dwordx2 v[54:55], v[2:3], off
	s_or_b64 exec, exec, s[38:39]
	s_and_saveexec_b64 s[38:39], s[2:3]
	s_cbranch_execnz .LBB528_299
	s_branch .LBB528_300
.LBB528_366:
	v_sub_u32_e32 v52, v111, v78
	v_lshlrev_b32_e32 v52, 3, v52
	ds_write_b64 v52, v[26:27]
	s_or_b64 exec, exec, s[38:39]
	s_and_saveexec_b64 s[28:29], s[26:27]
	s_cbranch_execz .LBB528_304
.LBB528_367:
	v_sub_u32_e32 v26, v49, v78
	v_lshlrev_b32_e32 v26, 3, v26
	ds_write_b64 v26, v[28:29]
	s_or_b64 exec, exec, s[28:29]
	s_and_saveexec_b64 s[26:27], s[24:25]
	s_cbranch_execz .LBB528_305
.LBB528_368:
	v_sub_u32_e32 v26, v48, v78
	v_lshlrev_b32_e32 v26, 3, v26
	ds_write_b64 v26, v[22:23]
	s_or_b64 exec, exec, s[26:27]
	s_and_saveexec_b64 s[24:25], s[22:23]
	s_cbranch_execz .LBB528_306
.LBB528_369:
	v_sub_u32_e32 v22, v47, v78
	v_lshlrev_b32_e32 v22, 3, v22
	ds_write_b64 v22, v[24:25]
	s_or_b64 exec, exec, s[24:25]
	s_and_saveexec_b64 s[22:23], s[20:21]
	s_cbranch_execz .LBB528_307
.LBB528_370:
	v_sub_u32_e32 v22, v46, v78
	v_lshlrev_b32_e32 v22, 3, v22
	ds_write_b64 v22, v[18:19]
	s_or_b64 exec, exec, s[22:23]
	s_and_saveexec_b64 s[20:21], s[18:19]
	s_cbranch_execz .LBB528_308
.LBB528_371:
	v_sub_u32_e32 v18, v45, v78
	v_lshlrev_b32_e32 v18, 3, v18
	ds_write_b64 v18, v[20:21]
	s_or_b64 exec, exec, s[20:21]
	s_and_saveexec_b64 s[18:19], s[16:17]
	s_cbranch_execz .LBB528_309
.LBB528_372:
	v_sub_u32_e32 v18, v44, v78
	v_lshlrev_b32_e32 v18, 3, v18
	ds_write_b64 v18, v[14:15]
	s_or_b64 exec, exec, s[18:19]
	s_and_saveexec_b64 s[16:17], s[14:15]
	s_cbranch_execz .LBB528_310
.LBB528_373:
	v_sub_u32_e32 v14, v43, v78
	v_lshlrev_b32_e32 v14, 3, v14
	ds_write_b64 v14, v[16:17]
	s_or_b64 exec, exec, s[16:17]
	s_and_saveexec_b64 s[14:15], s[12:13]
	s_cbranch_execz .LBB528_311
.LBB528_374:
	v_sub_u32_e32 v14, v42, v78
	v_lshlrev_b32_e32 v14, 3, v14
	ds_write_b64 v14, v[10:11]
	s_or_b64 exec, exec, s[14:15]
	s_and_saveexec_b64 s[12:13], s[10:11]
	s_cbranch_execz .LBB528_312
.LBB528_375:
	v_sub_u32_e32 v10, v41, v78
	v_lshlrev_b32_e32 v10, 3, v10
	ds_write_b64 v10, v[12:13]
	s_or_b64 exec, exec, s[12:13]
	s_and_saveexec_b64 s[10:11], s[8:9]
	s_cbranch_execz .LBB528_313
.LBB528_376:
	v_sub_u32_e32 v10, v40, v78
	v_lshlrev_b32_e32 v10, 3, v10
	ds_write_b64 v10, v[6:7]
	s_or_b64 exec, exec, s[10:11]
	s_and_saveexec_b64 s[8:9], s[6:7]
	s_cbranch_execz .LBB528_314
.LBB528_377:
	v_sub_u32_e32 v6, v39, v78
	v_lshlrev_b32_e32 v6, 3, v6
	ds_write_b64 v6, v[8:9]
	s_or_b64 exec, exec, s[8:9]
	s_and_saveexec_b64 s[6:7], s[4:5]
	s_cbranch_execz .LBB528_315
.LBB528_378:
	v_sub_u32_e32 v6, v38, v78
	v_lshlrev_b32_e32 v6, 3, v6
	ds_write_b64 v6, v[2:3]
	s_or_b64 exec, exec, s[6:7]
	s_and_saveexec_b64 s[4:5], s[2:3]
	s_cbranch_execnz .LBB528_316
	s_branch .LBB528_317
.LBB528_379:
	v_sub_u32_e32 v10, v111, v8
	v_mov_b32_e32 v11, 0
	v_lshlrev_b64 v[10:11], 3, v[10:11]
	v_add_co_u32_e32 v10, vcc, v6, v10
	v_addc_co_u32_e32 v11, vcc, v7, v11, vcc
	global_store_dwordx2 v[10:11], v[104:105], off
	s_or_b64 exec, exec, s[38:39]
	s_and_saveexec_b64 s[38:39], s[26:27]
	s_cbranch_execz .LBB528_321
.LBB528_380:
	v_sub_u32_e32 v10, v49, v8
	v_mov_b32_e32 v11, 0
	v_lshlrev_b64 v[10:11], 3, v[10:11]
	v_add_co_u32_e32 v10, vcc, v6, v10
	v_addc_co_u32_e32 v11, vcc, v7, v11, vcc
	global_store_dwordx2 v[10:11], v[80:81], off
	s_or_b64 exec, exec, s[38:39]
	s_and_saveexec_b64 s[38:39], s[24:25]
	s_cbranch_execz .LBB528_322
.LBB528_381:
	v_sub_u32_e32 v10, v48, v8
	v_mov_b32_e32 v11, 0
	v_lshlrev_b64 v[10:11], 3, v[10:11]
	v_add_co_u32_e32 v10, vcc, v6, v10
	v_addc_co_u32_e32 v11, vcc, v7, v11, vcc
	global_store_dwordx2 v[10:11], v[82:83], off
	s_or_b64 exec, exec, s[38:39]
	s_and_saveexec_b64 s[38:39], s[22:23]
	s_cbranch_execz .LBB528_323
.LBB528_382:
	v_sub_u32_e32 v10, v47, v8
	v_mov_b32_e32 v11, 0
	v_lshlrev_b64 v[10:11], 3, v[10:11]
	v_add_co_u32_e32 v10, vcc, v6, v10
	v_addc_co_u32_e32 v11, vcc, v7, v11, vcc
	global_store_dwordx2 v[10:11], v[84:85], off
	s_or_b64 exec, exec, s[38:39]
	s_and_saveexec_b64 s[38:39], s[20:21]
	s_cbranch_execz .LBB528_324
.LBB528_383:
	v_sub_u32_e32 v10, v46, v8
	v_mov_b32_e32 v11, 0
	v_lshlrev_b64 v[10:11], 3, v[10:11]
	v_add_co_u32_e32 v10, vcc, v6, v10
	v_addc_co_u32_e32 v11, vcc, v7, v11, vcc
	global_store_dwordx2 v[10:11], v[86:87], off
	s_or_b64 exec, exec, s[38:39]
	s_and_saveexec_b64 s[38:39], s[18:19]
	s_cbranch_execz .LBB528_325
.LBB528_384:
	v_sub_u32_e32 v10, v45, v8
	v_mov_b32_e32 v11, 0
	v_lshlrev_b64 v[10:11], 3, v[10:11]
	v_add_co_u32_e32 v10, vcc, v6, v10
	v_addc_co_u32_e32 v11, vcc, v7, v11, vcc
	global_store_dwordx2 v[10:11], v[88:89], off
	s_or_b64 exec, exec, s[38:39]
	s_and_saveexec_b64 s[38:39], s[16:17]
	s_cbranch_execz .LBB528_326
.LBB528_385:
	v_sub_u32_e32 v10, v44, v8
	v_mov_b32_e32 v11, 0
	v_lshlrev_b64 v[10:11], 3, v[10:11]
	v_add_co_u32_e32 v10, vcc, v6, v10
	v_addc_co_u32_e32 v11, vcc, v7, v11, vcc
	global_store_dwordx2 v[10:11], v[90:91], off
	s_or_b64 exec, exec, s[38:39]
	s_and_saveexec_b64 s[38:39], s[14:15]
	s_cbranch_execz .LBB528_327
.LBB528_386:
	v_sub_u32_e32 v10, v43, v8
	v_mov_b32_e32 v11, 0
	v_lshlrev_b64 v[10:11], 3, v[10:11]
	v_add_co_u32_e32 v10, vcc, v6, v10
	v_addc_co_u32_e32 v11, vcc, v7, v11, vcc
	global_store_dwordx2 v[10:11], v[92:93], off
	s_or_b64 exec, exec, s[38:39]
	s_and_saveexec_b64 s[38:39], s[12:13]
	s_cbranch_execz .LBB528_328
.LBB528_387:
	v_sub_u32_e32 v10, v42, v8
	v_mov_b32_e32 v11, 0
	v_lshlrev_b64 v[10:11], 3, v[10:11]
	v_add_co_u32_e32 v10, vcc, v6, v10
	v_addc_co_u32_e32 v11, vcc, v7, v11, vcc
	global_store_dwordx2 v[10:11], v[94:95], off
	s_or_b64 exec, exec, s[38:39]
	s_and_saveexec_b64 s[38:39], s[10:11]
	s_cbranch_execz .LBB528_329
.LBB528_388:
	v_sub_u32_e32 v10, v41, v8
	v_mov_b32_e32 v11, 0
	v_lshlrev_b64 v[10:11], 3, v[10:11]
	v_add_co_u32_e32 v10, vcc, v6, v10
	v_addc_co_u32_e32 v11, vcc, v7, v11, vcc
	global_store_dwordx2 v[10:11], v[96:97], off
	s_or_b64 exec, exec, s[38:39]
	s_and_saveexec_b64 s[38:39], s[8:9]
	s_cbranch_execz .LBB528_330
.LBB528_389:
	v_sub_u32_e32 v10, v40, v8
	v_mov_b32_e32 v11, 0
	v_lshlrev_b64 v[10:11], 3, v[10:11]
	v_add_co_u32_e32 v10, vcc, v6, v10
	v_addc_co_u32_e32 v11, vcc, v7, v11, vcc
	global_store_dwordx2 v[10:11], v[98:99], off
	s_or_b64 exec, exec, s[38:39]
	s_and_saveexec_b64 s[38:39], s[6:7]
	s_cbranch_execz .LBB528_331
.LBB528_390:
	v_sub_u32_e32 v10, v39, v8
	v_mov_b32_e32 v11, 0
	v_lshlrev_b64 v[10:11], 3, v[10:11]
	v_add_co_u32_e32 v10, vcc, v6, v10
	v_addc_co_u32_e32 v11, vcc, v7, v11, vcc
	global_store_dwordx2 v[10:11], v[100:101], off
	s_or_b64 exec, exec, s[38:39]
	s_and_saveexec_b64 s[38:39], s[4:5]
	s_cbranch_execz .LBB528_332
.LBB528_391:
	v_sub_u32_e32 v10, v38, v8
	v_mov_b32_e32 v11, 0
	v_lshlrev_b64 v[10:11], 3, v[10:11]
	v_add_co_u32_e32 v10, vcc, v6, v10
	v_addc_co_u32_e32 v11, vcc, v7, v11, vcc
	global_store_dwordx2 v[10:11], v[102:103], off
	s_or_b64 exec, exec, s[38:39]
	s_and_saveexec_b64 s[38:39], s[2:3]
	s_cbranch_execnz .LBB528_333
	s_branch .LBB528_334
.LBB528_392:
	v_sub_u32_e32 v9, v111, v8
	v_lshlrev_b32_e32 v9, 3, v9
	ds_write_b64 v9, v[104:105]
	s_or_b64 exec, exec, s[38:39]
	s_and_saveexec_b64 s[28:29], s[26:27]
	s_cbranch_execz .LBB528_338
.LBB528_393:
	v_sub_u32_e32 v9, v49, v8
	v_lshlrev_b32_e32 v9, 3, v9
	ds_write_b64 v9, v[80:81]
	s_or_b64 exec, exec, s[28:29]
	s_and_saveexec_b64 s[26:27], s[24:25]
	s_cbranch_execz .LBB528_339
.LBB528_394:
	v_sub_u32_e32 v9, v48, v8
	v_lshlrev_b32_e32 v9, 3, v9
	ds_write_b64 v9, v[82:83]
	s_or_b64 exec, exec, s[26:27]
	s_and_saveexec_b64 s[24:25], s[22:23]
	s_cbranch_execz .LBB528_340
.LBB528_395:
	v_sub_u32_e32 v9, v47, v8
	v_lshlrev_b32_e32 v9, 3, v9
	ds_write_b64 v9, v[84:85]
	s_or_b64 exec, exec, s[24:25]
	s_and_saveexec_b64 s[22:23], s[20:21]
	s_cbranch_execz .LBB528_341
.LBB528_396:
	v_sub_u32_e32 v9, v46, v8
	v_lshlrev_b32_e32 v9, 3, v9
	ds_write_b64 v9, v[86:87]
	s_or_b64 exec, exec, s[22:23]
	s_and_saveexec_b64 s[20:21], s[18:19]
	s_cbranch_execz .LBB528_342
.LBB528_397:
	v_sub_u32_e32 v9, v45, v8
	v_lshlrev_b32_e32 v9, 3, v9
	ds_write_b64 v9, v[88:89]
	s_or_b64 exec, exec, s[20:21]
	s_and_saveexec_b64 s[18:19], s[16:17]
	s_cbranch_execz .LBB528_343
.LBB528_398:
	v_sub_u32_e32 v9, v44, v8
	v_lshlrev_b32_e32 v9, 3, v9
	ds_write_b64 v9, v[90:91]
	s_or_b64 exec, exec, s[18:19]
	s_and_saveexec_b64 s[16:17], s[14:15]
	s_cbranch_execz .LBB528_344
.LBB528_399:
	v_sub_u32_e32 v9, v43, v8
	v_lshlrev_b32_e32 v9, 3, v9
	ds_write_b64 v9, v[92:93]
	s_or_b64 exec, exec, s[16:17]
	s_and_saveexec_b64 s[14:15], s[12:13]
	s_cbranch_execz .LBB528_345
.LBB528_400:
	v_sub_u32_e32 v9, v42, v8
	v_lshlrev_b32_e32 v9, 3, v9
	ds_write_b64 v9, v[94:95]
	s_or_b64 exec, exec, s[14:15]
	s_and_saveexec_b64 s[12:13], s[10:11]
	s_cbranch_execz .LBB528_346
.LBB528_401:
	v_sub_u32_e32 v9, v41, v8
	v_lshlrev_b32_e32 v9, 3, v9
	ds_write_b64 v9, v[96:97]
	s_or_b64 exec, exec, s[12:13]
	s_and_saveexec_b64 s[10:11], s[8:9]
	s_cbranch_execz .LBB528_347
.LBB528_402:
	v_sub_u32_e32 v9, v40, v8
	v_lshlrev_b32_e32 v9, 3, v9
	ds_write_b64 v9, v[98:99]
	s_or_b64 exec, exec, s[10:11]
	s_and_saveexec_b64 s[8:9], s[6:7]
	s_cbranch_execz .LBB528_348
.LBB528_403:
	v_sub_u32_e32 v9, v39, v8
	v_lshlrev_b32_e32 v9, 3, v9
	ds_write_b64 v9, v[100:101]
	s_or_b64 exec, exec, s[8:9]
	s_and_saveexec_b64 s[6:7], s[4:5]
	s_cbranch_execz .LBB528_349
.LBB528_404:
	v_sub_u32_e32 v9, v38, v8
	v_lshlrev_b32_e32 v9, 3, v9
	ds_write_b64 v9, v[102:103]
	s_or_b64 exec, exec, s[6:7]
	s_and_saveexec_b64 s[4:5], s[2:3]
	s_cbranch_execnz .LBB528_350
	s_branch .LBB528_351
	.section	.rodata,"a",@progbits
	.p2align	6, 0x0
	.amdhsa_kernel _ZN7rocprim17ROCPRIM_400000_NS6detail17trampoline_kernelINS0_14default_configENS1_29reduce_by_key_config_selectorIxxN6thrust23THRUST_200600_302600_NS4plusIxEEEEZZNS1_33reduce_by_key_impl_wrapped_configILNS1_25lookback_scan_determinismE0ES3_S9_NS6_6detail15normal_iteratorINS6_10device_ptrIxEEEESG_SG_SG_PmS8_22is_equal_div_10_reduceIxEEE10hipError_tPvRmT2_T3_mT4_T5_T6_T7_T8_P12ihipStream_tbENKUlT_T0_E_clISt17integral_constantIbLb1EES10_IbLb0EEEEDaSW_SX_EUlSW_E_NS1_11comp_targetILNS1_3genE4ELNS1_11target_archE910ELNS1_3gpuE8ELNS1_3repE0EEENS1_30default_config_static_selectorELNS0_4arch9wavefront6targetE1EEEvT1_
		.amdhsa_group_segment_fixed_size 30720
		.amdhsa_private_segment_fixed_size 0
		.amdhsa_kernarg_size 136
		.amdhsa_user_sgpr_count 6
		.amdhsa_user_sgpr_private_segment_buffer 1
		.amdhsa_user_sgpr_dispatch_ptr 0
		.amdhsa_user_sgpr_queue_ptr 0
		.amdhsa_user_sgpr_kernarg_segment_ptr 1
		.amdhsa_user_sgpr_dispatch_id 0
		.amdhsa_user_sgpr_flat_scratch_init 0
		.amdhsa_user_sgpr_kernarg_preload_length 0
		.amdhsa_user_sgpr_kernarg_preload_offset 0
		.amdhsa_user_sgpr_private_segment_size 0
		.amdhsa_uses_dynamic_stack 0
		.amdhsa_system_sgpr_private_segment_wavefront_offset 0
		.amdhsa_system_sgpr_workgroup_id_x 1
		.amdhsa_system_sgpr_workgroup_id_y 0
		.amdhsa_system_sgpr_workgroup_id_z 0
		.amdhsa_system_sgpr_workgroup_info 0
		.amdhsa_system_vgpr_workitem_id 0
		.amdhsa_next_free_vgpr 116
		.amdhsa_next_free_sgpr 65
		.amdhsa_accum_offset 116
		.amdhsa_reserve_vcc 1
		.amdhsa_reserve_flat_scratch 0
		.amdhsa_float_round_mode_32 0
		.amdhsa_float_round_mode_16_64 0
		.amdhsa_float_denorm_mode_32 3
		.amdhsa_float_denorm_mode_16_64 3
		.amdhsa_dx10_clamp 1
		.amdhsa_ieee_mode 1
		.amdhsa_fp16_overflow 0
		.amdhsa_tg_split 0
		.amdhsa_exception_fp_ieee_invalid_op 0
		.amdhsa_exception_fp_denorm_src 0
		.amdhsa_exception_fp_ieee_div_zero 0
		.amdhsa_exception_fp_ieee_overflow 0
		.amdhsa_exception_fp_ieee_underflow 0
		.amdhsa_exception_fp_ieee_inexact 0
		.amdhsa_exception_int_div_zero 0
	.end_amdhsa_kernel
	.section	.text._ZN7rocprim17ROCPRIM_400000_NS6detail17trampoline_kernelINS0_14default_configENS1_29reduce_by_key_config_selectorIxxN6thrust23THRUST_200600_302600_NS4plusIxEEEEZZNS1_33reduce_by_key_impl_wrapped_configILNS1_25lookback_scan_determinismE0ES3_S9_NS6_6detail15normal_iteratorINS6_10device_ptrIxEEEESG_SG_SG_PmS8_22is_equal_div_10_reduceIxEEE10hipError_tPvRmT2_T3_mT4_T5_T6_T7_T8_P12ihipStream_tbENKUlT_T0_E_clISt17integral_constantIbLb1EES10_IbLb0EEEEDaSW_SX_EUlSW_E_NS1_11comp_targetILNS1_3genE4ELNS1_11target_archE910ELNS1_3gpuE8ELNS1_3repE0EEENS1_30default_config_static_selectorELNS0_4arch9wavefront6targetE1EEEvT1_,"axG",@progbits,_ZN7rocprim17ROCPRIM_400000_NS6detail17trampoline_kernelINS0_14default_configENS1_29reduce_by_key_config_selectorIxxN6thrust23THRUST_200600_302600_NS4plusIxEEEEZZNS1_33reduce_by_key_impl_wrapped_configILNS1_25lookback_scan_determinismE0ES3_S9_NS6_6detail15normal_iteratorINS6_10device_ptrIxEEEESG_SG_SG_PmS8_22is_equal_div_10_reduceIxEEE10hipError_tPvRmT2_T3_mT4_T5_T6_T7_T8_P12ihipStream_tbENKUlT_T0_E_clISt17integral_constantIbLb1EES10_IbLb0EEEEDaSW_SX_EUlSW_E_NS1_11comp_targetILNS1_3genE4ELNS1_11target_archE910ELNS1_3gpuE8ELNS1_3repE0EEENS1_30default_config_static_selectorELNS0_4arch9wavefront6targetE1EEEvT1_,comdat
.Lfunc_end528:
	.size	_ZN7rocprim17ROCPRIM_400000_NS6detail17trampoline_kernelINS0_14default_configENS1_29reduce_by_key_config_selectorIxxN6thrust23THRUST_200600_302600_NS4plusIxEEEEZZNS1_33reduce_by_key_impl_wrapped_configILNS1_25lookback_scan_determinismE0ES3_S9_NS6_6detail15normal_iteratorINS6_10device_ptrIxEEEESG_SG_SG_PmS8_22is_equal_div_10_reduceIxEEE10hipError_tPvRmT2_T3_mT4_T5_T6_T7_T8_P12ihipStream_tbENKUlT_T0_E_clISt17integral_constantIbLb1EES10_IbLb0EEEEDaSW_SX_EUlSW_E_NS1_11comp_targetILNS1_3genE4ELNS1_11target_archE910ELNS1_3gpuE8ELNS1_3repE0EEENS1_30default_config_static_selectorELNS0_4arch9wavefront6targetE1EEEvT1_, .Lfunc_end528-_ZN7rocprim17ROCPRIM_400000_NS6detail17trampoline_kernelINS0_14default_configENS1_29reduce_by_key_config_selectorIxxN6thrust23THRUST_200600_302600_NS4plusIxEEEEZZNS1_33reduce_by_key_impl_wrapped_configILNS1_25lookback_scan_determinismE0ES3_S9_NS6_6detail15normal_iteratorINS6_10device_ptrIxEEEESG_SG_SG_PmS8_22is_equal_div_10_reduceIxEEE10hipError_tPvRmT2_T3_mT4_T5_T6_T7_T8_P12ihipStream_tbENKUlT_T0_E_clISt17integral_constantIbLb1EES10_IbLb0EEEEDaSW_SX_EUlSW_E_NS1_11comp_targetILNS1_3genE4ELNS1_11target_archE910ELNS1_3gpuE8ELNS1_3repE0EEENS1_30default_config_static_selectorELNS0_4arch9wavefront6targetE1EEEvT1_
                                        ; -- End function
	.section	.AMDGPU.csdata,"",@progbits
; Kernel info:
; codeLenInByte = 18960
; NumSgprs: 69
; NumVgprs: 116
; NumAgprs: 0
; TotalNumVgprs: 116
; ScratchSize: 0
; MemoryBound: 0
; FloatMode: 240
; IeeeMode: 1
; LDSByteSize: 30720 bytes/workgroup (compile time only)
; SGPRBlocks: 8
; VGPRBlocks: 14
; NumSGPRsForWavesPerEU: 69
; NumVGPRsForWavesPerEU: 116
; AccumOffset: 116
; Occupancy: 2
; WaveLimiterHint : 1
; COMPUTE_PGM_RSRC2:SCRATCH_EN: 0
; COMPUTE_PGM_RSRC2:USER_SGPR: 6
; COMPUTE_PGM_RSRC2:TRAP_HANDLER: 0
; COMPUTE_PGM_RSRC2:TGID_X_EN: 1
; COMPUTE_PGM_RSRC2:TGID_Y_EN: 0
; COMPUTE_PGM_RSRC2:TGID_Z_EN: 0
; COMPUTE_PGM_RSRC2:TIDIG_COMP_CNT: 0
; COMPUTE_PGM_RSRC3_GFX90A:ACCUM_OFFSET: 28
; COMPUTE_PGM_RSRC3_GFX90A:TG_SPLIT: 0
	.section	.text._ZN7rocprim17ROCPRIM_400000_NS6detail17trampoline_kernelINS0_14default_configENS1_29reduce_by_key_config_selectorIxxN6thrust23THRUST_200600_302600_NS4plusIxEEEEZZNS1_33reduce_by_key_impl_wrapped_configILNS1_25lookback_scan_determinismE0ES3_S9_NS6_6detail15normal_iteratorINS6_10device_ptrIxEEEESG_SG_SG_PmS8_22is_equal_div_10_reduceIxEEE10hipError_tPvRmT2_T3_mT4_T5_T6_T7_T8_P12ihipStream_tbENKUlT_T0_E_clISt17integral_constantIbLb1EES10_IbLb0EEEEDaSW_SX_EUlSW_E_NS1_11comp_targetILNS1_3genE3ELNS1_11target_archE908ELNS1_3gpuE7ELNS1_3repE0EEENS1_30default_config_static_selectorELNS0_4arch9wavefront6targetE1EEEvT1_,"axG",@progbits,_ZN7rocprim17ROCPRIM_400000_NS6detail17trampoline_kernelINS0_14default_configENS1_29reduce_by_key_config_selectorIxxN6thrust23THRUST_200600_302600_NS4plusIxEEEEZZNS1_33reduce_by_key_impl_wrapped_configILNS1_25lookback_scan_determinismE0ES3_S9_NS6_6detail15normal_iteratorINS6_10device_ptrIxEEEESG_SG_SG_PmS8_22is_equal_div_10_reduceIxEEE10hipError_tPvRmT2_T3_mT4_T5_T6_T7_T8_P12ihipStream_tbENKUlT_T0_E_clISt17integral_constantIbLb1EES10_IbLb0EEEEDaSW_SX_EUlSW_E_NS1_11comp_targetILNS1_3genE3ELNS1_11target_archE908ELNS1_3gpuE7ELNS1_3repE0EEENS1_30default_config_static_selectorELNS0_4arch9wavefront6targetE1EEEvT1_,comdat
	.protected	_ZN7rocprim17ROCPRIM_400000_NS6detail17trampoline_kernelINS0_14default_configENS1_29reduce_by_key_config_selectorIxxN6thrust23THRUST_200600_302600_NS4plusIxEEEEZZNS1_33reduce_by_key_impl_wrapped_configILNS1_25lookback_scan_determinismE0ES3_S9_NS6_6detail15normal_iteratorINS6_10device_ptrIxEEEESG_SG_SG_PmS8_22is_equal_div_10_reduceIxEEE10hipError_tPvRmT2_T3_mT4_T5_T6_T7_T8_P12ihipStream_tbENKUlT_T0_E_clISt17integral_constantIbLb1EES10_IbLb0EEEEDaSW_SX_EUlSW_E_NS1_11comp_targetILNS1_3genE3ELNS1_11target_archE908ELNS1_3gpuE7ELNS1_3repE0EEENS1_30default_config_static_selectorELNS0_4arch9wavefront6targetE1EEEvT1_ ; -- Begin function _ZN7rocprim17ROCPRIM_400000_NS6detail17trampoline_kernelINS0_14default_configENS1_29reduce_by_key_config_selectorIxxN6thrust23THRUST_200600_302600_NS4plusIxEEEEZZNS1_33reduce_by_key_impl_wrapped_configILNS1_25lookback_scan_determinismE0ES3_S9_NS6_6detail15normal_iteratorINS6_10device_ptrIxEEEESG_SG_SG_PmS8_22is_equal_div_10_reduceIxEEE10hipError_tPvRmT2_T3_mT4_T5_T6_T7_T8_P12ihipStream_tbENKUlT_T0_E_clISt17integral_constantIbLb1EES10_IbLb0EEEEDaSW_SX_EUlSW_E_NS1_11comp_targetILNS1_3genE3ELNS1_11target_archE908ELNS1_3gpuE7ELNS1_3repE0EEENS1_30default_config_static_selectorELNS0_4arch9wavefront6targetE1EEEvT1_
	.globl	_ZN7rocprim17ROCPRIM_400000_NS6detail17trampoline_kernelINS0_14default_configENS1_29reduce_by_key_config_selectorIxxN6thrust23THRUST_200600_302600_NS4plusIxEEEEZZNS1_33reduce_by_key_impl_wrapped_configILNS1_25lookback_scan_determinismE0ES3_S9_NS6_6detail15normal_iteratorINS6_10device_ptrIxEEEESG_SG_SG_PmS8_22is_equal_div_10_reduceIxEEE10hipError_tPvRmT2_T3_mT4_T5_T6_T7_T8_P12ihipStream_tbENKUlT_T0_E_clISt17integral_constantIbLb1EES10_IbLb0EEEEDaSW_SX_EUlSW_E_NS1_11comp_targetILNS1_3genE3ELNS1_11target_archE908ELNS1_3gpuE7ELNS1_3repE0EEENS1_30default_config_static_selectorELNS0_4arch9wavefront6targetE1EEEvT1_
	.p2align	8
	.type	_ZN7rocprim17ROCPRIM_400000_NS6detail17trampoline_kernelINS0_14default_configENS1_29reduce_by_key_config_selectorIxxN6thrust23THRUST_200600_302600_NS4plusIxEEEEZZNS1_33reduce_by_key_impl_wrapped_configILNS1_25lookback_scan_determinismE0ES3_S9_NS6_6detail15normal_iteratorINS6_10device_ptrIxEEEESG_SG_SG_PmS8_22is_equal_div_10_reduceIxEEE10hipError_tPvRmT2_T3_mT4_T5_T6_T7_T8_P12ihipStream_tbENKUlT_T0_E_clISt17integral_constantIbLb1EES10_IbLb0EEEEDaSW_SX_EUlSW_E_NS1_11comp_targetILNS1_3genE3ELNS1_11target_archE908ELNS1_3gpuE7ELNS1_3repE0EEENS1_30default_config_static_selectorELNS0_4arch9wavefront6targetE1EEEvT1_,@function
_ZN7rocprim17ROCPRIM_400000_NS6detail17trampoline_kernelINS0_14default_configENS1_29reduce_by_key_config_selectorIxxN6thrust23THRUST_200600_302600_NS4plusIxEEEEZZNS1_33reduce_by_key_impl_wrapped_configILNS1_25lookback_scan_determinismE0ES3_S9_NS6_6detail15normal_iteratorINS6_10device_ptrIxEEEESG_SG_SG_PmS8_22is_equal_div_10_reduceIxEEE10hipError_tPvRmT2_T3_mT4_T5_T6_T7_T8_P12ihipStream_tbENKUlT_T0_E_clISt17integral_constantIbLb1EES10_IbLb0EEEEDaSW_SX_EUlSW_E_NS1_11comp_targetILNS1_3genE3ELNS1_11target_archE908ELNS1_3gpuE7ELNS1_3repE0EEENS1_30default_config_static_selectorELNS0_4arch9wavefront6targetE1EEEvT1_: ; @_ZN7rocprim17ROCPRIM_400000_NS6detail17trampoline_kernelINS0_14default_configENS1_29reduce_by_key_config_selectorIxxN6thrust23THRUST_200600_302600_NS4plusIxEEEEZZNS1_33reduce_by_key_impl_wrapped_configILNS1_25lookback_scan_determinismE0ES3_S9_NS6_6detail15normal_iteratorINS6_10device_ptrIxEEEESG_SG_SG_PmS8_22is_equal_div_10_reduceIxEEE10hipError_tPvRmT2_T3_mT4_T5_T6_T7_T8_P12ihipStream_tbENKUlT_T0_E_clISt17integral_constantIbLb1EES10_IbLb0EEEEDaSW_SX_EUlSW_E_NS1_11comp_targetILNS1_3genE3ELNS1_11target_archE908ELNS1_3gpuE7ELNS1_3repE0EEENS1_30default_config_static_selectorELNS0_4arch9wavefront6targetE1EEEvT1_
; %bb.0:
	.section	.rodata,"a",@progbits
	.p2align	6, 0x0
	.amdhsa_kernel _ZN7rocprim17ROCPRIM_400000_NS6detail17trampoline_kernelINS0_14default_configENS1_29reduce_by_key_config_selectorIxxN6thrust23THRUST_200600_302600_NS4plusIxEEEEZZNS1_33reduce_by_key_impl_wrapped_configILNS1_25lookback_scan_determinismE0ES3_S9_NS6_6detail15normal_iteratorINS6_10device_ptrIxEEEESG_SG_SG_PmS8_22is_equal_div_10_reduceIxEEE10hipError_tPvRmT2_T3_mT4_T5_T6_T7_T8_P12ihipStream_tbENKUlT_T0_E_clISt17integral_constantIbLb1EES10_IbLb0EEEEDaSW_SX_EUlSW_E_NS1_11comp_targetILNS1_3genE3ELNS1_11target_archE908ELNS1_3gpuE7ELNS1_3repE0EEENS1_30default_config_static_selectorELNS0_4arch9wavefront6targetE1EEEvT1_
		.amdhsa_group_segment_fixed_size 0
		.amdhsa_private_segment_fixed_size 0
		.amdhsa_kernarg_size 136
		.amdhsa_user_sgpr_count 6
		.amdhsa_user_sgpr_private_segment_buffer 1
		.amdhsa_user_sgpr_dispatch_ptr 0
		.amdhsa_user_sgpr_queue_ptr 0
		.amdhsa_user_sgpr_kernarg_segment_ptr 1
		.amdhsa_user_sgpr_dispatch_id 0
		.amdhsa_user_sgpr_flat_scratch_init 0
		.amdhsa_user_sgpr_kernarg_preload_length 0
		.amdhsa_user_sgpr_kernarg_preload_offset 0
		.amdhsa_user_sgpr_private_segment_size 0
		.amdhsa_uses_dynamic_stack 0
		.amdhsa_system_sgpr_private_segment_wavefront_offset 0
		.amdhsa_system_sgpr_workgroup_id_x 1
		.amdhsa_system_sgpr_workgroup_id_y 0
		.amdhsa_system_sgpr_workgroup_id_z 0
		.amdhsa_system_sgpr_workgroup_info 0
		.amdhsa_system_vgpr_workitem_id 0
		.amdhsa_next_free_vgpr 1
		.amdhsa_next_free_sgpr 0
		.amdhsa_accum_offset 4
		.amdhsa_reserve_vcc 0
		.amdhsa_reserve_flat_scratch 0
		.amdhsa_float_round_mode_32 0
		.amdhsa_float_round_mode_16_64 0
		.amdhsa_float_denorm_mode_32 3
		.amdhsa_float_denorm_mode_16_64 3
		.amdhsa_dx10_clamp 1
		.amdhsa_ieee_mode 1
		.amdhsa_fp16_overflow 0
		.amdhsa_tg_split 0
		.amdhsa_exception_fp_ieee_invalid_op 0
		.amdhsa_exception_fp_denorm_src 0
		.amdhsa_exception_fp_ieee_div_zero 0
		.amdhsa_exception_fp_ieee_overflow 0
		.amdhsa_exception_fp_ieee_underflow 0
		.amdhsa_exception_fp_ieee_inexact 0
		.amdhsa_exception_int_div_zero 0
	.end_amdhsa_kernel
	.section	.text._ZN7rocprim17ROCPRIM_400000_NS6detail17trampoline_kernelINS0_14default_configENS1_29reduce_by_key_config_selectorIxxN6thrust23THRUST_200600_302600_NS4plusIxEEEEZZNS1_33reduce_by_key_impl_wrapped_configILNS1_25lookback_scan_determinismE0ES3_S9_NS6_6detail15normal_iteratorINS6_10device_ptrIxEEEESG_SG_SG_PmS8_22is_equal_div_10_reduceIxEEE10hipError_tPvRmT2_T3_mT4_T5_T6_T7_T8_P12ihipStream_tbENKUlT_T0_E_clISt17integral_constantIbLb1EES10_IbLb0EEEEDaSW_SX_EUlSW_E_NS1_11comp_targetILNS1_3genE3ELNS1_11target_archE908ELNS1_3gpuE7ELNS1_3repE0EEENS1_30default_config_static_selectorELNS0_4arch9wavefront6targetE1EEEvT1_,"axG",@progbits,_ZN7rocprim17ROCPRIM_400000_NS6detail17trampoline_kernelINS0_14default_configENS1_29reduce_by_key_config_selectorIxxN6thrust23THRUST_200600_302600_NS4plusIxEEEEZZNS1_33reduce_by_key_impl_wrapped_configILNS1_25lookback_scan_determinismE0ES3_S9_NS6_6detail15normal_iteratorINS6_10device_ptrIxEEEESG_SG_SG_PmS8_22is_equal_div_10_reduceIxEEE10hipError_tPvRmT2_T3_mT4_T5_T6_T7_T8_P12ihipStream_tbENKUlT_T0_E_clISt17integral_constantIbLb1EES10_IbLb0EEEEDaSW_SX_EUlSW_E_NS1_11comp_targetILNS1_3genE3ELNS1_11target_archE908ELNS1_3gpuE7ELNS1_3repE0EEENS1_30default_config_static_selectorELNS0_4arch9wavefront6targetE1EEEvT1_,comdat
.Lfunc_end529:
	.size	_ZN7rocprim17ROCPRIM_400000_NS6detail17trampoline_kernelINS0_14default_configENS1_29reduce_by_key_config_selectorIxxN6thrust23THRUST_200600_302600_NS4plusIxEEEEZZNS1_33reduce_by_key_impl_wrapped_configILNS1_25lookback_scan_determinismE0ES3_S9_NS6_6detail15normal_iteratorINS6_10device_ptrIxEEEESG_SG_SG_PmS8_22is_equal_div_10_reduceIxEEE10hipError_tPvRmT2_T3_mT4_T5_T6_T7_T8_P12ihipStream_tbENKUlT_T0_E_clISt17integral_constantIbLb1EES10_IbLb0EEEEDaSW_SX_EUlSW_E_NS1_11comp_targetILNS1_3genE3ELNS1_11target_archE908ELNS1_3gpuE7ELNS1_3repE0EEENS1_30default_config_static_selectorELNS0_4arch9wavefront6targetE1EEEvT1_, .Lfunc_end529-_ZN7rocprim17ROCPRIM_400000_NS6detail17trampoline_kernelINS0_14default_configENS1_29reduce_by_key_config_selectorIxxN6thrust23THRUST_200600_302600_NS4plusIxEEEEZZNS1_33reduce_by_key_impl_wrapped_configILNS1_25lookback_scan_determinismE0ES3_S9_NS6_6detail15normal_iteratorINS6_10device_ptrIxEEEESG_SG_SG_PmS8_22is_equal_div_10_reduceIxEEE10hipError_tPvRmT2_T3_mT4_T5_T6_T7_T8_P12ihipStream_tbENKUlT_T0_E_clISt17integral_constantIbLb1EES10_IbLb0EEEEDaSW_SX_EUlSW_E_NS1_11comp_targetILNS1_3genE3ELNS1_11target_archE908ELNS1_3gpuE7ELNS1_3repE0EEENS1_30default_config_static_selectorELNS0_4arch9wavefront6targetE1EEEvT1_
                                        ; -- End function
	.section	.AMDGPU.csdata,"",@progbits
; Kernel info:
; codeLenInByte = 0
; NumSgprs: 4
; NumVgprs: 0
; NumAgprs: 0
; TotalNumVgprs: 0
; ScratchSize: 0
; MemoryBound: 0
; FloatMode: 240
; IeeeMode: 1
; LDSByteSize: 0 bytes/workgroup (compile time only)
; SGPRBlocks: 0
; VGPRBlocks: 0
; NumSGPRsForWavesPerEU: 4
; NumVGPRsForWavesPerEU: 1
; AccumOffset: 4
; Occupancy: 8
; WaveLimiterHint : 0
; COMPUTE_PGM_RSRC2:SCRATCH_EN: 0
; COMPUTE_PGM_RSRC2:USER_SGPR: 6
; COMPUTE_PGM_RSRC2:TRAP_HANDLER: 0
; COMPUTE_PGM_RSRC2:TGID_X_EN: 1
; COMPUTE_PGM_RSRC2:TGID_Y_EN: 0
; COMPUTE_PGM_RSRC2:TGID_Z_EN: 0
; COMPUTE_PGM_RSRC2:TIDIG_COMP_CNT: 0
; COMPUTE_PGM_RSRC3_GFX90A:ACCUM_OFFSET: 0
; COMPUTE_PGM_RSRC3_GFX90A:TG_SPLIT: 0
	.section	.text._ZN7rocprim17ROCPRIM_400000_NS6detail17trampoline_kernelINS0_14default_configENS1_29reduce_by_key_config_selectorIxxN6thrust23THRUST_200600_302600_NS4plusIxEEEEZZNS1_33reduce_by_key_impl_wrapped_configILNS1_25lookback_scan_determinismE0ES3_S9_NS6_6detail15normal_iteratorINS6_10device_ptrIxEEEESG_SG_SG_PmS8_22is_equal_div_10_reduceIxEEE10hipError_tPvRmT2_T3_mT4_T5_T6_T7_T8_P12ihipStream_tbENKUlT_T0_E_clISt17integral_constantIbLb1EES10_IbLb0EEEEDaSW_SX_EUlSW_E_NS1_11comp_targetILNS1_3genE2ELNS1_11target_archE906ELNS1_3gpuE6ELNS1_3repE0EEENS1_30default_config_static_selectorELNS0_4arch9wavefront6targetE1EEEvT1_,"axG",@progbits,_ZN7rocprim17ROCPRIM_400000_NS6detail17trampoline_kernelINS0_14default_configENS1_29reduce_by_key_config_selectorIxxN6thrust23THRUST_200600_302600_NS4plusIxEEEEZZNS1_33reduce_by_key_impl_wrapped_configILNS1_25lookback_scan_determinismE0ES3_S9_NS6_6detail15normal_iteratorINS6_10device_ptrIxEEEESG_SG_SG_PmS8_22is_equal_div_10_reduceIxEEE10hipError_tPvRmT2_T3_mT4_T5_T6_T7_T8_P12ihipStream_tbENKUlT_T0_E_clISt17integral_constantIbLb1EES10_IbLb0EEEEDaSW_SX_EUlSW_E_NS1_11comp_targetILNS1_3genE2ELNS1_11target_archE906ELNS1_3gpuE6ELNS1_3repE0EEENS1_30default_config_static_selectorELNS0_4arch9wavefront6targetE1EEEvT1_,comdat
	.protected	_ZN7rocprim17ROCPRIM_400000_NS6detail17trampoline_kernelINS0_14default_configENS1_29reduce_by_key_config_selectorIxxN6thrust23THRUST_200600_302600_NS4plusIxEEEEZZNS1_33reduce_by_key_impl_wrapped_configILNS1_25lookback_scan_determinismE0ES3_S9_NS6_6detail15normal_iteratorINS6_10device_ptrIxEEEESG_SG_SG_PmS8_22is_equal_div_10_reduceIxEEE10hipError_tPvRmT2_T3_mT4_T5_T6_T7_T8_P12ihipStream_tbENKUlT_T0_E_clISt17integral_constantIbLb1EES10_IbLb0EEEEDaSW_SX_EUlSW_E_NS1_11comp_targetILNS1_3genE2ELNS1_11target_archE906ELNS1_3gpuE6ELNS1_3repE0EEENS1_30default_config_static_selectorELNS0_4arch9wavefront6targetE1EEEvT1_ ; -- Begin function _ZN7rocprim17ROCPRIM_400000_NS6detail17trampoline_kernelINS0_14default_configENS1_29reduce_by_key_config_selectorIxxN6thrust23THRUST_200600_302600_NS4plusIxEEEEZZNS1_33reduce_by_key_impl_wrapped_configILNS1_25lookback_scan_determinismE0ES3_S9_NS6_6detail15normal_iteratorINS6_10device_ptrIxEEEESG_SG_SG_PmS8_22is_equal_div_10_reduceIxEEE10hipError_tPvRmT2_T3_mT4_T5_T6_T7_T8_P12ihipStream_tbENKUlT_T0_E_clISt17integral_constantIbLb1EES10_IbLb0EEEEDaSW_SX_EUlSW_E_NS1_11comp_targetILNS1_3genE2ELNS1_11target_archE906ELNS1_3gpuE6ELNS1_3repE0EEENS1_30default_config_static_selectorELNS0_4arch9wavefront6targetE1EEEvT1_
	.globl	_ZN7rocprim17ROCPRIM_400000_NS6detail17trampoline_kernelINS0_14default_configENS1_29reduce_by_key_config_selectorIxxN6thrust23THRUST_200600_302600_NS4plusIxEEEEZZNS1_33reduce_by_key_impl_wrapped_configILNS1_25lookback_scan_determinismE0ES3_S9_NS6_6detail15normal_iteratorINS6_10device_ptrIxEEEESG_SG_SG_PmS8_22is_equal_div_10_reduceIxEEE10hipError_tPvRmT2_T3_mT4_T5_T6_T7_T8_P12ihipStream_tbENKUlT_T0_E_clISt17integral_constantIbLb1EES10_IbLb0EEEEDaSW_SX_EUlSW_E_NS1_11comp_targetILNS1_3genE2ELNS1_11target_archE906ELNS1_3gpuE6ELNS1_3repE0EEENS1_30default_config_static_selectorELNS0_4arch9wavefront6targetE1EEEvT1_
	.p2align	8
	.type	_ZN7rocprim17ROCPRIM_400000_NS6detail17trampoline_kernelINS0_14default_configENS1_29reduce_by_key_config_selectorIxxN6thrust23THRUST_200600_302600_NS4plusIxEEEEZZNS1_33reduce_by_key_impl_wrapped_configILNS1_25lookback_scan_determinismE0ES3_S9_NS6_6detail15normal_iteratorINS6_10device_ptrIxEEEESG_SG_SG_PmS8_22is_equal_div_10_reduceIxEEE10hipError_tPvRmT2_T3_mT4_T5_T6_T7_T8_P12ihipStream_tbENKUlT_T0_E_clISt17integral_constantIbLb1EES10_IbLb0EEEEDaSW_SX_EUlSW_E_NS1_11comp_targetILNS1_3genE2ELNS1_11target_archE906ELNS1_3gpuE6ELNS1_3repE0EEENS1_30default_config_static_selectorELNS0_4arch9wavefront6targetE1EEEvT1_,@function
_ZN7rocprim17ROCPRIM_400000_NS6detail17trampoline_kernelINS0_14default_configENS1_29reduce_by_key_config_selectorIxxN6thrust23THRUST_200600_302600_NS4plusIxEEEEZZNS1_33reduce_by_key_impl_wrapped_configILNS1_25lookback_scan_determinismE0ES3_S9_NS6_6detail15normal_iteratorINS6_10device_ptrIxEEEESG_SG_SG_PmS8_22is_equal_div_10_reduceIxEEE10hipError_tPvRmT2_T3_mT4_T5_T6_T7_T8_P12ihipStream_tbENKUlT_T0_E_clISt17integral_constantIbLb1EES10_IbLb0EEEEDaSW_SX_EUlSW_E_NS1_11comp_targetILNS1_3genE2ELNS1_11target_archE906ELNS1_3gpuE6ELNS1_3repE0EEENS1_30default_config_static_selectorELNS0_4arch9wavefront6targetE1EEEvT1_: ; @_ZN7rocprim17ROCPRIM_400000_NS6detail17trampoline_kernelINS0_14default_configENS1_29reduce_by_key_config_selectorIxxN6thrust23THRUST_200600_302600_NS4plusIxEEEEZZNS1_33reduce_by_key_impl_wrapped_configILNS1_25lookback_scan_determinismE0ES3_S9_NS6_6detail15normal_iteratorINS6_10device_ptrIxEEEESG_SG_SG_PmS8_22is_equal_div_10_reduceIxEEE10hipError_tPvRmT2_T3_mT4_T5_T6_T7_T8_P12ihipStream_tbENKUlT_T0_E_clISt17integral_constantIbLb1EES10_IbLb0EEEEDaSW_SX_EUlSW_E_NS1_11comp_targetILNS1_3genE2ELNS1_11target_archE906ELNS1_3gpuE6ELNS1_3repE0EEENS1_30default_config_static_selectorELNS0_4arch9wavefront6targetE1EEEvT1_
; %bb.0:
	.section	.rodata,"a",@progbits
	.p2align	6, 0x0
	.amdhsa_kernel _ZN7rocprim17ROCPRIM_400000_NS6detail17trampoline_kernelINS0_14default_configENS1_29reduce_by_key_config_selectorIxxN6thrust23THRUST_200600_302600_NS4plusIxEEEEZZNS1_33reduce_by_key_impl_wrapped_configILNS1_25lookback_scan_determinismE0ES3_S9_NS6_6detail15normal_iteratorINS6_10device_ptrIxEEEESG_SG_SG_PmS8_22is_equal_div_10_reduceIxEEE10hipError_tPvRmT2_T3_mT4_T5_T6_T7_T8_P12ihipStream_tbENKUlT_T0_E_clISt17integral_constantIbLb1EES10_IbLb0EEEEDaSW_SX_EUlSW_E_NS1_11comp_targetILNS1_3genE2ELNS1_11target_archE906ELNS1_3gpuE6ELNS1_3repE0EEENS1_30default_config_static_selectorELNS0_4arch9wavefront6targetE1EEEvT1_
		.amdhsa_group_segment_fixed_size 0
		.amdhsa_private_segment_fixed_size 0
		.amdhsa_kernarg_size 136
		.amdhsa_user_sgpr_count 6
		.amdhsa_user_sgpr_private_segment_buffer 1
		.amdhsa_user_sgpr_dispatch_ptr 0
		.amdhsa_user_sgpr_queue_ptr 0
		.amdhsa_user_sgpr_kernarg_segment_ptr 1
		.amdhsa_user_sgpr_dispatch_id 0
		.amdhsa_user_sgpr_flat_scratch_init 0
		.amdhsa_user_sgpr_kernarg_preload_length 0
		.amdhsa_user_sgpr_kernarg_preload_offset 0
		.amdhsa_user_sgpr_private_segment_size 0
		.amdhsa_uses_dynamic_stack 0
		.amdhsa_system_sgpr_private_segment_wavefront_offset 0
		.amdhsa_system_sgpr_workgroup_id_x 1
		.amdhsa_system_sgpr_workgroup_id_y 0
		.amdhsa_system_sgpr_workgroup_id_z 0
		.amdhsa_system_sgpr_workgroup_info 0
		.amdhsa_system_vgpr_workitem_id 0
		.amdhsa_next_free_vgpr 1
		.amdhsa_next_free_sgpr 0
		.amdhsa_accum_offset 4
		.amdhsa_reserve_vcc 0
		.amdhsa_reserve_flat_scratch 0
		.amdhsa_float_round_mode_32 0
		.amdhsa_float_round_mode_16_64 0
		.amdhsa_float_denorm_mode_32 3
		.amdhsa_float_denorm_mode_16_64 3
		.amdhsa_dx10_clamp 1
		.amdhsa_ieee_mode 1
		.amdhsa_fp16_overflow 0
		.amdhsa_tg_split 0
		.amdhsa_exception_fp_ieee_invalid_op 0
		.amdhsa_exception_fp_denorm_src 0
		.amdhsa_exception_fp_ieee_div_zero 0
		.amdhsa_exception_fp_ieee_overflow 0
		.amdhsa_exception_fp_ieee_underflow 0
		.amdhsa_exception_fp_ieee_inexact 0
		.amdhsa_exception_int_div_zero 0
	.end_amdhsa_kernel
	.section	.text._ZN7rocprim17ROCPRIM_400000_NS6detail17trampoline_kernelINS0_14default_configENS1_29reduce_by_key_config_selectorIxxN6thrust23THRUST_200600_302600_NS4plusIxEEEEZZNS1_33reduce_by_key_impl_wrapped_configILNS1_25lookback_scan_determinismE0ES3_S9_NS6_6detail15normal_iteratorINS6_10device_ptrIxEEEESG_SG_SG_PmS8_22is_equal_div_10_reduceIxEEE10hipError_tPvRmT2_T3_mT4_T5_T6_T7_T8_P12ihipStream_tbENKUlT_T0_E_clISt17integral_constantIbLb1EES10_IbLb0EEEEDaSW_SX_EUlSW_E_NS1_11comp_targetILNS1_3genE2ELNS1_11target_archE906ELNS1_3gpuE6ELNS1_3repE0EEENS1_30default_config_static_selectorELNS0_4arch9wavefront6targetE1EEEvT1_,"axG",@progbits,_ZN7rocprim17ROCPRIM_400000_NS6detail17trampoline_kernelINS0_14default_configENS1_29reduce_by_key_config_selectorIxxN6thrust23THRUST_200600_302600_NS4plusIxEEEEZZNS1_33reduce_by_key_impl_wrapped_configILNS1_25lookback_scan_determinismE0ES3_S9_NS6_6detail15normal_iteratorINS6_10device_ptrIxEEEESG_SG_SG_PmS8_22is_equal_div_10_reduceIxEEE10hipError_tPvRmT2_T3_mT4_T5_T6_T7_T8_P12ihipStream_tbENKUlT_T0_E_clISt17integral_constantIbLb1EES10_IbLb0EEEEDaSW_SX_EUlSW_E_NS1_11comp_targetILNS1_3genE2ELNS1_11target_archE906ELNS1_3gpuE6ELNS1_3repE0EEENS1_30default_config_static_selectorELNS0_4arch9wavefront6targetE1EEEvT1_,comdat
.Lfunc_end530:
	.size	_ZN7rocprim17ROCPRIM_400000_NS6detail17trampoline_kernelINS0_14default_configENS1_29reduce_by_key_config_selectorIxxN6thrust23THRUST_200600_302600_NS4plusIxEEEEZZNS1_33reduce_by_key_impl_wrapped_configILNS1_25lookback_scan_determinismE0ES3_S9_NS6_6detail15normal_iteratorINS6_10device_ptrIxEEEESG_SG_SG_PmS8_22is_equal_div_10_reduceIxEEE10hipError_tPvRmT2_T3_mT4_T5_T6_T7_T8_P12ihipStream_tbENKUlT_T0_E_clISt17integral_constantIbLb1EES10_IbLb0EEEEDaSW_SX_EUlSW_E_NS1_11comp_targetILNS1_3genE2ELNS1_11target_archE906ELNS1_3gpuE6ELNS1_3repE0EEENS1_30default_config_static_selectorELNS0_4arch9wavefront6targetE1EEEvT1_, .Lfunc_end530-_ZN7rocprim17ROCPRIM_400000_NS6detail17trampoline_kernelINS0_14default_configENS1_29reduce_by_key_config_selectorIxxN6thrust23THRUST_200600_302600_NS4plusIxEEEEZZNS1_33reduce_by_key_impl_wrapped_configILNS1_25lookback_scan_determinismE0ES3_S9_NS6_6detail15normal_iteratorINS6_10device_ptrIxEEEESG_SG_SG_PmS8_22is_equal_div_10_reduceIxEEE10hipError_tPvRmT2_T3_mT4_T5_T6_T7_T8_P12ihipStream_tbENKUlT_T0_E_clISt17integral_constantIbLb1EES10_IbLb0EEEEDaSW_SX_EUlSW_E_NS1_11comp_targetILNS1_3genE2ELNS1_11target_archE906ELNS1_3gpuE6ELNS1_3repE0EEENS1_30default_config_static_selectorELNS0_4arch9wavefront6targetE1EEEvT1_
                                        ; -- End function
	.section	.AMDGPU.csdata,"",@progbits
; Kernel info:
; codeLenInByte = 0
; NumSgprs: 4
; NumVgprs: 0
; NumAgprs: 0
; TotalNumVgprs: 0
; ScratchSize: 0
; MemoryBound: 0
; FloatMode: 240
; IeeeMode: 1
; LDSByteSize: 0 bytes/workgroup (compile time only)
; SGPRBlocks: 0
; VGPRBlocks: 0
; NumSGPRsForWavesPerEU: 4
; NumVGPRsForWavesPerEU: 1
; AccumOffset: 4
; Occupancy: 8
; WaveLimiterHint : 0
; COMPUTE_PGM_RSRC2:SCRATCH_EN: 0
; COMPUTE_PGM_RSRC2:USER_SGPR: 6
; COMPUTE_PGM_RSRC2:TRAP_HANDLER: 0
; COMPUTE_PGM_RSRC2:TGID_X_EN: 1
; COMPUTE_PGM_RSRC2:TGID_Y_EN: 0
; COMPUTE_PGM_RSRC2:TGID_Z_EN: 0
; COMPUTE_PGM_RSRC2:TIDIG_COMP_CNT: 0
; COMPUTE_PGM_RSRC3_GFX90A:ACCUM_OFFSET: 0
; COMPUTE_PGM_RSRC3_GFX90A:TG_SPLIT: 0
	.section	.text._ZN7rocprim17ROCPRIM_400000_NS6detail17trampoline_kernelINS0_14default_configENS1_29reduce_by_key_config_selectorIxxN6thrust23THRUST_200600_302600_NS4plusIxEEEEZZNS1_33reduce_by_key_impl_wrapped_configILNS1_25lookback_scan_determinismE0ES3_S9_NS6_6detail15normal_iteratorINS6_10device_ptrIxEEEESG_SG_SG_PmS8_22is_equal_div_10_reduceIxEEE10hipError_tPvRmT2_T3_mT4_T5_T6_T7_T8_P12ihipStream_tbENKUlT_T0_E_clISt17integral_constantIbLb1EES10_IbLb0EEEEDaSW_SX_EUlSW_E_NS1_11comp_targetILNS1_3genE10ELNS1_11target_archE1201ELNS1_3gpuE5ELNS1_3repE0EEENS1_30default_config_static_selectorELNS0_4arch9wavefront6targetE1EEEvT1_,"axG",@progbits,_ZN7rocprim17ROCPRIM_400000_NS6detail17trampoline_kernelINS0_14default_configENS1_29reduce_by_key_config_selectorIxxN6thrust23THRUST_200600_302600_NS4plusIxEEEEZZNS1_33reduce_by_key_impl_wrapped_configILNS1_25lookback_scan_determinismE0ES3_S9_NS6_6detail15normal_iteratorINS6_10device_ptrIxEEEESG_SG_SG_PmS8_22is_equal_div_10_reduceIxEEE10hipError_tPvRmT2_T3_mT4_T5_T6_T7_T8_P12ihipStream_tbENKUlT_T0_E_clISt17integral_constantIbLb1EES10_IbLb0EEEEDaSW_SX_EUlSW_E_NS1_11comp_targetILNS1_3genE10ELNS1_11target_archE1201ELNS1_3gpuE5ELNS1_3repE0EEENS1_30default_config_static_selectorELNS0_4arch9wavefront6targetE1EEEvT1_,comdat
	.protected	_ZN7rocprim17ROCPRIM_400000_NS6detail17trampoline_kernelINS0_14default_configENS1_29reduce_by_key_config_selectorIxxN6thrust23THRUST_200600_302600_NS4plusIxEEEEZZNS1_33reduce_by_key_impl_wrapped_configILNS1_25lookback_scan_determinismE0ES3_S9_NS6_6detail15normal_iteratorINS6_10device_ptrIxEEEESG_SG_SG_PmS8_22is_equal_div_10_reduceIxEEE10hipError_tPvRmT2_T3_mT4_T5_T6_T7_T8_P12ihipStream_tbENKUlT_T0_E_clISt17integral_constantIbLb1EES10_IbLb0EEEEDaSW_SX_EUlSW_E_NS1_11comp_targetILNS1_3genE10ELNS1_11target_archE1201ELNS1_3gpuE5ELNS1_3repE0EEENS1_30default_config_static_selectorELNS0_4arch9wavefront6targetE1EEEvT1_ ; -- Begin function _ZN7rocprim17ROCPRIM_400000_NS6detail17trampoline_kernelINS0_14default_configENS1_29reduce_by_key_config_selectorIxxN6thrust23THRUST_200600_302600_NS4plusIxEEEEZZNS1_33reduce_by_key_impl_wrapped_configILNS1_25lookback_scan_determinismE0ES3_S9_NS6_6detail15normal_iteratorINS6_10device_ptrIxEEEESG_SG_SG_PmS8_22is_equal_div_10_reduceIxEEE10hipError_tPvRmT2_T3_mT4_T5_T6_T7_T8_P12ihipStream_tbENKUlT_T0_E_clISt17integral_constantIbLb1EES10_IbLb0EEEEDaSW_SX_EUlSW_E_NS1_11comp_targetILNS1_3genE10ELNS1_11target_archE1201ELNS1_3gpuE5ELNS1_3repE0EEENS1_30default_config_static_selectorELNS0_4arch9wavefront6targetE1EEEvT1_
	.globl	_ZN7rocprim17ROCPRIM_400000_NS6detail17trampoline_kernelINS0_14default_configENS1_29reduce_by_key_config_selectorIxxN6thrust23THRUST_200600_302600_NS4plusIxEEEEZZNS1_33reduce_by_key_impl_wrapped_configILNS1_25lookback_scan_determinismE0ES3_S9_NS6_6detail15normal_iteratorINS6_10device_ptrIxEEEESG_SG_SG_PmS8_22is_equal_div_10_reduceIxEEE10hipError_tPvRmT2_T3_mT4_T5_T6_T7_T8_P12ihipStream_tbENKUlT_T0_E_clISt17integral_constantIbLb1EES10_IbLb0EEEEDaSW_SX_EUlSW_E_NS1_11comp_targetILNS1_3genE10ELNS1_11target_archE1201ELNS1_3gpuE5ELNS1_3repE0EEENS1_30default_config_static_selectorELNS0_4arch9wavefront6targetE1EEEvT1_
	.p2align	8
	.type	_ZN7rocprim17ROCPRIM_400000_NS6detail17trampoline_kernelINS0_14default_configENS1_29reduce_by_key_config_selectorIxxN6thrust23THRUST_200600_302600_NS4plusIxEEEEZZNS1_33reduce_by_key_impl_wrapped_configILNS1_25lookback_scan_determinismE0ES3_S9_NS6_6detail15normal_iteratorINS6_10device_ptrIxEEEESG_SG_SG_PmS8_22is_equal_div_10_reduceIxEEE10hipError_tPvRmT2_T3_mT4_T5_T6_T7_T8_P12ihipStream_tbENKUlT_T0_E_clISt17integral_constantIbLb1EES10_IbLb0EEEEDaSW_SX_EUlSW_E_NS1_11comp_targetILNS1_3genE10ELNS1_11target_archE1201ELNS1_3gpuE5ELNS1_3repE0EEENS1_30default_config_static_selectorELNS0_4arch9wavefront6targetE1EEEvT1_,@function
_ZN7rocprim17ROCPRIM_400000_NS6detail17trampoline_kernelINS0_14default_configENS1_29reduce_by_key_config_selectorIxxN6thrust23THRUST_200600_302600_NS4plusIxEEEEZZNS1_33reduce_by_key_impl_wrapped_configILNS1_25lookback_scan_determinismE0ES3_S9_NS6_6detail15normal_iteratorINS6_10device_ptrIxEEEESG_SG_SG_PmS8_22is_equal_div_10_reduceIxEEE10hipError_tPvRmT2_T3_mT4_T5_T6_T7_T8_P12ihipStream_tbENKUlT_T0_E_clISt17integral_constantIbLb1EES10_IbLb0EEEEDaSW_SX_EUlSW_E_NS1_11comp_targetILNS1_3genE10ELNS1_11target_archE1201ELNS1_3gpuE5ELNS1_3repE0EEENS1_30default_config_static_selectorELNS0_4arch9wavefront6targetE1EEEvT1_: ; @_ZN7rocprim17ROCPRIM_400000_NS6detail17trampoline_kernelINS0_14default_configENS1_29reduce_by_key_config_selectorIxxN6thrust23THRUST_200600_302600_NS4plusIxEEEEZZNS1_33reduce_by_key_impl_wrapped_configILNS1_25lookback_scan_determinismE0ES3_S9_NS6_6detail15normal_iteratorINS6_10device_ptrIxEEEESG_SG_SG_PmS8_22is_equal_div_10_reduceIxEEE10hipError_tPvRmT2_T3_mT4_T5_T6_T7_T8_P12ihipStream_tbENKUlT_T0_E_clISt17integral_constantIbLb1EES10_IbLb0EEEEDaSW_SX_EUlSW_E_NS1_11comp_targetILNS1_3genE10ELNS1_11target_archE1201ELNS1_3gpuE5ELNS1_3repE0EEENS1_30default_config_static_selectorELNS0_4arch9wavefront6targetE1EEEvT1_
; %bb.0:
	.section	.rodata,"a",@progbits
	.p2align	6, 0x0
	.amdhsa_kernel _ZN7rocprim17ROCPRIM_400000_NS6detail17trampoline_kernelINS0_14default_configENS1_29reduce_by_key_config_selectorIxxN6thrust23THRUST_200600_302600_NS4plusIxEEEEZZNS1_33reduce_by_key_impl_wrapped_configILNS1_25lookback_scan_determinismE0ES3_S9_NS6_6detail15normal_iteratorINS6_10device_ptrIxEEEESG_SG_SG_PmS8_22is_equal_div_10_reduceIxEEE10hipError_tPvRmT2_T3_mT4_T5_T6_T7_T8_P12ihipStream_tbENKUlT_T0_E_clISt17integral_constantIbLb1EES10_IbLb0EEEEDaSW_SX_EUlSW_E_NS1_11comp_targetILNS1_3genE10ELNS1_11target_archE1201ELNS1_3gpuE5ELNS1_3repE0EEENS1_30default_config_static_selectorELNS0_4arch9wavefront6targetE1EEEvT1_
		.amdhsa_group_segment_fixed_size 0
		.amdhsa_private_segment_fixed_size 0
		.amdhsa_kernarg_size 136
		.amdhsa_user_sgpr_count 6
		.amdhsa_user_sgpr_private_segment_buffer 1
		.amdhsa_user_sgpr_dispatch_ptr 0
		.amdhsa_user_sgpr_queue_ptr 0
		.amdhsa_user_sgpr_kernarg_segment_ptr 1
		.amdhsa_user_sgpr_dispatch_id 0
		.amdhsa_user_sgpr_flat_scratch_init 0
		.amdhsa_user_sgpr_kernarg_preload_length 0
		.amdhsa_user_sgpr_kernarg_preload_offset 0
		.amdhsa_user_sgpr_private_segment_size 0
		.amdhsa_uses_dynamic_stack 0
		.amdhsa_system_sgpr_private_segment_wavefront_offset 0
		.amdhsa_system_sgpr_workgroup_id_x 1
		.amdhsa_system_sgpr_workgroup_id_y 0
		.amdhsa_system_sgpr_workgroup_id_z 0
		.amdhsa_system_sgpr_workgroup_info 0
		.amdhsa_system_vgpr_workitem_id 0
		.amdhsa_next_free_vgpr 1
		.amdhsa_next_free_sgpr 0
		.amdhsa_accum_offset 4
		.amdhsa_reserve_vcc 0
		.amdhsa_reserve_flat_scratch 0
		.amdhsa_float_round_mode_32 0
		.amdhsa_float_round_mode_16_64 0
		.amdhsa_float_denorm_mode_32 3
		.amdhsa_float_denorm_mode_16_64 3
		.amdhsa_dx10_clamp 1
		.amdhsa_ieee_mode 1
		.amdhsa_fp16_overflow 0
		.amdhsa_tg_split 0
		.amdhsa_exception_fp_ieee_invalid_op 0
		.amdhsa_exception_fp_denorm_src 0
		.amdhsa_exception_fp_ieee_div_zero 0
		.amdhsa_exception_fp_ieee_overflow 0
		.amdhsa_exception_fp_ieee_underflow 0
		.amdhsa_exception_fp_ieee_inexact 0
		.amdhsa_exception_int_div_zero 0
	.end_amdhsa_kernel
	.section	.text._ZN7rocprim17ROCPRIM_400000_NS6detail17trampoline_kernelINS0_14default_configENS1_29reduce_by_key_config_selectorIxxN6thrust23THRUST_200600_302600_NS4plusIxEEEEZZNS1_33reduce_by_key_impl_wrapped_configILNS1_25lookback_scan_determinismE0ES3_S9_NS6_6detail15normal_iteratorINS6_10device_ptrIxEEEESG_SG_SG_PmS8_22is_equal_div_10_reduceIxEEE10hipError_tPvRmT2_T3_mT4_T5_T6_T7_T8_P12ihipStream_tbENKUlT_T0_E_clISt17integral_constantIbLb1EES10_IbLb0EEEEDaSW_SX_EUlSW_E_NS1_11comp_targetILNS1_3genE10ELNS1_11target_archE1201ELNS1_3gpuE5ELNS1_3repE0EEENS1_30default_config_static_selectorELNS0_4arch9wavefront6targetE1EEEvT1_,"axG",@progbits,_ZN7rocprim17ROCPRIM_400000_NS6detail17trampoline_kernelINS0_14default_configENS1_29reduce_by_key_config_selectorIxxN6thrust23THRUST_200600_302600_NS4plusIxEEEEZZNS1_33reduce_by_key_impl_wrapped_configILNS1_25lookback_scan_determinismE0ES3_S9_NS6_6detail15normal_iteratorINS6_10device_ptrIxEEEESG_SG_SG_PmS8_22is_equal_div_10_reduceIxEEE10hipError_tPvRmT2_T3_mT4_T5_T6_T7_T8_P12ihipStream_tbENKUlT_T0_E_clISt17integral_constantIbLb1EES10_IbLb0EEEEDaSW_SX_EUlSW_E_NS1_11comp_targetILNS1_3genE10ELNS1_11target_archE1201ELNS1_3gpuE5ELNS1_3repE0EEENS1_30default_config_static_selectorELNS0_4arch9wavefront6targetE1EEEvT1_,comdat
.Lfunc_end531:
	.size	_ZN7rocprim17ROCPRIM_400000_NS6detail17trampoline_kernelINS0_14default_configENS1_29reduce_by_key_config_selectorIxxN6thrust23THRUST_200600_302600_NS4plusIxEEEEZZNS1_33reduce_by_key_impl_wrapped_configILNS1_25lookback_scan_determinismE0ES3_S9_NS6_6detail15normal_iteratorINS6_10device_ptrIxEEEESG_SG_SG_PmS8_22is_equal_div_10_reduceIxEEE10hipError_tPvRmT2_T3_mT4_T5_T6_T7_T8_P12ihipStream_tbENKUlT_T0_E_clISt17integral_constantIbLb1EES10_IbLb0EEEEDaSW_SX_EUlSW_E_NS1_11comp_targetILNS1_3genE10ELNS1_11target_archE1201ELNS1_3gpuE5ELNS1_3repE0EEENS1_30default_config_static_selectorELNS0_4arch9wavefront6targetE1EEEvT1_, .Lfunc_end531-_ZN7rocprim17ROCPRIM_400000_NS6detail17trampoline_kernelINS0_14default_configENS1_29reduce_by_key_config_selectorIxxN6thrust23THRUST_200600_302600_NS4plusIxEEEEZZNS1_33reduce_by_key_impl_wrapped_configILNS1_25lookback_scan_determinismE0ES3_S9_NS6_6detail15normal_iteratorINS6_10device_ptrIxEEEESG_SG_SG_PmS8_22is_equal_div_10_reduceIxEEE10hipError_tPvRmT2_T3_mT4_T5_T6_T7_T8_P12ihipStream_tbENKUlT_T0_E_clISt17integral_constantIbLb1EES10_IbLb0EEEEDaSW_SX_EUlSW_E_NS1_11comp_targetILNS1_3genE10ELNS1_11target_archE1201ELNS1_3gpuE5ELNS1_3repE0EEENS1_30default_config_static_selectorELNS0_4arch9wavefront6targetE1EEEvT1_
                                        ; -- End function
	.section	.AMDGPU.csdata,"",@progbits
; Kernel info:
; codeLenInByte = 0
; NumSgprs: 4
; NumVgprs: 0
; NumAgprs: 0
; TotalNumVgprs: 0
; ScratchSize: 0
; MemoryBound: 0
; FloatMode: 240
; IeeeMode: 1
; LDSByteSize: 0 bytes/workgroup (compile time only)
; SGPRBlocks: 0
; VGPRBlocks: 0
; NumSGPRsForWavesPerEU: 4
; NumVGPRsForWavesPerEU: 1
; AccumOffset: 4
; Occupancy: 8
; WaveLimiterHint : 0
; COMPUTE_PGM_RSRC2:SCRATCH_EN: 0
; COMPUTE_PGM_RSRC2:USER_SGPR: 6
; COMPUTE_PGM_RSRC2:TRAP_HANDLER: 0
; COMPUTE_PGM_RSRC2:TGID_X_EN: 1
; COMPUTE_PGM_RSRC2:TGID_Y_EN: 0
; COMPUTE_PGM_RSRC2:TGID_Z_EN: 0
; COMPUTE_PGM_RSRC2:TIDIG_COMP_CNT: 0
; COMPUTE_PGM_RSRC3_GFX90A:ACCUM_OFFSET: 0
; COMPUTE_PGM_RSRC3_GFX90A:TG_SPLIT: 0
	.section	.text._ZN7rocprim17ROCPRIM_400000_NS6detail17trampoline_kernelINS0_14default_configENS1_29reduce_by_key_config_selectorIxxN6thrust23THRUST_200600_302600_NS4plusIxEEEEZZNS1_33reduce_by_key_impl_wrapped_configILNS1_25lookback_scan_determinismE0ES3_S9_NS6_6detail15normal_iteratorINS6_10device_ptrIxEEEESG_SG_SG_PmS8_22is_equal_div_10_reduceIxEEE10hipError_tPvRmT2_T3_mT4_T5_T6_T7_T8_P12ihipStream_tbENKUlT_T0_E_clISt17integral_constantIbLb1EES10_IbLb0EEEEDaSW_SX_EUlSW_E_NS1_11comp_targetILNS1_3genE10ELNS1_11target_archE1200ELNS1_3gpuE4ELNS1_3repE0EEENS1_30default_config_static_selectorELNS0_4arch9wavefront6targetE1EEEvT1_,"axG",@progbits,_ZN7rocprim17ROCPRIM_400000_NS6detail17trampoline_kernelINS0_14default_configENS1_29reduce_by_key_config_selectorIxxN6thrust23THRUST_200600_302600_NS4plusIxEEEEZZNS1_33reduce_by_key_impl_wrapped_configILNS1_25lookback_scan_determinismE0ES3_S9_NS6_6detail15normal_iteratorINS6_10device_ptrIxEEEESG_SG_SG_PmS8_22is_equal_div_10_reduceIxEEE10hipError_tPvRmT2_T3_mT4_T5_T6_T7_T8_P12ihipStream_tbENKUlT_T0_E_clISt17integral_constantIbLb1EES10_IbLb0EEEEDaSW_SX_EUlSW_E_NS1_11comp_targetILNS1_3genE10ELNS1_11target_archE1200ELNS1_3gpuE4ELNS1_3repE0EEENS1_30default_config_static_selectorELNS0_4arch9wavefront6targetE1EEEvT1_,comdat
	.protected	_ZN7rocprim17ROCPRIM_400000_NS6detail17trampoline_kernelINS0_14default_configENS1_29reduce_by_key_config_selectorIxxN6thrust23THRUST_200600_302600_NS4plusIxEEEEZZNS1_33reduce_by_key_impl_wrapped_configILNS1_25lookback_scan_determinismE0ES3_S9_NS6_6detail15normal_iteratorINS6_10device_ptrIxEEEESG_SG_SG_PmS8_22is_equal_div_10_reduceIxEEE10hipError_tPvRmT2_T3_mT4_T5_T6_T7_T8_P12ihipStream_tbENKUlT_T0_E_clISt17integral_constantIbLb1EES10_IbLb0EEEEDaSW_SX_EUlSW_E_NS1_11comp_targetILNS1_3genE10ELNS1_11target_archE1200ELNS1_3gpuE4ELNS1_3repE0EEENS1_30default_config_static_selectorELNS0_4arch9wavefront6targetE1EEEvT1_ ; -- Begin function _ZN7rocprim17ROCPRIM_400000_NS6detail17trampoline_kernelINS0_14default_configENS1_29reduce_by_key_config_selectorIxxN6thrust23THRUST_200600_302600_NS4plusIxEEEEZZNS1_33reduce_by_key_impl_wrapped_configILNS1_25lookback_scan_determinismE0ES3_S9_NS6_6detail15normal_iteratorINS6_10device_ptrIxEEEESG_SG_SG_PmS8_22is_equal_div_10_reduceIxEEE10hipError_tPvRmT2_T3_mT4_T5_T6_T7_T8_P12ihipStream_tbENKUlT_T0_E_clISt17integral_constantIbLb1EES10_IbLb0EEEEDaSW_SX_EUlSW_E_NS1_11comp_targetILNS1_3genE10ELNS1_11target_archE1200ELNS1_3gpuE4ELNS1_3repE0EEENS1_30default_config_static_selectorELNS0_4arch9wavefront6targetE1EEEvT1_
	.globl	_ZN7rocprim17ROCPRIM_400000_NS6detail17trampoline_kernelINS0_14default_configENS1_29reduce_by_key_config_selectorIxxN6thrust23THRUST_200600_302600_NS4plusIxEEEEZZNS1_33reduce_by_key_impl_wrapped_configILNS1_25lookback_scan_determinismE0ES3_S9_NS6_6detail15normal_iteratorINS6_10device_ptrIxEEEESG_SG_SG_PmS8_22is_equal_div_10_reduceIxEEE10hipError_tPvRmT2_T3_mT4_T5_T6_T7_T8_P12ihipStream_tbENKUlT_T0_E_clISt17integral_constantIbLb1EES10_IbLb0EEEEDaSW_SX_EUlSW_E_NS1_11comp_targetILNS1_3genE10ELNS1_11target_archE1200ELNS1_3gpuE4ELNS1_3repE0EEENS1_30default_config_static_selectorELNS0_4arch9wavefront6targetE1EEEvT1_
	.p2align	8
	.type	_ZN7rocprim17ROCPRIM_400000_NS6detail17trampoline_kernelINS0_14default_configENS1_29reduce_by_key_config_selectorIxxN6thrust23THRUST_200600_302600_NS4plusIxEEEEZZNS1_33reduce_by_key_impl_wrapped_configILNS1_25lookback_scan_determinismE0ES3_S9_NS6_6detail15normal_iteratorINS6_10device_ptrIxEEEESG_SG_SG_PmS8_22is_equal_div_10_reduceIxEEE10hipError_tPvRmT2_T3_mT4_T5_T6_T7_T8_P12ihipStream_tbENKUlT_T0_E_clISt17integral_constantIbLb1EES10_IbLb0EEEEDaSW_SX_EUlSW_E_NS1_11comp_targetILNS1_3genE10ELNS1_11target_archE1200ELNS1_3gpuE4ELNS1_3repE0EEENS1_30default_config_static_selectorELNS0_4arch9wavefront6targetE1EEEvT1_,@function
_ZN7rocprim17ROCPRIM_400000_NS6detail17trampoline_kernelINS0_14default_configENS1_29reduce_by_key_config_selectorIxxN6thrust23THRUST_200600_302600_NS4plusIxEEEEZZNS1_33reduce_by_key_impl_wrapped_configILNS1_25lookback_scan_determinismE0ES3_S9_NS6_6detail15normal_iteratorINS6_10device_ptrIxEEEESG_SG_SG_PmS8_22is_equal_div_10_reduceIxEEE10hipError_tPvRmT2_T3_mT4_T5_T6_T7_T8_P12ihipStream_tbENKUlT_T0_E_clISt17integral_constantIbLb1EES10_IbLb0EEEEDaSW_SX_EUlSW_E_NS1_11comp_targetILNS1_3genE10ELNS1_11target_archE1200ELNS1_3gpuE4ELNS1_3repE0EEENS1_30default_config_static_selectorELNS0_4arch9wavefront6targetE1EEEvT1_: ; @_ZN7rocprim17ROCPRIM_400000_NS6detail17trampoline_kernelINS0_14default_configENS1_29reduce_by_key_config_selectorIxxN6thrust23THRUST_200600_302600_NS4plusIxEEEEZZNS1_33reduce_by_key_impl_wrapped_configILNS1_25lookback_scan_determinismE0ES3_S9_NS6_6detail15normal_iteratorINS6_10device_ptrIxEEEESG_SG_SG_PmS8_22is_equal_div_10_reduceIxEEE10hipError_tPvRmT2_T3_mT4_T5_T6_T7_T8_P12ihipStream_tbENKUlT_T0_E_clISt17integral_constantIbLb1EES10_IbLb0EEEEDaSW_SX_EUlSW_E_NS1_11comp_targetILNS1_3genE10ELNS1_11target_archE1200ELNS1_3gpuE4ELNS1_3repE0EEENS1_30default_config_static_selectorELNS0_4arch9wavefront6targetE1EEEvT1_
; %bb.0:
	.section	.rodata,"a",@progbits
	.p2align	6, 0x0
	.amdhsa_kernel _ZN7rocprim17ROCPRIM_400000_NS6detail17trampoline_kernelINS0_14default_configENS1_29reduce_by_key_config_selectorIxxN6thrust23THRUST_200600_302600_NS4plusIxEEEEZZNS1_33reduce_by_key_impl_wrapped_configILNS1_25lookback_scan_determinismE0ES3_S9_NS6_6detail15normal_iteratorINS6_10device_ptrIxEEEESG_SG_SG_PmS8_22is_equal_div_10_reduceIxEEE10hipError_tPvRmT2_T3_mT4_T5_T6_T7_T8_P12ihipStream_tbENKUlT_T0_E_clISt17integral_constantIbLb1EES10_IbLb0EEEEDaSW_SX_EUlSW_E_NS1_11comp_targetILNS1_3genE10ELNS1_11target_archE1200ELNS1_3gpuE4ELNS1_3repE0EEENS1_30default_config_static_selectorELNS0_4arch9wavefront6targetE1EEEvT1_
		.amdhsa_group_segment_fixed_size 0
		.amdhsa_private_segment_fixed_size 0
		.amdhsa_kernarg_size 136
		.amdhsa_user_sgpr_count 6
		.amdhsa_user_sgpr_private_segment_buffer 1
		.amdhsa_user_sgpr_dispatch_ptr 0
		.amdhsa_user_sgpr_queue_ptr 0
		.amdhsa_user_sgpr_kernarg_segment_ptr 1
		.amdhsa_user_sgpr_dispatch_id 0
		.amdhsa_user_sgpr_flat_scratch_init 0
		.amdhsa_user_sgpr_kernarg_preload_length 0
		.amdhsa_user_sgpr_kernarg_preload_offset 0
		.amdhsa_user_sgpr_private_segment_size 0
		.amdhsa_uses_dynamic_stack 0
		.amdhsa_system_sgpr_private_segment_wavefront_offset 0
		.amdhsa_system_sgpr_workgroup_id_x 1
		.amdhsa_system_sgpr_workgroup_id_y 0
		.amdhsa_system_sgpr_workgroup_id_z 0
		.amdhsa_system_sgpr_workgroup_info 0
		.amdhsa_system_vgpr_workitem_id 0
		.amdhsa_next_free_vgpr 1
		.amdhsa_next_free_sgpr 0
		.amdhsa_accum_offset 4
		.amdhsa_reserve_vcc 0
		.amdhsa_reserve_flat_scratch 0
		.amdhsa_float_round_mode_32 0
		.amdhsa_float_round_mode_16_64 0
		.amdhsa_float_denorm_mode_32 3
		.amdhsa_float_denorm_mode_16_64 3
		.amdhsa_dx10_clamp 1
		.amdhsa_ieee_mode 1
		.amdhsa_fp16_overflow 0
		.amdhsa_tg_split 0
		.amdhsa_exception_fp_ieee_invalid_op 0
		.amdhsa_exception_fp_denorm_src 0
		.amdhsa_exception_fp_ieee_div_zero 0
		.amdhsa_exception_fp_ieee_overflow 0
		.amdhsa_exception_fp_ieee_underflow 0
		.amdhsa_exception_fp_ieee_inexact 0
		.amdhsa_exception_int_div_zero 0
	.end_amdhsa_kernel
	.section	.text._ZN7rocprim17ROCPRIM_400000_NS6detail17trampoline_kernelINS0_14default_configENS1_29reduce_by_key_config_selectorIxxN6thrust23THRUST_200600_302600_NS4plusIxEEEEZZNS1_33reduce_by_key_impl_wrapped_configILNS1_25lookback_scan_determinismE0ES3_S9_NS6_6detail15normal_iteratorINS6_10device_ptrIxEEEESG_SG_SG_PmS8_22is_equal_div_10_reduceIxEEE10hipError_tPvRmT2_T3_mT4_T5_T6_T7_T8_P12ihipStream_tbENKUlT_T0_E_clISt17integral_constantIbLb1EES10_IbLb0EEEEDaSW_SX_EUlSW_E_NS1_11comp_targetILNS1_3genE10ELNS1_11target_archE1200ELNS1_3gpuE4ELNS1_3repE0EEENS1_30default_config_static_selectorELNS0_4arch9wavefront6targetE1EEEvT1_,"axG",@progbits,_ZN7rocprim17ROCPRIM_400000_NS6detail17trampoline_kernelINS0_14default_configENS1_29reduce_by_key_config_selectorIxxN6thrust23THRUST_200600_302600_NS4plusIxEEEEZZNS1_33reduce_by_key_impl_wrapped_configILNS1_25lookback_scan_determinismE0ES3_S9_NS6_6detail15normal_iteratorINS6_10device_ptrIxEEEESG_SG_SG_PmS8_22is_equal_div_10_reduceIxEEE10hipError_tPvRmT2_T3_mT4_T5_T6_T7_T8_P12ihipStream_tbENKUlT_T0_E_clISt17integral_constantIbLb1EES10_IbLb0EEEEDaSW_SX_EUlSW_E_NS1_11comp_targetILNS1_3genE10ELNS1_11target_archE1200ELNS1_3gpuE4ELNS1_3repE0EEENS1_30default_config_static_selectorELNS0_4arch9wavefront6targetE1EEEvT1_,comdat
.Lfunc_end532:
	.size	_ZN7rocprim17ROCPRIM_400000_NS6detail17trampoline_kernelINS0_14default_configENS1_29reduce_by_key_config_selectorIxxN6thrust23THRUST_200600_302600_NS4plusIxEEEEZZNS1_33reduce_by_key_impl_wrapped_configILNS1_25lookback_scan_determinismE0ES3_S9_NS6_6detail15normal_iteratorINS6_10device_ptrIxEEEESG_SG_SG_PmS8_22is_equal_div_10_reduceIxEEE10hipError_tPvRmT2_T3_mT4_T5_T6_T7_T8_P12ihipStream_tbENKUlT_T0_E_clISt17integral_constantIbLb1EES10_IbLb0EEEEDaSW_SX_EUlSW_E_NS1_11comp_targetILNS1_3genE10ELNS1_11target_archE1200ELNS1_3gpuE4ELNS1_3repE0EEENS1_30default_config_static_selectorELNS0_4arch9wavefront6targetE1EEEvT1_, .Lfunc_end532-_ZN7rocprim17ROCPRIM_400000_NS6detail17trampoline_kernelINS0_14default_configENS1_29reduce_by_key_config_selectorIxxN6thrust23THRUST_200600_302600_NS4plusIxEEEEZZNS1_33reduce_by_key_impl_wrapped_configILNS1_25lookback_scan_determinismE0ES3_S9_NS6_6detail15normal_iteratorINS6_10device_ptrIxEEEESG_SG_SG_PmS8_22is_equal_div_10_reduceIxEEE10hipError_tPvRmT2_T3_mT4_T5_T6_T7_T8_P12ihipStream_tbENKUlT_T0_E_clISt17integral_constantIbLb1EES10_IbLb0EEEEDaSW_SX_EUlSW_E_NS1_11comp_targetILNS1_3genE10ELNS1_11target_archE1200ELNS1_3gpuE4ELNS1_3repE0EEENS1_30default_config_static_selectorELNS0_4arch9wavefront6targetE1EEEvT1_
                                        ; -- End function
	.section	.AMDGPU.csdata,"",@progbits
; Kernel info:
; codeLenInByte = 0
; NumSgprs: 4
; NumVgprs: 0
; NumAgprs: 0
; TotalNumVgprs: 0
; ScratchSize: 0
; MemoryBound: 0
; FloatMode: 240
; IeeeMode: 1
; LDSByteSize: 0 bytes/workgroup (compile time only)
; SGPRBlocks: 0
; VGPRBlocks: 0
; NumSGPRsForWavesPerEU: 4
; NumVGPRsForWavesPerEU: 1
; AccumOffset: 4
; Occupancy: 8
; WaveLimiterHint : 0
; COMPUTE_PGM_RSRC2:SCRATCH_EN: 0
; COMPUTE_PGM_RSRC2:USER_SGPR: 6
; COMPUTE_PGM_RSRC2:TRAP_HANDLER: 0
; COMPUTE_PGM_RSRC2:TGID_X_EN: 1
; COMPUTE_PGM_RSRC2:TGID_Y_EN: 0
; COMPUTE_PGM_RSRC2:TGID_Z_EN: 0
; COMPUTE_PGM_RSRC2:TIDIG_COMP_CNT: 0
; COMPUTE_PGM_RSRC3_GFX90A:ACCUM_OFFSET: 0
; COMPUTE_PGM_RSRC3_GFX90A:TG_SPLIT: 0
	.section	.text._ZN7rocprim17ROCPRIM_400000_NS6detail17trampoline_kernelINS0_14default_configENS1_29reduce_by_key_config_selectorIxxN6thrust23THRUST_200600_302600_NS4plusIxEEEEZZNS1_33reduce_by_key_impl_wrapped_configILNS1_25lookback_scan_determinismE0ES3_S9_NS6_6detail15normal_iteratorINS6_10device_ptrIxEEEESG_SG_SG_PmS8_22is_equal_div_10_reduceIxEEE10hipError_tPvRmT2_T3_mT4_T5_T6_T7_T8_P12ihipStream_tbENKUlT_T0_E_clISt17integral_constantIbLb1EES10_IbLb0EEEEDaSW_SX_EUlSW_E_NS1_11comp_targetILNS1_3genE9ELNS1_11target_archE1100ELNS1_3gpuE3ELNS1_3repE0EEENS1_30default_config_static_selectorELNS0_4arch9wavefront6targetE1EEEvT1_,"axG",@progbits,_ZN7rocprim17ROCPRIM_400000_NS6detail17trampoline_kernelINS0_14default_configENS1_29reduce_by_key_config_selectorIxxN6thrust23THRUST_200600_302600_NS4plusIxEEEEZZNS1_33reduce_by_key_impl_wrapped_configILNS1_25lookback_scan_determinismE0ES3_S9_NS6_6detail15normal_iteratorINS6_10device_ptrIxEEEESG_SG_SG_PmS8_22is_equal_div_10_reduceIxEEE10hipError_tPvRmT2_T3_mT4_T5_T6_T7_T8_P12ihipStream_tbENKUlT_T0_E_clISt17integral_constantIbLb1EES10_IbLb0EEEEDaSW_SX_EUlSW_E_NS1_11comp_targetILNS1_3genE9ELNS1_11target_archE1100ELNS1_3gpuE3ELNS1_3repE0EEENS1_30default_config_static_selectorELNS0_4arch9wavefront6targetE1EEEvT1_,comdat
	.protected	_ZN7rocprim17ROCPRIM_400000_NS6detail17trampoline_kernelINS0_14default_configENS1_29reduce_by_key_config_selectorIxxN6thrust23THRUST_200600_302600_NS4plusIxEEEEZZNS1_33reduce_by_key_impl_wrapped_configILNS1_25lookback_scan_determinismE0ES3_S9_NS6_6detail15normal_iteratorINS6_10device_ptrIxEEEESG_SG_SG_PmS8_22is_equal_div_10_reduceIxEEE10hipError_tPvRmT2_T3_mT4_T5_T6_T7_T8_P12ihipStream_tbENKUlT_T0_E_clISt17integral_constantIbLb1EES10_IbLb0EEEEDaSW_SX_EUlSW_E_NS1_11comp_targetILNS1_3genE9ELNS1_11target_archE1100ELNS1_3gpuE3ELNS1_3repE0EEENS1_30default_config_static_selectorELNS0_4arch9wavefront6targetE1EEEvT1_ ; -- Begin function _ZN7rocprim17ROCPRIM_400000_NS6detail17trampoline_kernelINS0_14default_configENS1_29reduce_by_key_config_selectorIxxN6thrust23THRUST_200600_302600_NS4plusIxEEEEZZNS1_33reduce_by_key_impl_wrapped_configILNS1_25lookback_scan_determinismE0ES3_S9_NS6_6detail15normal_iteratorINS6_10device_ptrIxEEEESG_SG_SG_PmS8_22is_equal_div_10_reduceIxEEE10hipError_tPvRmT2_T3_mT4_T5_T6_T7_T8_P12ihipStream_tbENKUlT_T0_E_clISt17integral_constantIbLb1EES10_IbLb0EEEEDaSW_SX_EUlSW_E_NS1_11comp_targetILNS1_3genE9ELNS1_11target_archE1100ELNS1_3gpuE3ELNS1_3repE0EEENS1_30default_config_static_selectorELNS0_4arch9wavefront6targetE1EEEvT1_
	.globl	_ZN7rocprim17ROCPRIM_400000_NS6detail17trampoline_kernelINS0_14default_configENS1_29reduce_by_key_config_selectorIxxN6thrust23THRUST_200600_302600_NS4plusIxEEEEZZNS1_33reduce_by_key_impl_wrapped_configILNS1_25lookback_scan_determinismE0ES3_S9_NS6_6detail15normal_iteratorINS6_10device_ptrIxEEEESG_SG_SG_PmS8_22is_equal_div_10_reduceIxEEE10hipError_tPvRmT2_T3_mT4_T5_T6_T7_T8_P12ihipStream_tbENKUlT_T0_E_clISt17integral_constantIbLb1EES10_IbLb0EEEEDaSW_SX_EUlSW_E_NS1_11comp_targetILNS1_3genE9ELNS1_11target_archE1100ELNS1_3gpuE3ELNS1_3repE0EEENS1_30default_config_static_selectorELNS0_4arch9wavefront6targetE1EEEvT1_
	.p2align	8
	.type	_ZN7rocprim17ROCPRIM_400000_NS6detail17trampoline_kernelINS0_14default_configENS1_29reduce_by_key_config_selectorIxxN6thrust23THRUST_200600_302600_NS4plusIxEEEEZZNS1_33reduce_by_key_impl_wrapped_configILNS1_25lookback_scan_determinismE0ES3_S9_NS6_6detail15normal_iteratorINS6_10device_ptrIxEEEESG_SG_SG_PmS8_22is_equal_div_10_reduceIxEEE10hipError_tPvRmT2_T3_mT4_T5_T6_T7_T8_P12ihipStream_tbENKUlT_T0_E_clISt17integral_constantIbLb1EES10_IbLb0EEEEDaSW_SX_EUlSW_E_NS1_11comp_targetILNS1_3genE9ELNS1_11target_archE1100ELNS1_3gpuE3ELNS1_3repE0EEENS1_30default_config_static_selectorELNS0_4arch9wavefront6targetE1EEEvT1_,@function
_ZN7rocprim17ROCPRIM_400000_NS6detail17trampoline_kernelINS0_14default_configENS1_29reduce_by_key_config_selectorIxxN6thrust23THRUST_200600_302600_NS4plusIxEEEEZZNS1_33reduce_by_key_impl_wrapped_configILNS1_25lookback_scan_determinismE0ES3_S9_NS6_6detail15normal_iteratorINS6_10device_ptrIxEEEESG_SG_SG_PmS8_22is_equal_div_10_reduceIxEEE10hipError_tPvRmT2_T3_mT4_T5_T6_T7_T8_P12ihipStream_tbENKUlT_T0_E_clISt17integral_constantIbLb1EES10_IbLb0EEEEDaSW_SX_EUlSW_E_NS1_11comp_targetILNS1_3genE9ELNS1_11target_archE1100ELNS1_3gpuE3ELNS1_3repE0EEENS1_30default_config_static_selectorELNS0_4arch9wavefront6targetE1EEEvT1_: ; @_ZN7rocprim17ROCPRIM_400000_NS6detail17trampoline_kernelINS0_14default_configENS1_29reduce_by_key_config_selectorIxxN6thrust23THRUST_200600_302600_NS4plusIxEEEEZZNS1_33reduce_by_key_impl_wrapped_configILNS1_25lookback_scan_determinismE0ES3_S9_NS6_6detail15normal_iteratorINS6_10device_ptrIxEEEESG_SG_SG_PmS8_22is_equal_div_10_reduceIxEEE10hipError_tPvRmT2_T3_mT4_T5_T6_T7_T8_P12ihipStream_tbENKUlT_T0_E_clISt17integral_constantIbLb1EES10_IbLb0EEEEDaSW_SX_EUlSW_E_NS1_11comp_targetILNS1_3genE9ELNS1_11target_archE1100ELNS1_3gpuE3ELNS1_3repE0EEENS1_30default_config_static_selectorELNS0_4arch9wavefront6targetE1EEEvT1_
; %bb.0:
	.section	.rodata,"a",@progbits
	.p2align	6, 0x0
	.amdhsa_kernel _ZN7rocprim17ROCPRIM_400000_NS6detail17trampoline_kernelINS0_14default_configENS1_29reduce_by_key_config_selectorIxxN6thrust23THRUST_200600_302600_NS4plusIxEEEEZZNS1_33reduce_by_key_impl_wrapped_configILNS1_25lookback_scan_determinismE0ES3_S9_NS6_6detail15normal_iteratorINS6_10device_ptrIxEEEESG_SG_SG_PmS8_22is_equal_div_10_reduceIxEEE10hipError_tPvRmT2_T3_mT4_T5_T6_T7_T8_P12ihipStream_tbENKUlT_T0_E_clISt17integral_constantIbLb1EES10_IbLb0EEEEDaSW_SX_EUlSW_E_NS1_11comp_targetILNS1_3genE9ELNS1_11target_archE1100ELNS1_3gpuE3ELNS1_3repE0EEENS1_30default_config_static_selectorELNS0_4arch9wavefront6targetE1EEEvT1_
		.amdhsa_group_segment_fixed_size 0
		.amdhsa_private_segment_fixed_size 0
		.amdhsa_kernarg_size 136
		.amdhsa_user_sgpr_count 6
		.amdhsa_user_sgpr_private_segment_buffer 1
		.amdhsa_user_sgpr_dispatch_ptr 0
		.amdhsa_user_sgpr_queue_ptr 0
		.amdhsa_user_sgpr_kernarg_segment_ptr 1
		.amdhsa_user_sgpr_dispatch_id 0
		.amdhsa_user_sgpr_flat_scratch_init 0
		.amdhsa_user_sgpr_kernarg_preload_length 0
		.amdhsa_user_sgpr_kernarg_preload_offset 0
		.amdhsa_user_sgpr_private_segment_size 0
		.amdhsa_uses_dynamic_stack 0
		.amdhsa_system_sgpr_private_segment_wavefront_offset 0
		.amdhsa_system_sgpr_workgroup_id_x 1
		.amdhsa_system_sgpr_workgroup_id_y 0
		.amdhsa_system_sgpr_workgroup_id_z 0
		.amdhsa_system_sgpr_workgroup_info 0
		.amdhsa_system_vgpr_workitem_id 0
		.amdhsa_next_free_vgpr 1
		.amdhsa_next_free_sgpr 0
		.amdhsa_accum_offset 4
		.amdhsa_reserve_vcc 0
		.amdhsa_reserve_flat_scratch 0
		.amdhsa_float_round_mode_32 0
		.amdhsa_float_round_mode_16_64 0
		.amdhsa_float_denorm_mode_32 3
		.amdhsa_float_denorm_mode_16_64 3
		.amdhsa_dx10_clamp 1
		.amdhsa_ieee_mode 1
		.amdhsa_fp16_overflow 0
		.amdhsa_tg_split 0
		.amdhsa_exception_fp_ieee_invalid_op 0
		.amdhsa_exception_fp_denorm_src 0
		.amdhsa_exception_fp_ieee_div_zero 0
		.amdhsa_exception_fp_ieee_overflow 0
		.amdhsa_exception_fp_ieee_underflow 0
		.amdhsa_exception_fp_ieee_inexact 0
		.amdhsa_exception_int_div_zero 0
	.end_amdhsa_kernel
	.section	.text._ZN7rocprim17ROCPRIM_400000_NS6detail17trampoline_kernelINS0_14default_configENS1_29reduce_by_key_config_selectorIxxN6thrust23THRUST_200600_302600_NS4plusIxEEEEZZNS1_33reduce_by_key_impl_wrapped_configILNS1_25lookback_scan_determinismE0ES3_S9_NS6_6detail15normal_iteratorINS6_10device_ptrIxEEEESG_SG_SG_PmS8_22is_equal_div_10_reduceIxEEE10hipError_tPvRmT2_T3_mT4_T5_T6_T7_T8_P12ihipStream_tbENKUlT_T0_E_clISt17integral_constantIbLb1EES10_IbLb0EEEEDaSW_SX_EUlSW_E_NS1_11comp_targetILNS1_3genE9ELNS1_11target_archE1100ELNS1_3gpuE3ELNS1_3repE0EEENS1_30default_config_static_selectorELNS0_4arch9wavefront6targetE1EEEvT1_,"axG",@progbits,_ZN7rocprim17ROCPRIM_400000_NS6detail17trampoline_kernelINS0_14default_configENS1_29reduce_by_key_config_selectorIxxN6thrust23THRUST_200600_302600_NS4plusIxEEEEZZNS1_33reduce_by_key_impl_wrapped_configILNS1_25lookback_scan_determinismE0ES3_S9_NS6_6detail15normal_iteratorINS6_10device_ptrIxEEEESG_SG_SG_PmS8_22is_equal_div_10_reduceIxEEE10hipError_tPvRmT2_T3_mT4_T5_T6_T7_T8_P12ihipStream_tbENKUlT_T0_E_clISt17integral_constantIbLb1EES10_IbLb0EEEEDaSW_SX_EUlSW_E_NS1_11comp_targetILNS1_3genE9ELNS1_11target_archE1100ELNS1_3gpuE3ELNS1_3repE0EEENS1_30default_config_static_selectorELNS0_4arch9wavefront6targetE1EEEvT1_,comdat
.Lfunc_end533:
	.size	_ZN7rocprim17ROCPRIM_400000_NS6detail17trampoline_kernelINS0_14default_configENS1_29reduce_by_key_config_selectorIxxN6thrust23THRUST_200600_302600_NS4plusIxEEEEZZNS1_33reduce_by_key_impl_wrapped_configILNS1_25lookback_scan_determinismE0ES3_S9_NS6_6detail15normal_iteratorINS6_10device_ptrIxEEEESG_SG_SG_PmS8_22is_equal_div_10_reduceIxEEE10hipError_tPvRmT2_T3_mT4_T5_T6_T7_T8_P12ihipStream_tbENKUlT_T0_E_clISt17integral_constantIbLb1EES10_IbLb0EEEEDaSW_SX_EUlSW_E_NS1_11comp_targetILNS1_3genE9ELNS1_11target_archE1100ELNS1_3gpuE3ELNS1_3repE0EEENS1_30default_config_static_selectorELNS0_4arch9wavefront6targetE1EEEvT1_, .Lfunc_end533-_ZN7rocprim17ROCPRIM_400000_NS6detail17trampoline_kernelINS0_14default_configENS1_29reduce_by_key_config_selectorIxxN6thrust23THRUST_200600_302600_NS4plusIxEEEEZZNS1_33reduce_by_key_impl_wrapped_configILNS1_25lookback_scan_determinismE0ES3_S9_NS6_6detail15normal_iteratorINS6_10device_ptrIxEEEESG_SG_SG_PmS8_22is_equal_div_10_reduceIxEEE10hipError_tPvRmT2_T3_mT4_T5_T6_T7_T8_P12ihipStream_tbENKUlT_T0_E_clISt17integral_constantIbLb1EES10_IbLb0EEEEDaSW_SX_EUlSW_E_NS1_11comp_targetILNS1_3genE9ELNS1_11target_archE1100ELNS1_3gpuE3ELNS1_3repE0EEENS1_30default_config_static_selectorELNS0_4arch9wavefront6targetE1EEEvT1_
                                        ; -- End function
	.section	.AMDGPU.csdata,"",@progbits
; Kernel info:
; codeLenInByte = 0
; NumSgprs: 4
; NumVgprs: 0
; NumAgprs: 0
; TotalNumVgprs: 0
; ScratchSize: 0
; MemoryBound: 0
; FloatMode: 240
; IeeeMode: 1
; LDSByteSize: 0 bytes/workgroup (compile time only)
; SGPRBlocks: 0
; VGPRBlocks: 0
; NumSGPRsForWavesPerEU: 4
; NumVGPRsForWavesPerEU: 1
; AccumOffset: 4
; Occupancy: 8
; WaveLimiterHint : 0
; COMPUTE_PGM_RSRC2:SCRATCH_EN: 0
; COMPUTE_PGM_RSRC2:USER_SGPR: 6
; COMPUTE_PGM_RSRC2:TRAP_HANDLER: 0
; COMPUTE_PGM_RSRC2:TGID_X_EN: 1
; COMPUTE_PGM_RSRC2:TGID_Y_EN: 0
; COMPUTE_PGM_RSRC2:TGID_Z_EN: 0
; COMPUTE_PGM_RSRC2:TIDIG_COMP_CNT: 0
; COMPUTE_PGM_RSRC3_GFX90A:ACCUM_OFFSET: 0
; COMPUTE_PGM_RSRC3_GFX90A:TG_SPLIT: 0
	.section	.text._ZN7rocprim17ROCPRIM_400000_NS6detail17trampoline_kernelINS0_14default_configENS1_29reduce_by_key_config_selectorIxxN6thrust23THRUST_200600_302600_NS4plusIxEEEEZZNS1_33reduce_by_key_impl_wrapped_configILNS1_25lookback_scan_determinismE0ES3_S9_NS6_6detail15normal_iteratorINS6_10device_ptrIxEEEESG_SG_SG_PmS8_22is_equal_div_10_reduceIxEEE10hipError_tPvRmT2_T3_mT4_T5_T6_T7_T8_P12ihipStream_tbENKUlT_T0_E_clISt17integral_constantIbLb1EES10_IbLb0EEEEDaSW_SX_EUlSW_E_NS1_11comp_targetILNS1_3genE8ELNS1_11target_archE1030ELNS1_3gpuE2ELNS1_3repE0EEENS1_30default_config_static_selectorELNS0_4arch9wavefront6targetE1EEEvT1_,"axG",@progbits,_ZN7rocprim17ROCPRIM_400000_NS6detail17trampoline_kernelINS0_14default_configENS1_29reduce_by_key_config_selectorIxxN6thrust23THRUST_200600_302600_NS4plusIxEEEEZZNS1_33reduce_by_key_impl_wrapped_configILNS1_25lookback_scan_determinismE0ES3_S9_NS6_6detail15normal_iteratorINS6_10device_ptrIxEEEESG_SG_SG_PmS8_22is_equal_div_10_reduceIxEEE10hipError_tPvRmT2_T3_mT4_T5_T6_T7_T8_P12ihipStream_tbENKUlT_T0_E_clISt17integral_constantIbLb1EES10_IbLb0EEEEDaSW_SX_EUlSW_E_NS1_11comp_targetILNS1_3genE8ELNS1_11target_archE1030ELNS1_3gpuE2ELNS1_3repE0EEENS1_30default_config_static_selectorELNS0_4arch9wavefront6targetE1EEEvT1_,comdat
	.protected	_ZN7rocprim17ROCPRIM_400000_NS6detail17trampoline_kernelINS0_14default_configENS1_29reduce_by_key_config_selectorIxxN6thrust23THRUST_200600_302600_NS4plusIxEEEEZZNS1_33reduce_by_key_impl_wrapped_configILNS1_25lookback_scan_determinismE0ES3_S9_NS6_6detail15normal_iteratorINS6_10device_ptrIxEEEESG_SG_SG_PmS8_22is_equal_div_10_reduceIxEEE10hipError_tPvRmT2_T3_mT4_T5_T6_T7_T8_P12ihipStream_tbENKUlT_T0_E_clISt17integral_constantIbLb1EES10_IbLb0EEEEDaSW_SX_EUlSW_E_NS1_11comp_targetILNS1_3genE8ELNS1_11target_archE1030ELNS1_3gpuE2ELNS1_3repE0EEENS1_30default_config_static_selectorELNS0_4arch9wavefront6targetE1EEEvT1_ ; -- Begin function _ZN7rocprim17ROCPRIM_400000_NS6detail17trampoline_kernelINS0_14default_configENS1_29reduce_by_key_config_selectorIxxN6thrust23THRUST_200600_302600_NS4plusIxEEEEZZNS1_33reduce_by_key_impl_wrapped_configILNS1_25lookback_scan_determinismE0ES3_S9_NS6_6detail15normal_iteratorINS6_10device_ptrIxEEEESG_SG_SG_PmS8_22is_equal_div_10_reduceIxEEE10hipError_tPvRmT2_T3_mT4_T5_T6_T7_T8_P12ihipStream_tbENKUlT_T0_E_clISt17integral_constantIbLb1EES10_IbLb0EEEEDaSW_SX_EUlSW_E_NS1_11comp_targetILNS1_3genE8ELNS1_11target_archE1030ELNS1_3gpuE2ELNS1_3repE0EEENS1_30default_config_static_selectorELNS0_4arch9wavefront6targetE1EEEvT1_
	.globl	_ZN7rocprim17ROCPRIM_400000_NS6detail17trampoline_kernelINS0_14default_configENS1_29reduce_by_key_config_selectorIxxN6thrust23THRUST_200600_302600_NS4plusIxEEEEZZNS1_33reduce_by_key_impl_wrapped_configILNS1_25lookback_scan_determinismE0ES3_S9_NS6_6detail15normal_iteratorINS6_10device_ptrIxEEEESG_SG_SG_PmS8_22is_equal_div_10_reduceIxEEE10hipError_tPvRmT2_T3_mT4_T5_T6_T7_T8_P12ihipStream_tbENKUlT_T0_E_clISt17integral_constantIbLb1EES10_IbLb0EEEEDaSW_SX_EUlSW_E_NS1_11comp_targetILNS1_3genE8ELNS1_11target_archE1030ELNS1_3gpuE2ELNS1_3repE0EEENS1_30default_config_static_selectorELNS0_4arch9wavefront6targetE1EEEvT1_
	.p2align	8
	.type	_ZN7rocprim17ROCPRIM_400000_NS6detail17trampoline_kernelINS0_14default_configENS1_29reduce_by_key_config_selectorIxxN6thrust23THRUST_200600_302600_NS4plusIxEEEEZZNS1_33reduce_by_key_impl_wrapped_configILNS1_25lookback_scan_determinismE0ES3_S9_NS6_6detail15normal_iteratorINS6_10device_ptrIxEEEESG_SG_SG_PmS8_22is_equal_div_10_reduceIxEEE10hipError_tPvRmT2_T3_mT4_T5_T6_T7_T8_P12ihipStream_tbENKUlT_T0_E_clISt17integral_constantIbLb1EES10_IbLb0EEEEDaSW_SX_EUlSW_E_NS1_11comp_targetILNS1_3genE8ELNS1_11target_archE1030ELNS1_3gpuE2ELNS1_3repE0EEENS1_30default_config_static_selectorELNS0_4arch9wavefront6targetE1EEEvT1_,@function
_ZN7rocprim17ROCPRIM_400000_NS6detail17trampoline_kernelINS0_14default_configENS1_29reduce_by_key_config_selectorIxxN6thrust23THRUST_200600_302600_NS4plusIxEEEEZZNS1_33reduce_by_key_impl_wrapped_configILNS1_25lookback_scan_determinismE0ES3_S9_NS6_6detail15normal_iteratorINS6_10device_ptrIxEEEESG_SG_SG_PmS8_22is_equal_div_10_reduceIxEEE10hipError_tPvRmT2_T3_mT4_T5_T6_T7_T8_P12ihipStream_tbENKUlT_T0_E_clISt17integral_constantIbLb1EES10_IbLb0EEEEDaSW_SX_EUlSW_E_NS1_11comp_targetILNS1_3genE8ELNS1_11target_archE1030ELNS1_3gpuE2ELNS1_3repE0EEENS1_30default_config_static_selectorELNS0_4arch9wavefront6targetE1EEEvT1_: ; @_ZN7rocprim17ROCPRIM_400000_NS6detail17trampoline_kernelINS0_14default_configENS1_29reduce_by_key_config_selectorIxxN6thrust23THRUST_200600_302600_NS4plusIxEEEEZZNS1_33reduce_by_key_impl_wrapped_configILNS1_25lookback_scan_determinismE0ES3_S9_NS6_6detail15normal_iteratorINS6_10device_ptrIxEEEESG_SG_SG_PmS8_22is_equal_div_10_reduceIxEEE10hipError_tPvRmT2_T3_mT4_T5_T6_T7_T8_P12ihipStream_tbENKUlT_T0_E_clISt17integral_constantIbLb1EES10_IbLb0EEEEDaSW_SX_EUlSW_E_NS1_11comp_targetILNS1_3genE8ELNS1_11target_archE1030ELNS1_3gpuE2ELNS1_3repE0EEENS1_30default_config_static_selectorELNS0_4arch9wavefront6targetE1EEEvT1_
; %bb.0:
	.section	.rodata,"a",@progbits
	.p2align	6, 0x0
	.amdhsa_kernel _ZN7rocprim17ROCPRIM_400000_NS6detail17trampoline_kernelINS0_14default_configENS1_29reduce_by_key_config_selectorIxxN6thrust23THRUST_200600_302600_NS4plusIxEEEEZZNS1_33reduce_by_key_impl_wrapped_configILNS1_25lookback_scan_determinismE0ES3_S9_NS6_6detail15normal_iteratorINS6_10device_ptrIxEEEESG_SG_SG_PmS8_22is_equal_div_10_reduceIxEEE10hipError_tPvRmT2_T3_mT4_T5_T6_T7_T8_P12ihipStream_tbENKUlT_T0_E_clISt17integral_constantIbLb1EES10_IbLb0EEEEDaSW_SX_EUlSW_E_NS1_11comp_targetILNS1_3genE8ELNS1_11target_archE1030ELNS1_3gpuE2ELNS1_3repE0EEENS1_30default_config_static_selectorELNS0_4arch9wavefront6targetE1EEEvT1_
		.amdhsa_group_segment_fixed_size 0
		.amdhsa_private_segment_fixed_size 0
		.amdhsa_kernarg_size 136
		.amdhsa_user_sgpr_count 6
		.amdhsa_user_sgpr_private_segment_buffer 1
		.amdhsa_user_sgpr_dispatch_ptr 0
		.amdhsa_user_sgpr_queue_ptr 0
		.amdhsa_user_sgpr_kernarg_segment_ptr 1
		.amdhsa_user_sgpr_dispatch_id 0
		.amdhsa_user_sgpr_flat_scratch_init 0
		.amdhsa_user_sgpr_kernarg_preload_length 0
		.amdhsa_user_sgpr_kernarg_preload_offset 0
		.amdhsa_user_sgpr_private_segment_size 0
		.amdhsa_uses_dynamic_stack 0
		.amdhsa_system_sgpr_private_segment_wavefront_offset 0
		.amdhsa_system_sgpr_workgroup_id_x 1
		.amdhsa_system_sgpr_workgroup_id_y 0
		.amdhsa_system_sgpr_workgroup_id_z 0
		.amdhsa_system_sgpr_workgroup_info 0
		.amdhsa_system_vgpr_workitem_id 0
		.amdhsa_next_free_vgpr 1
		.amdhsa_next_free_sgpr 0
		.amdhsa_accum_offset 4
		.amdhsa_reserve_vcc 0
		.amdhsa_reserve_flat_scratch 0
		.amdhsa_float_round_mode_32 0
		.amdhsa_float_round_mode_16_64 0
		.amdhsa_float_denorm_mode_32 3
		.amdhsa_float_denorm_mode_16_64 3
		.amdhsa_dx10_clamp 1
		.amdhsa_ieee_mode 1
		.amdhsa_fp16_overflow 0
		.amdhsa_tg_split 0
		.amdhsa_exception_fp_ieee_invalid_op 0
		.amdhsa_exception_fp_denorm_src 0
		.amdhsa_exception_fp_ieee_div_zero 0
		.amdhsa_exception_fp_ieee_overflow 0
		.amdhsa_exception_fp_ieee_underflow 0
		.amdhsa_exception_fp_ieee_inexact 0
		.amdhsa_exception_int_div_zero 0
	.end_amdhsa_kernel
	.section	.text._ZN7rocprim17ROCPRIM_400000_NS6detail17trampoline_kernelINS0_14default_configENS1_29reduce_by_key_config_selectorIxxN6thrust23THRUST_200600_302600_NS4plusIxEEEEZZNS1_33reduce_by_key_impl_wrapped_configILNS1_25lookback_scan_determinismE0ES3_S9_NS6_6detail15normal_iteratorINS6_10device_ptrIxEEEESG_SG_SG_PmS8_22is_equal_div_10_reduceIxEEE10hipError_tPvRmT2_T3_mT4_T5_T6_T7_T8_P12ihipStream_tbENKUlT_T0_E_clISt17integral_constantIbLb1EES10_IbLb0EEEEDaSW_SX_EUlSW_E_NS1_11comp_targetILNS1_3genE8ELNS1_11target_archE1030ELNS1_3gpuE2ELNS1_3repE0EEENS1_30default_config_static_selectorELNS0_4arch9wavefront6targetE1EEEvT1_,"axG",@progbits,_ZN7rocprim17ROCPRIM_400000_NS6detail17trampoline_kernelINS0_14default_configENS1_29reduce_by_key_config_selectorIxxN6thrust23THRUST_200600_302600_NS4plusIxEEEEZZNS1_33reduce_by_key_impl_wrapped_configILNS1_25lookback_scan_determinismE0ES3_S9_NS6_6detail15normal_iteratorINS6_10device_ptrIxEEEESG_SG_SG_PmS8_22is_equal_div_10_reduceIxEEE10hipError_tPvRmT2_T3_mT4_T5_T6_T7_T8_P12ihipStream_tbENKUlT_T0_E_clISt17integral_constantIbLb1EES10_IbLb0EEEEDaSW_SX_EUlSW_E_NS1_11comp_targetILNS1_3genE8ELNS1_11target_archE1030ELNS1_3gpuE2ELNS1_3repE0EEENS1_30default_config_static_selectorELNS0_4arch9wavefront6targetE1EEEvT1_,comdat
.Lfunc_end534:
	.size	_ZN7rocprim17ROCPRIM_400000_NS6detail17trampoline_kernelINS0_14default_configENS1_29reduce_by_key_config_selectorIxxN6thrust23THRUST_200600_302600_NS4plusIxEEEEZZNS1_33reduce_by_key_impl_wrapped_configILNS1_25lookback_scan_determinismE0ES3_S9_NS6_6detail15normal_iteratorINS6_10device_ptrIxEEEESG_SG_SG_PmS8_22is_equal_div_10_reduceIxEEE10hipError_tPvRmT2_T3_mT4_T5_T6_T7_T8_P12ihipStream_tbENKUlT_T0_E_clISt17integral_constantIbLb1EES10_IbLb0EEEEDaSW_SX_EUlSW_E_NS1_11comp_targetILNS1_3genE8ELNS1_11target_archE1030ELNS1_3gpuE2ELNS1_3repE0EEENS1_30default_config_static_selectorELNS0_4arch9wavefront6targetE1EEEvT1_, .Lfunc_end534-_ZN7rocprim17ROCPRIM_400000_NS6detail17trampoline_kernelINS0_14default_configENS1_29reduce_by_key_config_selectorIxxN6thrust23THRUST_200600_302600_NS4plusIxEEEEZZNS1_33reduce_by_key_impl_wrapped_configILNS1_25lookback_scan_determinismE0ES3_S9_NS6_6detail15normal_iteratorINS6_10device_ptrIxEEEESG_SG_SG_PmS8_22is_equal_div_10_reduceIxEEE10hipError_tPvRmT2_T3_mT4_T5_T6_T7_T8_P12ihipStream_tbENKUlT_T0_E_clISt17integral_constantIbLb1EES10_IbLb0EEEEDaSW_SX_EUlSW_E_NS1_11comp_targetILNS1_3genE8ELNS1_11target_archE1030ELNS1_3gpuE2ELNS1_3repE0EEENS1_30default_config_static_selectorELNS0_4arch9wavefront6targetE1EEEvT1_
                                        ; -- End function
	.section	.AMDGPU.csdata,"",@progbits
; Kernel info:
; codeLenInByte = 0
; NumSgprs: 4
; NumVgprs: 0
; NumAgprs: 0
; TotalNumVgprs: 0
; ScratchSize: 0
; MemoryBound: 0
; FloatMode: 240
; IeeeMode: 1
; LDSByteSize: 0 bytes/workgroup (compile time only)
; SGPRBlocks: 0
; VGPRBlocks: 0
; NumSGPRsForWavesPerEU: 4
; NumVGPRsForWavesPerEU: 1
; AccumOffset: 4
; Occupancy: 8
; WaveLimiterHint : 0
; COMPUTE_PGM_RSRC2:SCRATCH_EN: 0
; COMPUTE_PGM_RSRC2:USER_SGPR: 6
; COMPUTE_PGM_RSRC2:TRAP_HANDLER: 0
; COMPUTE_PGM_RSRC2:TGID_X_EN: 1
; COMPUTE_PGM_RSRC2:TGID_Y_EN: 0
; COMPUTE_PGM_RSRC2:TGID_Z_EN: 0
; COMPUTE_PGM_RSRC2:TIDIG_COMP_CNT: 0
; COMPUTE_PGM_RSRC3_GFX90A:ACCUM_OFFSET: 0
; COMPUTE_PGM_RSRC3_GFX90A:TG_SPLIT: 0
	.section	.text._ZN7rocprim17ROCPRIM_400000_NS6detail17trampoline_kernelINS0_14default_configENS1_29reduce_by_key_config_selectorIxxN6thrust23THRUST_200600_302600_NS4plusIxEEEEZZNS1_33reduce_by_key_impl_wrapped_configILNS1_25lookback_scan_determinismE0ES3_S9_NS6_6detail15normal_iteratorINS6_10device_ptrIxEEEESG_SG_SG_PmS8_22is_equal_div_10_reduceIxEEE10hipError_tPvRmT2_T3_mT4_T5_T6_T7_T8_P12ihipStream_tbENKUlT_T0_E_clISt17integral_constantIbLb0EES10_IbLb1EEEEDaSW_SX_EUlSW_E_NS1_11comp_targetILNS1_3genE0ELNS1_11target_archE4294967295ELNS1_3gpuE0ELNS1_3repE0EEENS1_30default_config_static_selectorELNS0_4arch9wavefront6targetE1EEEvT1_,"axG",@progbits,_ZN7rocprim17ROCPRIM_400000_NS6detail17trampoline_kernelINS0_14default_configENS1_29reduce_by_key_config_selectorIxxN6thrust23THRUST_200600_302600_NS4plusIxEEEEZZNS1_33reduce_by_key_impl_wrapped_configILNS1_25lookback_scan_determinismE0ES3_S9_NS6_6detail15normal_iteratorINS6_10device_ptrIxEEEESG_SG_SG_PmS8_22is_equal_div_10_reduceIxEEE10hipError_tPvRmT2_T3_mT4_T5_T6_T7_T8_P12ihipStream_tbENKUlT_T0_E_clISt17integral_constantIbLb0EES10_IbLb1EEEEDaSW_SX_EUlSW_E_NS1_11comp_targetILNS1_3genE0ELNS1_11target_archE4294967295ELNS1_3gpuE0ELNS1_3repE0EEENS1_30default_config_static_selectorELNS0_4arch9wavefront6targetE1EEEvT1_,comdat
	.protected	_ZN7rocprim17ROCPRIM_400000_NS6detail17trampoline_kernelINS0_14default_configENS1_29reduce_by_key_config_selectorIxxN6thrust23THRUST_200600_302600_NS4plusIxEEEEZZNS1_33reduce_by_key_impl_wrapped_configILNS1_25lookback_scan_determinismE0ES3_S9_NS6_6detail15normal_iteratorINS6_10device_ptrIxEEEESG_SG_SG_PmS8_22is_equal_div_10_reduceIxEEE10hipError_tPvRmT2_T3_mT4_T5_T6_T7_T8_P12ihipStream_tbENKUlT_T0_E_clISt17integral_constantIbLb0EES10_IbLb1EEEEDaSW_SX_EUlSW_E_NS1_11comp_targetILNS1_3genE0ELNS1_11target_archE4294967295ELNS1_3gpuE0ELNS1_3repE0EEENS1_30default_config_static_selectorELNS0_4arch9wavefront6targetE1EEEvT1_ ; -- Begin function _ZN7rocprim17ROCPRIM_400000_NS6detail17trampoline_kernelINS0_14default_configENS1_29reduce_by_key_config_selectorIxxN6thrust23THRUST_200600_302600_NS4plusIxEEEEZZNS1_33reduce_by_key_impl_wrapped_configILNS1_25lookback_scan_determinismE0ES3_S9_NS6_6detail15normal_iteratorINS6_10device_ptrIxEEEESG_SG_SG_PmS8_22is_equal_div_10_reduceIxEEE10hipError_tPvRmT2_T3_mT4_T5_T6_T7_T8_P12ihipStream_tbENKUlT_T0_E_clISt17integral_constantIbLb0EES10_IbLb1EEEEDaSW_SX_EUlSW_E_NS1_11comp_targetILNS1_3genE0ELNS1_11target_archE4294967295ELNS1_3gpuE0ELNS1_3repE0EEENS1_30default_config_static_selectorELNS0_4arch9wavefront6targetE1EEEvT1_
	.globl	_ZN7rocprim17ROCPRIM_400000_NS6detail17trampoline_kernelINS0_14default_configENS1_29reduce_by_key_config_selectorIxxN6thrust23THRUST_200600_302600_NS4plusIxEEEEZZNS1_33reduce_by_key_impl_wrapped_configILNS1_25lookback_scan_determinismE0ES3_S9_NS6_6detail15normal_iteratorINS6_10device_ptrIxEEEESG_SG_SG_PmS8_22is_equal_div_10_reduceIxEEE10hipError_tPvRmT2_T3_mT4_T5_T6_T7_T8_P12ihipStream_tbENKUlT_T0_E_clISt17integral_constantIbLb0EES10_IbLb1EEEEDaSW_SX_EUlSW_E_NS1_11comp_targetILNS1_3genE0ELNS1_11target_archE4294967295ELNS1_3gpuE0ELNS1_3repE0EEENS1_30default_config_static_selectorELNS0_4arch9wavefront6targetE1EEEvT1_
	.p2align	8
	.type	_ZN7rocprim17ROCPRIM_400000_NS6detail17trampoline_kernelINS0_14default_configENS1_29reduce_by_key_config_selectorIxxN6thrust23THRUST_200600_302600_NS4plusIxEEEEZZNS1_33reduce_by_key_impl_wrapped_configILNS1_25lookback_scan_determinismE0ES3_S9_NS6_6detail15normal_iteratorINS6_10device_ptrIxEEEESG_SG_SG_PmS8_22is_equal_div_10_reduceIxEEE10hipError_tPvRmT2_T3_mT4_T5_T6_T7_T8_P12ihipStream_tbENKUlT_T0_E_clISt17integral_constantIbLb0EES10_IbLb1EEEEDaSW_SX_EUlSW_E_NS1_11comp_targetILNS1_3genE0ELNS1_11target_archE4294967295ELNS1_3gpuE0ELNS1_3repE0EEENS1_30default_config_static_selectorELNS0_4arch9wavefront6targetE1EEEvT1_,@function
_ZN7rocprim17ROCPRIM_400000_NS6detail17trampoline_kernelINS0_14default_configENS1_29reduce_by_key_config_selectorIxxN6thrust23THRUST_200600_302600_NS4plusIxEEEEZZNS1_33reduce_by_key_impl_wrapped_configILNS1_25lookback_scan_determinismE0ES3_S9_NS6_6detail15normal_iteratorINS6_10device_ptrIxEEEESG_SG_SG_PmS8_22is_equal_div_10_reduceIxEEE10hipError_tPvRmT2_T3_mT4_T5_T6_T7_T8_P12ihipStream_tbENKUlT_T0_E_clISt17integral_constantIbLb0EES10_IbLb1EEEEDaSW_SX_EUlSW_E_NS1_11comp_targetILNS1_3genE0ELNS1_11target_archE4294967295ELNS1_3gpuE0ELNS1_3repE0EEENS1_30default_config_static_selectorELNS0_4arch9wavefront6targetE1EEEvT1_: ; @_ZN7rocprim17ROCPRIM_400000_NS6detail17trampoline_kernelINS0_14default_configENS1_29reduce_by_key_config_selectorIxxN6thrust23THRUST_200600_302600_NS4plusIxEEEEZZNS1_33reduce_by_key_impl_wrapped_configILNS1_25lookback_scan_determinismE0ES3_S9_NS6_6detail15normal_iteratorINS6_10device_ptrIxEEEESG_SG_SG_PmS8_22is_equal_div_10_reduceIxEEE10hipError_tPvRmT2_T3_mT4_T5_T6_T7_T8_P12ihipStream_tbENKUlT_T0_E_clISt17integral_constantIbLb0EES10_IbLb1EEEEDaSW_SX_EUlSW_E_NS1_11comp_targetILNS1_3genE0ELNS1_11target_archE4294967295ELNS1_3gpuE0ELNS1_3repE0EEENS1_30default_config_static_selectorELNS0_4arch9wavefront6targetE1EEEvT1_
; %bb.0:
	.section	.rodata,"a",@progbits
	.p2align	6, 0x0
	.amdhsa_kernel _ZN7rocprim17ROCPRIM_400000_NS6detail17trampoline_kernelINS0_14default_configENS1_29reduce_by_key_config_selectorIxxN6thrust23THRUST_200600_302600_NS4plusIxEEEEZZNS1_33reduce_by_key_impl_wrapped_configILNS1_25lookback_scan_determinismE0ES3_S9_NS6_6detail15normal_iteratorINS6_10device_ptrIxEEEESG_SG_SG_PmS8_22is_equal_div_10_reduceIxEEE10hipError_tPvRmT2_T3_mT4_T5_T6_T7_T8_P12ihipStream_tbENKUlT_T0_E_clISt17integral_constantIbLb0EES10_IbLb1EEEEDaSW_SX_EUlSW_E_NS1_11comp_targetILNS1_3genE0ELNS1_11target_archE4294967295ELNS1_3gpuE0ELNS1_3repE0EEENS1_30default_config_static_selectorELNS0_4arch9wavefront6targetE1EEEvT1_
		.amdhsa_group_segment_fixed_size 0
		.amdhsa_private_segment_fixed_size 0
		.amdhsa_kernarg_size 136
		.amdhsa_user_sgpr_count 6
		.amdhsa_user_sgpr_private_segment_buffer 1
		.amdhsa_user_sgpr_dispatch_ptr 0
		.amdhsa_user_sgpr_queue_ptr 0
		.amdhsa_user_sgpr_kernarg_segment_ptr 1
		.amdhsa_user_sgpr_dispatch_id 0
		.amdhsa_user_sgpr_flat_scratch_init 0
		.amdhsa_user_sgpr_kernarg_preload_length 0
		.amdhsa_user_sgpr_kernarg_preload_offset 0
		.amdhsa_user_sgpr_private_segment_size 0
		.amdhsa_uses_dynamic_stack 0
		.amdhsa_system_sgpr_private_segment_wavefront_offset 0
		.amdhsa_system_sgpr_workgroup_id_x 1
		.amdhsa_system_sgpr_workgroup_id_y 0
		.amdhsa_system_sgpr_workgroup_id_z 0
		.amdhsa_system_sgpr_workgroup_info 0
		.amdhsa_system_vgpr_workitem_id 0
		.amdhsa_next_free_vgpr 1
		.amdhsa_next_free_sgpr 0
		.amdhsa_accum_offset 4
		.amdhsa_reserve_vcc 0
		.amdhsa_reserve_flat_scratch 0
		.amdhsa_float_round_mode_32 0
		.amdhsa_float_round_mode_16_64 0
		.amdhsa_float_denorm_mode_32 3
		.amdhsa_float_denorm_mode_16_64 3
		.amdhsa_dx10_clamp 1
		.amdhsa_ieee_mode 1
		.amdhsa_fp16_overflow 0
		.amdhsa_tg_split 0
		.amdhsa_exception_fp_ieee_invalid_op 0
		.amdhsa_exception_fp_denorm_src 0
		.amdhsa_exception_fp_ieee_div_zero 0
		.amdhsa_exception_fp_ieee_overflow 0
		.amdhsa_exception_fp_ieee_underflow 0
		.amdhsa_exception_fp_ieee_inexact 0
		.amdhsa_exception_int_div_zero 0
	.end_amdhsa_kernel
	.section	.text._ZN7rocprim17ROCPRIM_400000_NS6detail17trampoline_kernelINS0_14default_configENS1_29reduce_by_key_config_selectorIxxN6thrust23THRUST_200600_302600_NS4plusIxEEEEZZNS1_33reduce_by_key_impl_wrapped_configILNS1_25lookback_scan_determinismE0ES3_S9_NS6_6detail15normal_iteratorINS6_10device_ptrIxEEEESG_SG_SG_PmS8_22is_equal_div_10_reduceIxEEE10hipError_tPvRmT2_T3_mT4_T5_T6_T7_T8_P12ihipStream_tbENKUlT_T0_E_clISt17integral_constantIbLb0EES10_IbLb1EEEEDaSW_SX_EUlSW_E_NS1_11comp_targetILNS1_3genE0ELNS1_11target_archE4294967295ELNS1_3gpuE0ELNS1_3repE0EEENS1_30default_config_static_selectorELNS0_4arch9wavefront6targetE1EEEvT1_,"axG",@progbits,_ZN7rocprim17ROCPRIM_400000_NS6detail17trampoline_kernelINS0_14default_configENS1_29reduce_by_key_config_selectorIxxN6thrust23THRUST_200600_302600_NS4plusIxEEEEZZNS1_33reduce_by_key_impl_wrapped_configILNS1_25lookback_scan_determinismE0ES3_S9_NS6_6detail15normal_iteratorINS6_10device_ptrIxEEEESG_SG_SG_PmS8_22is_equal_div_10_reduceIxEEE10hipError_tPvRmT2_T3_mT4_T5_T6_T7_T8_P12ihipStream_tbENKUlT_T0_E_clISt17integral_constantIbLb0EES10_IbLb1EEEEDaSW_SX_EUlSW_E_NS1_11comp_targetILNS1_3genE0ELNS1_11target_archE4294967295ELNS1_3gpuE0ELNS1_3repE0EEENS1_30default_config_static_selectorELNS0_4arch9wavefront6targetE1EEEvT1_,comdat
.Lfunc_end535:
	.size	_ZN7rocprim17ROCPRIM_400000_NS6detail17trampoline_kernelINS0_14default_configENS1_29reduce_by_key_config_selectorIxxN6thrust23THRUST_200600_302600_NS4plusIxEEEEZZNS1_33reduce_by_key_impl_wrapped_configILNS1_25lookback_scan_determinismE0ES3_S9_NS6_6detail15normal_iteratorINS6_10device_ptrIxEEEESG_SG_SG_PmS8_22is_equal_div_10_reduceIxEEE10hipError_tPvRmT2_T3_mT4_T5_T6_T7_T8_P12ihipStream_tbENKUlT_T0_E_clISt17integral_constantIbLb0EES10_IbLb1EEEEDaSW_SX_EUlSW_E_NS1_11comp_targetILNS1_3genE0ELNS1_11target_archE4294967295ELNS1_3gpuE0ELNS1_3repE0EEENS1_30default_config_static_selectorELNS0_4arch9wavefront6targetE1EEEvT1_, .Lfunc_end535-_ZN7rocprim17ROCPRIM_400000_NS6detail17trampoline_kernelINS0_14default_configENS1_29reduce_by_key_config_selectorIxxN6thrust23THRUST_200600_302600_NS4plusIxEEEEZZNS1_33reduce_by_key_impl_wrapped_configILNS1_25lookback_scan_determinismE0ES3_S9_NS6_6detail15normal_iteratorINS6_10device_ptrIxEEEESG_SG_SG_PmS8_22is_equal_div_10_reduceIxEEE10hipError_tPvRmT2_T3_mT4_T5_T6_T7_T8_P12ihipStream_tbENKUlT_T0_E_clISt17integral_constantIbLb0EES10_IbLb1EEEEDaSW_SX_EUlSW_E_NS1_11comp_targetILNS1_3genE0ELNS1_11target_archE4294967295ELNS1_3gpuE0ELNS1_3repE0EEENS1_30default_config_static_selectorELNS0_4arch9wavefront6targetE1EEEvT1_
                                        ; -- End function
	.section	.AMDGPU.csdata,"",@progbits
; Kernel info:
; codeLenInByte = 0
; NumSgprs: 4
; NumVgprs: 0
; NumAgprs: 0
; TotalNumVgprs: 0
; ScratchSize: 0
; MemoryBound: 0
; FloatMode: 240
; IeeeMode: 1
; LDSByteSize: 0 bytes/workgroup (compile time only)
; SGPRBlocks: 0
; VGPRBlocks: 0
; NumSGPRsForWavesPerEU: 4
; NumVGPRsForWavesPerEU: 1
; AccumOffset: 4
; Occupancy: 8
; WaveLimiterHint : 0
; COMPUTE_PGM_RSRC2:SCRATCH_EN: 0
; COMPUTE_PGM_RSRC2:USER_SGPR: 6
; COMPUTE_PGM_RSRC2:TRAP_HANDLER: 0
; COMPUTE_PGM_RSRC2:TGID_X_EN: 1
; COMPUTE_PGM_RSRC2:TGID_Y_EN: 0
; COMPUTE_PGM_RSRC2:TGID_Z_EN: 0
; COMPUTE_PGM_RSRC2:TIDIG_COMP_CNT: 0
; COMPUTE_PGM_RSRC3_GFX90A:ACCUM_OFFSET: 0
; COMPUTE_PGM_RSRC3_GFX90A:TG_SPLIT: 0
	.section	.text._ZN7rocprim17ROCPRIM_400000_NS6detail17trampoline_kernelINS0_14default_configENS1_29reduce_by_key_config_selectorIxxN6thrust23THRUST_200600_302600_NS4plusIxEEEEZZNS1_33reduce_by_key_impl_wrapped_configILNS1_25lookback_scan_determinismE0ES3_S9_NS6_6detail15normal_iteratorINS6_10device_ptrIxEEEESG_SG_SG_PmS8_22is_equal_div_10_reduceIxEEE10hipError_tPvRmT2_T3_mT4_T5_T6_T7_T8_P12ihipStream_tbENKUlT_T0_E_clISt17integral_constantIbLb0EES10_IbLb1EEEEDaSW_SX_EUlSW_E_NS1_11comp_targetILNS1_3genE5ELNS1_11target_archE942ELNS1_3gpuE9ELNS1_3repE0EEENS1_30default_config_static_selectorELNS0_4arch9wavefront6targetE1EEEvT1_,"axG",@progbits,_ZN7rocprim17ROCPRIM_400000_NS6detail17trampoline_kernelINS0_14default_configENS1_29reduce_by_key_config_selectorIxxN6thrust23THRUST_200600_302600_NS4plusIxEEEEZZNS1_33reduce_by_key_impl_wrapped_configILNS1_25lookback_scan_determinismE0ES3_S9_NS6_6detail15normal_iteratorINS6_10device_ptrIxEEEESG_SG_SG_PmS8_22is_equal_div_10_reduceIxEEE10hipError_tPvRmT2_T3_mT4_T5_T6_T7_T8_P12ihipStream_tbENKUlT_T0_E_clISt17integral_constantIbLb0EES10_IbLb1EEEEDaSW_SX_EUlSW_E_NS1_11comp_targetILNS1_3genE5ELNS1_11target_archE942ELNS1_3gpuE9ELNS1_3repE0EEENS1_30default_config_static_selectorELNS0_4arch9wavefront6targetE1EEEvT1_,comdat
	.protected	_ZN7rocprim17ROCPRIM_400000_NS6detail17trampoline_kernelINS0_14default_configENS1_29reduce_by_key_config_selectorIxxN6thrust23THRUST_200600_302600_NS4plusIxEEEEZZNS1_33reduce_by_key_impl_wrapped_configILNS1_25lookback_scan_determinismE0ES3_S9_NS6_6detail15normal_iteratorINS6_10device_ptrIxEEEESG_SG_SG_PmS8_22is_equal_div_10_reduceIxEEE10hipError_tPvRmT2_T3_mT4_T5_T6_T7_T8_P12ihipStream_tbENKUlT_T0_E_clISt17integral_constantIbLb0EES10_IbLb1EEEEDaSW_SX_EUlSW_E_NS1_11comp_targetILNS1_3genE5ELNS1_11target_archE942ELNS1_3gpuE9ELNS1_3repE0EEENS1_30default_config_static_selectorELNS0_4arch9wavefront6targetE1EEEvT1_ ; -- Begin function _ZN7rocprim17ROCPRIM_400000_NS6detail17trampoline_kernelINS0_14default_configENS1_29reduce_by_key_config_selectorIxxN6thrust23THRUST_200600_302600_NS4plusIxEEEEZZNS1_33reduce_by_key_impl_wrapped_configILNS1_25lookback_scan_determinismE0ES3_S9_NS6_6detail15normal_iteratorINS6_10device_ptrIxEEEESG_SG_SG_PmS8_22is_equal_div_10_reduceIxEEE10hipError_tPvRmT2_T3_mT4_T5_T6_T7_T8_P12ihipStream_tbENKUlT_T0_E_clISt17integral_constantIbLb0EES10_IbLb1EEEEDaSW_SX_EUlSW_E_NS1_11comp_targetILNS1_3genE5ELNS1_11target_archE942ELNS1_3gpuE9ELNS1_3repE0EEENS1_30default_config_static_selectorELNS0_4arch9wavefront6targetE1EEEvT1_
	.globl	_ZN7rocprim17ROCPRIM_400000_NS6detail17trampoline_kernelINS0_14default_configENS1_29reduce_by_key_config_selectorIxxN6thrust23THRUST_200600_302600_NS4plusIxEEEEZZNS1_33reduce_by_key_impl_wrapped_configILNS1_25lookback_scan_determinismE0ES3_S9_NS6_6detail15normal_iteratorINS6_10device_ptrIxEEEESG_SG_SG_PmS8_22is_equal_div_10_reduceIxEEE10hipError_tPvRmT2_T3_mT4_T5_T6_T7_T8_P12ihipStream_tbENKUlT_T0_E_clISt17integral_constantIbLb0EES10_IbLb1EEEEDaSW_SX_EUlSW_E_NS1_11comp_targetILNS1_3genE5ELNS1_11target_archE942ELNS1_3gpuE9ELNS1_3repE0EEENS1_30default_config_static_selectorELNS0_4arch9wavefront6targetE1EEEvT1_
	.p2align	8
	.type	_ZN7rocprim17ROCPRIM_400000_NS6detail17trampoline_kernelINS0_14default_configENS1_29reduce_by_key_config_selectorIxxN6thrust23THRUST_200600_302600_NS4plusIxEEEEZZNS1_33reduce_by_key_impl_wrapped_configILNS1_25lookback_scan_determinismE0ES3_S9_NS6_6detail15normal_iteratorINS6_10device_ptrIxEEEESG_SG_SG_PmS8_22is_equal_div_10_reduceIxEEE10hipError_tPvRmT2_T3_mT4_T5_T6_T7_T8_P12ihipStream_tbENKUlT_T0_E_clISt17integral_constantIbLb0EES10_IbLb1EEEEDaSW_SX_EUlSW_E_NS1_11comp_targetILNS1_3genE5ELNS1_11target_archE942ELNS1_3gpuE9ELNS1_3repE0EEENS1_30default_config_static_selectorELNS0_4arch9wavefront6targetE1EEEvT1_,@function
_ZN7rocprim17ROCPRIM_400000_NS6detail17trampoline_kernelINS0_14default_configENS1_29reduce_by_key_config_selectorIxxN6thrust23THRUST_200600_302600_NS4plusIxEEEEZZNS1_33reduce_by_key_impl_wrapped_configILNS1_25lookback_scan_determinismE0ES3_S9_NS6_6detail15normal_iteratorINS6_10device_ptrIxEEEESG_SG_SG_PmS8_22is_equal_div_10_reduceIxEEE10hipError_tPvRmT2_T3_mT4_T5_T6_T7_T8_P12ihipStream_tbENKUlT_T0_E_clISt17integral_constantIbLb0EES10_IbLb1EEEEDaSW_SX_EUlSW_E_NS1_11comp_targetILNS1_3genE5ELNS1_11target_archE942ELNS1_3gpuE9ELNS1_3repE0EEENS1_30default_config_static_selectorELNS0_4arch9wavefront6targetE1EEEvT1_: ; @_ZN7rocprim17ROCPRIM_400000_NS6detail17trampoline_kernelINS0_14default_configENS1_29reduce_by_key_config_selectorIxxN6thrust23THRUST_200600_302600_NS4plusIxEEEEZZNS1_33reduce_by_key_impl_wrapped_configILNS1_25lookback_scan_determinismE0ES3_S9_NS6_6detail15normal_iteratorINS6_10device_ptrIxEEEESG_SG_SG_PmS8_22is_equal_div_10_reduceIxEEE10hipError_tPvRmT2_T3_mT4_T5_T6_T7_T8_P12ihipStream_tbENKUlT_T0_E_clISt17integral_constantIbLb0EES10_IbLb1EEEEDaSW_SX_EUlSW_E_NS1_11comp_targetILNS1_3genE5ELNS1_11target_archE942ELNS1_3gpuE9ELNS1_3repE0EEENS1_30default_config_static_selectorELNS0_4arch9wavefront6targetE1EEEvT1_
; %bb.0:
	.section	.rodata,"a",@progbits
	.p2align	6, 0x0
	.amdhsa_kernel _ZN7rocprim17ROCPRIM_400000_NS6detail17trampoline_kernelINS0_14default_configENS1_29reduce_by_key_config_selectorIxxN6thrust23THRUST_200600_302600_NS4plusIxEEEEZZNS1_33reduce_by_key_impl_wrapped_configILNS1_25lookback_scan_determinismE0ES3_S9_NS6_6detail15normal_iteratorINS6_10device_ptrIxEEEESG_SG_SG_PmS8_22is_equal_div_10_reduceIxEEE10hipError_tPvRmT2_T3_mT4_T5_T6_T7_T8_P12ihipStream_tbENKUlT_T0_E_clISt17integral_constantIbLb0EES10_IbLb1EEEEDaSW_SX_EUlSW_E_NS1_11comp_targetILNS1_3genE5ELNS1_11target_archE942ELNS1_3gpuE9ELNS1_3repE0EEENS1_30default_config_static_selectorELNS0_4arch9wavefront6targetE1EEEvT1_
		.amdhsa_group_segment_fixed_size 0
		.amdhsa_private_segment_fixed_size 0
		.amdhsa_kernarg_size 136
		.amdhsa_user_sgpr_count 6
		.amdhsa_user_sgpr_private_segment_buffer 1
		.amdhsa_user_sgpr_dispatch_ptr 0
		.amdhsa_user_sgpr_queue_ptr 0
		.amdhsa_user_sgpr_kernarg_segment_ptr 1
		.amdhsa_user_sgpr_dispatch_id 0
		.amdhsa_user_sgpr_flat_scratch_init 0
		.amdhsa_user_sgpr_kernarg_preload_length 0
		.amdhsa_user_sgpr_kernarg_preload_offset 0
		.amdhsa_user_sgpr_private_segment_size 0
		.amdhsa_uses_dynamic_stack 0
		.amdhsa_system_sgpr_private_segment_wavefront_offset 0
		.amdhsa_system_sgpr_workgroup_id_x 1
		.amdhsa_system_sgpr_workgroup_id_y 0
		.amdhsa_system_sgpr_workgroup_id_z 0
		.amdhsa_system_sgpr_workgroup_info 0
		.amdhsa_system_vgpr_workitem_id 0
		.amdhsa_next_free_vgpr 1
		.amdhsa_next_free_sgpr 0
		.amdhsa_accum_offset 4
		.amdhsa_reserve_vcc 0
		.amdhsa_reserve_flat_scratch 0
		.amdhsa_float_round_mode_32 0
		.amdhsa_float_round_mode_16_64 0
		.amdhsa_float_denorm_mode_32 3
		.amdhsa_float_denorm_mode_16_64 3
		.amdhsa_dx10_clamp 1
		.amdhsa_ieee_mode 1
		.amdhsa_fp16_overflow 0
		.amdhsa_tg_split 0
		.amdhsa_exception_fp_ieee_invalid_op 0
		.amdhsa_exception_fp_denorm_src 0
		.amdhsa_exception_fp_ieee_div_zero 0
		.amdhsa_exception_fp_ieee_overflow 0
		.amdhsa_exception_fp_ieee_underflow 0
		.amdhsa_exception_fp_ieee_inexact 0
		.amdhsa_exception_int_div_zero 0
	.end_amdhsa_kernel
	.section	.text._ZN7rocprim17ROCPRIM_400000_NS6detail17trampoline_kernelINS0_14default_configENS1_29reduce_by_key_config_selectorIxxN6thrust23THRUST_200600_302600_NS4plusIxEEEEZZNS1_33reduce_by_key_impl_wrapped_configILNS1_25lookback_scan_determinismE0ES3_S9_NS6_6detail15normal_iteratorINS6_10device_ptrIxEEEESG_SG_SG_PmS8_22is_equal_div_10_reduceIxEEE10hipError_tPvRmT2_T3_mT4_T5_T6_T7_T8_P12ihipStream_tbENKUlT_T0_E_clISt17integral_constantIbLb0EES10_IbLb1EEEEDaSW_SX_EUlSW_E_NS1_11comp_targetILNS1_3genE5ELNS1_11target_archE942ELNS1_3gpuE9ELNS1_3repE0EEENS1_30default_config_static_selectorELNS0_4arch9wavefront6targetE1EEEvT1_,"axG",@progbits,_ZN7rocprim17ROCPRIM_400000_NS6detail17trampoline_kernelINS0_14default_configENS1_29reduce_by_key_config_selectorIxxN6thrust23THRUST_200600_302600_NS4plusIxEEEEZZNS1_33reduce_by_key_impl_wrapped_configILNS1_25lookback_scan_determinismE0ES3_S9_NS6_6detail15normal_iteratorINS6_10device_ptrIxEEEESG_SG_SG_PmS8_22is_equal_div_10_reduceIxEEE10hipError_tPvRmT2_T3_mT4_T5_T6_T7_T8_P12ihipStream_tbENKUlT_T0_E_clISt17integral_constantIbLb0EES10_IbLb1EEEEDaSW_SX_EUlSW_E_NS1_11comp_targetILNS1_3genE5ELNS1_11target_archE942ELNS1_3gpuE9ELNS1_3repE0EEENS1_30default_config_static_selectorELNS0_4arch9wavefront6targetE1EEEvT1_,comdat
.Lfunc_end536:
	.size	_ZN7rocprim17ROCPRIM_400000_NS6detail17trampoline_kernelINS0_14default_configENS1_29reduce_by_key_config_selectorIxxN6thrust23THRUST_200600_302600_NS4plusIxEEEEZZNS1_33reduce_by_key_impl_wrapped_configILNS1_25lookback_scan_determinismE0ES3_S9_NS6_6detail15normal_iteratorINS6_10device_ptrIxEEEESG_SG_SG_PmS8_22is_equal_div_10_reduceIxEEE10hipError_tPvRmT2_T3_mT4_T5_T6_T7_T8_P12ihipStream_tbENKUlT_T0_E_clISt17integral_constantIbLb0EES10_IbLb1EEEEDaSW_SX_EUlSW_E_NS1_11comp_targetILNS1_3genE5ELNS1_11target_archE942ELNS1_3gpuE9ELNS1_3repE0EEENS1_30default_config_static_selectorELNS0_4arch9wavefront6targetE1EEEvT1_, .Lfunc_end536-_ZN7rocprim17ROCPRIM_400000_NS6detail17trampoline_kernelINS0_14default_configENS1_29reduce_by_key_config_selectorIxxN6thrust23THRUST_200600_302600_NS4plusIxEEEEZZNS1_33reduce_by_key_impl_wrapped_configILNS1_25lookback_scan_determinismE0ES3_S9_NS6_6detail15normal_iteratorINS6_10device_ptrIxEEEESG_SG_SG_PmS8_22is_equal_div_10_reduceIxEEE10hipError_tPvRmT2_T3_mT4_T5_T6_T7_T8_P12ihipStream_tbENKUlT_T0_E_clISt17integral_constantIbLb0EES10_IbLb1EEEEDaSW_SX_EUlSW_E_NS1_11comp_targetILNS1_3genE5ELNS1_11target_archE942ELNS1_3gpuE9ELNS1_3repE0EEENS1_30default_config_static_selectorELNS0_4arch9wavefront6targetE1EEEvT1_
                                        ; -- End function
	.section	.AMDGPU.csdata,"",@progbits
; Kernel info:
; codeLenInByte = 0
; NumSgprs: 4
; NumVgprs: 0
; NumAgprs: 0
; TotalNumVgprs: 0
; ScratchSize: 0
; MemoryBound: 0
; FloatMode: 240
; IeeeMode: 1
; LDSByteSize: 0 bytes/workgroup (compile time only)
; SGPRBlocks: 0
; VGPRBlocks: 0
; NumSGPRsForWavesPerEU: 4
; NumVGPRsForWavesPerEU: 1
; AccumOffset: 4
; Occupancy: 8
; WaveLimiterHint : 0
; COMPUTE_PGM_RSRC2:SCRATCH_EN: 0
; COMPUTE_PGM_RSRC2:USER_SGPR: 6
; COMPUTE_PGM_RSRC2:TRAP_HANDLER: 0
; COMPUTE_PGM_RSRC2:TGID_X_EN: 1
; COMPUTE_PGM_RSRC2:TGID_Y_EN: 0
; COMPUTE_PGM_RSRC2:TGID_Z_EN: 0
; COMPUTE_PGM_RSRC2:TIDIG_COMP_CNT: 0
; COMPUTE_PGM_RSRC3_GFX90A:ACCUM_OFFSET: 0
; COMPUTE_PGM_RSRC3_GFX90A:TG_SPLIT: 0
	.section	.text._ZN7rocprim17ROCPRIM_400000_NS6detail17trampoline_kernelINS0_14default_configENS1_29reduce_by_key_config_selectorIxxN6thrust23THRUST_200600_302600_NS4plusIxEEEEZZNS1_33reduce_by_key_impl_wrapped_configILNS1_25lookback_scan_determinismE0ES3_S9_NS6_6detail15normal_iteratorINS6_10device_ptrIxEEEESG_SG_SG_PmS8_22is_equal_div_10_reduceIxEEE10hipError_tPvRmT2_T3_mT4_T5_T6_T7_T8_P12ihipStream_tbENKUlT_T0_E_clISt17integral_constantIbLb0EES10_IbLb1EEEEDaSW_SX_EUlSW_E_NS1_11comp_targetILNS1_3genE4ELNS1_11target_archE910ELNS1_3gpuE8ELNS1_3repE0EEENS1_30default_config_static_selectorELNS0_4arch9wavefront6targetE1EEEvT1_,"axG",@progbits,_ZN7rocprim17ROCPRIM_400000_NS6detail17trampoline_kernelINS0_14default_configENS1_29reduce_by_key_config_selectorIxxN6thrust23THRUST_200600_302600_NS4plusIxEEEEZZNS1_33reduce_by_key_impl_wrapped_configILNS1_25lookback_scan_determinismE0ES3_S9_NS6_6detail15normal_iteratorINS6_10device_ptrIxEEEESG_SG_SG_PmS8_22is_equal_div_10_reduceIxEEE10hipError_tPvRmT2_T3_mT4_T5_T6_T7_T8_P12ihipStream_tbENKUlT_T0_E_clISt17integral_constantIbLb0EES10_IbLb1EEEEDaSW_SX_EUlSW_E_NS1_11comp_targetILNS1_3genE4ELNS1_11target_archE910ELNS1_3gpuE8ELNS1_3repE0EEENS1_30default_config_static_selectorELNS0_4arch9wavefront6targetE1EEEvT1_,comdat
	.protected	_ZN7rocprim17ROCPRIM_400000_NS6detail17trampoline_kernelINS0_14default_configENS1_29reduce_by_key_config_selectorIxxN6thrust23THRUST_200600_302600_NS4plusIxEEEEZZNS1_33reduce_by_key_impl_wrapped_configILNS1_25lookback_scan_determinismE0ES3_S9_NS6_6detail15normal_iteratorINS6_10device_ptrIxEEEESG_SG_SG_PmS8_22is_equal_div_10_reduceIxEEE10hipError_tPvRmT2_T3_mT4_T5_T6_T7_T8_P12ihipStream_tbENKUlT_T0_E_clISt17integral_constantIbLb0EES10_IbLb1EEEEDaSW_SX_EUlSW_E_NS1_11comp_targetILNS1_3genE4ELNS1_11target_archE910ELNS1_3gpuE8ELNS1_3repE0EEENS1_30default_config_static_selectorELNS0_4arch9wavefront6targetE1EEEvT1_ ; -- Begin function _ZN7rocprim17ROCPRIM_400000_NS6detail17trampoline_kernelINS0_14default_configENS1_29reduce_by_key_config_selectorIxxN6thrust23THRUST_200600_302600_NS4plusIxEEEEZZNS1_33reduce_by_key_impl_wrapped_configILNS1_25lookback_scan_determinismE0ES3_S9_NS6_6detail15normal_iteratorINS6_10device_ptrIxEEEESG_SG_SG_PmS8_22is_equal_div_10_reduceIxEEE10hipError_tPvRmT2_T3_mT4_T5_T6_T7_T8_P12ihipStream_tbENKUlT_T0_E_clISt17integral_constantIbLb0EES10_IbLb1EEEEDaSW_SX_EUlSW_E_NS1_11comp_targetILNS1_3genE4ELNS1_11target_archE910ELNS1_3gpuE8ELNS1_3repE0EEENS1_30default_config_static_selectorELNS0_4arch9wavefront6targetE1EEEvT1_
	.globl	_ZN7rocprim17ROCPRIM_400000_NS6detail17trampoline_kernelINS0_14default_configENS1_29reduce_by_key_config_selectorIxxN6thrust23THRUST_200600_302600_NS4plusIxEEEEZZNS1_33reduce_by_key_impl_wrapped_configILNS1_25lookback_scan_determinismE0ES3_S9_NS6_6detail15normal_iteratorINS6_10device_ptrIxEEEESG_SG_SG_PmS8_22is_equal_div_10_reduceIxEEE10hipError_tPvRmT2_T3_mT4_T5_T6_T7_T8_P12ihipStream_tbENKUlT_T0_E_clISt17integral_constantIbLb0EES10_IbLb1EEEEDaSW_SX_EUlSW_E_NS1_11comp_targetILNS1_3genE4ELNS1_11target_archE910ELNS1_3gpuE8ELNS1_3repE0EEENS1_30default_config_static_selectorELNS0_4arch9wavefront6targetE1EEEvT1_
	.p2align	8
	.type	_ZN7rocprim17ROCPRIM_400000_NS6detail17trampoline_kernelINS0_14default_configENS1_29reduce_by_key_config_selectorIxxN6thrust23THRUST_200600_302600_NS4plusIxEEEEZZNS1_33reduce_by_key_impl_wrapped_configILNS1_25lookback_scan_determinismE0ES3_S9_NS6_6detail15normal_iteratorINS6_10device_ptrIxEEEESG_SG_SG_PmS8_22is_equal_div_10_reduceIxEEE10hipError_tPvRmT2_T3_mT4_T5_T6_T7_T8_P12ihipStream_tbENKUlT_T0_E_clISt17integral_constantIbLb0EES10_IbLb1EEEEDaSW_SX_EUlSW_E_NS1_11comp_targetILNS1_3genE4ELNS1_11target_archE910ELNS1_3gpuE8ELNS1_3repE0EEENS1_30default_config_static_selectorELNS0_4arch9wavefront6targetE1EEEvT1_,@function
_ZN7rocprim17ROCPRIM_400000_NS6detail17trampoline_kernelINS0_14default_configENS1_29reduce_by_key_config_selectorIxxN6thrust23THRUST_200600_302600_NS4plusIxEEEEZZNS1_33reduce_by_key_impl_wrapped_configILNS1_25lookback_scan_determinismE0ES3_S9_NS6_6detail15normal_iteratorINS6_10device_ptrIxEEEESG_SG_SG_PmS8_22is_equal_div_10_reduceIxEEE10hipError_tPvRmT2_T3_mT4_T5_T6_T7_T8_P12ihipStream_tbENKUlT_T0_E_clISt17integral_constantIbLb0EES10_IbLb1EEEEDaSW_SX_EUlSW_E_NS1_11comp_targetILNS1_3genE4ELNS1_11target_archE910ELNS1_3gpuE8ELNS1_3repE0EEENS1_30default_config_static_selectorELNS0_4arch9wavefront6targetE1EEEvT1_: ; @_ZN7rocprim17ROCPRIM_400000_NS6detail17trampoline_kernelINS0_14default_configENS1_29reduce_by_key_config_selectorIxxN6thrust23THRUST_200600_302600_NS4plusIxEEEEZZNS1_33reduce_by_key_impl_wrapped_configILNS1_25lookback_scan_determinismE0ES3_S9_NS6_6detail15normal_iteratorINS6_10device_ptrIxEEEESG_SG_SG_PmS8_22is_equal_div_10_reduceIxEEE10hipError_tPvRmT2_T3_mT4_T5_T6_T7_T8_P12ihipStream_tbENKUlT_T0_E_clISt17integral_constantIbLb0EES10_IbLb1EEEEDaSW_SX_EUlSW_E_NS1_11comp_targetILNS1_3genE4ELNS1_11target_archE910ELNS1_3gpuE8ELNS1_3repE0EEENS1_30default_config_static_selectorELNS0_4arch9wavefront6targetE1EEEvT1_
; %bb.0:
	s_load_dwordx8 s[52:59], s[4:5], 0x0
	s_load_dwordx4 s[60:63], s[4:5], 0x20
	s_load_dwordx2 s[64:65], s[4:5], 0x78
	v_cmp_ne_u32_e64 s[2:3], 0, v0
	v_cmp_eq_u32_e64 s[0:1], 0, v0
	s_and_saveexec_b64 s[6:7], s[0:1]
	s_cbranch_execz .LBB537_4
; %bb.1:
	s_mov_b64 s[10:11], exec
	v_mbcnt_lo_u32_b32 v1, s10, 0
	v_mbcnt_hi_u32_b32 v1, s11, v1
	v_cmp_eq_u32_e32 vcc, 0, v1
                                        ; implicit-def: $vgpr2
	s_and_saveexec_b64 s[8:9], vcc
	s_cbranch_execz .LBB537_3
; %bb.2:
	s_load_dwordx2 s[12:13], s[4:5], 0x80
	s_bcnt1_i32_b64 s10, s[10:11]
	v_mov_b32_e32 v2, 0
	v_mov_b32_e32 v3, s10
	s_waitcnt lgkmcnt(0)
	global_atomic_add v2, v2, v3, s[12:13] glc
.LBB537_3:
	s_or_b64 exec, exec, s[8:9]
	s_waitcnt vmcnt(0)
	v_readfirstlane_b32 s8, v2
	v_add_u32_e32 v1, s8, v1
	v_mov_b32_e32 v2, 0
	ds_write_b32 v2, v1
.LBB537_4:
	s_or_b64 exec, exec, s[6:7]
	s_load_dwordx16 s[36:51], s[4:5], 0x38
	v_mov_b32_e32 v3, 0
	s_waitcnt lgkmcnt(0)
	s_lshl_b64 s[4:5], s[54:55], 3
	s_barrier
	ds_read_b32 v1, v3
	s_add_u32 s6, s52, s4
	s_addc_u32 s7, s53, s5
	s_add_u32 s4, s56, s4
	s_mul_i32 s8, s44, s43
	s_mul_hi_u32 s9, s44, s42
	s_addc_u32 s5, s57, s5
	s_add_i32 s8, s9, s8
	s_mul_i32 s9, s45, s42
	s_add_i32 s8, s8, s9
	s_mul_i32 s9, s44, s42
	s_waitcnt lgkmcnt(0)
	v_readfirstlane_b32 s56, v1
	s_movk_i32 s10, 0xf00
	v_mul_lo_u32 v2, v1, s10
	s_add_u32 s52, s9, s56
	v_lshlrev_b64 v[2:3], 3, v[2:3]
	s_addc_u32 s53, s8, 0
	v_mov_b32_e32 v1, s7
	v_add_co_u32_e32 v74, vcc, s6, v2
	s_add_u32 s6, s46, -1
	v_addc_co_u32_e32 v77, vcc, v1, v3, vcc
	s_addc_u32 s7, s47, -1
	v_mov_b32_e32 v4, s5
	v_add_co_u32_e32 v1, vcc, s4, v2
	s_cmp_eq_u64 s[52:53], s[6:7]
	v_addc_co_u32_e32 v62, vcc, v4, v3, vcc
	s_cselect_b64 s[44:45], -1, 0
	s_cmp_lg_u64 s[52:53], s[6:7]
	s_mov_b64 s[4:5], -1
	s_cselect_b64 s[54:55], -1, 0
	s_mul_i32 s33, s6, 0xfffff100
	s_and_b64 vcc, exec, s[44:45]
	v_mul_u32_u24_e32 v76, 15, v0
	s_barrier
	s_cbranch_vccnz .LBB537_6
; %bb.5:
	v_lshlrev_b32_e32 v68, 3, v0
	v_add_co_u32_e32 v2, vcc, v74, v68
	v_addc_co_u32_e32 v3, vcc, 0, v77, vcc
	v_add_co_u32_e32 v4, vcc, 0x1000, v2
	v_addc_co_u32_e32 v5, vcc, 0, v3, vcc
	flat_load_dwordx2 v[6:7], v[2:3]
	flat_load_dwordx2 v[8:9], v[2:3] offset:2048
	flat_load_dwordx2 v[10:11], v[4:5]
	flat_load_dwordx2 v[12:13], v[4:5] offset:2048
	v_add_co_u32_e32 v4, vcc, 0x2000, v2
	v_addc_co_u32_e32 v5, vcc, 0, v3, vcc
	v_add_co_u32_e32 v14, vcc, 0x3000, v2
	v_addc_co_u32_e32 v15, vcc, 0, v3, vcc
	flat_load_dwordx2 v[16:17], v[4:5]
	flat_load_dwordx2 v[18:19], v[4:5] offset:2048
	flat_load_dwordx2 v[20:21], v[14:15]
	flat_load_dwordx2 v[22:23], v[14:15] offset:2048
	;; [unrolled: 8-line block ×3, first 2 shown]
	v_add_co_u32_e32 v4, vcc, 0x6000, v2
	v_addc_co_u32_e32 v5, vcc, 0, v3, vcc
	v_add_co_u32_e32 v2, vcc, 0x7000, v2
	v_addc_co_u32_e32 v3, vcc, 0, v3, vcc
	flat_load_dwordx2 v[14:15], v[4:5]
	flat_load_dwordx2 v[32:33], v[4:5] offset:2048
	flat_load_dwordx2 v[34:35], v[2:3]
	v_add_co_u32_e32 v36, vcc, v1, v68
	s_movk_i32 s4, 0x1000
	v_addc_co_u32_e32 v37, vcc, 0, v62, vcc
	s_movk_i32 s11, 0x70
	s_movk_i32 s5, 0x2000
	v_mad_u32_u24 v63, v0, s11, v68
	s_movk_i32 s6, 0x3000
	s_movk_i32 s7, 0x4000
	;; [unrolled: 1-line block ×5, first 2 shown]
	s_waitcnt vmcnt(0) lgkmcnt(0)
	ds_write2st64_b64 v68, v[6:7], v[8:9] offset1:4
	ds_write2st64_b64 v68, v[10:11], v[12:13] offset0:8 offset1:12
	ds_write2st64_b64 v68, v[16:17], v[18:19] offset0:16 offset1:20
	;; [unrolled: 1-line block ×6, first 2 shown]
	ds_write_b64 v68, v[34:35] offset:28672
	v_add_co_u32_e32 v30, vcc, s4, v36
	v_addc_co_u32_e32 v31, vcc, 0, v37, vcc
	s_waitcnt lgkmcnt(0)
	s_barrier
	ds_read2_b64 v[26:29], v63 offset1:1
	ds_read2_b64 v[22:25], v63 offset0:2 offset1:3
	ds_read2_b64 v[18:21], v63 offset0:4 offset1:5
	;; [unrolled: 1-line block ×6, first 2 shown]
	ds_read_b64 v[58:59], v63 offset:112
	s_waitcnt lgkmcnt(0)
	s_barrier
	flat_load_dwordx2 v[32:33], v[36:37]
	flat_load_dwordx2 v[34:35], v[36:37] offset:2048
	flat_load_dwordx2 v[38:39], v[30:31]
	flat_load_dwordx2 v[40:41], v[30:31] offset:2048
	v_add_co_u32_e32 v30, vcc, s5, v36
	v_addc_co_u32_e32 v31, vcc, 0, v37, vcc
	v_add_co_u32_e32 v42, vcc, s6, v36
	v_addc_co_u32_e32 v43, vcc, 0, v37, vcc
	flat_load_dwordx2 v[44:45], v[30:31]
	flat_load_dwordx2 v[46:47], v[30:31] offset:2048
	flat_load_dwordx2 v[48:49], v[42:43]
	flat_load_dwordx2 v[50:51], v[42:43] offset:2048
	v_add_co_u32_e32 v30, vcc, s7, v36
	v_addc_co_u32_e32 v31, vcc, 0, v37, vcc
	v_add_co_u32_e32 v42, vcc, s8, v36
	v_addc_co_u32_e32 v43, vcc, 0, v37, vcc
	;; [unrolled: 8-line block ×3, first 2 shown]
	flat_load_dwordx2 v[42:43], v[30:31]
	flat_load_dwordx2 v[64:65], v[30:31] offset:2048
	flat_load_dwordx2 v[66:67], v[36:37]
	v_mul_u32_u24_e32 v30, 15, v0
	s_waitcnt vmcnt(0) lgkmcnt(0)
	ds_write2st64_b64 v68, v[32:33], v[34:35] offset1:4
	ds_write2st64_b64 v68, v[38:39], v[40:41] offset0:8 offset1:12
	ds_write2st64_b64 v68, v[44:45], v[46:47] offset0:16 offset1:20
	;; [unrolled: 1-line block ×6, first 2 shown]
	ds_write_b64 v68, v[66:67] offset:28672
	s_waitcnt lgkmcnt(0)
	s_barrier
	s_add_i32 s33, s33, s48
	s_cbranch_execz .LBB537_7
	s_branch .LBB537_54
.LBB537_6:
                                        ; implicit-def: $vgpr2_vgpr3_vgpr4_vgpr5
                                        ; implicit-def: $vgpr6_vgpr7_vgpr8_vgpr9
                                        ; implicit-def: $vgpr10_vgpr11_vgpr12_vgpr13
                                        ; implicit-def: $vgpr14_vgpr15_vgpr16_vgpr17
                                        ; implicit-def: $vgpr18_vgpr19_vgpr20_vgpr21
                                        ; implicit-def: $vgpr22_vgpr23_vgpr24_vgpr25
                                        ; implicit-def: $vgpr26_vgpr27_vgpr28_vgpr29
                                        ; implicit-def: $vgpr30
                                        ; implicit-def: $vgpr63
                                        ; implicit-def: $vgpr58_vgpr59
	s_andn2_b64 vcc, exec, s[4:5]
	s_add_i32 s33, s33, s48
	s_cbranch_vccnz .LBB537_54
.LBB537_7:
	v_cmp_gt_u32_e32 vcc, s33, v0
                                        ; implicit-def: $vgpr2_vgpr3
	s_and_saveexec_b64 s[6:7], vcc
	s_cbranch_execz .LBB537_9
; %bb.8:
	v_lshlrev_b32_e32 v2, 3, v0
	v_add_co_u32_e64 v2, s[4:5], v74, v2
	v_addc_co_u32_e64 v3, s[4:5], 0, v77, s[4:5]
	flat_load_dwordx2 v[2:3], v[2:3]
.LBB537_9:
	s_or_b64 exec, exec, s[6:7]
	v_or_b32_e32 v4, 0x100, v0
	v_cmp_gt_u32_e64 s[4:5], s33, v4
                                        ; implicit-def: $vgpr4_vgpr5
	s_and_saveexec_b64 s[8:9], s[4:5]
	s_cbranch_execz .LBB537_11
; %bb.10:
	v_lshlrev_b32_e32 v4, 3, v0
	v_add_co_u32_e64 v4, s[6:7], v74, v4
	v_addc_co_u32_e64 v5, s[6:7], 0, v77, s[6:7]
	flat_load_dwordx2 v[4:5], v[4:5] offset:2048
.LBB537_11:
	s_or_b64 exec, exec, s[8:9]
	v_or_b32_e32 v6, 0x200, v0
	v_cmp_gt_u32_e64 s[6:7], s33, v6
	v_lshlrev_b32_e32 v36, 3, v6
                                        ; implicit-def: $vgpr6_vgpr7
	s_and_saveexec_b64 s[10:11], s[6:7]
	s_cbranch_execz .LBB537_13
; %bb.12:
	v_add_co_u32_e64 v6, s[8:9], v74, v36
	v_addc_co_u32_e64 v7, s[8:9], 0, v77, s[8:9]
	flat_load_dwordx2 v[6:7], v[6:7]
.LBB537_13:
	s_or_b64 exec, exec, s[10:11]
	v_or_b32_e32 v8, 0x300, v0
	v_cmp_gt_u32_e64 s[8:9], s33, v8
	v_lshlrev_b32_e32 v38, 3, v8
                                        ; implicit-def: $vgpr8_vgpr9
	s_and_saveexec_b64 s[12:13], s[8:9]
	s_cbranch_execz .LBB537_15
; %bb.14:
	v_add_co_u32_e64 v8, s[10:11], v74, v38
	v_addc_co_u32_e64 v9, s[10:11], 0, v77, s[10:11]
	flat_load_dwordx2 v[8:9], v[8:9]
.LBB537_15:
	s_or_b64 exec, exec, s[12:13]
	v_or_b32_e32 v10, 0x400, v0
	v_cmp_gt_u32_e64 s[10:11], s33, v10
	v_lshlrev_b32_e32 v40, 3, v10
                                        ; implicit-def: $vgpr10_vgpr11
	s_and_saveexec_b64 s[14:15], s[10:11]
	s_cbranch_execz .LBB537_17
; %bb.16:
	v_add_co_u32_e64 v10, s[12:13], v74, v40
	v_addc_co_u32_e64 v11, s[12:13], 0, v77, s[12:13]
	flat_load_dwordx2 v[10:11], v[10:11]
.LBB537_17:
	s_or_b64 exec, exec, s[14:15]
	v_or_b32_e32 v12, 0x500, v0
	v_cmp_gt_u32_e64 s[12:13], s33, v12
	v_lshlrev_b32_e32 v42, 3, v12
                                        ; implicit-def: $vgpr12_vgpr13
	s_and_saveexec_b64 s[16:17], s[12:13]
	s_cbranch_execz .LBB537_19
; %bb.18:
	v_add_co_u32_e64 v12, s[14:15], v74, v42
	v_addc_co_u32_e64 v13, s[14:15], 0, v77, s[14:15]
	flat_load_dwordx2 v[12:13], v[12:13]
.LBB537_19:
	s_or_b64 exec, exec, s[16:17]
	v_or_b32_e32 v14, 0x600, v0
	v_cmp_gt_u32_e64 s[14:15], s33, v14
	v_lshlrev_b32_e32 v44, 3, v14
                                        ; implicit-def: $vgpr14_vgpr15
	s_and_saveexec_b64 s[18:19], s[14:15]
	s_cbranch_execz .LBB537_21
; %bb.20:
	v_add_co_u32_e64 v14, s[16:17], v74, v44
	v_addc_co_u32_e64 v15, s[16:17], 0, v77, s[16:17]
	flat_load_dwordx2 v[14:15], v[14:15]
.LBB537_21:
	s_or_b64 exec, exec, s[18:19]
	v_or_b32_e32 v16, 0x700, v0
	v_cmp_gt_u32_e64 s[16:17], s33, v16
	v_lshlrev_b32_e32 v46, 3, v16
                                        ; implicit-def: $vgpr16_vgpr17
	s_and_saveexec_b64 s[20:21], s[16:17]
	s_cbranch_execz .LBB537_23
; %bb.22:
	v_add_co_u32_e64 v16, s[18:19], v74, v46
	v_addc_co_u32_e64 v17, s[18:19], 0, v77, s[18:19]
	flat_load_dwordx2 v[16:17], v[16:17]
.LBB537_23:
	s_or_b64 exec, exec, s[20:21]
	v_or_b32_e32 v18, 0x800, v0
	v_cmp_gt_u32_e64 s[18:19], s33, v18
	v_lshlrev_b32_e32 v48, 3, v18
                                        ; implicit-def: $vgpr18_vgpr19
	s_and_saveexec_b64 s[22:23], s[18:19]
	s_cbranch_execz .LBB537_25
; %bb.24:
	v_add_co_u32_e64 v18, s[20:21], v74, v48
	v_addc_co_u32_e64 v19, s[20:21], 0, v77, s[20:21]
	flat_load_dwordx2 v[18:19], v[18:19]
.LBB537_25:
	s_or_b64 exec, exec, s[22:23]
	v_or_b32_e32 v20, 0x900, v0
	v_cmp_gt_u32_e64 s[20:21], s33, v20
	v_lshlrev_b32_e32 v50, 3, v20
                                        ; implicit-def: $vgpr20_vgpr21
	s_and_saveexec_b64 s[24:25], s[20:21]
	s_cbranch_execz .LBB537_27
; %bb.26:
	v_add_co_u32_e64 v20, s[22:23], v74, v50
	v_addc_co_u32_e64 v21, s[22:23], 0, v77, s[22:23]
	flat_load_dwordx2 v[20:21], v[20:21]
.LBB537_27:
	s_or_b64 exec, exec, s[24:25]
	v_or_b32_e32 v22, 0xa00, v0
	v_cmp_gt_u32_e64 s[22:23], s33, v22
	v_lshlrev_b32_e32 v52, 3, v22
                                        ; implicit-def: $vgpr22_vgpr23
	s_and_saveexec_b64 s[26:27], s[22:23]
	s_cbranch_execz .LBB537_29
; %bb.28:
	v_add_co_u32_e64 v22, s[24:25], v74, v52
	v_addc_co_u32_e64 v23, s[24:25], 0, v77, s[24:25]
	flat_load_dwordx2 v[22:23], v[22:23]
.LBB537_29:
	s_or_b64 exec, exec, s[26:27]
	v_or_b32_e32 v24, 0xb00, v0
	v_cmp_gt_u32_e64 s[24:25], s33, v24
	v_lshlrev_b32_e32 v54, 3, v24
                                        ; implicit-def: $vgpr24_vgpr25
	s_and_saveexec_b64 s[28:29], s[24:25]
	s_cbranch_execz .LBB537_31
; %bb.30:
	v_add_co_u32_e64 v24, s[26:27], v74, v54
	v_addc_co_u32_e64 v25, s[26:27], 0, v77, s[26:27]
	flat_load_dwordx2 v[24:25], v[24:25]
.LBB537_31:
	s_or_b64 exec, exec, s[28:29]
	v_or_b32_e32 v26, 0xc00, v0
	v_cmp_gt_u32_e64 s[26:27], s33, v26
	v_lshlrev_b32_e32 v56, 3, v26
                                        ; implicit-def: $vgpr26_vgpr27
	s_and_saveexec_b64 s[30:31], s[26:27]
	s_cbranch_execz .LBB537_33
; %bb.32:
	v_add_co_u32_e64 v26, s[28:29], v74, v56
	v_addc_co_u32_e64 v27, s[28:29], 0, v77, s[28:29]
	flat_load_dwordx2 v[26:27], v[26:27]
.LBB537_33:
	s_or_b64 exec, exec, s[30:31]
	v_or_b32_e32 v28, 0xd00, v0
	v_cmp_gt_u32_e64 s[28:29], s33, v28
	v_lshlrev_b32_e32 v60, 3, v28
                                        ; implicit-def: $vgpr28_vgpr29
	s_and_saveexec_b64 s[34:35], s[28:29]
	s_cbranch_execz .LBB537_35
; %bb.34:
	v_add_co_u32_e64 v28, s[30:31], v74, v60
	v_addc_co_u32_e64 v29, s[30:31], 0, v77, s[30:31]
	flat_load_dwordx2 v[28:29], v[28:29]
.LBB537_35:
	s_or_b64 exec, exec, s[34:35]
	v_or_b32_e32 v30, 0xe00, v0
	v_cmp_gt_u32_e64 s[30:31], s33, v30
	v_lshlrev_b32_e32 v64, 3, v30
                                        ; implicit-def: $vgpr30_vgpr31
	s_and_saveexec_b64 s[46:47], s[30:31]
	s_cbranch_execz .LBB537_37
; %bb.36:
	v_add_co_u32_e64 v30, s[34:35], v74, v64
	v_addc_co_u32_e64 v31, s[34:35], 0, v77, s[34:35]
	flat_load_dwordx2 v[30:31], v[30:31]
.LBB537_37:
	s_or_b64 exec, exec, s[46:47]
	v_lshlrev_b32_e32 v65, 3, v0
	s_movk_i32 s34, 0x70
	v_mad_u32_u24 v63, v0, s34, v65
	s_waitcnt vmcnt(0) lgkmcnt(0)
	ds_write2st64_b64 v65, v[2:3], v[4:5] offset1:4
	ds_write2st64_b64 v65, v[6:7], v[8:9] offset0:8 offset1:12
	ds_write2st64_b64 v65, v[10:11], v[12:13] offset0:16 offset1:20
	;; [unrolled: 1-line block ×6, first 2 shown]
	ds_write_b64 v65, v[30:31] offset:28672
	s_waitcnt lgkmcnt(0)
	s_barrier
	ds_read2_b64 v[26:29], v63 offset1:1
	ds_read2_b64 v[22:25], v63 offset0:2 offset1:3
	ds_read2_b64 v[18:21], v63 offset0:4 offset1:5
	;; [unrolled: 1-line block ×6, first 2 shown]
	ds_read_b64 v[58:59], v63 offset:112
	s_waitcnt lgkmcnt(0)
	s_barrier
	s_waitcnt lgkmcnt(0)
                                        ; implicit-def: $vgpr30_vgpr31
	s_and_saveexec_b64 s[34:35], vcc
	s_cbranch_execnz .LBB537_61
; %bb.38:
	s_or_b64 exec, exec, s[34:35]
                                        ; implicit-def: $vgpr32_vgpr33
	s_and_saveexec_b64 s[34:35], s[4:5]
	s_cbranch_execnz .LBB537_62
.LBB537_39:
	s_or_b64 exec, exec, s[34:35]
                                        ; implicit-def: $vgpr34_vgpr35
	s_and_saveexec_b64 s[4:5], s[6:7]
	s_cbranch_execnz .LBB537_63
.LBB537_40:
	s_or_b64 exec, exec, s[4:5]
                                        ; implicit-def: $vgpr36_vgpr37
	s_and_saveexec_b64 s[4:5], s[8:9]
	s_cbranch_execnz .LBB537_64
.LBB537_41:
	s_or_b64 exec, exec, s[4:5]
                                        ; implicit-def: $vgpr38_vgpr39
	s_and_saveexec_b64 s[4:5], s[10:11]
	s_cbranch_execnz .LBB537_65
.LBB537_42:
	s_or_b64 exec, exec, s[4:5]
                                        ; implicit-def: $vgpr40_vgpr41
	s_and_saveexec_b64 s[4:5], s[12:13]
	s_cbranch_execnz .LBB537_66
.LBB537_43:
	s_or_b64 exec, exec, s[4:5]
                                        ; implicit-def: $vgpr42_vgpr43
	s_and_saveexec_b64 s[4:5], s[14:15]
	s_cbranch_execnz .LBB537_67
.LBB537_44:
	s_or_b64 exec, exec, s[4:5]
                                        ; implicit-def: $vgpr44_vgpr45
	s_and_saveexec_b64 s[4:5], s[16:17]
	s_cbranch_execnz .LBB537_68
.LBB537_45:
	s_or_b64 exec, exec, s[4:5]
                                        ; implicit-def: $vgpr46_vgpr47
	s_and_saveexec_b64 s[4:5], s[18:19]
	s_cbranch_execnz .LBB537_69
.LBB537_46:
	s_or_b64 exec, exec, s[4:5]
                                        ; implicit-def: $vgpr48_vgpr49
	s_and_saveexec_b64 s[4:5], s[20:21]
	s_cbranch_execnz .LBB537_70
.LBB537_47:
	s_or_b64 exec, exec, s[4:5]
                                        ; implicit-def: $vgpr50_vgpr51
	s_and_saveexec_b64 s[4:5], s[22:23]
	s_cbranch_execnz .LBB537_71
.LBB537_48:
	s_or_b64 exec, exec, s[4:5]
                                        ; implicit-def: $vgpr52_vgpr53
	s_and_saveexec_b64 s[4:5], s[24:25]
	s_cbranch_execnz .LBB537_72
.LBB537_49:
	s_or_b64 exec, exec, s[4:5]
                                        ; implicit-def: $vgpr54_vgpr55
	s_and_saveexec_b64 s[4:5], s[26:27]
	s_cbranch_execnz .LBB537_73
.LBB537_50:
	s_or_b64 exec, exec, s[4:5]
                                        ; implicit-def: $vgpr56_vgpr57
	s_and_saveexec_b64 s[4:5], s[28:29]
	s_cbranch_execnz .LBB537_74
.LBB537_51:
	s_or_b64 exec, exec, s[4:5]
                                        ; implicit-def: $vgpr60_vgpr61
	s_and_saveexec_b64 s[4:5], s[30:31]
	s_cbranch_execz .LBB537_53
.LBB537_52:
	v_add_co_u32_e32 v60, vcc, v1, v64
	v_addc_co_u32_e32 v61, vcc, 0, v62, vcc
	flat_load_dwordx2 v[60:61], v[60:61]
.LBB537_53:
	s_or_b64 exec, exec, s[4:5]
	s_waitcnt vmcnt(0) lgkmcnt(0)
	ds_write2st64_b64 v65, v[30:31], v[32:33] offset1:4
	ds_write2st64_b64 v65, v[34:35], v[36:37] offset0:8 offset1:12
	ds_write2st64_b64 v65, v[38:39], v[40:41] offset0:16 offset1:20
	;; [unrolled: 1-line block ×6, first 2 shown]
	ds_write_b64 v65, v[60:61] offset:28672
	v_mov_b32_e32 v30, v76
	s_waitcnt lgkmcnt(0)
	s_barrier
.LBB537_54:
	v_lshlrev_b32_e32 v1, 3, v30
	ds_read2_b64 v[50:53], v63 offset1:2
	ds_read2_b64 v[42:45], v63 offset0:4 offset1:6
	ds_read2_b64 v[54:57], v1 offset0:1 offset1:3
	;; [unrolled: 1-line block ×6, first 2 shown]
	ds_read_b64 v[60:61], v1 offset:104
	s_cmp_eq_u64 s[52:53], 0
	s_cselect_b64 s[46:47], -1, 0
	s_cmp_lg_u64 s[52:53], 0
	s_mov_b64 s[4:5], 0
	s_cselect_b64 s[30:31], -1, 0
	s_and_b64 vcc, exec, s[54:55]
	s_waitcnt lgkmcnt(0)
	s_barrier
	s_cbranch_vccz .LBB537_60
; %bb.55:
	s_and_b64 vcc, exec, s[30:31]
	s_cbranch_vccz .LBB537_75
; %bb.56:
	v_add_co_u32_e32 v62, vcc, -8, v74
	v_addc_co_u32_e32 v63, vcc, -1, v77, vcc
	flat_load_dwordx2 v[62:63], v[62:63]
	s_mov_b32 s54, 0x66666667
	s_waitcnt vmcnt(0) lgkmcnt(0)
	v_mul_hi_i32 v63, v4, s54
	v_lshrrev_b32_e32 v64, 31, v63
	v_ashrrev_i32_e32 v63, 2, v63
	v_add_u32_e32 v63, v63, v64
	v_mul_hi_i32 v64, v58, s54
	v_lshrrev_b32_e32 v65, 31, v64
	v_ashrrev_i32_e32 v64, 2, v64
	v_add_u32_e32 v64, v64, v65
	v_cmp_ne_u32_e32 vcc, v63, v64
	v_mul_hi_i32 v64, v2, s54
	v_lshrrev_b32_e32 v65, 31, v64
	v_ashrrev_i32_e32 v64, 2, v64
	v_add_u32_e32 v64, v64, v65
	v_cmp_ne_u32_e64 s[4:5], v64, v63
	v_mul_hi_i32 v63, v8, s54
	v_lshrrev_b32_e32 v65, 31, v63
	v_ashrrev_i32_e32 v63, 2, v63
	v_add_u32_e32 v63, v63, v65
	v_cmp_ne_u32_e64 s[6:7], v63, v64
	;; [unrolled: 5-line block ×12, first 2 shown]
	v_mul_hi_i32 v64, v26, s54
	v_lshrrev_b32_e32 v65, 31, v64
	v_ashrrev_i32_e32 v64, 2, v64
	v_add_u32_e32 v68, v64, v65
	v_lshlrev_b32_e32 v1, 3, v0
	v_cmp_ne_u32_e64 s[28:29], v68, v63
	ds_write_b64 v1, v[58:59]
	s_waitcnt lgkmcnt(0)
	s_barrier
	s_and_saveexec_b64 s[34:35], s[2:3]
	s_cbranch_execz .LBB537_58
; %bb.57:
	v_add_u32_e32 v1, -8, v1
	ds_read_b64 v[62:63], v1
.LBB537_58:
	s_or_b64 exec, exec, s[34:35]
	s_waitcnt lgkmcnt(0)
	v_mul_hi_i32 v62, v62, s54
	v_lshrrev_b32_e32 v69, 31, v62
	v_ashrrev_i32_e32 v62, 2, v62
	v_add_u32_e32 v62, v62, v69
	v_cndmask_b32_e64 v1, 0, 1, vcc
	v_cndmask_b32_e64 v79, 0, 1, s[4:5]
	v_cndmask_b32_e64 v110, 0, 1, s[6:7]
	;; [unrolled: 1-line block ×13, first 2 shown]
	v_cmp_ne_u32_e64 s[8:9], v62, v68
	s_mov_b64 s[4:5], -1
.LBB537_59:
                                        ; implicit-def: $sgpr10
	s_branch .LBB537_79
.LBB537_60:
                                        ; implicit-def: $sgpr8_sgpr9
                                        ; implicit-def: $vgpr1
                                        ; implicit-def: $vgpr79
                                        ; implicit-def: $vgpr110
                                        ; implicit-def: $vgpr63
                                        ; implicit-def: $vgpr111
                                        ; implicit-def: $vgpr65
                                        ; implicit-def: $vgpr64
                                        ; implicit-def: $vgpr67
                                        ; implicit-def: $vgpr66
                                        ; implicit-def: $vgpr71
                                        ; implicit-def: $vgpr70
                                        ; implicit-def: $vgpr73
                                        ; implicit-def: $vgpr72
                                        ; implicit-def: $vgpr75
                                        ; implicit-def: $vgpr69
                                        ; implicit-def: $sgpr10
	s_cbranch_execnz .LBB537_80
	s_branch .LBB537_115
.LBB537_61:
	v_add_co_u32_e32 v30, vcc, v1, v65
	v_addc_co_u32_e32 v31, vcc, 0, v62, vcc
	flat_load_dwordx2 v[30:31], v[30:31]
	s_or_b64 exec, exec, s[34:35]
                                        ; implicit-def: $vgpr32_vgpr33
	s_and_saveexec_b64 s[34:35], s[4:5]
	s_cbranch_execz .LBB537_39
.LBB537_62:
	v_add_co_u32_e32 v32, vcc, v1, v65
	v_addc_co_u32_e32 v33, vcc, 0, v62, vcc
	flat_load_dwordx2 v[32:33], v[32:33] offset:2048
	s_or_b64 exec, exec, s[34:35]
                                        ; implicit-def: $vgpr34_vgpr35
	s_and_saveexec_b64 s[4:5], s[6:7]
	s_cbranch_execz .LBB537_40
.LBB537_63:
	v_add_co_u32_e32 v34, vcc, v1, v36
	v_addc_co_u32_e32 v35, vcc, 0, v62, vcc
	flat_load_dwordx2 v[34:35], v[34:35]
	s_or_b64 exec, exec, s[4:5]
                                        ; implicit-def: $vgpr36_vgpr37
	s_and_saveexec_b64 s[4:5], s[8:9]
	s_cbranch_execz .LBB537_41
.LBB537_64:
	v_add_co_u32_e32 v36, vcc, v1, v38
	v_addc_co_u32_e32 v37, vcc, 0, v62, vcc
	flat_load_dwordx2 v[36:37], v[36:37]
	s_or_b64 exec, exec, s[4:5]
                                        ; implicit-def: $vgpr38_vgpr39
	s_and_saveexec_b64 s[4:5], s[10:11]
	s_cbranch_execz .LBB537_42
.LBB537_65:
	v_add_co_u32_e32 v38, vcc, v1, v40
	v_addc_co_u32_e32 v39, vcc, 0, v62, vcc
	flat_load_dwordx2 v[38:39], v[38:39]
	s_or_b64 exec, exec, s[4:5]
                                        ; implicit-def: $vgpr40_vgpr41
	s_and_saveexec_b64 s[4:5], s[12:13]
	s_cbranch_execz .LBB537_43
.LBB537_66:
	v_add_co_u32_e32 v40, vcc, v1, v42
	v_addc_co_u32_e32 v41, vcc, 0, v62, vcc
	flat_load_dwordx2 v[40:41], v[40:41]
	s_or_b64 exec, exec, s[4:5]
                                        ; implicit-def: $vgpr42_vgpr43
	s_and_saveexec_b64 s[4:5], s[14:15]
	s_cbranch_execz .LBB537_44
.LBB537_67:
	v_add_co_u32_e32 v42, vcc, v1, v44
	v_addc_co_u32_e32 v43, vcc, 0, v62, vcc
	flat_load_dwordx2 v[42:43], v[42:43]
	s_or_b64 exec, exec, s[4:5]
                                        ; implicit-def: $vgpr44_vgpr45
	s_and_saveexec_b64 s[4:5], s[16:17]
	s_cbranch_execz .LBB537_45
.LBB537_68:
	v_add_co_u32_e32 v44, vcc, v1, v46
	v_addc_co_u32_e32 v45, vcc, 0, v62, vcc
	flat_load_dwordx2 v[44:45], v[44:45]
	s_or_b64 exec, exec, s[4:5]
                                        ; implicit-def: $vgpr46_vgpr47
	s_and_saveexec_b64 s[4:5], s[18:19]
	s_cbranch_execz .LBB537_46
.LBB537_69:
	v_add_co_u32_e32 v46, vcc, v1, v48
	v_addc_co_u32_e32 v47, vcc, 0, v62, vcc
	flat_load_dwordx2 v[46:47], v[46:47]
	s_or_b64 exec, exec, s[4:5]
                                        ; implicit-def: $vgpr48_vgpr49
	s_and_saveexec_b64 s[4:5], s[20:21]
	s_cbranch_execz .LBB537_47
.LBB537_70:
	v_add_co_u32_e32 v48, vcc, v1, v50
	v_addc_co_u32_e32 v49, vcc, 0, v62, vcc
	flat_load_dwordx2 v[48:49], v[48:49]
	s_or_b64 exec, exec, s[4:5]
                                        ; implicit-def: $vgpr50_vgpr51
	s_and_saveexec_b64 s[4:5], s[22:23]
	s_cbranch_execz .LBB537_48
.LBB537_71:
	v_add_co_u32_e32 v50, vcc, v1, v52
	v_addc_co_u32_e32 v51, vcc, 0, v62, vcc
	flat_load_dwordx2 v[50:51], v[50:51]
	s_or_b64 exec, exec, s[4:5]
                                        ; implicit-def: $vgpr52_vgpr53
	s_and_saveexec_b64 s[4:5], s[24:25]
	s_cbranch_execz .LBB537_49
.LBB537_72:
	v_add_co_u32_e32 v52, vcc, v1, v54
	v_addc_co_u32_e32 v53, vcc, 0, v62, vcc
	flat_load_dwordx2 v[52:53], v[52:53]
	s_or_b64 exec, exec, s[4:5]
                                        ; implicit-def: $vgpr54_vgpr55
	s_and_saveexec_b64 s[4:5], s[26:27]
	s_cbranch_execz .LBB537_50
.LBB537_73:
	v_add_co_u32_e32 v54, vcc, v1, v56
	v_addc_co_u32_e32 v55, vcc, 0, v62, vcc
	flat_load_dwordx2 v[54:55], v[54:55]
	s_or_b64 exec, exec, s[4:5]
                                        ; implicit-def: $vgpr56_vgpr57
	s_and_saveexec_b64 s[4:5], s[28:29]
	s_cbranch_execz .LBB537_51
.LBB537_74:
	v_add_co_u32_e32 v56, vcc, v1, v60
	v_addc_co_u32_e32 v57, vcc, 0, v62, vcc
	flat_load_dwordx2 v[56:57], v[56:57]
	s_or_b64 exec, exec, s[4:5]
                                        ; implicit-def: $vgpr60_vgpr61
	s_and_saveexec_b64 s[4:5], s[30:31]
	s_cbranch_execnz .LBB537_52
	s_branch .LBB537_53
.LBB537_75:
                                        ; implicit-def: $sgpr8_sgpr9
                                        ; implicit-def: $vgpr1
                                        ; implicit-def: $vgpr79
                                        ; implicit-def: $vgpr110
                                        ; implicit-def: $vgpr63
                                        ; implicit-def: $vgpr111
                                        ; implicit-def: $vgpr65
                                        ; implicit-def: $vgpr64
                                        ; implicit-def: $vgpr67
                                        ; implicit-def: $vgpr66
                                        ; implicit-def: $vgpr71
                                        ; implicit-def: $vgpr70
                                        ; implicit-def: $vgpr73
                                        ; implicit-def: $vgpr72
                                        ; implicit-def: $vgpr75
	s_cbranch_execz .LBB537_59
; %bb.76:
	s_mov_b32 s10, 0x66666667
	v_mul_hi_i32 v1, v4, s10
	v_lshrrev_b32_e32 v63, 31, v1
	v_ashrrev_i32_e32 v1, 2, v1
	v_add_u32_e32 v63, v1, v63
	v_mul_hi_i32 v1, v58, s10
	v_lshrrev_b32_e32 v64, 31, v1
	v_ashrrev_i32_e32 v1, 2, v1
	v_add_u32_e32 v1, v1, v64
	v_mul_hi_i32 v64, v2, s10
	v_lshrrev_b32_e32 v65, 31, v64
	v_ashrrev_i32_e32 v64, 2, v64
	v_cmp_ne_u32_e32 vcc, v63, v1
	v_add_u32_e32 v64, v64, v65
	v_cndmask_b32_e64 v1, 0, 1, vcc
	v_cmp_ne_u32_e32 vcc, v64, v63
	v_mul_hi_i32 v63, v8, s10
	v_lshrrev_b32_e32 v65, 31, v63
	v_ashrrev_i32_e32 v63, 2, v63
	v_add_u32_e32 v63, v63, v65
	v_cndmask_b32_e64 v79, 0, 1, vcc
	v_cmp_ne_u32_e32 vcc, v63, v64
	v_mul_hi_i32 v64, v6, s10
	v_lshrrev_b32_e32 v65, 31, v64
	v_ashrrev_i32_e32 v64, 2, v64
	v_add_u32_e32 v64, v64, v65
	v_mul_hi_i32 v65, v12, s10
	v_lshrrev_b32_e32 v66, 31, v65
	v_ashrrev_i32_e32 v65, 2, v65
	v_cndmask_b32_e64 v110, 0, 1, vcc
	v_cmp_ne_u32_e32 vcc, v64, v63
	v_add_u32_e32 v65, v65, v66
	v_cndmask_b32_e64 v63, 0, 1, vcc
	v_cmp_ne_u32_e32 vcc, v65, v64
	v_mul_hi_i32 v64, v10, s10
	v_lshrrev_b32_e32 v66, 31, v64
	v_ashrrev_i32_e32 v64, 2, v64
	v_add_u32_e32 v64, v64, v66
	v_mul_hi_i32 v66, v16, s10
	v_lshrrev_b32_e32 v67, 31, v66
	v_ashrrev_i32_e32 v66, 2, v66
	v_add_u32_e32 v66, v66, v67
	v_mul_hi_i32 v67, v14, s10
	v_cndmask_b32_e64 v111, 0, 1, vcc
	v_cmp_ne_u32_e32 vcc, v64, v65
	v_lshrrev_b32_e32 v68, 31, v67
	v_ashrrev_i32_e32 v67, 2, v67
	v_cndmask_b32_e64 v65, 0, 1, vcc
	v_cmp_ne_u32_e32 vcc, v66, v64
	v_add_u32_e32 v68, v67, v68
	v_cndmask_b32_e64 v64, 0, 1, vcc
	v_cmp_ne_u32_e32 vcc, v68, v66
	v_mul_hi_i32 v66, v20, s10
	v_lshrrev_b32_e32 v69, 31, v66
	v_ashrrev_i32_e32 v66, 2, v66
	v_add_u32_e32 v69, v66, v69
	v_cndmask_b32_e64 v67, 0, 1, vcc
	v_cmp_ne_u32_e32 vcc, v69, v68
	v_mul_hi_i32 v68, v18, s10
	v_lshrrev_b32_e32 v70, 31, v68
	v_ashrrev_i32_e32 v68, 2, v68
	;; [unrolled: 6-line block ×6, first 2 shown]
	v_add_u32_e32 v68, v68, v75
	v_cndmask_b32_e64 v72, 0, 1, vcc
	v_cmp_ne_u32_e32 vcc, v68, v69
	v_lshlrev_b32_e32 v62, 3, v0
	v_cndmask_b32_e64 v75, 0, 1, vcc
	ds_write_b64 v62, v[58:59]
	s_waitcnt lgkmcnt(0)
	s_barrier
	s_waitcnt lgkmcnt(0)
                                        ; implicit-def: $sgpr8_sgpr9
	s_and_saveexec_b64 s[6:7], s[2:3]
	s_xor_b64 s[6:7], exec, s[6:7]
	s_cbranch_execz .LBB537_78
; %bb.77:
	v_add_u32_e32 v62, -8, v62
	ds_read_b32 v62, v62
	s_or_b64 s[4:5], s[4:5], exec
	s_waitcnt lgkmcnt(0)
	v_mul_hi_i32 v62, v62, s10
	v_lshrrev_b32_e32 v69, 31, v62
	v_ashrrev_i32_e32 v62, 2, v62
	v_add_u32_e32 v62, v62, v69
	v_cmp_ne_u32_e32 vcc, v62, v68
	s_and_b64 s[8:9], vcc, exec
.LBB537_78:
	s_or_b64 exec, exec, s[6:7]
	s_mov_b32 s10, 1
.LBB537_79:
	v_mov_b32_e32 v69, v79
	s_branch .LBB537_115
.LBB537_80:
	s_mul_hi_u32 s7, s52, 0xfffff100
	s_mul_i32 s6, s53, 0xfffff100
	s_sub_i32 s7, s7, s52
	s_add_i32 s7, s7, s6
	s_mul_i32 s6, s52, 0xfffff100
	s_add_u32 s6, s6, s48
	s_addc_u32 s7, s7, s49
	s_and_b64 vcc, exec, s[30:31]
	v_mad_u32_u24 v68, v0, 15, 14
	s_cbranch_vccz .LBB537_252
; %bb.81:
	v_add_co_u32_e32 v62, vcc, -8, v74
	v_addc_co_u32_e32 v63, vcc, -1, v77, vcc
	flat_load_dwordx2 v[80:81], v[62:63]
	v_mov_b32_e32 v79, 0
	v_mov_b32_e32 v69, v79
	v_lshlrev_b32_e32 v77, 3, v0
	v_cmp_gt_u64_e32 vcc, s[6:7], v[68:69]
	v_mov_b32_e32 v1, 0
	ds_write_b64 v77, v[58:59]
	s_and_saveexec_b64 s[4:5], vcc
; %bb.82:
	s_mov_b32 s8, 0x66666667
	v_mul_hi_i32 v1, v4, s8
	v_lshrrev_b32_e32 v62, 31, v1
	v_ashrrev_i32_e32 v1, 2, v1
	v_add_u32_e32 v1, v1, v62
	v_mul_hi_i32 v62, v58, s8
	v_lshrrev_b32_e32 v63, 31, v62
	v_ashrrev_i32_e32 v62, 2, v62
	v_add_u32_e32 v62, v62, v63
	v_cmp_ne_u32_e32 vcc, v1, v62
	v_cndmask_b32_e64 v1, 0, 1, vcc
; %bb.83:
	s_or_b64 exec, exec, s[4:5]
	v_add_u32_e32 v78, 13, v76
	v_cmp_gt_u64_e32 vcc, s[6:7], v[78:79]
	s_and_saveexec_b64 s[4:5], vcc
; %bb.84:
	s_mov_b32 s8, 0x66666667
	v_mul_hi_i32 v62, v2, s8
	v_lshrrev_b32_e32 v63, 31, v62
	v_ashrrev_i32_e32 v62, 2, v62
	v_add_u32_e32 v62, v62, v63
	v_mul_hi_i32 v63, v4, s8
	v_lshrrev_b32_e32 v64, 31, v63
	v_ashrrev_i32_e32 v63, 2, v63
	v_add_u32_e32 v63, v63, v64
	v_cmp_ne_u32_e32 vcc, v62, v63
	v_cndmask_b32_e64 v79, 0, 1, vcc
; %bb.85:
	s_or_b64 exec, exec, s[4:5]
	v_add_u32_e32 v62, 12, v76
	v_mov_b32_e32 v63, 0
	v_cmp_gt_u64_e32 vcc, s[6:7], v[62:63]
	v_mov_b32_e32 v110, 0
	s_and_saveexec_b64 s[4:5], vcc
; %bb.86:
	s_mov_b32 s8, 0x66666667
	v_mul_hi_i32 v62, v8, s8
	v_lshrrev_b32_e32 v64, 31, v62
	v_ashrrev_i32_e32 v62, 2, v62
	v_add_u32_e32 v62, v62, v64
	v_mul_hi_i32 v64, v2, s8
	v_lshrrev_b32_e32 v65, 31, v64
	v_ashrrev_i32_e32 v64, 2, v64
	v_add_u32_e32 v64, v64, v65
	v_cmp_ne_u32_e32 vcc, v62, v64
	v_cndmask_b32_e64 v110, 0, 1, vcc
; %bb.87:
	s_or_b64 exec, exec, s[4:5]
	v_add_u32_e32 v62, 11, v76
	v_cmp_gt_u64_e32 vcc, s[6:7], v[62:63]
	s_and_saveexec_b64 s[4:5], vcc
; %bb.88:
	s_mov_b32 s8, 0x66666667
	v_mul_hi_i32 v62, v6, s8
	v_lshrrev_b32_e32 v63, 31, v62
	v_ashrrev_i32_e32 v62, 2, v62
	v_add_u32_e32 v62, v62, v63
	v_mul_hi_i32 v63, v8, s8
	v_lshrrev_b32_e32 v64, 31, v63
	v_ashrrev_i32_e32 v63, 2, v63
	v_add_u32_e32 v63, v63, v64
	v_cmp_ne_u32_e32 vcc, v62, v63
	v_cndmask_b32_e64 v63, 0, 1, vcc
; %bb.89:
	s_or_b64 exec, exec, s[4:5]
	v_add_u32_e32 v64, 10, v76
	v_mov_b32_e32 v65, 0
	v_cmp_gt_u64_e32 vcc, s[6:7], v[64:65]
	v_mov_b32_e32 v111, 0
	;; [unrolled: 36-line block ×6, first 2 shown]
	s_and_saveexec_b64 s[4:5], vcc
; %bb.106:
	s_mov_b32 s8, 0x66666667
	v_mul_hi_i32 v62, v28, s8
	v_lshrrev_b32_e32 v69, 31, v62
	v_ashrrev_i32_e32 v62, 2, v62
	v_add_u32_e32 v62, v62, v69
	v_mul_hi_i32 v69, v22, s8
	v_lshrrev_b32_e32 v72, 31, v69
	v_ashrrev_i32_e32 v69, 2, v69
	v_add_u32_e32 v69, v69, v72
	v_cmp_ne_u32_e32 vcc, v62, v69
	v_cndmask_b32_e64 v72, 0, 1, vcc
; %bb.107:
	s_or_b64 exec, exec, s[4:5]
	v_add_u32_e32 v74, 1, v76
	v_cmp_gt_u64_e32 vcc, s[6:7], v[74:75]
	s_and_saveexec_b64 s[4:5], vcc
; %bb.108:
	s_mov_b32 s8, 0x66666667
	v_mul_hi_i32 v62, v26, s8
	v_lshrrev_b32_e32 v69, 31, v62
	v_ashrrev_i32_e32 v62, 2, v62
	v_add_u32_e32 v62, v62, v69
	v_mul_hi_i32 v69, v28, s8
	v_lshrrev_b32_e32 v74, 31, v69
	v_ashrrev_i32_e32 v69, 2, v69
	v_add_u32_e32 v69, v69, v74
	v_cmp_ne_u32_e32 vcc, v62, v69
	v_cndmask_b32_e64 v75, 0, 1, vcc
; %bb.109:
	s_or_b64 exec, exec, s[4:5]
	s_waitcnt lgkmcnt(0)
	s_barrier
	s_and_saveexec_b64 s[4:5], s[2:3]
	s_cbranch_execz .LBB537_111
; %bb.110:
	v_add_u32_e32 v62, -8, v77
	s_waitcnt vmcnt(0)
	ds_read_b64 v[80:81], v62
.LBB537_111:
	s_or_b64 exec, exec, s[4:5]
	v_mov_b32_e32 v77, 0
	v_cmp_gt_u64_e32 vcc, s[6:7], v[76:77]
	s_mov_b64 s[10:11], 0
	s_mov_b64 s[8:9], 0
	s_and_saveexec_b64 s[4:5], vcc
	s_cbranch_execz .LBB537_113
; %bb.112:
	s_mov_b32 s8, 0x66666667
	s_waitcnt vmcnt(0) lgkmcnt(0)
	v_mul_hi_i32 v62, v80, s8
	v_lshrrev_b32_e32 v69, 31, v62
	v_ashrrev_i32_e32 v62, 2, v62
	v_add_u32_e32 v62, v62, v69
	v_mul_hi_i32 v69, v26, s8
	v_lshrrev_b32_e32 v74, 31, v69
	v_ashrrev_i32_e32 v69, 2, v69
	v_add_u32_e32 v69, v69, v74
	v_cmp_ne_u32_e32 vcc, v62, v69
	s_and_b64 s[8:9], vcc, exec
.LBB537_113:
	s_or_b64 exec, exec, s[4:5]
	s_mov_b64 s[4:5], -1
	s_and_b64 vcc, exec, s[10:11]
	s_cbranch_vccnz .LBB537_253
.LBB537_114:
                                        ; implicit-def: $vgpr69
                                        ; implicit-def: $sgpr10
.LBB537_115:
	v_mov_b32_e32 v68, s10
	s_and_saveexec_b64 s[2:3], s[4:5]
.LBB537_116:
	v_cndmask_b32_e64 v68, 0, 1, s[8:9]
	v_mov_b32_e32 v69, v79
.LBB537_117:
	s_or_b64 exec, exec, s[2:3]
	s_cmp_eq_u64 s[42:43], 0
	v_add3_u32 v62, v75, v68, v72
	s_cselect_b64 s[30:31], -1, 0
	s_cmp_lg_u32 s56, 0
	v_cmp_eq_u32_e64 s[26:27], 0, v75
	v_cmp_eq_u32_e64 s[24:25], 0, v72
	;; [unrolled: 1-line block ×3, first 2 shown]
	v_add3_u32 v113, v62, v73, v70
	v_cmp_eq_u32_e64 s[20:21], 0, v70
	v_cmp_eq_u32_e64 s[18:19], 0, v71
	;; [unrolled: 1-line block ×10, first 2 shown]
	v_cmp_eq_u32_e32 vcc, 0, v1
	v_mbcnt_lo_u32_b32 v112, -1, 0
	s_cbranch_scc0 .LBB537_184
; %bb.118:
	v_cndmask_b32_e64 v74, 0, v50, s[26:27]
	v_cndmask_b32_e64 v62, 0, v51, s[26:27]
	v_add_co_u32_e64 v74, s[28:29], v74, v54
	v_addc_co_u32_e64 v62, s[28:29], v62, v55, s[28:29]
	v_cndmask_b32_e64 v74, 0, v74, s[24:25]
	v_cndmask_b32_e64 v62, 0, v62, s[24:25]
	v_add_co_u32_e64 v74, s[28:29], v74, v52
	v_addc_co_u32_e64 v62, s[28:29], v62, v53, s[28:29]
	;; [unrolled: 4-line block ×10, first 2 shown]
	v_cndmask_b32_e64 v74, 0, v74, s[6:7]
	v_cndmask_b32_e64 v62, 0, v62, s[6:7]
	v_add_co_u32_e64 v74, s[28:29], v74, v36
	v_add3_u32 v76, v113, v71, v66
	v_addc_co_u32_e64 v62, s[28:29], v62, v37, s[28:29]
	v_cndmask_b32_e64 v74, 0, v74, s[4:5]
	v_add3_u32 v76, v76, v67, v64
	v_cndmask_b32_e64 v62, 0, v62, s[4:5]
	v_add_co_u32_e64 v74, s[28:29], v74, v30
	v_add3_u32 v76, v76, v65, v111
	v_addc_co_u32_e64 v62, s[28:29], v62, v31, s[28:29]
	v_cndmask_b32_e64 v74, 0, v74, s[2:3]
	v_add3_u32 v76, v76, v63, v110
	v_cndmask_b32_e64 v62, 0, v62, s[2:3]
	v_add_co_u32_e64 v77, s[28:29], v74, v60
	v_addc_co_u32_e64 v62, s[28:29], v62, v61, s[28:29]
	v_add3_u32 v74, v76, v69, v1
	v_cndmask_b32_e32 v76, 0, v77, vcc
	v_cndmask_b32_e32 v62, 0, v62, vcc
	v_add_co_u32_e32 v78, vcc, v76, v32
	s_waitcnt vmcnt(0) lgkmcnt(0)
	v_mbcnt_hi_u32_b32 v81, -1, v112
	v_addc_co_u32_e32 v79, vcc, v62, v33, vcc
	v_and_b32_e32 v62, 15, v81
	v_mov_b32_dpp v77, v74 row_shr:1 row_mask:0xf bank_mask:0xf
	v_mov_b32_dpp v76, v78 row_shr:1 row_mask:0xf bank_mask:0xf
	;; [unrolled: 1-line block ×3, first 2 shown]
	v_cmp_ne_u32_e32 vcc, 0, v62
	s_and_saveexec_b64 s[28:29], vcc
; %bb.119:
	v_cmp_eq_u32_e32 vcc, 0, v74
	v_cndmask_b32_e32 v76, 0, v76, vcc
	v_add_u32_e32 v77, v77, v74
	v_cndmask_b32_e32 v74, 0, v80, vcc
	v_add_co_u32_e32 v78, vcc, v76, v78
	v_addc_co_u32_e32 v79, vcc, v74, v79, vcc
	v_mov_b32_e32 v74, v77
; %bb.120:
	s_or_b64 exec, exec, s[28:29]
	s_nop 0
	v_mov_b32_dpp v77, v74 row_shr:2 row_mask:0xf bank_mask:0xf
	v_mov_b32_dpp v76, v78 row_shr:2 row_mask:0xf bank_mask:0xf
	v_mov_b32_dpp v80, v79 row_shr:2 row_mask:0xf bank_mask:0xf
	v_cmp_lt_u32_e32 vcc, 1, v62
	s_and_saveexec_b64 s[28:29], vcc
; %bb.121:
	v_cmp_eq_u32_e32 vcc, 0, v74
	v_cndmask_b32_e32 v76, 0, v76, vcc
	v_add_u32_e32 v77, v77, v74
	v_cndmask_b32_e32 v74, 0, v80, vcc
	v_add_co_u32_e32 v78, vcc, v76, v78
	v_addc_co_u32_e32 v79, vcc, v74, v79, vcc
	v_mov_b32_e32 v74, v77
; %bb.122:
	s_or_b64 exec, exec, s[28:29]
	s_nop 0
	v_mov_b32_dpp v77, v74 row_shr:4 row_mask:0xf bank_mask:0xf
	v_mov_b32_dpp v76, v78 row_shr:4 row_mask:0xf bank_mask:0xf
	v_mov_b32_dpp v80, v79 row_shr:4 row_mask:0xf bank_mask:0xf
	v_cmp_lt_u32_e32 vcc, 3, v62
	;; [unrolled: 16-line block ×3, first 2 shown]
	s_and_saveexec_b64 s[28:29], vcc
; %bb.125:
	v_cmp_eq_u32_e32 vcc, 0, v74
	v_cndmask_b32_e32 v76, 0, v76, vcc
	v_add_u32_e32 v62, v77, v74
	v_cndmask_b32_e32 v74, 0, v80, vcc
	v_add_co_u32_e32 v78, vcc, v76, v78
	v_addc_co_u32_e32 v79, vcc, v74, v79, vcc
	v_mov_b32_e32 v74, v62
; %bb.126:
	s_or_b64 exec, exec, s[28:29]
	v_and_b32_e32 v80, 16, v81
	v_mov_b32_dpp v76, v74 row_bcast:15 row_mask:0xf bank_mask:0xf
	v_mov_b32_dpp v62, v78 row_bcast:15 row_mask:0xf bank_mask:0xf
	;; [unrolled: 1-line block ×3, first 2 shown]
	v_cmp_ne_u32_e32 vcc, 0, v80
	s_and_saveexec_b64 s[28:29], vcc
; %bb.127:
	v_cmp_eq_u32_e32 vcc, 0, v74
	v_cndmask_b32_e32 v62, 0, v62, vcc
	v_add_u32_e32 v76, v76, v74
	v_cndmask_b32_e32 v74, 0, v77, vcc
	v_add_co_u32_e32 v78, vcc, v62, v78
	v_addc_co_u32_e32 v79, vcc, v74, v79, vcc
	v_mov_b32_e32 v74, v76
; %bb.128:
	s_or_b64 exec, exec, s[28:29]
	s_nop 0
	v_mov_b32_dpp v76, v74 row_bcast:31 row_mask:0xf bank_mask:0xf
	v_mov_b32_dpp v62, v78 row_bcast:31 row_mask:0xf bank_mask:0xf
	;; [unrolled: 1-line block ×3, first 2 shown]
	v_cmp_lt_u32_e32 vcc, 31, v81
	s_and_saveexec_b64 s[28:29], vcc
; %bb.129:
	v_cmp_eq_u32_e32 vcc, 0, v74
	v_cndmask_b32_e32 v62, 0, v62, vcc
	v_add_u32_e32 v76, v76, v74
	v_cndmask_b32_e32 v74, 0, v77, vcc
	v_add_co_u32_e32 v78, vcc, v62, v78
	v_addc_co_u32_e32 v79, vcc, v74, v79, vcc
	v_mov_b32_e32 v74, v76
; %bb.130:
	s_or_b64 exec, exec, s[28:29]
	v_lshrrev_b32_e32 v62, 6, v0
	v_or_b32_e32 v76, 63, v0
	v_cmp_eq_u32_e32 vcc, v76, v0
	v_lshlrev_b32_e32 v80, 4, v62
	s_and_saveexec_b64 s[28:29], vcc
	s_cbranch_execz .LBB537_132
; %bb.131:
	ds_write_b32 v80, v74 offset:4128
	ds_write_b64 v80, v[78:79] offset:4136
.LBB537_132:
	s_or_b64 exec, exec, s[28:29]
	v_cmp_gt_u32_e32 vcc, 4, v0
	s_waitcnt lgkmcnt(0)
	s_barrier
	s_and_saveexec_b64 s[28:29], vcc
	s_cbranch_execz .LBB537_138
; %bb.133:
	v_lshlrev_b32_e32 v62, 4, v0
	ds_read_b32 v82, v62 offset:4128
	ds_read_b64 v[76:77], v62 offset:4136
	v_and_b32_e32 v83, 3, v81
	v_cmp_ne_u32_e32 vcc, 0, v83
	s_waitcnt lgkmcnt(1)
	v_mov_b32_dpp v85, v82 row_shr:1 row_mask:0xf bank_mask:0xf
	s_waitcnt lgkmcnt(0)
	v_mov_b32_dpp v84, v76 row_shr:1 row_mask:0xf bank_mask:0xf
	v_mov_b32_dpp v86, v77 row_shr:1 row_mask:0xf bank_mask:0xf
	s_and_saveexec_b64 s[34:35], vcc
; %bb.134:
	v_cmp_eq_u32_e32 vcc, 0, v82
	v_cndmask_b32_e32 v84, 0, v84, vcc
	v_add_u32_e32 v85, v85, v82
	v_cndmask_b32_e32 v82, 0, v86, vcc
	v_add_co_u32_e32 v76, vcc, v84, v76
	v_addc_co_u32_e32 v77, vcc, v82, v77, vcc
	v_mov_b32_e32 v82, v85
; %bb.135:
	s_or_b64 exec, exec, s[34:35]
	s_nop 0
	v_mov_b32_dpp v85, v82 row_shr:2 row_mask:0xf bank_mask:0xf
	v_mov_b32_dpp v84, v76 row_shr:2 row_mask:0xf bank_mask:0xf
	;; [unrolled: 1-line block ×3, first 2 shown]
	v_cmp_lt_u32_e32 vcc, 1, v83
	s_and_saveexec_b64 s[34:35], vcc
; %bb.136:
	v_cmp_eq_u32_e32 vcc, 0, v82
	v_cndmask_b32_e32 v84, 0, v84, vcc
	v_add_u32_e32 v83, v85, v82
	v_cndmask_b32_e32 v82, 0, v86, vcc
	v_add_co_u32_e32 v76, vcc, v84, v76
	v_addc_co_u32_e32 v77, vcc, v82, v77, vcc
	v_mov_b32_e32 v82, v83
; %bb.137:
	s_or_b64 exec, exec, s[34:35]
	ds_write_b32 v62, v82 offset:4128
	ds_write_b64 v62, v[76:77] offset:4136
.LBB537_138:
	s_or_b64 exec, exec, s[28:29]
	v_cmp_gt_u32_e32 vcc, 64, v0
	v_cmp_lt_u32_e64 s[28:29], 63, v0
	v_pk_mov_b32 v[76:77], 0, 0
	v_mov_b32_e32 v62, 0
	s_waitcnt lgkmcnt(0)
	s_barrier
	s_and_saveexec_b64 s[34:35], s[28:29]
	s_cbranch_execz .LBB537_140
; %bb.139:
	ds_read_b32 v62, v80 offset:4112
	ds_read_b64 v[76:77], v80 offset:4120
	v_cmp_eq_u32_e64 s[28:29], 0, v74
	s_waitcnt lgkmcnt(1)
	v_add_u32_e32 v80, v62, v74
	s_waitcnt lgkmcnt(0)
	v_cndmask_b32_e64 v82, 0, v76, s[28:29]
	v_cndmask_b32_e64 v74, 0, v77, s[28:29]
	v_add_co_u32_e64 v78, s[28:29], v82, v78
	v_addc_co_u32_e64 v79, s[28:29], v74, v79, s[28:29]
	v_mov_b32_e32 v74, v80
.LBB537_140:
	s_or_b64 exec, exec, s[34:35]
	v_add_u32_e32 v80, -1, v81
	v_and_b32_e32 v82, 64, v81
	v_cmp_lt_i32_e64 s[28:29], v80, v82
	v_cndmask_b32_e64 v80, v80, v81, s[28:29]
	v_lshlrev_b32_e32 v80, 2, v80
	ds_bpermute_b32 v74, v80, v74
	ds_bpermute_b32 v88, v80, v78
	ds_bpermute_b32 v89, v80, v79
	v_cmp_eq_u32_e64 s[28:29], 0, v81
	s_and_saveexec_b64 s[34:35], vcc
	s_cbranch_execz .LBB537_183
; %bb.141:
	v_mov_b32_e32 v83, 0
	ds_read_b32 v90, v83 offset:4176
	ds_read_b64 v[78:79], v83 offset:4184
	s_and_saveexec_b64 s[42:43], s[28:29]
	s_cbranch_execz .LBB537_143
; %bb.142:
	s_add_i32 s48, s56, 64
	s_mov_b32 s49, 0
	s_lshl_b64 s[52:53], s[48:49], 4
	s_add_u32 s52, s36, s52
	s_addc_u32 s53, s37, s53
	v_mov_b32_e32 v80, s48
	v_mov_b32_e32 v82, 1
	s_waitcnt lgkmcnt(1)
	global_store_dword v83, v90, s[52:53]
	s_waitcnt lgkmcnt(0)
	global_store_dwordx2 v83, v[78:79], s[52:53] offset:8
	s_waitcnt vmcnt(0)
	buffer_wbinvl1_vol
	global_store_byte v80, v82, s[40:41]
.LBB537_143:
	s_or_b64 exec, exec, s[42:43]
	v_xad_u32 v80, v81, -1, s56
	v_add_u32_e32 v82, 64, v80
	global_load_ubyte v91, v82, s[40:41] glc
	s_waitcnt vmcnt(0)
	v_cmp_eq_u16_e32 vcc, 0, v91
	s_and_saveexec_b64 s[42:43], vcc
	s_cbranch_execz .LBB537_147
; %bb.144:
	v_mov_b32_e32 v85, s41
	v_add_co_u32_e32 v84, vcc, s40, v82
	v_addc_co_u32_e32 v85, vcc, 0, v85, vcc
	s_mov_b64 s[48:49], 0
.LBB537_145:                            ; =>This Inner Loop Header: Depth=1
	global_load_ubyte v91, v[84:85], off glc
	s_waitcnt vmcnt(0)
	v_cmp_ne_u16_e32 vcc, 0, v91
	s_or_b64 s[48:49], vcc, s[48:49]
	s_andn2_b64 exec, exec, s[48:49]
	s_cbranch_execnz .LBB537_145
; %bb.146:
	s_or_b64 exec, exec, s[48:49]
.LBB537_147:
	s_or_b64 exec, exec, s[42:43]
	v_mov_b32_e32 v84, s39
	v_mov_b32_e32 v85, s37
	v_cmp_eq_u16_e32 vcc, 1, v91
	v_cndmask_b32_e32 v84, v84, v85, vcc
	v_mov_b32_e32 v85, s38
	v_mov_b32_e32 v86, s36
	v_cndmask_b32_e32 v85, v85, v86, vcc
	v_lshlrev_b64 v[82:83], 4, v[82:83]
	v_add_co_u32_e32 v82, vcc, v85, v82
	v_addc_co_u32_e32 v83, vcc, v84, v83, vcc
	s_waitcnt lgkmcnt(0)
	buffer_wbinvl1_vol
	global_load_dword v106, v[82:83], off
	global_load_dwordx2 v[86:87], v[82:83], off offset:8
	v_cmp_eq_u16_e32 vcc, 2, v91
	v_lshlrev_b64 v[82:83], v81, -1
	v_and_b32_e32 v92, 63, v81
	v_and_b32_e32 v84, vcc_hi, v83
	v_and_b32_e32 v96, vcc_lo, v82
	v_cmp_ne_u32_e32 vcc, 63, v92
	v_addc_co_u32_e32 v85, vcc, 0, v81, vcc
	v_lshlrev_b32_e32 v93, 2, v85
	v_or_b32_e32 v84, 0x80000000, v84
	v_ffbl_b32_e32 v84, v84
	v_add_u32_e32 v84, 32, v84
	v_ffbl_b32_e32 v96, v96
	v_min_u32_e32 v84, v96, v84
	v_cmp_lt_u32_e32 vcc, v92, v84
	s_waitcnt vmcnt(1)
	ds_bpermute_b32 v94, v93, v106
	s_waitcnt vmcnt(0)
	ds_bpermute_b32 v85, v93, v86
	ds_bpermute_b32 v95, v93, v87
	s_and_saveexec_b64 s[42:43], vcc
	s_cbranch_execz .LBB537_149
; %bb.148:
	v_cmp_eq_u32_e32 vcc, 0, v106
	s_waitcnt lgkmcnt(1)
	v_cndmask_b32_e32 v85, 0, v85, vcc
	v_add_u32_e32 v94, v94, v106
	s_waitcnt lgkmcnt(0)
	v_cndmask_b32_e32 v95, 0, v95, vcc
	v_add_co_u32_e32 v86, vcc, v85, v86
	v_addc_co_u32_e32 v87, vcc, v95, v87, vcc
	v_mov_b32_e32 v106, v94
.LBB537_149:
	s_or_b64 exec, exec, s[42:43]
	v_cmp_gt_u32_e32 vcc, 62, v92
	s_waitcnt lgkmcnt(1)
	v_cndmask_b32_e64 v85, 0, 1, vcc
	v_lshlrev_b32_e32 v85, 1, v85
	v_add_lshl_u32 v94, v85, v81, 2
	ds_bpermute_b32 v96, v94, v106
	ds_bpermute_b32 v85, v94, v86
	ds_bpermute_b32 v97, v94, v87
	s_waitcnt lgkmcnt(3)
	v_add_u32_e32 v95, 2, v92
	v_cmp_le_u32_e32 vcc, v95, v84
	s_and_saveexec_b64 s[42:43], vcc
	s_cbranch_execz .LBB537_151
; %bb.150:
	v_cmp_eq_u32_e32 vcc, 0, v106
	s_waitcnt lgkmcnt(1)
	v_cndmask_b32_e32 v85, 0, v85, vcc
	v_add_u32_e32 v96, v96, v106
	s_waitcnt lgkmcnt(0)
	v_cndmask_b32_e32 v97, 0, v97, vcc
	v_add_co_u32_e32 v86, vcc, v85, v86
	v_addc_co_u32_e32 v87, vcc, v97, v87, vcc
	v_mov_b32_e32 v106, v96
.LBB537_151:
	s_or_b64 exec, exec, s[42:43]
	v_cmp_gt_u32_e32 vcc, 60, v92
	s_waitcnt lgkmcnt(1)
	v_cndmask_b32_e64 v85, 0, 1, vcc
	v_lshlrev_b32_e32 v85, 2, v85
	v_add_lshl_u32 v96, v85, v81, 2
	ds_bpermute_b32 v98, v96, v106
	ds_bpermute_b32 v85, v96, v86
	ds_bpermute_b32 v99, v96, v87
	s_waitcnt lgkmcnt(3)
	v_add_u32_e32 v97, 4, v92
	v_cmp_le_u32_e32 vcc, v97, v84
	;; [unrolled: 25-line block ×4, first 2 shown]
	s_and_saveexec_b64 s[42:43], vcc
	s_cbranch_execz .LBB537_157
; %bb.156:
	v_cmp_eq_u32_e32 vcc, 0, v106
	s_waitcnt lgkmcnt(1)
	v_cndmask_b32_e32 v85, 0, v85, vcc
	v_add_u32_e32 v102, v102, v106
	s_waitcnt lgkmcnt(0)
	v_cndmask_b32_e32 v103, 0, v103, vcc
	v_add_co_u32_e32 v86, vcc, v85, v86
	v_addc_co_u32_e32 v87, vcc, v103, v87, vcc
	v_mov_b32_e32 v106, v102
.LBB537_157:
	s_or_b64 exec, exec, s[42:43]
	v_cmp_gt_u32_e32 vcc, 32, v92
	s_waitcnt lgkmcnt(1)
	v_cndmask_b32_e64 v85, 0, 1, vcc
	v_lshlrev_b32_e32 v85, 5, v85
	v_add_lshl_u32 v102, v85, v81, 2
	ds_bpermute_b32 v85, v102, v106
	ds_bpermute_b32 v81, v102, v86
	s_waitcnt lgkmcnt(2)
	ds_bpermute_b32 v103, v102, v87
	v_add_u32_e32 v104, 32, v92
	v_cmp_le_u32_e32 vcc, v104, v84
	s_and_saveexec_b64 s[42:43], vcc
	s_cbranch_execz .LBB537_159
; %bb.158:
	v_cmp_eq_u32_e32 vcc, 0, v106
	s_waitcnt lgkmcnt(1)
	v_cndmask_b32_e32 v81, 0, v81, vcc
	v_add_u32_e32 v84, v85, v106
	s_waitcnt lgkmcnt(0)
	v_cndmask_b32_e32 v85, 0, v103, vcc
	v_add_co_u32_e32 v86, vcc, v81, v86
	v_addc_co_u32_e32 v87, vcc, v85, v87, vcc
	v_mov_b32_e32 v106, v84
.LBB537_159:
	s_or_b64 exec, exec, s[42:43]
	s_waitcnt lgkmcnt(1)
	v_mov_b32_e32 v81, 0
	v_mov_b32_e32 v105, 2
	s_branch .LBB537_161
.LBB537_160:                            ;   in Loop: Header=BB537_161 Depth=1
	s_or_b64 exec, exec, s[42:43]
	v_cmp_eq_u32_e32 vcc, 0, v103
	v_cndmask_b32_e32 v86, 0, v86, vcc
	v_cndmask_b32_e32 v87, 0, v87, vcc
	v_add_co_u32_e32 v86, vcc, v86, v84
	v_subrev_u32_e32 v80, 64, v80
	v_add_u32_e32 v106, v107, v103
	v_addc_co_u32_e32 v87, vcc, v87, v85, vcc
.LBB537_161:                            ; =>This Loop Header: Depth=1
                                        ;     Child Loop BB537_164 Depth 2
	v_cmp_ne_u16_sdwa s[42:43], v91, v105 src0_sel:BYTE_0 src1_sel:DWORD
	v_pk_mov_b32 v[84:85], v[86:87], v[86:87] op_sel:[0,1]
	v_cndmask_b32_e64 v86, 0, 1, s[42:43]
	;;#ASMSTART
	;;#ASMEND
	v_cmp_ne_u32_e32 vcc, 0, v86
	s_cmp_lg_u64 vcc, exec
	s_waitcnt lgkmcnt(0)
	v_mov_b32_e32 v103, v106
	s_cbranch_scc1 .LBB537_178
; %bb.162:                              ;   in Loop: Header=BB537_161 Depth=1
	global_load_ubyte v91, v80, s[40:41] glc
	s_waitcnt vmcnt(0)
	v_cmp_eq_u16_e32 vcc, 0, v91
	s_and_saveexec_b64 s[42:43], vcc
	s_cbranch_execz .LBB537_166
; %bb.163:                              ;   in Loop: Header=BB537_161 Depth=1
	v_mov_b32_e32 v87, s41
	v_add_co_u32_e32 v86, vcc, s40, v80
	v_addc_co_u32_e32 v87, vcc, 0, v87, vcc
	s_mov_b64 s[48:49], 0
.LBB537_164:                            ;   Parent Loop BB537_161 Depth=1
                                        ; =>  This Inner Loop Header: Depth=2
	global_load_ubyte v91, v[86:87], off glc
	s_waitcnt vmcnt(0)
	v_cmp_ne_u16_e32 vcc, 0, v91
	s_or_b64 s[48:49], vcc, s[48:49]
	s_andn2_b64 exec, exec, s[48:49]
	s_cbranch_execnz .LBB537_164
; %bb.165:                              ;   in Loop: Header=BB537_161 Depth=1
	s_or_b64 exec, exec, s[48:49]
.LBB537_166:                            ;   in Loop: Header=BB537_161 Depth=1
	s_or_b64 exec, exec, s[42:43]
	v_mov_b32_e32 v86, s39
	v_mov_b32_e32 v87, s37
	v_cmp_eq_u16_e32 vcc, 1, v91
	v_cndmask_b32_e32 v106, v86, v87, vcc
	v_mov_b32_e32 v86, s38
	v_mov_b32_e32 v87, s36
	v_cndmask_b32_e32 v107, v86, v87, vcc
	v_lshlrev_b64 v[86:87], 4, v[80:81]
	v_add_co_u32_e32 v86, vcc, v107, v86
	v_addc_co_u32_e32 v87, vcc, v106, v87, vcc
	buffer_wbinvl1_vol
	global_load_dword v107, v[86:87], off
	s_nop 0
	global_load_dwordx2 v[86:87], v[86:87], off offset:8
	v_cmp_eq_u16_e32 vcc, 2, v91
	v_and_b32_e32 v106, vcc_hi, v83
	v_or_b32_e32 v106, 0x80000000, v106
	v_and_b32_e32 v115, vcc_lo, v82
	v_ffbl_b32_e32 v106, v106
	v_add_u32_e32 v106, 32, v106
	v_ffbl_b32_e32 v115, v115
	v_min_u32_e32 v106, v115, v106
	v_cmp_lt_u32_e32 vcc, v92, v106
	s_waitcnt vmcnt(1)
	ds_bpermute_b32 v109, v93, v107
	s_waitcnt vmcnt(0)
	ds_bpermute_b32 v108, v93, v86
	ds_bpermute_b32 v114, v93, v87
	s_and_saveexec_b64 s[42:43], vcc
	s_cbranch_execz .LBB537_168
; %bb.167:                              ;   in Loop: Header=BB537_161 Depth=1
	v_cmp_eq_u32_e32 vcc, 0, v107
	s_waitcnt lgkmcnt(1)
	v_cndmask_b32_e32 v108, 0, v108, vcc
	v_add_u32_e32 v109, v109, v107
	s_waitcnt lgkmcnt(0)
	v_cndmask_b32_e32 v107, 0, v114, vcc
	v_add_co_u32_e32 v86, vcc, v108, v86
	v_addc_co_u32_e32 v87, vcc, v107, v87, vcc
	v_mov_b32_e32 v107, v109
.LBB537_168:                            ;   in Loop: Header=BB537_161 Depth=1
	s_or_b64 exec, exec, s[42:43]
	s_waitcnt lgkmcnt(2)
	ds_bpermute_b32 v109, v94, v107
	s_waitcnt lgkmcnt(2)
	ds_bpermute_b32 v108, v94, v86
	s_waitcnt lgkmcnt(2)
	ds_bpermute_b32 v114, v94, v87
	v_cmp_le_u32_e32 vcc, v95, v106
	s_and_saveexec_b64 s[42:43], vcc
	s_cbranch_execz .LBB537_170
; %bb.169:                              ;   in Loop: Header=BB537_161 Depth=1
	v_cmp_eq_u32_e32 vcc, 0, v107
	s_waitcnt lgkmcnt(1)
	v_cndmask_b32_e32 v108, 0, v108, vcc
	v_add_u32_e32 v109, v109, v107
	s_waitcnt lgkmcnt(0)
	v_cndmask_b32_e32 v107, 0, v114, vcc
	v_add_co_u32_e32 v86, vcc, v108, v86
	v_addc_co_u32_e32 v87, vcc, v107, v87, vcc
	v_mov_b32_e32 v107, v109
.LBB537_170:                            ;   in Loop: Header=BB537_161 Depth=1
	s_or_b64 exec, exec, s[42:43]
	s_waitcnt lgkmcnt(2)
	ds_bpermute_b32 v109, v96, v107
	s_waitcnt lgkmcnt(2)
	ds_bpermute_b32 v108, v96, v86
	s_waitcnt lgkmcnt(2)
	ds_bpermute_b32 v114, v96, v87
	v_cmp_le_u32_e32 vcc, v97, v106
	;; [unrolled: 21-line block ×5, first 2 shown]
	s_and_saveexec_b64 s[42:43], vcc
	s_cbranch_execz .LBB537_160
; %bb.177:                              ;   in Loop: Header=BB537_161 Depth=1
	v_cmp_eq_u32_e32 vcc, 0, v107
	s_waitcnt lgkmcnt(1)
	v_cndmask_b32_e32 v108, 0, v108, vcc
	v_add_u32_e32 v106, v109, v107
	s_waitcnt lgkmcnt(0)
	v_cndmask_b32_e32 v107, 0, v114, vcc
	v_add_co_u32_e32 v86, vcc, v108, v86
	v_addc_co_u32_e32 v87, vcc, v107, v87, vcc
	v_mov_b32_e32 v107, v106
	s_branch .LBB537_160
.LBB537_178:                            ;   in Loop: Header=BB537_161 Depth=1
                                        ; implicit-def: $vgpr86_vgpr87
                                        ; implicit-def: $vgpr106
                                        ; implicit-def: $vgpr91
	s_cbranch_execz .LBB537_161
; %bb.179:
	s_and_saveexec_b64 s[36:37], s[28:29]
	s_cbranch_execz .LBB537_181
; %bb.180:
	s_mov_b32 s43, 0
	v_cmp_eq_u32_e32 vcc, 0, v90
	s_add_i32 s42, s56, 64
	v_cndmask_b32_e32 v80, 0, v84, vcc
	s_lshl_b64 s[48:49], s[42:43], 4
	v_cndmask_b32_e32 v81, 0, v85, vcc
	v_add_co_u32_e32 v80, vcc, v80, v78
	s_add_u32 s48, s38, s48
	v_add_u32_e32 v82, v103, v90
	v_addc_co_u32_e32 v81, vcc, v81, v79, vcc
	s_addc_u32 s49, s39, s49
	v_mov_b32_e32 v83, 0
	global_store_dword v83, v82, s[48:49]
	global_store_dwordx2 v83, v[80:81], s[48:49] offset:8
	v_mov_b32_e32 v80, s42
	v_mov_b32_e32 v81, 2
	s_waitcnt vmcnt(0) lgkmcnt(0)
	buffer_wbinvl1_vol
	global_store_byte v80, v81, s[40:41]
	ds_write_b32 v83, v90 offset:4096
	ds_write_b64 v83, v[78:79] offset:4104
	ds_write_b32 v83, v103 offset:4112
	ds_write_b64 v83, v[84:85] offset:4120
.LBB537_181:
	s_or_b64 exec, exec, s[36:37]
	s_and_b64 exec, exec, s[0:1]
	s_cbranch_execz .LBB537_183
; %bb.182:
	v_mov_b32_e32 v78, 0
	ds_write_b32 v78, v103 offset:4176
	ds_write_b64 v78, v[84:85] offset:4184
.LBB537_183:
	s_or_b64 exec, exec, s[34:35]
	v_mov_b32_e32 v106, 0
	s_waitcnt lgkmcnt(0)
	s_barrier
	ds_read_b32 v80, v106 offset:4176
	ds_read_b64 v[78:79], v106 offset:4184
	v_cndmask_b32_e64 v62, v74, v62, s[28:29]
	v_cmp_eq_u32_e32 vcc, 0, v62
	v_cndmask_b32_e64 v76, v88, v76, s[28:29]
	v_cndmask_b32_e64 v77, v89, v77, s[28:29]
	s_waitcnt lgkmcnt(0)
	v_cndmask_b32_e32 v81, 0, v78, vcc
	v_cndmask_b32_e32 v74, 0, v79, vcc
	v_add_co_u32_e32 v76, vcc, v81, v76
	v_addc_co_u32_e32 v77, vcc, v74, v77, vcc
	v_cndmask_b32_e64 v104, v76, v78, s[0:1]
	v_cmp_eq_u32_e32 vcc, 0, v68
	v_cndmask_b32_e64 v62, v62, 0, s[0:1]
	v_cndmask_b32_e64 v105, v77, v79, s[0:1]
	v_cndmask_b32_e32 v76, 0, v104, vcc
	v_add_u32_e32 v74, v80, v62
	v_cndmask_b32_e32 v62, 0, v105, vcc
	v_add_co_u32_e32 v80, vcc, v76, v50
	v_addc_co_u32_e32 v81, vcc, v62, v51, vcc
	v_cndmask_b32_e64 v76, 0, v80, s[26:27]
	v_cndmask_b32_e64 v62, 0, v81, s[26:27]
	v_add_co_u32_e32 v82, vcc, v76, v54
	v_addc_co_u32_e32 v83, vcc, v62, v55, vcc
	v_cndmask_b32_e64 v76, 0, v82, s[24:25]
	v_cndmask_b32_e64 v62, 0, v83, s[24:25]
	;; [unrolled: 4-line block ×11, first 2 shown]
	v_add_co_u32_e32 v102, vcc, v76, v36
	v_addc_co_u32_e32 v103, vcc, v62, v37, vcc
	s_barrier
	ds_read_b32 v62, v106 offset:4096
	ds_read_b64 v[76:77], v106 offset:4104
	ds_read_b32 v78, v106 offset:4112
	ds_read_b64 v[114:115], v106 offset:4120
	v_cndmask_b32_e64 v107, 0, v102, s[4:5]
	v_cndmask_b32_e64 v79, 0, v103, s[4:5]
	v_add_co_u32_e32 v106, vcc, v107, v30
	v_addc_co_u32_e32 v107, vcc, v79, v31, vcc
	s_waitcnt lgkmcnt(3)
	v_cmp_eq_u32_e32 vcc, 0, v62
	s_waitcnt lgkmcnt(0)
	v_cndmask_b32_e32 v114, 0, v114, vcc
	v_cndmask_b32_e32 v79, 0, v115, vcc
	v_add_co_u32_e32 v76, vcc, v114, v76
	v_cndmask_b32_e64 v109, 0, v107, s[2:3]
	v_cndmask_b32_e64 v108, 0, v106, s[2:3]
	v_addc_co_u32_e32 v77, vcc, v79, v77, vcc
	s_branch .LBB537_212
.LBB537_184:
                                        ; implicit-def: $vgpr62
                                        ; implicit-def: $vgpr76_vgpr77
                                        ; implicit-def: $vgpr78
                                        ; implicit-def: $vgpr104_vgpr105
                                        ; implicit-def: $vgpr80_vgpr81
                                        ; implicit-def: $vgpr82_vgpr83
                                        ; implicit-def: $vgpr84_vgpr85
                                        ; implicit-def: $vgpr86_vgpr87
                                        ; implicit-def: $vgpr88_vgpr89
                                        ; implicit-def: $vgpr90_vgpr91
                                        ; implicit-def: $vgpr92_vgpr93
                                        ; implicit-def: $vgpr94_vgpr95
                                        ; implicit-def: $vgpr96_vgpr97
                                        ; implicit-def: $vgpr98_vgpr99
                                        ; implicit-def: $vgpr100_vgpr101
                                        ; implicit-def: $vgpr102_vgpr103
                                        ; implicit-def: $vgpr106_vgpr107
                                        ; implicit-def: $vgpr108_vgpr109
                                        ; implicit-def: $vgpr74
	s_cbranch_execz .LBB537_212
; %bb.185:
	s_and_b64 s[2:3], s[30:31], exec
	s_cselect_b32 s3, 0, s65
	s_cselect_b32 s2, 0, s64
	s_cmp_eq_u64 s[2:3], 0
	v_pk_mov_b32 v[78:79], v[50:51], v[50:51] op_sel:[0,1]
	s_cbranch_scc1 .LBB537_187
; %bb.186:
	v_mov_b32_e32 v62, 0
	global_load_dwordx2 v[78:79], v62, s[2:3]
.LBB537_187:
	v_cmp_eq_u32_e64 s[24:25], 0, v75
	v_cndmask_b32_e64 v74, 0, v50, s[24:25]
	v_cndmask_b32_e64 v62, 0, v51, s[24:25]
	v_add_co_u32_e32 v74, vcc, v74, v54
	v_cmp_eq_u32_e64 s[22:23], 0, v72
	v_addc_co_u32_e32 v62, vcc, v62, v55, vcc
	v_cndmask_b32_e64 v74, 0, v74, s[22:23]
	v_cndmask_b32_e64 v62, 0, v62, s[22:23]
	v_add_co_u32_e32 v74, vcc, v74, v52
	v_cmp_eq_u32_e64 s[20:21], 0, v73
	v_addc_co_u32_e32 v62, vcc, v62, v53, vcc
	;; [unrolled: 5-line block ×11, first 2 shown]
	v_cndmask_b32_e64 v74, 0, v74, s[4:5]
	v_cndmask_b32_e64 v62, 0, v62, s[4:5]
	v_add_co_u32_e32 v74, vcc, v74, v30
	v_addc_co_u32_e32 v62, vcc, v62, v31, vcc
	v_cmp_eq_u32_e32 vcc, 0, v69
	v_add3_u32 v76, v113, v71, v66
	v_cndmask_b32_e32 v74, 0, v74, vcc
	v_add3_u32 v76, v76, v67, v64
	v_cndmask_b32_e32 v62, 0, v62, vcc
	v_add_co_u32_e64 v77, s[26:27], v74, v60
	v_add3_u32 v76, v76, v65, v111
	v_addc_co_u32_e64 v62, s[26:27], v62, v61, s[26:27]
	v_add3_u32 v76, v76, v63, v110
	v_cmp_eq_u32_e64 s[26:27], 0, v1
	v_add3_u32 v74, v76, v69, v1
	v_cndmask_b32_e64 v76, 0, v77, s[26:27]
	v_cndmask_b32_e64 v62, 0, v62, s[26:27]
	v_add_co_u32_e64 v32, s[26:27], v76, v32
	v_addc_co_u32_e64 v33, s[26:27], v62, v33, s[26:27]
	v_mbcnt_hi_u32_b32 v62, -1, v112
	v_and_b32_e32 v76, 15, v62
	s_waitcnt vmcnt(0) lgkmcnt(0)
	v_mov_b32_dpp v80, v74 row_shr:1 row_mask:0xf bank_mask:0xf
	v_mov_b32_dpp v77, v32 row_shr:1 row_mask:0xf bank_mask:0xf
	v_mov_b32_dpp v81, v33 row_shr:1 row_mask:0xf bank_mask:0xf
	v_cmp_ne_u32_e64 s[26:27], 0, v76
	s_and_saveexec_b64 s[28:29], s[26:27]
; %bb.188:
	v_cmp_eq_u32_e64 s[26:27], 0, v74
	v_cndmask_b32_e64 v77, 0, v77, s[26:27]
	v_add_u32_e32 v80, v80, v74
	v_cndmask_b32_e64 v74, 0, v81, s[26:27]
	v_add_co_u32_e64 v32, s[26:27], v77, v32
	v_addc_co_u32_e64 v33, s[26:27], v74, v33, s[26:27]
	v_mov_b32_e32 v74, v80
; %bb.189:
	s_or_b64 exec, exec, s[28:29]
	s_nop 0
	v_mov_b32_dpp v80, v74 row_shr:2 row_mask:0xf bank_mask:0xf
	v_mov_b32_dpp v77, v32 row_shr:2 row_mask:0xf bank_mask:0xf
	v_mov_b32_dpp v81, v33 row_shr:2 row_mask:0xf bank_mask:0xf
	v_cmp_lt_u32_e64 s[26:27], 1, v76
	s_and_saveexec_b64 s[28:29], s[26:27]
; %bb.190:
	v_cmp_eq_u32_e64 s[26:27], 0, v74
	v_cndmask_b32_e64 v77, 0, v77, s[26:27]
	v_add_u32_e32 v80, v80, v74
	v_cndmask_b32_e64 v74, 0, v81, s[26:27]
	v_add_co_u32_e64 v32, s[26:27], v77, v32
	v_addc_co_u32_e64 v33, s[26:27], v74, v33, s[26:27]
	v_mov_b32_e32 v74, v80
; %bb.191:
	s_or_b64 exec, exec, s[28:29]
	s_nop 0
	v_mov_b32_dpp v80, v74 row_shr:4 row_mask:0xf bank_mask:0xf
	v_mov_b32_dpp v77, v32 row_shr:4 row_mask:0xf bank_mask:0xf
	v_mov_b32_dpp v81, v33 row_shr:4 row_mask:0xf bank_mask:0xf
	v_cmp_lt_u32_e64 s[26:27], 3, v76
	;; [unrolled: 16-line block ×3, first 2 shown]
	s_and_saveexec_b64 s[28:29], s[26:27]
; %bb.194:
	v_cmp_eq_u32_e64 s[26:27], 0, v74
	v_cndmask_b32_e64 v77, 0, v77, s[26:27]
	v_add_u32_e32 v76, v80, v74
	v_cndmask_b32_e64 v74, 0, v81, s[26:27]
	v_add_co_u32_e64 v32, s[26:27], v77, v32
	v_addc_co_u32_e64 v33, s[26:27], v74, v33, s[26:27]
	v_mov_b32_e32 v74, v76
; %bb.195:
	s_or_b64 exec, exec, s[28:29]
	v_and_b32_e32 v81, 16, v62
	v_mov_b32_dpp v77, v74 row_bcast:15 row_mask:0xf bank_mask:0xf
	v_mov_b32_dpp v76, v32 row_bcast:15 row_mask:0xf bank_mask:0xf
	;; [unrolled: 1-line block ×3, first 2 shown]
	v_cmp_ne_u32_e64 s[26:27], 0, v81
	s_and_saveexec_b64 s[28:29], s[26:27]
; %bb.196:
	v_cmp_eq_u32_e64 s[26:27], 0, v74
	v_cndmask_b32_e64 v76, 0, v76, s[26:27]
	v_add_u32_e32 v77, v77, v74
	v_cndmask_b32_e64 v74, 0, v80, s[26:27]
	v_add_co_u32_e64 v32, s[26:27], v76, v32
	v_addc_co_u32_e64 v33, s[26:27], v74, v33, s[26:27]
	v_mov_b32_e32 v74, v77
; %bb.197:
	s_or_b64 exec, exec, s[28:29]
	s_nop 0
	v_mov_b32_dpp v77, v74 row_bcast:31 row_mask:0xf bank_mask:0xf
	v_mov_b32_dpp v76, v32 row_bcast:31 row_mask:0xf bank_mask:0xf
	;; [unrolled: 1-line block ×3, first 2 shown]
	v_cmp_lt_u32_e64 s[26:27], 31, v62
	s_and_saveexec_b64 s[28:29], s[26:27]
; %bb.198:
	v_cmp_eq_u32_e64 s[26:27], 0, v74
	v_cndmask_b32_e64 v76, 0, v76, s[26:27]
	v_add_u32_e32 v77, v77, v74
	v_cndmask_b32_e64 v74, 0, v80, s[26:27]
	v_add_co_u32_e64 v32, s[26:27], v76, v32
	v_addc_co_u32_e64 v33, s[26:27], v74, v33, s[26:27]
	v_mov_b32_e32 v74, v77
; %bb.199:
	s_or_b64 exec, exec, s[28:29]
	v_lshrrev_b32_e32 v76, 6, v0
	v_or_b32_e32 v77, 63, v0
	v_cmp_eq_u32_e64 s[26:27], v77, v0
	v_lshlrev_b32_e32 v80, 4, v76
	s_and_saveexec_b64 s[28:29], s[26:27]
	s_cbranch_execz .LBB537_201
; %bb.200:
	ds_write_b32 v80, v74 offset:4128
	ds_write_b64 v80, v[32:33] offset:4136
.LBB537_201:
	s_or_b64 exec, exec, s[28:29]
	v_cmp_gt_u32_e64 s[26:27], 4, v0
	s_waitcnt lgkmcnt(0)
	s_barrier
	s_and_saveexec_b64 s[28:29], s[26:27]
	s_cbranch_execz .LBB537_207
; %bb.202:
	v_lshlrev_b32_e32 v81, 4, v0
	ds_read_b32 v82, v81 offset:4128
	ds_read_b64 v[76:77], v81 offset:4136
	v_and_b32_e32 v83, 3, v62
	v_cmp_ne_u32_e64 s[26:27], 0, v83
	s_waitcnt lgkmcnt(1)
	v_mov_b32_dpp v85, v82 row_shr:1 row_mask:0xf bank_mask:0xf
	s_waitcnt lgkmcnt(0)
	v_mov_b32_dpp v84, v76 row_shr:1 row_mask:0xf bank_mask:0xf
	v_mov_b32_dpp v86, v77 row_shr:1 row_mask:0xf bank_mask:0xf
	s_and_saveexec_b64 s[34:35], s[26:27]
; %bb.203:
	v_cmp_eq_u32_e64 s[26:27], 0, v82
	v_cndmask_b32_e64 v84, 0, v84, s[26:27]
	v_add_u32_e32 v85, v85, v82
	v_cndmask_b32_e64 v82, 0, v86, s[26:27]
	v_add_co_u32_e64 v76, s[26:27], v84, v76
	v_addc_co_u32_e64 v77, s[26:27], v82, v77, s[26:27]
	v_mov_b32_e32 v82, v85
; %bb.204:
	s_or_b64 exec, exec, s[34:35]
	s_nop 0
	v_mov_b32_dpp v85, v82 row_shr:2 row_mask:0xf bank_mask:0xf
	v_mov_b32_dpp v84, v76 row_shr:2 row_mask:0xf bank_mask:0xf
	;; [unrolled: 1-line block ×3, first 2 shown]
	v_cmp_lt_u32_e64 s[26:27], 1, v83
	s_and_saveexec_b64 s[34:35], s[26:27]
; %bb.205:
	v_cmp_eq_u32_e64 s[26:27], 0, v82
	v_cndmask_b32_e64 v84, 0, v84, s[26:27]
	v_add_u32_e32 v83, v85, v82
	v_cndmask_b32_e64 v82, 0, v86, s[26:27]
	v_add_co_u32_e64 v76, s[26:27], v84, v76
	v_addc_co_u32_e64 v77, s[26:27], v82, v77, s[26:27]
	v_mov_b32_e32 v82, v83
; %bb.206:
	s_or_b64 exec, exec, s[34:35]
	ds_write_b32 v81, v82 offset:4128
	ds_write_b64 v81, v[76:77] offset:4136
.LBB537_207:
	s_or_b64 exec, exec, s[28:29]
	v_cmp_lt_u32_e64 s[26:27], 63, v0
	v_mov_b32_e32 v112, 0
	v_mov_b32_e32 v81, 0
	v_pk_mov_b32 v[76:77], v[78:79], v[78:79] op_sel:[0,1]
	s_waitcnt lgkmcnt(0)
	s_barrier
	s_and_saveexec_b64 s[28:29], s[26:27]
	s_cbranch_execz .LBB537_209
; %bb.208:
	ds_read_b32 v81, v80 offset:4112
	ds_read_b64 v[76:77], v80 offset:4120
	s_waitcnt lgkmcnt(1)
	v_cmp_eq_u32_e64 s[26:27], 0, v81
	v_cndmask_b32_e64 v82, 0, v78, s[26:27]
	v_cndmask_b32_e64 v80, 0, v79, s[26:27]
	s_waitcnt lgkmcnt(0)
	v_add_co_u32_e64 v76, s[26:27], v82, v76
	v_addc_co_u32_e64 v77, s[26:27], v80, v77, s[26:27]
.LBB537_209:
	s_or_b64 exec, exec, s[28:29]
	v_cmp_eq_u32_e64 s[26:27], 0, v74
	v_cndmask_b32_e64 v82, 0, v76, s[26:27]
	v_add_u32_e32 v80, v81, v74
	v_cndmask_b32_e64 v74, 0, v77, s[26:27]
	v_add_co_u32_e64 v32, s[26:27], v82, v32
	v_addc_co_u32_e64 v33, s[26:27], v74, v33, s[26:27]
	v_add_u32_e32 v74, -1, v62
	v_and_b32_e32 v82, 64, v62
	v_cmp_lt_i32_e64 s[26:27], v74, v82
	v_cndmask_b32_e64 v74, v74, v62, s[26:27]
	v_lshlrev_b32_e32 v74, 2, v74
	ds_bpermute_b32 v32, v74, v32
	ds_bpermute_b32 v80, v74, v80
	;; [unrolled: 1-line block ×3, first 2 shown]
	v_cmp_eq_u32_e64 s[26:27], 0, v62
	ds_read_b32 v62, v112 offset:4176
	s_waitcnt lgkmcnt(3)
	v_cndmask_b32_e64 v104, v32, v76, s[26:27]
	s_waitcnt lgkmcnt(2)
	v_cndmask_b32_e64 v74, v80, v81, s[26:27]
	;; [unrolled: 2-line block ×3, first 2 shown]
	v_cndmask_b32_e64 v32, v104, v78, s[0:1]
	v_cmp_eq_u32_e64 s[26:27], 0, v68
	v_cndmask_b32_e64 v33, v105, v79, s[0:1]
	v_cndmask_b32_e64 v32, 0, v32, s[26:27]
	;; [unrolled: 1-line block ×3, first 2 shown]
	v_add_co_u32_e64 v80, s[26:27], v32, v50
	v_addc_co_u32_e64 v81, s[26:27], v33, v51, s[26:27]
	v_cndmask_b32_e64 v33, 0, v80, s[24:25]
	v_cndmask_b32_e64 v32, 0, v81, s[24:25]
	v_add_co_u32_e64 v82, s[24:25], v33, v54
	v_addc_co_u32_e64 v83, s[24:25], v32, v55, s[24:25]
	v_cndmask_b32_e64 v33, 0, v82, s[22:23]
	v_cndmask_b32_e64 v32, 0, v83, s[22:23]
	;; [unrolled: 4-line block ×12, first 2 shown]
	v_add_co_u32_e64 v106, s[2:3], v33, v30
	v_addc_co_u32_e64 v107, s[2:3], v32, v31, s[2:3]
	ds_read_b64 v[30:31], v112 offset:4184
	v_cndmask_b32_e32 v109, 0, v107, vcc
	v_cndmask_b32_e32 v108, 0, v106, vcc
	s_waitcnt lgkmcnt(1)
	v_cmp_eq_u32_e32 vcc, 0, v62
	v_cndmask_b32_e32 v33, 0, v78, vcc
	v_cndmask_b32_e32 v32, 0, v79, vcc
	s_waitcnt lgkmcnt(0)
	v_add_co_u32_e32 v76, vcc, v33, v30
	v_addc_co_u32_e32 v77, vcc, v32, v31, vcc
	s_and_saveexec_b64 s[2:3], s[0:1]
	s_cbranch_execz .LBB537_211
; %bb.210:
	v_mov_b32_e32 v74, 0
	v_mov_b32_e32 v30, 2
	v_pk_mov_b32 v[104:105], v[78:79], v[78:79] op_sel:[0,1]
	global_store_dword v74, v62, s[38:39] offset:1024
	global_store_dwordx2 v74, v[76:77], s[38:39] offset:1032
	s_waitcnt vmcnt(0)
	buffer_wbinvl1_vol
	global_store_byte v74, v30, s[40:41] offset:64
.LBB537_211:
	s_or_b64 exec, exec, s[2:3]
	v_mov_b32_e32 v78, 0
.LBB537_212:
	s_and_b64 s[2:3], s[30:31], exec
	s_cselect_b32 s3, 0, s51
	s_cselect_b32 s2, 0, s50
	s_cmp_eq_u64 s[2:3], 0
	v_pk_mov_b32 v[30:31], 0, 0
	s_waitcnt lgkmcnt(0)
	s_barrier
	s_cbranch_scc1 .LBB537_214
; %bb.213:
	v_mov_b32_e32 v30, 0
	global_load_dwordx2 v[30:31], v30, s[2:3]
.LBB537_214:
	s_waitcnt vmcnt(0)
	v_lshlrev_b64 v[32:33], 3, v[30:31]
	v_mov_b32_e32 v34, s59
	v_add_co_u32_e32 v50, vcc, s58, v32
	v_mov_b32_e32 v79, 0
	v_addc_co_u32_e32 v51, vcc, v34, v33, vcc
	v_lshlrev_b64 v[34:35], 3, v[78:79]
	v_add_co_u32_e32 v50, vcc, v50, v34
	v_addc_co_u32_e32 v51, vcc, v51, v35, vcc
	v_cmp_eq_u32_e32 vcc, 0, v68
	v_cndmask_b32_e64 v52, 1, 2, vcc
	v_cmp_eq_u32_e32 vcc, 0, v75
	v_cndmask_b32_e64 v53, 1, 2, vcc
	v_cmp_eq_u32_e32 vcc, 0, v72
	v_and_b32_e32 v52, v53, v52
	v_cndmask_b32_e64 v53, 1, 2, vcc
	v_cmp_eq_u32_e32 vcc, 0, v73
	v_add_u32_e32 v49, v74, v68
	v_and_b32_e32 v52, v52, v53
	v_cndmask_b32_e64 v53, 1, 2, vcc
	v_cmp_eq_u32_e32 vcc, 0, v70
	v_add_u32_e32 v48, v49, v75
	;; [unrolled: 4-line block ×12, first 2 shown]
	v_and_b32_e32 v52, v52, v53
	v_cndmask_b32_e64 v53, 1, 2, vcc
	s_movk_i32 s34, 0x100
	v_add_u32_e32 v37, v38, v110
	v_and_b32_e32 v52, v52, v53
	v_cmp_gt_u32_e32 vcc, s34, v62
	v_add_u32_e32 v36, v37, v69
	v_cmp_ne_u32_e64 s[30:31], 0, v68
	v_cmp_ne_u32_e64 s[28:29], 0, v75
	;; [unrolled: 1-line block ×15, first 2 shown]
	s_mov_b64 s[36:37], -1
	v_cmp_gt_i16_e64 s[34:35], 2, v52
	s_cbranch_vccz .LBB537_221
; %bb.215:
	s_and_saveexec_b64 s[36:37], s[34:35]
	s_cbranch_execz .LBB537_220
; %bb.216:
	v_cmp_ne_u16_e32 vcc, 1, v52
	s_mov_b64 s[38:39], 0
	s_and_saveexec_b64 s[34:35], vcc
	s_xor_b64 s[34:35], exec, s[34:35]
	s_cbranch_execnz .LBB537_286
; %bb.217:
	s_andn2_saveexec_b64 s[34:35], s[34:35]
	s_cbranch_execnz .LBB537_302
.LBB537_218:
	s_or_b64 exec, exec, s[34:35]
	s_and_b64 exec, exec, s[38:39]
	s_cbranch_execz .LBB537_220
.LBB537_219:
	v_sub_u32_e32 v54, v36, v78
	v_mov_b32_e32 v55, 0
	v_lshlrev_b64 v[54:55], 3, v[54:55]
	v_add_co_u32_e32 v54, vcc, v50, v54
	v_addc_co_u32_e32 v55, vcc, v51, v55, vcc
	global_store_dwordx2 v[54:55], v[58:59], off
.LBB537_220:
	s_or_b64 exec, exec, s[36:37]
	s_mov_b64 s[36:37], 0
.LBB537_221:
	s_and_b64 vcc, exec, s[36:37]
	s_cbranch_vccz .LBB537_231
; %bb.222:
	v_cmp_gt_i16_e32 vcc, 2, v52
	s_and_saveexec_b64 s[34:35], vcc
	s_cbranch_execz .LBB537_227
; %bb.223:
	v_cmp_ne_u16_e32 vcc, 1, v52
	s_mov_b64 s[38:39], 0
	s_and_saveexec_b64 s[36:37], vcc
	s_xor_b64 s[36:37], exec, s[36:37]
	s_cbranch_execnz .LBB537_303
; %bb.224:
	s_andn2_saveexec_b64 s[2:3], s[36:37]
	s_cbranch_execnz .LBB537_319
.LBB537_225:
	s_or_b64 exec, exec, s[2:3]
	s_and_b64 exec, exec, s[38:39]
	s_cbranch_execz .LBB537_227
.LBB537_226:
	v_sub_u32_e32 v2, v36, v78
	v_lshlrev_b32_e32 v2, 3, v2
	ds_write_b64 v2, v[58:59]
.LBB537_227:
	s_or_b64 exec, exec, s[34:35]
	v_cmp_lt_u32_e32 vcc, v0, v62
	s_waitcnt lgkmcnt(0)
	s_barrier
	s_and_saveexec_b64 s[2:3], vcc
	s_cbranch_execz .LBB537_230
; %bb.228:
	v_lshlrev_b32_e32 v4, 3, v0
	s_mov_b64 s[4:5], 0
	v_mov_b32_e32 v3, 0
	v_mov_b32_e32 v2, v0
.LBB537_229:                            ; =>This Inner Loop Header: Depth=1
	v_lshlrev_b64 v[6:7], 3, v[2:3]
	ds_read_b64 v[8:9], v4
	v_add_co_u32_e32 v6, vcc, v50, v6
	v_add_u32_e32 v2, 0x100, v2
	v_addc_co_u32_e32 v7, vcc, v51, v7, vcc
	v_cmp_ge_u32_e32 vcc, v2, v62
	v_add_u32_e32 v4, 0x800, v4
	s_or_b64 s[4:5], vcc, s[4:5]
	s_waitcnt lgkmcnt(0)
	global_store_dwordx2 v[6:7], v[8:9], off
	s_andn2_b64 exec, exec, s[4:5]
	s_cbranch_execnz .LBB537_229
.LBB537_230:
	s_or_b64 exec, exec, s[2:3]
.LBB537_231:
	s_cmpk_lg_i32 s33, 0xf00
	s_cselect_b64 s[2:3], -1, 0
	v_cndmask_b32_e64 v8, 0, 1, s[46:47]
	s_and_b64 s[2:3], s[2:3], s[44:45]
	v_sub_u32_e32 v4, v62, v8
	v_cndmask_b32_e64 v5, 0, 1, s[2:3]
	s_and_b64 s[0:1], s[0:1], s[46:47]
	v_add_co_u32_e32 v2, vcc, v108, v60
	v_add_u32_e32 v4, v4, v5
	v_cndmask_b32_e64 v5, v68, 0, s[0:1]
	s_mul_hi_u32 s0, s33, 0x88888889
	v_addc_co_u32_e32 v3, vcc, v109, v61, vcc
	s_lshr_b32 s0, s0, 3
	v_mad_i32_i24 v6, v0, -15, s33
	v_cmp_eq_u32_e32 vcc, s0, v0
	v_cmp_ne_u32_e64 s[0:1], 0, v6
	v_cndmask_b32_e64 v7, 1, v5, s[0:1]
	v_cmp_ne_u32_e64 s[0:1], 1, v6
	v_cndmask_b32_e64 v9, 1, v75, s[0:1]
	;; [unrolled: 2-line block ×15, first 2 shown]
	s_and_b64 vcc, vcc, s[44:45]
	v_cndmask_b32_e32 v22, v1, v6, vcc
	v_cndmask_b32_e32 v21, v69, v21, vcc
	;; [unrolled: 1-line block ×15, first 2 shown]
	v_mov_b32_e32 v1, s61
	v_add_co_u32_e32 v5, vcc, s60, v32
	v_addc_co_u32_e32 v6, vcc, v1, v33, vcc
	v_add_co_u32_e32 v1, vcc, v5, v34
	v_addc_co_u32_e32 v5, vcc, v6, v35, vcc
	v_lshlrev_b32_e32 v6, 3, v8
	v_add_co_u32_e32 v6, vcc, v6, v1
	v_addc_co_u32_e32 v7, vcc, 0, v5, vcc
	v_add_co_u32_e32 v6, vcc, -8, v6
	v_addc_co_u32_e32 v7, vcc, -1, v7, vcc
	v_cmp_eq_u32_e32 vcc, 0, v23
	v_cmp_ne_u32_e64 s[28:29], 0, v23
	v_cndmask_b32_e64 v23, 1, 2, vcc
	v_cmp_eq_u32_e32 vcc, 0, v9
	v_cmp_ne_u32_e64 s[26:27], 0, v9
	v_cndmask_b32_e64 v9, 1, 2, vcc
	v_cmp_eq_u32_e32 vcc, 0, v10
	v_and_b32_e32 v9, v9, v23
	v_cmp_ne_u32_e64 s[24:25], 0, v10
	v_cndmask_b32_e64 v10, 1, 2, vcc
	v_cmp_eq_u32_e32 vcc, 0, v11
	v_and_b32_e32 v9, v9, v10
	v_cndmask_b32_e64 v10, 1, 2, vcc
	v_cmp_eq_u32_e32 vcc, 0, v12
	v_and_b32_e32 v9, v9, v10
	;; [unrolled: 3-line block ×12, first 2 shown]
	v_cndmask_b32_e64 v10, 1, 2, vcc
	s_movk_i32 s30, 0x100
	v_and_b32_e32 v9, v9, v10
	v_cmp_gt_u32_e32 vcc, s30, v4
	v_add_u32_e32 v8, v78, v8
	v_cmp_ne_u32_e64 s[22:23], 0, v11
	v_cmp_ne_u32_e64 s[20:21], 0, v12
	;; [unrolled: 1-line block ×12, first 2 shown]
	s_mov_b64 s[34:35], -1
	v_cmp_gt_i16_e64 s[30:31], 2, v9
	s_barrier
	s_cbranch_vccz .LBB537_238
; %bb.232:
	s_and_saveexec_b64 s[34:35], s[30:31]
	s_cbranch_execz .LBB537_237
; %bb.233:
	v_cmp_ne_u16_e32 vcc, 1, v9
	s_mov_b64 s[36:37], 0
	s_and_saveexec_b64 s[30:31], vcc
	s_xor_b64 s[30:31], exec, s[30:31]
	s_cbranch_execnz .LBB537_320
; %bb.234:
	s_andn2_saveexec_b64 s[30:31], s[30:31]
	s_cbranch_execnz .LBB537_336
.LBB537_235:
	s_or_b64 exec, exec, s[30:31]
	s_and_b64 exec, exec, s[36:37]
	s_cbranch_execz .LBB537_237
.LBB537_236:
	v_sub_u32_e32 v10, v36, v8
	v_mov_b32_e32 v11, 0
	v_lshlrev_b64 v[10:11], 3, v[10:11]
	v_add_co_u32_e32 v10, vcc, v6, v10
	v_addc_co_u32_e32 v11, vcc, v7, v11, vcc
	global_store_dwordx2 v[10:11], v[2:3], off
.LBB537_237:
	s_or_b64 exec, exec, s[34:35]
	s_mov_b64 s[34:35], 0
.LBB537_238:
	s_and_b64 vcc, exec, s[34:35]
	s_cbranch_vccz .LBB537_248
; %bb.239:
	v_cmp_gt_i16_e32 vcc, 2, v9
	s_and_saveexec_b64 s[30:31], vcc
	s_cbranch_execz .LBB537_244
; %bb.240:
	v_cmp_ne_u16_e32 vcc, 1, v9
	s_mov_b64 s[36:37], 0
	s_and_saveexec_b64 s[34:35], vcc
	s_xor_b64 s[34:35], exec, s[34:35]
	s_cbranch_execnz .LBB537_337
; %bb.241:
	s_andn2_saveexec_b64 s[0:1], s[34:35]
	s_cbranch_execnz .LBB537_353
.LBB537_242:
	s_or_b64 exec, exec, s[0:1]
	s_and_b64 exec, exec, s[36:37]
	s_cbranch_execz .LBB537_244
.LBB537_243:
	v_sub_u32_e32 v8, v36, v8
	v_lshlrev_b32_e32 v8, 3, v8
	ds_write_b64 v8, v[2:3]
.LBB537_244:
	s_or_b64 exec, exec, s[30:31]
	v_cmp_lt_u32_e32 vcc, v0, v4
	s_waitcnt lgkmcnt(0)
	s_barrier
	s_and_saveexec_b64 s[0:1], vcc
	s_cbranch_execz .LBB537_247
; %bb.245:
	v_lshlrev_b32_e32 v8, 3, v0
	s_mov_b64 s[2:3], 0
	v_mov_b32_e32 v3, 0
	v_mov_b32_e32 v2, v0
.LBB537_246:                            ; =>This Inner Loop Header: Depth=1
	v_lshlrev_b64 v[10:11], 3, v[2:3]
	ds_read_b64 v[12:13], v8
	v_add_co_u32_e32 v10, vcc, v6, v10
	v_add_u32_e32 v2, 0x100, v2
	v_addc_co_u32_e32 v11, vcc, v7, v11, vcc
	v_cmp_ge_u32_e32 vcc, v2, v4
	v_add_u32_e32 v8, 0x800, v8
	s_or_b64 s[2:3], vcc, s[2:3]
	s_waitcnt lgkmcnt(0)
	global_store_dwordx2 v[10:11], v[12:13], off
	s_andn2_b64 exec, exec, s[2:3]
	s_cbranch_execnz .LBB537_246
.LBB537_247:
	s_or_b64 exec, exec, s[0:1]
.LBB537_248:
	s_movk_i32 s0, 0xff
	v_cmp_eq_u32_e32 vcc, s0, v0
	s_and_b64 s[0:1], vcc, s[44:45]
	s_and_saveexec_b64 s[2:3], s[0:1]
	s_cbranch_execz .LBB537_251
; %bb.249:
	v_add_co_u32_e32 v0, vcc, v62, v78
	v_addc_co_u32_e64 v3, s[0:1], 0, 0, vcc
	v_add_co_u32_e32 v2, vcc, v0, v30
	v_mov_b32_e32 v63, 0
	v_addc_co_u32_e32 v3, vcc, v3, v31, vcc
	s_cmpk_lg_i32 s33, 0xf00
	global_store_dwordx2 v63, v[2:3], s[62:63]
	s_cbranch_scc1 .LBB537_251
; %bb.250:
	v_lshlrev_b64 v[2:3], 3, v[62:63]
	v_add_co_u32_e32 v0, vcc, v1, v2
	v_addc_co_u32_e32 v1, vcc, v5, v3, vcc
	global_store_dwordx2 v[0:1], v[76:77], off offset:-8
.LBB537_251:
	s_endpgm
.LBB537_252:
                                        ; implicit-def: $sgpr8_sgpr9
                                        ; implicit-def: $vgpr1
                                        ; implicit-def: $vgpr79
                                        ; implicit-def: $vgpr110
                                        ; implicit-def: $vgpr63
                                        ; implicit-def: $vgpr111
                                        ; implicit-def: $vgpr65
                                        ; implicit-def: $vgpr64
                                        ; implicit-def: $vgpr67
                                        ; implicit-def: $vgpr66
                                        ; implicit-def: $vgpr71
                                        ; implicit-def: $vgpr70
                                        ; implicit-def: $vgpr73
                                        ; implicit-def: $vgpr72
                                        ; implicit-def: $vgpr75
	s_cbranch_execz .LBB537_114
.LBB537_253:
	v_mov_b32_e32 v69, 0
	v_lshlrev_b32_e32 v78, 3, v0
	v_cmp_gt_u64_e32 vcc, s[6:7], v[68:69]
	v_mov_b32_e32 v1, 0
	ds_write_b64 v78, v[58:59]
	s_and_saveexec_b64 s[8:9], vcc
; %bb.254:
	s_mov_b32 s10, 0x66666667
	v_mul_hi_i32 v1, v4, s10
	v_lshrrev_b32_e32 v62, 31, v1
	v_ashrrev_i32_e32 v1, 2, v1
	v_add_u32_e32 v1, v1, v62
	v_mul_hi_i32 v62, v58, s10
	v_lshrrev_b32_e32 v63, 31, v62
	v_ashrrev_i32_e32 v62, 2, v62
	v_add_u32_e32 v62, v62, v63
	v_cmp_ne_u32_e32 vcc, v1, v62
	v_cndmask_b32_e64 v1, 0, 1, vcc
; %bb.255:
	s_or_b64 exec, exec, s[8:9]
	v_add_u32_e32 v68, 13, v76
	v_cmp_gt_u64_e32 vcc, s[6:7], v[68:69]
	s_and_saveexec_b64 s[8:9], vcc
; %bb.256:
	s_mov_b32 s10, 0x66666667
	v_mul_hi_i32 v62, v2, s10
	v_lshrrev_b32_e32 v63, 31, v62
	v_ashrrev_i32_e32 v62, 2, v62
	v_add_u32_e32 v62, v62, v63
	v_mul_hi_i32 v63, v4, s10
	v_lshrrev_b32_e32 v64, 31, v63
	v_ashrrev_i32_e32 v63, 2, v63
	v_add_u32_e32 v63, v63, v64
	v_cmp_ne_u32_e32 vcc, v62, v63
	v_cndmask_b32_e64 v69, 0, 1, vcc
; %bb.257:
	s_or_b64 exec, exec, s[8:9]
	v_add_u32_e32 v62, 12, v76
	v_mov_b32_e32 v63, 0
	v_cmp_gt_u64_e32 vcc, s[6:7], v[62:63]
	v_mov_b32_e32 v110, 0
	s_and_saveexec_b64 s[8:9], vcc
; %bb.258:
	s_mov_b32 s10, 0x66666667
	v_mul_hi_i32 v62, v8, s10
	v_lshrrev_b32_e32 v64, 31, v62
	v_ashrrev_i32_e32 v62, 2, v62
	v_add_u32_e32 v62, v62, v64
	v_mul_hi_i32 v64, v2, s10
	v_lshrrev_b32_e32 v65, 31, v64
	v_ashrrev_i32_e32 v64, 2, v64
	v_add_u32_e32 v64, v64, v65
	v_cmp_ne_u32_e32 vcc, v62, v64
	v_cndmask_b32_e64 v110, 0, 1, vcc
; %bb.259:
	s_or_b64 exec, exec, s[8:9]
	v_add_u32_e32 v62, 11, v76
	v_cmp_gt_u64_e32 vcc, s[6:7], v[62:63]
	s_and_saveexec_b64 s[8:9], vcc
; %bb.260:
	s_mov_b32 s10, 0x66666667
	v_mul_hi_i32 v62, v6, s10
	v_lshrrev_b32_e32 v63, 31, v62
	v_ashrrev_i32_e32 v62, 2, v62
	v_add_u32_e32 v62, v62, v63
	v_mul_hi_i32 v63, v8, s10
	v_lshrrev_b32_e32 v64, 31, v63
	v_ashrrev_i32_e32 v63, 2, v63
	v_add_u32_e32 v63, v63, v64
	v_cmp_ne_u32_e32 vcc, v62, v63
	v_cndmask_b32_e64 v63, 0, 1, vcc
; %bb.261:
	s_or_b64 exec, exec, s[8:9]
	v_add_u32_e32 v64, 10, v76
	v_mov_b32_e32 v65, 0
	v_cmp_gt_u64_e32 vcc, s[6:7], v[64:65]
	v_mov_b32_e32 v111, 0
	;; [unrolled: 36-line block ×6, first 2 shown]
	s_and_saveexec_b64 s[8:9], vcc
; %bb.278:
	s_mov_b32 s10, 0x66666667
	v_mul_hi_i32 v62, v28, s10
	v_lshrrev_b32_e32 v68, 31, v62
	v_ashrrev_i32_e32 v62, 2, v62
	v_add_u32_e32 v62, v62, v68
	v_mul_hi_i32 v68, v22, s10
	v_lshrrev_b32_e32 v72, 31, v68
	v_ashrrev_i32_e32 v68, 2, v68
	v_add_u32_e32 v68, v68, v72
	v_cmp_ne_u32_e32 vcc, v62, v68
	v_cndmask_b32_e64 v72, 0, 1, vcc
; %bb.279:
	s_or_b64 exec, exec, s[8:9]
	v_add_u32_e32 v74, 1, v76
	v_cmp_gt_u64_e32 vcc, s[6:7], v[74:75]
	s_and_saveexec_b64 s[8:9], vcc
; %bb.280:
	s_mov_b32 s10, 0x66666667
	v_mul_hi_i32 v62, v26, s10
	v_lshrrev_b32_e32 v68, 31, v62
	v_ashrrev_i32_e32 v62, 2, v62
	v_add_u32_e32 v62, v62, v68
	v_mul_hi_i32 v68, v28, s10
	v_lshrrev_b32_e32 v74, 31, v68
	v_ashrrev_i32_e32 v68, 2, v68
	v_add_u32_e32 v68, v68, v74
	v_cmp_ne_u32_e32 vcc, v62, v68
	v_cndmask_b32_e64 v75, 0, 1, vcc
; %bb.281:
	s_or_b64 exec, exec, s[8:9]
	s_waitcnt lgkmcnt(0)
	s_barrier
	s_waitcnt lgkmcnt(0)
                                        ; implicit-def: $sgpr8_sgpr9
	s_and_saveexec_b64 s[10:11], s[2:3]
	s_cbranch_execz .LBB537_285
; %bb.282:
	v_mov_b32_e32 v77, 0
	v_cmp_gt_u64_e32 vcc, s[6:7], v[76:77]
	s_mov_b64 s[6:7], 0
	s_and_saveexec_b64 s[2:3], vcc
	s_cbranch_execz .LBB537_284
; %bb.283:
	v_add_u32_e32 v62, -8, v78
	ds_read_b32 v62, v62
	s_mov_b32 s6, 0x66666667
	v_mul_hi_i32 v68, v26, s6
	v_lshrrev_b32_e32 v74, 31, v68
	v_ashrrev_i32_e32 v68, 2, v68
	s_waitcnt lgkmcnt(0)
	v_mul_hi_i32 v62, v62, s6
	v_lshrrev_b32_e32 v76, 31, v62
	v_ashrrev_i32_e32 v62, 2, v62
	v_add_u32_e32 v62, v62, v76
	v_add_u32_e32 v68, v68, v74
	v_cmp_ne_u32_e32 vcc, v62, v68
	s_and_b64 s[6:7], vcc, exec
.LBB537_284:
	s_or_b64 exec, exec, s[2:3]
	s_and_b64 s[8:9], s[6:7], exec
	s_or_b64 s[4:5], s[4:5], exec
.LBB537_285:
	s_or_b64 exec, exec, s[10:11]
	s_mov_b32 s10, 1
	v_mov_b32_e32 v79, v69
	v_mov_b32_e32 v68, s10
	s_and_saveexec_b64 s[2:3], s[4:5]
	s_cbranch_execnz .LBB537_116
	s_branch .LBB537_117
.LBB537_286:
	s_and_saveexec_b64 s[38:39], s[30:31]
	s_cbranch_execnz .LBB537_354
; %bb.287:
	s_or_b64 exec, exec, s[38:39]
	s_and_saveexec_b64 s[38:39], s[28:29]
	s_cbranch_execnz .LBB537_355
.LBB537_288:
	s_or_b64 exec, exec, s[38:39]
	s_and_saveexec_b64 s[38:39], s[26:27]
	s_cbranch_execnz .LBB537_356
.LBB537_289:
	s_or_b64 exec, exec, s[38:39]
	s_and_saveexec_b64 s[38:39], s[24:25]
	s_cbranch_execnz .LBB537_357
.LBB537_290:
	s_or_b64 exec, exec, s[38:39]
	s_and_saveexec_b64 s[38:39], s[22:23]
	s_cbranch_execnz .LBB537_358
.LBB537_291:
	s_or_b64 exec, exec, s[38:39]
	s_and_saveexec_b64 s[38:39], s[20:21]
	s_cbranch_execnz .LBB537_359
.LBB537_292:
	s_or_b64 exec, exec, s[38:39]
	s_and_saveexec_b64 s[38:39], s[18:19]
	s_cbranch_execnz .LBB537_360
.LBB537_293:
	s_or_b64 exec, exec, s[38:39]
	s_and_saveexec_b64 s[38:39], s[16:17]
	s_cbranch_execnz .LBB537_361
.LBB537_294:
	s_or_b64 exec, exec, s[38:39]
	s_and_saveexec_b64 s[38:39], s[14:15]
	s_cbranch_execnz .LBB537_362
.LBB537_295:
	s_or_b64 exec, exec, s[38:39]
	s_and_saveexec_b64 s[38:39], s[12:13]
	s_cbranch_execnz .LBB537_363
.LBB537_296:
	s_or_b64 exec, exec, s[38:39]
	s_and_saveexec_b64 s[38:39], s[10:11]
	s_cbranch_execnz .LBB537_364
.LBB537_297:
	s_or_b64 exec, exec, s[38:39]
	s_and_saveexec_b64 s[38:39], s[8:9]
	s_cbranch_execnz .LBB537_365
.LBB537_298:
	s_or_b64 exec, exec, s[38:39]
	s_and_saveexec_b64 s[38:39], s[6:7]
	s_cbranch_execnz .LBB537_366
.LBB537_299:
	s_or_b64 exec, exec, s[38:39]
	s_and_saveexec_b64 s[38:39], s[4:5]
	s_cbranch_execz .LBB537_301
.LBB537_300:
	v_sub_u32_e32 v54, v37, v78
	v_mov_b32_e32 v55, 0
	v_lshlrev_b64 v[54:55], 3, v[54:55]
	v_add_co_u32_e32 v54, vcc, v50, v54
	v_addc_co_u32_e32 v55, vcc, v51, v55, vcc
	global_store_dwordx2 v[54:55], v[4:5], off
.LBB537_301:
	s_or_b64 exec, exec, s[38:39]
	s_and_b64 s[38:39], s[2:3], exec
	s_andn2_saveexec_b64 s[34:35], s[34:35]
	s_cbranch_execz .LBB537_218
.LBB537_302:
	v_sub_u32_e32 v54, v74, v78
	v_mov_b32_e32 v55, 0
	v_lshlrev_b64 v[56:57], 3, v[54:55]
	v_add_co_u32_e32 v56, vcc, v50, v56
	v_addc_co_u32_e32 v57, vcc, v51, v57, vcc
	v_sub_u32_e32 v54, v49, v78
	global_store_dwordx2 v[56:57], v[26:27], off
	v_lshlrev_b64 v[56:57], 3, v[54:55]
	v_add_co_u32_e32 v56, vcc, v50, v56
	v_addc_co_u32_e32 v57, vcc, v51, v57, vcc
	v_sub_u32_e32 v54, v48, v78
	global_store_dwordx2 v[56:57], v[28:29], off
	;; [unrolled: 5-line block ×12, first 2 shown]
	v_lshlrev_b64 v[56:57], 3, v[54:55]
	v_add_co_u32_e32 v56, vcc, v50, v56
	v_sub_u32_e32 v54, v37, v78
	v_addc_co_u32_e32 v57, vcc, v51, v57, vcc
	v_lshlrev_b64 v[54:55], 3, v[54:55]
	v_add_co_u32_e32 v54, vcc, v50, v54
	v_addc_co_u32_e32 v55, vcc, v51, v55, vcc
	s_or_b64 s[38:39], s[38:39], exec
	global_store_dwordx2 v[56:57], v[2:3], off
	global_store_dwordx2 v[54:55], v[4:5], off
	s_or_b64 exec, exec, s[34:35]
	s_and_b64 exec, exec, s[38:39]
	s_cbranch_execnz .LBB537_219
	s_branch .LBB537_220
.LBB537_303:
	s_and_saveexec_b64 s[38:39], s[30:31]
	s_cbranch_execnz .LBB537_367
; %bb.304:
	s_or_b64 exec, exec, s[38:39]
	s_and_saveexec_b64 s[30:31], s[28:29]
	s_cbranch_execnz .LBB537_368
.LBB537_305:
	s_or_b64 exec, exec, s[30:31]
	s_and_saveexec_b64 s[28:29], s[26:27]
	s_cbranch_execnz .LBB537_369
.LBB537_306:
	s_or_b64 exec, exec, s[28:29]
	s_and_saveexec_b64 s[26:27], s[24:25]
	s_cbranch_execnz .LBB537_370
.LBB537_307:
	s_or_b64 exec, exec, s[26:27]
	s_and_saveexec_b64 s[24:25], s[22:23]
	s_cbranch_execnz .LBB537_371
.LBB537_308:
	s_or_b64 exec, exec, s[24:25]
	s_and_saveexec_b64 s[22:23], s[20:21]
	s_cbranch_execnz .LBB537_372
.LBB537_309:
	s_or_b64 exec, exec, s[22:23]
	s_and_saveexec_b64 s[20:21], s[18:19]
	s_cbranch_execnz .LBB537_373
.LBB537_310:
	s_or_b64 exec, exec, s[20:21]
	s_and_saveexec_b64 s[18:19], s[16:17]
	s_cbranch_execnz .LBB537_374
.LBB537_311:
	s_or_b64 exec, exec, s[18:19]
	s_and_saveexec_b64 s[16:17], s[14:15]
	s_cbranch_execnz .LBB537_375
.LBB537_312:
	s_or_b64 exec, exec, s[16:17]
	s_and_saveexec_b64 s[14:15], s[12:13]
	s_cbranch_execnz .LBB537_376
.LBB537_313:
	s_or_b64 exec, exec, s[14:15]
	s_and_saveexec_b64 s[12:13], s[10:11]
	s_cbranch_execnz .LBB537_377
.LBB537_314:
	s_or_b64 exec, exec, s[12:13]
	s_and_saveexec_b64 s[10:11], s[8:9]
	s_cbranch_execnz .LBB537_378
.LBB537_315:
	s_or_b64 exec, exec, s[10:11]
	s_and_saveexec_b64 s[8:9], s[6:7]
	s_cbranch_execnz .LBB537_379
.LBB537_316:
	s_or_b64 exec, exec, s[8:9]
	s_and_saveexec_b64 s[6:7], s[4:5]
	s_cbranch_execz .LBB537_318
.LBB537_317:
	v_sub_u32_e32 v2, v37, v78
	v_lshlrev_b32_e32 v2, 3, v2
	ds_write_b64 v2, v[4:5]
.LBB537_318:
	s_or_b64 exec, exec, s[6:7]
	s_and_b64 s[38:39], s[2:3], exec
                                        ; implicit-def: $vgpr26_vgpr27_vgpr28_vgpr29
                                        ; implicit-def: $vgpr22_vgpr23_vgpr24_vgpr25
                                        ; implicit-def: $vgpr18_vgpr19_vgpr20_vgpr21
                                        ; implicit-def: $vgpr14_vgpr15_vgpr16_vgpr17
                                        ; implicit-def: $vgpr10_vgpr11_vgpr12_vgpr13
                                        ; implicit-def: $vgpr6_vgpr7_vgpr8_vgpr9
                                        ; implicit-def: $vgpr2_vgpr3_vgpr4_vgpr5
	s_andn2_saveexec_b64 s[2:3], s[36:37]
	s_cbranch_execz .LBB537_225
.LBB537_319:
	v_sub_u32_e32 v52, v74, v78
	v_lshlrev_b32_e32 v52, 3, v52
	ds_write_b64 v52, v[26:27]
	v_sub_u32_e32 v26, v49, v78
	v_lshlrev_b32_e32 v26, 3, v26
	ds_write_b64 v26, v[28:29]
	;; [unrolled: 3-line block ×13, first 2 shown]
	v_sub_u32_e32 v2, v37, v78
	v_lshlrev_b32_e32 v2, 3, v2
	s_or_b64 s[38:39], s[38:39], exec
	ds_write_b64 v2, v[4:5]
	s_or_b64 exec, exec, s[2:3]
	s_and_b64 exec, exec, s[38:39]
	s_cbranch_execnz .LBB537_226
	s_branch .LBB537_227
.LBB537_320:
	s_and_saveexec_b64 s[36:37], s[28:29]
	s_cbranch_execnz .LBB537_380
; %bb.321:
	s_or_b64 exec, exec, s[36:37]
	s_and_saveexec_b64 s[36:37], s[26:27]
	s_cbranch_execnz .LBB537_381
.LBB537_322:
	s_or_b64 exec, exec, s[36:37]
	s_and_saveexec_b64 s[36:37], s[24:25]
	s_cbranch_execnz .LBB537_382
.LBB537_323:
	s_or_b64 exec, exec, s[36:37]
	s_and_saveexec_b64 s[36:37], s[22:23]
	s_cbranch_execnz .LBB537_383
.LBB537_324:
	s_or_b64 exec, exec, s[36:37]
	s_and_saveexec_b64 s[36:37], s[20:21]
	s_cbranch_execnz .LBB537_384
.LBB537_325:
	s_or_b64 exec, exec, s[36:37]
	s_and_saveexec_b64 s[36:37], s[18:19]
	s_cbranch_execnz .LBB537_385
.LBB537_326:
	s_or_b64 exec, exec, s[36:37]
	s_and_saveexec_b64 s[36:37], s[16:17]
	s_cbranch_execnz .LBB537_386
.LBB537_327:
	s_or_b64 exec, exec, s[36:37]
	s_and_saveexec_b64 s[36:37], s[14:15]
	s_cbranch_execnz .LBB537_387
.LBB537_328:
	s_or_b64 exec, exec, s[36:37]
	s_and_saveexec_b64 s[36:37], s[12:13]
	s_cbranch_execnz .LBB537_388
.LBB537_329:
	s_or_b64 exec, exec, s[36:37]
	s_and_saveexec_b64 s[36:37], s[10:11]
	s_cbranch_execnz .LBB537_389
.LBB537_330:
	s_or_b64 exec, exec, s[36:37]
	s_and_saveexec_b64 s[36:37], s[8:9]
	s_cbranch_execnz .LBB537_390
.LBB537_331:
	s_or_b64 exec, exec, s[36:37]
	s_and_saveexec_b64 s[36:37], s[6:7]
	s_cbranch_execnz .LBB537_391
.LBB537_332:
	s_or_b64 exec, exec, s[36:37]
	s_and_saveexec_b64 s[36:37], s[4:5]
	s_cbranch_execnz .LBB537_392
.LBB537_333:
	s_or_b64 exec, exec, s[36:37]
	s_and_saveexec_b64 s[36:37], s[2:3]
	s_cbranch_execz .LBB537_335
.LBB537_334:
	v_sub_u32_e32 v10, v37, v8
	v_mov_b32_e32 v11, 0
	v_lshlrev_b64 v[10:11], 3, v[10:11]
	v_add_co_u32_e32 v10, vcc, v6, v10
	v_addc_co_u32_e32 v11, vcc, v7, v11, vcc
	global_store_dwordx2 v[10:11], v[106:107], off
.LBB537_335:
	s_or_b64 exec, exec, s[36:37]
	s_and_b64 s[36:37], s[0:1], exec
	s_andn2_saveexec_b64 s[30:31], s[30:31]
	s_cbranch_execz .LBB537_235
.LBB537_336:
	v_sub_u32_e32 v10, v74, v8
	v_mov_b32_e32 v11, 0
	v_lshlrev_b64 v[12:13], 3, v[10:11]
	v_add_co_u32_e32 v12, vcc, v6, v12
	v_addc_co_u32_e32 v13, vcc, v7, v13, vcc
	v_sub_u32_e32 v10, v49, v8
	global_store_dwordx2 v[12:13], v[104:105], off
	v_lshlrev_b64 v[12:13], 3, v[10:11]
	v_add_co_u32_e32 v12, vcc, v6, v12
	v_addc_co_u32_e32 v13, vcc, v7, v13, vcc
	v_sub_u32_e32 v10, v48, v8
	global_store_dwordx2 v[12:13], v[80:81], off
	;; [unrolled: 5-line block ×12, first 2 shown]
	v_lshlrev_b64 v[12:13], 3, v[10:11]
	v_add_co_u32_e32 v12, vcc, v6, v12
	v_sub_u32_e32 v10, v37, v8
	v_addc_co_u32_e32 v13, vcc, v7, v13, vcc
	v_lshlrev_b64 v[10:11], 3, v[10:11]
	v_add_co_u32_e32 v10, vcc, v6, v10
	v_addc_co_u32_e32 v11, vcc, v7, v11, vcc
	s_or_b64 s[36:37], s[36:37], exec
	global_store_dwordx2 v[12:13], v[102:103], off
	global_store_dwordx2 v[10:11], v[106:107], off
	s_or_b64 exec, exec, s[30:31]
	s_and_b64 exec, exec, s[36:37]
	s_cbranch_execnz .LBB537_236
	s_branch .LBB537_237
.LBB537_337:
	s_and_saveexec_b64 s[36:37], s[28:29]
	s_cbranch_execnz .LBB537_393
; %bb.338:
	s_or_b64 exec, exec, s[36:37]
	s_and_saveexec_b64 s[28:29], s[26:27]
	s_cbranch_execnz .LBB537_394
.LBB537_339:
	s_or_b64 exec, exec, s[28:29]
	s_and_saveexec_b64 s[26:27], s[24:25]
	s_cbranch_execnz .LBB537_395
.LBB537_340:
	s_or_b64 exec, exec, s[26:27]
	s_and_saveexec_b64 s[24:25], s[22:23]
	s_cbranch_execnz .LBB537_396
.LBB537_341:
	s_or_b64 exec, exec, s[24:25]
	s_and_saveexec_b64 s[22:23], s[20:21]
	s_cbranch_execnz .LBB537_397
.LBB537_342:
	s_or_b64 exec, exec, s[22:23]
	s_and_saveexec_b64 s[20:21], s[18:19]
	s_cbranch_execnz .LBB537_398
.LBB537_343:
	s_or_b64 exec, exec, s[20:21]
	s_and_saveexec_b64 s[18:19], s[16:17]
	s_cbranch_execnz .LBB537_399
.LBB537_344:
	s_or_b64 exec, exec, s[18:19]
	s_and_saveexec_b64 s[16:17], s[14:15]
	s_cbranch_execnz .LBB537_400
.LBB537_345:
	s_or_b64 exec, exec, s[16:17]
	s_and_saveexec_b64 s[14:15], s[12:13]
	s_cbranch_execnz .LBB537_401
.LBB537_346:
	s_or_b64 exec, exec, s[14:15]
	s_and_saveexec_b64 s[12:13], s[10:11]
	s_cbranch_execnz .LBB537_402
.LBB537_347:
	s_or_b64 exec, exec, s[12:13]
	s_and_saveexec_b64 s[10:11], s[8:9]
	s_cbranch_execnz .LBB537_403
.LBB537_348:
	s_or_b64 exec, exec, s[10:11]
	s_and_saveexec_b64 s[8:9], s[6:7]
	s_cbranch_execnz .LBB537_404
.LBB537_349:
	s_or_b64 exec, exec, s[8:9]
	s_and_saveexec_b64 s[6:7], s[4:5]
	s_cbranch_execnz .LBB537_405
.LBB537_350:
	s_or_b64 exec, exec, s[6:7]
	s_and_saveexec_b64 s[4:5], s[2:3]
	s_cbranch_execz .LBB537_352
.LBB537_351:
	v_sub_u32_e32 v9, v37, v8
	v_lshlrev_b32_e32 v9, 3, v9
	ds_write_b64 v9, v[106:107]
.LBB537_352:
	s_or_b64 exec, exec, s[4:5]
	s_and_b64 s[36:37], s[0:1], exec
                                        ; implicit-def: $vgpr104_vgpr105
                                        ; implicit-def: $vgpr80_vgpr81
                                        ; implicit-def: $vgpr82_vgpr83
                                        ; implicit-def: $vgpr84_vgpr85
                                        ; implicit-def: $vgpr86_vgpr87
                                        ; implicit-def: $vgpr88_vgpr89
                                        ; implicit-def: $vgpr90_vgpr91
                                        ; implicit-def: $vgpr92_vgpr93
                                        ; implicit-def: $vgpr94_vgpr95
                                        ; implicit-def: $vgpr96_vgpr97
                                        ; implicit-def: $vgpr98_vgpr99
                                        ; implicit-def: $vgpr100_vgpr101
                                        ; implicit-def: $vgpr102_vgpr103
                                        ; implicit-def: $vgpr106_vgpr107
                                        ; implicit-def: $vgpr74
                                        ; implicit-def: $vgpr49
                                        ; implicit-def: $vgpr48
                                        ; implicit-def: $vgpr47
                                        ; implicit-def: $vgpr46
                                        ; implicit-def: $vgpr45
                                        ; implicit-def: $vgpr44
                                        ; implicit-def: $vgpr43
                                        ; implicit-def: $vgpr42
                                        ; implicit-def: $vgpr41
                                        ; implicit-def: $vgpr40
                                        ; implicit-def: $vgpr39
                                        ; implicit-def: $vgpr38
                                        ; implicit-def: $vgpr37
	s_andn2_saveexec_b64 s[0:1], s[34:35]
	s_cbranch_execz .LBB537_242
.LBB537_353:
	v_sub_u32_e32 v9, v74, v8
	v_lshlrev_b32_e32 v9, 3, v9
	ds_write_b64 v9, v[104:105]
	v_sub_u32_e32 v9, v49, v8
	v_lshlrev_b32_e32 v9, 3, v9
	ds_write_b64 v9, v[80:81]
	;; [unrolled: 3-line block ×13, first 2 shown]
	v_sub_u32_e32 v9, v37, v8
	v_lshlrev_b32_e32 v9, 3, v9
	s_or_b64 s[36:37], s[36:37], exec
	ds_write_b64 v9, v[106:107]
	s_or_b64 exec, exec, s[0:1]
	s_and_b64 exec, exec, s[36:37]
	s_cbranch_execnz .LBB537_243
	s_branch .LBB537_244
.LBB537_354:
	v_sub_u32_e32 v54, v74, v78
	v_mov_b32_e32 v55, 0
	v_lshlrev_b64 v[54:55], 3, v[54:55]
	v_add_co_u32_e32 v54, vcc, v50, v54
	v_addc_co_u32_e32 v55, vcc, v51, v55, vcc
	global_store_dwordx2 v[54:55], v[26:27], off
	s_or_b64 exec, exec, s[38:39]
	s_and_saveexec_b64 s[38:39], s[28:29]
	s_cbranch_execz .LBB537_288
.LBB537_355:
	v_sub_u32_e32 v54, v49, v78
	v_mov_b32_e32 v55, 0
	v_lshlrev_b64 v[54:55], 3, v[54:55]
	v_add_co_u32_e32 v54, vcc, v50, v54
	v_addc_co_u32_e32 v55, vcc, v51, v55, vcc
	global_store_dwordx2 v[54:55], v[28:29], off
	s_or_b64 exec, exec, s[38:39]
	s_and_saveexec_b64 s[38:39], s[26:27]
	s_cbranch_execz .LBB537_289
.LBB537_356:
	v_sub_u32_e32 v54, v48, v78
	v_mov_b32_e32 v55, 0
	v_lshlrev_b64 v[54:55], 3, v[54:55]
	v_add_co_u32_e32 v54, vcc, v50, v54
	v_addc_co_u32_e32 v55, vcc, v51, v55, vcc
	global_store_dwordx2 v[54:55], v[22:23], off
	s_or_b64 exec, exec, s[38:39]
	s_and_saveexec_b64 s[38:39], s[24:25]
	s_cbranch_execz .LBB537_290
.LBB537_357:
	v_sub_u32_e32 v54, v47, v78
	v_mov_b32_e32 v55, 0
	v_lshlrev_b64 v[54:55], 3, v[54:55]
	v_add_co_u32_e32 v54, vcc, v50, v54
	v_addc_co_u32_e32 v55, vcc, v51, v55, vcc
	global_store_dwordx2 v[54:55], v[24:25], off
	s_or_b64 exec, exec, s[38:39]
	s_and_saveexec_b64 s[38:39], s[22:23]
	s_cbranch_execz .LBB537_291
.LBB537_358:
	v_sub_u32_e32 v54, v46, v78
	v_mov_b32_e32 v55, 0
	v_lshlrev_b64 v[54:55], 3, v[54:55]
	v_add_co_u32_e32 v54, vcc, v50, v54
	v_addc_co_u32_e32 v55, vcc, v51, v55, vcc
	global_store_dwordx2 v[54:55], v[18:19], off
	s_or_b64 exec, exec, s[38:39]
	s_and_saveexec_b64 s[38:39], s[20:21]
	s_cbranch_execz .LBB537_292
.LBB537_359:
	v_sub_u32_e32 v54, v45, v78
	v_mov_b32_e32 v55, 0
	v_lshlrev_b64 v[54:55], 3, v[54:55]
	v_add_co_u32_e32 v54, vcc, v50, v54
	v_addc_co_u32_e32 v55, vcc, v51, v55, vcc
	global_store_dwordx2 v[54:55], v[20:21], off
	s_or_b64 exec, exec, s[38:39]
	s_and_saveexec_b64 s[38:39], s[18:19]
	s_cbranch_execz .LBB537_293
.LBB537_360:
	v_sub_u32_e32 v54, v44, v78
	v_mov_b32_e32 v55, 0
	v_lshlrev_b64 v[54:55], 3, v[54:55]
	v_add_co_u32_e32 v54, vcc, v50, v54
	v_addc_co_u32_e32 v55, vcc, v51, v55, vcc
	global_store_dwordx2 v[54:55], v[14:15], off
	s_or_b64 exec, exec, s[38:39]
	s_and_saveexec_b64 s[38:39], s[16:17]
	s_cbranch_execz .LBB537_294
.LBB537_361:
	v_sub_u32_e32 v54, v43, v78
	v_mov_b32_e32 v55, 0
	v_lshlrev_b64 v[54:55], 3, v[54:55]
	v_add_co_u32_e32 v54, vcc, v50, v54
	v_addc_co_u32_e32 v55, vcc, v51, v55, vcc
	global_store_dwordx2 v[54:55], v[16:17], off
	s_or_b64 exec, exec, s[38:39]
	s_and_saveexec_b64 s[38:39], s[14:15]
	s_cbranch_execz .LBB537_295
.LBB537_362:
	v_sub_u32_e32 v54, v42, v78
	v_mov_b32_e32 v55, 0
	v_lshlrev_b64 v[54:55], 3, v[54:55]
	v_add_co_u32_e32 v54, vcc, v50, v54
	v_addc_co_u32_e32 v55, vcc, v51, v55, vcc
	global_store_dwordx2 v[54:55], v[10:11], off
	s_or_b64 exec, exec, s[38:39]
	s_and_saveexec_b64 s[38:39], s[12:13]
	s_cbranch_execz .LBB537_296
.LBB537_363:
	v_sub_u32_e32 v54, v41, v78
	v_mov_b32_e32 v55, 0
	v_lshlrev_b64 v[54:55], 3, v[54:55]
	v_add_co_u32_e32 v54, vcc, v50, v54
	v_addc_co_u32_e32 v55, vcc, v51, v55, vcc
	global_store_dwordx2 v[54:55], v[12:13], off
	s_or_b64 exec, exec, s[38:39]
	s_and_saveexec_b64 s[38:39], s[10:11]
	s_cbranch_execz .LBB537_297
.LBB537_364:
	v_sub_u32_e32 v54, v40, v78
	v_mov_b32_e32 v55, 0
	v_lshlrev_b64 v[54:55], 3, v[54:55]
	v_add_co_u32_e32 v54, vcc, v50, v54
	v_addc_co_u32_e32 v55, vcc, v51, v55, vcc
	global_store_dwordx2 v[54:55], v[6:7], off
	s_or_b64 exec, exec, s[38:39]
	s_and_saveexec_b64 s[38:39], s[8:9]
	s_cbranch_execz .LBB537_298
.LBB537_365:
	v_sub_u32_e32 v54, v39, v78
	v_mov_b32_e32 v55, 0
	v_lshlrev_b64 v[54:55], 3, v[54:55]
	v_add_co_u32_e32 v54, vcc, v50, v54
	v_addc_co_u32_e32 v55, vcc, v51, v55, vcc
	global_store_dwordx2 v[54:55], v[8:9], off
	s_or_b64 exec, exec, s[38:39]
	s_and_saveexec_b64 s[38:39], s[6:7]
	s_cbranch_execz .LBB537_299
.LBB537_366:
	v_sub_u32_e32 v54, v38, v78
	v_mov_b32_e32 v55, 0
	v_lshlrev_b64 v[54:55], 3, v[54:55]
	v_add_co_u32_e32 v54, vcc, v50, v54
	v_addc_co_u32_e32 v55, vcc, v51, v55, vcc
	global_store_dwordx2 v[54:55], v[2:3], off
	s_or_b64 exec, exec, s[38:39]
	s_and_saveexec_b64 s[38:39], s[4:5]
	s_cbranch_execnz .LBB537_300
	s_branch .LBB537_301
.LBB537_367:
	v_sub_u32_e32 v52, v74, v78
	v_lshlrev_b32_e32 v52, 3, v52
	ds_write_b64 v52, v[26:27]
	s_or_b64 exec, exec, s[38:39]
	s_and_saveexec_b64 s[30:31], s[28:29]
	s_cbranch_execz .LBB537_305
.LBB537_368:
	v_sub_u32_e32 v26, v49, v78
	v_lshlrev_b32_e32 v26, 3, v26
	ds_write_b64 v26, v[28:29]
	s_or_b64 exec, exec, s[30:31]
	s_and_saveexec_b64 s[28:29], s[26:27]
	s_cbranch_execz .LBB537_306
.LBB537_369:
	v_sub_u32_e32 v26, v48, v78
	v_lshlrev_b32_e32 v26, 3, v26
	ds_write_b64 v26, v[22:23]
	s_or_b64 exec, exec, s[28:29]
	s_and_saveexec_b64 s[26:27], s[24:25]
	s_cbranch_execz .LBB537_307
.LBB537_370:
	v_sub_u32_e32 v22, v47, v78
	v_lshlrev_b32_e32 v22, 3, v22
	ds_write_b64 v22, v[24:25]
	s_or_b64 exec, exec, s[26:27]
	s_and_saveexec_b64 s[24:25], s[22:23]
	s_cbranch_execz .LBB537_308
.LBB537_371:
	v_sub_u32_e32 v22, v46, v78
	v_lshlrev_b32_e32 v22, 3, v22
	ds_write_b64 v22, v[18:19]
	s_or_b64 exec, exec, s[24:25]
	s_and_saveexec_b64 s[22:23], s[20:21]
	s_cbranch_execz .LBB537_309
.LBB537_372:
	v_sub_u32_e32 v18, v45, v78
	v_lshlrev_b32_e32 v18, 3, v18
	ds_write_b64 v18, v[20:21]
	s_or_b64 exec, exec, s[22:23]
	s_and_saveexec_b64 s[20:21], s[18:19]
	s_cbranch_execz .LBB537_310
.LBB537_373:
	v_sub_u32_e32 v18, v44, v78
	v_lshlrev_b32_e32 v18, 3, v18
	ds_write_b64 v18, v[14:15]
	s_or_b64 exec, exec, s[20:21]
	s_and_saveexec_b64 s[18:19], s[16:17]
	s_cbranch_execz .LBB537_311
.LBB537_374:
	v_sub_u32_e32 v14, v43, v78
	v_lshlrev_b32_e32 v14, 3, v14
	ds_write_b64 v14, v[16:17]
	s_or_b64 exec, exec, s[18:19]
	s_and_saveexec_b64 s[16:17], s[14:15]
	s_cbranch_execz .LBB537_312
.LBB537_375:
	v_sub_u32_e32 v14, v42, v78
	v_lshlrev_b32_e32 v14, 3, v14
	ds_write_b64 v14, v[10:11]
	s_or_b64 exec, exec, s[16:17]
	s_and_saveexec_b64 s[14:15], s[12:13]
	s_cbranch_execz .LBB537_313
.LBB537_376:
	v_sub_u32_e32 v10, v41, v78
	v_lshlrev_b32_e32 v10, 3, v10
	ds_write_b64 v10, v[12:13]
	s_or_b64 exec, exec, s[14:15]
	s_and_saveexec_b64 s[12:13], s[10:11]
	s_cbranch_execz .LBB537_314
.LBB537_377:
	v_sub_u32_e32 v10, v40, v78
	v_lshlrev_b32_e32 v10, 3, v10
	ds_write_b64 v10, v[6:7]
	s_or_b64 exec, exec, s[12:13]
	s_and_saveexec_b64 s[10:11], s[8:9]
	s_cbranch_execz .LBB537_315
.LBB537_378:
	v_sub_u32_e32 v6, v39, v78
	v_lshlrev_b32_e32 v6, 3, v6
	ds_write_b64 v6, v[8:9]
	s_or_b64 exec, exec, s[10:11]
	s_and_saveexec_b64 s[8:9], s[6:7]
	s_cbranch_execz .LBB537_316
.LBB537_379:
	v_sub_u32_e32 v6, v38, v78
	v_lshlrev_b32_e32 v6, 3, v6
	ds_write_b64 v6, v[2:3]
	s_or_b64 exec, exec, s[8:9]
	s_and_saveexec_b64 s[6:7], s[4:5]
	s_cbranch_execnz .LBB537_317
	s_branch .LBB537_318
.LBB537_380:
	v_sub_u32_e32 v10, v74, v8
	v_mov_b32_e32 v11, 0
	v_lshlrev_b64 v[10:11], 3, v[10:11]
	v_add_co_u32_e32 v10, vcc, v6, v10
	v_addc_co_u32_e32 v11, vcc, v7, v11, vcc
	global_store_dwordx2 v[10:11], v[104:105], off
	s_or_b64 exec, exec, s[36:37]
	s_and_saveexec_b64 s[36:37], s[26:27]
	s_cbranch_execz .LBB537_322
.LBB537_381:
	v_sub_u32_e32 v10, v49, v8
	v_mov_b32_e32 v11, 0
	v_lshlrev_b64 v[10:11], 3, v[10:11]
	v_add_co_u32_e32 v10, vcc, v6, v10
	v_addc_co_u32_e32 v11, vcc, v7, v11, vcc
	global_store_dwordx2 v[10:11], v[80:81], off
	s_or_b64 exec, exec, s[36:37]
	s_and_saveexec_b64 s[36:37], s[24:25]
	s_cbranch_execz .LBB537_323
.LBB537_382:
	v_sub_u32_e32 v10, v48, v8
	v_mov_b32_e32 v11, 0
	v_lshlrev_b64 v[10:11], 3, v[10:11]
	v_add_co_u32_e32 v10, vcc, v6, v10
	v_addc_co_u32_e32 v11, vcc, v7, v11, vcc
	global_store_dwordx2 v[10:11], v[82:83], off
	s_or_b64 exec, exec, s[36:37]
	s_and_saveexec_b64 s[36:37], s[22:23]
	s_cbranch_execz .LBB537_324
.LBB537_383:
	v_sub_u32_e32 v10, v47, v8
	v_mov_b32_e32 v11, 0
	v_lshlrev_b64 v[10:11], 3, v[10:11]
	v_add_co_u32_e32 v10, vcc, v6, v10
	v_addc_co_u32_e32 v11, vcc, v7, v11, vcc
	global_store_dwordx2 v[10:11], v[84:85], off
	s_or_b64 exec, exec, s[36:37]
	s_and_saveexec_b64 s[36:37], s[20:21]
	s_cbranch_execz .LBB537_325
.LBB537_384:
	v_sub_u32_e32 v10, v46, v8
	v_mov_b32_e32 v11, 0
	v_lshlrev_b64 v[10:11], 3, v[10:11]
	v_add_co_u32_e32 v10, vcc, v6, v10
	v_addc_co_u32_e32 v11, vcc, v7, v11, vcc
	global_store_dwordx2 v[10:11], v[86:87], off
	s_or_b64 exec, exec, s[36:37]
	s_and_saveexec_b64 s[36:37], s[18:19]
	s_cbranch_execz .LBB537_326
.LBB537_385:
	v_sub_u32_e32 v10, v45, v8
	v_mov_b32_e32 v11, 0
	v_lshlrev_b64 v[10:11], 3, v[10:11]
	v_add_co_u32_e32 v10, vcc, v6, v10
	v_addc_co_u32_e32 v11, vcc, v7, v11, vcc
	global_store_dwordx2 v[10:11], v[88:89], off
	s_or_b64 exec, exec, s[36:37]
	s_and_saveexec_b64 s[36:37], s[16:17]
	s_cbranch_execz .LBB537_327
.LBB537_386:
	v_sub_u32_e32 v10, v44, v8
	v_mov_b32_e32 v11, 0
	v_lshlrev_b64 v[10:11], 3, v[10:11]
	v_add_co_u32_e32 v10, vcc, v6, v10
	v_addc_co_u32_e32 v11, vcc, v7, v11, vcc
	global_store_dwordx2 v[10:11], v[90:91], off
	s_or_b64 exec, exec, s[36:37]
	s_and_saveexec_b64 s[36:37], s[14:15]
	s_cbranch_execz .LBB537_328
.LBB537_387:
	v_sub_u32_e32 v10, v43, v8
	v_mov_b32_e32 v11, 0
	v_lshlrev_b64 v[10:11], 3, v[10:11]
	v_add_co_u32_e32 v10, vcc, v6, v10
	v_addc_co_u32_e32 v11, vcc, v7, v11, vcc
	global_store_dwordx2 v[10:11], v[92:93], off
	s_or_b64 exec, exec, s[36:37]
	s_and_saveexec_b64 s[36:37], s[12:13]
	s_cbranch_execz .LBB537_329
.LBB537_388:
	v_sub_u32_e32 v10, v42, v8
	v_mov_b32_e32 v11, 0
	v_lshlrev_b64 v[10:11], 3, v[10:11]
	v_add_co_u32_e32 v10, vcc, v6, v10
	v_addc_co_u32_e32 v11, vcc, v7, v11, vcc
	global_store_dwordx2 v[10:11], v[94:95], off
	s_or_b64 exec, exec, s[36:37]
	s_and_saveexec_b64 s[36:37], s[10:11]
	s_cbranch_execz .LBB537_330
.LBB537_389:
	v_sub_u32_e32 v10, v41, v8
	v_mov_b32_e32 v11, 0
	v_lshlrev_b64 v[10:11], 3, v[10:11]
	v_add_co_u32_e32 v10, vcc, v6, v10
	v_addc_co_u32_e32 v11, vcc, v7, v11, vcc
	global_store_dwordx2 v[10:11], v[96:97], off
	s_or_b64 exec, exec, s[36:37]
	s_and_saveexec_b64 s[36:37], s[8:9]
	s_cbranch_execz .LBB537_331
.LBB537_390:
	v_sub_u32_e32 v10, v40, v8
	v_mov_b32_e32 v11, 0
	v_lshlrev_b64 v[10:11], 3, v[10:11]
	v_add_co_u32_e32 v10, vcc, v6, v10
	v_addc_co_u32_e32 v11, vcc, v7, v11, vcc
	global_store_dwordx2 v[10:11], v[98:99], off
	s_or_b64 exec, exec, s[36:37]
	s_and_saveexec_b64 s[36:37], s[6:7]
	s_cbranch_execz .LBB537_332
.LBB537_391:
	v_sub_u32_e32 v10, v39, v8
	v_mov_b32_e32 v11, 0
	v_lshlrev_b64 v[10:11], 3, v[10:11]
	v_add_co_u32_e32 v10, vcc, v6, v10
	v_addc_co_u32_e32 v11, vcc, v7, v11, vcc
	global_store_dwordx2 v[10:11], v[100:101], off
	s_or_b64 exec, exec, s[36:37]
	s_and_saveexec_b64 s[36:37], s[4:5]
	s_cbranch_execz .LBB537_333
.LBB537_392:
	v_sub_u32_e32 v10, v38, v8
	v_mov_b32_e32 v11, 0
	v_lshlrev_b64 v[10:11], 3, v[10:11]
	v_add_co_u32_e32 v10, vcc, v6, v10
	v_addc_co_u32_e32 v11, vcc, v7, v11, vcc
	global_store_dwordx2 v[10:11], v[102:103], off
	s_or_b64 exec, exec, s[36:37]
	s_and_saveexec_b64 s[36:37], s[2:3]
	s_cbranch_execnz .LBB537_334
	s_branch .LBB537_335
.LBB537_393:
	v_sub_u32_e32 v9, v74, v8
	v_lshlrev_b32_e32 v9, 3, v9
	ds_write_b64 v9, v[104:105]
	s_or_b64 exec, exec, s[36:37]
	s_and_saveexec_b64 s[28:29], s[26:27]
	s_cbranch_execz .LBB537_339
.LBB537_394:
	v_sub_u32_e32 v9, v49, v8
	v_lshlrev_b32_e32 v9, 3, v9
	ds_write_b64 v9, v[80:81]
	s_or_b64 exec, exec, s[28:29]
	s_and_saveexec_b64 s[26:27], s[24:25]
	s_cbranch_execz .LBB537_340
.LBB537_395:
	v_sub_u32_e32 v9, v48, v8
	v_lshlrev_b32_e32 v9, 3, v9
	ds_write_b64 v9, v[82:83]
	s_or_b64 exec, exec, s[26:27]
	s_and_saveexec_b64 s[24:25], s[22:23]
	s_cbranch_execz .LBB537_341
.LBB537_396:
	v_sub_u32_e32 v9, v47, v8
	v_lshlrev_b32_e32 v9, 3, v9
	ds_write_b64 v9, v[84:85]
	s_or_b64 exec, exec, s[24:25]
	s_and_saveexec_b64 s[22:23], s[20:21]
	s_cbranch_execz .LBB537_342
.LBB537_397:
	v_sub_u32_e32 v9, v46, v8
	v_lshlrev_b32_e32 v9, 3, v9
	ds_write_b64 v9, v[86:87]
	s_or_b64 exec, exec, s[22:23]
	s_and_saveexec_b64 s[20:21], s[18:19]
	s_cbranch_execz .LBB537_343
.LBB537_398:
	v_sub_u32_e32 v9, v45, v8
	v_lshlrev_b32_e32 v9, 3, v9
	ds_write_b64 v9, v[88:89]
	s_or_b64 exec, exec, s[20:21]
	s_and_saveexec_b64 s[18:19], s[16:17]
	s_cbranch_execz .LBB537_344
.LBB537_399:
	v_sub_u32_e32 v9, v44, v8
	v_lshlrev_b32_e32 v9, 3, v9
	ds_write_b64 v9, v[90:91]
	s_or_b64 exec, exec, s[18:19]
	s_and_saveexec_b64 s[16:17], s[14:15]
	s_cbranch_execz .LBB537_345
.LBB537_400:
	v_sub_u32_e32 v9, v43, v8
	v_lshlrev_b32_e32 v9, 3, v9
	ds_write_b64 v9, v[92:93]
	s_or_b64 exec, exec, s[16:17]
	s_and_saveexec_b64 s[14:15], s[12:13]
	s_cbranch_execz .LBB537_346
.LBB537_401:
	v_sub_u32_e32 v9, v42, v8
	v_lshlrev_b32_e32 v9, 3, v9
	ds_write_b64 v9, v[94:95]
	s_or_b64 exec, exec, s[14:15]
	s_and_saveexec_b64 s[12:13], s[10:11]
	s_cbranch_execz .LBB537_347
.LBB537_402:
	v_sub_u32_e32 v9, v41, v8
	v_lshlrev_b32_e32 v9, 3, v9
	ds_write_b64 v9, v[96:97]
	s_or_b64 exec, exec, s[12:13]
	s_and_saveexec_b64 s[10:11], s[8:9]
	s_cbranch_execz .LBB537_348
.LBB537_403:
	v_sub_u32_e32 v9, v40, v8
	v_lshlrev_b32_e32 v9, 3, v9
	ds_write_b64 v9, v[98:99]
	s_or_b64 exec, exec, s[10:11]
	s_and_saveexec_b64 s[8:9], s[6:7]
	s_cbranch_execz .LBB537_349
.LBB537_404:
	v_sub_u32_e32 v9, v39, v8
	v_lshlrev_b32_e32 v9, 3, v9
	ds_write_b64 v9, v[100:101]
	s_or_b64 exec, exec, s[8:9]
	s_and_saveexec_b64 s[6:7], s[4:5]
	s_cbranch_execz .LBB537_350
.LBB537_405:
	v_sub_u32_e32 v9, v38, v8
	v_lshlrev_b32_e32 v9, 3, v9
	ds_write_b64 v9, v[102:103]
	s_or_b64 exec, exec, s[6:7]
	s_and_saveexec_b64 s[4:5], s[2:3]
	s_cbranch_execnz .LBB537_351
	s_branch .LBB537_352
	.section	.rodata,"a",@progbits
	.p2align	6, 0x0
	.amdhsa_kernel _ZN7rocprim17ROCPRIM_400000_NS6detail17trampoline_kernelINS0_14default_configENS1_29reduce_by_key_config_selectorIxxN6thrust23THRUST_200600_302600_NS4plusIxEEEEZZNS1_33reduce_by_key_impl_wrapped_configILNS1_25lookback_scan_determinismE0ES3_S9_NS6_6detail15normal_iteratorINS6_10device_ptrIxEEEESG_SG_SG_PmS8_22is_equal_div_10_reduceIxEEE10hipError_tPvRmT2_T3_mT4_T5_T6_T7_T8_P12ihipStream_tbENKUlT_T0_E_clISt17integral_constantIbLb0EES10_IbLb1EEEEDaSW_SX_EUlSW_E_NS1_11comp_targetILNS1_3genE4ELNS1_11target_archE910ELNS1_3gpuE8ELNS1_3repE0EEENS1_30default_config_static_selectorELNS0_4arch9wavefront6targetE1EEEvT1_
		.amdhsa_group_segment_fixed_size 30720
		.amdhsa_private_segment_fixed_size 0
		.amdhsa_kernarg_size 136
		.amdhsa_user_sgpr_count 6
		.amdhsa_user_sgpr_private_segment_buffer 1
		.amdhsa_user_sgpr_dispatch_ptr 0
		.amdhsa_user_sgpr_queue_ptr 0
		.amdhsa_user_sgpr_kernarg_segment_ptr 1
		.amdhsa_user_sgpr_dispatch_id 0
		.amdhsa_user_sgpr_flat_scratch_init 0
		.amdhsa_user_sgpr_kernarg_preload_length 0
		.amdhsa_user_sgpr_kernarg_preload_offset 0
		.amdhsa_user_sgpr_private_segment_size 0
		.amdhsa_uses_dynamic_stack 0
		.amdhsa_system_sgpr_private_segment_wavefront_offset 0
		.amdhsa_system_sgpr_workgroup_id_x 1
		.amdhsa_system_sgpr_workgroup_id_y 0
		.amdhsa_system_sgpr_workgroup_id_z 0
		.amdhsa_system_sgpr_workgroup_info 0
		.amdhsa_system_vgpr_workitem_id 0
		.amdhsa_next_free_vgpr 116
		.amdhsa_next_free_sgpr 66
		.amdhsa_accum_offset 116
		.amdhsa_reserve_vcc 1
		.amdhsa_reserve_flat_scratch 0
		.amdhsa_float_round_mode_32 0
		.amdhsa_float_round_mode_16_64 0
		.amdhsa_float_denorm_mode_32 3
		.amdhsa_float_denorm_mode_16_64 3
		.amdhsa_dx10_clamp 1
		.amdhsa_ieee_mode 1
		.amdhsa_fp16_overflow 0
		.amdhsa_tg_split 0
		.amdhsa_exception_fp_ieee_invalid_op 0
		.amdhsa_exception_fp_denorm_src 0
		.amdhsa_exception_fp_ieee_div_zero 0
		.amdhsa_exception_fp_ieee_overflow 0
		.amdhsa_exception_fp_ieee_underflow 0
		.amdhsa_exception_fp_ieee_inexact 0
		.amdhsa_exception_int_div_zero 0
	.end_amdhsa_kernel
	.section	.text._ZN7rocprim17ROCPRIM_400000_NS6detail17trampoline_kernelINS0_14default_configENS1_29reduce_by_key_config_selectorIxxN6thrust23THRUST_200600_302600_NS4plusIxEEEEZZNS1_33reduce_by_key_impl_wrapped_configILNS1_25lookback_scan_determinismE0ES3_S9_NS6_6detail15normal_iteratorINS6_10device_ptrIxEEEESG_SG_SG_PmS8_22is_equal_div_10_reduceIxEEE10hipError_tPvRmT2_T3_mT4_T5_T6_T7_T8_P12ihipStream_tbENKUlT_T0_E_clISt17integral_constantIbLb0EES10_IbLb1EEEEDaSW_SX_EUlSW_E_NS1_11comp_targetILNS1_3genE4ELNS1_11target_archE910ELNS1_3gpuE8ELNS1_3repE0EEENS1_30default_config_static_selectorELNS0_4arch9wavefront6targetE1EEEvT1_,"axG",@progbits,_ZN7rocprim17ROCPRIM_400000_NS6detail17trampoline_kernelINS0_14default_configENS1_29reduce_by_key_config_selectorIxxN6thrust23THRUST_200600_302600_NS4plusIxEEEEZZNS1_33reduce_by_key_impl_wrapped_configILNS1_25lookback_scan_determinismE0ES3_S9_NS6_6detail15normal_iteratorINS6_10device_ptrIxEEEESG_SG_SG_PmS8_22is_equal_div_10_reduceIxEEE10hipError_tPvRmT2_T3_mT4_T5_T6_T7_T8_P12ihipStream_tbENKUlT_T0_E_clISt17integral_constantIbLb0EES10_IbLb1EEEEDaSW_SX_EUlSW_E_NS1_11comp_targetILNS1_3genE4ELNS1_11target_archE910ELNS1_3gpuE8ELNS1_3repE0EEENS1_30default_config_static_selectorELNS0_4arch9wavefront6targetE1EEEvT1_,comdat
.Lfunc_end537:
	.size	_ZN7rocprim17ROCPRIM_400000_NS6detail17trampoline_kernelINS0_14default_configENS1_29reduce_by_key_config_selectorIxxN6thrust23THRUST_200600_302600_NS4plusIxEEEEZZNS1_33reduce_by_key_impl_wrapped_configILNS1_25lookback_scan_determinismE0ES3_S9_NS6_6detail15normal_iteratorINS6_10device_ptrIxEEEESG_SG_SG_PmS8_22is_equal_div_10_reduceIxEEE10hipError_tPvRmT2_T3_mT4_T5_T6_T7_T8_P12ihipStream_tbENKUlT_T0_E_clISt17integral_constantIbLb0EES10_IbLb1EEEEDaSW_SX_EUlSW_E_NS1_11comp_targetILNS1_3genE4ELNS1_11target_archE910ELNS1_3gpuE8ELNS1_3repE0EEENS1_30default_config_static_selectorELNS0_4arch9wavefront6targetE1EEEvT1_, .Lfunc_end537-_ZN7rocprim17ROCPRIM_400000_NS6detail17trampoline_kernelINS0_14default_configENS1_29reduce_by_key_config_selectorIxxN6thrust23THRUST_200600_302600_NS4plusIxEEEEZZNS1_33reduce_by_key_impl_wrapped_configILNS1_25lookback_scan_determinismE0ES3_S9_NS6_6detail15normal_iteratorINS6_10device_ptrIxEEEESG_SG_SG_PmS8_22is_equal_div_10_reduceIxEEE10hipError_tPvRmT2_T3_mT4_T5_T6_T7_T8_P12ihipStream_tbENKUlT_T0_E_clISt17integral_constantIbLb0EES10_IbLb1EEEEDaSW_SX_EUlSW_E_NS1_11comp_targetILNS1_3genE4ELNS1_11target_archE910ELNS1_3gpuE8ELNS1_3repE0EEENS1_30default_config_static_selectorELNS0_4arch9wavefront6targetE1EEEvT1_
                                        ; -- End function
	.section	.AMDGPU.csdata,"",@progbits
; Kernel info:
; codeLenInByte = 18792
; NumSgprs: 70
; NumVgprs: 116
; NumAgprs: 0
; TotalNumVgprs: 116
; ScratchSize: 0
; MemoryBound: 0
; FloatMode: 240
; IeeeMode: 1
; LDSByteSize: 30720 bytes/workgroup (compile time only)
; SGPRBlocks: 8
; VGPRBlocks: 14
; NumSGPRsForWavesPerEU: 70
; NumVGPRsForWavesPerEU: 116
; AccumOffset: 116
; Occupancy: 2
; WaveLimiterHint : 1
; COMPUTE_PGM_RSRC2:SCRATCH_EN: 0
; COMPUTE_PGM_RSRC2:USER_SGPR: 6
; COMPUTE_PGM_RSRC2:TRAP_HANDLER: 0
; COMPUTE_PGM_RSRC2:TGID_X_EN: 1
; COMPUTE_PGM_RSRC2:TGID_Y_EN: 0
; COMPUTE_PGM_RSRC2:TGID_Z_EN: 0
; COMPUTE_PGM_RSRC2:TIDIG_COMP_CNT: 0
; COMPUTE_PGM_RSRC3_GFX90A:ACCUM_OFFSET: 28
; COMPUTE_PGM_RSRC3_GFX90A:TG_SPLIT: 0
	.section	.text._ZN7rocprim17ROCPRIM_400000_NS6detail17trampoline_kernelINS0_14default_configENS1_29reduce_by_key_config_selectorIxxN6thrust23THRUST_200600_302600_NS4plusIxEEEEZZNS1_33reduce_by_key_impl_wrapped_configILNS1_25lookback_scan_determinismE0ES3_S9_NS6_6detail15normal_iteratorINS6_10device_ptrIxEEEESG_SG_SG_PmS8_22is_equal_div_10_reduceIxEEE10hipError_tPvRmT2_T3_mT4_T5_T6_T7_T8_P12ihipStream_tbENKUlT_T0_E_clISt17integral_constantIbLb0EES10_IbLb1EEEEDaSW_SX_EUlSW_E_NS1_11comp_targetILNS1_3genE3ELNS1_11target_archE908ELNS1_3gpuE7ELNS1_3repE0EEENS1_30default_config_static_selectorELNS0_4arch9wavefront6targetE1EEEvT1_,"axG",@progbits,_ZN7rocprim17ROCPRIM_400000_NS6detail17trampoline_kernelINS0_14default_configENS1_29reduce_by_key_config_selectorIxxN6thrust23THRUST_200600_302600_NS4plusIxEEEEZZNS1_33reduce_by_key_impl_wrapped_configILNS1_25lookback_scan_determinismE0ES3_S9_NS6_6detail15normal_iteratorINS6_10device_ptrIxEEEESG_SG_SG_PmS8_22is_equal_div_10_reduceIxEEE10hipError_tPvRmT2_T3_mT4_T5_T6_T7_T8_P12ihipStream_tbENKUlT_T0_E_clISt17integral_constantIbLb0EES10_IbLb1EEEEDaSW_SX_EUlSW_E_NS1_11comp_targetILNS1_3genE3ELNS1_11target_archE908ELNS1_3gpuE7ELNS1_3repE0EEENS1_30default_config_static_selectorELNS0_4arch9wavefront6targetE1EEEvT1_,comdat
	.protected	_ZN7rocprim17ROCPRIM_400000_NS6detail17trampoline_kernelINS0_14default_configENS1_29reduce_by_key_config_selectorIxxN6thrust23THRUST_200600_302600_NS4plusIxEEEEZZNS1_33reduce_by_key_impl_wrapped_configILNS1_25lookback_scan_determinismE0ES3_S9_NS6_6detail15normal_iteratorINS6_10device_ptrIxEEEESG_SG_SG_PmS8_22is_equal_div_10_reduceIxEEE10hipError_tPvRmT2_T3_mT4_T5_T6_T7_T8_P12ihipStream_tbENKUlT_T0_E_clISt17integral_constantIbLb0EES10_IbLb1EEEEDaSW_SX_EUlSW_E_NS1_11comp_targetILNS1_3genE3ELNS1_11target_archE908ELNS1_3gpuE7ELNS1_3repE0EEENS1_30default_config_static_selectorELNS0_4arch9wavefront6targetE1EEEvT1_ ; -- Begin function _ZN7rocprim17ROCPRIM_400000_NS6detail17trampoline_kernelINS0_14default_configENS1_29reduce_by_key_config_selectorIxxN6thrust23THRUST_200600_302600_NS4plusIxEEEEZZNS1_33reduce_by_key_impl_wrapped_configILNS1_25lookback_scan_determinismE0ES3_S9_NS6_6detail15normal_iteratorINS6_10device_ptrIxEEEESG_SG_SG_PmS8_22is_equal_div_10_reduceIxEEE10hipError_tPvRmT2_T3_mT4_T5_T6_T7_T8_P12ihipStream_tbENKUlT_T0_E_clISt17integral_constantIbLb0EES10_IbLb1EEEEDaSW_SX_EUlSW_E_NS1_11comp_targetILNS1_3genE3ELNS1_11target_archE908ELNS1_3gpuE7ELNS1_3repE0EEENS1_30default_config_static_selectorELNS0_4arch9wavefront6targetE1EEEvT1_
	.globl	_ZN7rocprim17ROCPRIM_400000_NS6detail17trampoline_kernelINS0_14default_configENS1_29reduce_by_key_config_selectorIxxN6thrust23THRUST_200600_302600_NS4plusIxEEEEZZNS1_33reduce_by_key_impl_wrapped_configILNS1_25lookback_scan_determinismE0ES3_S9_NS6_6detail15normal_iteratorINS6_10device_ptrIxEEEESG_SG_SG_PmS8_22is_equal_div_10_reduceIxEEE10hipError_tPvRmT2_T3_mT4_T5_T6_T7_T8_P12ihipStream_tbENKUlT_T0_E_clISt17integral_constantIbLb0EES10_IbLb1EEEEDaSW_SX_EUlSW_E_NS1_11comp_targetILNS1_3genE3ELNS1_11target_archE908ELNS1_3gpuE7ELNS1_3repE0EEENS1_30default_config_static_selectorELNS0_4arch9wavefront6targetE1EEEvT1_
	.p2align	8
	.type	_ZN7rocprim17ROCPRIM_400000_NS6detail17trampoline_kernelINS0_14default_configENS1_29reduce_by_key_config_selectorIxxN6thrust23THRUST_200600_302600_NS4plusIxEEEEZZNS1_33reduce_by_key_impl_wrapped_configILNS1_25lookback_scan_determinismE0ES3_S9_NS6_6detail15normal_iteratorINS6_10device_ptrIxEEEESG_SG_SG_PmS8_22is_equal_div_10_reduceIxEEE10hipError_tPvRmT2_T3_mT4_T5_T6_T7_T8_P12ihipStream_tbENKUlT_T0_E_clISt17integral_constantIbLb0EES10_IbLb1EEEEDaSW_SX_EUlSW_E_NS1_11comp_targetILNS1_3genE3ELNS1_11target_archE908ELNS1_3gpuE7ELNS1_3repE0EEENS1_30default_config_static_selectorELNS0_4arch9wavefront6targetE1EEEvT1_,@function
_ZN7rocprim17ROCPRIM_400000_NS6detail17trampoline_kernelINS0_14default_configENS1_29reduce_by_key_config_selectorIxxN6thrust23THRUST_200600_302600_NS4plusIxEEEEZZNS1_33reduce_by_key_impl_wrapped_configILNS1_25lookback_scan_determinismE0ES3_S9_NS6_6detail15normal_iteratorINS6_10device_ptrIxEEEESG_SG_SG_PmS8_22is_equal_div_10_reduceIxEEE10hipError_tPvRmT2_T3_mT4_T5_T6_T7_T8_P12ihipStream_tbENKUlT_T0_E_clISt17integral_constantIbLb0EES10_IbLb1EEEEDaSW_SX_EUlSW_E_NS1_11comp_targetILNS1_3genE3ELNS1_11target_archE908ELNS1_3gpuE7ELNS1_3repE0EEENS1_30default_config_static_selectorELNS0_4arch9wavefront6targetE1EEEvT1_: ; @_ZN7rocprim17ROCPRIM_400000_NS6detail17trampoline_kernelINS0_14default_configENS1_29reduce_by_key_config_selectorIxxN6thrust23THRUST_200600_302600_NS4plusIxEEEEZZNS1_33reduce_by_key_impl_wrapped_configILNS1_25lookback_scan_determinismE0ES3_S9_NS6_6detail15normal_iteratorINS6_10device_ptrIxEEEESG_SG_SG_PmS8_22is_equal_div_10_reduceIxEEE10hipError_tPvRmT2_T3_mT4_T5_T6_T7_T8_P12ihipStream_tbENKUlT_T0_E_clISt17integral_constantIbLb0EES10_IbLb1EEEEDaSW_SX_EUlSW_E_NS1_11comp_targetILNS1_3genE3ELNS1_11target_archE908ELNS1_3gpuE7ELNS1_3repE0EEENS1_30default_config_static_selectorELNS0_4arch9wavefront6targetE1EEEvT1_
; %bb.0:
	.section	.rodata,"a",@progbits
	.p2align	6, 0x0
	.amdhsa_kernel _ZN7rocprim17ROCPRIM_400000_NS6detail17trampoline_kernelINS0_14default_configENS1_29reduce_by_key_config_selectorIxxN6thrust23THRUST_200600_302600_NS4plusIxEEEEZZNS1_33reduce_by_key_impl_wrapped_configILNS1_25lookback_scan_determinismE0ES3_S9_NS6_6detail15normal_iteratorINS6_10device_ptrIxEEEESG_SG_SG_PmS8_22is_equal_div_10_reduceIxEEE10hipError_tPvRmT2_T3_mT4_T5_T6_T7_T8_P12ihipStream_tbENKUlT_T0_E_clISt17integral_constantIbLb0EES10_IbLb1EEEEDaSW_SX_EUlSW_E_NS1_11comp_targetILNS1_3genE3ELNS1_11target_archE908ELNS1_3gpuE7ELNS1_3repE0EEENS1_30default_config_static_selectorELNS0_4arch9wavefront6targetE1EEEvT1_
		.amdhsa_group_segment_fixed_size 0
		.amdhsa_private_segment_fixed_size 0
		.amdhsa_kernarg_size 136
		.amdhsa_user_sgpr_count 6
		.amdhsa_user_sgpr_private_segment_buffer 1
		.amdhsa_user_sgpr_dispatch_ptr 0
		.amdhsa_user_sgpr_queue_ptr 0
		.amdhsa_user_sgpr_kernarg_segment_ptr 1
		.amdhsa_user_sgpr_dispatch_id 0
		.amdhsa_user_sgpr_flat_scratch_init 0
		.amdhsa_user_sgpr_kernarg_preload_length 0
		.amdhsa_user_sgpr_kernarg_preload_offset 0
		.amdhsa_user_sgpr_private_segment_size 0
		.amdhsa_uses_dynamic_stack 0
		.amdhsa_system_sgpr_private_segment_wavefront_offset 0
		.amdhsa_system_sgpr_workgroup_id_x 1
		.amdhsa_system_sgpr_workgroup_id_y 0
		.amdhsa_system_sgpr_workgroup_id_z 0
		.amdhsa_system_sgpr_workgroup_info 0
		.amdhsa_system_vgpr_workitem_id 0
		.amdhsa_next_free_vgpr 1
		.amdhsa_next_free_sgpr 0
		.amdhsa_accum_offset 4
		.amdhsa_reserve_vcc 0
		.amdhsa_reserve_flat_scratch 0
		.amdhsa_float_round_mode_32 0
		.amdhsa_float_round_mode_16_64 0
		.amdhsa_float_denorm_mode_32 3
		.amdhsa_float_denorm_mode_16_64 3
		.amdhsa_dx10_clamp 1
		.amdhsa_ieee_mode 1
		.amdhsa_fp16_overflow 0
		.amdhsa_tg_split 0
		.amdhsa_exception_fp_ieee_invalid_op 0
		.amdhsa_exception_fp_denorm_src 0
		.amdhsa_exception_fp_ieee_div_zero 0
		.amdhsa_exception_fp_ieee_overflow 0
		.amdhsa_exception_fp_ieee_underflow 0
		.amdhsa_exception_fp_ieee_inexact 0
		.amdhsa_exception_int_div_zero 0
	.end_amdhsa_kernel
	.section	.text._ZN7rocprim17ROCPRIM_400000_NS6detail17trampoline_kernelINS0_14default_configENS1_29reduce_by_key_config_selectorIxxN6thrust23THRUST_200600_302600_NS4plusIxEEEEZZNS1_33reduce_by_key_impl_wrapped_configILNS1_25lookback_scan_determinismE0ES3_S9_NS6_6detail15normal_iteratorINS6_10device_ptrIxEEEESG_SG_SG_PmS8_22is_equal_div_10_reduceIxEEE10hipError_tPvRmT2_T3_mT4_T5_T6_T7_T8_P12ihipStream_tbENKUlT_T0_E_clISt17integral_constantIbLb0EES10_IbLb1EEEEDaSW_SX_EUlSW_E_NS1_11comp_targetILNS1_3genE3ELNS1_11target_archE908ELNS1_3gpuE7ELNS1_3repE0EEENS1_30default_config_static_selectorELNS0_4arch9wavefront6targetE1EEEvT1_,"axG",@progbits,_ZN7rocprim17ROCPRIM_400000_NS6detail17trampoline_kernelINS0_14default_configENS1_29reduce_by_key_config_selectorIxxN6thrust23THRUST_200600_302600_NS4plusIxEEEEZZNS1_33reduce_by_key_impl_wrapped_configILNS1_25lookback_scan_determinismE0ES3_S9_NS6_6detail15normal_iteratorINS6_10device_ptrIxEEEESG_SG_SG_PmS8_22is_equal_div_10_reduceIxEEE10hipError_tPvRmT2_T3_mT4_T5_T6_T7_T8_P12ihipStream_tbENKUlT_T0_E_clISt17integral_constantIbLb0EES10_IbLb1EEEEDaSW_SX_EUlSW_E_NS1_11comp_targetILNS1_3genE3ELNS1_11target_archE908ELNS1_3gpuE7ELNS1_3repE0EEENS1_30default_config_static_selectorELNS0_4arch9wavefront6targetE1EEEvT1_,comdat
.Lfunc_end538:
	.size	_ZN7rocprim17ROCPRIM_400000_NS6detail17trampoline_kernelINS0_14default_configENS1_29reduce_by_key_config_selectorIxxN6thrust23THRUST_200600_302600_NS4plusIxEEEEZZNS1_33reduce_by_key_impl_wrapped_configILNS1_25lookback_scan_determinismE0ES3_S9_NS6_6detail15normal_iteratorINS6_10device_ptrIxEEEESG_SG_SG_PmS8_22is_equal_div_10_reduceIxEEE10hipError_tPvRmT2_T3_mT4_T5_T6_T7_T8_P12ihipStream_tbENKUlT_T0_E_clISt17integral_constantIbLb0EES10_IbLb1EEEEDaSW_SX_EUlSW_E_NS1_11comp_targetILNS1_3genE3ELNS1_11target_archE908ELNS1_3gpuE7ELNS1_3repE0EEENS1_30default_config_static_selectorELNS0_4arch9wavefront6targetE1EEEvT1_, .Lfunc_end538-_ZN7rocprim17ROCPRIM_400000_NS6detail17trampoline_kernelINS0_14default_configENS1_29reduce_by_key_config_selectorIxxN6thrust23THRUST_200600_302600_NS4plusIxEEEEZZNS1_33reduce_by_key_impl_wrapped_configILNS1_25lookback_scan_determinismE0ES3_S9_NS6_6detail15normal_iteratorINS6_10device_ptrIxEEEESG_SG_SG_PmS8_22is_equal_div_10_reduceIxEEE10hipError_tPvRmT2_T3_mT4_T5_T6_T7_T8_P12ihipStream_tbENKUlT_T0_E_clISt17integral_constantIbLb0EES10_IbLb1EEEEDaSW_SX_EUlSW_E_NS1_11comp_targetILNS1_3genE3ELNS1_11target_archE908ELNS1_3gpuE7ELNS1_3repE0EEENS1_30default_config_static_selectorELNS0_4arch9wavefront6targetE1EEEvT1_
                                        ; -- End function
	.section	.AMDGPU.csdata,"",@progbits
; Kernel info:
; codeLenInByte = 0
; NumSgprs: 4
; NumVgprs: 0
; NumAgprs: 0
; TotalNumVgprs: 0
; ScratchSize: 0
; MemoryBound: 0
; FloatMode: 240
; IeeeMode: 1
; LDSByteSize: 0 bytes/workgroup (compile time only)
; SGPRBlocks: 0
; VGPRBlocks: 0
; NumSGPRsForWavesPerEU: 4
; NumVGPRsForWavesPerEU: 1
; AccumOffset: 4
; Occupancy: 8
; WaveLimiterHint : 0
; COMPUTE_PGM_RSRC2:SCRATCH_EN: 0
; COMPUTE_PGM_RSRC2:USER_SGPR: 6
; COMPUTE_PGM_RSRC2:TRAP_HANDLER: 0
; COMPUTE_PGM_RSRC2:TGID_X_EN: 1
; COMPUTE_PGM_RSRC2:TGID_Y_EN: 0
; COMPUTE_PGM_RSRC2:TGID_Z_EN: 0
; COMPUTE_PGM_RSRC2:TIDIG_COMP_CNT: 0
; COMPUTE_PGM_RSRC3_GFX90A:ACCUM_OFFSET: 0
; COMPUTE_PGM_RSRC3_GFX90A:TG_SPLIT: 0
	.section	.text._ZN7rocprim17ROCPRIM_400000_NS6detail17trampoline_kernelINS0_14default_configENS1_29reduce_by_key_config_selectorIxxN6thrust23THRUST_200600_302600_NS4plusIxEEEEZZNS1_33reduce_by_key_impl_wrapped_configILNS1_25lookback_scan_determinismE0ES3_S9_NS6_6detail15normal_iteratorINS6_10device_ptrIxEEEESG_SG_SG_PmS8_22is_equal_div_10_reduceIxEEE10hipError_tPvRmT2_T3_mT4_T5_T6_T7_T8_P12ihipStream_tbENKUlT_T0_E_clISt17integral_constantIbLb0EES10_IbLb1EEEEDaSW_SX_EUlSW_E_NS1_11comp_targetILNS1_3genE2ELNS1_11target_archE906ELNS1_3gpuE6ELNS1_3repE0EEENS1_30default_config_static_selectorELNS0_4arch9wavefront6targetE1EEEvT1_,"axG",@progbits,_ZN7rocprim17ROCPRIM_400000_NS6detail17trampoline_kernelINS0_14default_configENS1_29reduce_by_key_config_selectorIxxN6thrust23THRUST_200600_302600_NS4plusIxEEEEZZNS1_33reduce_by_key_impl_wrapped_configILNS1_25lookback_scan_determinismE0ES3_S9_NS6_6detail15normal_iteratorINS6_10device_ptrIxEEEESG_SG_SG_PmS8_22is_equal_div_10_reduceIxEEE10hipError_tPvRmT2_T3_mT4_T5_T6_T7_T8_P12ihipStream_tbENKUlT_T0_E_clISt17integral_constantIbLb0EES10_IbLb1EEEEDaSW_SX_EUlSW_E_NS1_11comp_targetILNS1_3genE2ELNS1_11target_archE906ELNS1_3gpuE6ELNS1_3repE0EEENS1_30default_config_static_selectorELNS0_4arch9wavefront6targetE1EEEvT1_,comdat
	.protected	_ZN7rocprim17ROCPRIM_400000_NS6detail17trampoline_kernelINS0_14default_configENS1_29reduce_by_key_config_selectorIxxN6thrust23THRUST_200600_302600_NS4plusIxEEEEZZNS1_33reduce_by_key_impl_wrapped_configILNS1_25lookback_scan_determinismE0ES3_S9_NS6_6detail15normal_iteratorINS6_10device_ptrIxEEEESG_SG_SG_PmS8_22is_equal_div_10_reduceIxEEE10hipError_tPvRmT2_T3_mT4_T5_T6_T7_T8_P12ihipStream_tbENKUlT_T0_E_clISt17integral_constantIbLb0EES10_IbLb1EEEEDaSW_SX_EUlSW_E_NS1_11comp_targetILNS1_3genE2ELNS1_11target_archE906ELNS1_3gpuE6ELNS1_3repE0EEENS1_30default_config_static_selectorELNS0_4arch9wavefront6targetE1EEEvT1_ ; -- Begin function _ZN7rocprim17ROCPRIM_400000_NS6detail17trampoline_kernelINS0_14default_configENS1_29reduce_by_key_config_selectorIxxN6thrust23THRUST_200600_302600_NS4plusIxEEEEZZNS1_33reduce_by_key_impl_wrapped_configILNS1_25lookback_scan_determinismE0ES3_S9_NS6_6detail15normal_iteratorINS6_10device_ptrIxEEEESG_SG_SG_PmS8_22is_equal_div_10_reduceIxEEE10hipError_tPvRmT2_T3_mT4_T5_T6_T7_T8_P12ihipStream_tbENKUlT_T0_E_clISt17integral_constantIbLb0EES10_IbLb1EEEEDaSW_SX_EUlSW_E_NS1_11comp_targetILNS1_3genE2ELNS1_11target_archE906ELNS1_3gpuE6ELNS1_3repE0EEENS1_30default_config_static_selectorELNS0_4arch9wavefront6targetE1EEEvT1_
	.globl	_ZN7rocprim17ROCPRIM_400000_NS6detail17trampoline_kernelINS0_14default_configENS1_29reduce_by_key_config_selectorIxxN6thrust23THRUST_200600_302600_NS4plusIxEEEEZZNS1_33reduce_by_key_impl_wrapped_configILNS1_25lookback_scan_determinismE0ES3_S9_NS6_6detail15normal_iteratorINS6_10device_ptrIxEEEESG_SG_SG_PmS8_22is_equal_div_10_reduceIxEEE10hipError_tPvRmT2_T3_mT4_T5_T6_T7_T8_P12ihipStream_tbENKUlT_T0_E_clISt17integral_constantIbLb0EES10_IbLb1EEEEDaSW_SX_EUlSW_E_NS1_11comp_targetILNS1_3genE2ELNS1_11target_archE906ELNS1_3gpuE6ELNS1_3repE0EEENS1_30default_config_static_selectorELNS0_4arch9wavefront6targetE1EEEvT1_
	.p2align	8
	.type	_ZN7rocprim17ROCPRIM_400000_NS6detail17trampoline_kernelINS0_14default_configENS1_29reduce_by_key_config_selectorIxxN6thrust23THRUST_200600_302600_NS4plusIxEEEEZZNS1_33reduce_by_key_impl_wrapped_configILNS1_25lookback_scan_determinismE0ES3_S9_NS6_6detail15normal_iteratorINS6_10device_ptrIxEEEESG_SG_SG_PmS8_22is_equal_div_10_reduceIxEEE10hipError_tPvRmT2_T3_mT4_T5_T6_T7_T8_P12ihipStream_tbENKUlT_T0_E_clISt17integral_constantIbLb0EES10_IbLb1EEEEDaSW_SX_EUlSW_E_NS1_11comp_targetILNS1_3genE2ELNS1_11target_archE906ELNS1_3gpuE6ELNS1_3repE0EEENS1_30default_config_static_selectorELNS0_4arch9wavefront6targetE1EEEvT1_,@function
_ZN7rocprim17ROCPRIM_400000_NS6detail17trampoline_kernelINS0_14default_configENS1_29reduce_by_key_config_selectorIxxN6thrust23THRUST_200600_302600_NS4plusIxEEEEZZNS1_33reduce_by_key_impl_wrapped_configILNS1_25lookback_scan_determinismE0ES3_S9_NS6_6detail15normal_iteratorINS6_10device_ptrIxEEEESG_SG_SG_PmS8_22is_equal_div_10_reduceIxEEE10hipError_tPvRmT2_T3_mT4_T5_T6_T7_T8_P12ihipStream_tbENKUlT_T0_E_clISt17integral_constantIbLb0EES10_IbLb1EEEEDaSW_SX_EUlSW_E_NS1_11comp_targetILNS1_3genE2ELNS1_11target_archE906ELNS1_3gpuE6ELNS1_3repE0EEENS1_30default_config_static_selectorELNS0_4arch9wavefront6targetE1EEEvT1_: ; @_ZN7rocprim17ROCPRIM_400000_NS6detail17trampoline_kernelINS0_14default_configENS1_29reduce_by_key_config_selectorIxxN6thrust23THRUST_200600_302600_NS4plusIxEEEEZZNS1_33reduce_by_key_impl_wrapped_configILNS1_25lookback_scan_determinismE0ES3_S9_NS6_6detail15normal_iteratorINS6_10device_ptrIxEEEESG_SG_SG_PmS8_22is_equal_div_10_reduceIxEEE10hipError_tPvRmT2_T3_mT4_T5_T6_T7_T8_P12ihipStream_tbENKUlT_T0_E_clISt17integral_constantIbLb0EES10_IbLb1EEEEDaSW_SX_EUlSW_E_NS1_11comp_targetILNS1_3genE2ELNS1_11target_archE906ELNS1_3gpuE6ELNS1_3repE0EEENS1_30default_config_static_selectorELNS0_4arch9wavefront6targetE1EEEvT1_
; %bb.0:
	.section	.rodata,"a",@progbits
	.p2align	6, 0x0
	.amdhsa_kernel _ZN7rocprim17ROCPRIM_400000_NS6detail17trampoline_kernelINS0_14default_configENS1_29reduce_by_key_config_selectorIxxN6thrust23THRUST_200600_302600_NS4plusIxEEEEZZNS1_33reduce_by_key_impl_wrapped_configILNS1_25lookback_scan_determinismE0ES3_S9_NS6_6detail15normal_iteratorINS6_10device_ptrIxEEEESG_SG_SG_PmS8_22is_equal_div_10_reduceIxEEE10hipError_tPvRmT2_T3_mT4_T5_T6_T7_T8_P12ihipStream_tbENKUlT_T0_E_clISt17integral_constantIbLb0EES10_IbLb1EEEEDaSW_SX_EUlSW_E_NS1_11comp_targetILNS1_3genE2ELNS1_11target_archE906ELNS1_3gpuE6ELNS1_3repE0EEENS1_30default_config_static_selectorELNS0_4arch9wavefront6targetE1EEEvT1_
		.amdhsa_group_segment_fixed_size 0
		.amdhsa_private_segment_fixed_size 0
		.amdhsa_kernarg_size 136
		.amdhsa_user_sgpr_count 6
		.amdhsa_user_sgpr_private_segment_buffer 1
		.amdhsa_user_sgpr_dispatch_ptr 0
		.amdhsa_user_sgpr_queue_ptr 0
		.amdhsa_user_sgpr_kernarg_segment_ptr 1
		.amdhsa_user_sgpr_dispatch_id 0
		.amdhsa_user_sgpr_flat_scratch_init 0
		.amdhsa_user_sgpr_kernarg_preload_length 0
		.amdhsa_user_sgpr_kernarg_preload_offset 0
		.amdhsa_user_sgpr_private_segment_size 0
		.amdhsa_uses_dynamic_stack 0
		.amdhsa_system_sgpr_private_segment_wavefront_offset 0
		.amdhsa_system_sgpr_workgroup_id_x 1
		.amdhsa_system_sgpr_workgroup_id_y 0
		.amdhsa_system_sgpr_workgroup_id_z 0
		.amdhsa_system_sgpr_workgroup_info 0
		.amdhsa_system_vgpr_workitem_id 0
		.amdhsa_next_free_vgpr 1
		.amdhsa_next_free_sgpr 0
		.amdhsa_accum_offset 4
		.amdhsa_reserve_vcc 0
		.amdhsa_reserve_flat_scratch 0
		.amdhsa_float_round_mode_32 0
		.amdhsa_float_round_mode_16_64 0
		.amdhsa_float_denorm_mode_32 3
		.amdhsa_float_denorm_mode_16_64 3
		.amdhsa_dx10_clamp 1
		.amdhsa_ieee_mode 1
		.amdhsa_fp16_overflow 0
		.amdhsa_tg_split 0
		.amdhsa_exception_fp_ieee_invalid_op 0
		.amdhsa_exception_fp_denorm_src 0
		.amdhsa_exception_fp_ieee_div_zero 0
		.amdhsa_exception_fp_ieee_overflow 0
		.amdhsa_exception_fp_ieee_underflow 0
		.amdhsa_exception_fp_ieee_inexact 0
		.amdhsa_exception_int_div_zero 0
	.end_amdhsa_kernel
	.section	.text._ZN7rocprim17ROCPRIM_400000_NS6detail17trampoline_kernelINS0_14default_configENS1_29reduce_by_key_config_selectorIxxN6thrust23THRUST_200600_302600_NS4plusIxEEEEZZNS1_33reduce_by_key_impl_wrapped_configILNS1_25lookback_scan_determinismE0ES3_S9_NS6_6detail15normal_iteratorINS6_10device_ptrIxEEEESG_SG_SG_PmS8_22is_equal_div_10_reduceIxEEE10hipError_tPvRmT2_T3_mT4_T5_T6_T7_T8_P12ihipStream_tbENKUlT_T0_E_clISt17integral_constantIbLb0EES10_IbLb1EEEEDaSW_SX_EUlSW_E_NS1_11comp_targetILNS1_3genE2ELNS1_11target_archE906ELNS1_3gpuE6ELNS1_3repE0EEENS1_30default_config_static_selectorELNS0_4arch9wavefront6targetE1EEEvT1_,"axG",@progbits,_ZN7rocprim17ROCPRIM_400000_NS6detail17trampoline_kernelINS0_14default_configENS1_29reduce_by_key_config_selectorIxxN6thrust23THRUST_200600_302600_NS4plusIxEEEEZZNS1_33reduce_by_key_impl_wrapped_configILNS1_25lookback_scan_determinismE0ES3_S9_NS6_6detail15normal_iteratorINS6_10device_ptrIxEEEESG_SG_SG_PmS8_22is_equal_div_10_reduceIxEEE10hipError_tPvRmT2_T3_mT4_T5_T6_T7_T8_P12ihipStream_tbENKUlT_T0_E_clISt17integral_constantIbLb0EES10_IbLb1EEEEDaSW_SX_EUlSW_E_NS1_11comp_targetILNS1_3genE2ELNS1_11target_archE906ELNS1_3gpuE6ELNS1_3repE0EEENS1_30default_config_static_selectorELNS0_4arch9wavefront6targetE1EEEvT1_,comdat
.Lfunc_end539:
	.size	_ZN7rocprim17ROCPRIM_400000_NS6detail17trampoline_kernelINS0_14default_configENS1_29reduce_by_key_config_selectorIxxN6thrust23THRUST_200600_302600_NS4plusIxEEEEZZNS1_33reduce_by_key_impl_wrapped_configILNS1_25lookback_scan_determinismE0ES3_S9_NS6_6detail15normal_iteratorINS6_10device_ptrIxEEEESG_SG_SG_PmS8_22is_equal_div_10_reduceIxEEE10hipError_tPvRmT2_T3_mT4_T5_T6_T7_T8_P12ihipStream_tbENKUlT_T0_E_clISt17integral_constantIbLb0EES10_IbLb1EEEEDaSW_SX_EUlSW_E_NS1_11comp_targetILNS1_3genE2ELNS1_11target_archE906ELNS1_3gpuE6ELNS1_3repE0EEENS1_30default_config_static_selectorELNS0_4arch9wavefront6targetE1EEEvT1_, .Lfunc_end539-_ZN7rocprim17ROCPRIM_400000_NS6detail17trampoline_kernelINS0_14default_configENS1_29reduce_by_key_config_selectorIxxN6thrust23THRUST_200600_302600_NS4plusIxEEEEZZNS1_33reduce_by_key_impl_wrapped_configILNS1_25lookback_scan_determinismE0ES3_S9_NS6_6detail15normal_iteratorINS6_10device_ptrIxEEEESG_SG_SG_PmS8_22is_equal_div_10_reduceIxEEE10hipError_tPvRmT2_T3_mT4_T5_T6_T7_T8_P12ihipStream_tbENKUlT_T0_E_clISt17integral_constantIbLb0EES10_IbLb1EEEEDaSW_SX_EUlSW_E_NS1_11comp_targetILNS1_3genE2ELNS1_11target_archE906ELNS1_3gpuE6ELNS1_3repE0EEENS1_30default_config_static_selectorELNS0_4arch9wavefront6targetE1EEEvT1_
                                        ; -- End function
	.section	.AMDGPU.csdata,"",@progbits
; Kernel info:
; codeLenInByte = 0
; NumSgprs: 4
; NumVgprs: 0
; NumAgprs: 0
; TotalNumVgprs: 0
; ScratchSize: 0
; MemoryBound: 0
; FloatMode: 240
; IeeeMode: 1
; LDSByteSize: 0 bytes/workgroup (compile time only)
; SGPRBlocks: 0
; VGPRBlocks: 0
; NumSGPRsForWavesPerEU: 4
; NumVGPRsForWavesPerEU: 1
; AccumOffset: 4
; Occupancy: 8
; WaveLimiterHint : 0
; COMPUTE_PGM_RSRC2:SCRATCH_EN: 0
; COMPUTE_PGM_RSRC2:USER_SGPR: 6
; COMPUTE_PGM_RSRC2:TRAP_HANDLER: 0
; COMPUTE_PGM_RSRC2:TGID_X_EN: 1
; COMPUTE_PGM_RSRC2:TGID_Y_EN: 0
; COMPUTE_PGM_RSRC2:TGID_Z_EN: 0
; COMPUTE_PGM_RSRC2:TIDIG_COMP_CNT: 0
; COMPUTE_PGM_RSRC3_GFX90A:ACCUM_OFFSET: 0
; COMPUTE_PGM_RSRC3_GFX90A:TG_SPLIT: 0
	.section	.text._ZN7rocprim17ROCPRIM_400000_NS6detail17trampoline_kernelINS0_14default_configENS1_29reduce_by_key_config_selectorIxxN6thrust23THRUST_200600_302600_NS4plusIxEEEEZZNS1_33reduce_by_key_impl_wrapped_configILNS1_25lookback_scan_determinismE0ES3_S9_NS6_6detail15normal_iteratorINS6_10device_ptrIxEEEESG_SG_SG_PmS8_22is_equal_div_10_reduceIxEEE10hipError_tPvRmT2_T3_mT4_T5_T6_T7_T8_P12ihipStream_tbENKUlT_T0_E_clISt17integral_constantIbLb0EES10_IbLb1EEEEDaSW_SX_EUlSW_E_NS1_11comp_targetILNS1_3genE10ELNS1_11target_archE1201ELNS1_3gpuE5ELNS1_3repE0EEENS1_30default_config_static_selectorELNS0_4arch9wavefront6targetE1EEEvT1_,"axG",@progbits,_ZN7rocprim17ROCPRIM_400000_NS6detail17trampoline_kernelINS0_14default_configENS1_29reduce_by_key_config_selectorIxxN6thrust23THRUST_200600_302600_NS4plusIxEEEEZZNS1_33reduce_by_key_impl_wrapped_configILNS1_25lookback_scan_determinismE0ES3_S9_NS6_6detail15normal_iteratorINS6_10device_ptrIxEEEESG_SG_SG_PmS8_22is_equal_div_10_reduceIxEEE10hipError_tPvRmT2_T3_mT4_T5_T6_T7_T8_P12ihipStream_tbENKUlT_T0_E_clISt17integral_constantIbLb0EES10_IbLb1EEEEDaSW_SX_EUlSW_E_NS1_11comp_targetILNS1_3genE10ELNS1_11target_archE1201ELNS1_3gpuE5ELNS1_3repE0EEENS1_30default_config_static_selectorELNS0_4arch9wavefront6targetE1EEEvT1_,comdat
	.protected	_ZN7rocprim17ROCPRIM_400000_NS6detail17trampoline_kernelINS0_14default_configENS1_29reduce_by_key_config_selectorIxxN6thrust23THRUST_200600_302600_NS4plusIxEEEEZZNS1_33reduce_by_key_impl_wrapped_configILNS1_25lookback_scan_determinismE0ES3_S9_NS6_6detail15normal_iteratorINS6_10device_ptrIxEEEESG_SG_SG_PmS8_22is_equal_div_10_reduceIxEEE10hipError_tPvRmT2_T3_mT4_T5_T6_T7_T8_P12ihipStream_tbENKUlT_T0_E_clISt17integral_constantIbLb0EES10_IbLb1EEEEDaSW_SX_EUlSW_E_NS1_11comp_targetILNS1_3genE10ELNS1_11target_archE1201ELNS1_3gpuE5ELNS1_3repE0EEENS1_30default_config_static_selectorELNS0_4arch9wavefront6targetE1EEEvT1_ ; -- Begin function _ZN7rocprim17ROCPRIM_400000_NS6detail17trampoline_kernelINS0_14default_configENS1_29reduce_by_key_config_selectorIxxN6thrust23THRUST_200600_302600_NS4plusIxEEEEZZNS1_33reduce_by_key_impl_wrapped_configILNS1_25lookback_scan_determinismE0ES3_S9_NS6_6detail15normal_iteratorINS6_10device_ptrIxEEEESG_SG_SG_PmS8_22is_equal_div_10_reduceIxEEE10hipError_tPvRmT2_T3_mT4_T5_T6_T7_T8_P12ihipStream_tbENKUlT_T0_E_clISt17integral_constantIbLb0EES10_IbLb1EEEEDaSW_SX_EUlSW_E_NS1_11comp_targetILNS1_3genE10ELNS1_11target_archE1201ELNS1_3gpuE5ELNS1_3repE0EEENS1_30default_config_static_selectorELNS0_4arch9wavefront6targetE1EEEvT1_
	.globl	_ZN7rocprim17ROCPRIM_400000_NS6detail17trampoline_kernelINS0_14default_configENS1_29reduce_by_key_config_selectorIxxN6thrust23THRUST_200600_302600_NS4plusIxEEEEZZNS1_33reduce_by_key_impl_wrapped_configILNS1_25lookback_scan_determinismE0ES3_S9_NS6_6detail15normal_iteratorINS6_10device_ptrIxEEEESG_SG_SG_PmS8_22is_equal_div_10_reduceIxEEE10hipError_tPvRmT2_T3_mT4_T5_T6_T7_T8_P12ihipStream_tbENKUlT_T0_E_clISt17integral_constantIbLb0EES10_IbLb1EEEEDaSW_SX_EUlSW_E_NS1_11comp_targetILNS1_3genE10ELNS1_11target_archE1201ELNS1_3gpuE5ELNS1_3repE0EEENS1_30default_config_static_selectorELNS0_4arch9wavefront6targetE1EEEvT1_
	.p2align	8
	.type	_ZN7rocprim17ROCPRIM_400000_NS6detail17trampoline_kernelINS0_14default_configENS1_29reduce_by_key_config_selectorIxxN6thrust23THRUST_200600_302600_NS4plusIxEEEEZZNS1_33reduce_by_key_impl_wrapped_configILNS1_25lookback_scan_determinismE0ES3_S9_NS6_6detail15normal_iteratorINS6_10device_ptrIxEEEESG_SG_SG_PmS8_22is_equal_div_10_reduceIxEEE10hipError_tPvRmT2_T3_mT4_T5_T6_T7_T8_P12ihipStream_tbENKUlT_T0_E_clISt17integral_constantIbLb0EES10_IbLb1EEEEDaSW_SX_EUlSW_E_NS1_11comp_targetILNS1_3genE10ELNS1_11target_archE1201ELNS1_3gpuE5ELNS1_3repE0EEENS1_30default_config_static_selectorELNS0_4arch9wavefront6targetE1EEEvT1_,@function
_ZN7rocprim17ROCPRIM_400000_NS6detail17trampoline_kernelINS0_14default_configENS1_29reduce_by_key_config_selectorIxxN6thrust23THRUST_200600_302600_NS4plusIxEEEEZZNS1_33reduce_by_key_impl_wrapped_configILNS1_25lookback_scan_determinismE0ES3_S9_NS6_6detail15normal_iteratorINS6_10device_ptrIxEEEESG_SG_SG_PmS8_22is_equal_div_10_reduceIxEEE10hipError_tPvRmT2_T3_mT4_T5_T6_T7_T8_P12ihipStream_tbENKUlT_T0_E_clISt17integral_constantIbLb0EES10_IbLb1EEEEDaSW_SX_EUlSW_E_NS1_11comp_targetILNS1_3genE10ELNS1_11target_archE1201ELNS1_3gpuE5ELNS1_3repE0EEENS1_30default_config_static_selectorELNS0_4arch9wavefront6targetE1EEEvT1_: ; @_ZN7rocprim17ROCPRIM_400000_NS6detail17trampoline_kernelINS0_14default_configENS1_29reduce_by_key_config_selectorIxxN6thrust23THRUST_200600_302600_NS4plusIxEEEEZZNS1_33reduce_by_key_impl_wrapped_configILNS1_25lookback_scan_determinismE0ES3_S9_NS6_6detail15normal_iteratorINS6_10device_ptrIxEEEESG_SG_SG_PmS8_22is_equal_div_10_reduceIxEEE10hipError_tPvRmT2_T3_mT4_T5_T6_T7_T8_P12ihipStream_tbENKUlT_T0_E_clISt17integral_constantIbLb0EES10_IbLb1EEEEDaSW_SX_EUlSW_E_NS1_11comp_targetILNS1_3genE10ELNS1_11target_archE1201ELNS1_3gpuE5ELNS1_3repE0EEENS1_30default_config_static_selectorELNS0_4arch9wavefront6targetE1EEEvT1_
; %bb.0:
	.section	.rodata,"a",@progbits
	.p2align	6, 0x0
	.amdhsa_kernel _ZN7rocprim17ROCPRIM_400000_NS6detail17trampoline_kernelINS0_14default_configENS1_29reduce_by_key_config_selectorIxxN6thrust23THRUST_200600_302600_NS4plusIxEEEEZZNS1_33reduce_by_key_impl_wrapped_configILNS1_25lookback_scan_determinismE0ES3_S9_NS6_6detail15normal_iteratorINS6_10device_ptrIxEEEESG_SG_SG_PmS8_22is_equal_div_10_reduceIxEEE10hipError_tPvRmT2_T3_mT4_T5_T6_T7_T8_P12ihipStream_tbENKUlT_T0_E_clISt17integral_constantIbLb0EES10_IbLb1EEEEDaSW_SX_EUlSW_E_NS1_11comp_targetILNS1_3genE10ELNS1_11target_archE1201ELNS1_3gpuE5ELNS1_3repE0EEENS1_30default_config_static_selectorELNS0_4arch9wavefront6targetE1EEEvT1_
		.amdhsa_group_segment_fixed_size 0
		.amdhsa_private_segment_fixed_size 0
		.amdhsa_kernarg_size 136
		.amdhsa_user_sgpr_count 6
		.amdhsa_user_sgpr_private_segment_buffer 1
		.amdhsa_user_sgpr_dispatch_ptr 0
		.amdhsa_user_sgpr_queue_ptr 0
		.amdhsa_user_sgpr_kernarg_segment_ptr 1
		.amdhsa_user_sgpr_dispatch_id 0
		.amdhsa_user_sgpr_flat_scratch_init 0
		.amdhsa_user_sgpr_kernarg_preload_length 0
		.amdhsa_user_sgpr_kernarg_preload_offset 0
		.amdhsa_user_sgpr_private_segment_size 0
		.amdhsa_uses_dynamic_stack 0
		.amdhsa_system_sgpr_private_segment_wavefront_offset 0
		.amdhsa_system_sgpr_workgroup_id_x 1
		.amdhsa_system_sgpr_workgroup_id_y 0
		.amdhsa_system_sgpr_workgroup_id_z 0
		.amdhsa_system_sgpr_workgroup_info 0
		.amdhsa_system_vgpr_workitem_id 0
		.amdhsa_next_free_vgpr 1
		.amdhsa_next_free_sgpr 0
		.amdhsa_accum_offset 4
		.amdhsa_reserve_vcc 0
		.amdhsa_reserve_flat_scratch 0
		.amdhsa_float_round_mode_32 0
		.amdhsa_float_round_mode_16_64 0
		.amdhsa_float_denorm_mode_32 3
		.amdhsa_float_denorm_mode_16_64 3
		.amdhsa_dx10_clamp 1
		.amdhsa_ieee_mode 1
		.amdhsa_fp16_overflow 0
		.amdhsa_tg_split 0
		.amdhsa_exception_fp_ieee_invalid_op 0
		.amdhsa_exception_fp_denorm_src 0
		.amdhsa_exception_fp_ieee_div_zero 0
		.amdhsa_exception_fp_ieee_overflow 0
		.amdhsa_exception_fp_ieee_underflow 0
		.amdhsa_exception_fp_ieee_inexact 0
		.amdhsa_exception_int_div_zero 0
	.end_amdhsa_kernel
	.section	.text._ZN7rocprim17ROCPRIM_400000_NS6detail17trampoline_kernelINS0_14default_configENS1_29reduce_by_key_config_selectorIxxN6thrust23THRUST_200600_302600_NS4plusIxEEEEZZNS1_33reduce_by_key_impl_wrapped_configILNS1_25lookback_scan_determinismE0ES3_S9_NS6_6detail15normal_iteratorINS6_10device_ptrIxEEEESG_SG_SG_PmS8_22is_equal_div_10_reduceIxEEE10hipError_tPvRmT2_T3_mT4_T5_T6_T7_T8_P12ihipStream_tbENKUlT_T0_E_clISt17integral_constantIbLb0EES10_IbLb1EEEEDaSW_SX_EUlSW_E_NS1_11comp_targetILNS1_3genE10ELNS1_11target_archE1201ELNS1_3gpuE5ELNS1_3repE0EEENS1_30default_config_static_selectorELNS0_4arch9wavefront6targetE1EEEvT1_,"axG",@progbits,_ZN7rocprim17ROCPRIM_400000_NS6detail17trampoline_kernelINS0_14default_configENS1_29reduce_by_key_config_selectorIxxN6thrust23THRUST_200600_302600_NS4plusIxEEEEZZNS1_33reduce_by_key_impl_wrapped_configILNS1_25lookback_scan_determinismE0ES3_S9_NS6_6detail15normal_iteratorINS6_10device_ptrIxEEEESG_SG_SG_PmS8_22is_equal_div_10_reduceIxEEE10hipError_tPvRmT2_T3_mT4_T5_T6_T7_T8_P12ihipStream_tbENKUlT_T0_E_clISt17integral_constantIbLb0EES10_IbLb1EEEEDaSW_SX_EUlSW_E_NS1_11comp_targetILNS1_3genE10ELNS1_11target_archE1201ELNS1_3gpuE5ELNS1_3repE0EEENS1_30default_config_static_selectorELNS0_4arch9wavefront6targetE1EEEvT1_,comdat
.Lfunc_end540:
	.size	_ZN7rocprim17ROCPRIM_400000_NS6detail17trampoline_kernelINS0_14default_configENS1_29reduce_by_key_config_selectorIxxN6thrust23THRUST_200600_302600_NS4plusIxEEEEZZNS1_33reduce_by_key_impl_wrapped_configILNS1_25lookback_scan_determinismE0ES3_S9_NS6_6detail15normal_iteratorINS6_10device_ptrIxEEEESG_SG_SG_PmS8_22is_equal_div_10_reduceIxEEE10hipError_tPvRmT2_T3_mT4_T5_T6_T7_T8_P12ihipStream_tbENKUlT_T0_E_clISt17integral_constantIbLb0EES10_IbLb1EEEEDaSW_SX_EUlSW_E_NS1_11comp_targetILNS1_3genE10ELNS1_11target_archE1201ELNS1_3gpuE5ELNS1_3repE0EEENS1_30default_config_static_selectorELNS0_4arch9wavefront6targetE1EEEvT1_, .Lfunc_end540-_ZN7rocprim17ROCPRIM_400000_NS6detail17trampoline_kernelINS0_14default_configENS1_29reduce_by_key_config_selectorIxxN6thrust23THRUST_200600_302600_NS4plusIxEEEEZZNS1_33reduce_by_key_impl_wrapped_configILNS1_25lookback_scan_determinismE0ES3_S9_NS6_6detail15normal_iteratorINS6_10device_ptrIxEEEESG_SG_SG_PmS8_22is_equal_div_10_reduceIxEEE10hipError_tPvRmT2_T3_mT4_T5_T6_T7_T8_P12ihipStream_tbENKUlT_T0_E_clISt17integral_constantIbLb0EES10_IbLb1EEEEDaSW_SX_EUlSW_E_NS1_11comp_targetILNS1_3genE10ELNS1_11target_archE1201ELNS1_3gpuE5ELNS1_3repE0EEENS1_30default_config_static_selectorELNS0_4arch9wavefront6targetE1EEEvT1_
                                        ; -- End function
	.section	.AMDGPU.csdata,"",@progbits
; Kernel info:
; codeLenInByte = 0
; NumSgprs: 4
; NumVgprs: 0
; NumAgprs: 0
; TotalNumVgprs: 0
; ScratchSize: 0
; MemoryBound: 0
; FloatMode: 240
; IeeeMode: 1
; LDSByteSize: 0 bytes/workgroup (compile time only)
; SGPRBlocks: 0
; VGPRBlocks: 0
; NumSGPRsForWavesPerEU: 4
; NumVGPRsForWavesPerEU: 1
; AccumOffset: 4
; Occupancy: 8
; WaveLimiterHint : 0
; COMPUTE_PGM_RSRC2:SCRATCH_EN: 0
; COMPUTE_PGM_RSRC2:USER_SGPR: 6
; COMPUTE_PGM_RSRC2:TRAP_HANDLER: 0
; COMPUTE_PGM_RSRC2:TGID_X_EN: 1
; COMPUTE_PGM_RSRC2:TGID_Y_EN: 0
; COMPUTE_PGM_RSRC2:TGID_Z_EN: 0
; COMPUTE_PGM_RSRC2:TIDIG_COMP_CNT: 0
; COMPUTE_PGM_RSRC3_GFX90A:ACCUM_OFFSET: 0
; COMPUTE_PGM_RSRC3_GFX90A:TG_SPLIT: 0
	.section	.text._ZN7rocprim17ROCPRIM_400000_NS6detail17trampoline_kernelINS0_14default_configENS1_29reduce_by_key_config_selectorIxxN6thrust23THRUST_200600_302600_NS4plusIxEEEEZZNS1_33reduce_by_key_impl_wrapped_configILNS1_25lookback_scan_determinismE0ES3_S9_NS6_6detail15normal_iteratorINS6_10device_ptrIxEEEESG_SG_SG_PmS8_22is_equal_div_10_reduceIxEEE10hipError_tPvRmT2_T3_mT4_T5_T6_T7_T8_P12ihipStream_tbENKUlT_T0_E_clISt17integral_constantIbLb0EES10_IbLb1EEEEDaSW_SX_EUlSW_E_NS1_11comp_targetILNS1_3genE10ELNS1_11target_archE1200ELNS1_3gpuE4ELNS1_3repE0EEENS1_30default_config_static_selectorELNS0_4arch9wavefront6targetE1EEEvT1_,"axG",@progbits,_ZN7rocprim17ROCPRIM_400000_NS6detail17trampoline_kernelINS0_14default_configENS1_29reduce_by_key_config_selectorIxxN6thrust23THRUST_200600_302600_NS4plusIxEEEEZZNS1_33reduce_by_key_impl_wrapped_configILNS1_25lookback_scan_determinismE0ES3_S9_NS6_6detail15normal_iteratorINS6_10device_ptrIxEEEESG_SG_SG_PmS8_22is_equal_div_10_reduceIxEEE10hipError_tPvRmT2_T3_mT4_T5_T6_T7_T8_P12ihipStream_tbENKUlT_T0_E_clISt17integral_constantIbLb0EES10_IbLb1EEEEDaSW_SX_EUlSW_E_NS1_11comp_targetILNS1_3genE10ELNS1_11target_archE1200ELNS1_3gpuE4ELNS1_3repE0EEENS1_30default_config_static_selectorELNS0_4arch9wavefront6targetE1EEEvT1_,comdat
	.protected	_ZN7rocprim17ROCPRIM_400000_NS6detail17trampoline_kernelINS0_14default_configENS1_29reduce_by_key_config_selectorIxxN6thrust23THRUST_200600_302600_NS4plusIxEEEEZZNS1_33reduce_by_key_impl_wrapped_configILNS1_25lookback_scan_determinismE0ES3_S9_NS6_6detail15normal_iteratorINS6_10device_ptrIxEEEESG_SG_SG_PmS8_22is_equal_div_10_reduceIxEEE10hipError_tPvRmT2_T3_mT4_T5_T6_T7_T8_P12ihipStream_tbENKUlT_T0_E_clISt17integral_constantIbLb0EES10_IbLb1EEEEDaSW_SX_EUlSW_E_NS1_11comp_targetILNS1_3genE10ELNS1_11target_archE1200ELNS1_3gpuE4ELNS1_3repE0EEENS1_30default_config_static_selectorELNS0_4arch9wavefront6targetE1EEEvT1_ ; -- Begin function _ZN7rocprim17ROCPRIM_400000_NS6detail17trampoline_kernelINS0_14default_configENS1_29reduce_by_key_config_selectorIxxN6thrust23THRUST_200600_302600_NS4plusIxEEEEZZNS1_33reduce_by_key_impl_wrapped_configILNS1_25lookback_scan_determinismE0ES3_S9_NS6_6detail15normal_iteratorINS6_10device_ptrIxEEEESG_SG_SG_PmS8_22is_equal_div_10_reduceIxEEE10hipError_tPvRmT2_T3_mT4_T5_T6_T7_T8_P12ihipStream_tbENKUlT_T0_E_clISt17integral_constantIbLb0EES10_IbLb1EEEEDaSW_SX_EUlSW_E_NS1_11comp_targetILNS1_3genE10ELNS1_11target_archE1200ELNS1_3gpuE4ELNS1_3repE0EEENS1_30default_config_static_selectorELNS0_4arch9wavefront6targetE1EEEvT1_
	.globl	_ZN7rocprim17ROCPRIM_400000_NS6detail17trampoline_kernelINS0_14default_configENS1_29reduce_by_key_config_selectorIxxN6thrust23THRUST_200600_302600_NS4plusIxEEEEZZNS1_33reduce_by_key_impl_wrapped_configILNS1_25lookback_scan_determinismE0ES3_S9_NS6_6detail15normal_iteratorINS6_10device_ptrIxEEEESG_SG_SG_PmS8_22is_equal_div_10_reduceIxEEE10hipError_tPvRmT2_T3_mT4_T5_T6_T7_T8_P12ihipStream_tbENKUlT_T0_E_clISt17integral_constantIbLb0EES10_IbLb1EEEEDaSW_SX_EUlSW_E_NS1_11comp_targetILNS1_3genE10ELNS1_11target_archE1200ELNS1_3gpuE4ELNS1_3repE0EEENS1_30default_config_static_selectorELNS0_4arch9wavefront6targetE1EEEvT1_
	.p2align	8
	.type	_ZN7rocprim17ROCPRIM_400000_NS6detail17trampoline_kernelINS0_14default_configENS1_29reduce_by_key_config_selectorIxxN6thrust23THRUST_200600_302600_NS4plusIxEEEEZZNS1_33reduce_by_key_impl_wrapped_configILNS1_25lookback_scan_determinismE0ES3_S9_NS6_6detail15normal_iteratorINS6_10device_ptrIxEEEESG_SG_SG_PmS8_22is_equal_div_10_reduceIxEEE10hipError_tPvRmT2_T3_mT4_T5_T6_T7_T8_P12ihipStream_tbENKUlT_T0_E_clISt17integral_constantIbLb0EES10_IbLb1EEEEDaSW_SX_EUlSW_E_NS1_11comp_targetILNS1_3genE10ELNS1_11target_archE1200ELNS1_3gpuE4ELNS1_3repE0EEENS1_30default_config_static_selectorELNS0_4arch9wavefront6targetE1EEEvT1_,@function
_ZN7rocprim17ROCPRIM_400000_NS6detail17trampoline_kernelINS0_14default_configENS1_29reduce_by_key_config_selectorIxxN6thrust23THRUST_200600_302600_NS4plusIxEEEEZZNS1_33reduce_by_key_impl_wrapped_configILNS1_25lookback_scan_determinismE0ES3_S9_NS6_6detail15normal_iteratorINS6_10device_ptrIxEEEESG_SG_SG_PmS8_22is_equal_div_10_reduceIxEEE10hipError_tPvRmT2_T3_mT4_T5_T6_T7_T8_P12ihipStream_tbENKUlT_T0_E_clISt17integral_constantIbLb0EES10_IbLb1EEEEDaSW_SX_EUlSW_E_NS1_11comp_targetILNS1_3genE10ELNS1_11target_archE1200ELNS1_3gpuE4ELNS1_3repE0EEENS1_30default_config_static_selectorELNS0_4arch9wavefront6targetE1EEEvT1_: ; @_ZN7rocprim17ROCPRIM_400000_NS6detail17trampoline_kernelINS0_14default_configENS1_29reduce_by_key_config_selectorIxxN6thrust23THRUST_200600_302600_NS4plusIxEEEEZZNS1_33reduce_by_key_impl_wrapped_configILNS1_25lookback_scan_determinismE0ES3_S9_NS6_6detail15normal_iteratorINS6_10device_ptrIxEEEESG_SG_SG_PmS8_22is_equal_div_10_reduceIxEEE10hipError_tPvRmT2_T3_mT4_T5_T6_T7_T8_P12ihipStream_tbENKUlT_T0_E_clISt17integral_constantIbLb0EES10_IbLb1EEEEDaSW_SX_EUlSW_E_NS1_11comp_targetILNS1_3genE10ELNS1_11target_archE1200ELNS1_3gpuE4ELNS1_3repE0EEENS1_30default_config_static_selectorELNS0_4arch9wavefront6targetE1EEEvT1_
; %bb.0:
	.section	.rodata,"a",@progbits
	.p2align	6, 0x0
	.amdhsa_kernel _ZN7rocprim17ROCPRIM_400000_NS6detail17trampoline_kernelINS0_14default_configENS1_29reduce_by_key_config_selectorIxxN6thrust23THRUST_200600_302600_NS4plusIxEEEEZZNS1_33reduce_by_key_impl_wrapped_configILNS1_25lookback_scan_determinismE0ES3_S9_NS6_6detail15normal_iteratorINS6_10device_ptrIxEEEESG_SG_SG_PmS8_22is_equal_div_10_reduceIxEEE10hipError_tPvRmT2_T3_mT4_T5_T6_T7_T8_P12ihipStream_tbENKUlT_T0_E_clISt17integral_constantIbLb0EES10_IbLb1EEEEDaSW_SX_EUlSW_E_NS1_11comp_targetILNS1_3genE10ELNS1_11target_archE1200ELNS1_3gpuE4ELNS1_3repE0EEENS1_30default_config_static_selectorELNS0_4arch9wavefront6targetE1EEEvT1_
		.amdhsa_group_segment_fixed_size 0
		.amdhsa_private_segment_fixed_size 0
		.amdhsa_kernarg_size 136
		.amdhsa_user_sgpr_count 6
		.amdhsa_user_sgpr_private_segment_buffer 1
		.amdhsa_user_sgpr_dispatch_ptr 0
		.amdhsa_user_sgpr_queue_ptr 0
		.amdhsa_user_sgpr_kernarg_segment_ptr 1
		.amdhsa_user_sgpr_dispatch_id 0
		.amdhsa_user_sgpr_flat_scratch_init 0
		.amdhsa_user_sgpr_kernarg_preload_length 0
		.amdhsa_user_sgpr_kernarg_preload_offset 0
		.amdhsa_user_sgpr_private_segment_size 0
		.amdhsa_uses_dynamic_stack 0
		.amdhsa_system_sgpr_private_segment_wavefront_offset 0
		.amdhsa_system_sgpr_workgroup_id_x 1
		.amdhsa_system_sgpr_workgroup_id_y 0
		.amdhsa_system_sgpr_workgroup_id_z 0
		.amdhsa_system_sgpr_workgroup_info 0
		.amdhsa_system_vgpr_workitem_id 0
		.amdhsa_next_free_vgpr 1
		.amdhsa_next_free_sgpr 0
		.amdhsa_accum_offset 4
		.amdhsa_reserve_vcc 0
		.amdhsa_reserve_flat_scratch 0
		.amdhsa_float_round_mode_32 0
		.amdhsa_float_round_mode_16_64 0
		.amdhsa_float_denorm_mode_32 3
		.amdhsa_float_denorm_mode_16_64 3
		.amdhsa_dx10_clamp 1
		.amdhsa_ieee_mode 1
		.amdhsa_fp16_overflow 0
		.amdhsa_tg_split 0
		.amdhsa_exception_fp_ieee_invalid_op 0
		.amdhsa_exception_fp_denorm_src 0
		.amdhsa_exception_fp_ieee_div_zero 0
		.amdhsa_exception_fp_ieee_overflow 0
		.amdhsa_exception_fp_ieee_underflow 0
		.amdhsa_exception_fp_ieee_inexact 0
		.amdhsa_exception_int_div_zero 0
	.end_amdhsa_kernel
	.section	.text._ZN7rocprim17ROCPRIM_400000_NS6detail17trampoline_kernelINS0_14default_configENS1_29reduce_by_key_config_selectorIxxN6thrust23THRUST_200600_302600_NS4plusIxEEEEZZNS1_33reduce_by_key_impl_wrapped_configILNS1_25lookback_scan_determinismE0ES3_S9_NS6_6detail15normal_iteratorINS6_10device_ptrIxEEEESG_SG_SG_PmS8_22is_equal_div_10_reduceIxEEE10hipError_tPvRmT2_T3_mT4_T5_T6_T7_T8_P12ihipStream_tbENKUlT_T0_E_clISt17integral_constantIbLb0EES10_IbLb1EEEEDaSW_SX_EUlSW_E_NS1_11comp_targetILNS1_3genE10ELNS1_11target_archE1200ELNS1_3gpuE4ELNS1_3repE0EEENS1_30default_config_static_selectorELNS0_4arch9wavefront6targetE1EEEvT1_,"axG",@progbits,_ZN7rocprim17ROCPRIM_400000_NS6detail17trampoline_kernelINS0_14default_configENS1_29reduce_by_key_config_selectorIxxN6thrust23THRUST_200600_302600_NS4plusIxEEEEZZNS1_33reduce_by_key_impl_wrapped_configILNS1_25lookback_scan_determinismE0ES3_S9_NS6_6detail15normal_iteratorINS6_10device_ptrIxEEEESG_SG_SG_PmS8_22is_equal_div_10_reduceIxEEE10hipError_tPvRmT2_T3_mT4_T5_T6_T7_T8_P12ihipStream_tbENKUlT_T0_E_clISt17integral_constantIbLb0EES10_IbLb1EEEEDaSW_SX_EUlSW_E_NS1_11comp_targetILNS1_3genE10ELNS1_11target_archE1200ELNS1_3gpuE4ELNS1_3repE0EEENS1_30default_config_static_selectorELNS0_4arch9wavefront6targetE1EEEvT1_,comdat
.Lfunc_end541:
	.size	_ZN7rocprim17ROCPRIM_400000_NS6detail17trampoline_kernelINS0_14default_configENS1_29reduce_by_key_config_selectorIxxN6thrust23THRUST_200600_302600_NS4plusIxEEEEZZNS1_33reduce_by_key_impl_wrapped_configILNS1_25lookback_scan_determinismE0ES3_S9_NS6_6detail15normal_iteratorINS6_10device_ptrIxEEEESG_SG_SG_PmS8_22is_equal_div_10_reduceIxEEE10hipError_tPvRmT2_T3_mT4_T5_T6_T7_T8_P12ihipStream_tbENKUlT_T0_E_clISt17integral_constantIbLb0EES10_IbLb1EEEEDaSW_SX_EUlSW_E_NS1_11comp_targetILNS1_3genE10ELNS1_11target_archE1200ELNS1_3gpuE4ELNS1_3repE0EEENS1_30default_config_static_selectorELNS0_4arch9wavefront6targetE1EEEvT1_, .Lfunc_end541-_ZN7rocprim17ROCPRIM_400000_NS6detail17trampoline_kernelINS0_14default_configENS1_29reduce_by_key_config_selectorIxxN6thrust23THRUST_200600_302600_NS4plusIxEEEEZZNS1_33reduce_by_key_impl_wrapped_configILNS1_25lookback_scan_determinismE0ES3_S9_NS6_6detail15normal_iteratorINS6_10device_ptrIxEEEESG_SG_SG_PmS8_22is_equal_div_10_reduceIxEEE10hipError_tPvRmT2_T3_mT4_T5_T6_T7_T8_P12ihipStream_tbENKUlT_T0_E_clISt17integral_constantIbLb0EES10_IbLb1EEEEDaSW_SX_EUlSW_E_NS1_11comp_targetILNS1_3genE10ELNS1_11target_archE1200ELNS1_3gpuE4ELNS1_3repE0EEENS1_30default_config_static_selectorELNS0_4arch9wavefront6targetE1EEEvT1_
                                        ; -- End function
	.section	.AMDGPU.csdata,"",@progbits
; Kernel info:
; codeLenInByte = 0
; NumSgprs: 4
; NumVgprs: 0
; NumAgprs: 0
; TotalNumVgprs: 0
; ScratchSize: 0
; MemoryBound: 0
; FloatMode: 240
; IeeeMode: 1
; LDSByteSize: 0 bytes/workgroup (compile time only)
; SGPRBlocks: 0
; VGPRBlocks: 0
; NumSGPRsForWavesPerEU: 4
; NumVGPRsForWavesPerEU: 1
; AccumOffset: 4
; Occupancy: 8
; WaveLimiterHint : 0
; COMPUTE_PGM_RSRC2:SCRATCH_EN: 0
; COMPUTE_PGM_RSRC2:USER_SGPR: 6
; COMPUTE_PGM_RSRC2:TRAP_HANDLER: 0
; COMPUTE_PGM_RSRC2:TGID_X_EN: 1
; COMPUTE_PGM_RSRC2:TGID_Y_EN: 0
; COMPUTE_PGM_RSRC2:TGID_Z_EN: 0
; COMPUTE_PGM_RSRC2:TIDIG_COMP_CNT: 0
; COMPUTE_PGM_RSRC3_GFX90A:ACCUM_OFFSET: 0
; COMPUTE_PGM_RSRC3_GFX90A:TG_SPLIT: 0
	.section	.text._ZN7rocprim17ROCPRIM_400000_NS6detail17trampoline_kernelINS0_14default_configENS1_29reduce_by_key_config_selectorIxxN6thrust23THRUST_200600_302600_NS4plusIxEEEEZZNS1_33reduce_by_key_impl_wrapped_configILNS1_25lookback_scan_determinismE0ES3_S9_NS6_6detail15normal_iteratorINS6_10device_ptrIxEEEESG_SG_SG_PmS8_22is_equal_div_10_reduceIxEEE10hipError_tPvRmT2_T3_mT4_T5_T6_T7_T8_P12ihipStream_tbENKUlT_T0_E_clISt17integral_constantIbLb0EES10_IbLb1EEEEDaSW_SX_EUlSW_E_NS1_11comp_targetILNS1_3genE9ELNS1_11target_archE1100ELNS1_3gpuE3ELNS1_3repE0EEENS1_30default_config_static_selectorELNS0_4arch9wavefront6targetE1EEEvT1_,"axG",@progbits,_ZN7rocprim17ROCPRIM_400000_NS6detail17trampoline_kernelINS0_14default_configENS1_29reduce_by_key_config_selectorIxxN6thrust23THRUST_200600_302600_NS4plusIxEEEEZZNS1_33reduce_by_key_impl_wrapped_configILNS1_25lookback_scan_determinismE0ES3_S9_NS6_6detail15normal_iteratorINS6_10device_ptrIxEEEESG_SG_SG_PmS8_22is_equal_div_10_reduceIxEEE10hipError_tPvRmT2_T3_mT4_T5_T6_T7_T8_P12ihipStream_tbENKUlT_T0_E_clISt17integral_constantIbLb0EES10_IbLb1EEEEDaSW_SX_EUlSW_E_NS1_11comp_targetILNS1_3genE9ELNS1_11target_archE1100ELNS1_3gpuE3ELNS1_3repE0EEENS1_30default_config_static_selectorELNS0_4arch9wavefront6targetE1EEEvT1_,comdat
	.protected	_ZN7rocprim17ROCPRIM_400000_NS6detail17trampoline_kernelINS0_14default_configENS1_29reduce_by_key_config_selectorIxxN6thrust23THRUST_200600_302600_NS4plusIxEEEEZZNS1_33reduce_by_key_impl_wrapped_configILNS1_25lookback_scan_determinismE0ES3_S9_NS6_6detail15normal_iteratorINS6_10device_ptrIxEEEESG_SG_SG_PmS8_22is_equal_div_10_reduceIxEEE10hipError_tPvRmT2_T3_mT4_T5_T6_T7_T8_P12ihipStream_tbENKUlT_T0_E_clISt17integral_constantIbLb0EES10_IbLb1EEEEDaSW_SX_EUlSW_E_NS1_11comp_targetILNS1_3genE9ELNS1_11target_archE1100ELNS1_3gpuE3ELNS1_3repE0EEENS1_30default_config_static_selectorELNS0_4arch9wavefront6targetE1EEEvT1_ ; -- Begin function _ZN7rocprim17ROCPRIM_400000_NS6detail17trampoline_kernelINS0_14default_configENS1_29reduce_by_key_config_selectorIxxN6thrust23THRUST_200600_302600_NS4plusIxEEEEZZNS1_33reduce_by_key_impl_wrapped_configILNS1_25lookback_scan_determinismE0ES3_S9_NS6_6detail15normal_iteratorINS6_10device_ptrIxEEEESG_SG_SG_PmS8_22is_equal_div_10_reduceIxEEE10hipError_tPvRmT2_T3_mT4_T5_T6_T7_T8_P12ihipStream_tbENKUlT_T0_E_clISt17integral_constantIbLb0EES10_IbLb1EEEEDaSW_SX_EUlSW_E_NS1_11comp_targetILNS1_3genE9ELNS1_11target_archE1100ELNS1_3gpuE3ELNS1_3repE0EEENS1_30default_config_static_selectorELNS0_4arch9wavefront6targetE1EEEvT1_
	.globl	_ZN7rocprim17ROCPRIM_400000_NS6detail17trampoline_kernelINS0_14default_configENS1_29reduce_by_key_config_selectorIxxN6thrust23THRUST_200600_302600_NS4plusIxEEEEZZNS1_33reduce_by_key_impl_wrapped_configILNS1_25lookback_scan_determinismE0ES3_S9_NS6_6detail15normal_iteratorINS6_10device_ptrIxEEEESG_SG_SG_PmS8_22is_equal_div_10_reduceIxEEE10hipError_tPvRmT2_T3_mT4_T5_T6_T7_T8_P12ihipStream_tbENKUlT_T0_E_clISt17integral_constantIbLb0EES10_IbLb1EEEEDaSW_SX_EUlSW_E_NS1_11comp_targetILNS1_3genE9ELNS1_11target_archE1100ELNS1_3gpuE3ELNS1_3repE0EEENS1_30default_config_static_selectorELNS0_4arch9wavefront6targetE1EEEvT1_
	.p2align	8
	.type	_ZN7rocprim17ROCPRIM_400000_NS6detail17trampoline_kernelINS0_14default_configENS1_29reduce_by_key_config_selectorIxxN6thrust23THRUST_200600_302600_NS4plusIxEEEEZZNS1_33reduce_by_key_impl_wrapped_configILNS1_25lookback_scan_determinismE0ES3_S9_NS6_6detail15normal_iteratorINS6_10device_ptrIxEEEESG_SG_SG_PmS8_22is_equal_div_10_reduceIxEEE10hipError_tPvRmT2_T3_mT4_T5_T6_T7_T8_P12ihipStream_tbENKUlT_T0_E_clISt17integral_constantIbLb0EES10_IbLb1EEEEDaSW_SX_EUlSW_E_NS1_11comp_targetILNS1_3genE9ELNS1_11target_archE1100ELNS1_3gpuE3ELNS1_3repE0EEENS1_30default_config_static_selectorELNS0_4arch9wavefront6targetE1EEEvT1_,@function
_ZN7rocprim17ROCPRIM_400000_NS6detail17trampoline_kernelINS0_14default_configENS1_29reduce_by_key_config_selectorIxxN6thrust23THRUST_200600_302600_NS4plusIxEEEEZZNS1_33reduce_by_key_impl_wrapped_configILNS1_25lookback_scan_determinismE0ES3_S9_NS6_6detail15normal_iteratorINS6_10device_ptrIxEEEESG_SG_SG_PmS8_22is_equal_div_10_reduceIxEEE10hipError_tPvRmT2_T3_mT4_T5_T6_T7_T8_P12ihipStream_tbENKUlT_T0_E_clISt17integral_constantIbLb0EES10_IbLb1EEEEDaSW_SX_EUlSW_E_NS1_11comp_targetILNS1_3genE9ELNS1_11target_archE1100ELNS1_3gpuE3ELNS1_3repE0EEENS1_30default_config_static_selectorELNS0_4arch9wavefront6targetE1EEEvT1_: ; @_ZN7rocprim17ROCPRIM_400000_NS6detail17trampoline_kernelINS0_14default_configENS1_29reduce_by_key_config_selectorIxxN6thrust23THRUST_200600_302600_NS4plusIxEEEEZZNS1_33reduce_by_key_impl_wrapped_configILNS1_25lookback_scan_determinismE0ES3_S9_NS6_6detail15normal_iteratorINS6_10device_ptrIxEEEESG_SG_SG_PmS8_22is_equal_div_10_reduceIxEEE10hipError_tPvRmT2_T3_mT4_T5_T6_T7_T8_P12ihipStream_tbENKUlT_T0_E_clISt17integral_constantIbLb0EES10_IbLb1EEEEDaSW_SX_EUlSW_E_NS1_11comp_targetILNS1_3genE9ELNS1_11target_archE1100ELNS1_3gpuE3ELNS1_3repE0EEENS1_30default_config_static_selectorELNS0_4arch9wavefront6targetE1EEEvT1_
; %bb.0:
	.section	.rodata,"a",@progbits
	.p2align	6, 0x0
	.amdhsa_kernel _ZN7rocprim17ROCPRIM_400000_NS6detail17trampoline_kernelINS0_14default_configENS1_29reduce_by_key_config_selectorIxxN6thrust23THRUST_200600_302600_NS4plusIxEEEEZZNS1_33reduce_by_key_impl_wrapped_configILNS1_25lookback_scan_determinismE0ES3_S9_NS6_6detail15normal_iteratorINS6_10device_ptrIxEEEESG_SG_SG_PmS8_22is_equal_div_10_reduceIxEEE10hipError_tPvRmT2_T3_mT4_T5_T6_T7_T8_P12ihipStream_tbENKUlT_T0_E_clISt17integral_constantIbLb0EES10_IbLb1EEEEDaSW_SX_EUlSW_E_NS1_11comp_targetILNS1_3genE9ELNS1_11target_archE1100ELNS1_3gpuE3ELNS1_3repE0EEENS1_30default_config_static_selectorELNS0_4arch9wavefront6targetE1EEEvT1_
		.amdhsa_group_segment_fixed_size 0
		.amdhsa_private_segment_fixed_size 0
		.amdhsa_kernarg_size 136
		.amdhsa_user_sgpr_count 6
		.amdhsa_user_sgpr_private_segment_buffer 1
		.amdhsa_user_sgpr_dispatch_ptr 0
		.amdhsa_user_sgpr_queue_ptr 0
		.amdhsa_user_sgpr_kernarg_segment_ptr 1
		.amdhsa_user_sgpr_dispatch_id 0
		.amdhsa_user_sgpr_flat_scratch_init 0
		.amdhsa_user_sgpr_kernarg_preload_length 0
		.amdhsa_user_sgpr_kernarg_preload_offset 0
		.amdhsa_user_sgpr_private_segment_size 0
		.amdhsa_uses_dynamic_stack 0
		.amdhsa_system_sgpr_private_segment_wavefront_offset 0
		.amdhsa_system_sgpr_workgroup_id_x 1
		.amdhsa_system_sgpr_workgroup_id_y 0
		.amdhsa_system_sgpr_workgroup_id_z 0
		.amdhsa_system_sgpr_workgroup_info 0
		.amdhsa_system_vgpr_workitem_id 0
		.amdhsa_next_free_vgpr 1
		.amdhsa_next_free_sgpr 0
		.amdhsa_accum_offset 4
		.amdhsa_reserve_vcc 0
		.amdhsa_reserve_flat_scratch 0
		.amdhsa_float_round_mode_32 0
		.amdhsa_float_round_mode_16_64 0
		.amdhsa_float_denorm_mode_32 3
		.amdhsa_float_denorm_mode_16_64 3
		.amdhsa_dx10_clamp 1
		.amdhsa_ieee_mode 1
		.amdhsa_fp16_overflow 0
		.amdhsa_tg_split 0
		.amdhsa_exception_fp_ieee_invalid_op 0
		.amdhsa_exception_fp_denorm_src 0
		.amdhsa_exception_fp_ieee_div_zero 0
		.amdhsa_exception_fp_ieee_overflow 0
		.amdhsa_exception_fp_ieee_underflow 0
		.amdhsa_exception_fp_ieee_inexact 0
		.amdhsa_exception_int_div_zero 0
	.end_amdhsa_kernel
	.section	.text._ZN7rocprim17ROCPRIM_400000_NS6detail17trampoline_kernelINS0_14default_configENS1_29reduce_by_key_config_selectorIxxN6thrust23THRUST_200600_302600_NS4plusIxEEEEZZNS1_33reduce_by_key_impl_wrapped_configILNS1_25lookback_scan_determinismE0ES3_S9_NS6_6detail15normal_iteratorINS6_10device_ptrIxEEEESG_SG_SG_PmS8_22is_equal_div_10_reduceIxEEE10hipError_tPvRmT2_T3_mT4_T5_T6_T7_T8_P12ihipStream_tbENKUlT_T0_E_clISt17integral_constantIbLb0EES10_IbLb1EEEEDaSW_SX_EUlSW_E_NS1_11comp_targetILNS1_3genE9ELNS1_11target_archE1100ELNS1_3gpuE3ELNS1_3repE0EEENS1_30default_config_static_selectorELNS0_4arch9wavefront6targetE1EEEvT1_,"axG",@progbits,_ZN7rocprim17ROCPRIM_400000_NS6detail17trampoline_kernelINS0_14default_configENS1_29reduce_by_key_config_selectorIxxN6thrust23THRUST_200600_302600_NS4plusIxEEEEZZNS1_33reduce_by_key_impl_wrapped_configILNS1_25lookback_scan_determinismE0ES3_S9_NS6_6detail15normal_iteratorINS6_10device_ptrIxEEEESG_SG_SG_PmS8_22is_equal_div_10_reduceIxEEE10hipError_tPvRmT2_T3_mT4_T5_T6_T7_T8_P12ihipStream_tbENKUlT_T0_E_clISt17integral_constantIbLb0EES10_IbLb1EEEEDaSW_SX_EUlSW_E_NS1_11comp_targetILNS1_3genE9ELNS1_11target_archE1100ELNS1_3gpuE3ELNS1_3repE0EEENS1_30default_config_static_selectorELNS0_4arch9wavefront6targetE1EEEvT1_,comdat
.Lfunc_end542:
	.size	_ZN7rocprim17ROCPRIM_400000_NS6detail17trampoline_kernelINS0_14default_configENS1_29reduce_by_key_config_selectorIxxN6thrust23THRUST_200600_302600_NS4plusIxEEEEZZNS1_33reduce_by_key_impl_wrapped_configILNS1_25lookback_scan_determinismE0ES3_S9_NS6_6detail15normal_iteratorINS6_10device_ptrIxEEEESG_SG_SG_PmS8_22is_equal_div_10_reduceIxEEE10hipError_tPvRmT2_T3_mT4_T5_T6_T7_T8_P12ihipStream_tbENKUlT_T0_E_clISt17integral_constantIbLb0EES10_IbLb1EEEEDaSW_SX_EUlSW_E_NS1_11comp_targetILNS1_3genE9ELNS1_11target_archE1100ELNS1_3gpuE3ELNS1_3repE0EEENS1_30default_config_static_selectorELNS0_4arch9wavefront6targetE1EEEvT1_, .Lfunc_end542-_ZN7rocprim17ROCPRIM_400000_NS6detail17trampoline_kernelINS0_14default_configENS1_29reduce_by_key_config_selectorIxxN6thrust23THRUST_200600_302600_NS4plusIxEEEEZZNS1_33reduce_by_key_impl_wrapped_configILNS1_25lookback_scan_determinismE0ES3_S9_NS6_6detail15normal_iteratorINS6_10device_ptrIxEEEESG_SG_SG_PmS8_22is_equal_div_10_reduceIxEEE10hipError_tPvRmT2_T3_mT4_T5_T6_T7_T8_P12ihipStream_tbENKUlT_T0_E_clISt17integral_constantIbLb0EES10_IbLb1EEEEDaSW_SX_EUlSW_E_NS1_11comp_targetILNS1_3genE9ELNS1_11target_archE1100ELNS1_3gpuE3ELNS1_3repE0EEENS1_30default_config_static_selectorELNS0_4arch9wavefront6targetE1EEEvT1_
                                        ; -- End function
	.section	.AMDGPU.csdata,"",@progbits
; Kernel info:
; codeLenInByte = 0
; NumSgprs: 4
; NumVgprs: 0
; NumAgprs: 0
; TotalNumVgprs: 0
; ScratchSize: 0
; MemoryBound: 0
; FloatMode: 240
; IeeeMode: 1
; LDSByteSize: 0 bytes/workgroup (compile time only)
; SGPRBlocks: 0
; VGPRBlocks: 0
; NumSGPRsForWavesPerEU: 4
; NumVGPRsForWavesPerEU: 1
; AccumOffset: 4
; Occupancy: 8
; WaveLimiterHint : 0
; COMPUTE_PGM_RSRC2:SCRATCH_EN: 0
; COMPUTE_PGM_RSRC2:USER_SGPR: 6
; COMPUTE_PGM_RSRC2:TRAP_HANDLER: 0
; COMPUTE_PGM_RSRC2:TGID_X_EN: 1
; COMPUTE_PGM_RSRC2:TGID_Y_EN: 0
; COMPUTE_PGM_RSRC2:TGID_Z_EN: 0
; COMPUTE_PGM_RSRC2:TIDIG_COMP_CNT: 0
; COMPUTE_PGM_RSRC3_GFX90A:ACCUM_OFFSET: 0
; COMPUTE_PGM_RSRC3_GFX90A:TG_SPLIT: 0
	.section	.text._ZN7rocprim17ROCPRIM_400000_NS6detail17trampoline_kernelINS0_14default_configENS1_29reduce_by_key_config_selectorIxxN6thrust23THRUST_200600_302600_NS4plusIxEEEEZZNS1_33reduce_by_key_impl_wrapped_configILNS1_25lookback_scan_determinismE0ES3_S9_NS6_6detail15normal_iteratorINS6_10device_ptrIxEEEESG_SG_SG_PmS8_22is_equal_div_10_reduceIxEEE10hipError_tPvRmT2_T3_mT4_T5_T6_T7_T8_P12ihipStream_tbENKUlT_T0_E_clISt17integral_constantIbLb0EES10_IbLb1EEEEDaSW_SX_EUlSW_E_NS1_11comp_targetILNS1_3genE8ELNS1_11target_archE1030ELNS1_3gpuE2ELNS1_3repE0EEENS1_30default_config_static_selectorELNS0_4arch9wavefront6targetE1EEEvT1_,"axG",@progbits,_ZN7rocprim17ROCPRIM_400000_NS6detail17trampoline_kernelINS0_14default_configENS1_29reduce_by_key_config_selectorIxxN6thrust23THRUST_200600_302600_NS4plusIxEEEEZZNS1_33reduce_by_key_impl_wrapped_configILNS1_25lookback_scan_determinismE0ES3_S9_NS6_6detail15normal_iteratorINS6_10device_ptrIxEEEESG_SG_SG_PmS8_22is_equal_div_10_reduceIxEEE10hipError_tPvRmT2_T3_mT4_T5_T6_T7_T8_P12ihipStream_tbENKUlT_T0_E_clISt17integral_constantIbLb0EES10_IbLb1EEEEDaSW_SX_EUlSW_E_NS1_11comp_targetILNS1_3genE8ELNS1_11target_archE1030ELNS1_3gpuE2ELNS1_3repE0EEENS1_30default_config_static_selectorELNS0_4arch9wavefront6targetE1EEEvT1_,comdat
	.protected	_ZN7rocprim17ROCPRIM_400000_NS6detail17trampoline_kernelINS0_14default_configENS1_29reduce_by_key_config_selectorIxxN6thrust23THRUST_200600_302600_NS4plusIxEEEEZZNS1_33reduce_by_key_impl_wrapped_configILNS1_25lookback_scan_determinismE0ES3_S9_NS6_6detail15normal_iteratorINS6_10device_ptrIxEEEESG_SG_SG_PmS8_22is_equal_div_10_reduceIxEEE10hipError_tPvRmT2_T3_mT4_T5_T6_T7_T8_P12ihipStream_tbENKUlT_T0_E_clISt17integral_constantIbLb0EES10_IbLb1EEEEDaSW_SX_EUlSW_E_NS1_11comp_targetILNS1_3genE8ELNS1_11target_archE1030ELNS1_3gpuE2ELNS1_3repE0EEENS1_30default_config_static_selectorELNS0_4arch9wavefront6targetE1EEEvT1_ ; -- Begin function _ZN7rocprim17ROCPRIM_400000_NS6detail17trampoline_kernelINS0_14default_configENS1_29reduce_by_key_config_selectorIxxN6thrust23THRUST_200600_302600_NS4plusIxEEEEZZNS1_33reduce_by_key_impl_wrapped_configILNS1_25lookback_scan_determinismE0ES3_S9_NS6_6detail15normal_iteratorINS6_10device_ptrIxEEEESG_SG_SG_PmS8_22is_equal_div_10_reduceIxEEE10hipError_tPvRmT2_T3_mT4_T5_T6_T7_T8_P12ihipStream_tbENKUlT_T0_E_clISt17integral_constantIbLb0EES10_IbLb1EEEEDaSW_SX_EUlSW_E_NS1_11comp_targetILNS1_3genE8ELNS1_11target_archE1030ELNS1_3gpuE2ELNS1_3repE0EEENS1_30default_config_static_selectorELNS0_4arch9wavefront6targetE1EEEvT1_
	.globl	_ZN7rocprim17ROCPRIM_400000_NS6detail17trampoline_kernelINS0_14default_configENS1_29reduce_by_key_config_selectorIxxN6thrust23THRUST_200600_302600_NS4plusIxEEEEZZNS1_33reduce_by_key_impl_wrapped_configILNS1_25lookback_scan_determinismE0ES3_S9_NS6_6detail15normal_iteratorINS6_10device_ptrIxEEEESG_SG_SG_PmS8_22is_equal_div_10_reduceIxEEE10hipError_tPvRmT2_T3_mT4_T5_T6_T7_T8_P12ihipStream_tbENKUlT_T0_E_clISt17integral_constantIbLb0EES10_IbLb1EEEEDaSW_SX_EUlSW_E_NS1_11comp_targetILNS1_3genE8ELNS1_11target_archE1030ELNS1_3gpuE2ELNS1_3repE0EEENS1_30default_config_static_selectorELNS0_4arch9wavefront6targetE1EEEvT1_
	.p2align	8
	.type	_ZN7rocprim17ROCPRIM_400000_NS6detail17trampoline_kernelINS0_14default_configENS1_29reduce_by_key_config_selectorIxxN6thrust23THRUST_200600_302600_NS4plusIxEEEEZZNS1_33reduce_by_key_impl_wrapped_configILNS1_25lookback_scan_determinismE0ES3_S9_NS6_6detail15normal_iteratorINS6_10device_ptrIxEEEESG_SG_SG_PmS8_22is_equal_div_10_reduceIxEEE10hipError_tPvRmT2_T3_mT4_T5_T6_T7_T8_P12ihipStream_tbENKUlT_T0_E_clISt17integral_constantIbLb0EES10_IbLb1EEEEDaSW_SX_EUlSW_E_NS1_11comp_targetILNS1_3genE8ELNS1_11target_archE1030ELNS1_3gpuE2ELNS1_3repE0EEENS1_30default_config_static_selectorELNS0_4arch9wavefront6targetE1EEEvT1_,@function
_ZN7rocprim17ROCPRIM_400000_NS6detail17trampoline_kernelINS0_14default_configENS1_29reduce_by_key_config_selectorIxxN6thrust23THRUST_200600_302600_NS4plusIxEEEEZZNS1_33reduce_by_key_impl_wrapped_configILNS1_25lookback_scan_determinismE0ES3_S9_NS6_6detail15normal_iteratorINS6_10device_ptrIxEEEESG_SG_SG_PmS8_22is_equal_div_10_reduceIxEEE10hipError_tPvRmT2_T3_mT4_T5_T6_T7_T8_P12ihipStream_tbENKUlT_T0_E_clISt17integral_constantIbLb0EES10_IbLb1EEEEDaSW_SX_EUlSW_E_NS1_11comp_targetILNS1_3genE8ELNS1_11target_archE1030ELNS1_3gpuE2ELNS1_3repE0EEENS1_30default_config_static_selectorELNS0_4arch9wavefront6targetE1EEEvT1_: ; @_ZN7rocprim17ROCPRIM_400000_NS6detail17trampoline_kernelINS0_14default_configENS1_29reduce_by_key_config_selectorIxxN6thrust23THRUST_200600_302600_NS4plusIxEEEEZZNS1_33reduce_by_key_impl_wrapped_configILNS1_25lookback_scan_determinismE0ES3_S9_NS6_6detail15normal_iteratorINS6_10device_ptrIxEEEESG_SG_SG_PmS8_22is_equal_div_10_reduceIxEEE10hipError_tPvRmT2_T3_mT4_T5_T6_T7_T8_P12ihipStream_tbENKUlT_T0_E_clISt17integral_constantIbLb0EES10_IbLb1EEEEDaSW_SX_EUlSW_E_NS1_11comp_targetILNS1_3genE8ELNS1_11target_archE1030ELNS1_3gpuE2ELNS1_3repE0EEENS1_30default_config_static_selectorELNS0_4arch9wavefront6targetE1EEEvT1_
; %bb.0:
	.section	.rodata,"a",@progbits
	.p2align	6, 0x0
	.amdhsa_kernel _ZN7rocprim17ROCPRIM_400000_NS6detail17trampoline_kernelINS0_14default_configENS1_29reduce_by_key_config_selectorIxxN6thrust23THRUST_200600_302600_NS4plusIxEEEEZZNS1_33reduce_by_key_impl_wrapped_configILNS1_25lookback_scan_determinismE0ES3_S9_NS6_6detail15normal_iteratorINS6_10device_ptrIxEEEESG_SG_SG_PmS8_22is_equal_div_10_reduceIxEEE10hipError_tPvRmT2_T3_mT4_T5_T6_T7_T8_P12ihipStream_tbENKUlT_T0_E_clISt17integral_constantIbLb0EES10_IbLb1EEEEDaSW_SX_EUlSW_E_NS1_11comp_targetILNS1_3genE8ELNS1_11target_archE1030ELNS1_3gpuE2ELNS1_3repE0EEENS1_30default_config_static_selectorELNS0_4arch9wavefront6targetE1EEEvT1_
		.amdhsa_group_segment_fixed_size 0
		.amdhsa_private_segment_fixed_size 0
		.amdhsa_kernarg_size 136
		.amdhsa_user_sgpr_count 6
		.amdhsa_user_sgpr_private_segment_buffer 1
		.amdhsa_user_sgpr_dispatch_ptr 0
		.amdhsa_user_sgpr_queue_ptr 0
		.amdhsa_user_sgpr_kernarg_segment_ptr 1
		.amdhsa_user_sgpr_dispatch_id 0
		.amdhsa_user_sgpr_flat_scratch_init 0
		.amdhsa_user_sgpr_kernarg_preload_length 0
		.amdhsa_user_sgpr_kernarg_preload_offset 0
		.amdhsa_user_sgpr_private_segment_size 0
		.amdhsa_uses_dynamic_stack 0
		.amdhsa_system_sgpr_private_segment_wavefront_offset 0
		.amdhsa_system_sgpr_workgroup_id_x 1
		.amdhsa_system_sgpr_workgroup_id_y 0
		.amdhsa_system_sgpr_workgroup_id_z 0
		.amdhsa_system_sgpr_workgroup_info 0
		.amdhsa_system_vgpr_workitem_id 0
		.amdhsa_next_free_vgpr 1
		.amdhsa_next_free_sgpr 0
		.amdhsa_accum_offset 4
		.amdhsa_reserve_vcc 0
		.amdhsa_reserve_flat_scratch 0
		.amdhsa_float_round_mode_32 0
		.amdhsa_float_round_mode_16_64 0
		.amdhsa_float_denorm_mode_32 3
		.amdhsa_float_denorm_mode_16_64 3
		.amdhsa_dx10_clamp 1
		.amdhsa_ieee_mode 1
		.amdhsa_fp16_overflow 0
		.amdhsa_tg_split 0
		.amdhsa_exception_fp_ieee_invalid_op 0
		.amdhsa_exception_fp_denorm_src 0
		.amdhsa_exception_fp_ieee_div_zero 0
		.amdhsa_exception_fp_ieee_overflow 0
		.amdhsa_exception_fp_ieee_underflow 0
		.amdhsa_exception_fp_ieee_inexact 0
		.amdhsa_exception_int_div_zero 0
	.end_amdhsa_kernel
	.section	.text._ZN7rocprim17ROCPRIM_400000_NS6detail17trampoline_kernelINS0_14default_configENS1_29reduce_by_key_config_selectorIxxN6thrust23THRUST_200600_302600_NS4plusIxEEEEZZNS1_33reduce_by_key_impl_wrapped_configILNS1_25lookback_scan_determinismE0ES3_S9_NS6_6detail15normal_iteratorINS6_10device_ptrIxEEEESG_SG_SG_PmS8_22is_equal_div_10_reduceIxEEE10hipError_tPvRmT2_T3_mT4_T5_T6_T7_T8_P12ihipStream_tbENKUlT_T0_E_clISt17integral_constantIbLb0EES10_IbLb1EEEEDaSW_SX_EUlSW_E_NS1_11comp_targetILNS1_3genE8ELNS1_11target_archE1030ELNS1_3gpuE2ELNS1_3repE0EEENS1_30default_config_static_selectorELNS0_4arch9wavefront6targetE1EEEvT1_,"axG",@progbits,_ZN7rocprim17ROCPRIM_400000_NS6detail17trampoline_kernelINS0_14default_configENS1_29reduce_by_key_config_selectorIxxN6thrust23THRUST_200600_302600_NS4plusIxEEEEZZNS1_33reduce_by_key_impl_wrapped_configILNS1_25lookback_scan_determinismE0ES3_S9_NS6_6detail15normal_iteratorINS6_10device_ptrIxEEEESG_SG_SG_PmS8_22is_equal_div_10_reduceIxEEE10hipError_tPvRmT2_T3_mT4_T5_T6_T7_T8_P12ihipStream_tbENKUlT_T0_E_clISt17integral_constantIbLb0EES10_IbLb1EEEEDaSW_SX_EUlSW_E_NS1_11comp_targetILNS1_3genE8ELNS1_11target_archE1030ELNS1_3gpuE2ELNS1_3repE0EEENS1_30default_config_static_selectorELNS0_4arch9wavefront6targetE1EEEvT1_,comdat
.Lfunc_end543:
	.size	_ZN7rocprim17ROCPRIM_400000_NS6detail17trampoline_kernelINS0_14default_configENS1_29reduce_by_key_config_selectorIxxN6thrust23THRUST_200600_302600_NS4plusIxEEEEZZNS1_33reduce_by_key_impl_wrapped_configILNS1_25lookback_scan_determinismE0ES3_S9_NS6_6detail15normal_iteratorINS6_10device_ptrIxEEEESG_SG_SG_PmS8_22is_equal_div_10_reduceIxEEE10hipError_tPvRmT2_T3_mT4_T5_T6_T7_T8_P12ihipStream_tbENKUlT_T0_E_clISt17integral_constantIbLb0EES10_IbLb1EEEEDaSW_SX_EUlSW_E_NS1_11comp_targetILNS1_3genE8ELNS1_11target_archE1030ELNS1_3gpuE2ELNS1_3repE0EEENS1_30default_config_static_selectorELNS0_4arch9wavefront6targetE1EEEvT1_, .Lfunc_end543-_ZN7rocprim17ROCPRIM_400000_NS6detail17trampoline_kernelINS0_14default_configENS1_29reduce_by_key_config_selectorIxxN6thrust23THRUST_200600_302600_NS4plusIxEEEEZZNS1_33reduce_by_key_impl_wrapped_configILNS1_25lookback_scan_determinismE0ES3_S9_NS6_6detail15normal_iteratorINS6_10device_ptrIxEEEESG_SG_SG_PmS8_22is_equal_div_10_reduceIxEEE10hipError_tPvRmT2_T3_mT4_T5_T6_T7_T8_P12ihipStream_tbENKUlT_T0_E_clISt17integral_constantIbLb0EES10_IbLb1EEEEDaSW_SX_EUlSW_E_NS1_11comp_targetILNS1_3genE8ELNS1_11target_archE1030ELNS1_3gpuE2ELNS1_3repE0EEENS1_30default_config_static_selectorELNS0_4arch9wavefront6targetE1EEEvT1_
                                        ; -- End function
	.section	.AMDGPU.csdata,"",@progbits
; Kernel info:
; codeLenInByte = 0
; NumSgprs: 4
; NumVgprs: 0
; NumAgprs: 0
; TotalNumVgprs: 0
; ScratchSize: 0
; MemoryBound: 0
; FloatMode: 240
; IeeeMode: 1
; LDSByteSize: 0 bytes/workgroup (compile time only)
; SGPRBlocks: 0
; VGPRBlocks: 0
; NumSGPRsForWavesPerEU: 4
; NumVGPRsForWavesPerEU: 1
; AccumOffset: 4
; Occupancy: 8
; WaveLimiterHint : 0
; COMPUTE_PGM_RSRC2:SCRATCH_EN: 0
; COMPUTE_PGM_RSRC2:USER_SGPR: 6
; COMPUTE_PGM_RSRC2:TRAP_HANDLER: 0
; COMPUTE_PGM_RSRC2:TGID_X_EN: 1
; COMPUTE_PGM_RSRC2:TGID_Y_EN: 0
; COMPUTE_PGM_RSRC2:TGID_Z_EN: 0
; COMPUTE_PGM_RSRC2:TIDIG_COMP_CNT: 0
; COMPUTE_PGM_RSRC3_GFX90A:ACCUM_OFFSET: 0
; COMPUTE_PGM_RSRC3_GFX90A:TG_SPLIT: 0
	.section	.text._ZN7rocprim17ROCPRIM_400000_NS6detail25reduce_by_key_init_kernelINS1_19lookback_scan_stateINS0_5tupleIJjiEEELb0ELb1EEEiNS1_16block_id_wrapperIjLb0EEEEEvT_jbjPmPT0_T1_,"axG",@progbits,_ZN7rocprim17ROCPRIM_400000_NS6detail25reduce_by_key_init_kernelINS1_19lookback_scan_stateINS0_5tupleIJjiEEELb0ELb1EEEiNS1_16block_id_wrapperIjLb0EEEEEvT_jbjPmPT0_T1_,comdat
	.protected	_ZN7rocprim17ROCPRIM_400000_NS6detail25reduce_by_key_init_kernelINS1_19lookback_scan_stateINS0_5tupleIJjiEEELb0ELb1EEEiNS1_16block_id_wrapperIjLb0EEEEEvT_jbjPmPT0_T1_ ; -- Begin function _ZN7rocprim17ROCPRIM_400000_NS6detail25reduce_by_key_init_kernelINS1_19lookback_scan_stateINS0_5tupleIJjiEEELb0ELb1EEEiNS1_16block_id_wrapperIjLb0EEEEEvT_jbjPmPT0_T1_
	.globl	_ZN7rocprim17ROCPRIM_400000_NS6detail25reduce_by_key_init_kernelINS1_19lookback_scan_stateINS0_5tupleIJjiEEELb0ELb1EEEiNS1_16block_id_wrapperIjLb0EEEEEvT_jbjPmPT0_T1_
	.p2align	8
	.type	_ZN7rocprim17ROCPRIM_400000_NS6detail25reduce_by_key_init_kernelINS1_19lookback_scan_stateINS0_5tupleIJjiEEELb0ELb1EEEiNS1_16block_id_wrapperIjLb0EEEEEvT_jbjPmPT0_T1_,@function
_ZN7rocprim17ROCPRIM_400000_NS6detail25reduce_by_key_init_kernelINS1_19lookback_scan_stateINS0_5tupleIJjiEEELb0ELb1EEEiNS1_16block_id_wrapperIjLb0EEEEEvT_jbjPmPT0_T1_: ; @_ZN7rocprim17ROCPRIM_400000_NS6detail25reduce_by_key_init_kernelINS1_19lookback_scan_stateINS0_5tupleIJjiEEELb0ELb1EEEiNS1_16block_id_wrapperIjLb0EEEEEvT_jbjPmPT0_T1_
; %bb.0:
	s_load_dwordx8 s[8:15], s[4:5], 0x8
	s_load_dword s2, s[4:5], 0x3c
	s_load_dwordx2 s[0:1], s[4:5], 0x0
	s_waitcnt lgkmcnt(0)
	s_and_b32 s3, s9, 1
	s_and_b32 s2, s2, 0xffff
	s_mul_i32 s6, s6, s2
	s_cmp_eq_u32 s3, 0
	v_add_u32_e32 v0, s6, v0
	s_mov_b64 s[2:3], -1
	s_cbranch_scc1 .LBB544_5
; %bb.1:
	s_andn2_b64 vcc, exec, s[2:3]
	s_cbranch_vccz .LBB544_12
.LBB544_2:
	v_cmp_gt_u32_e32 vcc, s8, v0
	s_and_saveexec_b64 s[2:3], vcc
	s_cbranch_execnz .LBB544_15
.LBB544_3:
	s_or_b64 exec, exec, s[2:3]
	v_cmp_gt_u32_e32 vcc, 64, v0
	s_and_saveexec_b64 s[2:3], vcc
	s_cbranch_execnz .LBB544_16
.LBB544_4:
	s_endpgm
.LBB544_5:
	s_cmp_lt_u32 s10, s8
	s_cselect_b32 s2, s10, 0
	v_cmp_eq_u32_e32 vcc, s2, v0
	s_and_saveexec_b64 s[2:3], vcc
	s_cbranch_execz .LBB544_11
; %bb.6:
	s_add_i32 s4, s10, 64
	s_mov_b32 s5, 0
	s_lshl_b64 s[4:5], s[4:5], 4
	s_add_u32 s10, s0, s4
	s_addc_u32 s11, s1, s5
	v_pk_mov_b32 v[2:3], s[10:11], s[10:11] op_sel:[0,1]
	;;#ASMSTART
	global_load_dwordx4 v[2:5], v[2:3] off glc	
s_waitcnt vmcnt(0)
	;;#ASMEND
	v_mov_b32_e32 v7, 0
	v_and_b32_e32 v6, 0xff, v4
	s_mov_b64 s[6:7], 0
	v_cmp_eq_u64_e32 vcc, 0, v[6:7]
	s_and_saveexec_b64 s[4:5], vcc
	s_cbranch_execz .LBB544_10
; %bb.7:
	v_pk_mov_b32 v[8:9], s[10:11], s[10:11] op_sel:[0,1]
.LBB544_8:                              ; =>This Inner Loop Header: Depth=1
	;;#ASMSTART
	global_load_dwordx4 v[2:5], v[8:9] off glc	
s_waitcnt vmcnt(0)
	;;#ASMEND
	v_and_b32_e32 v6, 0xff, v4
	v_cmp_ne_u64_e32 vcc, 0, v[6:7]
	s_or_b64 s[6:7], vcc, s[6:7]
	s_andn2_b64 exec, exec, s[6:7]
	s_cbranch_execnz .LBB544_8
; %bb.9:
	s_or_b64 exec, exec, s[6:7]
.LBB544_10:
	s_or_b64 exec, exec, s[4:5]
	v_mov_b32_e32 v1, 0
	global_load_dwordx2 v[4:5], v1, s[12:13]
	s_waitcnt vmcnt(0)
	v_add_co_u32_e32 v4, vcc, v4, v2
	v_addc_co_u32_e32 v5, vcc, 0, v5, vcc
	global_store_dwordx2 v1, v[4:5], s[12:13]
	global_store_dword v1, v3, s[14:15]
.LBB544_11:
	s_or_b64 exec, exec, s[2:3]
	s_cbranch_execnz .LBB544_2
.LBB544_12:
	s_cmp_lg_u64 s[12:13], 0
	s_cselect_b64 s[2:3], -1, 0
	v_cmp_eq_u32_e32 vcc, 0, v0
	s_and_b64 s[4:5], s[2:3], vcc
	s_and_saveexec_b64 s[2:3], s[4:5]
	s_cbranch_execz .LBB544_14
; %bb.13:
	v_mov_b32_e32 v2, 0
	v_mov_b32_e32 v3, v2
	global_store_dwordx2 v2, v[2:3], s[12:13]
.LBB544_14:
	s_or_b64 exec, exec, s[2:3]
	v_cmp_gt_u32_e32 vcc, s8, v0
	s_and_saveexec_b64 s[2:3], vcc
	s_cbranch_execz .LBB544_3
.LBB544_15:
	v_add_u32_e32 v2, 64, v0
	v_mov_b32_e32 v3, 0
	v_lshlrev_b64 v[4:5], 4, v[2:3]
	v_mov_b32_e32 v1, s1
	v_add_co_u32_e32 v6, vcc, s0, v4
	v_addc_co_u32_e32 v7, vcc, v1, v5, vcc
	v_mov_b32_e32 v2, v3
	v_mov_b32_e32 v4, v3
	;; [unrolled: 1-line block ×3, first 2 shown]
	global_store_dwordx4 v[6:7], v[2:5], off
	s_or_b64 exec, exec, s[2:3]
	v_cmp_gt_u32_e32 vcc, 64, v0
	s_and_saveexec_b64 s[2:3], vcc
	s_cbranch_execz .LBB544_4
.LBB544_16:
	v_mov_b32_e32 v1, 0
	v_lshlrev_b64 v[2:3], 4, v[0:1]
	v_mov_b32_e32 v0, s1
	v_add_co_u32_e32 v4, vcc, s0, v2
	v_addc_co_u32_e32 v5, vcc, v0, v3, vcc
	v_mov_b32_e32 v2, 0xff
	v_mov_b32_e32 v0, v1
	;; [unrolled: 1-line block ×3, first 2 shown]
	global_store_dwordx4 v[4:5], v[0:3], off
	s_endpgm
	.section	.rodata,"a",@progbits
	.p2align	6, 0x0
	.amdhsa_kernel _ZN7rocprim17ROCPRIM_400000_NS6detail25reduce_by_key_init_kernelINS1_19lookback_scan_stateINS0_5tupleIJjiEEELb0ELb1EEEiNS1_16block_id_wrapperIjLb0EEEEEvT_jbjPmPT0_T1_
		.amdhsa_group_segment_fixed_size 0
		.amdhsa_private_segment_fixed_size 0
		.amdhsa_kernarg_size 304
		.amdhsa_user_sgpr_count 6
		.amdhsa_user_sgpr_private_segment_buffer 1
		.amdhsa_user_sgpr_dispatch_ptr 0
		.amdhsa_user_sgpr_queue_ptr 0
		.amdhsa_user_sgpr_kernarg_segment_ptr 1
		.amdhsa_user_sgpr_dispatch_id 0
		.amdhsa_user_sgpr_flat_scratch_init 0
		.amdhsa_user_sgpr_kernarg_preload_length 0
		.amdhsa_user_sgpr_kernarg_preload_offset 0
		.amdhsa_user_sgpr_private_segment_size 0
		.amdhsa_uses_dynamic_stack 0
		.amdhsa_system_sgpr_private_segment_wavefront_offset 0
		.amdhsa_system_sgpr_workgroup_id_x 1
		.amdhsa_system_sgpr_workgroup_id_y 0
		.amdhsa_system_sgpr_workgroup_id_z 0
		.amdhsa_system_sgpr_workgroup_info 0
		.amdhsa_system_vgpr_workitem_id 0
		.amdhsa_next_free_vgpr 10
		.amdhsa_next_free_sgpr 16
		.amdhsa_accum_offset 12
		.amdhsa_reserve_vcc 1
		.amdhsa_reserve_flat_scratch 0
		.amdhsa_float_round_mode_32 0
		.amdhsa_float_round_mode_16_64 0
		.amdhsa_float_denorm_mode_32 3
		.amdhsa_float_denorm_mode_16_64 3
		.amdhsa_dx10_clamp 1
		.amdhsa_ieee_mode 1
		.amdhsa_fp16_overflow 0
		.amdhsa_tg_split 0
		.amdhsa_exception_fp_ieee_invalid_op 0
		.amdhsa_exception_fp_denorm_src 0
		.amdhsa_exception_fp_ieee_div_zero 0
		.amdhsa_exception_fp_ieee_overflow 0
		.amdhsa_exception_fp_ieee_underflow 0
		.amdhsa_exception_fp_ieee_inexact 0
		.amdhsa_exception_int_div_zero 0
	.end_amdhsa_kernel
	.section	.text._ZN7rocprim17ROCPRIM_400000_NS6detail25reduce_by_key_init_kernelINS1_19lookback_scan_stateINS0_5tupleIJjiEEELb0ELb1EEEiNS1_16block_id_wrapperIjLb0EEEEEvT_jbjPmPT0_T1_,"axG",@progbits,_ZN7rocprim17ROCPRIM_400000_NS6detail25reduce_by_key_init_kernelINS1_19lookback_scan_stateINS0_5tupleIJjiEEELb0ELb1EEEiNS1_16block_id_wrapperIjLb0EEEEEvT_jbjPmPT0_T1_,comdat
.Lfunc_end544:
	.size	_ZN7rocprim17ROCPRIM_400000_NS6detail25reduce_by_key_init_kernelINS1_19lookback_scan_stateINS0_5tupleIJjiEEELb0ELb1EEEiNS1_16block_id_wrapperIjLb0EEEEEvT_jbjPmPT0_T1_, .Lfunc_end544-_ZN7rocprim17ROCPRIM_400000_NS6detail25reduce_by_key_init_kernelINS1_19lookback_scan_stateINS0_5tupleIJjiEEELb0ELb1EEEiNS1_16block_id_wrapperIjLb0EEEEEvT_jbjPmPT0_T1_
                                        ; -- End function
	.section	.AMDGPU.csdata,"",@progbits
; Kernel info:
; codeLenInByte = 468
; NumSgprs: 20
; NumVgprs: 10
; NumAgprs: 0
; TotalNumVgprs: 10
; ScratchSize: 0
; MemoryBound: 0
; FloatMode: 240
; IeeeMode: 1
; LDSByteSize: 0 bytes/workgroup (compile time only)
; SGPRBlocks: 2
; VGPRBlocks: 1
; NumSGPRsForWavesPerEU: 20
; NumVGPRsForWavesPerEU: 10
; AccumOffset: 12
; Occupancy: 8
; WaveLimiterHint : 0
; COMPUTE_PGM_RSRC2:SCRATCH_EN: 0
; COMPUTE_PGM_RSRC2:USER_SGPR: 6
; COMPUTE_PGM_RSRC2:TRAP_HANDLER: 0
; COMPUTE_PGM_RSRC2:TGID_X_EN: 1
; COMPUTE_PGM_RSRC2:TGID_Y_EN: 0
; COMPUTE_PGM_RSRC2:TGID_Z_EN: 0
; COMPUTE_PGM_RSRC2:TIDIG_COMP_CNT: 0
; COMPUTE_PGM_RSRC3_GFX90A:ACCUM_OFFSET: 2
; COMPUTE_PGM_RSRC3_GFX90A:TG_SPLIT: 0
	.section	.text._ZN7rocprim17ROCPRIM_400000_NS6detail17trampoline_kernelINS0_14default_configENS1_29reduce_by_key_config_selectorIiiN6thrust23THRUST_200600_302600_NS4plusIiEEEEZZNS1_33reduce_by_key_impl_wrapped_configILNS1_25lookback_scan_determinismE0ES3_S9_NS6_6detail15normal_iteratorINS6_10device_ptrIiEEEESG_SG_SG_PmS8_NS6_8equal_toIiEEEE10hipError_tPvRmT2_T3_mT4_T5_T6_T7_T8_P12ihipStream_tbENKUlT_T0_E_clISt17integral_constantIbLb0EES11_EEDaSW_SX_EUlSW_E_NS1_11comp_targetILNS1_3genE0ELNS1_11target_archE4294967295ELNS1_3gpuE0ELNS1_3repE0EEENS1_30default_config_static_selectorELNS0_4arch9wavefront6targetE1EEEvT1_,"axG",@progbits,_ZN7rocprim17ROCPRIM_400000_NS6detail17trampoline_kernelINS0_14default_configENS1_29reduce_by_key_config_selectorIiiN6thrust23THRUST_200600_302600_NS4plusIiEEEEZZNS1_33reduce_by_key_impl_wrapped_configILNS1_25lookback_scan_determinismE0ES3_S9_NS6_6detail15normal_iteratorINS6_10device_ptrIiEEEESG_SG_SG_PmS8_NS6_8equal_toIiEEEE10hipError_tPvRmT2_T3_mT4_T5_T6_T7_T8_P12ihipStream_tbENKUlT_T0_E_clISt17integral_constantIbLb0EES11_EEDaSW_SX_EUlSW_E_NS1_11comp_targetILNS1_3genE0ELNS1_11target_archE4294967295ELNS1_3gpuE0ELNS1_3repE0EEENS1_30default_config_static_selectorELNS0_4arch9wavefront6targetE1EEEvT1_,comdat
	.protected	_ZN7rocprim17ROCPRIM_400000_NS6detail17trampoline_kernelINS0_14default_configENS1_29reduce_by_key_config_selectorIiiN6thrust23THRUST_200600_302600_NS4plusIiEEEEZZNS1_33reduce_by_key_impl_wrapped_configILNS1_25lookback_scan_determinismE0ES3_S9_NS6_6detail15normal_iteratorINS6_10device_ptrIiEEEESG_SG_SG_PmS8_NS6_8equal_toIiEEEE10hipError_tPvRmT2_T3_mT4_T5_T6_T7_T8_P12ihipStream_tbENKUlT_T0_E_clISt17integral_constantIbLb0EES11_EEDaSW_SX_EUlSW_E_NS1_11comp_targetILNS1_3genE0ELNS1_11target_archE4294967295ELNS1_3gpuE0ELNS1_3repE0EEENS1_30default_config_static_selectorELNS0_4arch9wavefront6targetE1EEEvT1_ ; -- Begin function _ZN7rocprim17ROCPRIM_400000_NS6detail17trampoline_kernelINS0_14default_configENS1_29reduce_by_key_config_selectorIiiN6thrust23THRUST_200600_302600_NS4plusIiEEEEZZNS1_33reduce_by_key_impl_wrapped_configILNS1_25lookback_scan_determinismE0ES3_S9_NS6_6detail15normal_iteratorINS6_10device_ptrIiEEEESG_SG_SG_PmS8_NS6_8equal_toIiEEEE10hipError_tPvRmT2_T3_mT4_T5_T6_T7_T8_P12ihipStream_tbENKUlT_T0_E_clISt17integral_constantIbLb0EES11_EEDaSW_SX_EUlSW_E_NS1_11comp_targetILNS1_3genE0ELNS1_11target_archE4294967295ELNS1_3gpuE0ELNS1_3repE0EEENS1_30default_config_static_selectorELNS0_4arch9wavefront6targetE1EEEvT1_
	.globl	_ZN7rocprim17ROCPRIM_400000_NS6detail17trampoline_kernelINS0_14default_configENS1_29reduce_by_key_config_selectorIiiN6thrust23THRUST_200600_302600_NS4plusIiEEEEZZNS1_33reduce_by_key_impl_wrapped_configILNS1_25lookback_scan_determinismE0ES3_S9_NS6_6detail15normal_iteratorINS6_10device_ptrIiEEEESG_SG_SG_PmS8_NS6_8equal_toIiEEEE10hipError_tPvRmT2_T3_mT4_T5_T6_T7_T8_P12ihipStream_tbENKUlT_T0_E_clISt17integral_constantIbLb0EES11_EEDaSW_SX_EUlSW_E_NS1_11comp_targetILNS1_3genE0ELNS1_11target_archE4294967295ELNS1_3gpuE0ELNS1_3repE0EEENS1_30default_config_static_selectorELNS0_4arch9wavefront6targetE1EEEvT1_
	.p2align	8
	.type	_ZN7rocprim17ROCPRIM_400000_NS6detail17trampoline_kernelINS0_14default_configENS1_29reduce_by_key_config_selectorIiiN6thrust23THRUST_200600_302600_NS4plusIiEEEEZZNS1_33reduce_by_key_impl_wrapped_configILNS1_25lookback_scan_determinismE0ES3_S9_NS6_6detail15normal_iteratorINS6_10device_ptrIiEEEESG_SG_SG_PmS8_NS6_8equal_toIiEEEE10hipError_tPvRmT2_T3_mT4_T5_T6_T7_T8_P12ihipStream_tbENKUlT_T0_E_clISt17integral_constantIbLb0EES11_EEDaSW_SX_EUlSW_E_NS1_11comp_targetILNS1_3genE0ELNS1_11target_archE4294967295ELNS1_3gpuE0ELNS1_3repE0EEENS1_30default_config_static_selectorELNS0_4arch9wavefront6targetE1EEEvT1_,@function
_ZN7rocprim17ROCPRIM_400000_NS6detail17trampoline_kernelINS0_14default_configENS1_29reduce_by_key_config_selectorIiiN6thrust23THRUST_200600_302600_NS4plusIiEEEEZZNS1_33reduce_by_key_impl_wrapped_configILNS1_25lookback_scan_determinismE0ES3_S9_NS6_6detail15normal_iteratorINS6_10device_ptrIiEEEESG_SG_SG_PmS8_NS6_8equal_toIiEEEE10hipError_tPvRmT2_T3_mT4_T5_T6_T7_T8_P12ihipStream_tbENKUlT_T0_E_clISt17integral_constantIbLb0EES11_EEDaSW_SX_EUlSW_E_NS1_11comp_targetILNS1_3genE0ELNS1_11target_archE4294967295ELNS1_3gpuE0ELNS1_3repE0EEENS1_30default_config_static_selectorELNS0_4arch9wavefront6targetE1EEEvT1_: ; @_ZN7rocprim17ROCPRIM_400000_NS6detail17trampoline_kernelINS0_14default_configENS1_29reduce_by_key_config_selectorIiiN6thrust23THRUST_200600_302600_NS4plusIiEEEEZZNS1_33reduce_by_key_impl_wrapped_configILNS1_25lookback_scan_determinismE0ES3_S9_NS6_6detail15normal_iteratorINS6_10device_ptrIiEEEESG_SG_SG_PmS8_NS6_8equal_toIiEEEE10hipError_tPvRmT2_T3_mT4_T5_T6_T7_T8_P12ihipStream_tbENKUlT_T0_E_clISt17integral_constantIbLb0EES11_EEDaSW_SX_EUlSW_E_NS1_11comp_targetILNS1_3genE0ELNS1_11target_archE4294967295ELNS1_3gpuE0ELNS1_3repE0EEENS1_30default_config_static_selectorELNS0_4arch9wavefront6targetE1EEEvT1_
; %bb.0:
	.section	.rodata,"a",@progbits
	.p2align	6, 0x0
	.amdhsa_kernel _ZN7rocprim17ROCPRIM_400000_NS6detail17trampoline_kernelINS0_14default_configENS1_29reduce_by_key_config_selectorIiiN6thrust23THRUST_200600_302600_NS4plusIiEEEEZZNS1_33reduce_by_key_impl_wrapped_configILNS1_25lookback_scan_determinismE0ES3_S9_NS6_6detail15normal_iteratorINS6_10device_ptrIiEEEESG_SG_SG_PmS8_NS6_8equal_toIiEEEE10hipError_tPvRmT2_T3_mT4_T5_T6_T7_T8_P12ihipStream_tbENKUlT_T0_E_clISt17integral_constantIbLb0EES11_EEDaSW_SX_EUlSW_E_NS1_11comp_targetILNS1_3genE0ELNS1_11target_archE4294967295ELNS1_3gpuE0ELNS1_3repE0EEENS1_30default_config_static_selectorELNS0_4arch9wavefront6targetE1EEEvT1_
		.amdhsa_group_segment_fixed_size 0
		.amdhsa_private_segment_fixed_size 0
		.amdhsa_kernarg_size 120
		.amdhsa_user_sgpr_count 6
		.amdhsa_user_sgpr_private_segment_buffer 1
		.amdhsa_user_sgpr_dispatch_ptr 0
		.amdhsa_user_sgpr_queue_ptr 0
		.amdhsa_user_sgpr_kernarg_segment_ptr 1
		.amdhsa_user_sgpr_dispatch_id 0
		.amdhsa_user_sgpr_flat_scratch_init 0
		.amdhsa_user_sgpr_kernarg_preload_length 0
		.amdhsa_user_sgpr_kernarg_preload_offset 0
		.amdhsa_user_sgpr_private_segment_size 0
		.amdhsa_uses_dynamic_stack 0
		.amdhsa_system_sgpr_private_segment_wavefront_offset 0
		.amdhsa_system_sgpr_workgroup_id_x 1
		.amdhsa_system_sgpr_workgroup_id_y 0
		.amdhsa_system_sgpr_workgroup_id_z 0
		.amdhsa_system_sgpr_workgroup_info 0
		.amdhsa_system_vgpr_workitem_id 0
		.amdhsa_next_free_vgpr 1
		.amdhsa_next_free_sgpr 0
		.amdhsa_accum_offset 4
		.amdhsa_reserve_vcc 0
		.amdhsa_reserve_flat_scratch 0
		.amdhsa_float_round_mode_32 0
		.amdhsa_float_round_mode_16_64 0
		.amdhsa_float_denorm_mode_32 3
		.amdhsa_float_denorm_mode_16_64 3
		.amdhsa_dx10_clamp 1
		.amdhsa_ieee_mode 1
		.amdhsa_fp16_overflow 0
		.amdhsa_tg_split 0
		.amdhsa_exception_fp_ieee_invalid_op 0
		.amdhsa_exception_fp_denorm_src 0
		.amdhsa_exception_fp_ieee_div_zero 0
		.amdhsa_exception_fp_ieee_overflow 0
		.amdhsa_exception_fp_ieee_underflow 0
		.amdhsa_exception_fp_ieee_inexact 0
		.amdhsa_exception_int_div_zero 0
	.end_amdhsa_kernel
	.section	.text._ZN7rocprim17ROCPRIM_400000_NS6detail17trampoline_kernelINS0_14default_configENS1_29reduce_by_key_config_selectorIiiN6thrust23THRUST_200600_302600_NS4plusIiEEEEZZNS1_33reduce_by_key_impl_wrapped_configILNS1_25lookback_scan_determinismE0ES3_S9_NS6_6detail15normal_iteratorINS6_10device_ptrIiEEEESG_SG_SG_PmS8_NS6_8equal_toIiEEEE10hipError_tPvRmT2_T3_mT4_T5_T6_T7_T8_P12ihipStream_tbENKUlT_T0_E_clISt17integral_constantIbLb0EES11_EEDaSW_SX_EUlSW_E_NS1_11comp_targetILNS1_3genE0ELNS1_11target_archE4294967295ELNS1_3gpuE0ELNS1_3repE0EEENS1_30default_config_static_selectorELNS0_4arch9wavefront6targetE1EEEvT1_,"axG",@progbits,_ZN7rocprim17ROCPRIM_400000_NS6detail17trampoline_kernelINS0_14default_configENS1_29reduce_by_key_config_selectorIiiN6thrust23THRUST_200600_302600_NS4plusIiEEEEZZNS1_33reduce_by_key_impl_wrapped_configILNS1_25lookback_scan_determinismE0ES3_S9_NS6_6detail15normal_iteratorINS6_10device_ptrIiEEEESG_SG_SG_PmS8_NS6_8equal_toIiEEEE10hipError_tPvRmT2_T3_mT4_T5_T6_T7_T8_P12ihipStream_tbENKUlT_T0_E_clISt17integral_constantIbLb0EES11_EEDaSW_SX_EUlSW_E_NS1_11comp_targetILNS1_3genE0ELNS1_11target_archE4294967295ELNS1_3gpuE0ELNS1_3repE0EEENS1_30default_config_static_selectorELNS0_4arch9wavefront6targetE1EEEvT1_,comdat
.Lfunc_end545:
	.size	_ZN7rocprim17ROCPRIM_400000_NS6detail17trampoline_kernelINS0_14default_configENS1_29reduce_by_key_config_selectorIiiN6thrust23THRUST_200600_302600_NS4plusIiEEEEZZNS1_33reduce_by_key_impl_wrapped_configILNS1_25lookback_scan_determinismE0ES3_S9_NS6_6detail15normal_iteratorINS6_10device_ptrIiEEEESG_SG_SG_PmS8_NS6_8equal_toIiEEEE10hipError_tPvRmT2_T3_mT4_T5_T6_T7_T8_P12ihipStream_tbENKUlT_T0_E_clISt17integral_constantIbLb0EES11_EEDaSW_SX_EUlSW_E_NS1_11comp_targetILNS1_3genE0ELNS1_11target_archE4294967295ELNS1_3gpuE0ELNS1_3repE0EEENS1_30default_config_static_selectorELNS0_4arch9wavefront6targetE1EEEvT1_, .Lfunc_end545-_ZN7rocprim17ROCPRIM_400000_NS6detail17trampoline_kernelINS0_14default_configENS1_29reduce_by_key_config_selectorIiiN6thrust23THRUST_200600_302600_NS4plusIiEEEEZZNS1_33reduce_by_key_impl_wrapped_configILNS1_25lookback_scan_determinismE0ES3_S9_NS6_6detail15normal_iteratorINS6_10device_ptrIiEEEESG_SG_SG_PmS8_NS6_8equal_toIiEEEE10hipError_tPvRmT2_T3_mT4_T5_T6_T7_T8_P12ihipStream_tbENKUlT_T0_E_clISt17integral_constantIbLb0EES11_EEDaSW_SX_EUlSW_E_NS1_11comp_targetILNS1_3genE0ELNS1_11target_archE4294967295ELNS1_3gpuE0ELNS1_3repE0EEENS1_30default_config_static_selectorELNS0_4arch9wavefront6targetE1EEEvT1_
                                        ; -- End function
	.section	.AMDGPU.csdata,"",@progbits
; Kernel info:
; codeLenInByte = 0
; NumSgprs: 4
; NumVgprs: 0
; NumAgprs: 0
; TotalNumVgprs: 0
; ScratchSize: 0
; MemoryBound: 0
; FloatMode: 240
; IeeeMode: 1
; LDSByteSize: 0 bytes/workgroup (compile time only)
; SGPRBlocks: 0
; VGPRBlocks: 0
; NumSGPRsForWavesPerEU: 4
; NumVGPRsForWavesPerEU: 1
; AccumOffset: 4
; Occupancy: 8
; WaveLimiterHint : 0
; COMPUTE_PGM_RSRC2:SCRATCH_EN: 0
; COMPUTE_PGM_RSRC2:USER_SGPR: 6
; COMPUTE_PGM_RSRC2:TRAP_HANDLER: 0
; COMPUTE_PGM_RSRC2:TGID_X_EN: 1
; COMPUTE_PGM_RSRC2:TGID_Y_EN: 0
; COMPUTE_PGM_RSRC2:TGID_Z_EN: 0
; COMPUTE_PGM_RSRC2:TIDIG_COMP_CNT: 0
; COMPUTE_PGM_RSRC3_GFX90A:ACCUM_OFFSET: 0
; COMPUTE_PGM_RSRC3_GFX90A:TG_SPLIT: 0
	.section	.text._ZN7rocprim17ROCPRIM_400000_NS6detail17trampoline_kernelINS0_14default_configENS1_29reduce_by_key_config_selectorIiiN6thrust23THRUST_200600_302600_NS4plusIiEEEEZZNS1_33reduce_by_key_impl_wrapped_configILNS1_25lookback_scan_determinismE0ES3_S9_NS6_6detail15normal_iteratorINS6_10device_ptrIiEEEESG_SG_SG_PmS8_NS6_8equal_toIiEEEE10hipError_tPvRmT2_T3_mT4_T5_T6_T7_T8_P12ihipStream_tbENKUlT_T0_E_clISt17integral_constantIbLb0EES11_EEDaSW_SX_EUlSW_E_NS1_11comp_targetILNS1_3genE5ELNS1_11target_archE942ELNS1_3gpuE9ELNS1_3repE0EEENS1_30default_config_static_selectorELNS0_4arch9wavefront6targetE1EEEvT1_,"axG",@progbits,_ZN7rocprim17ROCPRIM_400000_NS6detail17trampoline_kernelINS0_14default_configENS1_29reduce_by_key_config_selectorIiiN6thrust23THRUST_200600_302600_NS4plusIiEEEEZZNS1_33reduce_by_key_impl_wrapped_configILNS1_25lookback_scan_determinismE0ES3_S9_NS6_6detail15normal_iteratorINS6_10device_ptrIiEEEESG_SG_SG_PmS8_NS6_8equal_toIiEEEE10hipError_tPvRmT2_T3_mT4_T5_T6_T7_T8_P12ihipStream_tbENKUlT_T0_E_clISt17integral_constantIbLb0EES11_EEDaSW_SX_EUlSW_E_NS1_11comp_targetILNS1_3genE5ELNS1_11target_archE942ELNS1_3gpuE9ELNS1_3repE0EEENS1_30default_config_static_selectorELNS0_4arch9wavefront6targetE1EEEvT1_,comdat
	.protected	_ZN7rocprim17ROCPRIM_400000_NS6detail17trampoline_kernelINS0_14default_configENS1_29reduce_by_key_config_selectorIiiN6thrust23THRUST_200600_302600_NS4plusIiEEEEZZNS1_33reduce_by_key_impl_wrapped_configILNS1_25lookback_scan_determinismE0ES3_S9_NS6_6detail15normal_iteratorINS6_10device_ptrIiEEEESG_SG_SG_PmS8_NS6_8equal_toIiEEEE10hipError_tPvRmT2_T3_mT4_T5_T6_T7_T8_P12ihipStream_tbENKUlT_T0_E_clISt17integral_constantIbLb0EES11_EEDaSW_SX_EUlSW_E_NS1_11comp_targetILNS1_3genE5ELNS1_11target_archE942ELNS1_3gpuE9ELNS1_3repE0EEENS1_30default_config_static_selectorELNS0_4arch9wavefront6targetE1EEEvT1_ ; -- Begin function _ZN7rocprim17ROCPRIM_400000_NS6detail17trampoline_kernelINS0_14default_configENS1_29reduce_by_key_config_selectorIiiN6thrust23THRUST_200600_302600_NS4plusIiEEEEZZNS1_33reduce_by_key_impl_wrapped_configILNS1_25lookback_scan_determinismE0ES3_S9_NS6_6detail15normal_iteratorINS6_10device_ptrIiEEEESG_SG_SG_PmS8_NS6_8equal_toIiEEEE10hipError_tPvRmT2_T3_mT4_T5_T6_T7_T8_P12ihipStream_tbENKUlT_T0_E_clISt17integral_constantIbLb0EES11_EEDaSW_SX_EUlSW_E_NS1_11comp_targetILNS1_3genE5ELNS1_11target_archE942ELNS1_3gpuE9ELNS1_3repE0EEENS1_30default_config_static_selectorELNS0_4arch9wavefront6targetE1EEEvT1_
	.globl	_ZN7rocprim17ROCPRIM_400000_NS6detail17trampoline_kernelINS0_14default_configENS1_29reduce_by_key_config_selectorIiiN6thrust23THRUST_200600_302600_NS4plusIiEEEEZZNS1_33reduce_by_key_impl_wrapped_configILNS1_25lookback_scan_determinismE0ES3_S9_NS6_6detail15normal_iteratorINS6_10device_ptrIiEEEESG_SG_SG_PmS8_NS6_8equal_toIiEEEE10hipError_tPvRmT2_T3_mT4_T5_T6_T7_T8_P12ihipStream_tbENKUlT_T0_E_clISt17integral_constantIbLb0EES11_EEDaSW_SX_EUlSW_E_NS1_11comp_targetILNS1_3genE5ELNS1_11target_archE942ELNS1_3gpuE9ELNS1_3repE0EEENS1_30default_config_static_selectorELNS0_4arch9wavefront6targetE1EEEvT1_
	.p2align	8
	.type	_ZN7rocprim17ROCPRIM_400000_NS6detail17trampoline_kernelINS0_14default_configENS1_29reduce_by_key_config_selectorIiiN6thrust23THRUST_200600_302600_NS4plusIiEEEEZZNS1_33reduce_by_key_impl_wrapped_configILNS1_25lookback_scan_determinismE0ES3_S9_NS6_6detail15normal_iteratorINS6_10device_ptrIiEEEESG_SG_SG_PmS8_NS6_8equal_toIiEEEE10hipError_tPvRmT2_T3_mT4_T5_T6_T7_T8_P12ihipStream_tbENKUlT_T0_E_clISt17integral_constantIbLb0EES11_EEDaSW_SX_EUlSW_E_NS1_11comp_targetILNS1_3genE5ELNS1_11target_archE942ELNS1_3gpuE9ELNS1_3repE0EEENS1_30default_config_static_selectorELNS0_4arch9wavefront6targetE1EEEvT1_,@function
_ZN7rocprim17ROCPRIM_400000_NS6detail17trampoline_kernelINS0_14default_configENS1_29reduce_by_key_config_selectorIiiN6thrust23THRUST_200600_302600_NS4plusIiEEEEZZNS1_33reduce_by_key_impl_wrapped_configILNS1_25lookback_scan_determinismE0ES3_S9_NS6_6detail15normal_iteratorINS6_10device_ptrIiEEEESG_SG_SG_PmS8_NS6_8equal_toIiEEEE10hipError_tPvRmT2_T3_mT4_T5_T6_T7_T8_P12ihipStream_tbENKUlT_T0_E_clISt17integral_constantIbLb0EES11_EEDaSW_SX_EUlSW_E_NS1_11comp_targetILNS1_3genE5ELNS1_11target_archE942ELNS1_3gpuE9ELNS1_3repE0EEENS1_30default_config_static_selectorELNS0_4arch9wavefront6targetE1EEEvT1_: ; @_ZN7rocprim17ROCPRIM_400000_NS6detail17trampoline_kernelINS0_14default_configENS1_29reduce_by_key_config_selectorIiiN6thrust23THRUST_200600_302600_NS4plusIiEEEEZZNS1_33reduce_by_key_impl_wrapped_configILNS1_25lookback_scan_determinismE0ES3_S9_NS6_6detail15normal_iteratorINS6_10device_ptrIiEEEESG_SG_SG_PmS8_NS6_8equal_toIiEEEE10hipError_tPvRmT2_T3_mT4_T5_T6_T7_T8_P12ihipStream_tbENKUlT_T0_E_clISt17integral_constantIbLb0EES11_EEDaSW_SX_EUlSW_E_NS1_11comp_targetILNS1_3genE5ELNS1_11target_archE942ELNS1_3gpuE9ELNS1_3repE0EEENS1_30default_config_static_selectorELNS0_4arch9wavefront6targetE1EEEvT1_
; %bb.0:
	.section	.rodata,"a",@progbits
	.p2align	6, 0x0
	.amdhsa_kernel _ZN7rocprim17ROCPRIM_400000_NS6detail17trampoline_kernelINS0_14default_configENS1_29reduce_by_key_config_selectorIiiN6thrust23THRUST_200600_302600_NS4plusIiEEEEZZNS1_33reduce_by_key_impl_wrapped_configILNS1_25lookback_scan_determinismE0ES3_S9_NS6_6detail15normal_iteratorINS6_10device_ptrIiEEEESG_SG_SG_PmS8_NS6_8equal_toIiEEEE10hipError_tPvRmT2_T3_mT4_T5_T6_T7_T8_P12ihipStream_tbENKUlT_T0_E_clISt17integral_constantIbLb0EES11_EEDaSW_SX_EUlSW_E_NS1_11comp_targetILNS1_3genE5ELNS1_11target_archE942ELNS1_3gpuE9ELNS1_3repE0EEENS1_30default_config_static_selectorELNS0_4arch9wavefront6targetE1EEEvT1_
		.amdhsa_group_segment_fixed_size 0
		.amdhsa_private_segment_fixed_size 0
		.amdhsa_kernarg_size 120
		.amdhsa_user_sgpr_count 6
		.amdhsa_user_sgpr_private_segment_buffer 1
		.amdhsa_user_sgpr_dispatch_ptr 0
		.amdhsa_user_sgpr_queue_ptr 0
		.amdhsa_user_sgpr_kernarg_segment_ptr 1
		.amdhsa_user_sgpr_dispatch_id 0
		.amdhsa_user_sgpr_flat_scratch_init 0
		.amdhsa_user_sgpr_kernarg_preload_length 0
		.amdhsa_user_sgpr_kernarg_preload_offset 0
		.amdhsa_user_sgpr_private_segment_size 0
		.amdhsa_uses_dynamic_stack 0
		.amdhsa_system_sgpr_private_segment_wavefront_offset 0
		.amdhsa_system_sgpr_workgroup_id_x 1
		.amdhsa_system_sgpr_workgroup_id_y 0
		.amdhsa_system_sgpr_workgroup_id_z 0
		.amdhsa_system_sgpr_workgroup_info 0
		.amdhsa_system_vgpr_workitem_id 0
		.amdhsa_next_free_vgpr 1
		.amdhsa_next_free_sgpr 0
		.amdhsa_accum_offset 4
		.amdhsa_reserve_vcc 0
		.amdhsa_reserve_flat_scratch 0
		.amdhsa_float_round_mode_32 0
		.amdhsa_float_round_mode_16_64 0
		.amdhsa_float_denorm_mode_32 3
		.amdhsa_float_denorm_mode_16_64 3
		.amdhsa_dx10_clamp 1
		.amdhsa_ieee_mode 1
		.amdhsa_fp16_overflow 0
		.amdhsa_tg_split 0
		.amdhsa_exception_fp_ieee_invalid_op 0
		.amdhsa_exception_fp_denorm_src 0
		.amdhsa_exception_fp_ieee_div_zero 0
		.amdhsa_exception_fp_ieee_overflow 0
		.amdhsa_exception_fp_ieee_underflow 0
		.amdhsa_exception_fp_ieee_inexact 0
		.amdhsa_exception_int_div_zero 0
	.end_amdhsa_kernel
	.section	.text._ZN7rocprim17ROCPRIM_400000_NS6detail17trampoline_kernelINS0_14default_configENS1_29reduce_by_key_config_selectorIiiN6thrust23THRUST_200600_302600_NS4plusIiEEEEZZNS1_33reduce_by_key_impl_wrapped_configILNS1_25lookback_scan_determinismE0ES3_S9_NS6_6detail15normal_iteratorINS6_10device_ptrIiEEEESG_SG_SG_PmS8_NS6_8equal_toIiEEEE10hipError_tPvRmT2_T3_mT4_T5_T6_T7_T8_P12ihipStream_tbENKUlT_T0_E_clISt17integral_constantIbLb0EES11_EEDaSW_SX_EUlSW_E_NS1_11comp_targetILNS1_3genE5ELNS1_11target_archE942ELNS1_3gpuE9ELNS1_3repE0EEENS1_30default_config_static_selectorELNS0_4arch9wavefront6targetE1EEEvT1_,"axG",@progbits,_ZN7rocprim17ROCPRIM_400000_NS6detail17trampoline_kernelINS0_14default_configENS1_29reduce_by_key_config_selectorIiiN6thrust23THRUST_200600_302600_NS4plusIiEEEEZZNS1_33reduce_by_key_impl_wrapped_configILNS1_25lookback_scan_determinismE0ES3_S9_NS6_6detail15normal_iteratorINS6_10device_ptrIiEEEESG_SG_SG_PmS8_NS6_8equal_toIiEEEE10hipError_tPvRmT2_T3_mT4_T5_T6_T7_T8_P12ihipStream_tbENKUlT_T0_E_clISt17integral_constantIbLb0EES11_EEDaSW_SX_EUlSW_E_NS1_11comp_targetILNS1_3genE5ELNS1_11target_archE942ELNS1_3gpuE9ELNS1_3repE0EEENS1_30default_config_static_selectorELNS0_4arch9wavefront6targetE1EEEvT1_,comdat
.Lfunc_end546:
	.size	_ZN7rocprim17ROCPRIM_400000_NS6detail17trampoline_kernelINS0_14default_configENS1_29reduce_by_key_config_selectorIiiN6thrust23THRUST_200600_302600_NS4plusIiEEEEZZNS1_33reduce_by_key_impl_wrapped_configILNS1_25lookback_scan_determinismE0ES3_S9_NS6_6detail15normal_iteratorINS6_10device_ptrIiEEEESG_SG_SG_PmS8_NS6_8equal_toIiEEEE10hipError_tPvRmT2_T3_mT4_T5_T6_T7_T8_P12ihipStream_tbENKUlT_T0_E_clISt17integral_constantIbLb0EES11_EEDaSW_SX_EUlSW_E_NS1_11comp_targetILNS1_3genE5ELNS1_11target_archE942ELNS1_3gpuE9ELNS1_3repE0EEENS1_30default_config_static_selectorELNS0_4arch9wavefront6targetE1EEEvT1_, .Lfunc_end546-_ZN7rocprim17ROCPRIM_400000_NS6detail17trampoline_kernelINS0_14default_configENS1_29reduce_by_key_config_selectorIiiN6thrust23THRUST_200600_302600_NS4plusIiEEEEZZNS1_33reduce_by_key_impl_wrapped_configILNS1_25lookback_scan_determinismE0ES3_S9_NS6_6detail15normal_iteratorINS6_10device_ptrIiEEEESG_SG_SG_PmS8_NS6_8equal_toIiEEEE10hipError_tPvRmT2_T3_mT4_T5_T6_T7_T8_P12ihipStream_tbENKUlT_T0_E_clISt17integral_constantIbLb0EES11_EEDaSW_SX_EUlSW_E_NS1_11comp_targetILNS1_3genE5ELNS1_11target_archE942ELNS1_3gpuE9ELNS1_3repE0EEENS1_30default_config_static_selectorELNS0_4arch9wavefront6targetE1EEEvT1_
                                        ; -- End function
	.section	.AMDGPU.csdata,"",@progbits
; Kernel info:
; codeLenInByte = 0
; NumSgprs: 4
; NumVgprs: 0
; NumAgprs: 0
; TotalNumVgprs: 0
; ScratchSize: 0
; MemoryBound: 0
; FloatMode: 240
; IeeeMode: 1
; LDSByteSize: 0 bytes/workgroup (compile time only)
; SGPRBlocks: 0
; VGPRBlocks: 0
; NumSGPRsForWavesPerEU: 4
; NumVGPRsForWavesPerEU: 1
; AccumOffset: 4
; Occupancy: 8
; WaveLimiterHint : 0
; COMPUTE_PGM_RSRC2:SCRATCH_EN: 0
; COMPUTE_PGM_RSRC2:USER_SGPR: 6
; COMPUTE_PGM_RSRC2:TRAP_HANDLER: 0
; COMPUTE_PGM_RSRC2:TGID_X_EN: 1
; COMPUTE_PGM_RSRC2:TGID_Y_EN: 0
; COMPUTE_PGM_RSRC2:TGID_Z_EN: 0
; COMPUTE_PGM_RSRC2:TIDIG_COMP_CNT: 0
; COMPUTE_PGM_RSRC3_GFX90A:ACCUM_OFFSET: 0
; COMPUTE_PGM_RSRC3_GFX90A:TG_SPLIT: 0
	.section	.text._ZN7rocprim17ROCPRIM_400000_NS6detail17trampoline_kernelINS0_14default_configENS1_29reduce_by_key_config_selectorIiiN6thrust23THRUST_200600_302600_NS4plusIiEEEEZZNS1_33reduce_by_key_impl_wrapped_configILNS1_25lookback_scan_determinismE0ES3_S9_NS6_6detail15normal_iteratorINS6_10device_ptrIiEEEESG_SG_SG_PmS8_NS6_8equal_toIiEEEE10hipError_tPvRmT2_T3_mT4_T5_T6_T7_T8_P12ihipStream_tbENKUlT_T0_E_clISt17integral_constantIbLb0EES11_EEDaSW_SX_EUlSW_E_NS1_11comp_targetILNS1_3genE4ELNS1_11target_archE910ELNS1_3gpuE8ELNS1_3repE0EEENS1_30default_config_static_selectorELNS0_4arch9wavefront6targetE1EEEvT1_,"axG",@progbits,_ZN7rocprim17ROCPRIM_400000_NS6detail17trampoline_kernelINS0_14default_configENS1_29reduce_by_key_config_selectorIiiN6thrust23THRUST_200600_302600_NS4plusIiEEEEZZNS1_33reduce_by_key_impl_wrapped_configILNS1_25lookback_scan_determinismE0ES3_S9_NS6_6detail15normal_iteratorINS6_10device_ptrIiEEEESG_SG_SG_PmS8_NS6_8equal_toIiEEEE10hipError_tPvRmT2_T3_mT4_T5_T6_T7_T8_P12ihipStream_tbENKUlT_T0_E_clISt17integral_constantIbLb0EES11_EEDaSW_SX_EUlSW_E_NS1_11comp_targetILNS1_3genE4ELNS1_11target_archE910ELNS1_3gpuE8ELNS1_3repE0EEENS1_30default_config_static_selectorELNS0_4arch9wavefront6targetE1EEEvT1_,comdat
	.protected	_ZN7rocprim17ROCPRIM_400000_NS6detail17trampoline_kernelINS0_14default_configENS1_29reduce_by_key_config_selectorIiiN6thrust23THRUST_200600_302600_NS4plusIiEEEEZZNS1_33reduce_by_key_impl_wrapped_configILNS1_25lookback_scan_determinismE0ES3_S9_NS6_6detail15normal_iteratorINS6_10device_ptrIiEEEESG_SG_SG_PmS8_NS6_8equal_toIiEEEE10hipError_tPvRmT2_T3_mT4_T5_T6_T7_T8_P12ihipStream_tbENKUlT_T0_E_clISt17integral_constantIbLb0EES11_EEDaSW_SX_EUlSW_E_NS1_11comp_targetILNS1_3genE4ELNS1_11target_archE910ELNS1_3gpuE8ELNS1_3repE0EEENS1_30default_config_static_selectorELNS0_4arch9wavefront6targetE1EEEvT1_ ; -- Begin function _ZN7rocprim17ROCPRIM_400000_NS6detail17trampoline_kernelINS0_14default_configENS1_29reduce_by_key_config_selectorIiiN6thrust23THRUST_200600_302600_NS4plusIiEEEEZZNS1_33reduce_by_key_impl_wrapped_configILNS1_25lookback_scan_determinismE0ES3_S9_NS6_6detail15normal_iteratorINS6_10device_ptrIiEEEESG_SG_SG_PmS8_NS6_8equal_toIiEEEE10hipError_tPvRmT2_T3_mT4_T5_T6_T7_T8_P12ihipStream_tbENKUlT_T0_E_clISt17integral_constantIbLb0EES11_EEDaSW_SX_EUlSW_E_NS1_11comp_targetILNS1_3genE4ELNS1_11target_archE910ELNS1_3gpuE8ELNS1_3repE0EEENS1_30default_config_static_selectorELNS0_4arch9wavefront6targetE1EEEvT1_
	.globl	_ZN7rocprim17ROCPRIM_400000_NS6detail17trampoline_kernelINS0_14default_configENS1_29reduce_by_key_config_selectorIiiN6thrust23THRUST_200600_302600_NS4plusIiEEEEZZNS1_33reduce_by_key_impl_wrapped_configILNS1_25lookback_scan_determinismE0ES3_S9_NS6_6detail15normal_iteratorINS6_10device_ptrIiEEEESG_SG_SG_PmS8_NS6_8equal_toIiEEEE10hipError_tPvRmT2_T3_mT4_T5_T6_T7_T8_P12ihipStream_tbENKUlT_T0_E_clISt17integral_constantIbLb0EES11_EEDaSW_SX_EUlSW_E_NS1_11comp_targetILNS1_3genE4ELNS1_11target_archE910ELNS1_3gpuE8ELNS1_3repE0EEENS1_30default_config_static_selectorELNS0_4arch9wavefront6targetE1EEEvT1_
	.p2align	8
	.type	_ZN7rocprim17ROCPRIM_400000_NS6detail17trampoline_kernelINS0_14default_configENS1_29reduce_by_key_config_selectorIiiN6thrust23THRUST_200600_302600_NS4plusIiEEEEZZNS1_33reduce_by_key_impl_wrapped_configILNS1_25lookback_scan_determinismE0ES3_S9_NS6_6detail15normal_iteratorINS6_10device_ptrIiEEEESG_SG_SG_PmS8_NS6_8equal_toIiEEEE10hipError_tPvRmT2_T3_mT4_T5_T6_T7_T8_P12ihipStream_tbENKUlT_T0_E_clISt17integral_constantIbLb0EES11_EEDaSW_SX_EUlSW_E_NS1_11comp_targetILNS1_3genE4ELNS1_11target_archE910ELNS1_3gpuE8ELNS1_3repE0EEENS1_30default_config_static_selectorELNS0_4arch9wavefront6targetE1EEEvT1_,@function
_ZN7rocprim17ROCPRIM_400000_NS6detail17trampoline_kernelINS0_14default_configENS1_29reduce_by_key_config_selectorIiiN6thrust23THRUST_200600_302600_NS4plusIiEEEEZZNS1_33reduce_by_key_impl_wrapped_configILNS1_25lookback_scan_determinismE0ES3_S9_NS6_6detail15normal_iteratorINS6_10device_ptrIiEEEESG_SG_SG_PmS8_NS6_8equal_toIiEEEE10hipError_tPvRmT2_T3_mT4_T5_T6_T7_T8_P12ihipStream_tbENKUlT_T0_E_clISt17integral_constantIbLb0EES11_EEDaSW_SX_EUlSW_E_NS1_11comp_targetILNS1_3genE4ELNS1_11target_archE910ELNS1_3gpuE8ELNS1_3repE0EEENS1_30default_config_static_selectorELNS0_4arch9wavefront6targetE1EEEvT1_: ; @_ZN7rocprim17ROCPRIM_400000_NS6detail17trampoline_kernelINS0_14default_configENS1_29reduce_by_key_config_selectorIiiN6thrust23THRUST_200600_302600_NS4plusIiEEEEZZNS1_33reduce_by_key_impl_wrapped_configILNS1_25lookback_scan_determinismE0ES3_S9_NS6_6detail15normal_iteratorINS6_10device_ptrIiEEEESG_SG_SG_PmS8_NS6_8equal_toIiEEEE10hipError_tPvRmT2_T3_mT4_T5_T6_T7_T8_P12ihipStream_tbENKUlT_T0_E_clISt17integral_constantIbLb0EES11_EEDaSW_SX_EUlSW_E_NS1_11comp_targetILNS1_3genE4ELNS1_11target_archE910ELNS1_3gpuE8ELNS1_3repE0EEENS1_30default_config_static_selectorELNS0_4arch9wavefront6targetE1EEEvT1_
; %bb.0:
	s_load_dwordx8 s[36:43], s[4:5], 0x0
	s_load_dwordx4 s[52:55], s[4:5], 0x20
	s_load_dwordx8 s[44:51], s[4:5], 0x38
	s_load_dwordx2 s[60:61], s[4:5], 0x68
	s_load_dwordx4 s[56:59], s[4:5], 0x58
	s_waitcnt lgkmcnt(0)
	s_lshl_b64 s[0:1], s[38:39], 2
	s_add_u32 s2, s36, s0
	s_addc_u32 s3, s37, s1
	s_add_u32 s4, s40, s0
	s_addc_u32 s5, s41, s1
	s_mul_i32 s0, s48, s47
	s_mul_hi_u32 s1, s48, s46
	s_add_i32 s0, s1, s0
	s_mul_i32 s1, s49, s46
	s_add_i32 s8, s0, s1
	s_mul_i32 s0, s6, 0xf00
	s_mov_b32 s1, 0
	s_lshl_b64 s[0:1], s[0:1], 2
	s_add_u32 s7, s2, s0
	s_addc_u32 s62, s3, s1
	s_mul_i32 s9, s48, s46
	s_add_u32 s48, s4, s0
	s_addc_u32 s49, s5, s1
	s_add_u32 s38, s9, s6
	s_addc_u32 s39, s8, 0
	s_add_u32 s2, s50, -1
	s_addc_u32 s3, s51, -1
	s_cmp_eq_u64 s[38:39], s[2:3]
	s_cselect_b64 s[34:35], -1, 0
	s_cmp_lg_u64 s[38:39], s[2:3]
	s_mov_b64 s[0:1], -1
	s_cselect_b64 s[40:41], -1, 0
	s_mul_i32 s33, s2, 0xfffff100
	s_and_b64 vcc, exec, s[34:35]
	s_cbranch_vccnz .LBB547_2
; %bb.1:
	v_lshlrev_b32_e32 v24, 2, v0
	v_mov_b32_e32 v1, s62
	v_add_co_u32_e32 v2, vcc, s7, v24
	v_addc_co_u32_e32 v3, vcc, 0, v1, vcc
	v_add_co_u32_e32 v4, vcc, 0x1000, v2
	v_addc_co_u32_e32 v5, vcc, 0, v3, vcc
	flat_load_dword v1, v[2:3]
	flat_load_dword v8, v[2:3] offset:1024
	flat_load_dword v9, v[2:3] offset:2048
	;; [unrolled: 1-line block ×3, first 2 shown]
	flat_load_dword v11, v[4:5]
	flat_load_dword v12, v[4:5] offset:1024
	flat_load_dword v13, v[4:5] offset:2048
	;; [unrolled: 1-line block ×3, first 2 shown]
	v_add_co_u32_e32 v4, vcc, 0x2000, v2
	v_addc_co_u32_e32 v5, vcc, 0, v3, vcc
	v_add_co_u32_e32 v2, vcc, 0x3000, v2
	v_addc_co_u32_e32 v3, vcc, 0, v3, vcc
	flat_load_dword v15, v[4:5]
	flat_load_dword v16, v[4:5] offset:1024
	flat_load_dword v17, v[4:5] offset:2048
	;; [unrolled: 1-line block ×3, first 2 shown]
	flat_load_dword v19, v[2:3]
	flat_load_dword v20, v[2:3] offset:1024
	flat_load_dword v21, v[2:3] offset:2048
	v_mov_b32_e32 v3, s49
	v_add_co_u32_e32 v2, vcc, s48, v24
	s_movk_i32 s0, 0x1000
	v_addc_co_u32_e32 v3, vcc, 0, v3, vcc
	v_add_co_u32_e32 v4, vcc, s0, v2
	s_movk_i32 s1, 0x2000
	v_addc_co_u32_e32 v5, vcc, 0, v3, vcc
	;; [unrolled: 3-line block ×3, first 2 shown]
	v_mad_u32_u24 v36, v0, 56, v24
	v_add_co_u32_e32 v22, vcc, s2, v2
	v_addc_co_u32_e32 v23, vcc, 0, v3, vcc
	s_waitcnt vmcnt(0) lgkmcnt(0)
	ds_write2st64_b32 v24, v1, v8 offset1:4
	ds_write2st64_b32 v24, v9, v10 offset0:8 offset1:12
	ds_write2st64_b32 v24, v11, v12 offset0:16 offset1:20
	;; [unrolled: 1-line block ×6, first 2 shown]
	ds_write_b32 v24, v21 offset:14336
	s_waitcnt lgkmcnt(0)
	s_barrier
	ds_read2_b32 v[20:21], v36 offset1:1
	ds_read2_b32 v[18:19], v36 offset0:2 offset1:3
	ds_read2_b32 v[16:17], v36 offset0:4 offset1:5
	ds_read2_b32 v[14:15], v36 offset0:6 offset1:7
	ds_read2_b32 v[12:13], v36 offset0:8 offset1:9
	ds_read2_b32 v[10:11], v36 offset0:10 offset1:11
	ds_read2_b32 v[8:9], v36 offset0:12 offset1:13
	ds_read_b32 v1, v36 offset:56
	s_waitcnt lgkmcnt(0)
	s_barrier
	flat_load_dword v25, v[2:3]
	flat_load_dword v26, v[2:3] offset:1024
	flat_load_dword v27, v[2:3] offset:2048
	flat_load_dword v28, v[2:3] offset:3072
	flat_load_dword v29, v[4:5]
	flat_load_dword v32, v[4:5] offset:1024
	flat_load_dword v33, v[4:5] offset:2048
	flat_load_dword v34, v[4:5] offset:3072
	;; [unrolled: 4-line block ×3, first 2 shown]
	flat_load_dword v40, v[22:23]
	flat_load_dword v41, v[22:23] offset:1024
	flat_load_dword v42, v[22:23] offset:2048
	v_mov_b32_e32 v30, v20
	v_mov_b32_e32 v31, v18
	;; [unrolled: 1-line block ×7, first 2 shown]
	s_waitcnt vmcnt(0) lgkmcnt(0)
	ds_write2st64_b32 v24, v25, v26 offset1:4
	ds_write2st64_b32 v24, v27, v28 offset0:8 offset1:12
	ds_write2st64_b32 v24, v29, v32 offset0:16 offset1:20
	;; [unrolled: 1-line block ×6, first 2 shown]
	ds_write_b32 v24, v42 offset:14336
	s_waitcnt lgkmcnt(0)
	s_barrier
	s_add_i32 s33, s33, s56
	s_cbranch_execz .LBB547_3
	s_branch .LBB547_50
.LBB547_2:
                                        ; implicit-def: $vgpr1
                                        ; implicit-def: $vgpr8
                                        ; implicit-def: $vgpr10
                                        ; implicit-def: $vgpr12
                                        ; implicit-def: $vgpr14
                                        ; implicit-def: $vgpr16
                                        ; implicit-def: $vgpr18
                                        ; implicit-def: $vgpr20
                                        ; implicit-def: $vgpr36
                                        ; implicit-def: $vgpr2_vgpr3
                                        ; implicit-def: $vgpr4_vgpr5
                                        ; implicit-def: $vgpr30_vgpr31
                                        ; implicit-def: $vgpr6_vgpr7
	s_andn2_b64 vcc, exec, s[0:1]
	s_add_i32 s33, s33, s56
	s_cbranch_vccnz .LBB547_50
.LBB547_3:
	v_cmp_gt_u32_e32 vcc, s33, v0
                                        ; implicit-def: $vgpr1
	s_and_saveexec_b64 s[2:3], vcc
	s_cbranch_execz .LBB547_5
; %bb.4:
	v_lshlrev_b32_e32 v1, 2, v0
	v_mov_b32_e32 v3, s62
	v_add_co_u32_e64 v2, s[0:1], s7, v1
	v_addc_co_u32_e64 v3, s[0:1], 0, v3, s[0:1]
	flat_load_dword v1, v[2:3]
.LBB547_5:
	s_or_b64 exec, exec, s[2:3]
	v_or_b32_e32 v2, 0x100, v0
	v_cmp_gt_u32_e64 s[0:1], s33, v2
                                        ; implicit-def: $vgpr8
	s_and_saveexec_b64 s[4:5], s[0:1]
	s_cbranch_execz .LBB547_7
; %bb.6:
	v_lshlrev_b32_e32 v2, 2, v0
	v_mov_b32_e32 v3, s62
	v_add_co_u32_e64 v2, s[2:3], s7, v2
	v_addc_co_u32_e64 v3, s[2:3], 0, v3, s[2:3]
	flat_load_dword v8, v[2:3] offset:1024
.LBB547_7:
	s_or_b64 exec, exec, s[4:5]
	v_or_b32_e32 v2, 0x200, v0
	v_cmp_gt_u32_e64 s[2:3], s33, v2
                                        ; implicit-def: $vgpr9
	s_and_saveexec_b64 s[8:9], s[2:3]
	s_cbranch_execz .LBB547_9
; %bb.8:
	v_lshlrev_b32_e32 v2, 2, v0
	v_mov_b32_e32 v3, s62
	v_add_co_u32_e64 v2, s[4:5], s7, v2
	v_addc_co_u32_e64 v3, s[4:5], 0, v3, s[4:5]
	flat_load_dword v9, v[2:3] offset:2048
.LBB547_9:
	s_or_b64 exec, exec, s[8:9]
	v_or_b32_e32 v2, 0x300, v0
	v_cmp_gt_u32_e64 s[4:5], s33, v2
                                        ; implicit-def: $vgpr10
	s_and_saveexec_b64 s[10:11], s[4:5]
	s_cbranch_execz .LBB547_11
; %bb.10:
	v_lshlrev_b32_e32 v2, 2, v0
	v_mov_b32_e32 v3, s62
	v_add_co_u32_e64 v2, s[8:9], s7, v2
	v_addc_co_u32_e64 v3, s[8:9], 0, v3, s[8:9]
	flat_load_dword v10, v[2:3] offset:3072
.LBB547_11:
	s_or_b64 exec, exec, s[10:11]
	v_or_b32_e32 v2, 0x400, v0
	v_cmp_gt_u32_e64 s[28:29], s33, v2
	v_lshlrev_b32_e32 v2, 2, v2
                                        ; implicit-def: $vgpr11
	s_and_saveexec_b64 s[10:11], s[28:29]
	s_cbranch_execz .LBB547_13
; %bb.12:
	v_mov_b32_e32 v3, s62
	v_add_co_u32_e64 v4, s[8:9], s7, v2
	v_addc_co_u32_e64 v5, s[8:9], 0, v3, s[8:9]
	flat_load_dword v11, v[4:5]
.LBB547_13:
	s_or_b64 exec, exec, s[10:11]
	v_or_b32_e32 v3, 0x500, v0
	v_cmp_gt_u32_e64 s[8:9], s33, v3
	v_lshlrev_b32_e32 v3, 2, v3
                                        ; implicit-def: $vgpr12
	s_and_saveexec_b64 s[12:13], s[8:9]
	s_cbranch_execz .LBB547_15
; %bb.14:
	v_mov_b32_e32 v5, s62
	v_add_co_u32_e64 v4, s[10:11], s7, v3
	v_addc_co_u32_e64 v5, s[10:11], 0, v5, s[10:11]
	flat_load_dword v12, v[4:5]
.LBB547_15:
	s_or_b64 exec, exec, s[12:13]
	v_or_b32_e32 v4, 0x600, v0
	v_cmp_gt_u32_e64 s[10:11], s33, v4
	v_lshlrev_b32_e32 v4, 2, v4
                                        ; implicit-def: $vgpr13
	s_and_saveexec_b64 s[14:15], s[10:11]
	s_cbranch_execz .LBB547_17
; %bb.16:
	v_mov_b32_e32 v5, s62
	v_add_co_u32_e64 v6, s[12:13], s7, v4
	v_addc_co_u32_e64 v7, s[12:13], 0, v5, s[12:13]
	flat_load_dword v13, v[6:7]
.LBB547_17:
	s_or_b64 exec, exec, s[14:15]
	v_or_b32_e32 v5, 0x700, v0
	v_cmp_gt_u32_e64 s[12:13], s33, v5
	v_lshlrev_b32_e32 v5, 2, v5
                                        ; implicit-def: $vgpr14
	s_and_saveexec_b64 s[16:17], s[12:13]
	s_cbranch_execz .LBB547_19
; %bb.18:
	v_mov_b32_e32 v7, s62
	v_add_co_u32_e64 v6, s[14:15], s7, v5
	v_addc_co_u32_e64 v7, s[14:15], 0, v7, s[14:15]
	flat_load_dword v14, v[6:7]
.LBB547_19:
	s_or_b64 exec, exec, s[16:17]
	v_or_b32_e32 v6, 0x800, v0
	v_cmp_gt_u32_e64 s[14:15], s33, v6
	v_lshlrev_b32_e32 v6, 2, v6
                                        ; implicit-def: $vgpr15
	s_and_saveexec_b64 s[18:19], s[14:15]
	s_cbranch_execz .LBB547_21
; %bb.20:
	v_mov_b32_e32 v7, s62
	v_add_co_u32_e64 v16, s[16:17], s7, v6
	v_addc_co_u32_e64 v17, s[16:17], 0, v7, s[16:17]
	flat_load_dword v15, v[16:17]
.LBB547_21:
	s_or_b64 exec, exec, s[18:19]
	v_or_b32_e32 v7, 0x900, v0
	v_cmp_gt_u32_e64 s[16:17], s33, v7
	v_lshlrev_b32_e32 v7, 2, v7
                                        ; implicit-def: $vgpr16
	s_and_saveexec_b64 s[20:21], s[16:17]
	s_cbranch_execz .LBB547_23
; %bb.22:
	v_mov_b32_e32 v17, s62
	v_add_co_u32_e64 v16, s[18:19], s7, v7
	v_addc_co_u32_e64 v17, s[18:19], 0, v17, s[18:19]
	flat_load_dword v16, v[16:17]
.LBB547_23:
	s_or_b64 exec, exec, s[20:21]
	v_or_b32_e32 v17, 0xa00, v0
	v_cmp_gt_u32_e64 s[18:19], s33, v17
	v_lshlrev_b32_e32 v22, 2, v17
                                        ; implicit-def: $vgpr17
	s_and_saveexec_b64 s[22:23], s[18:19]
	s_cbranch_execz .LBB547_25
; %bb.24:
	v_mov_b32_e32 v17, s62
	v_add_co_u32_e64 v18, s[20:21], s7, v22
	v_addc_co_u32_e64 v19, s[20:21], 0, v17, s[20:21]
	flat_load_dword v17, v[18:19]
.LBB547_25:
	s_or_b64 exec, exec, s[22:23]
	v_or_b32_e32 v18, 0xb00, v0
	v_cmp_gt_u32_e64 s[20:21], s33, v18
	v_lshlrev_b32_e32 v24, 2, v18
                                        ; implicit-def: $vgpr18
	s_and_saveexec_b64 s[24:25], s[20:21]
	s_cbranch_execz .LBB547_27
; %bb.26:
	v_mov_b32_e32 v19, s62
	v_add_co_u32_e64 v18, s[22:23], s7, v24
	v_addc_co_u32_e64 v19, s[22:23], 0, v19, s[22:23]
	flat_load_dword v18, v[18:19]
.LBB547_27:
	s_or_b64 exec, exec, s[24:25]
	v_or_b32_e32 v19, 0xc00, v0
	v_cmp_gt_u32_e64 s[22:23], s33, v19
	v_lshlrev_b32_e32 v25, 2, v19
                                        ; implicit-def: $vgpr19
	s_and_saveexec_b64 s[26:27], s[22:23]
	s_cbranch_execz .LBB547_29
; %bb.28:
	v_mov_b32_e32 v19, s62
	v_add_co_u32_e64 v20, s[24:25], s7, v25
	v_addc_co_u32_e64 v21, s[24:25], 0, v19, s[24:25]
	flat_load_dword v19, v[20:21]
.LBB547_29:
	s_or_b64 exec, exec, s[26:27]
	v_or_b32_e32 v20, 0xd00, v0
	v_cmp_gt_u32_e64 s[24:25], s33, v20
	v_lshlrev_b32_e32 v26, 2, v20
                                        ; implicit-def: $vgpr20
	s_and_saveexec_b64 s[30:31], s[24:25]
	s_cbranch_execz .LBB547_31
; %bb.30:
	v_mov_b32_e32 v21, s62
	v_add_co_u32_e64 v20, s[26:27], s7, v26
	v_addc_co_u32_e64 v21, s[26:27], 0, v21, s[26:27]
	flat_load_dword v20, v[20:21]
.LBB547_31:
	s_or_b64 exec, exec, s[30:31]
	v_or_b32_e32 v21, 0xe00, v0
	v_cmp_gt_u32_e64 s[26:27], s33, v21
	v_lshlrev_b32_e32 v27, 2, v21
                                        ; implicit-def: $vgpr21
	s_and_saveexec_b64 s[36:37], s[26:27]
	s_cbranch_execz .LBB547_33
; %bb.32:
	v_mov_b32_e32 v21, s62
	v_add_co_u32_e64 v28, s[30:31], s7, v27
	v_addc_co_u32_e64 v29, s[30:31], 0, v21, s[30:31]
	flat_load_dword v21, v[28:29]
.LBB547_33:
	s_or_b64 exec, exec, s[36:37]
	v_lshlrev_b32_e32 v23, 2, v0
	v_mad_u32_u24 v36, v0, 56, v23
	s_waitcnt vmcnt(0) lgkmcnt(0)
	ds_write2st64_b32 v23, v1, v8 offset1:4
	ds_write2st64_b32 v23, v9, v10 offset0:8 offset1:12
	ds_write2st64_b32 v23, v11, v12 offset0:16 offset1:20
	;; [unrolled: 1-line block ×6, first 2 shown]
	ds_write_b32 v23, v21 offset:14336
	s_waitcnt lgkmcnt(0)
	s_barrier
	ds_read2_b32 v[20:21], v36 offset1:1
	ds_read2_b32 v[18:19], v36 offset0:2 offset1:3
	ds_read2_b32 v[16:17], v36 offset0:4 offset1:5
	;; [unrolled: 1-line block ×6, first 2 shown]
	ds_read_b32 v1, v36 offset:56
	s_waitcnt lgkmcnt(0)
	s_barrier
	s_waitcnt lgkmcnt(0)
                                        ; implicit-def: $vgpr28
	s_and_saveexec_b64 s[30:31], vcc
	s_cbranch_execnz .LBB547_57
; %bb.34:
	s_or_b64 exec, exec, s[30:31]
                                        ; implicit-def: $vgpr29
	s_and_saveexec_b64 s[30:31], s[0:1]
	s_cbranch_execnz .LBB547_58
.LBB547_35:
	s_or_b64 exec, exec, s[30:31]
                                        ; implicit-def: $vgpr30
	s_and_saveexec_b64 s[0:1], s[2:3]
	s_cbranch_execnz .LBB547_59
.LBB547_36:
	s_or_b64 exec, exec, s[0:1]
                                        ; implicit-def: $vgpr31
	s_and_saveexec_b64 s[0:1], s[4:5]
	s_cbranch_execnz .LBB547_60
.LBB547_37:
	s_or_b64 exec, exec, s[0:1]
                                        ; implicit-def: $vgpr32
	s_and_saveexec_b64 s[0:1], s[28:29]
	s_cbranch_execnz .LBB547_61
.LBB547_38:
	s_or_b64 exec, exec, s[0:1]
                                        ; implicit-def: $vgpr2
	s_and_saveexec_b64 s[0:1], s[8:9]
	s_cbranch_execnz .LBB547_62
.LBB547_39:
	s_or_b64 exec, exec, s[0:1]
                                        ; implicit-def: $vgpr3
	s_and_saveexec_b64 s[0:1], s[10:11]
	s_cbranch_execnz .LBB547_63
.LBB547_40:
	s_or_b64 exec, exec, s[0:1]
                                        ; implicit-def: $vgpr4
	s_and_saveexec_b64 s[0:1], s[12:13]
	s_cbranch_execnz .LBB547_64
.LBB547_41:
	s_or_b64 exec, exec, s[0:1]
                                        ; implicit-def: $vgpr5
	s_and_saveexec_b64 s[0:1], s[14:15]
	s_cbranch_execnz .LBB547_65
.LBB547_42:
	s_or_b64 exec, exec, s[0:1]
                                        ; implicit-def: $vgpr6
	s_and_saveexec_b64 s[0:1], s[16:17]
	s_cbranch_execnz .LBB547_66
.LBB547_43:
	s_or_b64 exec, exec, s[0:1]
                                        ; implicit-def: $vgpr7
	s_and_saveexec_b64 s[0:1], s[18:19]
	s_cbranch_execnz .LBB547_67
.LBB547_44:
	s_or_b64 exec, exec, s[0:1]
                                        ; implicit-def: $vgpr22
	s_and_saveexec_b64 s[0:1], s[20:21]
	s_cbranch_execnz .LBB547_68
.LBB547_45:
	s_or_b64 exec, exec, s[0:1]
                                        ; implicit-def: $vgpr24
	s_and_saveexec_b64 s[0:1], s[22:23]
	s_cbranch_execnz .LBB547_69
.LBB547_46:
	s_or_b64 exec, exec, s[0:1]
                                        ; implicit-def: $vgpr25
	s_and_saveexec_b64 s[0:1], s[24:25]
	s_cbranch_execnz .LBB547_70
.LBB547_47:
	s_or_b64 exec, exec, s[0:1]
                                        ; implicit-def: $vgpr26
	s_and_saveexec_b64 s[0:1], s[26:27]
	s_cbranch_execz .LBB547_49
.LBB547_48:
	v_mov_b32_e32 v33, s49
	v_add_co_u32_e32 v26, vcc, s48, v27
	v_addc_co_u32_e32 v27, vcc, 0, v33, vcc
	flat_load_dword v26, v[26:27]
.LBB547_49:
	s_or_b64 exec, exec, s[0:1]
	s_waitcnt vmcnt(0) lgkmcnt(0)
	ds_write2st64_b32 v23, v28, v29 offset1:4
	ds_write2st64_b32 v23, v30, v31 offset0:8 offset1:12
	ds_write2st64_b32 v23, v32, v2 offset0:16 offset1:20
	;; [unrolled: 1-line block ×6, first 2 shown]
	ds_write_b32 v23, v26 offset:14336
	v_mov_b32_e32 v30, v20
	v_mov_b32_e32 v31, v18
	;; [unrolled: 1-line block ×7, first 2 shown]
	s_waitcnt lgkmcnt(0)
	s_barrier
.LBB547_50:
	ds_read2_b32 v[40:41], v36 offset1:1
	ds_read2_b32 v[34:35], v36 offset0:2 offset1:3
	ds_read2_b32 v[32:33], v36 offset0:4 offset1:5
	;; [unrolled: 1-line block ×6, first 2 shown]
	ds_read_b32 v82, v36 offset:56
	s_cmp_eq_u64 s[38:39], 0
	s_cselect_b64 s[36:37], -1, 0
	s_cmp_lg_u64 s[38:39], 0
	s_mov_b64 s[48:49], 0
	s_cselect_b64 s[2:3], -1, 0
	s_and_b64 vcc, exec, s[40:41]
	s_waitcnt lgkmcnt(0)
	s_barrier
	s_cbranch_vccz .LBB547_56
; %bb.51:
	s_and_b64 vcc, exec, s[2:3]
	s_cbranch_vccz .LBB547_71
; %bb.52:
	v_mov_b32_e32 v7, s62
	v_add_co_u32_e64 v36, vcc, -4, s7
	v_addc_co_u32_e32 v37, vcc, -1, v7, vcc
	flat_load_dword v7, v[36:37]
	v_lshlrev_b32_e32 v36, 2, v0
	v_cmp_ne_u32_e32 vcc, 0, v0
	ds_write_b32 v36, v1
	s_waitcnt lgkmcnt(0)
	s_barrier
	s_and_saveexec_b64 s[0:1], vcc
	s_cbranch_execz .LBB547_54
; %bb.53:
	s_waitcnt vmcnt(0)
	v_add_u32_e32 v7, -4, v36
	ds_read_b32 v7, v7
.LBB547_54:
	s_or_b64 exec, exec, s[0:1]
	v_cmp_ne_u32_e32 vcc, v30, v21
	v_cndmask_b32_e64 v79, 0, 1, vcc
	v_cmp_ne_u32_e32 vcc, v31, v21
	v_cndmask_b32_e64 v78, 0, 1, vcc
	;; [unrolled: 2-line block ×14, first 2 shown]
	s_waitcnt vmcnt(0) lgkmcnt(0)
	v_cmp_ne_u32_e64 s[0:1], v7, v20
	s_mov_b64 s[48:49], -1
.LBB547_55:
                                        ; implicit-def: $sgpr8
	s_branch .LBB547_83
.LBB547_56:
                                        ; implicit-def: $sgpr0_sgpr1
                                        ; implicit-def: $vgpr66
                                        ; implicit-def: $vgpr67
                                        ; implicit-def: $vgpr68
                                        ; implicit-def: $vgpr69
                                        ; implicit-def: $vgpr70
                                        ; implicit-def: $vgpr71
                                        ; implicit-def: $vgpr72
                                        ; implicit-def: $vgpr73
                                        ; implicit-def: $vgpr74
                                        ; implicit-def: $vgpr75
                                        ; implicit-def: $vgpr76
                                        ; implicit-def: $vgpr77
                                        ; implicit-def: $vgpr78
                                        ; implicit-def: $vgpr79
                                        ; implicit-def: $sgpr8
	s_cbranch_execnz .LBB547_75
	s_branch .LBB547_83
.LBB547_57:
	v_mov_b32_e32 v29, s49
	v_add_co_u32_e32 v28, vcc, s48, v23
	v_addc_co_u32_e32 v29, vcc, 0, v29, vcc
	flat_load_dword v28, v[28:29]
	s_or_b64 exec, exec, s[30:31]
                                        ; implicit-def: $vgpr29
	s_and_saveexec_b64 s[30:31], s[0:1]
	s_cbranch_execz .LBB547_35
.LBB547_58:
	v_mov_b32_e32 v29, s49
	v_add_co_u32_e32 v30, vcc, s48, v23
	v_addc_co_u32_e32 v31, vcc, 0, v29, vcc
	flat_load_dword v29, v[30:31] offset:1024
	s_or_b64 exec, exec, s[30:31]
                                        ; implicit-def: $vgpr30
	s_and_saveexec_b64 s[0:1], s[2:3]
	s_cbranch_execz .LBB547_36
.LBB547_59:
	v_mov_b32_e32 v31, s49
	v_add_co_u32_e32 v30, vcc, s48, v23
	v_addc_co_u32_e32 v31, vcc, 0, v31, vcc
	flat_load_dword v30, v[30:31] offset:2048
	s_or_b64 exec, exec, s[0:1]
                                        ; implicit-def: $vgpr31
	s_and_saveexec_b64 s[0:1], s[4:5]
	s_cbranch_execz .LBB547_37
.LBB547_60:
	v_mov_b32_e32 v31, s49
	v_add_co_u32_e32 v32, vcc, s48, v23
	v_addc_co_u32_e32 v33, vcc, 0, v31, vcc
	flat_load_dword v31, v[32:33] offset:3072
	s_or_b64 exec, exec, s[0:1]
                                        ; implicit-def: $vgpr32
	s_and_saveexec_b64 s[0:1], s[28:29]
	s_cbranch_execz .LBB547_38
.LBB547_61:
	v_mov_b32_e32 v33, s49
	v_add_co_u32_e32 v32, vcc, s48, v2
	v_addc_co_u32_e32 v33, vcc, 0, v33, vcc
	flat_load_dword v32, v[32:33]
	s_or_b64 exec, exec, s[0:1]
                                        ; implicit-def: $vgpr2
	s_and_saveexec_b64 s[0:1], s[8:9]
	s_cbranch_execz .LBB547_39
.LBB547_62:
	v_mov_b32_e32 v33, s49
	v_add_co_u32_e32 v2, vcc, s48, v3
	v_addc_co_u32_e32 v3, vcc, 0, v33, vcc
	flat_load_dword v2, v[2:3]
	s_or_b64 exec, exec, s[0:1]
                                        ; implicit-def: $vgpr3
	s_and_saveexec_b64 s[0:1], s[10:11]
	s_cbranch_execz .LBB547_40
.LBB547_63:
	v_mov_b32_e32 v3, s49
	v_add_co_u32_e32 v34, vcc, s48, v4
	v_addc_co_u32_e32 v35, vcc, 0, v3, vcc
	flat_load_dword v3, v[34:35]
	s_or_b64 exec, exec, s[0:1]
                                        ; implicit-def: $vgpr4
	s_and_saveexec_b64 s[0:1], s[12:13]
	s_cbranch_execz .LBB547_41
.LBB547_64:
	v_mov_b32_e32 v33, s49
	v_add_co_u32_e32 v4, vcc, s48, v5
	v_addc_co_u32_e32 v5, vcc, 0, v33, vcc
	flat_load_dword v4, v[4:5]
	s_or_b64 exec, exec, s[0:1]
                                        ; implicit-def: $vgpr5
	s_and_saveexec_b64 s[0:1], s[14:15]
	s_cbranch_execz .LBB547_42
.LBB547_65:
	v_mov_b32_e32 v5, s49
	v_add_co_u32_e32 v34, vcc, s48, v6
	v_addc_co_u32_e32 v35, vcc, 0, v5, vcc
	flat_load_dword v5, v[34:35]
	s_or_b64 exec, exec, s[0:1]
                                        ; implicit-def: $vgpr6
	s_and_saveexec_b64 s[0:1], s[16:17]
	s_cbranch_execz .LBB547_43
.LBB547_66:
	v_mov_b32_e32 v33, s49
	v_add_co_u32_e32 v6, vcc, s48, v7
	v_addc_co_u32_e32 v7, vcc, 0, v33, vcc
	flat_load_dword v6, v[6:7]
	s_or_b64 exec, exec, s[0:1]
                                        ; implicit-def: $vgpr7
	s_and_saveexec_b64 s[0:1], s[18:19]
	s_cbranch_execz .LBB547_44
.LBB547_67:
	v_mov_b32_e32 v7, s49
	v_add_co_u32_e32 v34, vcc, s48, v22
	v_addc_co_u32_e32 v35, vcc, 0, v7, vcc
	flat_load_dword v7, v[34:35]
	s_or_b64 exec, exec, s[0:1]
                                        ; implicit-def: $vgpr22
	s_and_saveexec_b64 s[0:1], s[20:21]
	s_cbranch_execz .LBB547_45
.LBB547_68:
	v_mov_b32_e32 v22, s49
	v_add_co_u32_e32 v34, vcc, s48, v24
	v_addc_co_u32_e32 v35, vcc, 0, v22, vcc
	flat_load_dword v22, v[34:35]
	s_or_b64 exec, exec, s[0:1]
                                        ; implicit-def: $vgpr24
	s_and_saveexec_b64 s[0:1], s[22:23]
	s_cbranch_execz .LBB547_46
.LBB547_69:
	v_mov_b32_e32 v33, s49
	v_add_co_u32_e32 v24, vcc, s48, v25
	v_addc_co_u32_e32 v25, vcc, 0, v33, vcc
	flat_load_dword v24, v[24:25]
	s_or_b64 exec, exec, s[0:1]
                                        ; implicit-def: $vgpr25
	s_and_saveexec_b64 s[0:1], s[24:25]
	s_cbranch_execz .LBB547_47
.LBB547_70:
	v_mov_b32_e32 v25, s49
	v_add_co_u32_e32 v34, vcc, s48, v26
	v_addc_co_u32_e32 v35, vcc, 0, v25, vcc
	flat_load_dword v25, v[34:35]
	s_or_b64 exec, exec, s[0:1]
                                        ; implicit-def: $vgpr26
	s_and_saveexec_b64 s[0:1], s[26:27]
	s_cbranch_execnz .LBB547_48
	s_branch .LBB547_49
.LBB547_71:
                                        ; implicit-def: $sgpr0_sgpr1
                                        ; implicit-def: $vgpr66
                                        ; implicit-def: $vgpr67
                                        ; implicit-def: $vgpr68
                                        ; implicit-def: $vgpr69
                                        ; implicit-def: $vgpr70
                                        ; implicit-def: $vgpr71
                                        ; implicit-def: $vgpr72
                                        ; implicit-def: $vgpr73
                                        ; implicit-def: $vgpr74
                                        ; implicit-def: $vgpr75
                                        ; implicit-def: $vgpr76
                                        ; implicit-def: $vgpr77
                                        ; implicit-def: $vgpr78
                                        ; implicit-def: $vgpr79
	s_cbranch_execz .LBB547_55
; %bb.72:
	v_cmp_ne_u32_e32 vcc, v21, v30
	v_cndmask_b32_e64 v79, 0, 1, vcc
	v_cmp_ne_u32_e32 vcc, v21, v31
	v_cndmask_b32_e64 v78, 0, 1, vcc
	;; [unrolled: 2-line block ×13, first 2 shown]
	v_cmp_ne_u32_e32 vcc, v9, v1
	v_lshlrev_b32_e32 v7, 2, v0
	v_cndmask_b32_e64 v66, 0, 1, vcc
	v_cmp_ne_u32_e32 vcc, 0, v0
	ds_write_b32 v7, v1
	s_waitcnt lgkmcnt(0)
	s_barrier
	s_waitcnt lgkmcnt(0)
                                        ; implicit-def: $sgpr0_sgpr1
	s_and_saveexec_b64 s[4:5], vcc
	s_xor_b64 s[4:5], exec, s[4:5]
	s_cbranch_execz .LBB547_74
; %bb.73:
	v_add_u32_e32 v2, -4, v7
	ds_read_b32 v2, v2
	s_or_b64 s[48:49], s[48:49], exec
	s_waitcnt lgkmcnt(0)
	v_cmp_ne_u32_e32 vcc, v2, v20
	s_and_b64 s[0:1], vcc, exec
.LBB547_74:
	s_or_b64 exec, exec, s[4:5]
	s_mov_b32 s8, 1
	s_branch .LBB547_83
.LBB547_75:
	s_mul_hi_u32 s1, s38, 0xfffff100
	s_mul_i32 s0, s39, 0xfffff100
	s_sub_i32 s1, s1, s38
	s_add_i32 s1, s1, s0
	s_mul_i32 s0, s38, 0xfffff100
	s_add_u32 s38, s0, s56
	s_addc_u32 s39, s1, s57
	s_and_b64 vcc, exec, s[2:3]
	v_cmp_ne_u32_e64 s[28:29], v9, v1
	v_cmp_ne_u32_e64 s[26:27], v8, v9
	;; [unrolled: 1-line block ×14, first 2 shown]
	v_mad_u32_u24 v2, v0, 15, 14
	v_mad_u32_u24 v56, v0, 15, 13
	;; [unrolled: 1-line block ×14, first 2 shown]
	v_cmp_ne_u32_e64 s[8:9], 0, v0
	s_cbranch_vccz .LBB547_80
; %bb.76:
	v_mov_b32_e32 v3, s62
	v_add_co_u32_e64 v58, vcc, -4, s7
	v_addc_co_u32_e32 v59, vcc, -1, v3, vcc
	flat_load_dword v60, v[58:59]
	v_mov_b32_e32 v3, 0
	v_cmp_gt_u64_e32 vcc, s[38:39], v[2:3]
	v_mov_b32_e32 v57, v3
	s_and_b64 s[28:29], vcc, s[28:29]
	v_cmp_gt_u64_e32 vcc, s[38:39], v[56:57]
	v_mov_b32_e32 v55, v3
	s_and_b64 s[26:27], vcc, s[26:27]
	;; [unrolled: 3-line block ×13, first 2 shown]
	v_cmp_gt_u64_e32 vcc, s[38:39], v[4:5]
	v_lshlrev_b32_e32 v59, 2, v0
	v_mul_u32_u24_e32 v58, 15, v0
	s_and_b64 s[0:1], vcc, s[0:1]
	ds_write_b32 v59, v1
	s_waitcnt lgkmcnt(0)
	s_barrier
	s_and_saveexec_b64 s[40:41], s[8:9]
	s_cbranch_execz .LBB547_78
; %bb.77:
	v_add_u32_e32 v5, -4, v59
	s_waitcnt vmcnt(0)
	ds_read_b32 v60, v5
.LBB547_78:
	s_or_b64 exec, exec, s[40:41]
	v_mov_b32_e32 v59, v3
	v_cndmask_b32_e64 v79, 0, 1, s[0:1]
	v_cmp_gt_u64_e32 vcc, s[38:39], v[58:59]
	s_waitcnt vmcnt(0) lgkmcnt(0)
	v_cmp_ne_u32_e64 s[0:1], v60, v20
	v_cndmask_b32_e64 v66, 0, 1, s[28:29]
	v_cndmask_b32_e64 v67, 0, 1, s[26:27]
	v_cndmask_b32_e64 v68, 0, 1, s[24:25]
	v_cndmask_b32_e64 v69, 0, 1, s[22:23]
	v_cndmask_b32_e64 v70, 0, 1, s[20:21]
	v_cndmask_b32_e64 v71, 0, 1, s[18:19]
	v_cndmask_b32_e64 v72, 0, 1, s[16:17]
	v_cndmask_b32_e64 v73, 0, 1, s[14:15]
	v_cndmask_b32_e64 v74, 0, 1, s[12:13]
	v_cndmask_b32_e64 v75, 0, 1, s[10:11]
	v_cndmask_b32_e64 v76, 0, 1, s[30:31]
	v_cndmask_b32_e64 v77, 0, 1, s[4:5]
	v_cndmask_b32_e64 v78, 0, 1, s[2:3]
	s_and_b64 s[0:1], vcc, s[0:1]
	s_mov_b64 s[48:49], -1
.LBB547_79:
                                        ; implicit-def: $sgpr8
	v_mov_b32_e32 v81, s8
	s_and_saveexec_b64 s[2:3], s[48:49]
	s_cbranch_execnz .LBB547_84
	s_branch .LBB547_85
.LBB547_80:
                                        ; implicit-def: $sgpr0_sgpr1
                                        ; implicit-def: $vgpr66
                                        ; implicit-def: $vgpr67
                                        ; implicit-def: $vgpr68
                                        ; implicit-def: $vgpr69
                                        ; implicit-def: $vgpr70
                                        ; implicit-def: $vgpr71
                                        ; implicit-def: $vgpr72
                                        ; implicit-def: $vgpr73
                                        ; implicit-def: $vgpr74
                                        ; implicit-def: $vgpr75
                                        ; implicit-def: $vgpr76
                                        ; implicit-def: $vgpr77
                                        ; implicit-def: $vgpr78
                                        ; implicit-def: $vgpr79
	s_cbranch_execz .LBB547_79
; %bb.81:
	v_mov_b32_e32 v3, 0
	v_cmp_gt_u64_e32 vcc, s[38:39], v[2:3]
	v_cmp_ne_u32_e64 s[0:1], v9, v1
	s_and_b64 s[0:1], vcc, s[0:1]
	v_mov_b32_e32 v57, v3
	v_cndmask_b32_e64 v66, 0, 1, s[0:1]
	v_cmp_gt_u64_e32 vcc, s[38:39], v[56:57]
	v_cmp_ne_u32_e64 s[0:1], v8, v9
	s_and_b64 s[0:1], vcc, s[0:1]
	v_mov_b32_e32 v55, v3
	v_cndmask_b32_e64 v67, 0, 1, s[0:1]
	;; [unrolled: 5-line block ×13, first 2 shown]
	v_cmp_gt_u64_e32 vcc, s[38:39], v[4:5]
	v_cmp_ne_u32_e64 s[0:1], v20, v21
	s_and_b64 s[0:1], vcc, s[0:1]
	v_lshlrev_b32_e32 v58, 2, v0
	s_mov_b32 s8, 1
	v_cndmask_b32_e64 v79, 0, 1, s[0:1]
	v_cmp_ne_u32_e32 vcc, 0, v0
	ds_write_b32 v58, v1
	s_waitcnt lgkmcnt(0)
	s_barrier
	s_waitcnt lgkmcnt(0)
                                        ; implicit-def: $sgpr0_sgpr1
	s_and_saveexec_b64 s[2:3], vcc
	s_cbranch_execz .LBB547_188
; %bb.82:
	v_add_u32_e32 v2, -4, v58
	ds_read_b32 v4, v2
	v_mul_u32_u24_e32 v2, 15, v0
	v_cmp_gt_u64_e32 vcc, s[38:39], v[2:3]
	s_or_b64 s[48:49], s[48:49], exec
	s_waitcnt lgkmcnt(0)
	v_cmp_ne_u32_e64 s[0:1], v4, v20
	s_and_b64 s[0:1], vcc, s[0:1]
	s_and_b64 s[0:1], s[0:1], exec
	s_or_b64 exec, exec, s[2:3]
.LBB547_83:
	v_mov_b32_e32 v81, s8
	s_and_saveexec_b64 s[2:3], s[48:49]
.LBB547_84:
	v_cndmask_b32_e64 v81, 0, 1, s[0:1]
.LBB547_85:
	s_or_b64 exec, exec, s[2:3]
	s_cmp_eq_u64 s[46:47], 0
	v_add3_u32 v2, v79, v81, v78
	s_cselect_b64 s[38:39], -1, 0
	s_cmp_lg_u32 s6, 0
	v_cmp_eq_u32_e64 s[24:25], 0, v79
	v_cmp_eq_u32_e64 s[22:23], 0, v78
	;; [unrolled: 1-line block ×3, first 2 shown]
	v_add3_u32 v86, v2, v77, v76
	v_cmp_eq_u32_e64 s[18:19], 0, v76
	v_cmp_eq_u32_e64 s[16:17], 0, v75
	;; [unrolled: 1-line block ×10, first 2 shown]
	v_cmp_eq_u32_e32 vcc, 0, v66
	v_mbcnt_lo_u32_b32 v85, -1, 0
	v_lshrrev_b32_e32 v83, 6, v0
	v_or_b32_e32 v84, 63, v0
	s_cbranch_scc0 .LBB547_112
; %bb.86:
	v_cndmask_b32_e64 v2, 0, v40, s[24:25]
	v_add_u32_e32 v2, v2, v41
	v_cndmask_b32_e64 v2, 0, v2, s[22:23]
	v_add_u32_e32 v2, v2, v34
	;; [unrolled: 2-line block ×11, first 2 shown]
	v_cndmask_b32_e64 v2, 0, v2, s[2:3]
	v_add3_u32 v3, v86, v75, v74
	v_add_u32_e32 v2, v2, v22
	v_add3_u32 v3, v3, v73, v72
	v_cndmask_b32_e64 v2, 0, v2, s[0:1]
	v_add3_u32 v3, v3, v71, v70
	v_add_u32_e32 v2, v2, v23
	v_add3_u32 v3, v3, v69, v68
	v_cndmask_b32_e32 v2, 0, v2, vcc
	v_add3_u32 v3, v3, v67, v66
	v_add_u32_e32 v2, v2, v82
	v_mbcnt_hi_u32_b32 v37, -1, v85
	v_and_b32_e32 v4, 15, v37
	v_mov_b32_dpp v6, v2 row_shr:1 row_mask:0xf bank_mask:0xf
	v_cmp_eq_u32_e32 vcc, 0, v3
	v_mov_b32_dpp v5, v3 row_shr:1 row_mask:0xf bank_mask:0xf
	v_cndmask_b32_e32 v6, 0, v6, vcc
	v_cmp_eq_u32_e32 vcc, 0, v4
	v_cndmask_b32_e64 v5, v5, 0, vcc
	v_add_u32_e32 v3, v5, v3
	v_cndmask_b32_e64 v5, v6, 0, vcc
	v_add_u32_e32 v2, v5, v2
	v_cmp_eq_u32_e32 vcc, 0, v3
	v_mov_b32_dpp v5, v3 row_shr:2 row_mask:0xf bank_mask:0xf
	v_cmp_lt_u32_e64 s[26:27], 1, v4
	v_mov_b32_dpp v6, v2 row_shr:2 row_mask:0xf bank_mask:0xf
	v_cndmask_b32_e64 v5, 0, v5, s[26:27]
	s_and_b64 vcc, s[26:27], vcc
	v_cndmask_b32_e32 v6, 0, v6, vcc
	v_add_u32_e32 v3, v3, v5
	v_add_u32_e32 v2, v6, v2
	v_cmp_eq_u32_e32 vcc, 0, v3
	v_mov_b32_dpp v5, v3 row_shr:4 row_mask:0xf bank_mask:0xf
	v_cmp_lt_u32_e64 s[26:27], 3, v4
	v_mov_b32_dpp v6, v2 row_shr:4 row_mask:0xf bank_mask:0xf
	v_cndmask_b32_e64 v5, 0, v5, s[26:27]
	s_and_b64 vcc, s[26:27], vcc
	v_cndmask_b32_e32 v6, 0, v6, vcc
	v_add_u32_e32 v3, v5, v3
	v_add_u32_e32 v2, v2, v6
	v_cmp_eq_u32_e32 vcc, 0, v3
	v_cmp_lt_u32_e64 s[26:27], 7, v4
	v_mov_b32_dpp v5, v3 row_shr:8 row_mask:0xf bank_mask:0xf
	v_mov_b32_dpp v6, v2 row_shr:8 row_mask:0xf bank_mask:0xf
	s_and_b64 vcc, s[26:27], vcc
	v_cndmask_b32_e64 v4, 0, v5, s[26:27]
	v_cndmask_b32_e32 v5, 0, v6, vcc
	v_add_u32_e32 v2, v5, v2
	v_add_u32_e32 v3, v4, v3
	v_bfe_i32 v6, v37, 4, 1
	v_mov_b32_dpp v5, v2 row_bcast:15 row_mask:0xf bank_mask:0xf
	v_mov_b32_dpp v4, v3 row_bcast:15 row_mask:0xf bank_mask:0xf
	v_cmp_eq_u32_e32 vcc, 0, v3
	v_cndmask_b32_e32 v5, 0, v5, vcc
	v_and_b32_e32 v4, v6, v4
	v_add_u32_e32 v3, v4, v3
	v_and_b32_e32 v4, v6, v5
	v_add_u32_e32 v4, v4, v2
	v_mov_b32_dpp v2, v3 row_bcast:31 row_mask:0xf bank_mask:0xf
	v_cmp_eq_u32_e32 vcc, 0, v3
	v_cmp_lt_u32_e64 s[26:27], 31, v37
	v_mov_b32_dpp v5, v4 row_bcast:31 row_mask:0xf bank_mask:0xf
	v_cndmask_b32_e64 v2, 0, v2, s[26:27]
	s_and_b64 vcc, s[26:27], vcc
	v_add_u32_e32 v2, v2, v3
	v_cndmask_b32_e32 v3, 0, v5, vcc
	v_add_u32_e32 v3, v3, v4
	v_cmp_eq_u32_e32 vcc, v84, v0
	v_lshlrev_b32_e32 v4, 3, v83
	s_and_saveexec_b64 s[26:27], vcc
	s_cbranch_execz .LBB547_88
; %bb.87:
	ds_write_b64 v4, v[2:3] offset:2064
.LBB547_88:
	s_or_b64 exec, exec, s[26:27]
	v_cmp_gt_u32_e32 vcc, 4, v0
	s_waitcnt lgkmcnt(0)
	s_barrier
	s_and_saveexec_b64 s[30:31], vcc
	s_cbranch_execz .LBB547_90
; %bb.89:
	v_lshlrev_b32_e32 v5, 3, v0
	ds_read_b64 v[6:7], v5 offset:2064
	v_and_b32_e32 v30, 3, v37
	v_cmp_lt_u32_e64 s[26:27], 1, v30
	s_waitcnt lgkmcnt(0)
	v_mov_b32_dpp v36, v7 row_shr:1 row_mask:0xf bank_mask:0xf
	v_cmp_eq_u32_e32 vcc, 0, v6
	v_mov_b32_dpp v31, v6 row_shr:1 row_mask:0xf bank_mask:0xf
	v_cndmask_b32_e32 v36, 0, v36, vcc
	v_cmp_eq_u32_e32 vcc, 0, v30
	v_cndmask_b32_e64 v31, v31, 0, vcc
	v_add_u32_e32 v6, v31, v6
	v_cndmask_b32_e64 v31, v36, 0, vcc
	v_add_u32_e32 v7, v31, v7
	v_cmp_eq_u32_e32 vcc, 0, v6
	v_mov_b32_dpp v31, v6 row_shr:2 row_mask:0xf bank_mask:0xf
	v_mov_b32_dpp v36, v7 row_shr:2 row_mask:0xf bank_mask:0xf
	v_cndmask_b32_e64 v30, 0, v31, s[26:27]
	s_and_b64 vcc, s[26:27], vcc
	v_add_u32_e32 v6, v30, v6
	v_cndmask_b32_e32 v30, 0, v36, vcc
	v_add_u32_e32 v7, v30, v7
	ds_write_b64 v5, v[6:7] offset:2064
.LBB547_90:
	s_or_b64 exec, exec, s[30:31]
	v_cmp_gt_u32_e32 vcc, 64, v0
	v_cmp_lt_u32_e64 s[26:27], 63, v0
	v_mov_b32_e32 v30, 0
	v_mov_b32_e32 v31, 0
	s_waitcnt lgkmcnt(0)
	s_barrier
	s_and_saveexec_b64 s[30:31], s[26:27]
	s_cbranch_execz .LBB547_92
; %bb.91:
	ds_read_b64 v[30:31], v4 offset:2056
	v_cmp_eq_u32_e64 s[26:27], 0, v2
	s_waitcnt lgkmcnt(0)
	v_add_u32_e32 v4, v30, v2
	v_cndmask_b32_e64 v2, 0, v31, s[26:27]
	v_add_u32_e32 v3, v2, v3
	v_mov_b32_e32 v2, v4
.LBB547_92:
	s_or_b64 exec, exec, s[30:31]
	v_add_u32_e32 v4, -1, v37
	v_and_b32_e32 v5, 64, v37
	v_cmp_lt_i32_e64 s[26:27], v4, v5
	v_cndmask_b32_e64 v4, v4, v37, s[26:27]
	v_lshlrev_b32_e32 v4, 2, v4
	ds_bpermute_b32 v44, v4, v2
	ds_bpermute_b32 v45, v4, v3
	v_cmp_eq_u32_e64 s[26:27], 0, v37
	s_and_saveexec_b64 s[40:41], vcc
	s_cbranch_execz .LBB547_111
; %bb.93:
	v_mov_b32_e32 v7, 0
	ds_read_b64 v[2:3], v7 offset:2088
	s_waitcnt lgkmcnt(0)
	v_readfirstlane_b32 s7, v2
	v_readfirstlane_b32 s48, v3
	s_and_saveexec_b64 s[30:31], s[26:27]
	s_cbranch_execz .LBB547_95
; %bb.94:
	s_add_i32 s46, s6, 64
	s_mov_b32 s47, 0
	s_lshl_b64 s[50:51], s[46:47], 4
	s_add_u32 s50, s44, s50
	s_addc_u32 s51, s45, s51
	s_and_b32 s57, s48, 0xff000000
	s_mov_b32 s56, s47
	s_and_b32 s63, s48, 0xff0000
	s_mov_b32 s62, s47
	s_or_b64 s[56:57], s[62:63], s[56:57]
	s_and_b32 s63, s48, 0xff00
	s_or_b64 s[56:57], s[56:57], s[62:63]
	s_and_b32 s63, s48, 0xff
	s_or_b64 s[46:47], s[56:57], s[62:63]
	v_mov_b32_e32 v4, s7
	v_mov_b32_e32 v5, s47
	;; [unrolled: 1-line block ×3, first 2 shown]
	v_pk_mov_b32 v[2:3], s[50:51], s[50:51] op_sel:[0,1]
	;;#ASMSTART
	global_store_dwordx4 v[2:3], v[4:7] off	
s_waitcnt vmcnt(0)
	;;#ASMEND
.LBB547_95:
	s_or_b64 exec, exec, s[30:31]
	v_xad_u32 v36, v37, -1, s6
	v_add_u32_e32 v6, 64, v36
	v_lshlrev_b64 v[2:3], 4, v[6:7]
	v_mov_b32_e32 v4, s45
	v_add_co_u32_e32 v38, vcc, s44, v2
	v_addc_co_u32_e32 v39, vcc, v4, v3, vcc
	;;#ASMSTART
	global_load_dwordx4 v[2:5], v[38:39] off glc	
s_waitcnt vmcnt(0)
	;;#ASMEND
	v_and_b32_e32 v5, 0xff, v3
	v_and_b32_e32 v6, 0xff00, v3
	;; [unrolled: 1-line block ×3, first 2 shown]
	v_or3_b32 v5, 0, v5, v6
	v_or3_b32 v2, v2, 0, 0
	v_and_b32_e32 v3, 0xff000000, v3
	v_or3_b32 v3, v5, v42, v3
	v_or3_b32 v2, v2, 0, 0
	v_cmp_eq_u16_sdwa s[46:47], v4, v7 src0_sel:BYTE_0 src1_sel:DWORD
	s_and_saveexec_b64 s[30:31], s[46:47]
	s_cbranch_execz .LBB547_99
; %bb.96:
	s_mov_b64 s[46:47], 0
	v_mov_b32_e32 v6, 0
.LBB547_97:                             ; =>This Inner Loop Header: Depth=1
	;;#ASMSTART
	global_load_dwordx4 v[2:5], v[38:39] off glc	
s_waitcnt vmcnt(0)
	;;#ASMEND
	v_cmp_ne_u16_sdwa s[50:51], v4, v6 src0_sel:BYTE_0 src1_sel:DWORD
	s_or_b64 s[46:47], s[50:51], s[46:47]
	s_andn2_b64 exec, exec, s[46:47]
	s_cbranch_execnz .LBB547_97
; %bb.98:
	s_or_b64 exec, exec, s[46:47]
.LBB547_99:
	s_or_b64 exec, exec, s[30:31]
	v_mov_b32_e32 v46, 2
	v_cmp_eq_u16_sdwa s[30:31], v4, v46 src0_sel:BYTE_0 src1_sel:DWORD
	v_lshlrev_b64 v[38:39], v37, -1
	v_and_b32_e32 v5, s31, v39
	v_and_b32_e32 v47, 63, v37
	v_or_b32_e32 v5, 0x80000000, v5
	v_cmp_ne_u32_e32 vcc, 63, v47
	v_and_b32_e32 v6, s30, v38
	v_ffbl_b32_e32 v5, v5
	v_addc_co_u32_e32 v7, vcc, 0, v37, vcc
	v_add_u32_e32 v5, 32, v5
	v_ffbl_b32_e32 v6, v6
	v_lshlrev_b32_e32 v48, 2, v7
	v_min_u32_e32 v5, v6, v5
	ds_bpermute_b32 v6, v48, v3
	v_cmp_eq_u32_e32 vcc, 0, v2
	v_cmp_lt_u32_e64 s[30:31], v47, v5
	ds_bpermute_b32 v7, v48, v2
	s_and_b64 vcc, s[30:31], vcc
	s_waitcnt lgkmcnt(1)
	v_cndmask_b32_e32 v6, 0, v6, vcc
	v_cmp_gt_u32_e32 vcc, 62, v47
	v_add_u32_e32 v3, v6, v3
	v_cndmask_b32_e64 v6, 0, 1, vcc
	v_lshlrev_b32_e32 v6, 1, v6
	v_add_lshl_u32 v49, v6, v37, 2
	s_waitcnt lgkmcnt(0)
	v_cndmask_b32_e64 v7, 0, v7, s[30:31]
	ds_bpermute_b32 v6, v49, v3
	v_add_u32_e32 v2, v7, v2
	ds_bpermute_b32 v7, v49, v2
	v_add_u32_e32 v50, 2, v47
	v_cmp_eq_u32_e32 vcc, 0, v2
	s_waitcnt lgkmcnt(1)
	v_cndmask_b32_e32 v6, 0, v6, vcc
	v_cmp_gt_u32_e32 vcc, v50, v5
	v_cndmask_b32_e64 v6, v6, 0, vcc
	v_add_u32_e32 v3, v6, v3
	s_waitcnt lgkmcnt(0)
	v_cndmask_b32_e64 v6, v7, 0, vcc
	v_cmp_gt_u32_e32 vcc, 60, v47
	v_cndmask_b32_e64 v7, 0, 1, vcc
	v_lshlrev_b32_e32 v7, 2, v7
	v_add_lshl_u32 v51, v7, v37, 2
	ds_bpermute_b32 v7, v51, v3
	v_add_u32_e32 v2, v2, v6
	ds_bpermute_b32 v6, v51, v2
	v_add_u32_e32 v52, 4, v47
	v_cmp_eq_u32_e32 vcc, 0, v2
	s_waitcnt lgkmcnt(1)
	v_cndmask_b32_e32 v7, 0, v7, vcc
	v_cmp_gt_u32_e32 vcc, v52, v5
	v_cndmask_b32_e64 v7, v7, 0, vcc
	s_waitcnt lgkmcnt(0)
	v_cndmask_b32_e64 v6, v6, 0, vcc
	v_cmp_gt_u32_e32 vcc, 56, v47
	v_add_u32_e32 v3, v3, v7
	v_cndmask_b32_e64 v7, 0, 1, vcc
	v_lshlrev_b32_e32 v7, 3, v7
	v_add_lshl_u32 v53, v7, v37, 2
	ds_bpermute_b32 v7, v53, v3
	v_add_u32_e32 v2, v2, v6
	ds_bpermute_b32 v6, v53, v2
	v_add_u32_e32 v54, 8, v47
	v_cmp_eq_u32_e32 vcc, 0, v2
	s_waitcnt lgkmcnt(1)
	v_cndmask_b32_e32 v7, 0, v7, vcc
	v_cmp_gt_u32_e32 vcc, v54, v5
	v_cndmask_b32_e64 v7, v7, 0, vcc
	s_waitcnt lgkmcnt(0)
	v_cndmask_b32_e64 v6, v6, 0, vcc
	v_cmp_gt_u32_e32 vcc, 48, v47
	v_add_u32_e32 v3, v3, v7
	;; [unrolled: 16-line block ×3, first 2 shown]
	v_cndmask_b32_e64 v7, 0, 1, vcc
	v_lshlrev_b32_e32 v7, 5, v7
	v_add_lshl_u32 v57, v7, v37, 2
	ds_bpermute_b32 v7, v57, v3
	v_add_u32_e32 v2, v2, v6
	ds_bpermute_b32 v6, v57, v2
	v_add_u32_e32 v58, 32, v47
	v_cmp_eq_u32_e32 vcc, 0, v2
	s_waitcnt lgkmcnt(1)
	v_cndmask_b32_e32 v7, 0, v7, vcc
	v_cmp_gt_u32_e32 vcc, v58, v5
	v_cndmask_b32_e64 v5, v7, 0, vcc
	v_add_u32_e32 v3, v5, v3
	s_waitcnt lgkmcnt(0)
	v_cndmask_b32_e64 v5, v6, 0, vcc
	v_add_u32_e32 v2, v5, v2
	v_mov_b32_e32 v37, 0
	s_branch .LBB547_101
.LBB547_100:                            ;   in Loop: Header=BB547_101 Depth=1
	s_or_b64 exec, exec, s[30:31]
	v_cmp_eq_u16_sdwa s[30:31], v4, v46 src0_sel:BYTE_0 src1_sel:DWORD
	v_and_b32_e32 v5, s31, v39
	v_or_b32_e32 v5, 0x80000000, v5
	v_and_b32_e32 v42, s30, v38
	v_ffbl_b32_e32 v5, v5
	v_add_u32_e32 v5, 32, v5
	v_ffbl_b32_e32 v42, v42
	v_min_u32_e32 v5, v42, v5
	ds_bpermute_b32 v42, v48, v3
	v_cmp_eq_u32_e32 vcc, 0, v2
	v_cmp_lt_u32_e64 s[30:31], v47, v5
	ds_bpermute_b32 v43, v48, v2
	s_and_b64 vcc, s[30:31], vcc
	s_waitcnt lgkmcnt(1)
	v_cndmask_b32_e32 v42, 0, v42, vcc
	v_add_u32_e32 v3, v42, v3
	ds_bpermute_b32 v42, v49, v3
	s_waitcnt lgkmcnt(1)
	v_cndmask_b32_e64 v43, 0, v43, s[30:31]
	v_add_u32_e32 v2, v43, v2
	v_cmp_eq_u32_e32 vcc, 0, v2
	ds_bpermute_b32 v43, v49, v2
	s_waitcnt lgkmcnt(1)
	v_cndmask_b32_e32 v42, 0, v42, vcc
	v_cmp_gt_u32_e32 vcc, v50, v5
	v_cndmask_b32_e64 v42, v42, 0, vcc
	v_add_u32_e32 v3, v42, v3
	ds_bpermute_b32 v42, v51, v3
	s_waitcnt lgkmcnt(1)
	v_cndmask_b32_e64 v43, v43, 0, vcc
	v_add_u32_e32 v2, v2, v43
	v_cmp_eq_u32_e32 vcc, 0, v2
	ds_bpermute_b32 v43, v51, v2
	s_waitcnt lgkmcnt(1)
	v_cndmask_b32_e32 v42, 0, v42, vcc
	v_cmp_gt_u32_e32 vcc, v52, v5
	v_cndmask_b32_e64 v42, v42, 0, vcc
	v_add_u32_e32 v3, v3, v42
	ds_bpermute_b32 v42, v53, v3
	s_waitcnt lgkmcnt(1)
	v_cndmask_b32_e64 v43, v43, 0, vcc
	v_add_u32_e32 v2, v2, v43
	ds_bpermute_b32 v43, v53, v2
	v_cmp_eq_u32_e32 vcc, 0, v2
	s_waitcnt lgkmcnt(1)
	v_cndmask_b32_e32 v42, 0, v42, vcc
	v_cmp_gt_u32_e32 vcc, v54, v5
	v_cndmask_b32_e64 v42, v42, 0, vcc
	v_add_u32_e32 v3, v3, v42
	ds_bpermute_b32 v42, v55, v3
	s_waitcnt lgkmcnt(1)
	v_cndmask_b32_e64 v43, v43, 0, vcc
	v_add_u32_e32 v2, v2, v43
	ds_bpermute_b32 v43, v55, v2
	v_cmp_eq_u32_e32 vcc, 0, v2
	;; [unrolled: 11-line block ×3, first 2 shown]
	s_waitcnt lgkmcnt(1)
	v_cndmask_b32_e32 v42, 0, v42, vcc
	v_cmp_gt_u32_e32 vcc, v58, v5
	v_cndmask_b32_e64 v5, v42, 0, vcc
	v_add_u32_e32 v3, v5, v3
	s_waitcnt lgkmcnt(0)
	v_cndmask_b32_e64 v5, v43, 0, vcc
	v_cmp_eq_u32_e32 vcc, 0, v6
	v_cndmask_b32_e32 v3, 0, v3, vcc
	v_subrev_u32_e32 v36, 64, v36
	v_add3_u32 v2, v2, v6, v5
	v_add_u32_e32 v3, v3, v7
.LBB547_101:                            ; =>This Loop Header: Depth=1
                                        ;     Child Loop BB547_104 Depth 2
	v_cmp_ne_u16_sdwa s[30:31], v4, v46 src0_sel:BYTE_0 src1_sel:DWORD
	v_mov_b32_e32 v7, v3
	v_cndmask_b32_e64 v3, 0, 1, s[30:31]
	;;#ASMSTART
	;;#ASMEND
	v_cmp_ne_u32_e32 vcc, 0, v3
	s_cmp_lg_u64 vcc, exec
	v_mov_b32_e32 v6, v2
	s_cbranch_scc1 .LBB547_106
; %bb.102:                              ;   in Loop: Header=BB547_101 Depth=1
	v_lshlrev_b64 v[2:3], 4, v[36:37]
	v_mov_b32_e32 v4, s45
	v_add_co_u32_e32 v42, vcc, s44, v2
	v_addc_co_u32_e32 v43, vcc, v4, v3, vcc
	;;#ASMSTART
	global_load_dwordx4 v[2:5], v[42:43] off glc	
s_waitcnt vmcnt(0)
	;;#ASMEND
	v_and_b32_e32 v5, 0xff, v3
	v_and_b32_e32 v59, 0xff00, v3
	;; [unrolled: 1-line block ×3, first 2 shown]
	v_or3_b32 v5, 0, v5, v59
	v_or3_b32 v2, v2, 0, 0
	v_and_b32_e32 v3, 0xff000000, v3
	v_or3_b32 v3, v5, v60, v3
	v_or3_b32 v2, v2, 0, 0
	v_cmp_eq_u16_sdwa s[46:47], v4, v37 src0_sel:BYTE_0 src1_sel:DWORD
	s_and_saveexec_b64 s[30:31], s[46:47]
	s_cbranch_execz .LBB547_100
; %bb.103:                              ;   in Loop: Header=BB547_101 Depth=1
	s_mov_b64 s[46:47], 0
.LBB547_104:                            ;   Parent Loop BB547_101 Depth=1
                                        ; =>  This Inner Loop Header: Depth=2
	;;#ASMSTART
	global_load_dwordx4 v[2:5], v[42:43] off glc	
s_waitcnt vmcnt(0)
	;;#ASMEND
	v_cmp_ne_u16_sdwa s[50:51], v4, v37 src0_sel:BYTE_0 src1_sel:DWORD
	s_or_b64 s[46:47], s[50:51], s[46:47]
	s_andn2_b64 exec, exec, s[46:47]
	s_cbranch_execnz .LBB547_104
; %bb.105:                              ;   in Loop: Header=BB547_101 Depth=1
	s_or_b64 exec, exec, s[46:47]
	s_branch .LBB547_100
.LBB547_106:                            ;   in Loop: Header=BB547_101 Depth=1
                                        ; implicit-def: $vgpr3
                                        ; implicit-def: $vgpr2
                                        ; implicit-def: $vgpr4
	s_cbranch_execz .LBB547_101
; %bb.107:
	s_and_saveexec_b64 s[30:31], s[26:27]
	s_cbranch_execz .LBB547_109
; %bb.108:
	s_cmp_eq_u32 s7, 0
	s_cselect_b64 vcc, -1, 0
	s_mov_b32 s47, 0
	v_cndmask_b32_e32 v2, 0, v7, vcc
	s_add_i32 s46, s6, 64
	v_add_u32_e32 v2, s48, v2
	s_lshl_b64 s[46:47], s[46:47], 4
	s_add_u32 s46, s44, s46
	v_and_b32_e32 v3, 0xff000000, v2
	v_and_b32_e32 v4, 0xff0000, v2
	s_addc_u32 s47, s45, s47
	v_or_b32_e32 v3, v4, v3
	v_and_b32_e32 v4, 0xff00, v2
	v_and_b32_e32 v2, 0xff, v2
	v_add_u32_e32 v36, s7, v6
	v_mov_b32_e32 v39, 0
	v_or3_b32 v37, v3, v4, v2
	v_mov_b32_e32 v38, 2
	v_pk_mov_b32 v[2:3], s[46:47], s[46:47] op_sel:[0,1]
	;;#ASMSTART
	global_store_dwordx4 v[2:3], v[36:39] off	
s_waitcnt vmcnt(0)
	;;#ASMEND
	v_mov_b32_e32 v4, s7
	v_mov_b32_e32 v5, s48
	ds_write_b128 v39, v[4:7] offset:2048
.LBB547_109:
	s_or_b64 exec, exec, s[30:31]
	v_cmp_eq_u32_e32 vcc, 0, v0
	s_and_b64 exec, exec, vcc
	s_cbranch_execz .LBB547_111
; %bb.110:
	v_mov_b32_e32 v2, 0
	ds_write_b64 v2, v[6:7] offset:2088
.LBB547_111:
	s_or_b64 exec, exec, s[40:41]
	v_mov_b32_e32 v4, 0
	s_waitcnt lgkmcnt(0)
	s_barrier
	ds_read_b64 v[2:3], v4 offset:2088
	v_cndmask_b32_e64 v6, v44, v30, s[26:27]
	v_cmp_eq_u32_e32 vcc, 0, v6
	v_cndmask_b32_e64 v5, v45, v31, s[26:27]
	s_waitcnt lgkmcnt(0)
	v_cndmask_b32_e32 v7, 0, v3, vcc
	v_add_u32_e32 v5, v7, v5
	v_cmp_eq_u32_e32 vcc, 0, v0
	v_cndmask_b32_e32 v65, v5, v3, vcc
	v_cndmask_b32_e64 v3, v6, 0, vcc
	v_cmp_eq_u32_e32 vcc, 0, v81
	v_add_u32_e32 v64, v2, v3
	v_cndmask_b32_e32 v2, 0, v65, vcc
	v_add_u32_e32 v63, v2, v40
	v_cndmask_b32_e64 v2, 0, v63, s[24:25]
	v_add_u32_e32 v61, v2, v41
	v_cndmask_b32_e64 v2, 0, v61, s[22:23]
	;; [unrolled: 2-line block ×8, first 2 shown]
	v_add_u32_e32 v62, v64, v81
	v_add_u32_e32 v47, v2, v26
	v_add_u32_e32 v60, v62, v79
	v_cndmask_b32_e64 v2, 0, v47, s[8:9]
	v_add_u32_e32 v58, v60, v78
	v_add_u32_e32 v45, v2, v27
	v_add_u32_e32 v56, v58, v77
	v_cndmask_b32_e64 v2, 0, v45, s[28:29]
	;; [unrolled: 4-line block ×3, first 2 shown]
	v_add_u32_e32 v50, v52, v74
	v_add_u32_e32 v39, v2, v25
	s_barrier
	ds_read_b128 v[2:5], v4 offset:2048
	v_add_u32_e32 v48, v50, v73
	v_add_u32_e32 v46, v48, v72
	;; [unrolled: 1-line block ×4, first 2 shown]
	v_cndmask_b32_e64 v6, 0, v39, s[2:3]
	v_add_u32_e32 v38, v42, v69
	v_add_u32_e32 v37, v6, v22
	s_waitcnt lgkmcnt(0)
	v_cmp_eq_u32_e32 vcc, 0, v2
	v_add_u32_e32 v36, v38, v68
	v_cndmask_b32_e64 v6, 0, v37, s[0:1]
	v_cndmask_b32_e32 v5, 0, v5, vcc
	v_add_u32_e32 v30, v36, v67
	v_add_u32_e32 v31, v6, v23
	;; [unrolled: 1-line block ×3, first 2 shown]
	s_branch .LBB547_124
.LBB547_112:
                                        ; implicit-def: $vgpr2
                                        ; implicit-def: $vgpr80
                                        ; implicit-def: $vgpr64_vgpr65
                                        ; implicit-def: $vgpr62_vgpr63
                                        ; implicit-def: $vgpr60_vgpr61
                                        ; implicit-def: $vgpr58_vgpr59
                                        ; implicit-def: $vgpr56_vgpr57
                                        ; implicit-def: $vgpr54_vgpr55
                                        ; implicit-def: $vgpr52_vgpr53
                                        ; implicit-def: $vgpr50_vgpr51
                                        ; implicit-def: $vgpr48_vgpr49
                                        ; implicit-def: $vgpr46_vgpr47
                                        ; implicit-def: $vgpr44_vgpr45
                                        ; implicit-def: $vgpr42_vgpr43
                                        ; implicit-def: $vgpr38_vgpr39
                                        ; implicit-def: $vgpr36_vgpr37
                                        ; implicit-def: $vgpr30_vgpr31
	s_cbranch_execz .LBB547_124
; %bb.113:
	s_and_b64 s[0:1], s[38:39], exec
	s_cselect_b32 s1, 0, s61
	s_cselect_b32 s0, 0, s60
	s_cmp_eq_u64 s[0:1], 0
	v_mov_b32_e32 v6, v40
	s_cbranch_scc1 .LBB547_115
; %bb.114:
	v_mov_b32_e32 v2, 0
	global_load_dword v6, v2, s[0:1]
.LBB547_115:
	v_cmp_eq_u32_e64 s[0:1], 0, v79
	v_cndmask_b32_e64 v2, 0, v40, s[0:1]
	v_add_u32_e32 v2, v2, v41
	v_cmp_eq_u32_e64 s[2:3], 0, v78
	v_cndmask_b32_e64 v2, 0, v2, s[2:3]
	v_add_u32_e32 v2, v2, v34
	v_cmp_eq_u32_e64 s[4:5], 0, v77
	v_cndmask_b32_e64 v2, 0, v2, s[4:5]
	v_add_u32_e32 v2, v2, v35
	v_cmp_eq_u32_e64 s[6:7], 0, v76
	v_cndmask_b32_e64 v2, 0, v2, s[6:7]
	v_add_u32_e32 v2, v2, v32
	v_cmp_eq_u32_e64 s[8:9], 0, v75
	v_cndmask_b32_e64 v2, 0, v2, s[8:9]
	v_add_u32_e32 v2, v2, v33
	v_cmp_eq_u32_e64 s[10:11], 0, v74
	v_cndmask_b32_e64 v2, 0, v2, s[10:11]
	v_add_u32_e32 v2, v2, v28
	v_cmp_eq_u32_e64 s[12:13], 0, v73
	v_cndmask_b32_e64 v2, 0, v2, s[12:13]
	v_add_u32_e32 v2, v2, v29
	v_cmp_eq_u32_e64 s[14:15], 0, v72
	v_cndmask_b32_e64 v2, 0, v2, s[14:15]
	v_add_u32_e32 v2, v2, v26
	v_cmp_eq_u32_e64 s[16:17], 0, v71
	v_cndmask_b32_e64 v2, 0, v2, s[16:17]
	v_add_u32_e32 v2, v2, v27
	v_cmp_eq_u32_e64 s[18:19], 0, v70
	v_cndmask_b32_e64 v2, 0, v2, s[18:19]
	v_add_u32_e32 v2, v2, v24
	v_cmp_eq_u32_e64 s[20:21], 0, v69
	v_cndmask_b32_e64 v2, 0, v2, s[20:21]
	v_add_u32_e32 v2, v2, v25
	v_cmp_eq_u32_e64 s[22:23], 0, v68
	v_cndmask_b32_e64 v2, 0, v2, s[22:23]
	v_add3_u32 v3, v86, v75, v74
	v_add_u32_e32 v2, v2, v22
	v_cmp_eq_u32_e32 vcc, 0, v67
	v_add3_u32 v3, v3, v73, v72
	v_cndmask_b32_e32 v2, 0, v2, vcc
	v_add3_u32 v3, v3, v71, v70
	v_add_u32_e32 v2, v2, v23
	v_cmp_eq_u32_e64 s[24:25], 0, v66
	v_add3_u32 v3, v3, v69, v68
	v_cndmask_b32_e64 v2, 0, v2, s[24:25]
	v_add3_u32 v3, v3, v67, v66
	v_add_u32_e32 v2, v2, v82
	v_mbcnt_hi_u32_b32 v7, -1, v85
	v_and_b32_e32 v4, 15, v7
	v_mov_b32_dpp v30, v2 row_shr:1 row_mask:0xf bank_mask:0xf
	v_cmp_eq_u32_e64 s[24:25], 0, v3
	v_mov_b32_dpp v5, v3 row_shr:1 row_mask:0xf bank_mask:0xf
	v_cndmask_b32_e64 v30, 0, v30, s[24:25]
	v_cmp_eq_u32_e64 s[24:25], 0, v4
	v_cndmask_b32_e64 v5, v5, 0, s[24:25]
	v_add_u32_e32 v3, v5, v3
	v_cndmask_b32_e64 v5, v30, 0, s[24:25]
	v_add_u32_e32 v2, v5, v2
	v_cmp_eq_u32_e64 s[24:25], 0, v3
	v_mov_b32_dpp v5, v3 row_shr:2 row_mask:0xf bank_mask:0xf
	v_cmp_lt_u32_e64 s[26:27], 1, v4
	v_mov_b32_dpp v30, v2 row_shr:2 row_mask:0xf bank_mask:0xf
	v_cndmask_b32_e64 v5, 0, v5, s[26:27]
	s_and_b64 s[24:25], s[26:27], s[24:25]
	v_cndmask_b32_e64 v30, 0, v30, s[24:25]
	v_add_u32_e32 v3, v3, v5
	v_add_u32_e32 v2, v30, v2
	v_cmp_eq_u32_e64 s[24:25], 0, v3
	v_mov_b32_dpp v5, v3 row_shr:4 row_mask:0xf bank_mask:0xf
	v_cmp_lt_u32_e64 s[26:27], 3, v4
	v_mov_b32_dpp v30, v2 row_shr:4 row_mask:0xf bank_mask:0xf
	v_cndmask_b32_e64 v5, 0, v5, s[26:27]
	s_and_b64 s[24:25], s[26:27], s[24:25]
	v_cndmask_b32_e64 v30, 0, v30, s[24:25]
	v_add_u32_e32 v3, v5, v3
	v_add_u32_e32 v2, v2, v30
	v_cmp_eq_u32_e64 s[24:25], 0, v3
	v_cmp_lt_u32_e64 s[26:27], 7, v4
	v_mov_b32_dpp v5, v3 row_shr:8 row_mask:0xf bank_mask:0xf
	v_mov_b32_dpp v30, v2 row_shr:8 row_mask:0xf bank_mask:0xf
	s_and_b64 s[24:25], s[26:27], s[24:25]
	v_cndmask_b32_e64 v4, 0, v5, s[26:27]
	v_cndmask_b32_e64 v5, 0, v30, s[24:25]
	v_add_u32_e32 v2, v5, v2
	v_add_u32_e32 v3, v4, v3
	v_bfe_i32 v30, v7, 4, 1
	v_mov_b32_dpp v5, v2 row_bcast:15 row_mask:0xf bank_mask:0xf
	v_mov_b32_dpp v4, v3 row_bcast:15 row_mask:0xf bank_mask:0xf
	v_cmp_eq_u32_e64 s[24:25], 0, v3
	v_cndmask_b32_e64 v5, 0, v5, s[24:25]
	v_and_b32_e32 v4, v30, v4
	v_add_u32_e32 v3, v4, v3
	v_and_b32_e32 v4, v30, v5
	v_add_u32_e32 v4, v4, v2
	v_mov_b32_dpp v2, v3 row_bcast:31 row_mask:0xf bank_mask:0xf
	v_cmp_eq_u32_e64 s[24:25], 0, v3
	v_cmp_lt_u32_e64 s[26:27], 31, v7
	v_mov_b32_dpp v5, v4 row_bcast:31 row_mask:0xf bank_mask:0xf
	v_cndmask_b32_e64 v2, 0, v2, s[26:27]
	s_and_b64 s[24:25], s[26:27], s[24:25]
	v_add_u32_e32 v2, v2, v3
	v_cndmask_b32_e64 v3, 0, v5, s[24:25]
	v_add_u32_e32 v3, v3, v4
	v_cmp_eq_u32_e64 s[24:25], v84, v0
	v_lshlrev_b32_e32 v5, 3, v83
	s_and_saveexec_b64 s[26:27], s[24:25]
	s_cbranch_execz .LBB547_117
; %bb.116:
	ds_write_b64 v5, v[2:3] offset:2064
.LBB547_117:
	s_or_b64 exec, exec, s[26:27]
	v_cmp_gt_u32_e64 s[24:25], 4, v0
	s_waitcnt lgkmcnt(0)
	s_barrier
	s_and_saveexec_b64 s[28:29], s[24:25]
	s_cbranch_execz .LBB547_119
; %bb.118:
	v_lshlrev_b32_e32 v4, 3, v0
	ds_read_b64 v[30:31], v4 offset:2064
	v_and_b32_e32 v36, 3, v7
	v_cmp_lt_u32_e64 s[26:27], 1, v36
	s_waitcnt lgkmcnt(0)
	v_mov_b32_dpp v38, v31 row_shr:1 row_mask:0xf bank_mask:0xf
	v_cmp_eq_u32_e64 s[24:25], 0, v30
	v_mov_b32_dpp v37, v30 row_shr:1 row_mask:0xf bank_mask:0xf
	v_cndmask_b32_e64 v38, 0, v38, s[24:25]
	v_cmp_eq_u32_e64 s[24:25], 0, v36
	v_cndmask_b32_e64 v37, v37, 0, s[24:25]
	v_add_u32_e32 v30, v37, v30
	v_cndmask_b32_e64 v37, v38, 0, s[24:25]
	v_add_u32_e32 v31, v37, v31
	v_cmp_eq_u32_e64 s[24:25], 0, v30
	v_mov_b32_dpp v37, v30 row_shr:2 row_mask:0xf bank_mask:0xf
	v_mov_b32_dpp v38, v31 row_shr:2 row_mask:0xf bank_mask:0xf
	v_cndmask_b32_e64 v36, 0, v37, s[26:27]
	s_and_b64 s[24:25], s[26:27], s[24:25]
	v_add_u32_e32 v30, v36, v30
	v_cndmask_b32_e64 v36, 0, v38, s[24:25]
	v_add_u32_e32 v31, v36, v31
	ds_write_b64 v4, v[30:31] offset:2064
.LBB547_119:
	s_or_b64 exec, exec, s[28:29]
	v_cmp_lt_u32_e64 s[24:25], 63, v0
	v_mov_b32_e32 v30, 0
	v_mov_b32_e32 v4, 0
	s_waitcnt vmcnt(0)
	v_mov_b32_e32 v31, v6
	s_waitcnt lgkmcnt(0)
	s_barrier
	s_and_saveexec_b64 s[26:27], s[24:25]
	s_cbranch_execz .LBB547_121
; %bb.120:
	ds_read_b64 v[4:5], v5 offset:2056
	s_waitcnt lgkmcnt(0)
	v_cmp_eq_u32_e64 s[24:25], 0, v4
	v_cndmask_b32_e64 v31, 0, v6, s[24:25]
	v_add_u32_e32 v31, v31, v5
.LBB547_121:
	s_or_b64 exec, exec, s[26:27]
	v_cmp_eq_u32_e64 s[24:25], 0, v2
	v_add_u32_e32 v5, v4, v2
	v_cndmask_b32_e64 v2, 0, v31, s[24:25]
	v_add_u32_e32 v2, v2, v3
	v_add_u32_e32 v3, -1, v7
	v_and_b32_e32 v36, 64, v7
	v_cmp_lt_i32_e64 s[24:25], v3, v36
	v_cndmask_b32_e64 v3, v3, v7, s[24:25]
	v_lshlrev_b32_e32 v3, 2, v3
	ds_bpermute_b32 v5, v3, v5
	ds_bpermute_b32 v2, v3, v2
	v_cmp_eq_u32_e64 s[24:25], 0, v7
	v_cmp_eq_u32_e64 s[26:27], 0, v81
	s_waitcnt lgkmcnt(1)
	v_cndmask_b32_e64 v3, v5, v4, s[24:25]
	s_waitcnt lgkmcnt(0)
	v_cndmask_b32_e64 v2, v2, v31, s[24:25]
	v_cmp_eq_u32_e64 s[24:25], 0, v0
	v_cndmask_b32_e64 v65, v2, v6, s[24:25]
	v_cndmask_b32_e64 v2, 0, v65, s[26:27]
	v_add_u32_e32 v63, v2, v40
	v_cndmask_b32_e64 v2, 0, v63, s[0:1]
	v_add_u32_e32 v61, v2, v41
	;; [unrolled: 2-line block ×8, first 2 shown]
	v_cndmask_b32_e64 v64, v3, 0, s[24:25]
	v_cndmask_b32_e64 v2, 0, v49, s[14:15]
	v_add_u32_e32 v62, v64, v81
	v_add_u32_e32 v47, v2, v26
	v_add_u32_e32 v60, v62, v79
	v_cndmask_b32_e64 v2, 0, v47, s[16:17]
	v_add_u32_e32 v58, v60, v78
	v_add_u32_e32 v45, v2, v27
	v_add_u32_e32 v56, v58, v77
	;; [unrolled: 4-line block ×3, first 2 shown]
	v_cndmask_b32_e64 v2, 0, v43, s[20:21]
	v_add_u32_e32 v50, v52, v74
	v_add_u32_e32 v39, v2, v25
	ds_read_b64 v[2:3], v30 offset:2088
	v_add_u32_e32 v48, v50, v73
	v_add_u32_e32 v46, v48, v72
	v_add_u32_e32 v44, v46, v71
	v_cndmask_b32_e64 v4, 0, v39, s[22:23]
	v_add_u32_e32 v42, v44, v70
	v_add_u32_e32 v37, v4, v22
	;; [unrolled: 1-line block ×3, first 2 shown]
	v_cndmask_b32_e32 v4, 0, v37, vcc
	s_waitcnt lgkmcnt(0)
	v_cmp_eq_u32_e32 vcc, 0, v2
	v_add_u32_e32 v36, v38, v68
	v_add_u32_e32 v31, v4, v23
	v_cndmask_b32_e32 v4, 0, v6, vcc
	v_add_u32_e32 v30, v36, v67
	v_add_u32_e32 v80, v4, v3
	s_and_saveexec_b64 s[0:1], s[24:25]
	s_cbranch_execz .LBB547_123
; %bb.122:
	s_add_u32 s2, s44, 0x400
	v_and_b32_e32 v3, 0xff000000, v80
	v_and_b32_e32 v4, 0xff0000, v80
	s_addc_u32 s3, s45, 0
	v_or_b32_e32 v3, v4, v3
	v_and_b32_e32 v4, 0xff00, v80
	v_and_b32_e32 v6, 0xff, v80
	v_mov_b32_e32 v5, 0
	v_or3_b32 v3, v3, v4, v6
	v_mov_b32_e32 v4, 2
	v_pk_mov_b32 v[6:7], s[2:3], s[2:3] op_sel:[0,1]
	;;#ASMSTART
	global_store_dwordx4 v[6:7], v[2:5] off	
s_waitcnt vmcnt(0)
	;;#ASMEND
.LBB547_123:
	s_or_b64 exec, exec, s[0:1]
	v_mov_b32_e32 v4, 0
.LBB547_124:
	s_and_b64 s[0:1], s[38:39], exec
	s_cselect_b32 s1, 0, s59
	s_cselect_b32 s0, 0, s58
	s_cmp_eq_u64 s[0:1], 0
	v_pk_mov_b32 v[6:7], 0, 0
	s_barrier
	s_cbranch_scc1 .LBB547_126
; %bb.125:
	v_mov_b32_e32 v3, 0
	global_load_dwordx2 v[6:7], v3, s[0:1]
.LBB547_126:
	s_waitcnt vmcnt(0)
	v_lshlrev_b64 v[22:23], 2, v[6:7]
	v_mov_b32_e32 v3, s43
	v_add_co_u32_e32 v26, vcc, s42, v22
	v_mov_b32_e32 v5, 0
	v_addc_co_u32_e32 v27, vcc, v3, v23, vcc
	v_lshlrev_b64 v[24:25], 2, v[4:5]
	v_add_co_u32_e32 v3, vcc, v26, v24
	v_addc_co_u32_e32 v5, vcc, v27, v25, vcc
	v_cmp_eq_u32_e32 vcc, 0, v81
	v_cndmask_b32_e64 v26, 1, 2, vcc
	v_cmp_eq_u32_e32 vcc, 0, v79
	v_cndmask_b32_e64 v27, 1, 2, vcc
	v_cmp_eq_u32_e32 vcc, 0, v78
	v_and_b32_e32 v26, v27, v26
	v_cndmask_b32_e64 v27, 1, 2, vcc
	v_cmp_eq_u32_e32 vcc, 0, v77
	v_and_b32_e32 v26, v26, v27
	;; [unrolled: 3-line block ×13, first 2 shown]
	v_cndmask_b32_e64 v27, 1, 2, vcc
	s_movk_i32 s30, 0x100
	v_and_b32_e32 v26, v26, v27
	v_cmp_gt_u32_e32 vcc, s30, v2
	v_cmp_ne_u32_e64 s[28:29], 0, v81
	v_cmp_ne_u32_e64 s[26:27], 0, v79
	;; [unrolled: 1-line block ×15, first 2 shown]
	s_mov_b64 s[38:39], -1
	v_cmp_gt_i16_e64 s[30:31], 2, v26
	s_cbranch_vccz .LBB547_133
; %bb.127:
	s_and_saveexec_b64 s[38:39], s[30:31]
	s_cbranch_execz .LBB547_132
; %bb.128:
	v_cmp_ne_u16_e32 vcc, 1, v26
	s_mov_b64 s[40:41], 0
	s_and_saveexec_b64 s[30:31], vcc
	s_xor_b64 s[30:31], exec, s[30:31]
	s_cbranch_execnz .LBB547_189
; %bb.129:
	s_andn2_saveexec_b64 s[30:31], s[30:31]
	s_cbranch_execnz .LBB547_205
.LBB547_130:
	s_or_b64 exec, exec, s[30:31]
	s_and_b64 exec, exec, s[40:41]
	s_cbranch_execz .LBB547_132
.LBB547_131:
	v_sub_u32_e32 v28, v30, v4
	v_mov_b32_e32 v29, 0
	v_lshlrev_b64 v[28:29], 2, v[28:29]
	v_add_co_u32_e32 v28, vcc, v3, v28
	v_addc_co_u32_e32 v29, vcc, v5, v29, vcc
	global_store_dword v[28:29], v1, off
.LBB547_132:
	s_or_b64 exec, exec, s[38:39]
	s_mov_b64 s[38:39], 0
.LBB547_133:
	s_and_b64 vcc, exec, s[38:39]
	s_cbranch_vccz .LBB547_155
; %bb.134:
	v_cmp_gt_i16_e32 vcc, 2, v26
	s_and_saveexec_b64 s[30:31], vcc
	s_cbranch_execz .LBB547_139
; %bb.135:
	v_cmp_ne_u16_e32 vcc, 1, v26
	s_mov_b64 s[40:41], 0
	s_and_saveexec_b64 s[38:39], vcc
	s_xor_b64 s[38:39], exec, s[38:39]
	s_cbranch_execnz .LBB547_206
; %bb.136:
	s_andn2_saveexec_b64 s[0:1], s[38:39]
	s_cbranch_execnz .LBB547_222
.LBB547_137:
	s_or_b64 exec, exec, s[0:1]
	s_and_b64 exec, exec, s[40:41]
	s_cbranch_execz .LBB547_139
.LBB547_138:
	v_sub_u32_e32 v8, v30, v4
	v_lshlrev_b32_e32 v8, 2, v8
	ds_write_b32 v8, v1
.LBB547_139:
	s_or_b64 exec, exec, s[30:31]
	v_cmp_lt_u32_e32 vcc, v0, v2
	s_waitcnt lgkmcnt(0)
	s_barrier
	s_and_saveexec_b64 s[2:3], vcc
	s_cbranch_execz .LBB547_154
; %bb.140:
	v_xad_u32 v1, v0, -1, v2
	s_movk_i32 s0, 0x1700
	v_cmp_gt_u32_e64 s[4:5], s0, v1
	s_movk_i32 s0, 0x16ff
	v_cmp_lt_u32_e32 vcc, s0, v1
	v_mov_b32_e32 v8, v0
	s_and_saveexec_b64 s[6:7], vcc
	s_cbranch_execz .LBB547_151
; %bb.141:
	v_sub_u32_e32 v8, v0, v2
	v_or_b32_e32 v8, 0xff, v8
	v_cmp_ge_u32_e32 vcc, v8, v0
	s_mov_b64 s[0:1], -1
	v_mov_b32_e32 v8, v0
	s_and_saveexec_b64 s[8:9], vcc
	s_cbranch_execz .LBB547_150
; %bb.142:
	v_lshrrev_b32_e32 v12, 8, v1
	v_add_u32_e32 v8, -1, v12
	v_or_b32_e32 v1, 0x100, v0
	v_lshrrev_b32_e32 v9, 1, v8
	v_add_u32_e32 v13, 1, v9
	v_cmp_lt_u32_e32 vcc, 13, v8
	v_mov_b32_e32 v16, 0
	v_pk_mov_b32 v[8:9], v[0:1], v[0:1] op_sel:[0,1]
	s_and_saveexec_b64 s[10:11], vcc
	s_cbranch_execz .LBB547_146
; %bb.143:
	v_and_b32_e32 v14, -8, v13
	v_lshlrev_b32_e32 v15, 2, v0
	s_mov_b32 s14, 0
	s_mov_b64 s[12:13], 0
	v_mov_b32_e32 v11, 0
	v_pk_mov_b32 v[8:9], v[0:1], v[0:1] op_sel:[0,1]
.LBB547_144:                            ; =>This Inner Loop Header: Depth=1
	v_mov_b32_e32 v10, v8
	v_add_u32_e32 v14, -8, v14
	v_lshlrev_b64 v[96:97], 2, v[10:11]
	v_mov_b32_e32 v10, v9
	ds_read2st64_b32 v[18:19], v15 offset1:4
	s_add_i32 s14, s14, 16
	v_cmp_eq_u32_e32 vcc, 0, v14
	v_lshlrev_b64 v[100:101], 2, v[10:11]
	v_add_u32_e32 v10, 0x200, v8
	s_or_b64 s[12:13], vcc, s[12:13]
	v_add_co_u32_e32 v100, vcc, v3, v100
	v_add_u32_e32 v16, 0x200, v9
	v_mov_b32_e32 v17, v11
	ds_read2st64_b32 v[20:21], v15 offset0:8 offset1:12
	ds_read2st64_b32 v[28:29], v15 offset0:16 offset1:20
	v_add_co_u32_e64 v96, s[0:1], v3, v96
	v_addc_co_u32_e32 v101, vcc, v5, v101, vcc
	v_lshlrev_b64 v[102:103], 2, v[10:11]
	v_lshlrev_b64 v[98:99], 2, v[16:17]
	v_addc_co_u32_e64 v97, s[0:1], v5, v97, s[0:1]
	v_add_u32_e32 v10, 0x400, v8
	v_add_co_u32_e32 v102, vcc, v3, v102
	v_add_u32_e32 v26, 0x400, v9
	v_mov_b32_e32 v27, v11
	ds_read2st64_b32 v[34:35], v15 offset0:24 offset1:28
	v_add_co_u32_e64 v98, s[0:1], v3, v98
	v_addc_co_u32_e32 v103, vcc, v5, v103, vcc
	v_lshlrev_b64 v[104:105], 2, v[10:11]
	ds_read2st64_b32 v[82:83], v15 offset0:32 offset1:36
	ds_read2st64_b32 v[86:87], v15 offset0:40 offset1:44
	;; [unrolled: 1-line block ×4, first 2 shown]
	v_lshlrev_b64 v[26:27], 2, v[26:27]
	v_addc_co_u32_e64 v99, s[0:1], v5, v99, s[0:1]
	v_add_u32_e32 v10, 0x600, v8
	s_waitcnt lgkmcnt(7)
	global_store_dword v[96:97], v18, off
	global_store_dword v[100:101], v19, off
	s_waitcnt lgkmcnt(6)
	global_store_dword v[102:103], v20, off
	global_store_dword v[98:99], v21, off
	v_add_co_u32_e32 v18, vcc, v3, v104
	v_add_u32_e32 v32, 0x600, v9
	v_mov_b32_e32 v33, v11
	v_add_co_u32_e64 v26, s[0:1], v3, v26
	v_addc_co_u32_e32 v19, vcc, v5, v105, vcc
	v_lshlrev_b64 v[20:21], 2, v[10:11]
	v_lshlrev_b64 v[32:33], 2, v[32:33]
	v_addc_co_u32_e64 v27, s[0:1], v5, v27, s[0:1]
	v_add_u32_e32 v10, 0x800, v8
	s_waitcnt lgkmcnt(5)
	global_store_dword v[18:19], v28, off
	global_store_dword v[26:27], v29, off
	v_add_co_u32_e32 v18, vcc, v3, v20
	v_add_u32_e32 v40, 0x800, v9
	v_mov_b32_e32 v41, v11
	v_add_co_u32_e64 v32, s[0:1], v3, v32
	v_addc_co_u32_e32 v19, vcc, v5, v21, vcc
	v_lshlrev_b64 v[20:21], 2, v[10:11]
	v_lshlrev_b64 v[40:41], 2, v[40:41]
	v_addc_co_u32_e64 v33, s[0:1], v5, v33, s[0:1]
	v_add_u32_e32 v10, 0xa00, v8
	;; [unrolled: 12-line block ×4, first 2 shown]
	s_waitcnt lgkmcnt(2)
	global_store_dword v[18:19], v86, off
	global_store_dword v[84:85], v87, off
	v_add_co_u32_e32 v18, vcc, v3, v20
	v_add_u32_e32 v92, 0xe00, v9
	v_mov_b32_e32 v93, v11
	v_add_co_u32_e64 v88, s[0:1], v3, v88
	v_addc_co_u32_e32 v19, vcc, v5, v21, vcc
	v_lshlrev_b64 v[20:21], 2, v[10:11]
	v_lshlrev_b64 v[92:93], 2, v[92:93]
	v_addc_co_u32_e64 v89, s[0:1], v5, v89, s[0:1]
	s_waitcnt lgkmcnt(1)
	global_store_dword v[18:19], v90, off
	global_store_dword v[88:89], v91, off
	v_add_co_u32_e32 v18, vcc, v3, v20
	v_add_u32_e32 v15, 0x4000, v15
	v_add_u32_e32 v9, 0x1000, v9
	v_mov_b32_e32 v16, s14
	v_add_co_u32_e64 v92, s[0:1], v3, v92
	v_add_u32_e32 v8, 0x1000, v8
	v_addc_co_u32_e32 v19, vcc, v5, v21, vcc
	v_addc_co_u32_e64 v93, s[0:1], v5, v93, s[0:1]
	s_waitcnt lgkmcnt(0)
	global_store_dword v[18:19], v94, off
	global_store_dword v[92:93], v95, off
	s_andn2_b64 exec, exec, s[12:13]
	s_cbranch_execnz .LBB547_144
; %bb.145:
	s_or_b64 exec, exec, s[12:13]
.LBB547_146:
	s_or_b64 exec, exec, s[10:11]
	v_and_b32_e32 v1, 7, v13
	v_cmp_ne_u32_e32 vcc, 0, v1
	s_and_saveexec_b64 s[10:11], vcc
	s_cbranch_execz .LBB547_149
; %bb.147:
	v_lshlrev_b32_e32 v10, 2, v0
	v_lshl_or_b32 v13, v16, 10, v10
	s_mov_b64 s[12:13], 0
	v_mov_b32_e32 v11, 0
.LBB547_148:                            ; =>This Inner Loop Header: Depth=1
	ds_read2st64_b32 v[14:15], v13 offset1:4
	v_mov_b32_e32 v10, v8
	v_add_u32_e32 v1, -1, v1
	v_lshlrev_b64 v[16:17], 2, v[10:11]
	v_mov_b32_e32 v10, v9
	v_cmp_eq_u32_e32 vcc, 0, v1
	v_add_co_u32_e64 v16, s[0:1], v3, v16
	v_lshlrev_b64 v[18:19], 2, v[10:11]
	v_add_u32_e32 v8, 0x200, v8
	v_add_u32_e32 v13, 0x800, v13
	v_add_u32_e32 v9, 0x200, v9
	v_addc_co_u32_e64 v17, s[0:1], v5, v17, s[0:1]
	s_or_b64 s[12:13], vcc, s[12:13]
	v_add_co_u32_e32 v18, vcc, v3, v18
	v_addc_co_u32_e32 v19, vcc, v5, v19, vcc
	s_waitcnt lgkmcnt(0)
	global_store_dword v[16:17], v14, off
	global_store_dword v[18:19], v15, off
	s_andn2_b64 exec, exec, s[12:13]
	s_cbranch_execnz .LBB547_148
.LBB547_149:
	s_or_b64 exec, exec, s[10:11]
	v_add_u32_e32 v1, 1, v12
	v_and_b32_e32 v9, 0x1fffffe, v1
	v_cmp_ne_u32_e32 vcc, v1, v9
	v_lshl_or_b32 v8, v9, 8, v0
	s_orn2_b64 s[0:1], vcc, exec
.LBB547_150:
	s_or_b64 exec, exec, s[8:9]
	s_andn2_b64 s[4:5], s[4:5], exec
	s_and_b64 s[0:1], s[0:1], exec
	s_or_b64 s[4:5], s[4:5], s[0:1]
.LBB547_151:
	s_or_b64 exec, exec, s[6:7]
	s_and_b64 exec, exec, s[4:5]
	s_cbranch_execz .LBB547_154
; %bb.152:
	v_lshlrev_b32_e32 v1, 2, v8
	s_mov_b64 s[0:1], 0
	v_mov_b32_e32 v9, 0
.LBB547_153:                            ; =>This Inner Loop Header: Depth=1
	v_lshlrev_b64 v[10:11], 2, v[8:9]
	ds_read_b32 v12, v1
	v_add_co_u32_e32 v10, vcc, v3, v10
	v_add_u32_e32 v8, 0x100, v8
	v_addc_co_u32_e32 v11, vcc, v5, v11, vcc
	v_cmp_ge_u32_e32 vcc, v8, v2
	v_add_u32_e32 v1, 0x400, v1
	s_or_b64 s[0:1], vcc, s[0:1]
	s_waitcnt lgkmcnt(0)
	global_store_dword v[10:11], v12, off
	s_andn2_b64 exec, exec, s[0:1]
	s_cbranch_execnz .LBB547_153
.LBB547_154:
	s_or_b64 exec, exec, s[2:3]
.LBB547_155:
	s_cmpk_lg_i32 s33, 0xf00
	s_cselect_b64 s[0:1], -1, 0
	s_and_b64 s[0:1], s[34:35], s[0:1]
	v_cmp_eq_u32_e32 vcc, 0, v0
	v_cndmask_b32_e64 v8, 0, 1, s[0:1]
	s_and_b64 s[0:1], vcc, s[36:37]
	v_cndmask_b32_e64 v5, v81, 0, s[0:1]
	s_mul_hi_u32 s0, s33, 0x88888889
	s_lshr_b32 s0, s0, 3
	v_mad_i32_i24 v9, v0, -15, s33
	v_cmp_eq_u32_e32 vcc, s0, v0
	v_cmp_ne_u32_e64 s[0:1], 0, v9
	v_cndmask_b32_e64 v10, 1, v5, s[0:1]
	v_cmp_ne_u32_e64 s[0:1], 1, v9
	v_cndmask_b32_e64 v11, 1, v79, s[0:1]
	;; [unrolled: 2-line block ×15, first 2 shown]
	s_and_b64 vcc, s[34:35], vcc
	v_cndmask_b32_e32 v28, v66, v9, vcc
	v_cndmask_b32_e32 v27, v67, v27, vcc
	;; [unrolled: 1-line block ×15, first 2 shown]
	v_mov_b32_e32 v5, s53
	v_add_co_u32_e32 v9, vcc, s52, v22
	v_addc_co_u32_e32 v12, vcc, v5, v23, vcc
	v_cndmask_b32_e64 v1, 0, 1, s[36:37]
	v_add_co_u32_e32 v5, vcc, v9, v24
	v_addc_co_u32_e32 v12, vcc, v12, v25, vcc
	v_lshlrev_b32_e32 v9, 2, v1
	v_add_co_u32_e32 v9, vcc, v9, v5
	v_addc_co_u32_e32 v14, vcc, 0, v12, vcc
	v_add_co_u32_e32 v13, vcc, -4, v9
	v_addc_co_u32_e32 v14, vcc, -1, v14, vcc
	v_cmp_eq_u32_e32 vcc, 0, v10
	v_cmp_ne_u32_e64 s[28:29], 0, v10
	v_cndmask_b32_e64 v10, 1, 2, vcc
	v_cmp_eq_u32_e32 vcc, 0, v11
	v_cmp_ne_u32_e64 s[26:27], 0, v11
	v_cndmask_b32_e64 v11, 1, 2, vcc
	v_cmp_eq_u32_e32 vcc, 0, v33
	v_and_b32_e32 v10, v11, v10
	v_cndmask_b32_e64 v11, 1, 2, vcc
	v_cmp_eq_u32_e32 vcc, 0, v32
	v_and_b32_e32 v10, v10, v11
	;; [unrolled: 3-line block ×11, first 2 shown]
	v_cndmask_b32_e64 v11, 1, 2, vcc
	v_cmp_eq_u32_e32 vcc, 0, v27
	v_sub_u32_e32 v3, v2, v1
	v_and_b32_e32 v10, v10, v11
	v_cndmask_b32_e64 v11, 1, 2, vcc
	v_cmp_eq_u32_e32 vcc, 0, v28
	v_add_u32_e32 v3, v3, v8
	v_and_b32_e32 v10, v10, v11
	v_cndmask_b32_e64 v11, 1, 2, vcc
	s_movk_i32 s30, 0x100
	v_and_b32_e32 v10, v10, v11
	v_cmp_gt_u32_e32 vcc, s30, v3
	v_add_u32_e32 v9, v4, v1
	v_cmp_ne_u32_e64 s[24:25], 0, v33
	v_cmp_ne_u32_e64 s[22:23], 0, v32
	v_cmp_ne_u32_e64 s[20:21], 0, v29
	v_cmp_ne_u32_e64 s[18:19], 0, v15
	v_cmp_ne_u32_e64 s[16:17], 0, v16
	v_cmp_ne_u32_e64 s[14:15], 0, v17
	v_cmp_ne_u32_e64 s[12:13], 0, v18
	v_cmp_ne_u32_e64 s[10:11], 0, v19
	v_cmp_ne_u32_e64 s[8:9], 0, v20
	v_cmp_ne_u32_e64 s[6:7], 0, v21
	v_cmp_ne_u32_e64 s[4:5], 0, v26
	v_cmp_ne_u32_e64 s[2:3], 0, v27
	v_cmp_ne_u32_e64 s[0:1], 0, v28
	s_mov_b64 s[36:37], -1
	v_cmp_gt_i16_e64 s[30:31], 2, v10
	s_barrier
	s_cbranch_vccz .LBB547_162
; %bb.156:
	s_and_saveexec_b64 s[36:37], s[30:31]
	s_cbranch_execz .LBB547_161
; %bb.157:
	v_cmp_ne_u16_e32 vcc, 1, v10
	s_mov_b64 s[38:39], 0
	s_and_saveexec_b64 s[30:31], vcc
	s_xor_b64 s[30:31], exec, s[30:31]
	s_cbranch_execnz .LBB547_223
; %bb.158:
	s_andn2_saveexec_b64 s[30:31], s[30:31]
	s_cbranch_execnz .LBB547_239
.LBB547_159:
	s_or_b64 exec, exec, s[30:31]
	s_and_b64 exec, exec, s[38:39]
	s_cbranch_execz .LBB547_161
.LBB547_160:
	v_sub_u32_e32 v16, v30, v9
	v_mov_b32_e32 v17, 0
	v_lshlrev_b64 v[16:17], 2, v[16:17]
	v_add_co_u32_e32 v16, vcc, v13, v16
	v_addc_co_u32_e32 v17, vcc, v14, v17, vcc
	global_store_dword v[16:17], v31, off
.LBB547_161:
	s_or_b64 exec, exec, s[36:37]
	s_mov_b64 s[36:37], 0
.LBB547_162:
	s_and_b64 vcc, exec, s[36:37]
	s_cbranch_vccz .LBB547_184
; %bb.163:
	v_cmp_gt_i16_e32 vcc, 2, v10
	s_and_saveexec_b64 s[30:31], vcc
	s_cbranch_execz .LBB547_168
; %bb.164:
	v_cmp_ne_u16_e32 vcc, 1, v10
	s_mov_b64 s[38:39], 0
	s_and_saveexec_b64 s[36:37], vcc
	s_xor_b64 s[36:37], exec, s[36:37]
	s_cbranch_execnz .LBB547_240
; %bb.165:
	s_andn2_saveexec_b64 s[0:1], s[36:37]
	s_cbranch_execnz .LBB547_256
.LBB547_166:
	s_or_b64 exec, exec, s[0:1]
	s_and_b64 exec, exec, s[38:39]
	s_cbranch_execz .LBB547_168
.LBB547_167:
	v_sub_u32_e32 v9, v30, v9
	v_lshlrev_b32_e32 v9, 2, v9
	ds_write_b32 v9, v31
.LBB547_168:
	s_or_b64 exec, exec, s[30:31]
	v_cmp_lt_u32_e32 vcc, v0, v3
	s_waitcnt lgkmcnt(0)
	s_barrier
	s_and_saveexec_b64 s[2:3], vcc
	s_cbranch_execz .LBB547_183
; %bb.169:
	v_add_u32_e32 v10, v2, v8
	v_xad_u32 v8, v0, -1, v10
	v_sub_u32_e32 v9, v8, v1
	s_movk_i32 s0, 0x1900
	v_cmp_gt_u32_e64 s[4:5], s0, v9
	s_movk_i32 s0, 0x18ff
	v_cmp_lt_u32_e32 vcc, s0, v9
	v_mov_b32_e32 v8, v0
	s_and_saveexec_b64 s[6:7], vcc
	s_cbranch_execz .LBB547_180
; %bb.170:
	v_sub_u32_e32 v8, v0, v10
	v_add_u32_e32 v1, v8, v1
	v_or_b32_e32 v1, 0xff, v1
	v_cmp_ge_u32_e32 vcc, v1, v0
	s_mov_b64 s[0:1], -1
	v_mov_b32_e32 v8, v0
	s_and_saveexec_b64 s[8:9], vcc
	s_cbranch_execz .LBB547_179
; %bb.171:
	v_lshrrev_b32_e32 v15, 8, v9
	v_add_u32_e32 v8, -1, v15
	v_or_b32_e32 v1, 0x100, v0
	v_lshrrev_b32_e32 v9, 1, v8
	v_add_u32_e32 v17, 1, v9
	v_cmp_lt_u32_e32 vcc, 13, v8
	v_mov_b32_e32 v20, 0
	v_lshlrev_b32_e32 v16, 2, v0
	v_pk_mov_b32 v[8:9], v[0:1], v[0:1] op_sel:[0,1]
	s_and_saveexec_b64 s[10:11], vcc
	s_cbranch_execz .LBB547_175
; %bb.172:
	v_and_b32_e32 v18, -8, v17
	s_mov_b32 s14, 0
	s_mov_b64 s[12:13], 0
	v_mov_b32_e32 v11, 0
	v_mov_b32_e32 v19, v16
	v_pk_mov_b32 v[8:9], v[0:1], v[0:1] op_sel:[0,1]
.LBB547_173:                            ; =>This Inner Loop Header: Depth=1
	v_mov_b32_e32 v10, v8
	v_add_u32_e32 v18, -8, v18
	v_lshlrev_b64 v[50:51], 2, v[10:11]
	v_mov_b32_e32 v10, v9
	ds_read2st64_b32 v[22:23], v19 offset1:4
	s_add_i32 s14, s14, 16
	v_cmp_eq_u32_e32 vcc, 0, v18
	v_lshlrev_b64 v[54:55], 2, v[10:11]
	v_add_u32_e32 v10, 0x200, v8
	s_or_b64 s[12:13], vcc, s[12:13]
	v_add_co_u32_e32 v54, vcc, v13, v54
	v_add_u32_e32 v20, 0x200, v9
	v_mov_b32_e32 v21, v11
	ds_read2st64_b32 v[24:25], v19 offset0:8 offset1:12
	ds_read2st64_b32 v[28:29], v19 offset0:16 offset1:20
	v_add_co_u32_e64 v50, s[0:1], v13, v50
	v_addc_co_u32_e32 v55, vcc, v14, v55, vcc
	v_lshlrev_b64 v[56:57], 2, v[10:11]
	v_lshlrev_b64 v[52:53], 2, v[20:21]
	v_addc_co_u32_e64 v51, s[0:1], v14, v51, s[0:1]
	v_add_u32_e32 v10, 0x400, v8
	v_add_co_u32_e32 v56, vcc, v13, v56
	v_add_u32_e32 v26, 0x400, v9
	v_mov_b32_e32 v27, v11
	ds_read2st64_b32 v[32:33], v19 offset0:24 offset1:28
	v_add_co_u32_e64 v52, s[0:1], v13, v52
	v_addc_co_u32_e32 v57, vcc, v14, v57, vcc
	v_lshlrev_b64 v[58:59], 2, v[10:11]
	ds_read2st64_b32 v[36:37], v19 offset0:32 offset1:36
	ds_read2st64_b32 v[40:41], v19 offset0:40 offset1:44
	;; [unrolled: 1-line block ×4, first 2 shown]
	v_lshlrev_b64 v[26:27], 2, v[26:27]
	v_addc_co_u32_e64 v53, s[0:1], v14, v53, s[0:1]
	v_add_u32_e32 v10, 0x600, v8
	s_waitcnt lgkmcnt(7)
	global_store_dword v[50:51], v22, off
	global_store_dword v[54:55], v23, off
	s_waitcnt lgkmcnt(6)
	global_store_dword v[56:57], v24, off
	global_store_dword v[52:53], v25, off
	v_add_co_u32_e32 v22, vcc, v13, v58
	v_add_u32_e32 v30, 0x600, v9
	v_mov_b32_e32 v31, v11
	v_add_co_u32_e64 v26, s[0:1], v13, v26
	v_addc_co_u32_e32 v23, vcc, v14, v59, vcc
	v_lshlrev_b64 v[24:25], 2, v[10:11]
	v_lshlrev_b64 v[30:31], 2, v[30:31]
	v_addc_co_u32_e64 v27, s[0:1], v14, v27, s[0:1]
	v_add_u32_e32 v10, 0x800, v8
	s_waitcnt lgkmcnt(5)
	global_store_dword v[22:23], v28, off
	global_store_dword v[26:27], v29, off
	v_add_co_u32_e32 v22, vcc, v13, v24
	v_add_u32_e32 v34, 0x800, v9
	v_mov_b32_e32 v35, v11
	v_add_co_u32_e64 v30, s[0:1], v13, v30
	v_addc_co_u32_e32 v23, vcc, v14, v25, vcc
	v_lshlrev_b64 v[24:25], 2, v[10:11]
	v_lshlrev_b64 v[34:35], 2, v[34:35]
	v_addc_co_u32_e64 v31, s[0:1], v14, v31, s[0:1]
	v_add_u32_e32 v10, 0xa00, v8
	;; [unrolled: 12-line block ×4, first 2 shown]
	s_waitcnt lgkmcnt(2)
	global_store_dword v[22:23], v40, off
	global_store_dword v[38:39], v41, off
	v_add_co_u32_e32 v22, vcc, v13, v24
	v_add_u32_e32 v46, 0xe00, v9
	v_mov_b32_e32 v47, v11
	v_add_co_u32_e64 v42, s[0:1], v13, v42
	v_addc_co_u32_e32 v23, vcc, v14, v25, vcc
	v_lshlrev_b64 v[24:25], 2, v[10:11]
	v_lshlrev_b64 v[46:47], 2, v[46:47]
	v_addc_co_u32_e64 v43, s[0:1], v14, v43, s[0:1]
	s_waitcnt lgkmcnt(1)
	global_store_dword v[22:23], v44, off
	global_store_dword v[42:43], v45, off
	v_add_co_u32_e32 v22, vcc, v13, v24
	v_add_u32_e32 v19, 0x4000, v19
	v_add_u32_e32 v9, 0x1000, v9
	v_mov_b32_e32 v20, s14
	v_add_co_u32_e64 v46, s[0:1], v13, v46
	v_add_u32_e32 v8, 0x1000, v8
	v_addc_co_u32_e32 v23, vcc, v14, v25, vcc
	v_addc_co_u32_e64 v47, s[0:1], v14, v47, s[0:1]
	s_waitcnt lgkmcnt(0)
	global_store_dword v[22:23], v48, off
	global_store_dword v[46:47], v49, off
	s_andn2_b64 exec, exec, s[12:13]
	s_cbranch_execnz .LBB547_173
; %bb.174:
	s_or_b64 exec, exec, s[12:13]
.LBB547_175:
	s_or_b64 exec, exec, s[10:11]
	v_and_b32_e32 v1, 7, v17
	v_cmp_ne_u32_e32 vcc, 0, v1
	s_and_saveexec_b64 s[10:11], vcc
	s_cbranch_execz .LBB547_178
; %bb.176:
	v_lshl_or_b32 v16, v20, 10, v16
	s_mov_b64 s[12:13], 0
	v_mov_b32_e32 v11, 0
.LBB547_177:                            ; =>This Inner Loop Header: Depth=1
	ds_read2st64_b32 v[18:19], v16 offset1:4
	v_mov_b32_e32 v10, v8
	v_add_u32_e32 v1, -1, v1
	v_lshlrev_b64 v[20:21], 2, v[10:11]
	v_mov_b32_e32 v10, v9
	v_cmp_eq_u32_e32 vcc, 0, v1
	v_add_co_u32_e64 v20, s[0:1], v13, v20
	v_lshlrev_b64 v[22:23], 2, v[10:11]
	v_add_u32_e32 v8, 0x200, v8
	v_add_u32_e32 v16, 0x800, v16
	;; [unrolled: 1-line block ×3, first 2 shown]
	v_addc_co_u32_e64 v21, s[0:1], v14, v21, s[0:1]
	s_or_b64 s[12:13], vcc, s[12:13]
	v_add_co_u32_e32 v22, vcc, v13, v22
	v_addc_co_u32_e32 v23, vcc, v14, v23, vcc
	s_waitcnt lgkmcnt(0)
	global_store_dword v[20:21], v18, off
	global_store_dword v[22:23], v19, off
	s_andn2_b64 exec, exec, s[12:13]
	s_cbranch_execnz .LBB547_177
.LBB547_178:
	s_or_b64 exec, exec, s[10:11]
	v_add_u32_e32 v1, 1, v15
	v_and_b32_e32 v9, 0x1fffffe, v1
	v_cmp_ne_u32_e32 vcc, v1, v9
	v_lshl_or_b32 v8, v9, 8, v0
	s_orn2_b64 s[0:1], vcc, exec
.LBB547_179:
	s_or_b64 exec, exec, s[8:9]
	s_andn2_b64 s[4:5], s[4:5], exec
	s_and_b64 s[0:1], s[0:1], exec
	s_or_b64 s[4:5], s[4:5], s[0:1]
.LBB547_180:
	s_or_b64 exec, exec, s[6:7]
	s_and_b64 exec, exec, s[4:5]
	s_cbranch_execz .LBB547_183
; %bb.181:
	v_lshlrev_b32_e32 v1, 2, v8
	s_mov_b64 s[0:1], 0
	v_mov_b32_e32 v9, 0
.LBB547_182:                            ; =>This Inner Loop Header: Depth=1
	v_lshlrev_b64 v[10:11], 2, v[8:9]
	ds_read_b32 v15, v1
	v_add_co_u32_e32 v10, vcc, v13, v10
	v_add_u32_e32 v8, 0x100, v8
	v_addc_co_u32_e32 v11, vcc, v14, v11, vcc
	v_cmp_ge_u32_e32 vcc, v8, v3
	v_add_u32_e32 v1, 0x400, v1
	s_or_b64 s[0:1], vcc, s[0:1]
	s_waitcnt lgkmcnt(0)
	global_store_dword v[10:11], v15, off
	s_andn2_b64 exec, exec, s[0:1]
	s_cbranch_execnz .LBB547_182
.LBB547_183:
	s_or_b64 exec, exec, s[2:3]
.LBB547_184:
	s_movk_i32 s0, 0xff
	v_cmp_eq_u32_e32 vcc, s0, v0
	s_and_b64 s[0:1], vcc, s[34:35]
	s_and_saveexec_b64 s[2:3], s[0:1]
	s_cbranch_execz .LBB547_187
; %bb.185:
	v_add_co_u32_e32 v0, vcc, v2, v4
	v_addc_co_u32_e64 v1, s[0:1], 0, 0, vcc
	v_add_co_u32_e32 v0, vcc, v0, v6
	v_mov_b32_e32 v3, 0
	v_addc_co_u32_e32 v1, vcc, v1, v7, vcc
	s_cmpk_lg_i32 s33, 0xf00
	global_store_dwordx2 v3, v[0:1], s[54:55]
	s_cbranch_scc1 .LBB547_187
; %bb.186:
	v_lshlrev_b64 v[0:1], 2, v[2:3]
	v_add_co_u32_e32 v0, vcc, v5, v0
	v_addc_co_u32_e32 v1, vcc, v12, v1, vcc
	global_store_dword v[0:1], v80, off offset:-4
.LBB547_187:
	s_endpgm
.LBB547_188:
	s_or_b64 exec, exec, s[2:3]
	v_mov_b32_e32 v81, s8
	s_and_saveexec_b64 s[2:3], s[48:49]
	s_cbranch_execnz .LBB547_84
	s_branch .LBB547_85
.LBB547_189:
	s_and_saveexec_b64 s[40:41], s[28:29]
	s_cbranch_execnz .LBB547_257
; %bb.190:
	s_or_b64 exec, exec, s[40:41]
	s_and_saveexec_b64 s[40:41], s[26:27]
	s_cbranch_execnz .LBB547_258
.LBB547_191:
	s_or_b64 exec, exec, s[40:41]
	s_and_saveexec_b64 s[40:41], s[24:25]
	s_cbranch_execnz .LBB547_259
.LBB547_192:
	s_or_b64 exec, exec, s[40:41]
	s_and_saveexec_b64 s[40:41], s[22:23]
	s_cbranch_execnz .LBB547_260
.LBB547_193:
	s_or_b64 exec, exec, s[40:41]
	s_and_saveexec_b64 s[40:41], s[20:21]
	s_cbranch_execnz .LBB547_261
.LBB547_194:
	s_or_b64 exec, exec, s[40:41]
	s_and_saveexec_b64 s[40:41], s[18:19]
	s_cbranch_execnz .LBB547_262
.LBB547_195:
	s_or_b64 exec, exec, s[40:41]
	s_and_saveexec_b64 s[40:41], s[16:17]
	s_cbranch_execnz .LBB547_263
.LBB547_196:
	s_or_b64 exec, exec, s[40:41]
	s_and_saveexec_b64 s[40:41], s[14:15]
	s_cbranch_execnz .LBB547_264
.LBB547_197:
	s_or_b64 exec, exec, s[40:41]
	s_and_saveexec_b64 s[40:41], s[12:13]
	s_cbranch_execnz .LBB547_265
.LBB547_198:
	s_or_b64 exec, exec, s[40:41]
	s_and_saveexec_b64 s[40:41], s[10:11]
	s_cbranch_execnz .LBB547_266
.LBB547_199:
	s_or_b64 exec, exec, s[40:41]
	s_and_saveexec_b64 s[40:41], s[8:9]
	s_cbranch_execnz .LBB547_267
.LBB547_200:
	s_or_b64 exec, exec, s[40:41]
	s_and_saveexec_b64 s[40:41], s[6:7]
	s_cbranch_execnz .LBB547_268
.LBB547_201:
	s_or_b64 exec, exec, s[40:41]
	s_and_saveexec_b64 s[40:41], s[4:5]
	s_cbranch_execnz .LBB547_269
.LBB547_202:
	s_or_b64 exec, exec, s[40:41]
	s_and_saveexec_b64 s[40:41], s[2:3]
	s_cbranch_execz .LBB547_204
.LBB547_203:
	v_sub_u32_e32 v28, v36, v4
	v_mov_b32_e32 v29, 0
	v_lshlrev_b64 v[28:29], 2, v[28:29]
	v_add_co_u32_e32 v28, vcc, v3, v28
	v_addc_co_u32_e32 v29, vcc, v5, v29, vcc
	global_store_dword v[28:29], v9, off
.LBB547_204:
	s_or_b64 exec, exec, s[40:41]
	s_and_b64 s[40:41], s[0:1], exec
	s_andn2_saveexec_b64 s[30:31], s[30:31]
	s_cbranch_execz .LBB547_130
.LBB547_205:
	v_sub_u32_e32 v28, v64, v4
	v_mov_b32_e32 v29, 0
	v_lshlrev_b64 v[32:33], 2, v[28:29]
	v_add_co_u32_e32 v32, vcc, v3, v32
	v_addc_co_u32_e32 v33, vcc, v5, v33, vcc
	v_sub_u32_e32 v28, v62, v4
	global_store_dword v[32:33], v20, off
	v_lshlrev_b64 v[32:33], 2, v[28:29]
	v_add_co_u32_e32 v32, vcc, v3, v32
	v_addc_co_u32_e32 v33, vcc, v5, v33, vcc
	v_sub_u32_e32 v28, v60, v4
	global_store_dword v[32:33], v21, off
	v_lshlrev_b64 v[32:33], 2, v[28:29]
	v_add_co_u32_e32 v32, vcc, v3, v32
	v_addc_co_u32_e32 v33, vcc, v5, v33, vcc
	v_sub_u32_e32 v28, v58, v4
	global_store_dword v[32:33], v18, off
	v_lshlrev_b64 v[32:33], 2, v[28:29]
	v_add_co_u32_e32 v32, vcc, v3, v32
	v_addc_co_u32_e32 v33, vcc, v5, v33, vcc
	v_sub_u32_e32 v28, v56, v4
	global_store_dword v[32:33], v19, off
	v_lshlrev_b64 v[32:33], 2, v[28:29]
	v_add_co_u32_e32 v32, vcc, v3, v32
	v_addc_co_u32_e32 v33, vcc, v5, v33, vcc
	v_sub_u32_e32 v28, v54, v4
	global_store_dword v[32:33], v16, off
	v_lshlrev_b64 v[32:33], 2, v[28:29]
	v_add_co_u32_e32 v32, vcc, v3, v32
	v_addc_co_u32_e32 v33, vcc, v5, v33, vcc
	v_sub_u32_e32 v28, v52, v4
	global_store_dword v[32:33], v17, off
	v_lshlrev_b64 v[32:33], 2, v[28:29]
	v_add_co_u32_e32 v32, vcc, v3, v32
	v_addc_co_u32_e32 v33, vcc, v5, v33, vcc
	v_sub_u32_e32 v28, v50, v4
	global_store_dword v[32:33], v14, off
	v_lshlrev_b64 v[32:33], 2, v[28:29]
	v_add_co_u32_e32 v32, vcc, v3, v32
	v_addc_co_u32_e32 v33, vcc, v5, v33, vcc
	v_sub_u32_e32 v28, v48, v4
	global_store_dword v[32:33], v15, off
	v_lshlrev_b64 v[32:33], 2, v[28:29]
	v_add_co_u32_e32 v32, vcc, v3, v32
	v_addc_co_u32_e32 v33, vcc, v5, v33, vcc
	v_sub_u32_e32 v28, v46, v4
	global_store_dword v[32:33], v12, off
	v_lshlrev_b64 v[32:33], 2, v[28:29]
	v_add_co_u32_e32 v32, vcc, v3, v32
	v_addc_co_u32_e32 v33, vcc, v5, v33, vcc
	v_sub_u32_e32 v28, v44, v4
	global_store_dword v[32:33], v13, off
	v_lshlrev_b64 v[32:33], 2, v[28:29]
	v_add_co_u32_e32 v32, vcc, v3, v32
	v_addc_co_u32_e32 v33, vcc, v5, v33, vcc
	v_sub_u32_e32 v28, v42, v4
	global_store_dword v[32:33], v10, off
	v_lshlrev_b64 v[32:33], 2, v[28:29]
	v_add_co_u32_e32 v32, vcc, v3, v32
	v_addc_co_u32_e32 v33, vcc, v5, v33, vcc
	v_sub_u32_e32 v28, v38, v4
	global_store_dword v[32:33], v11, off
	v_lshlrev_b64 v[32:33], 2, v[28:29]
	v_add_co_u32_e32 v32, vcc, v3, v32
	v_sub_u32_e32 v28, v36, v4
	v_addc_co_u32_e32 v33, vcc, v5, v33, vcc
	v_lshlrev_b64 v[28:29], 2, v[28:29]
	v_add_co_u32_e32 v28, vcc, v3, v28
	v_addc_co_u32_e32 v29, vcc, v5, v29, vcc
	s_or_b64 s[40:41], s[40:41], exec
	global_store_dword v[32:33], v8, off
	global_store_dword v[28:29], v9, off
	s_or_b64 exec, exec, s[30:31]
	s_and_b64 exec, exec, s[40:41]
	s_cbranch_execnz .LBB547_131
	s_branch .LBB547_132
.LBB547_206:
	s_and_saveexec_b64 s[40:41], s[28:29]
	s_cbranch_execnz .LBB547_270
; %bb.207:
	s_or_b64 exec, exec, s[40:41]
	s_and_saveexec_b64 s[28:29], s[26:27]
	s_cbranch_execnz .LBB547_271
.LBB547_208:
	s_or_b64 exec, exec, s[28:29]
	s_and_saveexec_b64 s[26:27], s[24:25]
	s_cbranch_execnz .LBB547_272
.LBB547_209:
	s_or_b64 exec, exec, s[26:27]
	s_and_saveexec_b64 s[24:25], s[22:23]
	s_cbranch_execnz .LBB547_273
.LBB547_210:
	s_or_b64 exec, exec, s[24:25]
	s_and_saveexec_b64 s[22:23], s[20:21]
	s_cbranch_execnz .LBB547_274
.LBB547_211:
	s_or_b64 exec, exec, s[22:23]
	s_and_saveexec_b64 s[20:21], s[18:19]
	s_cbranch_execnz .LBB547_275
.LBB547_212:
	s_or_b64 exec, exec, s[20:21]
	s_and_saveexec_b64 s[18:19], s[16:17]
	s_cbranch_execnz .LBB547_276
.LBB547_213:
	s_or_b64 exec, exec, s[18:19]
	s_and_saveexec_b64 s[16:17], s[14:15]
	s_cbranch_execnz .LBB547_277
.LBB547_214:
	s_or_b64 exec, exec, s[16:17]
	s_and_saveexec_b64 s[14:15], s[12:13]
	s_cbranch_execnz .LBB547_278
.LBB547_215:
	s_or_b64 exec, exec, s[14:15]
	s_and_saveexec_b64 s[12:13], s[10:11]
	s_cbranch_execnz .LBB547_279
.LBB547_216:
	s_or_b64 exec, exec, s[12:13]
	s_and_saveexec_b64 s[10:11], s[8:9]
	s_cbranch_execnz .LBB547_280
.LBB547_217:
	s_or_b64 exec, exec, s[10:11]
	s_and_saveexec_b64 s[8:9], s[6:7]
	s_cbranch_execnz .LBB547_281
.LBB547_218:
	s_or_b64 exec, exec, s[8:9]
	s_and_saveexec_b64 s[6:7], s[4:5]
	s_cbranch_execnz .LBB547_282
.LBB547_219:
	s_or_b64 exec, exec, s[6:7]
	s_and_saveexec_b64 s[4:5], s[2:3]
	s_cbranch_execz .LBB547_221
.LBB547_220:
	v_sub_u32_e32 v8, v36, v4
	v_lshlrev_b32_e32 v8, 2, v8
	ds_write_b32 v8, v9
.LBB547_221:
	s_or_b64 exec, exec, s[4:5]
	s_and_b64 s[40:41], s[0:1], exec
                                        ; implicit-def: $vgpr8
                                        ; implicit-def: $vgpr10
                                        ; implicit-def: $vgpr12
                                        ; implicit-def: $vgpr14
                                        ; implicit-def: $vgpr16
                                        ; implicit-def: $vgpr18
                                        ; implicit-def: $vgpr20
	s_andn2_saveexec_b64 s[0:1], s[38:39]
	s_cbranch_execz .LBB547_137
.LBB547_222:
	v_sub_u32_e32 v26, v64, v4
	v_lshlrev_b32_e32 v26, 2, v26
	ds_write_b32 v26, v20
	v_sub_u32_e32 v20, v62, v4
	v_lshlrev_b32_e32 v20, 2, v20
	ds_write_b32 v20, v21
	;; [unrolled: 3-line block ×13, first 2 shown]
	v_sub_u32_e32 v8, v36, v4
	v_lshlrev_b32_e32 v8, 2, v8
	s_or_b64 s[40:41], s[40:41], exec
	ds_write_b32 v8, v9
	s_or_b64 exec, exec, s[0:1]
	s_and_b64 exec, exec, s[40:41]
	s_cbranch_execnz .LBB547_138
	s_branch .LBB547_139
.LBB547_223:
	s_and_saveexec_b64 s[38:39], s[28:29]
	s_cbranch_execnz .LBB547_283
; %bb.224:
	s_or_b64 exec, exec, s[38:39]
	s_and_saveexec_b64 s[38:39], s[26:27]
	s_cbranch_execnz .LBB547_284
.LBB547_225:
	s_or_b64 exec, exec, s[38:39]
	s_and_saveexec_b64 s[38:39], s[24:25]
	s_cbranch_execnz .LBB547_285
.LBB547_226:
	s_or_b64 exec, exec, s[38:39]
	s_and_saveexec_b64 s[38:39], s[22:23]
	s_cbranch_execnz .LBB547_286
.LBB547_227:
	s_or_b64 exec, exec, s[38:39]
	s_and_saveexec_b64 s[38:39], s[20:21]
	s_cbranch_execnz .LBB547_287
.LBB547_228:
	s_or_b64 exec, exec, s[38:39]
	s_and_saveexec_b64 s[38:39], s[18:19]
	s_cbranch_execnz .LBB547_288
.LBB547_229:
	s_or_b64 exec, exec, s[38:39]
	s_and_saveexec_b64 s[38:39], s[16:17]
	s_cbranch_execnz .LBB547_289
.LBB547_230:
	s_or_b64 exec, exec, s[38:39]
	s_and_saveexec_b64 s[38:39], s[14:15]
	s_cbranch_execnz .LBB547_290
.LBB547_231:
	s_or_b64 exec, exec, s[38:39]
	s_and_saveexec_b64 s[38:39], s[12:13]
	s_cbranch_execnz .LBB547_291
.LBB547_232:
	s_or_b64 exec, exec, s[38:39]
	s_and_saveexec_b64 s[38:39], s[10:11]
	s_cbranch_execnz .LBB547_292
.LBB547_233:
	s_or_b64 exec, exec, s[38:39]
	s_and_saveexec_b64 s[38:39], s[8:9]
	s_cbranch_execnz .LBB547_293
.LBB547_234:
	s_or_b64 exec, exec, s[38:39]
	s_and_saveexec_b64 s[38:39], s[6:7]
	s_cbranch_execnz .LBB547_294
.LBB547_235:
	s_or_b64 exec, exec, s[38:39]
	s_and_saveexec_b64 s[38:39], s[4:5]
	s_cbranch_execnz .LBB547_295
.LBB547_236:
	s_or_b64 exec, exec, s[38:39]
	s_and_saveexec_b64 s[38:39], s[2:3]
	s_cbranch_execz .LBB547_238
.LBB547_237:
	v_sub_u32_e32 v16, v36, v9
	v_mov_b32_e32 v17, 0
	v_lshlrev_b64 v[16:17], 2, v[16:17]
	v_add_co_u32_e32 v16, vcc, v13, v16
	v_addc_co_u32_e32 v17, vcc, v14, v17, vcc
	global_store_dword v[16:17], v37, off
.LBB547_238:
	s_or_b64 exec, exec, s[38:39]
	s_and_b64 s[38:39], s[0:1], exec
	s_andn2_saveexec_b64 s[30:31], s[30:31]
	s_cbranch_execz .LBB547_159
.LBB547_239:
	v_sub_u32_e32 v16, v64, v9
	v_mov_b32_e32 v17, 0
	v_lshlrev_b64 v[18:19], 2, v[16:17]
	v_add_co_u32_e32 v18, vcc, v13, v18
	v_addc_co_u32_e32 v19, vcc, v14, v19, vcc
	v_sub_u32_e32 v16, v62, v9
	global_store_dword v[18:19], v65, off
	v_lshlrev_b64 v[18:19], 2, v[16:17]
	v_add_co_u32_e32 v18, vcc, v13, v18
	v_addc_co_u32_e32 v19, vcc, v14, v19, vcc
	v_sub_u32_e32 v16, v60, v9
	global_store_dword v[18:19], v63, off
	;; [unrolled: 5-line block ×12, first 2 shown]
	v_lshlrev_b64 v[18:19], 2, v[16:17]
	v_add_co_u32_e32 v18, vcc, v13, v18
	v_sub_u32_e32 v16, v36, v9
	v_addc_co_u32_e32 v19, vcc, v14, v19, vcc
	v_lshlrev_b64 v[16:17], 2, v[16:17]
	v_add_co_u32_e32 v16, vcc, v13, v16
	v_addc_co_u32_e32 v17, vcc, v14, v17, vcc
	s_or_b64 s[38:39], s[38:39], exec
	global_store_dword v[18:19], v39, off
	global_store_dword v[16:17], v37, off
	s_or_b64 exec, exec, s[30:31]
	s_and_b64 exec, exec, s[38:39]
	s_cbranch_execnz .LBB547_160
	s_branch .LBB547_161
.LBB547_240:
	s_and_saveexec_b64 s[38:39], s[28:29]
	s_cbranch_execnz .LBB547_296
; %bb.241:
	s_or_b64 exec, exec, s[38:39]
	s_and_saveexec_b64 s[28:29], s[26:27]
	s_cbranch_execnz .LBB547_297
.LBB547_242:
	s_or_b64 exec, exec, s[28:29]
	s_and_saveexec_b64 s[26:27], s[24:25]
	s_cbranch_execnz .LBB547_298
.LBB547_243:
	s_or_b64 exec, exec, s[26:27]
	s_and_saveexec_b64 s[24:25], s[22:23]
	s_cbranch_execnz .LBB547_299
.LBB547_244:
	s_or_b64 exec, exec, s[24:25]
	s_and_saveexec_b64 s[22:23], s[20:21]
	s_cbranch_execnz .LBB547_300
.LBB547_245:
	s_or_b64 exec, exec, s[22:23]
	s_and_saveexec_b64 s[20:21], s[18:19]
	s_cbranch_execnz .LBB547_301
.LBB547_246:
	s_or_b64 exec, exec, s[20:21]
	s_and_saveexec_b64 s[18:19], s[16:17]
	s_cbranch_execnz .LBB547_302
.LBB547_247:
	s_or_b64 exec, exec, s[18:19]
	s_and_saveexec_b64 s[16:17], s[14:15]
	s_cbranch_execnz .LBB547_303
.LBB547_248:
	s_or_b64 exec, exec, s[16:17]
	s_and_saveexec_b64 s[14:15], s[12:13]
	s_cbranch_execnz .LBB547_304
.LBB547_249:
	s_or_b64 exec, exec, s[14:15]
	s_and_saveexec_b64 s[12:13], s[10:11]
	s_cbranch_execnz .LBB547_305
.LBB547_250:
	s_or_b64 exec, exec, s[12:13]
	s_and_saveexec_b64 s[10:11], s[8:9]
	s_cbranch_execnz .LBB547_306
.LBB547_251:
	s_or_b64 exec, exec, s[10:11]
	s_and_saveexec_b64 s[8:9], s[6:7]
	s_cbranch_execnz .LBB547_307
.LBB547_252:
	s_or_b64 exec, exec, s[8:9]
	s_and_saveexec_b64 s[6:7], s[4:5]
	s_cbranch_execnz .LBB547_308
.LBB547_253:
	s_or_b64 exec, exec, s[6:7]
	s_and_saveexec_b64 s[4:5], s[2:3]
	s_cbranch_execz .LBB547_255
.LBB547_254:
	v_sub_u32_e32 v10, v36, v9
	v_lshlrev_b32_e32 v10, 2, v10
	ds_write_b32 v10, v37
.LBB547_255:
	s_or_b64 exec, exec, s[4:5]
	s_and_b64 s[38:39], s[0:1], exec
                                        ; implicit-def: $vgpr64_vgpr65
                                        ; implicit-def: $vgpr62_vgpr63
                                        ; implicit-def: $vgpr60_vgpr61
                                        ; implicit-def: $vgpr58_vgpr59
                                        ; implicit-def: $vgpr56_vgpr57
                                        ; implicit-def: $vgpr54_vgpr55
                                        ; implicit-def: $vgpr52_vgpr53
                                        ; implicit-def: $vgpr50_vgpr51
                                        ; implicit-def: $vgpr48_vgpr49
                                        ; implicit-def: $vgpr46_vgpr47
                                        ; implicit-def: $vgpr44_vgpr45
                                        ; implicit-def: $vgpr42_vgpr43
                                        ; implicit-def: $vgpr38_vgpr39
                                        ; implicit-def: $vgpr36_vgpr37
	s_andn2_saveexec_b64 s[0:1], s[36:37]
	s_cbranch_execz .LBB547_166
.LBB547_256:
	v_sub_u32_e32 v10, v64, v9
	v_lshlrev_b32_e32 v10, 2, v10
	ds_write_b32 v10, v65
	v_sub_u32_e32 v10, v62, v9
	v_lshlrev_b32_e32 v10, 2, v10
	ds_write_b32 v10, v63
	;; [unrolled: 3-line block ×13, first 2 shown]
	v_sub_u32_e32 v10, v36, v9
	v_lshlrev_b32_e32 v10, 2, v10
	s_or_b64 s[38:39], s[38:39], exec
	ds_write_b32 v10, v37
	s_or_b64 exec, exec, s[0:1]
	s_and_b64 exec, exec, s[38:39]
	s_cbranch_execnz .LBB547_167
	s_branch .LBB547_168
.LBB547_257:
	v_sub_u32_e32 v28, v64, v4
	v_mov_b32_e32 v29, 0
	v_lshlrev_b64 v[28:29], 2, v[28:29]
	v_add_co_u32_e32 v28, vcc, v3, v28
	v_addc_co_u32_e32 v29, vcc, v5, v29, vcc
	global_store_dword v[28:29], v20, off
	s_or_b64 exec, exec, s[40:41]
	s_and_saveexec_b64 s[40:41], s[26:27]
	s_cbranch_execz .LBB547_191
.LBB547_258:
	v_sub_u32_e32 v28, v62, v4
	v_mov_b32_e32 v29, 0
	v_lshlrev_b64 v[28:29], 2, v[28:29]
	v_add_co_u32_e32 v28, vcc, v3, v28
	v_addc_co_u32_e32 v29, vcc, v5, v29, vcc
	global_store_dword v[28:29], v21, off
	s_or_b64 exec, exec, s[40:41]
	s_and_saveexec_b64 s[40:41], s[24:25]
	s_cbranch_execz .LBB547_192
.LBB547_259:
	v_sub_u32_e32 v28, v60, v4
	v_mov_b32_e32 v29, 0
	v_lshlrev_b64 v[28:29], 2, v[28:29]
	v_add_co_u32_e32 v28, vcc, v3, v28
	v_addc_co_u32_e32 v29, vcc, v5, v29, vcc
	global_store_dword v[28:29], v18, off
	s_or_b64 exec, exec, s[40:41]
	s_and_saveexec_b64 s[40:41], s[22:23]
	s_cbranch_execz .LBB547_193
.LBB547_260:
	v_sub_u32_e32 v28, v58, v4
	v_mov_b32_e32 v29, 0
	v_lshlrev_b64 v[28:29], 2, v[28:29]
	v_add_co_u32_e32 v28, vcc, v3, v28
	v_addc_co_u32_e32 v29, vcc, v5, v29, vcc
	global_store_dword v[28:29], v19, off
	s_or_b64 exec, exec, s[40:41]
	s_and_saveexec_b64 s[40:41], s[20:21]
	s_cbranch_execz .LBB547_194
.LBB547_261:
	v_sub_u32_e32 v28, v56, v4
	v_mov_b32_e32 v29, 0
	v_lshlrev_b64 v[28:29], 2, v[28:29]
	v_add_co_u32_e32 v28, vcc, v3, v28
	v_addc_co_u32_e32 v29, vcc, v5, v29, vcc
	global_store_dword v[28:29], v16, off
	s_or_b64 exec, exec, s[40:41]
	s_and_saveexec_b64 s[40:41], s[18:19]
	s_cbranch_execz .LBB547_195
.LBB547_262:
	v_sub_u32_e32 v28, v54, v4
	v_mov_b32_e32 v29, 0
	v_lshlrev_b64 v[28:29], 2, v[28:29]
	v_add_co_u32_e32 v28, vcc, v3, v28
	v_addc_co_u32_e32 v29, vcc, v5, v29, vcc
	global_store_dword v[28:29], v17, off
	s_or_b64 exec, exec, s[40:41]
	s_and_saveexec_b64 s[40:41], s[16:17]
	s_cbranch_execz .LBB547_196
.LBB547_263:
	v_sub_u32_e32 v28, v52, v4
	v_mov_b32_e32 v29, 0
	v_lshlrev_b64 v[28:29], 2, v[28:29]
	v_add_co_u32_e32 v28, vcc, v3, v28
	v_addc_co_u32_e32 v29, vcc, v5, v29, vcc
	global_store_dword v[28:29], v14, off
	s_or_b64 exec, exec, s[40:41]
	s_and_saveexec_b64 s[40:41], s[14:15]
	s_cbranch_execz .LBB547_197
.LBB547_264:
	v_sub_u32_e32 v28, v50, v4
	v_mov_b32_e32 v29, 0
	v_lshlrev_b64 v[28:29], 2, v[28:29]
	v_add_co_u32_e32 v28, vcc, v3, v28
	v_addc_co_u32_e32 v29, vcc, v5, v29, vcc
	global_store_dword v[28:29], v15, off
	s_or_b64 exec, exec, s[40:41]
	s_and_saveexec_b64 s[40:41], s[12:13]
	s_cbranch_execz .LBB547_198
.LBB547_265:
	v_sub_u32_e32 v28, v48, v4
	v_mov_b32_e32 v29, 0
	v_lshlrev_b64 v[28:29], 2, v[28:29]
	v_add_co_u32_e32 v28, vcc, v3, v28
	v_addc_co_u32_e32 v29, vcc, v5, v29, vcc
	global_store_dword v[28:29], v12, off
	s_or_b64 exec, exec, s[40:41]
	s_and_saveexec_b64 s[40:41], s[10:11]
	s_cbranch_execz .LBB547_199
.LBB547_266:
	v_sub_u32_e32 v28, v46, v4
	v_mov_b32_e32 v29, 0
	v_lshlrev_b64 v[28:29], 2, v[28:29]
	v_add_co_u32_e32 v28, vcc, v3, v28
	v_addc_co_u32_e32 v29, vcc, v5, v29, vcc
	global_store_dword v[28:29], v13, off
	s_or_b64 exec, exec, s[40:41]
	s_and_saveexec_b64 s[40:41], s[8:9]
	s_cbranch_execz .LBB547_200
.LBB547_267:
	v_sub_u32_e32 v28, v44, v4
	v_mov_b32_e32 v29, 0
	v_lshlrev_b64 v[28:29], 2, v[28:29]
	v_add_co_u32_e32 v28, vcc, v3, v28
	v_addc_co_u32_e32 v29, vcc, v5, v29, vcc
	global_store_dword v[28:29], v10, off
	s_or_b64 exec, exec, s[40:41]
	s_and_saveexec_b64 s[40:41], s[6:7]
	s_cbranch_execz .LBB547_201
.LBB547_268:
	v_sub_u32_e32 v28, v42, v4
	v_mov_b32_e32 v29, 0
	v_lshlrev_b64 v[28:29], 2, v[28:29]
	v_add_co_u32_e32 v28, vcc, v3, v28
	v_addc_co_u32_e32 v29, vcc, v5, v29, vcc
	global_store_dword v[28:29], v11, off
	s_or_b64 exec, exec, s[40:41]
	s_and_saveexec_b64 s[40:41], s[4:5]
	s_cbranch_execz .LBB547_202
.LBB547_269:
	v_sub_u32_e32 v28, v38, v4
	v_mov_b32_e32 v29, 0
	v_lshlrev_b64 v[28:29], 2, v[28:29]
	v_add_co_u32_e32 v28, vcc, v3, v28
	v_addc_co_u32_e32 v29, vcc, v5, v29, vcc
	global_store_dword v[28:29], v8, off
	s_or_b64 exec, exec, s[40:41]
	s_and_saveexec_b64 s[40:41], s[2:3]
	s_cbranch_execnz .LBB547_203
	s_branch .LBB547_204
.LBB547_270:
	v_sub_u32_e32 v26, v64, v4
	v_lshlrev_b32_e32 v26, 2, v26
	ds_write_b32 v26, v20
	s_or_b64 exec, exec, s[40:41]
	s_and_saveexec_b64 s[28:29], s[26:27]
	s_cbranch_execz .LBB547_208
.LBB547_271:
	v_sub_u32_e32 v20, v62, v4
	v_lshlrev_b32_e32 v20, 2, v20
	ds_write_b32 v20, v21
	s_or_b64 exec, exec, s[28:29]
	s_and_saveexec_b64 s[26:27], s[24:25]
	s_cbranch_execz .LBB547_209
.LBB547_272:
	v_sub_u32_e32 v20, v60, v4
	v_lshlrev_b32_e32 v20, 2, v20
	ds_write_b32 v20, v18
	s_or_b64 exec, exec, s[26:27]
	s_and_saveexec_b64 s[24:25], s[22:23]
	s_cbranch_execz .LBB547_210
.LBB547_273:
	v_sub_u32_e32 v18, v58, v4
	v_lshlrev_b32_e32 v18, 2, v18
	ds_write_b32 v18, v19
	s_or_b64 exec, exec, s[24:25]
	s_and_saveexec_b64 s[22:23], s[20:21]
	s_cbranch_execz .LBB547_211
.LBB547_274:
	v_sub_u32_e32 v18, v56, v4
	v_lshlrev_b32_e32 v18, 2, v18
	ds_write_b32 v18, v16
	s_or_b64 exec, exec, s[22:23]
	s_and_saveexec_b64 s[20:21], s[18:19]
	s_cbranch_execz .LBB547_212
.LBB547_275:
	v_sub_u32_e32 v16, v54, v4
	v_lshlrev_b32_e32 v16, 2, v16
	ds_write_b32 v16, v17
	s_or_b64 exec, exec, s[20:21]
	s_and_saveexec_b64 s[18:19], s[16:17]
	s_cbranch_execz .LBB547_213
.LBB547_276:
	v_sub_u32_e32 v16, v52, v4
	v_lshlrev_b32_e32 v16, 2, v16
	ds_write_b32 v16, v14
	s_or_b64 exec, exec, s[18:19]
	s_and_saveexec_b64 s[16:17], s[14:15]
	s_cbranch_execz .LBB547_214
.LBB547_277:
	v_sub_u32_e32 v14, v50, v4
	v_lshlrev_b32_e32 v14, 2, v14
	ds_write_b32 v14, v15
	s_or_b64 exec, exec, s[16:17]
	s_and_saveexec_b64 s[14:15], s[12:13]
	s_cbranch_execz .LBB547_215
.LBB547_278:
	v_sub_u32_e32 v14, v48, v4
	v_lshlrev_b32_e32 v14, 2, v14
	ds_write_b32 v14, v12
	s_or_b64 exec, exec, s[14:15]
	s_and_saveexec_b64 s[12:13], s[10:11]
	s_cbranch_execz .LBB547_216
.LBB547_279:
	v_sub_u32_e32 v12, v46, v4
	v_lshlrev_b32_e32 v12, 2, v12
	ds_write_b32 v12, v13
	s_or_b64 exec, exec, s[12:13]
	s_and_saveexec_b64 s[10:11], s[8:9]
	s_cbranch_execz .LBB547_217
.LBB547_280:
	v_sub_u32_e32 v12, v44, v4
	v_lshlrev_b32_e32 v12, 2, v12
	ds_write_b32 v12, v10
	s_or_b64 exec, exec, s[10:11]
	s_and_saveexec_b64 s[8:9], s[6:7]
	s_cbranch_execz .LBB547_218
.LBB547_281:
	v_sub_u32_e32 v10, v42, v4
	v_lshlrev_b32_e32 v10, 2, v10
	ds_write_b32 v10, v11
	s_or_b64 exec, exec, s[8:9]
	s_and_saveexec_b64 s[6:7], s[4:5]
	s_cbranch_execz .LBB547_219
.LBB547_282:
	v_sub_u32_e32 v10, v38, v4
	v_lshlrev_b32_e32 v10, 2, v10
	ds_write_b32 v10, v8
	s_or_b64 exec, exec, s[6:7]
	s_and_saveexec_b64 s[4:5], s[2:3]
	s_cbranch_execnz .LBB547_220
	s_branch .LBB547_221
.LBB547_283:
	v_sub_u32_e32 v16, v64, v9
	v_mov_b32_e32 v17, 0
	v_lshlrev_b64 v[16:17], 2, v[16:17]
	v_add_co_u32_e32 v16, vcc, v13, v16
	v_addc_co_u32_e32 v17, vcc, v14, v17, vcc
	global_store_dword v[16:17], v65, off
	s_or_b64 exec, exec, s[38:39]
	s_and_saveexec_b64 s[38:39], s[26:27]
	s_cbranch_execz .LBB547_225
.LBB547_284:
	v_sub_u32_e32 v16, v62, v9
	v_mov_b32_e32 v17, 0
	v_lshlrev_b64 v[16:17], 2, v[16:17]
	v_add_co_u32_e32 v16, vcc, v13, v16
	v_addc_co_u32_e32 v17, vcc, v14, v17, vcc
	global_store_dword v[16:17], v63, off
	s_or_b64 exec, exec, s[38:39]
	s_and_saveexec_b64 s[38:39], s[24:25]
	s_cbranch_execz .LBB547_226
.LBB547_285:
	v_sub_u32_e32 v16, v60, v9
	v_mov_b32_e32 v17, 0
	v_lshlrev_b64 v[16:17], 2, v[16:17]
	v_add_co_u32_e32 v16, vcc, v13, v16
	v_addc_co_u32_e32 v17, vcc, v14, v17, vcc
	global_store_dword v[16:17], v61, off
	s_or_b64 exec, exec, s[38:39]
	s_and_saveexec_b64 s[38:39], s[22:23]
	s_cbranch_execz .LBB547_227
.LBB547_286:
	v_sub_u32_e32 v16, v58, v9
	v_mov_b32_e32 v17, 0
	v_lshlrev_b64 v[16:17], 2, v[16:17]
	v_add_co_u32_e32 v16, vcc, v13, v16
	v_addc_co_u32_e32 v17, vcc, v14, v17, vcc
	global_store_dword v[16:17], v59, off
	s_or_b64 exec, exec, s[38:39]
	s_and_saveexec_b64 s[38:39], s[20:21]
	s_cbranch_execz .LBB547_228
.LBB547_287:
	v_sub_u32_e32 v16, v56, v9
	v_mov_b32_e32 v17, 0
	v_lshlrev_b64 v[16:17], 2, v[16:17]
	v_add_co_u32_e32 v16, vcc, v13, v16
	v_addc_co_u32_e32 v17, vcc, v14, v17, vcc
	global_store_dword v[16:17], v57, off
	s_or_b64 exec, exec, s[38:39]
	s_and_saveexec_b64 s[38:39], s[18:19]
	s_cbranch_execz .LBB547_229
.LBB547_288:
	v_sub_u32_e32 v16, v54, v9
	v_mov_b32_e32 v17, 0
	v_lshlrev_b64 v[16:17], 2, v[16:17]
	v_add_co_u32_e32 v16, vcc, v13, v16
	v_addc_co_u32_e32 v17, vcc, v14, v17, vcc
	global_store_dword v[16:17], v55, off
	s_or_b64 exec, exec, s[38:39]
	s_and_saveexec_b64 s[38:39], s[16:17]
	s_cbranch_execz .LBB547_230
.LBB547_289:
	v_sub_u32_e32 v16, v52, v9
	v_mov_b32_e32 v17, 0
	v_lshlrev_b64 v[16:17], 2, v[16:17]
	v_add_co_u32_e32 v16, vcc, v13, v16
	v_addc_co_u32_e32 v17, vcc, v14, v17, vcc
	global_store_dword v[16:17], v53, off
	s_or_b64 exec, exec, s[38:39]
	s_and_saveexec_b64 s[38:39], s[14:15]
	s_cbranch_execz .LBB547_231
.LBB547_290:
	v_sub_u32_e32 v16, v50, v9
	v_mov_b32_e32 v17, 0
	v_lshlrev_b64 v[16:17], 2, v[16:17]
	v_add_co_u32_e32 v16, vcc, v13, v16
	v_addc_co_u32_e32 v17, vcc, v14, v17, vcc
	global_store_dword v[16:17], v51, off
	s_or_b64 exec, exec, s[38:39]
	s_and_saveexec_b64 s[38:39], s[12:13]
	s_cbranch_execz .LBB547_232
.LBB547_291:
	v_sub_u32_e32 v16, v48, v9
	v_mov_b32_e32 v17, 0
	v_lshlrev_b64 v[16:17], 2, v[16:17]
	v_add_co_u32_e32 v16, vcc, v13, v16
	v_addc_co_u32_e32 v17, vcc, v14, v17, vcc
	global_store_dword v[16:17], v49, off
	s_or_b64 exec, exec, s[38:39]
	s_and_saveexec_b64 s[38:39], s[10:11]
	s_cbranch_execz .LBB547_233
.LBB547_292:
	v_sub_u32_e32 v16, v46, v9
	v_mov_b32_e32 v17, 0
	v_lshlrev_b64 v[16:17], 2, v[16:17]
	v_add_co_u32_e32 v16, vcc, v13, v16
	v_addc_co_u32_e32 v17, vcc, v14, v17, vcc
	global_store_dword v[16:17], v47, off
	s_or_b64 exec, exec, s[38:39]
	s_and_saveexec_b64 s[38:39], s[8:9]
	s_cbranch_execz .LBB547_234
.LBB547_293:
	v_sub_u32_e32 v16, v44, v9
	v_mov_b32_e32 v17, 0
	v_lshlrev_b64 v[16:17], 2, v[16:17]
	v_add_co_u32_e32 v16, vcc, v13, v16
	v_addc_co_u32_e32 v17, vcc, v14, v17, vcc
	global_store_dword v[16:17], v45, off
	s_or_b64 exec, exec, s[38:39]
	s_and_saveexec_b64 s[38:39], s[6:7]
	s_cbranch_execz .LBB547_235
.LBB547_294:
	v_sub_u32_e32 v16, v42, v9
	v_mov_b32_e32 v17, 0
	v_lshlrev_b64 v[16:17], 2, v[16:17]
	v_add_co_u32_e32 v16, vcc, v13, v16
	v_addc_co_u32_e32 v17, vcc, v14, v17, vcc
	global_store_dword v[16:17], v43, off
	s_or_b64 exec, exec, s[38:39]
	s_and_saveexec_b64 s[38:39], s[4:5]
	s_cbranch_execz .LBB547_236
.LBB547_295:
	v_sub_u32_e32 v16, v38, v9
	v_mov_b32_e32 v17, 0
	v_lshlrev_b64 v[16:17], 2, v[16:17]
	v_add_co_u32_e32 v16, vcc, v13, v16
	v_addc_co_u32_e32 v17, vcc, v14, v17, vcc
	global_store_dword v[16:17], v39, off
	s_or_b64 exec, exec, s[38:39]
	s_and_saveexec_b64 s[38:39], s[2:3]
	s_cbranch_execnz .LBB547_237
	s_branch .LBB547_238
.LBB547_296:
	v_sub_u32_e32 v10, v64, v9
	v_lshlrev_b32_e32 v10, 2, v10
	ds_write_b32 v10, v65
	s_or_b64 exec, exec, s[38:39]
	s_and_saveexec_b64 s[28:29], s[26:27]
	s_cbranch_execz .LBB547_242
.LBB547_297:
	v_sub_u32_e32 v10, v62, v9
	v_lshlrev_b32_e32 v10, 2, v10
	ds_write_b32 v10, v63
	s_or_b64 exec, exec, s[28:29]
	s_and_saveexec_b64 s[26:27], s[24:25]
	s_cbranch_execz .LBB547_243
.LBB547_298:
	v_sub_u32_e32 v10, v60, v9
	v_lshlrev_b32_e32 v10, 2, v10
	ds_write_b32 v10, v61
	s_or_b64 exec, exec, s[26:27]
	s_and_saveexec_b64 s[24:25], s[22:23]
	s_cbranch_execz .LBB547_244
.LBB547_299:
	v_sub_u32_e32 v10, v58, v9
	v_lshlrev_b32_e32 v10, 2, v10
	ds_write_b32 v10, v59
	s_or_b64 exec, exec, s[24:25]
	s_and_saveexec_b64 s[22:23], s[20:21]
	s_cbranch_execz .LBB547_245
.LBB547_300:
	v_sub_u32_e32 v10, v56, v9
	v_lshlrev_b32_e32 v10, 2, v10
	ds_write_b32 v10, v57
	s_or_b64 exec, exec, s[22:23]
	s_and_saveexec_b64 s[20:21], s[18:19]
	s_cbranch_execz .LBB547_246
.LBB547_301:
	v_sub_u32_e32 v10, v54, v9
	v_lshlrev_b32_e32 v10, 2, v10
	ds_write_b32 v10, v55
	s_or_b64 exec, exec, s[20:21]
	s_and_saveexec_b64 s[18:19], s[16:17]
	s_cbranch_execz .LBB547_247
.LBB547_302:
	v_sub_u32_e32 v10, v52, v9
	v_lshlrev_b32_e32 v10, 2, v10
	ds_write_b32 v10, v53
	s_or_b64 exec, exec, s[18:19]
	s_and_saveexec_b64 s[16:17], s[14:15]
	s_cbranch_execz .LBB547_248
.LBB547_303:
	v_sub_u32_e32 v10, v50, v9
	v_lshlrev_b32_e32 v10, 2, v10
	ds_write_b32 v10, v51
	s_or_b64 exec, exec, s[16:17]
	s_and_saveexec_b64 s[14:15], s[12:13]
	s_cbranch_execz .LBB547_249
.LBB547_304:
	v_sub_u32_e32 v10, v48, v9
	v_lshlrev_b32_e32 v10, 2, v10
	ds_write_b32 v10, v49
	s_or_b64 exec, exec, s[14:15]
	s_and_saveexec_b64 s[12:13], s[10:11]
	s_cbranch_execz .LBB547_250
.LBB547_305:
	v_sub_u32_e32 v10, v46, v9
	v_lshlrev_b32_e32 v10, 2, v10
	ds_write_b32 v10, v47
	s_or_b64 exec, exec, s[12:13]
	s_and_saveexec_b64 s[10:11], s[8:9]
	s_cbranch_execz .LBB547_251
.LBB547_306:
	v_sub_u32_e32 v10, v44, v9
	v_lshlrev_b32_e32 v10, 2, v10
	ds_write_b32 v10, v45
	s_or_b64 exec, exec, s[10:11]
	s_and_saveexec_b64 s[8:9], s[6:7]
	s_cbranch_execz .LBB547_252
.LBB547_307:
	v_sub_u32_e32 v10, v42, v9
	v_lshlrev_b32_e32 v10, 2, v10
	ds_write_b32 v10, v43
	s_or_b64 exec, exec, s[8:9]
	s_and_saveexec_b64 s[6:7], s[4:5]
	s_cbranch_execz .LBB547_253
.LBB547_308:
	v_sub_u32_e32 v10, v38, v9
	v_lshlrev_b32_e32 v10, 2, v10
	ds_write_b32 v10, v39
	s_or_b64 exec, exec, s[6:7]
	s_and_saveexec_b64 s[4:5], s[2:3]
	s_cbranch_execnz .LBB547_254
	s_branch .LBB547_255
	.section	.rodata,"a",@progbits
	.p2align	6, 0x0
	.amdhsa_kernel _ZN7rocprim17ROCPRIM_400000_NS6detail17trampoline_kernelINS0_14default_configENS1_29reduce_by_key_config_selectorIiiN6thrust23THRUST_200600_302600_NS4plusIiEEEEZZNS1_33reduce_by_key_impl_wrapped_configILNS1_25lookback_scan_determinismE0ES3_S9_NS6_6detail15normal_iteratorINS6_10device_ptrIiEEEESG_SG_SG_PmS8_NS6_8equal_toIiEEEE10hipError_tPvRmT2_T3_mT4_T5_T6_T7_T8_P12ihipStream_tbENKUlT_T0_E_clISt17integral_constantIbLb0EES11_EEDaSW_SX_EUlSW_E_NS1_11comp_targetILNS1_3genE4ELNS1_11target_archE910ELNS1_3gpuE8ELNS1_3repE0EEENS1_30default_config_static_selectorELNS0_4arch9wavefront6targetE1EEEvT1_
		.amdhsa_group_segment_fixed_size 15360
		.amdhsa_private_segment_fixed_size 0
		.amdhsa_kernarg_size 120
		.amdhsa_user_sgpr_count 6
		.amdhsa_user_sgpr_private_segment_buffer 1
		.amdhsa_user_sgpr_dispatch_ptr 0
		.amdhsa_user_sgpr_queue_ptr 0
		.amdhsa_user_sgpr_kernarg_segment_ptr 1
		.amdhsa_user_sgpr_dispatch_id 0
		.amdhsa_user_sgpr_flat_scratch_init 0
		.amdhsa_user_sgpr_kernarg_preload_length 0
		.amdhsa_user_sgpr_kernarg_preload_offset 0
		.amdhsa_user_sgpr_private_segment_size 0
		.amdhsa_uses_dynamic_stack 0
		.amdhsa_system_sgpr_private_segment_wavefront_offset 0
		.amdhsa_system_sgpr_workgroup_id_x 1
		.amdhsa_system_sgpr_workgroup_id_y 0
		.amdhsa_system_sgpr_workgroup_id_z 0
		.amdhsa_system_sgpr_workgroup_info 0
		.amdhsa_system_vgpr_workitem_id 0
		.amdhsa_next_free_vgpr 106
		.amdhsa_next_free_sgpr 64
		.amdhsa_accum_offset 108
		.amdhsa_reserve_vcc 1
		.amdhsa_reserve_flat_scratch 0
		.amdhsa_float_round_mode_32 0
		.amdhsa_float_round_mode_16_64 0
		.amdhsa_float_denorm_mode_32 3
		.amdhsa_float_denorm_mode_16_64 3
		.amdhsa_dx10_clamp 1
		.amdhsa_ieee_mode 1
		.amdhsa_fp16_overflow 0
		.amdhsa_tg_split 0
		.amdhsa_exception_fp_ieee_invalid_op 0
		.amdhsa_exception_fp_denorm_src 0
		.amdhsa_exception_fp_ieee_div_zero 0
		.amdhsa_exception_fp_ieee_overflow 0
		.amdhsa_exception_fp_ieee_underflow 0
		.amdhsa_exception_fp_ieee_inexact 0
		.amdhsa_exception_int_div_zero 0
	.end_amdhsa_kernel
	.section	.text._ZN7rocprim17ROCPRIM_400000_NS6detail17trampoline_kernelINS0_14default_configENS1_29reduce_by_key_config_selectorIiiN6thrust23THRUST_200600_302600_NS4plusIiEEEEZZNS1_33reduce_by_key_impl_wrapped_configILNS1_25lookback_scan_determinismE0ES3_S9_NS6_6detail15normal_iteratorINS6_10device_ptrIiEEEESG_SG_SG_PmS8_NS6_8equal_toIiEEEE10hipError_tPvRmT2_T3_mT4_T5_T6_T7_T8_P12ihipStream_tbENKUlT_T0_E_clISt17integral_constantIbLb0EES11_EEDaSW_SX_EUlSW_E_NS1_11comp_targetILNS1_3genE4ELNS1_11target_archE910ELNS1_3gpuE8ELNS1_3repE0EEENS1_30default_config_static_selectorELNS0_4arch9wavefront6targetE1EEEvT1_,"axG",@progbits,_ZN7rocprim17ROCPRIM_400000_NS6detail17trampoline_kernelINS0_14default_configENS1_29reduce_by_key_config_selectorIiiN6thrust23THRUST_200600_302600_NS4plusIiEEEEZZNS1_33reduce_by_key_impl_wrapped_configILNS1_25lookback_scan_determinismE0ES3_S9_NS6_6detail15normal_iteratorINS6_10device_ptrIiEEEESG_SG_SG_PmS8_NS6_8equal_toIiEEEE10hipError_tPvRmT2_T3_mT4_T5_T6_T7_T8_P12ihipStream_tbENKUlT_T0_E_clISt17integral_constantIbLb0EES11_EEDaSW_SX_EUlSW_E_NS1_11comp_targetILNS1_3genE4ELNS1_11target_archE910ELNS1_3gpuE8ELNS1_3repE0EEENS1_30default_config_static_selectorELNS0_4arch9wavefront6targetE1EEEvT1_,comdat
.Lfunc_end547:
	.size	_ZN7rocprim17ROCPRIM_400000_NS6detail17trampoline_kernelINS0_14default_configENS1_29reduce_by_key_config_selectorIiiN6thrust23THRUST_200600_302600_NS4plusIiEEEEZZNS1_33reduce_by_key_impl_wrapped_configILNS1_25lookback_scan_determinismE0ES3_S9_NS6_6detail15normal_iteratorINS6_10device_ptrIiEEEESG_SG_SG_PmS8_NS6_8equal_toIiEEEE10hipError_tPvRmT2_T3_mT4_T5_T6_T7_T8_P12ihipStream_tbENKUlT_T0_E_clISt17integral_constantIbLb0EES11_EEDaSW_SX_EUlSW_E_NS1_11comp_targetILNS1_3genE4ELNS1_11target_archE910ELNS1_3gpuE8ELNS1_3repE0EEENS1_30default_config_static_selectorELNS0_4arch9wavefront6targetE1EEEvT1_, .Lfunc_end547-_ZN7rocprim17ROCPRIM_400000_NS6detail17trampoline_kernelINS0_14default_configENS1_29reduce_by_key_config_selectorIiiN6thrust23THRUST_200600_302600_NS4plusIiEEEEZZNS1_33reduce_by_key_impl_wrapped_configILNS1_25lookback_scan_determinismE0ES3_S9_NS6_6detail15normal_iteratorINS6_10device_ptrIiEEEESG_SG_SG_PmS8_NS6_8equal_toIiEEEE10hipError_tPvRmT2_T3_mT4_T5_T6_T7_T8_P12ihipStream_tbENKUlT_T0_E_clISt17integral_constantIbLb0EES11_EEDaSW_SX_EUlSW_E_NS1_11comp_targetILNS1_3genE4ELNS1_11target_archE910ELNS1_3gpuE8ELNS1_3repE0EEENS1_30default_config_static_selectorELNS0_4arch9wavefront6targetE1EEEvT1_
                                        ; -- End function
	.section	.AMDGPU.csdata,"",@progbits
; Kernel info:
; codeLenInByte = 17140
; NumSgprs: 68
; NumVgprs: 106
; NumAgprs: 0
; TotalNumVgprs: 106
; ScratchSize: 0
; MemoryBound: 0
; FloatMode: 240
; IeeeMode: 1
; LDSByteSize: 15360 bytes/workgroup (compile time only)
; SGPRBlocks: 8
; VGPRBlocks: 13
; NumSGPRsForWavesPerEU: 68
; NumVGPRsForWavesPerEU: 106
; AccumOffset: 108
; Occupancy: 4
; WaveLimiterHint : 1
; COMPUTE_PGM_RSRC2:SCRATCH_EN: 0
; COMPUTE_PGM_RSRC2:USER_SGPR: 6
; COMPUTE_PGM_RSRC2:TRAP_HANDLER: 0
; COMPUTE_PGM_RSRC2:TGID_X_EN: 1
; COMPUTE_PGM_RSRC2:TGID_Y_EN: 0
; COMPUTE_PGM_RSRC2:TGID_Z_EN: 0
; COMPUTE_PGM_RSRC2:TIDIG_COMP_CNT: 0
; COMPUTE_PGM_RSRC3_GFX90A:ACCUM_OFFSET: 26
; COMPUTE_PGM_RSRC3_GFX90A:TG_SPLIT: 0
	.section	.text._ZN7rocprim17ROCPRIM_400000_NS6detail17trampoline_kernelINS0_14default_configENS1_29reduce_by_key_config_selectorIiiN6thrust23THRUST_200600_302600_NS4plusIiEEEEZZNS1_33reduce_by_key_impl_wrapped_configILNS1_25lookback_scan_determinismE0ES3_S9_NS6_6detail15normal_iteratorINS6_10device_ptrIiEEEESG_SG_SG_PmS8_NS6_8equal_toIiEEEE10hipError_tPvRmT2_T3_mT4_T5_T6_T7_T8_P12ihipStream_tbENKUlT_T0_E_clISt17integral_constantIbLb0EES11_EEDaSW_SX_EUlSW_E_NS1_11comp_targetILNS1_3genE3ELNS1_11target_archE908ELNS1_3gpuE7ELNS1_3repE0EEENS1_30default_config_static_selectorELNS0_4arch9wavefront6targetE1EEEvT1_,"axG",@progbits,_ZN7rocprim17ROCPRIM_400000_NS6detail17trampoline_kernelINS0_14default_configENS1_29reduce_by_key_config_selectorIiiN6thrust23THRUST_200600_302600_NS4plusIiEEEEZZNS1_33reduce_by_key_impl_wrapped_configILNS1_25lookback_scan_determinismE0ES3_S9_NS6_6detail15normal_iteratorINS6_10device_ptrIiEEEESG_SG_SG_PmS8_NS6_8equal_toIiEEEE10hipError_tPvRmT2_T3_mT4_T5_T6_T7_T8_P12ihipStream_tbENKUlT_T0_E_clISt17integral_constantIbLb0EES11_EEDaSW_SX_EUlSW_E_NS1_11comp_targetILNS1_3genE3ELNS1_11target_archE908ELNS1_3gpuE7ELNS1_3repE0EEENS1_30default_config_static_selectorELNS0_4arch9wavefront6targetE1EEEvT1_,comdat
	.protected	_ZN7rocprim17ROCPRIM_400000_NS6detail17trampoline_kernelINS0_14default_configENS1_29reduce_by_key_config_selectorIiiN6thrust23THRUST_200600_302600_NS4plusIiEEEEZZNS1_33reduce_by_key_impl_wrapped_configILNS1_25lookback_scan_determinismE0ES3_S9_NS6_6detail15normal_iteratorINS6_10device_ptrIiEEEESG_SG_SG_PmS8_NS6_8equal_toIiEEEE10hipError_tPvRmT2_T3_mT4_T5_T6_T7_T8_P12ihipStream_tbENKUlT_T0_E_clISt17integral_constantIbLb0EES11_EEDaSW_SX_EUlSW_E_NS1_11comp_targetILNS1_3genE3ELNS1_11target_archE908ELNS1_3gpuE7ELNS1_3repE0EEENS1_30default_config_static_selectorELNS0_4arch9wavefront6targetE1EEEvT1_ ; -- Begin function _ZN7rocprim17ROCPRIM_400000_NS6detail17trampoline_kernelINS0_14default_configENS1_29reduce_by_key_config_selectorIiiN6thrust23THRUST_200600_302600_NS4plusIiEEEEZZNS1_33reduce_by_key_impl_wrapped_configILNS1_25lookback_scan_determinismE0ES3_S9_NS6_6detail15normal_iteratorINS6_10device_ptrIiEEEESG_SG_SG_PmS8_NS6_8equal_toIiEEEE10hipError_tPvRmT2_T3_mT4_T5_T6_T7_T8_P12ihipStream_tbENKUlT_T0_E_clISt17integral_constantIbLb0EES11_EEDaSW_SX_EUlSW_E_NS1_11comp_targetILNS1_3genE3ELNS1_11target_archE908ELNS1_3gpuE7ELNS1_3repE0EEENS1_30default_config_static_selectorELNS0_4arch9wavefront6targetE1EEEvT1_
	.globl	_ZN7rocprim17ROCPRIM_400000_NS6detail17trampoline_kernelINS0_14default_configENS1_29reduce_by_key_config_selectorIiiN6thrust23THRUST_200600_302600_NS4plusIiEEEEZZNS1_33reduce_by_key_impl_wrapped_configILNS1_25lookback_scan_determinismE0ES3_S9_NS6_6detail15normal_iteratorINS6_10device_ptrIiEEEESG_SG_SG_PmS8_NS6_8equal_toIiEEEE10hipError_tPvRmT2_T3_mT4_T5_T6_T7_T8_P12ihipStream_tbENKUlT_T0_E_clISt17integral_constantIbLb0EES11_EEDaSW_SX_EUlSW_E_NS1_11comp_targetILNS1_3genE3ELNS1_11target_archE908ELNS1_3gpuE7ELNS1_3repE0EEENS1_30default_config_static_selectorELNS0_4arch9wavefront6targetE1EEEvT1_
	.p2align	8
	.type	_ZN7rocprim17ROCPRIM_400000_NS6detail17trampoline_kernelINS0_14default_configENS1_29reduce_by_key_config_selectorIiiN6thrust23THRUST_200600_302600_NS4plusIiEEEEZZNS1_33reduce_by_key_impl_wrapped_configILNS1_25lookback_scan_determinismE0ES3_S9_NS6_6detail15normal_iteratorINS6_10device_ptrIiEEEESG_SG_SG_PmS8_NS6_8equal_toIiEEEE10hipError_tPvRmT2_T3_mT4_T5_T6_T7_T8_P12ihipStream_tbENKUlT_T0_E_clISt17integral_constantIbLb0EES11_EEDaSW_SX_EUlSW_E_NS1_11comp_targetILNS1_3genE3ELNS1_11target_archE908ELNS1_3gpuE7ELNS1_3repE0EEENS1_30default_config_static_selectorELNS0_4arch9wavefront6targetE1EEEvT1_,@function
_ZN7rocprim17ROCPRIM_400000_NS6detail17trampoline_kernelINS0_14default_configENS1_29reduce_by_key_config_selectorIiiN6thrust23THRUST_200600_302600_NS4plusIiEEEEZZNS1_33reduce_by_key_impl_wrapped_configILNS1_25lookback_scan_determinismE0ES3_S9_NS6_6detail15normal_iteratorINS6_10device_ptrIiEEEESG_SG_SG_PmS8_NS6_8equal_toIiEEEE10hipError_tPvRmT2_T3_mT4_T5_T6_T7_T8_P12ihipStream_tbENKUlT_T0_E_clISt17integral_constantIbLb0EES11_EEDaSW_SX_EUlSW_E_NS1_11comp_targetILNS1_3genE3ELNS1_11target_archE908ELNS1_3gpuE7ELNS1_3repE0EEENS1_30default_config_static_selectorELNS0_4arch9wavefront6targetE1EEEvT1_: ; @_ZN7rocprim17ROCPRIM_400000_NS6detail17trampoline_kernelINS0_14default_configENS1_29reduce_by_key_config_selectorIiiN6thrust23THRUST_200600_302600_NS4plusIiEEEEZZNS1_33reduce_by_key_impl_wrapped_configILNS1_25lookback_scan_determinismE0ES3_S9_NS6_6detail15normal_iteratorINS6_10device_ptrIiEEEESG_SG_SG_PmS8_NS6_8equal_toIiEEEE10hipError_tPvRmT2_T3_mT4_T5_T6_T7_T8_P12ihipStream_tbENKUlT_T0_E_clISt17integral_constantIbLb0EES11_EEDaSW_SX_EUlSW_E_NS1_11comp_targetILNS1_3genE3ELNS1_11target_archE908ELNS1_3gpuE7ELNS1_3repE0EEENS1_30default_config_static_selectorELNS0_4arch9wavefront6targetE1EEEvT1_
; %bb.0:
	.section	.rodata,"a",@progbits
	.p2align	6, 0x0
	.amdhsa_kernel _ZN7rocprim17ROCPRIM_400000_NS6detail17trampoline_kernelINS0_14default_configENS1_29reduce_by_key_config_selectorIiiN6thrust23THRUST_200600_302600_NS4plusIiEEEEZZNS1_33reduce_by_key_impl_wrapped_configILNS1_25lookback_scan_determinismE0ES3_S9_NS6_6detail15normal_iteratorINS6_10device_ptrIiEEEESG_SG_SG_PmS8_NS6_8equal_toIiEEEE10hipError_tPvRmT2_T3_mT4_T5_T6_T7_T8_P12ihipStream_tbENKUlT_T0_E_clISt17integral_constantIbLb0EES11_EEDaSW_SX_EUlSW_E_NS1_11comp_targetILNS1_3genE3ELNS1_11target_archE908ELNS1_3gpuE7ELNS1_3repE0EEENS1_30default_config_static_selectorELNS0_4arch9wavefront6targetE1EEEvT1_
		.amdhsa_group_segment_fixed_size 0
		.amdhsa_private_segment_fixed_size 0
		.amdhsa_kernarg_size 120
		.amdhsa_user_sgpr_count 6
		.amdhsa_user_sgpr_private_segment_buffer 1
		.amdhsa_user_sgpr_dispatch_ptr 0
		.amdhsa_user_sgpr_queue_ptr 0
		.amdhsa_user_sgpr_kernarg_segment_ptr 1
		.amdhsa_user_sgpr_dispatch_id 0
		.amdhsa_user_sgpr_flat_scratch_init 0
		.amdhsa_user_sgpr_kernarg_preload_length 0
		.amdhsa_user_sgpr_kernarg_preload_offset 0
		.amdhsa_user_sgpr_private_segment_size 0
		.amdhsa_uses_dynamic_stack 0
		.amdhsa_system_sgpr_private_segment_wavefront_offset 0
		.amdhsa_system_sgpr_workgroup_id_x 1
		.amdhsa_system_sgpr_workgroup_id_y 0
		.amdhsa_system_sgpr_workgroup_id_z 0
		.amdhsa_system_sgpr_workgroup_info 0
		.amdhsa_system_vgpr_workitem_id 0
		.amdhsa_next_free_vgpr 1
		.amdhsa_next_free_sgpr 0
		.amdhsa_accum_offset 4
		.amdhsa_reserve_vcc 0
		.amdhsa_reserve_flat_scratch 0
		.amdhsa_float_round_mode_32 0
		.amdhsa_float_round_mode_16_64 0
		.amdhsa_float_denorm_mode_32 3
		.amdhsa_float_denorm_mode_16_64 3
		.amdhsa_dx10_clamp 1
		.amdhsa_ieee_mode 1
		.amdhsa_fp16_overflow 0
		.amdhsa_tg_split 0
		.amdhsa_exception_fp_ieee_invalid_op 0
		.amdhsa_exception_fp_denorm_src 0
		.amdhsa_exception_fp_ieee_div_zero 0
		.amdhsa_exception_fp_ieee_overflow 0
		.amdhsa_exception_fp_ieee_underflow 0
		.amdhsa_exception_fp_ieee_inexact 0
		.amdhsa_exception_int_div_zero 0
	.end_amdhsa_kernel
	.section	.text._ZN7rocprim17ROCPRIM_400000_NS6detail17trampoline_kernelINS0_14default_configENS1_29reduce_by_key_config_selectorIiiN6thrust23THRUST_200600_302600_NS4plusIiEEEEZZNS1_33reduce_by_key_impl_wrapped_configILNS1_25lookback_scan_determinismE0ES3_S9_NS6_6detail15normal_iteratorINS6_10device_ptrIiEEEESG_SG_SG_PmS8_NS6_8equal_toIiEEEE10hipError_tPvRmT2_T3_mT4_T5_T6_T7_T8_P12ihipStream_tbENKUlT_T0_E_clISt17integral_constantIbLb0EES11_EEDaSW_SX_EUlSW_E_NS1_11comp_targetILNS1_3genE3ELNS1_11target_archE908ELNS1_3gpuE7ELNS1_3repE0EEENS1_30default_config_static_selectorELNS0_4arch9wavefront6targetE1EEEvT1_,"axG",@progbits,_ZN7rocprim17ROCPRIM_400000_NS6detail17trampoline_kernelINS0_14default_configENS1_29reduce_by_key_config_selectorIiiN6thrust23THRUST_200600_302600_NS4plusIiEEEEZZNS1_33reduce_by_key_impl_wrapped_configILNS1_25lookback_scan_determinismE0ES3_S9_NS6_6detail15normal_iteratorINS6_10device_ptrIiEEEESG_SG_SG_PmS8_NS6_8equal_toIiEEEE10hipError_tPvRmT2_T3_mT4_T5_T6_T7_T8_P12ihipStream_tbENKUlT_T0_E_clISt17integral_constantIbLb0EES11_EEDaSW_SX_EUlSW_E_NS1_11comp_targetILNS1_3genE3ELNS1_11target_archE908ELNS1_3gpuE7ELNS1_3repE0EEENS1_30default_config_static_selectorELNS0_4arch9wavefront6targetE1EEEvT1_,comdat
.Lfunc_end548:
	.size	_ZN7rocprim17ROCPRIM_400000_NS6detail17trampoline_kernelINS0_14default_configENS1_29reduce_by_key_config_selectorIiiN6thrust23THRUST_200600_302600_NS4plusIiEEEEZZNS1_33reduce_by_key_impl_wrapped_configILNS1_25lookback_scan_determinismE0ES3_S9_NS6_6detail15normal_iteratorINS6_10device_ptrIiEEEESG_SG_SG_PmS8_NS6_8equal_toIiEEEE10hipError_tPvRmT2_T3_mT4_T5_T6_T7_T8_P12ihipStream_tbENKUlT_T0_E_clISt17integral_constantIbLb0EES11_EEDaSW_SX_EUlSW_E_NS1_11comp_targetILNS1_3genE3ELNS1_11target_archE908ELNS1_3gpuE7ELNS1_3repE0EEENS1_30default_config_static_selectorELNS0_4arch9wavefront6targetE1EEEvT1_, .Lfunc_end548-_ZN7rocprim17ROCPRIM_400000_NS6detail17trampoline_kernelINS0_14default_configENS1_29reduce_by_key_config_selectorIiiN6thrust23THRUST_200600_302600_NS4plusIiEEEEZZNS1_33reduce_by_key_impl_wrapped_configILNS1_25lookback_scan_determinismE0ES3_S9_NS6_6detail15normal_iteratorINS6_10device_ptrIiEEEESG_SG_SG_PmS8_NS6_8equal_toIiEEEE10hipError_tPvRmT2_T3_mT4_T5_T6_T7_T8_P12ihipStream_tbENKUlT_T0_E_clISt17integral_constantIbLb0EES11_EEDaSW_SX_EUlSW_E_NS1_11comp_targetILNS1_3genE3ELNS1_11target_archE908ELNS1_3gpuE7ELNS1_3repE0EEENS1_30default_config_static_selectorELNS0_4arch9wavefront6targetE1EEEvT1_
                                        ; -- End function
	.section	.AMDGPU.csdata,"",@progbits
; Kernel info:
; codeLenInByte = 0
; NumSgprs: 4
; NumVgprs: 0
; NumAgprs: 0
; TotalNumVgprs: 0
; ScratchSize: 0
; MemoryBound: 0
; FloatMode: 240
; IeeeMode: 1
; LDSByteSize: 0 bytes/workgroup (compile time only)
; SGPRBlocks: 0
; VGPRBlocks: 0
; NumSGPRsForWavesPerEU: 4
; NumVGPRsForWavesPerEU: 1
; AccumOffset: 4
; Occupancy: 8
; WaveLimiterHint : 0
; COMPUTE_PGM_RSRC2:SCRATCH_EN: 0
; COMPUTE_PGM_RSRC2:USER_SGPR: 6
; COMPUTE_PGM_RSRC2:TRAP_HANDLER: 0
; COMPUTE_PGM_RSRC2:TGID_X_EN: 1
; COMPUTE_PGM_RSRC2:TGID_Y_EN: 0
; COMPUTE_PGM_RSRC2:TGID_Z_EN: 0
; COMPUTE_PGM_RSRC2:TIDIG_COMP_CNT: 0
; COMPUTE_PGM_RSRC3_GFX90A:ACCUM_OFFSET: 0
; COMPUTE_PGM_RSRC3_GFX90A:TG_SPLIT: 0
	.section	.text._ZN7rocprim17ROCPRIM_400000_NS6detail17trampoline_kernelINS0_14default_configENS1_29reduce_by_key_config_selectorIiiN6thrust23THRUST_200600_302600_NS4plusIiEEEEZZNS1_33reduce_by_key_impl_wrapped_configILNS1_25lookback_scan_determinismE0ES3_S9_NS6_6detail15normal_iteratorINS6_10device_ptrIiEEEESG_SG_SG_PmS8_NS6_8equal_toIiEEEE10hipError_tPvRmT2_T3_mT4_T5_T6_T7_T8_P12ihipStream_tbENKUlT_T0_E_clISt17integral_constantIbLb0EES11_EEDaSW_SX_EUlSW_E_NS1_11comp_targetILNS1_3genE2ELNS1_11target_archE906ELNS1_3gpuE6ELNS1_3repE0EEENS1_30default_config_static_selectorELNS0_4arch9wavefront6targetE1EEEvT1_,"axG",@progbits,_ZN7rocprim17ROCPRIM_400000_NS6detail17trampoline_kernelINS0_14default_configENS1_29reduce_by_key_config_selectorIiiN6thrust23THRUST_200600_302600_NS4plusIiEEEEZZNS1_33reduce_by_key_impl_wrapped_configILNS1_25lookback_scan_determinismE0ES3_S9_NS6_6detail15normal_iteratorINS6_10device_ptrIiEEEESG_SG_SG_PmS8_NS6_8equal_toIiEEEE10hipError_tPvRmT2_T3_mT4_T5_T6_T7_T8_P12ihipStream_tbENKUlT_T0_E_clISt17integral_constantIbLb0EES11_EEDaSW_SX_EUlSW_E_NS1_11comp_targetILNS1_3genE2ELNS1_11target_archE906ELNS1_3gpuE6ELNS1_3repE0EEENS1_30default_config_static_selectorELNS0_4arch9wavefront6targetE1EEEvT1_,comdat
	.protected	_ZN7rocprim17ROCPRIM_400000_NS6detail17trampoline_kernelINS0_14default_configENS1_29reduce_by_key_config_selectorIiiN6thrust23THRUST_200600_302600_NS4plusIiEEEEZZNS1_33reduce_by_key_impl_wrapped_configILNS1_25lookback_scan_determinismE0ES3_S9_NS6_6detail15normal_iteratorINS6_10device_ptrIiEEEESG_SG_SG_PmS8_NS6_8equal_toIiEEEE10hipError_tPvRmT2_T3_mT4_T5_T6_T7_T8_P12ihipStream_tbENKUlT_T0_E_clISt17integral_constantIbLb0EES11_EEDaSW_SX_EUlSW_E_NS1_11comp_targetILNS1_3genE2ELNS1_11target_archE906ELNS1_3gpuE6ELNS1_3repE0EEENS1_30default_config_static_selectorELNS0_4arch9wavefront6targetE1EEEvT1_ ; -- Begin function _ZN7rocprim17ROCPRIM_400000_NS6detail17trampoline_kernelINS0_14default_configENS1_29reduce_by_key_config_selectorIiiN6thrust23THRUST_200600_302600_NS4plusIiEEEEZZNS1_33reduce_by_key_impl_wrapped_configILNS1_25lookback_scan_determinismE0ES3_S9_NS6_6detail15normal_iteratorINS6_10device_ptrIiEEEESG_SG_SG_PmS8_NS6_8equal_toIiEEEE10hipError_tPvRmT2_T3_mT4_T5_T6_T7_T8_P12ihipStream_tbENKUlT_T0_E_clISt17integral_constantIbLb0EES11_EEDaSW_SX_EUlSW_E_NS1_11comp_targetILNS1_3genE2ELNS1_11target_archE906ELNS1_3gpuE6ELNS1_3repE0EEENS1_30default_config_static_selectorELNS0_4arch9wavefront6targetE1EEEvT1_
	.globl	_ZN7rocprim17ROCPRIM_400000_NS6detail17trampoline_kernelINS0_14default_configENS1_29reduce_by_key_config_selectorIiiN6thrust23THRUST_200600_302600_NS4plusIiEEEEZZNS1_33reduce_by_key_impl_wrapped_configILNS1_25lookback_scan_determinismE0ES3_S9_NS6_6detail15normal_iteratorINS6_10device_ptrIiEEEESG_SG_SG_PmS8_NS6_8equal_toIiEEEE10hipError_tPvRmT2_T3_mT4_T5_T6_T7_T8_P12ihipStream_tbENKUlT_T0_E_clISt17integral_constantIbLb0EES11_EEDaSW_SX_EUlSW_E_NS1_11comp_targetILNS1_3genE2ELNS1_11target_archE906ELNS1_3gpuE6ELNS1_3repE0EEENS1_30default_config_static_selectorELNS0_4arch9wavefront6targetE1EEEvT1_
	.p2align	8
	.type	_ZN7rocprim17ROCPRIM_400000_NS6detail17trampoline_kernelINS0_14default_configENS1_29reduce_by_key_config_selectorIiiN6thrust23THRUST_200600_302600_NS4plusIiEEEEZZNS1_33reduce_by_key_impl_wrapped_configILNS1_25lookback_scan_determinismE0ES3_S9_NS6_6detail15normal_iteratorINS6_10device_ptrIiEEEESG_SG_SG_PmS8_NS6_8equal_toIiEEEE10hipError_tPvRmT2_T3_mT4_T5_T6_T7_T8_P12ihipStream_tbENKUlT_T0_E_clISt17integral_constantIbLb0EES11_EEDaSW_SX_EUlSW_E_NS1_11comp_targetILNS1_3genE2ELNS1_11target_archE906ELNS1_3gpuE6ELNS1_3repE0EEENS1_30default_config_static_selectorELNS0_4arch9wavefront6targetE1EEEvT1_,@function
_ZN7rocprim17ROCPRIM_400000_NS6detail17trampoline_kernelINS0_14default_configENS1_29reduce_by_key_config_selectorIiiN6thrust23THRUST_200600_302600_NS4plusIiEEEEZZNS1_33reduce_by_key_impl_wrapped_configILNS1_25lookback_scan_determinismE0ES3_S9_NS6_6detail15normal_iteratorINS6_10device_ptrIiEEEESG_SG_SG_PmS8_NS6_8equal_toIiEEEE10hipError_tPvRmT2_T3_mT4_T5_T6_T7_T8_P12ihipStream_tbENKUlT_T0_E_clISt17integral_constantIbLb0EES11_EEDaSW_SX_EUlSW_E_NS1_11comp_targetILNS1_3genE2ELNS1_11target_archE906ELNS1_3gpuE6ELNS1_3repE0EEENS1_30default_config_static_selectorELNS0_4arch9wavefront6targetE1EEEvT1_: ; @_ZN7rocprim17ROCPRIM_400000_NS6detail17trampoline_kernelINS0_14default_configENS1_29reduce_by_key_config_selectorIiiN6thrust23THRUST_200600_302600_NS4plusIiEEEEZZNS1_33reduce_by_key_impl_wrapped_configILNS1_25lookback_scan_determinismE0ES3_S9_NS6_6detail15normal_iteratorINS6_10device_ptrIiEEEESG_SG_SG_PmS8_NS6_8equal_toIiEEEE10hipError_tPvRmT2_T3_mT4_T5_T6_T7_T8_P12ihipStream_tbENKUlT_T0_E_clISt17integral_constantIbLb0EES11_EEDaSW_SX_EUlSW_E_NS1_11comp_targetILNS1_3genE2ELNS1_11target_archE906ELNS1_3gpuE6ELNS1_3repE0EEENS1_30default_config_static_selectorELNS0_4arch9wavefront6targetE1EEEvT1_
; %bb.0:
	.section	.rodata,"a",@progbits
	.p2align	6, 0x0
	.amdhsa_kernel _ZN7rocprim17ROCPRIM_400000_NS6detail17trampoline_kernelINS0_14default_configENS1_29reduce_by_key_config_selectorIiiN6thrust23THRUST_200600_302600_NS4plusIiEEEEZZNS1_33reduce_by_key_impl_wrapped_configILNS1_25lookback_scan_determinismE0ES3_S9_NS6_6detail15normal_iteratorINS6_10device_ptrIiEEEESG_SG_SG_PmS8_NS6_8equal_toIiEEEE10hipError_tPvRmT2_T3_mT4_T5_T6_T7_T8_P12ihipStream_tbENKUlT_T0_E_clISt17integral_constantIbLb0EES11_EEDaSW_SX_EUlSW_E_NS1_11comp_targetILNS1_3genE2ELNS1_11target_archE906ELNS1_3gpuE6ELNS1_3repE0EEENS1_30default_config_static_selectorELNS0_4arch9wavefront6targetE1EEEvT1_
		.amdhsa_group_segment_fixed_size 0
		.amdhsa_private_segment_fixed_size 0
		.amdhsa_kernarg_size 120
		.amdhsa_user_sgpr_count 6
		.amdhsa_user_sgpr_private_segment_buffer 1
		.amdhsa_user_sgpr_dispatch_ptr 0
		.amdhsa_user_sgpr_queue_ptr 0
		.amdhsa_user_sgpr_kernarg_segment_ptr 1
		.amdhsa_user_sgpr_dispatch_id 0
		.amdhsa_user_sgpr_flat_scratch_init 0
		.amdhsa_user_sgpr_kernarg_preload_length 0
		.amdhsa_user_sgpr_kernarg_preload_offset 0
		.amdhsa_user_sgpr_private_segment_size 0
		.amdhsa_uses_dynamic_stack 0
		.amdhsa_system_sgpr_private_segment_wavefront_offset 0
		.amdhsa_system_sgpr_workgroup_id_x 1
		.amdhsa_system_sgpr_workgroup_id_y 0
		.amdhsa_system_sgpr_workgroup_id_z 0
		.amdhsa_system_sgpr_workgroup_info 0
		.amdhsa_system_vgpr_workitem_id 0
		.amdhsa_next_free_vgpr 1
		.amdhsa_next_free_sgpr 0
		.amdhsa_accum_offset 4
		.amdhsa_reserve_vcc 0
		.amdhsa_reserve_flat_scratch 0
		.amdhsa_float_round_mode_32 0
		.amdhsa_float_round_mode_16_64 0
		.amdhsa_float_denorm_mode_32 3
		.amdhsa_float_denorm_mode_16_64 3
		.amdhsa_dx10_clamp 1
		.amdhsa_ieee_mode 1
		.amdhsa_fp16_overflow 0
		.amdhsa_tg_split 0
		.amdhsa_exception_fp_ieee_invalid_op 0
		.amdhsa_exception_fp_denorm_src 0
		.amdhsa_exception_fp_ieee_div_zero 0
		.amdhsa_exception_fp_ieee_overflow 0
		.amdhsa_exception_fp_ieee_underflow 0
		.amdhsa_exception_fp_ieee_inexact 0
		.amdhsa_exception_int_div_zero 0
	.end_amdhsa_kernel
	.section	.text._ZN7rocprim17ROCPRIM_400000_NS6detail17trampoline_kernelINS0_14default_configENS1_29reduce_by_key_config_selectorIiiN6thrust23THRUST_200600_302600_NS4plusIiEEEEZZNS1_33reduce_by_key_impl_wrapped_configILNS1_25lookback_scan_determinismE0ES3_S9_NS6_6detail15normal_iteratorINS6_10device_ptrIiEEEESG_SG_SG_PmS8_NS6_8equal_toIiEEEE10hipError_tPvRmT2_T3_mT4_T5_T6_T7_T8_P12ihipStream_tbENKUlT_T0_E_clISt17integral_constantIbLb0EES11_EEDaSW_SX_EUlSW_E_NS1_11comp_targetILNS1_3genE2ELNS1_11target_archE906ELNS1_3gpuE6ELNS1_3repE0EEENS1_30default_config_static_selectorELNS0_4arch9wavefront6targetE1EEEvT1_,"axG",@progbits,_ZN7rocprim17ROCPRIM_400000_NS6detail17trampoline_kernelINS0_14default_configENS1_29reduce_by_key_config_selectorIiiN6thrust23THRUST_200600_302600_NS4plusIiEEEEZZNS1_33reduce_by_key_impl_wrapped_configILNS1_25lookback_scan_determinismE0ES3_S9_NS6_6detail15normal_iteratorINS6_10device_ptrIiEEEESG_SG_SG_PmS8_NS6_8equal_toIiEEEE10hipError_tPvRmT2_T3_mT4_T5_T6_T7_T8_P12ihipStream_tbENKUlT_T0_E_clISt17integral_constantIbLb0EES11_EEDaSW_SX_EUlSW_E_NS1_11comp_targetILNS1_3genE2ELNS1_11target_archE906ELNS1_3gpuE6ELNS1_3repE0EEENS1_30default_config_static_selectorELNS0_4arch9wavefront6targetE1EEEvT1_,comdat
.Lfunc_end549:
	.size	_ZN7rocprim17ROCPRIM_400000_NS6detail17trampoline_kernelINS0_14default_configENS1_29reduce_by_key_config_selectorIiiN6thrust23THRUST_200600_302600_NS4plusIiEEEEZZNS1_33reduce_by_key_impl_wrapped_configILNS1_25lookback_scan_determinismE0ES3_S9_NS6_6detail15normal_iteratorINS6_10device_ptrIiEEEESG_SG_SG_PmS8_NS6_8equal_toIiEEEE10hipError_tPvRmT2_T3_mT4_T5_T6_T7_T8_P12ihipStream_tbENKUlT_T0_E_clISt17integral_constantIbLb0EES11_EEDaSW_SX_EUlSW_E_NS1_11comp_targetILNS1_3genE2ELNS1_11target_archE906ELNS1_3gpuE6ELNS1_3repE0EEENS1_30default_config_static_selectorELNS0_4arch9wavefront6targetE1EEEvT1_, .Lfunc_end549-_ZN7rocprim17ROCPRIM_400000_NS6detail17trampoline_kernelINS0_14default_configENS1_29reduce_by_key_config_selectorIiiN6thrust23THRUST_200600_302600_NS4plusIiEEEEZZNS1_33reduce_by_key_impl_wrapped_configILNS1_25lookback_scan_determinismE0ES3_S9_NS6_6detail15normal_iteratorINS6_10device_ptrIiEEEESG_SG_SG_PmS8_NS6_8equal_toIiEEEE10hipError_tPvRmT2_T3_mT4_T5_T6_T7_T8_P12ihipStream_tbENKUlT_T0_E_clISt17integral_constantIbLb0EES11_EEDaSW_SX_EUlSW_E_NS1_11comp_targetILNS1_3genE2ELNS1_11target_archE906ELNS1_3gpuE6ELNS1_3repE0EEENS1_30default_config_static_selectorELNS0_4arch9wavefront6targetE1EEEvT1_
                                        ; -- End function
	.section	.AMDGPU.csdata,"",@progbits
; Kernel info:
; codeLenInByte = 0
; NumSgprs: 4
; NumVgprs: 0
; NumAgprs: 0
; TotalNumVgprs: 0
; ScratchSize: 0
; MemoryBound: 0
; FloatMode: 240
; IeeeMode: 1
; LDSByteSize: 0 bytes/workgroup (compile time only)
; SGPRBlocks: 0
; VGPRBlocks: 0
; NumSGPRsForWavesPerEU: 4
; NumVGPRsForWavesPerEU: 1
; AccumOffset: 4
; Occupancy: 8
; WaveLimiterHint : 0
; COMPUTE_PGM_RSRC2:SCRATCH_EN: 0
; COMPUTE_PGM_RSRC2:USER_SGPR: 6
; COMPUTE_PGM_RSRC2:TRAP_HANDLER: 0
; COMPUTE_PGM_RSRC2:TGID_X_EN: 1
; COMPUTE_PGM_RSRC2:TGID_Y_EN: 0
; COMPUTE_PGM_RSRC2:TGID_Z_EN: 0
; COMPUTE_PGM_RSRC2:TIDIG_COMP_CNT: 0
; COMPUTE_PGM_RSRC3_GFX90A:ACCUM_OFFSET: 0
; COMPUTE_PGM_RSRC3_GFX90A:TG_SPLIT: 0
	.section	.text._ZN7rocprim17ROCPRIM_400000_NS6detail17trampoline_kernelINS0_14default_configENS1_29reduce_by_key_config_selectorIiiN6thrust23THRUST_200600_302600_NS4plusIiEEEEZZNS1_33reduce_by_key_impl_wrapped_configILNS1_25lookback_scan_determinismE0ES3_S9_NS6_6detail15normal_iteratorINS6_10device_ptrIiEEEESG_SG_SG_PmS8_NS6_8equal_toIiEEEE10hipError_tPvRmT2_T3_mT4_T5_T6_T7_T8_P12ihipStream_tbENKUlT_T0_E_clISt17integral_constantIbLb0EES11_EEDaSW_SX_EUlSW_E_NS1_11comp_targetILNS1_3genE10ELNS1_11target_archE1201ELNS1_3gpuE5ELNS1_3repE0EEENS1_30default_config_static_selectorELNS0_4arch9wavefront6targetE1EEEvT1_,"axG",@progbits,_ZN7rocprim17ROCPRIM_400000_NS6detail17trampoline_kernelINS0_14default_configENS1_29reduce_by_key_config_selectorIiiN6thrust23THRUST_200600_302600_NS4plusIiEEEEZZNS1_33reduce_by_key_impl_wrapped_configILNS1_25lookback_scan_determinismE0ES3_S9_NS6_6detail15normal_iteratorINS6_10device_ptrIiEEEESG_SG_SG_PmS8_NS6_8equal_toIiEEEE10hipError_tPvRmT2_T3_mT4_T5_T6_T7_T8_P12ihipStream_tbENKUlT_T0_E_clISt17integral_constantIbLb0EES11_EEDaSW_SX_EUlSW_E_NS1_11comp_targetILNS1_3genE10ELNS1_11target_archE1201ELNS1_3gpuE5ELNS1_3repE0EEENS1_30default_config_static_selectorELNS0_4arch9wavefront6targetE1EEEvT1_,comdat
	.protected	_ZN7rocprim17ROCPRIM_400000_NS6detail17trampoline_kernelINS0_14default_configENS1_29reduce_by_key_config_selectorIiiN6thrust23THRUST_200600_302600_NS4plusIiEEEEZZNS1_33reduce_by_key_impl_wrapped_configILNS1_25lookback_scan_determinismE0ES3_S9_NS6_6detail15normal_iteratorINS6_10device_ptrIiEEEESG_SG_SG_PmS8_NS6_8equal_toIiEEEE10hipError_tPvRmT2_T3_mT4_T5_T6_T7_T8_P12ihipStream_tbENKUlT_T0_E_clISt17integral_constantIbLb0EES11_EEDaSW_SX_EUlSW_E_NS1_11comp_targetILNS1_3genE10ELNS1_11target_archE1201ELNS1_3gpuE5ELNS1_3repE0EEENS1_30default_config_static_selectorELNS0_4arch9wavefront6targetE1EEEvT1_ ; -- Begin function _ZN7rocprim17ROCPRIM_400000_NS6detail17trampoline_kernelINS0_14default_configENS1_29reduce_by_key_config_selectorIiiN6thrust23THRUST_200600_302600_NS4plusIiEEEEZZNS1_33reduce_by_key_impl_wrapped_configILNS1_25lookback_scan_determinismE0ES3_S9_NS6_6detail15normal_iteratorINS6_10device_ptrIiEEEESG_SG_SG_PmS8_NS6_8equal_toIiEEEE10hipError_tPvRmT2_T3_mT4_T5_T6_T7_T8_P12ihipStream_tbENKUlT_T0_E_clISt17integral_constantIbLb0EES11_EEDaSW_SX_EUlSW_E_NS1_11comp_targetILNS1_3genE10ELNS1_11target_archE1201ELNS1_3gpuE5ELNS1_3repE0EEENS1_30default_config_static_selectorELNS0_4arch9wavefront6targetE1EEEvT1_
	.globl	_ZN7rocprim17ROCPRIM_400000_NS6detail17trampoline_kernelINS0_14default_configENS1_29reduce_by_key_config_selectorIiiN6thrust23THRUST_200600_302600_NS4plusIiEEEEZZNS1_33reduce_by_key_impl_wrapped_configILNS1_25lookback_scan_determinismE0ES3_S9_NS6_6detail15normal_iteratorINS6_10device_ptrIiEEEESG_SG_SG_PmS8_NS6_8equal_toIiEEEE10hipError_tPvRmT2_T3_mT4_T5_T6_T7_T8_P12ihipStream_tbENKUlT_T0_E_clISt17integral_constantIbLb0EES11_EEDaSW_SX_EUlSW_E_NS1_11comp_targetILNS1_3genE10ELNS1_11target_archE1201ELNS1_3gpuE5ELNS1_3repE0EEENS1_30default_config_static_selectorELNS0_4arch9wavefront6targetE1EEEvT1_
	.p2align	8
	.type	_ZN7rocprim17ROCPRIM_400000_NS6detail17trampoline_kernelINS0_14default_configENS1_29reduce_by_key_config_selectorIiiN6thrust23THRUST_200600_302600_NS4plusIiEEEEZZNS1_33reduce_by_key_impl_wrapped_configILNS1_25lookback_scan_determinismE0ES3_S9_NS6_6detail15normal_iteratorINS6_10device_ptrIiEEEESG_SG_SG_PmS8_NS6_8equal_toIiEEEE10hipError_tPvRmT2_T3_mT4_T5_T6_T7_T8_P12ihipStream_tbENKUlT_T0_E_clISt17integral_constantIbLb0EES11_EEDaSW_SX_EUlSW_E_NS1_11comp_targetILNS1_3genE10ELNS1_11target_archE1201ELNS1_3gpuE5ELNS1_3repE0EEENS1_30default_config_static_selectorELNS0_4arch9wavefront6targetE1EEEvT1_,@function
_ZN7rocprim17ROCPRIM_400000_NS6detail17trampoline_kernelINS0_14default_configENS1_29reduce_by_key_config_selectorIiiN6thrust23THRUST_200600_302600_NS4plusIiEEEEZZNS1_33reduce_by_key_impl_wrapped_configILNS1_25lookback_scan_determinismE0ES3_S9_NS6_6detail15normal_iteratorINS6_10device_ptrIiEEEESG_SG_SG_PmS8_NS6_8equal_toIiEEEE10hipError_tPvRmT2_T3_mT4_T5_T6_T7_T8_P12ihipStream_tbENKUlT_T0_E_clISt17integral_constantIbLb0EES11_EEDaSW_SX_EUlSW_E_NS1_11comp_targetILNS1_3genE10ELNS1_11target_archE1201ELNS1_3gpuE5ELNS1_3repE0EEENS1_30default_config_static_selectorELNS0_4arch9wavefront6targetE1EEEvT1_: ; @_ZN7rocprim17ROCPRIM_400000_NS6detail17trampoline_kernelINS0_14default_configENS1_29reduce_by_key_config_selectorIiiN6thrust23THRUST_200600_302600_NS4plusIiEEEEZZNS1_33reduce_by_key_impl_wrapped_configILNS1_25lookback_scan_determinismE0ES3_S9_NS6_6detail15normal_iteratorINS6_10device_ptrIiEEEESG_SG_SG_PmS8_NS6_8equal_toIiEEEE10hipError_tPvRmT2_T3_mT4_T5_T6_T7_T8_P12ihipStream_tbENKUlT_T0_E_clISt17integral_constantIbLb0EES11_EEDaSW_SX_EUlSW_E_NS1_11comp_targetILNS1_3genE10ELNS1_11target_archE1201ELNS1_3gpuE5ELNS1_3repE0EEENS1_30default_config_static_selectorELNS0_4arch9wavefront6targetE1EEEvT1_
; %bb.0:
	.section	.rodata,"a",@progbits
	.p2align	6, 0x0
	.amdhsa_kernel _ZN7rocprim17ROCPRIM_400000_NS6detail17trampoline_kernelINS0_14default_configENS1_29reduce_by_key_config_selectorIiiN6thrust23THRUST_200600_302600_NS4plusIiEEEEZZNS1_33reduce_by_key_impl_wrapped_configILNS1_25lookback_scan_determinismE0ES3_S9_NS6_6detail15normal_iteratorINS6_10device_ptrIiEEEESG_SG_SG_PmS8_NS6_8equal_toIiEEEE10hipError_tPvRmT2_T3_mT4_T5_T6_T7_T8_P12ihipStream_tbENKUlT_T0_E_clISt17integral_constantIbLb0EES11_EEDaSW_SX_EUlSW_E_NS1_11comp_targetILNS1_3genE10ELNS1_11target_archE1201ELNS1_3gpuE5ELNS1_3repE0EEENS1_30default_config_static_selectorELNS0_4arch9wavefront6targetE1EEEvT1_
		.amdhsa_group_segment_fixed_size 0
		.amdhsa_private_segment_fixed_size 0
		.amdhsa_kernarg_size 120
		.amdhsa_user_sgpr_count 6
		.amdhsa_user_sgpr_private_segment_buffer 1
		.amdhsa_user_sgpr_dispatch_ptr 0
		.amdhsa_user_sgpr_queue_ptr 0
		.amdhsa_user_sgpr_kernarg_segment_ptr 1
		.amdhsa_user_sgpr_dispatch_id 0
		.amdhsa_user_sgpr_flat_scratch_init 0
		.amdhsa_user_sgpr_kernarg_preload_length 0
		.amdhsa_user_sgpr_kernarg_preload_offset 0
		.amdhsa_user_sgpr_private_segment_size 0
		.amdhsa_uses_dynamic_stack 0
		.amdhsa_system_sgpr_private_segment_wavefront_offset 0
		.amdhsa_system_sgpr_workgroup_id_x 1
		.amdhsa_system_sgpr_workgroup_id_y 0
		.amdhsa_system_sgpr_workgroup_id_z 0
		.amdhsa_system_sgpr_workgroup_info 0
		.amdhsa_system_vgpr_workitem_id 0
		.amdhsa_next_free_vgpr 1
		.amdhsa_next_free_sgpr 0
		.amdhsa_accum_offset 4
		.amdhsa_reserve_vcc 0
		.amdhsa_reserve_flat_scratch 0
		.amdhsa_float_round_mode_32 0
		.amdhsa_float_round_mode_16_64 0
		.amdhsa_float_denorm_mode_32 3
		.amdhsa_float_denorm_mode_16_64 3
		.amdhsa_dx10_clamp 1
		.amdhsa_ieee_mode 1
		.amdhsa_fp16_overflow 0
		.amdhsa_tg_split 0
		.amdhsa_exception_fp_ieee_invalid_op 0
		.amdhsa_exception_fp_denorm_src 0
		.amdhsa_exception_fp_ieee_div_zero 0
		.amdhsa_exception_fp_ieee_overflow 0
		.amdhsa_exception_fp_ieee_underflow 0
		.amdhsa_exception_fp_ieee_inexact 0
		.amdhsa_exception_int_div_zero 0
	.end_amdhsa_kernel
	.section	.text._ZN7rocprim17ROCPRIM_400000_NS6detail17trampoline_kernelINS0_14default_configENS1_29reduce_by_key_config_selectorIiiN6thrust23THRUST_200600_302600_NS4plusIiEEEEZZNS1_33reduce_by_key_impl_wrapped_configILNS1_25lookback_scan_determinismE0ES3_S9_NS6_6detail15normal_iteratorINS6_10device_ptrIiEEEESG_SG_SG_PmS8_NS6_8equal_toIiEEEE10hipError_tPvRmT2_T3_mT4_T5_T6_T7_T8_P12ihipStream_tbENKUlT_T0_E_clISt17integral_constantIbLb0EES11_EEDaSW_SX_EUlSW_E_NS1_11comp_targetILNS1_3genE10ELNS1_11target_archE1201ELNS1_3gpuE5ELNS1_3repE0EEENS1_30default_config_static_selectorELNS0_4arch9wavefront6targetE1EEEvT1_,"axG",@progbits,_ZN7rocprim17ROCPRIM_400000_NS6detail17trampoline_kernelINS0_14default_configENS1_29reduce_by_key_config_selectorIiiN6thrust23THRUST_200600_302600_NS4plusIiEEEEZZNS1_33reduce_by_key_impl_wrapped_configILNS1_25lookback_scan_determinismE0ES3_S9_NS6_6detail15normal_iteratorINS6_10device_ptrIiEEEESG_SG_SG_PmS8_NS6_8equal_toIiEEEE10hipError_tPvRmT2_T3_mT4_T5_T6_T7_T8_P12ihipStream_tbENKUlT_T0_E_clISt17integral_constantIbLb0EES11_EEDaSW_SX_EUlSW_E_NS1_11comp_targetILNS1_3genE10ELNS1_11target_archE1201ELNS1_3gpuE5ELNS1_3repE0EEENS1_30default_config_static_selectorELNS0_4arch9wavefront6targetE1EEEvT1_,comdat
.Lfunc_end550:
	.size	_ZN7rocprim17ROCPRIM_400000_NS6detail17trampoline_kernelINS0_14default_configENS1_29reduce_by_key_config_selectorIiiN6thrust23THRUST_200600_302600_NS4plusIiEEEEZZNS1_33reduce_by_key_impl_wrapped_configILNS1_25lookback_scan_determinismE0ES3_S9_NS6_6detail15normal_iteratorINS6_10device_ptrIiEEEESG_SG_SG_PmS8_NS6_8equal_toIiEEEE10hipError_tPvRmT2_T3_mT4_T5_T6_T7_T8_P12ihipStream_tbENKUlT_T0_E_clISt17integral_constantIbLb0EES11_EEDaSW_SX_EUlSW_E_NS1_11comp_targetILNS1_3genE10ELNS1_11target_archE1201ELNS1_3gpuE5ELNS1_3repE0EEENS1_30default_config_static_selectorELNS0_4arch9wavefront6targetE1EEEvT1_, .Lfunc_end550-_ZN7rocprim17ROCPRIM_400000_NS6detail17trampoline_kernelINS0_14default_configENS1_29reduce_by_key_config_selectorIiiN6thrust23THRUST_200600_302600_NS4plusIiEEEEZZNS1_33reduce_by_key_impl_wrapped_configILNS1_25lookback_scan_determinismE0ES3_S9_NS6_6detail15normal_iteratorINS6_10device_ptrIiEEEESG_SG_SG_PmS8_NS6_8equal_toIiEEEE10hipError_tPvRmT2_T3_mT4_T5_T6_T7_T8_P12ihipStream_tbENKUlT_T0_E_clISt17integral_constantIbLb0EES11_EEDaSW_SX_EUlSW_E_NS1_11comp_targetILNS1_3genE10ELNS1_11target_archE1201ELNS1_3gpuE5ELNS1_3repE0EEENS1_30default_config_static_selectorELNS0_4arch9wavefront6targetE1EEEvT1_
                                        ; -- End function
	.section	.AMDGPU.csdata,"",@progbits
; Kernel info:
; codeLenInByte = 0
; NumSgprs: 4
; NumVgprs: 0
; NumAgprs: 0
; TotalNumVgprs: 0
; ScratchSize: 0
; MemoryBound: 0
; FloatMode: 240
; IeeeMode: 1
; LDSByteSize: 0 bytes/workgroup (compile time only)
; SGPRBlocks: 0
; VGPRBlocks: 0
; NumSGPRsForWavesPerEU: 4
; NumVGPRsForWavesPerEU: 1
; AccumOffset: 4
; Occupancy: 8
; WaveLimiterHint : 0
; COMPUTE_PGM_RSRC2:SCRATCH_EN: 0
; COMPUTE_PGM_RSRC2:USER_SGPR: 6
; COMPUTE_PGM_RSRC2:TRAP_HANDLER: 0
; COMPUTE_PGM_RSRC2:TGID_X_EN: 1
; COMPUTE_PGM_RSRC2:TGID_Y_EN: 0
; COMPUTE_PGM_RSRC2:TGID_Z_EN: 0
; COMPUTE_PGM_RSRC2:TIDIG_COMP_CNT: 0
; COMPUTE_PGM_RSRC3_GFX90A:ACCUM_OFFSET: 0
; COMPUTE_PGM_RSRC3_GFX90A:TG_SPLIT: 0
	.section	.text._ZN7rocprim17ROCPRIM_400000_NS6detail17trampoline_kernelINS0_14default_configENS1_29reduce_by_key_config_selectorIiiN6thrust23THRUST_200600_302600_NS4plusIiEEEEZZNS1_33reduce_by_key_impl_wrapped_configILNS1_25lookback_scan_determinismE0ES3_S9_NS6_6detail15normal_iteratorINS6_10device_ptrIiEEEESG_SG_SG_PmS8_NS6_8equal_toIiEEEE10hipError_tPvRmT2_T3_mT4_T5_T6_T7_T8_P12ihipStream_tbENKUlT_T0_E_clISt17integral_constantIbLb0EES11_EEDaSW_SX_EUlSW_E_NS1_11comp_targetILNS1_3genE10ELNS1_11target_archE1200ELNS1_3gpuE4ELNS1_3repE0EEENS1_30default_config_static_selectorELNS0_4arch9wavefront6targetE1EEEvT1_,"axG",@progbits,_ZN7rocprim17ROCPRIM_400000_NS6detail17trampoline_kernelINS0_14default_configENS1_29reduce_by_key_config_selectorIiiN6thrust23THRUST_200600_302600_NS4plusIiEEEEZZNS1_33reduce_by_key_impl_wrapped_configILNS1_25lookback_scan_determinismE0ES3_S9_NS6_6detail15normal_iteratorINS6_10device_ptrIiEEEESG_SG_SG_PmS8_NS6_8equal_toIiEEEE10hipError_tPvRmT2_T3_mT4_T5_T6_T7_T8_P12ihipStream_tbENKUlT_T0_E_clISt17integral_constantIbLb0EES11_EEDaSW_SX_EUlSW_E_NS1_11comp_targetILNS1_3genE10ELNS1_11target_archE1200ELNS1_3gpuE4ELNS1_3repE0EEENS1_30default_config_static_selectorELNS0_4arch9wavefront6targetE1EEEvT1_,comdat
	.protected	_ZN7rocprim17ROCPRIM_400000_NS6detail17trampoline_kernelINS0_14default_configENS1_29reduce_by_key_config_selectorIiiN6thrust23THRUST_200600_302600_NS4plusIiEEEEZZNS1_33reduce_by_key_impl_wrapped_configILNS1_25lookback_scan_determinismE0ES3_S9_NS6_6detail15normal_iteratorINS6_10device_ptrIiEEEESG_SG_SG_PmS8_NS6_8equal_toIiEEEE10hipError_tPvRmT2_T3_mT4_T5_T6_T7_T8_P12ihipStream_tbENKUlT_T0_E_clISt17integral_constantIbLb0EES11_EEDaSW_SX_EUlSW_E_NS1_11comp_targetILNS1_3genE10ELNS1_11target_archE1200ELNS1_3gpuE4ELNS1_3repE0EEENS1_30default_config_static_selectorELNS0_4arch9wavefront6targetE1EEEvT1_ ; -- Begin function _ZN7rocprim17ROCPRIM_400000_NS6detail17trampoline_kernelINS0_14default_configENS1_29reduce_by_key_config_selectorIiiN6thrust23THRUST_200600_302600_NS4plusIiEEEEZZNS1_33reduce_by_key_impl_wrapped_configILNS1_25lookback_scan_determinismE0ES3_S9_NS6_6detail15normal_iteratorINS6_10device_ptrIiEEEESG_SG_SG_PmS8_NS6_8equal_toIiEEEE10hipError_tPvRmT2_T3_mT4_T5_T6_T7_T8_P12ihipStream_tbENKUlT_T0_E_clISt17integral_constantIbLb0EES11_EEDaSW_SX_EUlSW_E_NS1_11comp_targetILNS1_3genE10ELNS1_11target_archE1200ELNS1_3gpuE4ELNS1_3repE0EEENS1_30default_config_static_selectorELNS0_4arch9wavefront6targetE1EEEvT1_
	.globl	_ZN7rocprim17ROCPRIM_400000_NS6detail17trampoline_kernelINS0_14default_configENS1_29reduce_by_key_config_selectorIiiN6thrust23THRUST_200600_302600_NS4plusIiEEEEZZNS1_33reduce_by_key_impl_wrapped_configILNS1_25lookback_scan_determinismE0ES3_S9_NS6_6detail15normal_iteratorINS6_10device_ptrIiEEEESG_SG_SG_PmS8_NS6_8equal_toIiEEEE10hipError_tPvRmT2_T3_mT4_T5_T6_T7_T8_P12ihipStream_tbENKUlT_T0_E_clISt17integral_constantIbLb0EES11_EEDaSW_SX_EUlSW_E_NS1_11comp_targetILNS1_3genE10ELNS1_11target_archE1200ELNS1_3gpuE4ELNS1_3repE0EEENS1_30default_config_static_selectorELNS0_4arch9wavefront6targetE1EEEvT1_
	.p2align	8
	.type	_ZN7rocprim17ROCPRIM_400000_NS6detail17trampoline_kernelINS0_14default_configENS1_29reduce_by_key_config_selectorIiiN6thrust23THRUST_200600_302600_NS4plusIiEEEEZZNS1_33reduce_by_key_impl_wrapped_configILNS1_25lookback_scan_determinismE0ES3_S9_NS6_6detail15normal_iteratorINS6_10device_ptrIiEEEESG_SG_SG_PmS8_NS6_8equal_toIiEEEE10hipError_tPvRmT2_T3_mT4_T5_T6_T7_T8_P12ihipStream_tbENKUlT_T0_E_clISt17integral_constantIbLb0EES11_EEDaSW_SX_EUlSW_E_NS1_11comp_targetILNS1_3genE10ELNS1_11target_archE1200ELNS1_3gpuE4ELNS1_3repE0EEENS1_30default_config_static_selectorELNS0_4arch9wavefront6targetE1EEEvT1_,@function
_ZN7rocprim17ROCPRIM_400000_NS6detail17trampoline_kernelINS0_14default_configENS1_29reduce_by_key_config_selectorIiiN6thrust23THRUST_200600_302600_NS4plusIiEEEEZZNS1_33reduce_by_key_impl_wrapped_configILNS1_25lookback_scan_determinismE0ES3_S9_NS6_6detail15normal_iteratorINS6_10device_ptrIiEEEESG_SG_SG_PmS8_NS6_8equal_toIiEEEE10hipError_tPvRmT2_T3_mT4_T5_T6_T7_T8_P12ihipStream_tbENKUlT_T0_E_clISt17integral_constantIbLb0EES11_EEDaSW_SX_EUlSW_E_NS1_11comp_targetILNS1_3genE10ELNS1_11target_archE1200ELNS1_3gpuE4ELNS1_3repE0EEENS1_30default_config_static_selectorELNS0_4arch9wavefront6targetE1EEEvT1_: ; @_ZN7rocprim17ROCPRIM_400000_NS6detail17trampoline_kernelINS0_14default_configENS1_29reduce_by_key_config_selectorIiiN6thrust23THRUST_200600_302600_NS4plusIiEEEEZZNS1_33reduce_by_key_impl_wrapped_configILNS1_25lookback_scan_determinismE0ES3_S9_NS6_6detail15normal_iteratorINS6_10device_ptrIiEEEESG_SG_SG_PmS8_NS6_8equal_toIiEEEE10hipError_tPvRmT2_T3_mT4_T5_T6_T7_T8_P12ihipStream_tbENKUlT_T0_E_clISt17integral_constantIbLb0EES11_EEDaSW_SX_EUlSW_E_NS1_11comp_targetILNS1_3genE10ELNS1_11target_archE1200ELNS1_3gpuE4ELNS1_3repE0EEENS1_30default_config_static_selectorELNS0_4arch9wavefront6targetE1EEEvT1_
; %bb.0:
	.section	.rodata,"a",@progbits
	.p2align	6, 0x0
	.amdhsa_kernel _ZN7rocprim17ROCPRIM_400000_NS6detail17trampoline_kernelINS0_14default_configENS1_29reduce_by_key_config_selectorIiiN6thrust23THRUST_200600_302600_NS4plusIiEEEEZZNS1_33reduce_by_key_impl_wrapped_configILNS1_25lookback_scan_determinismE0ES3_S9_NS6_6detail15normal_iteratorINS6_10device_ptrIiEEEESG_SG_SG_PmS8_NS6_8equal_toIiEEEE10hipError_tPvRmT2_T3_mT4_T5_T6_T7_T8_P12ihipStream_tbENKUlT_T0_E_clISt17integral_constantIbLb0EES11_EEDaSW_SX_EUlSW_E_NS1_11comp_targetILNS1_3genE10ELNS1_11target_archE1200ELNS1_3gpuE4ELNS1_3repE0EEENS1_30default_config_static_selectorELNS0_4arch9wavefront6targetE1EEEvT1_
		.amdhsa_group_segment_fixed_size 0
		.amdhsa_private_segment_fixed_size 0
		.amdhsa_kernarg_size 120
		.amdhsa_user_sgpr_count 6
		.amdhsa_user_sgpr_private_segment_buffer 1
		.amdhsa_user_sgpr_dispatch_ptr 0
		.amdhsa_user_sgpr_queue_ptr 0
		.amdhsa_user_sgpr_kernarg_segment_ptr 1
		.amdhsa_user_sgpr_dispatch_id 0
		.amdhsa_user_sgpr_flat_scratch_init 0
		.amdhsa_user_sgpr_kernarg_preload_length 0
		.amdhsa_user_sgpr_kernarg_preload_offset 0
		.amdhsa_user_sgpr_private_segment_size 0
		.amdhsa_uses_dynamic_stack 0
		.amdhsa_system_sgpr_private_segment_wavefront_offset 0
		.amdhsa_system_sgpr_workgroup_id_x 1
		.amdhsa_system_sgpr_workgroup_id_y 0
		.amdhsa_system_sgpr_workgroup_id_z 0
		.amdhsa_system_sgpr_workgroup_info 0
		.amdhsa_system_vgpr_workitem_id 0
		.amdhsa_next_free_vgpr 1
		.amdhsa_next_free_sgpr 0
		.amdhsa_accum_offset 4
		.amdhsa_reserve_vcc 0
		.amdhsa_reserve_flat_scratch 0
		.amdhsa_float_round_mode_32 0
		.amdhsa_float_round_mode_16_64 0
		.amdhsa_float_denorm_mode_32 3
		.amdhsa_float_denorm_mode_16_64 3
		.amdhsa_dx10_clamp 1
		.amdhsa_ieee_mode 1
		.amdhsa_fp16_overflow 0
		.amdhsa_tg_split 0
		.amdhsa_exception_fp_ieee_invalid_op 0
		.amdhsa_exception_fp_denorm_src 0
		.amdhsa_exception_fp_ieee_div_zero 0
		.amdhsa_exception_fp_ieee_overflow 0
		.amdhsa_exception_fp_ieee_underflow 0
		.amdhsa_exception_fp_ieee_inexact 0
		.amdhsa_exception_int_div_zero 0
	.end_amdhsa_kernel
	.section	.text._ZN7rocprim17ROCPRIM_400000_NS6detail17trampoline_kernelINS0_14default_configENS1_29reduce_by_key_config_selectorIiiN6thrust23THRUST_200600_302600_NS4plusIiEEEEZZNS1_33reduce_by_key_impl_wrapped_configILNS1_25lookback_scan_determinismE0ES3_S9_NS6_6detail15normal_iteratorINS6_10device_ptrIiEEEESG_SG_SG_PmS8_NS6_8equal_toIiEEEE10hipError_tPvRmT2_T3_mT4_T5_T6_T7_T8_P12ihipStream_tbENKUlT_T0_E_clISt17integral_constantIbLb0EES11_EEDaSW_SX_EUlSW_E_NS1_11comp_targetILNS1_3genE10ELNS1_11target_archE1200ELNS1_3gpuE4ELNS1_3repE0EEENS1_30default_config_static_selectorELNS0_4arch9wavefront6targetE1EEEvT1_,"axG",@progbits,_ZN7rocprim17ROCPRIM_400000_NS6detail17trampoline_kernelINS0_14default_configENS1_29reduce_by_key_config_selectorIiiN6thrust23THRUST_200600_302600_NS4plusIiEEEEZZNS1_33reduce_by_key_impl_wrapped_configILNS1_25lookback_scan_determinismE0ES3_S9_NS6_6detail15normal_iteratorINS6_10device_ptrIiEEEESG_SG_SG_PmS8_NS6_8equal_toIiEEEE10hipError_tPvRmT2_T3_mT4_T5_T6_T7_T8_P12ihipStream_tbENKUlT_T0_E_clISt17integral_constantIbLb0EES11_EEDaSW_SX_EUlSW_E_NS1_11comp_targetILNS1_3genE10ELNS1_11target_archE1200ELNS1_3gpuE4ELNS1_3repE0EEENS1_30default_config_static_selectorELNS0_4arch9wavefront6targetE1EEEvT1_,comdat
.Lfunc_end551:
	.size	_ZN7rocprim17ROCPRIM_400000_NS6detail17trampoline_kernelINS0_14default_configENS1_29reduce_by_key_config_selectorIiiN6thrust23THRUST_200600_302600_NS4plusIiEEEEZZNS1_33reduce_by_key_impl_wrapped_configILNS1_25lookback_scan_determinismE0ES3_S9_NS6_6detail15normal_iteratorINS6_10device_ptrIiEEEESG_SG_SG_PmS8_NS6_8equal_toIiEEEE10hipError_tPvRmT2_T3_mT4_T5_T6_T7_T8_P12ihipStream_tbENKUlT_T0_E_clISt17integral_constantIbLb0EES11_EEDaSW_SX_EUlSW_E_NS1_11comp_targetILNS1_3genE10ELNS1_11target_archE1200ELNS1_3gpuE4ELNS1_3repE0EEENS1_30default_config_static_selectorELNS0_4arch9wavefront6targetE1EEEvT1_, .Lfunc_end551-_ZN7rocprim17ROCPRIM_400000_NS6detail17trampoline_kernelINS0_14default_configENS1_29reduce_by_key_config_selectorIiiN6thrust23THRUST_200600_302600_NS4plusIiEEEEZZNS1_33reduce_by_key_impl_wrapped_configILNS1_25lookback_scan_determinismE0ES3_S9_NS6_6detail15normal_iteratorINS6_10device_ptrIiEEEESG_SG_SG_PmS8_NS6_8equal_toIiEEEE10hipError_tPvRmT2_T3_mT4_T5_T6_T7_T8_P12ihipStream_tbENKUlT_T0_E_clISt17integral_constantIbLb0EES11_EEDaSW_SX_EUlSW_E_NS1_11comp_targetILNS1_3genE10ELNS1_11target_archE1200ELNS1_3gpuE4ELNS1_3repE0EEENS1_30default_config_static_selectorELNS0_4arch9wavefront6targetE1EEEvT1_
                                        ; -- End function
	.section	.AMDGPU.csdata,"",@progbits
; Kernel info:
; codeLenInByte = 0
; NumSgprs: 4
; NumVgprs: 0
; NumAgprs: 0
; TotalNumVgprs: 0
; ScratchSize: 0
; MemoryBound: 0
; FloatMode: 240
; IeeeMode: 1
; LDSByteSize: 0 bytes/workgroup (compile time only)
; SGPRBlocks: 0
; VGPRBlocks: 0
; NumSGPRsForWavesPerEU: 4
; NumVGPRsForWavesPerEU: 1
; AccumOffset: 4
; Occupancy: 8
; WaveLimiterHint : 0
; COMPUTE_PGM_RSRC2:SCRATCH_EN: 0
; COMPUTE_PGM_RSRC2:USER_SGPR: 6
; COMPUTE_PGM_RSRC2:TRAP_HANDLER: 0
; COMPUTE_PGM_RSRC2:TGID_X_EN: 1
; COMPUTE_PGM_RSRC2:TGID_Y_EN: 0
; COMPUTE_PGM_RSRC2:TGID_Z_EN: 0
; COMPUTE_PGM_RSRC2:TIDIG_COMP_CNT: 0
; COMPUTE_PGM_RSRC3_GFX90A:ACCUM_OFFSET: 0
; COMPUTE_PGM_RSRC3_GFX90A:TG_SPLIT: 0
	.section	.text._ZN7rocprim17ROCPRIM_400000_NS6detail17trampoline_kernelINS0_14default_configENS1_29reduce_by_key_config_selectorIiiN6thrust23THRUST_200600_302600_NS4plusIiEEEEZZNS1_33reduce_by_key_impl_wrapped_configILNS1_25lookback_scan_determinismE0ES3_S9_NS6_6detail15normal_iteratorINS6_10device_ptrIiEEEESG_SG_SG_PmS8_NS6_8equal_toIiEEEE10hipError_tPvRmT2_T3_mT4_T5_T6_T7_T8_P12ihipStream_tbENKUlT_T0_E_clISt17integral_constantIbLb0EES11_EEDaSW_SX_EUlSW_E_NS1_11comp_targetILNS1_3genE9ELNS1_11target_archE1100ELNS1_3gpuE3ELNS1_3repE0EEENS1_30default_config_static_selectorELNS0_4arch9wavefront6targetE1EEEvT1_,"axG",@progbits,_ZN7rocprim17ROCPRIM_400000_NS6detail17trampoline_kernelINS0_14default_configENS1_29reduce_by_key_config_selectorIiiN6thrust23THRUST_200600_302600_NS4plusIiEEEEZZNS1_33reduce_by_key_impl_wrapped_configILNS1_25lookback_scan_determinismE0ES3_S9_NS6_6detail15normal_iteratorINS6_10device_ptrIiEEEESG_SG_SG_PmS8_NS6_8equal_toIiEEEE10hipError_tPvRmT2_T3_mT4_T5_T6_T7_T8_P12ihipStream_tbENKUlT_T0_E_clISt17integral_constantIbLb0EES11_EEDaSW_SX_EUlSW_E_NS1_11comp_targetILNS1_3genE9ELNS1_11target_archE1100ELNS1_3gpuE3ELNS1_3repE0EEENS1_30default_config_static_selectorELNS0_4arch9wavefront6targetE1EEEvT1_,comdat
	.protected	_ZN7rocprim17ROCPRIM_400000_NS6detail17trampoline_kernelINS0_14default_configENS1_29reduce_by_key_config_selectorIiiN6thrust23THRUST_200600_302600_NS4plusIiEEEEZZNS1_33reduce_by_key_impl_wrapped_configILNS1_25lookback_scan_determinismE0ES3_S9_NS6_6detail15normal_iteratorINS6_10device_ptrIiEEEESG_SG_SG_PmS8_NS6_8equal_toIiEEEE10hipError_tPvRmT2_T3_mT4_T5_T6_T7_T8_P12ihipStream_tbENKUlT_T0_E_clISt17integral_constantIbLb0EES11_EEDaSW_SX_EUlSW_E_NS1_11comp_targetILNS1_3genE9ELNS1_11target_archE1100ELNS1_3gpuE3ELNS1_3repE0EEENS1_30default_config_static_selectorELNS0_4arch9wavefront6targetE1EEEvT1_ ; -- Begin function _ZN7rocprim17ROCPRIM_400000_NS6detail17trampoline_kernelINS0_14default_configENS1_29reduce_by_key_config_selectorIiiN6thrust23THRUST_200600_302600_NS4plusIiEEEEZZNS1_33reduce_by_key_impl_wrapped_configILNS1_25lookback_scan_determinismE0ES3_S9_NS6_6detail15normal_iteratorINS6_10device_ptrIiEEEESG_SG_SG_PmS8_NS6_8equal_toIiEEEE10hipError_tPvRmT2_T3_mT4_T5_T6_T7_T8_P12ihipStream_tbENKUlT_T0_E_clISt17integral_constantIbLb0EES11_EEDaSW_SX_EUlSW_E_NS1_11comp_targetILNS1_3genE9ELNS1_11target_archE1100ELNS1_3gpuE3ELNS1_3repE0EEENS1_30default_config_static_selectorELNS0_4arch9wavefront6targetE1EEEvT1_
	.globl	_ZN7rocprim17ROCPRIM_400000_NS6detail17trampoline_kernelINS0_14default_configENS1_29reduce_by_key_config_selectorIiiN6thrust23THRUST_200600_302600_NS4plusIiEEEEZZNS1_33reduce_by_key_impl_wrapped_configILNS1_25lookback_scan_determinismE0ES3_S9_NS6_6detail15normal_iteratorINS6_10device_ptrIiEEEESG_SG_SG_PmS8_NS6_8equal_toIiEEEE10hipError_tPvRmT2_T3_mT4_T5_T6_T7_T8_P12ihipStream_tbENKUlT_T0_E_clISt17integral_constantIbLb0EES11_EEDaSW_SX_EUlSW_E_NS1_11comp_targetILNS1_3genE9ELNS1_11target_archE1100ELNS1_3gpuE3ELNS1_3repE0EEENS1_30default_config_static_selectorELNS0_4arch9wavefront6targetE1EEEvT1_
	.p2align	8
	.type	_ZN7rocprim17ROCPRIM_400000_NS6detail17trampoline_kernelINS0_14default_configENS1_29reduce_by_key_config_selectorIiiN6thrust23THRUST_200600_302600_NS4plusIiEEEEZZNS1_33reduce_by_key_impl_wrapped_configILNS1_25lookback_scan_determinismE0ES3_S9_NS6_6detail15normal_iteratorINS6_10device_ptrIiEEEESG_SG_SG_PmS8_NS6_8equal_toIiEEEE10hipError_tPvRmT2_T3_mT4_T5_T6_T7_T8_P12ihipStream_tbENKUlT_T0_E_clISt17integral_constantIbLb0EES11_EEDaSW_SX_EUlSW_E_NS1_11comp_targetILNS1_3genE9ELNS1_11target_archE1100ELNS1_3gpuE3ELNS1_3repE0EEENS1_30default_config_static_selectorELNS0_4arch9wavefront6targetE1EEEvT1_,@function
_ZN7rocprim17ROCPRIM_400000_NS6detail17trampoline_kernelINS0_14default_configENS1_29reduce_by_key_config_selectorIiiN6thrust23THRUST_200600_302600_NS4plusIiEEEEZZNS1_33reduce_by_key_impl_wrapped_configILNS1_25lookback_scan_determinismE0ES3_S9_NS6_6detail15normal_iteratorINS6_10device_ptrIiEEEESG_SG_SG_PmS8_NS6_8equal_toIiEEEE10hipError_tPvRmT2_T3_mT4_T5_T6_T7_T8_P12ihipStream_tbENKUlT_T0_E_clISt17integral_constantIbLb0EES11_EEDaSW_SX_EUlSW_E_NS1_11comp_targetILNS1_3genE9ELNS1_11target_archE1100ELNS1_3gpuE3ELNS1_3repE0EEENS1_30default_config_static_selectorELNS0_4arch9wavefront6targetE1EEEvT1_: ; @_ZN7rocprim17ROCPRIM_400000_NS6detail17trampoline_kernelINS0_14default_configENS1_29reduce_by_key_config_selectorIiiN6thrust23THRUST_200600_302600_NS4plusIiEEEEZZNS1_33reduce_by_key_impl_wrapped_configILNS1_25lookback_scan_determinismE0ES3_S9_NS6_6detail15normal_iteratorINS6_10device_ptrIiEEEESG_SG_SG_PmS8_NS6_8equal_toIiEEEE10hipError_tPvRmT2_T3_mT4_T5_T6_T7_T8_P12ihipStream_tbENKUlT_T0_E_clISt17integral_constantIbLb0EES11_EEDaSW_SX_EUlSW_E_NS1_11comp_targetILNS1_3genE9ELNS1_11target_archE1100ELNS1_3gpuE3ELNS1_3repE0EEENS1_30default_config_static_selectorELNS0_4arch9wavefront6targetE1EEEvT1_
; %bb.0:
	.section	.rodata,"a",@progbits
	.p2align	6, 0x0
	.amdhsa_kernel _ZN7rocprim17ROCPRIM_400000_NS6detail17trampoline_kernelINS0_14default_configENS1_29reduce_by_key_config_selectorIiiN6thrust23THRUST_200600_302600_NS4plusIiEEEEZZNS1_33reduce_by_key_impl_wrapped_configILNS1_25lookback_scan_determinismE0ES3_S9_NS6_6detail15normal_iteratorINS6_10device_ptrIiEEEESG_SG_SG_PmS8_NS6_8equal_toIiEEEE10hipError_tPvRmT2_T3_mT4_T5_T6_T7_T8_P12ihipStream_tbENKUlT_T0_E_clISt17integral_constantIbLb0EES11_EEDaSW_SX_EUlSW_E_NS1_11comp_targetILNS1_3genE9ELNS1_11target_archE1100ELNS1_3gpuE3ELNS1_3repE0EEENS1_30default_config_static_selectorELNS0_4arch9wavefront6targetE1EEEvT1_
		.amdhsa_group_segment_fixed_size 0
		.amdhsa_private_segment_fixed_size 0
		.amdhsa_kernarg_size 120
		.amdhsa_user_sgpr_count 6
		.amdhsa_user_sgpr_private_segment_buffer 1
		.amdhsa_user_sgpr_dispatch_ptr 0
		.amdhsa_user_sgpr_queue_ptr 0
		.amdhsa_user_sgpr_kernarg_segment_ptr 1
		.amdhsa_user_sgpr_dispatch_id 0
		.amdhsa_user_sgpr_flat_scratch_init 0
		.amdhsa_user_sgpr_kernarg_preload_length 0
		.amdhsa_user_sgpr_kernarg_preload_offset 0
		.amdhsa_user_sgpr_private_segment_size 0
		.amdhsa_uses_dynamic_stack 0
		.amdhsa_system_sgpr_private_segment_wavefront_offset 0
		.amdhsa_system_sgpr_workgroup_id_x 1
		.amdhsa_system_sgpr_workgroup_id_y 0
		.amdhsa_system_sgpr_workgroup_id_z 0
		.amdhsa_system_sgpr_workgroup_info 0
		.amdhsa_system_vgpr_workitem_id 0
		.amdhsa_next_free_vgpr 1
		.amdhsa_next_free_sgpr 0
		.amdhsa_accum_offset 4
		.amdhsa_reserve_vcc 0
		.amdhsa_reserve_flat_scratch 0
		.amdhsa_float_round_mode_32 0
		.amdhsa_float_round_mode_16_64 0
		.amdhsa_float_denorm_mode_32 3
		.amdhsa_float_denorm_mode_16_64 3
		.amdhsa_dx10_clamp 1
		.amdhsa_ieee_mode 1
		.amdhsa_fp16_overflow 0
		.amdhsa_tg_split 0
		.amdhsa_exception_fp_ieee_invalid_op 0
		.amdhsa_exception_fp_denorm_src 0
		.amdhsa_exception_fp_ieee_div_zero 0
		.amdhsa_exception_fp_ieee_overflow 0
		.amdhsa_exception_fp_ieee_underflow 0
		.amdhsa_exception_fp_ieee_inexact 0
		.amdhsa_exception_int_div_zero 0
	.end_amdhsa_kernel
	.section	.text._ZN7rocprim17ROCPRIM_400000_NS6detail17trampoline_kernelINS0_14default_configENS1_29reduce_by_key_config_selectorIiiN6thrust23THRUST_200600_302600_NS4plusIiEEEEZZNS1_33reduce_by_key_impl_wrapped_configILNS1_25lookback_scan_determinismE0ES3_S9_NS6_6detail15normal_iteratorINS6_10device_ptrIiEEEESG_SG_SG_PmS8_NS6_8equal_toIiEEEE10hipError_tPvRmT2_T3_mT4_T5_T6_T7_T8_P12ihipStream_tbENKUlT_T0_E_clISt17integral_constantIbLb0EES11_EEDaSW_SX_EUlSW_E_NS1_11comp_targetILNS1_3genE9ELNS1_11target_archE1100ELNS1_3gpuE3ELNS1_3repE0EEENS1_30default_config_static_selectorELNS0_4arch9wavefront6targetE1EEEvT1_,"axG",@progbits,_ZN7rocprim17ROCPRIM_400000_NS6detail17trampoline_kernelINS0_14default_configENS1_29reduce_by_key_config_selectorIiiN6thrust23THRUST_200600_302600_NS4plusIiEEEEZZNS1_33reduce_by_key_impl_wrapped_configILNS1_25lookback_scan_determinismE0ES3_S9_NS6_6detail15normal_iteratorINS6_10device_ptrIiEEEESG_SG_SG_PmS8_NS6_8equal_toIiEEEE10hipError_tPvRmT2_T3_mT4_T5_T6_T7_T8_P12ihipStream_tbENKUlT_T0_E_clISt17integral_constantIbLb0EES11_EEDaSW_SX_EUlSW_E_NS1_11comp_targetILNS1_3genE9ELNS1_11target_archE1100ELNS1_3gpuE3ELNS1_3repE0EEENS1_30default_config_static_selectorELNS0_4arch9wavefront6targetE1EEEvT1_,comdat
.Lfunc_end552:
	.size	_ZN7rocprim17ROCPRIM_400000_NS6detail17trampoline_kernelINS0_14default_configENS1_29reduce_by_key_config_selectorIiiN6thrust23THRUST_200600_302600_NS4plusIiEEEEZZNS1_33reduce_by_key_impl_wrapped_configILNS1_25lookback_scan_determinismE0ES3_S9_NS6_6detail15normal_iteratorINS6_10device_ptrIiEEEESG_SG_SG_PmS8_NS6_8equal_toIiEEEE10hipError_tPvRmT2_T3_mT4_T5_T6_T7_T8_P12ihipStream_tbENKUlT_T0_E_clISt17integral_constantIbLb0EES11_EEDaSW_SX_EUlSW_E_NS1_11comp_targetILNS1_3genE9ELNS1_11target_archE1100ELNS1_3gpuE3ELNS1_3repE0EEENS1_30default_config_static_selectorELNS0_4arch9wavefront6targetE1EEEvT1_, .Lfunc_end552-_ZN7rocprim17ROCPRIM_400000_NS6detail17trampoline_kernelINS0_14default_configENS1_29reduce_by_key_config_selectorIiiN6thrust23THRUST_200600_302600_NS4plusIiEEEEZZNS1_33reduce_by_key_impl_wrapped_configILNS1_25lookback_scan_determinismE0ES3_S9_NS6_6detail15normal_iteratorINS6_10device_ptrIiEEEESG_SG_SG_PmS8_NS6_8equal_toIiEEEE10hipError_tPvRmT2_T3_mT4_T5_T6_T7_T8_P12ihipStream_tbENKUlT_T0_E_clISt17integral_constantIbLb0EES11_EEDaSW_SX_EUlSW_E_NS1_11comp_targetILNS1_3genE9ELNS1_11target_archE1100ELNS1_3gpuE3ELNS1_3repE0EEENS1_30default_config_static_selectorELNS0_4arch9wavefront6targetE1EEEvT1_
                                        ; -- End function
	.section	.AMDGPU.csdata,"",@progbits
; Kernel info:
; codeLenInByte = 0
; NumSgprs: 4
; NumVgprs: 0
; NumAgprs: 0
; TotalNumVgprs: 0
; ScratchSize: 0
; MemoryBound: 0
; FloatMode: 240
; IeeeMode: 1
; LDSByteSize: 0 bytes/workgroup (compile time only)
; SGPRBlocks: 0
; VGPRBlocks: 0
; NumSGPRsForWavesPerEU: 4
; NumVGPRsForWavesPerEU: 1
; AccumOffset: 4
; Occupancy: 8
; WaveLimiterHint : 0
; COMPUTE_PGM_RSRC2:SCRATCH_EN: 0
; COMPUTE_PGM_RSRC2:USER_SGPR: 6
; COMPUTE_PGM_RSRC2:TRAP_HANDLER: 0
; COMPUTE_PGM_RSRC2:TGID_X_EN: 1
; COMPUTE_PGM_RSRC2:TGID_Y_EN: 0
; COMPUTE_PGM_RSRC2:TGID_Z_EN: 0
; COMPUTE_PGM_RSRC2:TIDIG_COMP_CNT: 0
; COMPUTE_PGM_RSRC3_GFX90A:ACCUM_OFFSET: 0
; COMPUTE_PGM_RSRC3_GFX90A:TG_SPLIT: 0
	.section	.text._ZN7rocprim17ROCPRIM_400000_NS6detail17trampoline_kernelINS0_14default_configENS1_29reduce_by_key_config_selectorIiiN6thrust23THRUST_200600_302600_NS4plusIiEEEEZZNS1_33reduce_by_key_impl_wrapped_configILNS1_25lookback_scan_determinismE0ES3_S9_NS6_6detail15normal_iteratorINS6_10device_ptrIiEEEESG_SG_SG_PmS8_NS6_8equal_toIiEEEE10hipError_tPvRmT2_T3_mT4_T5_T6_T7_T8_P12ihipStream_tbENKUlT_T0_E_clISt17integral_constantIbLb0EES11_EEDaSW_SX_EUlSW_E_NS1_11comp_targetILNS1_3genE8ELNS1_11target_archE1030ELNS1_3gpuE2ELNS1_3repE0EEENS1_30default_config_static_selectorELNS0_4arch9wavefront6targetE1EEEvT1_,"axG",@progbits,_ZN7rocprim17ROCPRIM_400000_NS6detail17trampoline_kernelINS0_14default_configENS1_29reduce_by_key_config_selectorIiiN6thrust23THRUST_200600_302600_NS4plusIiEEEEZZNS1_33reduce_by_key_impl_wrapped_configILNS1_25lookback_scan_determinismE0ES3_S9_NS6_6detail15normal_iteratorINS6_10device_ptrIiEEEESG_SG_SG_PmS8_NS6_8equal_toIiEEEE10hipError_tPvRmT2_T3_mT4_T5_T6_T7_T8_P12ihipStream_tbENKUlT_T0_E_clISt17integral_constantIbLb0EES11_EEDaSW_SX_EUlSW_E_NS1_11comp_targetILNS1_3genE8ELNS1_11target_archE1030ELNS1_3gpuE2ELNS1_3repE0EEENS1_30default_config_static_selectorELNS0_4arch9wavefront6targetE1EEEvT1_,comdat
	.protected	_ZN7rocprim17ROCPRIM_400000_NS6detail17trampoline_kernelINS0_14default_configENS1_29reduce_by_key_config_selectorIiiN6thrust23THRUST_200600_302600_NS4plusIiEEEEZZNS1_33reduce_by_key_impl_wrapped_configILNS1_25lookback_scan_determinismE0ES3_S9_NS6_6detail15normal_iteratorINS6_10device_ptrIiEEEESG_SG_SG_PmS8_NS6_8equal_toIiEEEE10hipError_tPvRmT2_T3_mT4_T5_T6_T7_T8_P12ihipStream_tbENKUlT_T0_E_clISt17integral_constantIbLb0EES11_EEDaSW_SX_EUlSW_E_NS1_11comp_targetILNS1_3genE8ELNS1_11target_archE1030ELNS1_3gpuE2ELNS1_3repE0EEENS1_30default_config_static_selectorELNS0_4arch9wavefront6targetE1EEEvT1_ ; -- Begin function _ZN7rocprim17ROCPRIM_400000_NS6detail17trampoline_kernelINS0_14default_configENS1_29reduce_by_key_config_selectorIiiN6thrust23THRUST_200600_302600_NS4plusIiEEEEZZNS1_33reduce_by_key_impl_wrapped_configILNS1_25lookback_scan_determinismE0ES3_S9_NS6_6detail15normal_iteratorINS6_10device_ptrIiEEEESG_SG_SG_PmS8_NS6_8equal_toIiEEEE10hipError_tPvRmT2_T3_mT4_T5_T6_T7_T8_P12ihipStream_tbENKUlT_T0_E_clISt17integral_constantIbLb0EES11_EEDaSW_SX_EUlSW_E_NS1_11comp_targetILNS1_3genE8ELNS1_11target_archE1030ELNS1_3gpuE2ELNS1_3repE0EEENS1_30default_config_static_selectorELNS0_4arch9wavefront6targetE1EEEvT1_
	.globl	_ZN7rocprim17ROCPRIM_400000_NS6detail17trampoline_kernelINS0_14default_configENS1_29reduce_by_key_config_selectorIiiN6thrust23THRUST_200600_302600_NS4plusIiEEEEZZNS1_33reduce_by_key_impl_wrapped_configILNS1_25lookback_scan_determinismE0ES3_S9_NS6_6detail15normal_iteratorINS6_10device_ptrIiEEEESG_SG_SG_PmS8_NS6_8equal_toIiEEEE10hipError_tPvRmT2_T3_mT4_T5_T6_T7_T8_P12ihipStream_tbENKUlT_T0_E_clISt17integral_constantIbLb0EES11_EEDaSW_SX_EUlSW_E_NS1_11comp_targetILNS1_3genE8ELNS1_11target_archE1030ELNS1_3gpuE2ELNS1_3repE0EEENS1_30default_config_static_selectorELNS0_4arch9wavefront6targetE1EEEvT1_
	.p2align	8
	.type	_ZN7rocprim17ROCPRIM_400000_NS6detail17trampoline_kernelINS0_14default_configENS1_29reduce_by_key_config_selectorIiiN6thrust23THRUST_200600_302600_NS4plusIiEEEEZZNS1_33reduce_by_key_impl_wrapped_configILNS1_25lookback_scan_determinismE0ES3_S9_NS6_6detail15normal_iteratorINS6_10device_ptrIiEEEESG_SG_SG_PmS8_NS6_8equal_toIiEEEE10hipError_tPvRmT2_T3_mT4_T5_T6_T7_T8_P12ihipStream_tbENKUlT_T0_E_clISt17integral_constantIbLb0EES11_EEDaSW_SX_EUlSW_E_NS1_11comp_targetILNS1_3genE8ELNS1_11target_archE1030ELNS1_3gpuE2ELNS1_3repE0EEENS1_30default_config_static_selectorELNS0_4arch9wavefront6targetE1EEEvT1_,@function
_ZN7rocprim17ROCPRIM_400000_NS6detail17trampoline_kernelINS0_14default_configENS1_29reduce_by_key_config_selectorIiiN6thrust23THRUST_200600_302600_NS4plusIiEEEEZZNS1_33reduce_by_key_impl_wrapped_configILNS1_25lookback_scan_determinismE0ES3_S9_NS6_6detail15normal_iteratorINS6_10device_ptrIiEEEESG_SG_SG_PmS8_NS6_8equal_toIiEEEE10hipError_tPvRmT2_T3_mT4_T5_T6_T7_T8_P12ihipStream_tbENKUlT_T0_E_clISt17integral_constantIbLb0EES11_EEDaSW_SX_EUlSW_E_NS1_11comp_targetILNS1_3genE8ELNS1_11target_archE1030ELNS1_3gpuE2ELNS1_3repE0EEENS1_30default_config_static_selectorELNS0_4arch9wavefront6targetE1EEEvT1_: ; @_ZN7rocprim17ROCPRIM_400000_NS6detail17trampoline_kernelINS0_14default_configENS1_29reduce_by_key_config_selectorIiiN6thrust23THRUST_200600_302600_NS4plusIiEEEEZZNS1_33reduce_by_key_impl_wrapped_configILNS1_25lookback_scan_determinismE0ES3_S9_NS6_6detail15normal_iteratorINS6_10device_ptrIiEEEESG_SG_SG_PmS8_NS6_8equal_toIiEEEE10hipError_tPvRmT2_T3_mT4_T5_T6_T7_T8_P12ihipStream_tbENKUlT_T0_E_clISt17integral_constantIbLb0EES11_EEDaSW_SX_EUlSW_E_NS1_11comp_targetILNS1_3genE8ELNS1_11target_archE1030ELNS1_3gpuE2ELNS1_3repE0EEENS1_30default_config_static_selectorELNS0_4arch9wavefront6targetE1EEEvT1_
; %bb.0:
	.section	.rodata,"a",@progbits
	.p2align	6, 0x0
	.amdhsa_kernel _ZN7rocprim17ROCPRIM_400000_NS6detail17trampoline_kernelINS0_14default_configENS1_29reduce_by_key_config_selectorIiiN6thrust23THRUST_200600_302600_NS4plusIiEEEEZZNS1_33reduce_by_key_impl_wrapped_configILNS1_25lookback_scan_determinismE0ES3_S9_NS6_6detail15normal_iteratorINS6_10device_ptrIiEEEESG_SG_SG_PmS8_NS6_8equal_toIiEEEE10hipError_tPvRmT2_T3_mT4_T5_T6_T7_T8_P12ihipStream_tbENKUlT_T0_E_clISt17integral_constantIbLb0EES11_EEDaSW_SX_EUlSW_E_NS1_11comp_targetILNS1_3genE8ELNS1_11target_archE1030ELNS1_3gpuE2ELNS1_3repE0EEENS1_30default_config_static_selectorELNS0_4arch9wavefront6targetE1EEEvT1_
		.amdhsa_group_segment_fixed_size 0
		.amdhsa_private_segment_fixed_size 0
		.amdhsa_kernarg_size 120
		.amdhsa_user_sgpr_count 6
		.amdhsa_user_sgpr_private_segment_buffer 1
		.amdhsa_user_sgpr_dispatch_ptr 0
		.amdhsa_user_sgpr_queue_ptr 0
		.amdhsa_user_sgpr_kernarg_segment_ptr 1
		.amdhsa_user_sgpr_dispatch_id 0
		.amdhsa_user_sgpr_flat_scratch_init 0
		.amdhsa_user_sgpr_kernarg_preload_length 0
		.amdhsa_user_sgpr_kernarg_preload_offset 0
		.amdhsa_user_sgpr_private_segment_size 0
		.amdhsa_uses_dynamic_stack 0
		.amdhsa_system_sgpr_private_segment_wavefront_offset 0
		.amdhsa_system_sgpr_workgroup_id_x 1
		.amdhsa_system_sgpr_workgroup_id_y 0
		.amdhsa_system_sgpr_workgroup_id_z 0
		.amdhsa_system_sgpr_workgroup_info 0
		.amdhsa_system_vgpr_workitem_id 0
		.amdhsa_next_free_vgpr 1
		.amdhsa_next_free_sgpr 0
		.amdhsa_accum_offset 4
		.amdhsa_reserve_vcc 0
		.amdhsa_reserve_flat_scratch 0
		.amdhsa_float_round_mode_32 0
		.amdhsa_float_round_mode_16_64 0
		.amdhsa_float_denorm_mode_32 3
		.amdhsa_float_denorm_mode_16_64 3
		.amdhsa_dx10_clamp 1
		.amdhsa_ieee_mode 1
		.amdhsa_fp16_overflow 0
		.amdhsa_tg_split 0
		.amdhsa_exception_fp_ieee_invalid_op 0
		.amdhsa_exception_fp_denorm_src 0
		.amdhsa_exception_fp_ieee_div_zero 0
		.amdhsa_exception_fp_ieee_overflow 0
		.amdhsa_exception_fp_ieee_underflow 0
		.amdhsa_exception_fp_ieee_inexact 0
		.amdhsa_exception_int_div_zero 0
	.end_amdhsa_kernel
	.section	.text._ZN7rocprim17ROCPRIM_400000_NS6detail17trampoline_kernelINS0_14default_configENS1_29reduce_by_key_config_selectorIiiN6thrust23THRUST_200600_302600_NS4plusIiEEEEZZNS1_33reduce_by_key_impl_wrapped_configILNS1_25lookback_scan_determinismE0ES3_S9_NS6_6detail15normal_iteratorINS6_10device_ptrIiEEEESG_SG_SG_PmS8_NS6_8equal_toIiEEEE10hipError_tPvRmT2_T3_mT4_T5_T6_T7_T8_P12ihipStream_tbENKUlT_T0_E_clISt17integral_constantIbLb0EES11_EEDaSW_SX_EUlSW_E_NS1_11comp_targetILNS1_3genE8ELNS1_11target_archE1030ELNS1_3gpuE2ELNS1_3repE0EEENS1_30default_config_static_selectorELNS0_4arch9wavefront6targetE1EEEvT1_,"axG",@progbits,_ZN7rocprim17ROCPRIM_400000_NS6detail17trampoline_kernelINS0_14default_configENS1_29reduce_by_key_config_selectorIiiN6thrust23THRUST_200600_302600_NS4plusIiEEEEZZNS1_33reduce_by_key_impl_wrapped_configILNS1_25lookback_scan_determinismE0ES3_S9_NS6_6detail15normal_iteratorINS6_10device_ptrIiEEEESG_SG_SG_PmS8_NS6_8equal_toIiEEEE10hipError_tPvRmT2_T3_mT4_T5_T6_T7_T8_P12ihipStream_tbENKUlT_T0_E_clISt17integral_constantIbLb0EES11_EEDaSW_SX_EUlSW_E_NS1_11comp_targetILNS1_3genE8ELNS1_11target_archE1030ELNS1_3gpuE2ELNS1_3repE0EEENS1_30default_config_static_selectorELNS0_4arch9wavefront6targetE1EEEvT1_,comdat
.Lfunc_end553:
	.size	_ZN7rocprim17ROCPRIM_400000_NS6detail17trampoline_kernelINS0_14default_configENS1_29reduce_by_key_config_selectorIiiN6thrust23THRUST_200600_302600_NS4plusIiEEEEZZNS1_33reduce_by_key_impl_wrapped_configILNS1_25lookback_scan_determinismE0ES3_S9_NS6_6detail15normal_iteratorINS6_10device_ptrIiEEEESG_SG_SG_PmS8_NS6_8equal_toIiEEEE10hipError_tPvRmT2_T3_mT4_T5_T6_T7_T8_P12ihipStream_tbENKUlT_T0_E_clISt17integral_constantIbLb0EES11_EEDaSW_SX_EUlSW_E_NS1_11comp_targetILNS1_3genE8ELNS1_11target_archE1030ELNS1_3gpuE2ELNS1_3repE0EEENS1_30default_config_static_selectorELNS0_4arch9wavefront6targetE1EEEvT1_, .Lfunc_end553-_ZN7rocprim17ROCPRIM_400000_NS6detail17trampoline_kernelINS0_14default_configENS1_29reduce_by_key_config_selectorIiiN6thrust23THRUST_200600_302600_NS4plusIiEEEEZZNS1_33reduce_by_key_impl_wrapped_configILNS1_25lookback_scan_determinismE0ES3_S9_NS6_6detail15normal_iteratorINS6_10device_ptrIiEEEESG_SG_SG_PmS8_NS6_8equal_toIiEEEE10hipError_tPvRmT2_T3_mT4_T5_T6_T7_T8_P12ihipStream_tbENKUlT_T0_E_clISt17integral_constantIbLb0EES11_EEDaSW_SX_EUlSW_E_NS1_11comp_targetILNS1_3genE8ELNS1_11target_archE1030ELNS1_3gpuE2ELNS1_3repE0EEENS1_30default_config_static_selectorELNS0_4arch9wavefront6targetE1EEEvT1_
                                        ; -- End function
	.section	.AMDGPU.csdata,"",@progbits
; Kernel info:
; codeLenInByte = 0
; NumSgprs: 4
; NumVgprs: 0
; NumAgprs: 0
; TotalNumVgprs: 0
; ScratchSize: 0
; MemoryBound: 0
; FloatMode: 240
; IeeeMode: 1
; LDSByteSize: 0 bytes/workgroup (compile time only)
; SGPRBlocks: 0
; VGPRBlocks: 0
; NumSGPRsForWavesPerEU: 4
; NumVGPRsForWavesPerEU: 1
; AccumOffset: 4
; Occupancy: 8
; WaveLimiterHint : 0
; COMPUTE_PGM_RSRC2:SCRATCH_EN: 0
; COMPUTE_PGM_RSRC2:USER_SGPR: 6
; COMPUTE_PGM_RSRC2:TRAP_HANDLER: 0
; COMPUTE_PGM_RSRC2:TGID_X_EN: 1
; COMPUTE_PGM_RSRC2:TGID_Y_EN: 0
; COMPUTE_PGM_RSRC2:TGID_Z_EN: 0
; COMPUTE_PGM_RSRC2:TIDIG_COMP_CNT: 0
; COMPUTE_PGM_RSRC3_GFX90A:ACCUM_OFFSET: 0
; COMPUTE_PGM_RSRC3_GFX90A:TG_SPLIT: 0
	.section	.text._ZN7rocprim17ROCPRIM_400000_NS6detail25reduce_by_key_init_kernelINS1_19lookback_scan_stateINS0_5tupleIJjiEEELb1ELb1EEEiNS1_16block_id_wrapperIjLb1EEEEEvT_jbjPmPT0_T1_,"axG",@progbits,_ZN7rocprim17ROCPRIM_400000_NS6detail25reduce_by_key_init_kernelINS1_19lookback_scan_stateINS0_5tupleIJjiEEELb1ELb1EEEiNS1_16block_id_wrapperIjLb1EEEEEvT_jbjPmPT0_T1_,comdat
	.protected	_ZN7rocprim17ROCPRIM_400000_NS6detail25reduce_by_key_init_kernelINS1_19lookback_scan_stateINS0_5tupleIJjiEEELb1ELb1EEEiNS1_16block_id_wrapperIjLb1EEEEEvT_jbjPmPT0_T1_ ; -- Begin function _ZN7rocprim17ROCPRIM_400000_NS6detail25reduce_by_key_init_kernelINS1_19lookback_scan_stateINS0_5tupleIJjiEEELb1ELb1EEEiNS1_16block_id_wrapperIjLb1EEEEEvT_jbjPmPT0_T1_
	.globl	_ZN7rocprim17ROCPRIM_400000_NS6detail25reduce_by_key_init_kernelINS1_19lookback_scan_stateINS0_5tupleIJjiEEELb1ELb1EEEiNS1_16block_id_wrapperIjLb1EEEEEvT_jbjPmPT0_T1_
	.p2align	8
	.type	_ZN7rocprim17ROCPRIM_400000_NS6detail25reduce_by_key_init_kernelINS1_19lookback_scan_stateINS0_5tupleIJjiEEELb1ELb1EEEiNS1_16block_id_wrapperIjLb1EEEEEvT_jbjPmPT0_T1_,@function
_ZN7rocprim17ROCPRIM_400000_NS6detail25reduce_by_key_init_kernelINS1_19lookback_scan_stateINS0_5tupleIJjiEEELb1ELb1EEEiNS1_16block_id_wrapperIjLb1EEEEEvT_jbjPmPT0_T1_: ; @_ZN7rocprim17ROCPRIM_400000_NS6detail25reduce_by_key_init_kernelINS1_19lookback_scan_stateINS0_5tupleIJjiEEELb1ELb1EEEiNS1_16block_id_wrapperIjLb1EEEEEvT_jbjPmPT0_T1_
; %bb.0:
	s_load_dwordx8 s[8:15], s[4:5], 0x8
	s_load_dword s0, s[4:5], 0x3c
	s_load_dwordx2 s[16:17], s[4:5], 0x28
	s_load_dwordx2 s[2:3], s[4:5], 0x0
	s_waitcnt lgkmcnt(0)
	s_and_b32 s1, s9, 1
	s_and_b32 s0, s0, 0xffff
	s_mul_i32 s6, s6, s0
	s_cmp_eq_u32 s1, 0
	v_add_u32_e32 v0, s6, v0
	s_mov_b64 s[0:1], -1
	s_cbranch_scc1 .LBB554_6
; %bb.1:
	s_andn2_b64 vcc, exec, s[0:1]
	v_cmp_eq_u32_e64 s[0:1], 0, v0
	s_cbranch_vccz .LBB554_15
.LBB554_2:
	v_cmp_eq_u32_e32 vcc, 0, v0
	s_and_saveexec_b64 s[0:1], vcc
	s_cbranch_execnz .LBB554_18
.LBB554_3:
	s_or_b64 exec, exec, s[0:1]
	v_cmp_gt_u32_e32 vcc, s8, v0
	s_and_saveexec_b64 s[0:1], vcc
	s_cbranch_execnz .LBB554_19
.LBB554_4:
	s_or_b64 exec, exec, s[0:1]
	v_cmp_gt_u32_e32 vcc, 64, v0
	s_and_saveexec_b64 s[0:1], vcc
	s_cbranch_execnz .LBB554_20
.LBB554_5:
	s_endpgm
.LBB554_6:
	s_cmp_lt_u32 s10, s8
	s_cselect_b32 s0, s10, 0
	v_cmp_eq_u32_e32 vcc, s0, v0
	s_and_saveexec_b64 s[0:1], vcc
	s_cbranch_execz .LBB554_14
; %bb.7:
	s_add_i32 s4, s10, 64
	s_mov_b32 s5, 0
	s_lshl_b64 s[4:5], s[4:5], 4
	s_add_u32 s10, s2, s4
	s_addc_u32 s11, s3, s5
	v_pk_mov_b32 v[2:3], s[10:11], s[10:11] op_sel:[0,1]
	;;#ASMSTART
	global_load_dwordx4 v[2:5], v[2:3] off glc	
s_waitcnt vmcnt(0)
	;;#ASMEND
	v_mov_b32_e32 v7, 0
	v_and_b32_e32 v6, 0xff, v4
	s_mov_b64 s[6:7], 0
	v_cmp_eq_u64_e32 vcc, 0, v[6:7]
	s_and_saveexec_b64 s[4:5], vcc
	s_cbranch_execz .LBB554_13
; %bb.8:
	s_mov_b32 s9, 1
	v_pk_mov_b32 v[8:9], s[10:11], s[10:11] op_sel:[0,1]
.LBB554_9:                              ; =>This Loop Header: Depth=1
                                        ;     Child Loop BB554_10 Depth 2
	s_max_u32 s10, s9, 1
.LBB554_10:                             ;   Parent Loop BB554_9 Depth=1
                                        ; =>  This Inner Loop Header: Depth=2
	s_add_i32 s10, s10, -1
	s_cmp_eq_u32 s10, 0
	s_sleep 1
	s_cbranch_scc0 .LBB554_10
; %bb.11:                               ;   in Loop: Header=BB554_9 Depth=1
	s_cmp_lt_u32 s9, 32
	s_cselect_b64 s[10:11], -1, 0
	s_cmp_lg_u64 s[10:11], 0
	;;#ASMSTART
	global_load_dwordx4 v[2:5], v[8:9] off glc	
s_waitcnt vmcnt(0)
	;;#ASMEND
	v_and_b32_e32 v6, 0xff, v4
	s_addc_u32 s9, s9, 0
	v_cmp_ne_u64_e32 vcc, 0, v[6:7]
	s_or_b64 s[6:7], vcc, s[6:7]
	s_andn2_b64 exec, exec, s[6:7]
	s_cbranch_execnz .LBB554_9
; %bb.12:
	s_or_b64 exec, exec, s[6:7]
.LBB554_13:
	s_or_b64 exec, exec, s[4:5]
	v_mov_b32_e32 v1, 0
	global_load_dwordx2 v[4:5], v1, s[12:13]
	s_waitcnt vmcnt(0)
	v_add_co_u32_e32 v4, vcc, v4, v2
	v_addc_co_u32_e32 v5, vcc, 0, v5, vcc
	global_store_dwordx2 v1, v[4:5], s[12:13]
	global_store_dword v1, v3, s[14:15]
.LBB554_14:
	s_or_b64 exec, exec, s[0:1]
	v_cmp_eq_u32_e64 s[0:1], 0, v0
	s_cbranch_execnz .LBB554_2
.LBB554_15:
	s_cmp_lg_u64 s[12:13], 0
	s_cselect_b64 s[4:5], -1, 0
	s_and_b64 s[4:5], s[4:5], s[0:1]
	s_and_saveexec_b64 s[0:1], s[4:5]
	s_cbranch_execz .LBB554_17
; %bb.16:
	v_mov_b32_e32 v2, 0
	v_mov_b32_e32 v3, v2
	global_store_dwordx2 v2, v[2:3], s[12:13]
.LBB554_17:
	s_or_b64 exec, exec, s[0:1]
	v_cmp_eq_u32_e32 vcc, 0, v0
	s_and_saveexec_b64 s[0:1], vcc
	s_cbranch_execz .LBB554_3
.LBB554_18:
	v_mov_b32_e32 v1, 0
	global_store_dword v1, v1, s[16:17]
	s_or_b64 exec, exec, s[0:1]
	v_cmp_gt_u32_e32 vcc, s8, v0
	s_and_saveexec_b64 s[0:1], vcc
	s_cbranch_execz .LBB554_4
.LBB554_19:
	v_add_u32_e32 v2, 64, v0
	v_mov_b32_e32 v3, 0
	v_lshlrev_b64 v[4:5], 4, v[2:3]
	v_mov_b32_e32 v1, s3
	v_add_co_u32_e32 v6, vcc, s2, v4
	v_addc_co_u32_e32 v7, vcc, v1, v5, vcc
	v_mov_b32_e32 v2, v3
	v_mov_b32_e32 v4, v3
	;; [unrolled: 1-line block ×3, first 2 shown]
	global_store_dwordx4 v[6:7], v[2:5], off
	s_or_b64 exec, exec, s[0:1]
	v_cmp_gt_u32_e32 vcc, 64, v0
	s_and_saveexec_b64 s[0:1], vcc
	s_cbranch_execz .LBB554_5
.LBB554_20:
	v_mov_b32_e32 v1, 0
	v_lshlrev_b64 v[2:3], 4, v[0:1]
	v_mov_b32_e32 v0, s3
	v_add_co_u32_e32 v4, vcc, s2, v2
	v_addc_co_u32_e32 v5, vcc, v0, v3, vcc
	v_mov_b32_e32 v2, 0xff
	v_mov_b32_e32 v0, v1
	;; [unrolled: 1-line block ×3, first 2 shown]
	global_store_dwordx4 v[4:5], v[0:3], off
	s_endpgm
	.section	.rodata,"a",@progbits
	.p2align	6, 0x0
	.amdhsa_kernel _ZN7rocprim17ROCPRIM_400000_NS6detail25reduce_by_key_init_kernelINS1_19lookback_scan_stateINS0_5tupleIJjiEEELb1ELb1EEEiNS1_16block_id_wrapperIjLb1EEEEEvT_jbjPmPT0_T1_
		.amdhsa_group_segment_fixed_size 0
		.amdhsa_private_segment_fixed_size 0
		.amdhsa_kernarg_size 304
		.amdhsa_user_sgpr_count 6
		.amdhsa_user_sgpr_private_segment_buffer 1
		.amdhsa_user_sgpr_dispatch_ptr 0
		.amdhsa_user_sgpr_queue_ptr 0
		.amdhsa_user_sgpr_kernarg_segment_ptr 1
		.amdhsa_user_sgpr_dispatch_id 0
		.amdhsa_user_sgpr_flat_scratch_init 0
		.amdhsa_user_sgpr_kernarg_preload_length 0
		.amdhsa_user_sgpr_kernarg_preload_offset 0
		.amdhsa_user_sgpr_private_segment_size 0
		.amdhsa_uses_dynamic_stack 0
		.amdhsa_system_sgpr_private_segment_wavefront_offset 0
		.amdhsa_system_sgpr_workgroup_id_x 1
		.amdhsa_system_sgpr_workgroup_id_y 0
		.amdhsa_system_sgpr_workgroup_id_z 0
		.amdhsa_system_sgpr_workgroup_info 0
		.amdhsa_system_vgpr_workitem_id 0
		.amdhsa_next_free_vgpr 10
		.amdhsa_next_free_sgpr 18
		.amdhsa_accum_offset 12
		.amdhsa_reserve_vcc 1
		.amdhsa_reserve_flat_scratch 0
		.amdhsa_float_round_mode_32 0
		.amdhsa_float_round_mode_16_64 0
		.amdhsa_float_denorm_mode_32 3
		.amdhsa_float_denorm_mode_16_64 3
		.amdhsa_dx10_clamp 1
		.amdhsa_ieee_mode 1
		.amdhsa_fp16_overflow 0
		.amdhsa_tg_split 0
		.amdhsa_exception_fp_ieee_invalid_op 0
		.amdhsa_exception_fp_denorm_src 0
		.amdhsa_exception_fp_ieee_div_zero 0
		.amdhsa_exception_fp_ieee_overflow 0
		.amdhsa_exception_fp_ieee_underflow 0
		.amdhsa_exception_fp_ieee_inexact 0
		.amdhsa_exception_int_div_zero 0
	.end_amdhsa_kernel
	.section	.text._ZN7rocprim17ROCPRIM_400000_NS6detail25reduce_by_key_init_kernelINS1_19lookback_scan_stateINS0_5tupleIJjiEEELb1ELb1EEEiNS1_16block_id_wrapperIjLb1EEEEEvT_jbjPmPT0_T1_,"axG",@progbits,_ZN7rocprim17ROCPRIM_400000_NS6detail25reduce_by_key_init_kernelINS1_19lookback_scan_stateINS0_5tupleIJjiEEELb1ELb1EEEiNS1_16block_id_wrapperIjLb1EEEEEvT_jbjPmPT0_T1_,comdat
.Lfunc_end554:
	.size	_ZN7rocprim17ROCPRIM_400000_NS6detail25reduce_by_key_init_kernelINS1_19lookback_scan_stateINS0_5tupleIJjiEEELb1ELb1EEEiNS1_16block_id_wrapperIjLb1EEEEEvT_jbjPmPT0_T1_, .Lfunc_end554-_ZN7rocprim17ROCPRIM_400000_NS6detail25reduce_by_key_init_kernelINS1_19lookback_scan_stateINS0_5tupleIJjiEEELb1ELb1EEEiNS1_16block_id_wrapperIjLb1EEEEEvT_jbjPmPT0_T1_
                                        ; -- End function
	.section	.AMDGPU.csdata,"",@progbits
; Kernel info:
; codeLenInByte = 572
; NumSgprs: 22
; NumVgprs: 10
; NumAgprs: 0
; TotalNumVgprs: 10
; ScratchSize: 0
; MemoryBound: 0
; FloatMode: 240
; IeeeMode: 1
; LDSByteSize: 0 bytes/workgroup (compile time only)
; SGPRBlocks: 2
; VGPRBlocks: 1
; NumSGPRsForWavesPerEU: 22
; NumVGPRsForWavesPerEU: 10
; AccumOffset: 12
; Occupancy: 8
; WaveLimiterHint : 0
; COMPUTE_PGM_RSRC2:SCRATCH_EN: 0
; COMPUTE_PGM_RSRC2:USER_SGPR: 6
; COMPUTE_PGM_RSRC2:TRAP_HANDLER: 0
; COMPUTE_PGM_RSRC2:TGID_X_EN: 1
; COMPUTE_PGM_RSRC2:TGID_Y_EN: 0
; COMPUTE_PGM_RSRC2:TGID_Z_EN: 0
; COMPUTE_PGM_RSRC2:TIDIG_COMP_CNT: 0
; COMPUTE_PGM_RSRC3_GFX90A:ACCUM_OFFSET: 2
; COMPUTE_PGM_RSRC3_GFX90A:TG_SPLIT: 0
	.section	.text._ZN7rocprim17ROCPRIM_400000_NS6detail17trampoline_kernelINS0_14default_configENS1_29reduce_by_key_config_selectorIiiN6thrust23THRUST_200600_302600_NS4plusIiEEEEZZNS1_33reduce_by_key_impl_wrapped_configILNS1_25lookback_scan_determinismE0ES3_S9_NS6_6detail15normal_iteratorINS6_10device_ptrIiEEEESG_SG_SG_PmS8_NS6_8equal_toIiEEEE10hipError_tPvRmT2_T3_mT4_T5_T6_T7_T8_P12ihipStream_tbENKUlT_T0_E_clISt17integral_constantIbLb1EES11_EEDaSW_SX_EUlSW_E_NS1_11comp_targetILNS1_3genE0ELNS1_11target_archE4294967295ELNS1_3gpuE0ELNS1_3repE0EEENS1_30default_config_static_selectorELNS0_4arch9wavefront6targetE1EEEvT1_,"axG",@progbits,_ZN7rocprim17ROCPRIM_400000_NS6detail17trampoline_kernelINS0_14default_configENS1_29reduce_by_key_config_selectorIiiN6thrust23THRUST_200600_302600_NS4plusIiEEEEZZNS1_33reduce_by_key_impl_wrapped_configILNS1_25lookback_scan_determinismE0ES3_S9_NS6_6detail15normal_iteratorINS6_10device_ptrIiEEEESG_SG_SG_PmS8_NS6_8equal_toIiEEEE10hipError_tPvRmT2_T3_mT4_T5_T6_T7_T8_P12ihipStream_tbENKUlT_T0_E_clISt17integral_constantIbLb1EES11_EEDaSW_SX_EUlSW_E_NS1_11comp_targetILNS1_3genE0ELNS1_11target_archE4294967295ELNS1_3gpuE0ELNS1_3repE0EEENS1_30default_config_static_selectorELNS0_4arch9wavefront6targetE1EEEvT1_,comdat
	.protected	_ZN7rocprim17ROCPRIM_400000_NS6detail17trampoline_kernelINS0_14default_configENS1_29reduce_by_key_config_selectorIiiN6thrust23THRUST_200600_302600_NS4plusIiEEEEZZNS1_33reduce_by_key_impl_wrapped_configILNS1_25lookback_scan_determinismE0ES3_S9_NS6_6detail15normal_iteratorINS6_10device_ptrIiEEEESG_SG_SG_PmS8_NS6_8equal_toIiEEEE10hipError_tPvRmT2_T3_mT4_T5_T6_T7_T8_P12ihipStream_tbENKUlT_T0_E_clISt17integral_constantIbLb1EES11_EEDaSW_SX_EUlSW_E_NS1_11comp_targetILNS1_3genE0ELNS1_11target_archE4294967295ELNS1_3gpuE0ELNS1_3repE0EEENS1_30default_config_static_selectorELNS0_4arch9wavefront6targetE1EEEvT1_ ; -- Begin function _ZN7rocprim17ROCPRIM_400000_NS6detail17trampoline_kernelINS0_14default_configENS1_29reduce_by_key_config_selectorIiiN6thrust23THRUST_200600_302600_NS4plusIiEEEEZZNS1_33reduce_by_key_impl_wrapped_configILNS1_25lookback_scan_determinismE0ES3_S9_NS6_6detail15normal_iteratorINS6_10device_ptrIiEEEESG_SG_SG_PmS8_NS6_8equal_toIiEEEE10hipError_tPvRmT2_T3_mT4_T5_T6_T7_T8_P12ihipStream_tbENKUlT_T0_E_clISt17integral_constantIbLb1EES11_EEDaSW_SX_EUlSW_E_NS1_11comp_targetILNS1_3genE0ELNS1_11target_archE4294967295ELNS1_3gpuE0ELNS1_3repE0EEENS1_30default_config_static_selectorELNS0_4arch9wavefront6targetE1EEEvT1_
	.globl	_ZN7rocprim17ROCPRIM_400000_NS6detail17trampoline_kernelINS0_14default_configENS1_29reduce_by_key_config_selectorIiiN6thrust23THRUST_200600_302600_NS4plusIiEEEEZZNS1_33reduce_by_key_impl_wrapped_configILNS1_25lookback_scan_determinismE0ES3_S9_NS6_6detail15normal_iteratorINS6_10device_ptrIiEEEESG_SG_SG_PmS8_NS6_8equal_toIiEEEE10hipError_tPvRmT2_T3_mT4_T5_T6_T7_T8_P12ihipStream_tbENKUlT_T0_E_clISt17integral_constantIbLb1EES11_EEDaSW_SX_EUlSW_E_NS1_11comp_targetILNS1_3genE0ELNS1_11target_archE4294967295ELNS1_3gpuE0ELNS1_3repE0EEENS1_30default_config_static_selectorELNS0_4arch9wavefront6targetE1EEEvT1_
	.p2align	8
	.type	_ZN7rocprim17ROCPRIM_400000_NS6detail17trampoline_kernelINS0_14default_configENS1_29reduce_by_key_config_selectorIiiN6thrust23THRUST_200600_302600_NS4plusIiEEEEZZNS1_33reduce_by_key_impl_wrapped_configILNS1_25lookback_scan_determinismE0ES3_S9_NS6_6detail15normal_iteratorINS6_10device_ptrIiEEEESG_SG_SG_PmS8_NS6_8equal_toIiEEEE10hipError_tPvRmT2_T3_mT4_T5_T6_T7_T8_P12ihipStream_tbENKUlT_T0_E_clISt17integral_constantIbLb1EES11_EEDaSW_SX_EUlSW_E_NS1_11comp_targetILNS1_3genE0ELNS1_11target_archE4294967295ELNS1_3gpuE0ELNS1_3repE0EEENS1_30default_config_static_selectorELNS0_4arch9wavefront6targetE1EEEvT1_,@function
_ZN7rocprim17ROCPRIM_400000_NS6detail17trampoline_kernelINS0_14default_configENS1_29reduce_by_key_config_selectorIiiN6thrust23THRUST_200600_302600_NS4plusIiEEEEZZNS1_33reduce_by_key_impl_wrapped_configILNS1_25lookback_scan_determinismE0ES3_S9_NS6_6detail15normal_iteratorINS6_10device_ptrIiEEEESG_SG_SG_PmS8_NS6_8equal_toIiEEEE10hipError_tPvRmT2_T3_mT4_T5_T6_T7_T8_P12ihipStream_tbENKUlT_T0_E_clISt17integral_constantIbLb1EES11_EEDaSW_SX_EUlSW_E_NS1_11comp_targetILNS1_3genE0ELNS1_11target_archE4294967295ELNS1_3gpuE0ELNS1_3repE0EEENS1_30default_config_static_selectorELNS0_4arch9wavefront6targetE1EEEvT1_: ; @_ZN7rocprim17ROCPRIM_400000_NS6detail17trampoline_kernelINS0_14default_configENS1_29reduce_by_key_config_selectorIiiN6thrust23THRUST_200600_302600_NS4plusIiEEEEZZNS1_33reduce_by_key_impl_wrapped_configILNS1_25lookback_scan_determinismE0ES3_S9_NS6_6detail15normal_iteratorINS6_10device_ptrIiEEEESG_SG_SG_PmS8_NS6_8equal_toIiEEEE10hipError_tPvRmT2_T3_mT4_T5_T6_T7_T8_P12ihipStream_tbENKUlT_T0_E_clISt17integral_constantIbLb1EES11_EEDaSW_SX_EUlSW_E_NS1_11comp_targetILNS1_3genE0ELNS1_11target_archE4294967295ELNS1_3gpuE0ELNS1_3repE0EEENS1_30default_config_static_selectorELNS0_4arch9wavefront6targetE1EEEvT1_
; %bb.0:
	.section	.rodata,"a",@progbits
	.p2align	6, 0x0
	.amdhsa_kernel _ZN7rocprim17ROCPRIM_400000_NS6detail17trampoline_kernelINS0_14default_configENS1_29reduce_by_key_config_selectorIiiN6thrust23THRUST_200600_302600_NS4plusIiEEEEZZNS1_33reduce_by_key_impl_wrapped_configILNS1_25lookback_scan_determinismE0ES3_S9_NS6_6detail15normal_iteratorINS6_10device_ptrIiEEEESG_SG_SG_PmS8_NS6_8equal_toIiEEEE10hipError_tPvRmT2_T3_mT4_T5_T6_T7_T8_P12ihipStream_tbENKUlT_T0_E_clISt17integral_constantIbLb1EES11_EEDaSW_SX_EUlSW_E_NS1_11comp_targetILNS1_3genE0ELNS1_11target_archE4294967295ELNS1_3gpuE0ELNS1_3repE0EEENS1_30default_config_static_selectorELNS0_4arch9wavefront6targetE1EEEvT1_
		.amdhsa_group_segment_fixed_size 0
		.amdhsa_private_segment_fixed_size 0
		.amdhsa_kernarg_size 120
		.amdhsa_user_sgpr_count 6
		.amdhsa_user_sgpr_private_segment_buffer 1
		.amdhsa_user_sgpr_dispatch_ptr 0
		.amdhsa_user_sgpr_queue_ptr 0
		.amdhsa_user_sgpr_kernarg_segment_ptr 1
		.amdhsa_user_sgpr_dispatch_id 0
		.amdhsa_user_sgpr_flat_scratch_init 0
		.amdhsa_user_sgpr_kernarg_preload_length 0
		.amdhsa_user_sgpr_kernarg_preload_offset 0
		.amdhsa_user_sgpr_private_segment_size 0
		.amdhsa_uses_dynamic_stack 0
		.amdhsa_system_sgpr_private_segment_wavefront_offset 0
		.amdhsa_system_sgpr_workgroup_id_x 1
		.amdhsa_system_sgpr_workgroup_id_y 0
		.amdhsa_system_sgpr_workgroup_id_z 0
		.amdhsa_system_sgpr_workgroup_info 0
		.amdhsa_system_vgpr_workitem_id 0
		.amdhsa_next_free_vgpr 1
		.amdhsa_next_free_sgpr 0
		.amdhsa_accum_offset 4
		.amdhsa_reserve_vcc 0
		.amdhsa_reserve_flat_scratch 0
		.amdhsa_float_round_mode_32 0
		.amdhsa_float_round_mode_16_64 0
		.amdhsa_float_denorm_mode_32 3
		.amdhsa_float_denorm_mode_16_64 3
		.amdhsa_dx10_clamp 1
		.amdhsa_ieee_mode 1
		.amdhsa_fp16_overflow 0
		.amdhsa_tg_split 0
		.amdhsa_exception_fp_ieee_invalid_op 0
		.amdhsa_exception_fp_denorm_src 0
		.amdhsa_exception_fp_ieee_div_zero 0
		.amdhsa_exception_fp_ieee_overflow 0
		.amdhsa_exception_fp_ieee_underflow 0
		.amdhsa_exception_fp_ieee_inexact 0
		.amdhsa_exception_int_div_zero 0
	.end_amdhsa_kernel
	.section	.text._ZN7rocprim17ROCPRIM_400000_NS6detail17trampoline_kernelINS0_14default_configENS1_29reduce_by_key_config_selectorIiiN6thrust23THRUST_200600_302600_NS4plusIiEEEEZZNS1_33reduce_by_key_impl_wrapped_configILNS1_25lookback_scan_determinismE0ES3_S9_NS6_6detail15normal_iteratorINS6_10device_ptrIiEEEESG_SG_SG_PmS8_NS6_8equal_toIiEEEE10hipError_tPvRmT2_T3_mT4_T5_T6_T7_T8_P12ihipStream_tbENKUlT_T0_E_clISt17integral_constantIbLb1EES11_EEDaSW_SX_EUlSW_E_NS1_11comp_targetILNS1_3genE0ELNS1_11target_archE4294967295ELNS1_3gpuE0ELNS1_3repE0EEENS1_30default_config_static_selectorELNS0_4arch9wavefront6targetE1EEEvT1_,"axG",@progbits,_ZN7rocprim17ROCPRIM_400000_NS6detail17trampoline_kernelINS0_14default_configENS1_29reduce_by_key_config_selectorIiiN6thrust23THRUST_200600_302600_NS4plusIiEEEEZZNS1_33reduce_by_key_impl_wrapped_configILNS1_25lookback_scan_determinismE0ES3_S9_NS6_6detail15normal_iteratorINS6_10device_ptrIiEEEESG_SG_SG_PmS8_NS6_8equal_toIiEEEE10hipError_tPvRmT2_T3_mT4_T5_T6_T7_T8_P12ihipStream_tbENKUlT_T0_E_clISt17integral_constantIbLb1EES11_EEDaSW_SX_EUlSW_E_NS1_11comp_targetILNS1_3genE0ELNS1_11target_archE4294967295ELNS1_3gpuE0ELNS1_3repE0EEENS1_30default_config_static_selectorELNS0_4arch9wavefront6targetE1EEEvT1_,comdat
.Lfunc_end555:
	.size	_ZN7rocprim17ROCPRIM_400000_NS6detail17trampoline_kernelINS0_14default_configENS1_29reduce_by_key_config_selectorIiiN6thrust23THRUST_200600_302600_NS4plusIiEEEEZZNS1_33reduce_by_key_impl_wrapped_configILNS1_25lookback_scan_determinismE0ES3_S9_NS6_6detail15normal_iteratorINS6_10device_ptrIiEEEESG_SG_SG_PmS8_NS6_8equal_toIiEEEE10hipError_tPvRmT2_T3_mT4_T5_T6_T7_T8_P12ihipStream_tbENKUlT_T0_E_clISt17integral_constantIbLb1EES11_EEDaSW_SX_EUlSW_E_NS1_11comp_targetILNS1_3genE0ELNS1_11target_archE4294967295ELNS1_3gpuE0ELNS1_3repE0EEENS1_30default_config_static_selectorELNS0_4arch9wavefront6targetE1EEEvT1_, .Lfunc_end555-_ZN7rocprim17ROCPRIM_400000_NS6detail17trampoline_kernelINS0_14default_configENS1_29reduce_by_key_config_selectorIiiN6thrust23THRUST_200600_302600_NS4plusIiEEEEZZNS1_33reduce_by_key_impl_wrapped_configILNS1_25lookback_scan_determinismE0ES3_S9_NS6_6detail15normal_iteratorINS6_10device_ptrIiEEEESG_SG_SG_PmS8_NS6_8equal_toIiEEEE10hipError_tPvRmT2_T3_mT4_T5_T6_T7_T8_P12ihipStream_tbENKUlT_T0_E_clISt17integral_constantIbLb1EES11_EEDaSW_SX_EUlSW_E_NS1_11comp_targetILNS1_3genE0ELNS1_11target_archE4294967295ELNS1_3gpuE0ELNS1_3repE0EEENS1_30default_config_static_selectorELNS0_4arch9wavefront6targetE1EEEvT1_
                                        ; -- End function
	.section	.AMDGPU.csdata,"",@progbits
; Kernel info:
; codeLenInByte = 0
; NumSgprs: 4
; NumVgprs: 0
; NumAgprs: 0
; TotalNumVgprs: 0
; ScratchSize: 0
; MemoryBound: 0
; FloatMode: 240
; IeeeMode: 1
; LDSByteSize: 0 bytes/workgroup (compile time only)
; SGPRBlocks: 0
; VGPRBlocks: 0
; NumSGPRsForWavesPerEU: 4
; NumVGPRsForWavesPerEU: 1
; AccumOffset: 4
; Occupancy: 8
; WaveLimiterHint : 0
; COMPUTE_PGM_RSRC2:SCRATCH_EN: 0
; COMPUTE_PGM_RSRC2:USER_SGPR: 6
; COMPUTE_PGM_RSRC2:TRAP_HANDLER: 0
; COMPUTE_PGM_RSRC2:TGID_X_EN: 1
; COMPUTE_PGM_RSRC2:TGID_Y_EN: 0
; COMPUTE_PGM_RSRC2:TGID_Z_EN: 0
; COMPUTE_PGM_RSRC2:TIDIG_COMP_CNT: 0
; COMPUTE_PGM_RSRC3_GFX90A:ACCUM_OFFSET: 0
; COMPUTE_PGM_RSRC3_GFX90A:TG_SPLIT: 0
	.section	.text._ZN7rocprim17ROCPRIM_400000_NS6detail17trampoline_kernelINS0_14default_configENS1_29reduce_by_key_config_selectorIiiN6thrust23THRUST_200600_302600_NS4plusIiEEEEZZNS1_33reduce_by_key_impl_wrapped_configILNS1_25lookback_scan_determinismE0ES3_S9_NS6_6detail15normal_iteratorINS6_10device_ptrIiEEEESG_SG_SG_PmS8_NS6_8equal_toIiEEEE10hipError_tPvRmT2_T3_mT4_T5_T6_T7_T8_P12ihipStream_tbENKUlT_T0_E_clISt17integral_constantIbLb1EES11_EEDaSW_SX_EUlSW_E_NS1_11comp_targetILNS1_3genE5ELNS1_11target_archE942ELNS1_3gpuE9ELNS1_3repE0EEENS1_30default_config_static_selectorELNS0_4arch9wavefront6targetE1EEEvT1_,"axG",@progbits,_ZN7rocprim17ROCPRIM_400000_NS6detail17trampoline_kernelINS0_14default_configENS1_29reduce_by_key_config_selectorIiiN6thrust23THRUST_200600_302600_NS4plusIiEEEEZZNS1_33reduce_by_key_impl_wrapped_configILNS1_25lookback_scan_determinismE0ES3_S9_NS6_6detail15normal_iteratorINS6_10device_ptrIiEEEESG_SG_SG_PmS8_NS6_8equal_toIiEEEE10hipError_tPvRmT2_T3_mT4_T5_T6_T7_T8_P12ihipStream_tbENKUlT_T0_E_clISt17integral_constantIbLb1EES11_EEDaSW_SX_EUlSW_E_NS1_11comp_targetILNS1_3genE5ELNS1_11target_archE942ELNS1_3gpuE9ELNS1_3repE0EEENS1_30default_config_static_selectorELNS0_4arch9wavefront6targetE1EEEvT1_,comdat
	.protected	_ZN7rocprim17ROCPRIM_400000_NS6detail17trampoline_kernelINS0_14default_configENS1_29reduce_by_key_config_selectorIiiN6thrust23THRUST_200600_302600_NS4plusIiEEEEZZNS1_33reduce_by_key_impl_wrapped_configILNS1_25lookback_scan_determinismE0ES3_S9_NS6_6detail15normal_iteratorINS6_10device_ptrIiEEEESG_SG_SG_PmS8_NS6_8equal_toIiEEEE10hipError_tPvRmT2_T3_mT4_T5_T6_T7_T8_P12ihipStream_tbENKUlT_T0_E_clISt17integral_constantIbLb1EES11_EEDaSW_SX_EUlSW_E_NS1_11comp_targetILNS1_3genE5ELNS1_11target_archE942ELNS1_3gpuE9ELNS1_3repE0EEENS1_30default_config_static_selectorELNS0_4arch9wavefront6targetE1EEEvT1_ ; -- Begin function _ZN7rocprim17ROCPRIM_400000_NS6detail17trampoline_kernelINS0_14default_configENS1_29reduce_by_key_config_selectorIiiN6thrust23THRUST_200600_302600_NS4plusIiEEEEZZNS1_33reduce_by_key_impl_wrapped_configILNS1_25lookback_scan_determinismE0ES3_S9_NS6_6detail15normal_iteratorINS6_10device_ptrIiEEEESG_SG_SG_PmS8_NS6_8equal_toIiEEEE10hipError_tPvRmT2_T3_mT4_T5_T6_T7_T8_P12ihipStream_tbENKUlT_T0_E_clISt17integral_constantIbLb1EES11_EEDaSW_SX_EUlSW_E_NS1_11comp_targetILNS1_3genE5ELNS1_11target_archE942ELNS1_3gpuE9ELNS1_3repE0EEENS1_30default_config_static_selectorELNS0_4arch9wavefront6targetE1EEEvT1_
	.globl	_ZN7rocprim17ROCPRIM_400000_NS6detail17trampoline_kernelINS0_14default_configENS1_29reduce_by_key_config_selectorIiiN6thrust23THRUST_200600_302600_NS4plusIiEEEEZZNS1_33reduce_by_key_impl_wrapped_configILNS1_25lookback_scan_determinismE0ES3_S9_NS6_6detail15normal_iteratorINS6_10device_ptrIiEEEESG_SG_SG_PmS8_NS6_8equal_toIiEEEE10hipError_tPvRmT2_T3_mT4_T5_T6_T7_T8_P12ihipStream_tbENKUlT_T0_E_clISt17integral_constantIbLb1EES11_EEDaSW_SX_EUlSW_E_NS1_11comp_targetILNS1_3genE5ELNS1_11target_archE942ELNS1_3gpuE9ELNS1_3repE0EEENS1_30default_config_static_selectorELNS0_4arch9wavefront6targetE1EEEvT1_
	.p2align	8
	.type	_ZN7rocprim17ROCPRIM_400000_NS6detail17trampoline_kernelINS0_14default_configENS1_29reduce_by_key_config_selectorIiiN6thrust23THRUST_200600_302600_NS4plusIiEEEEZZNS1_33reduce_by_key_impl_wrapped_configILNS1_25lookback_scan_determinismE0ES3_S9_NS6_6detail15normal_iteratorINS6_10device_ptrIiEEEESG_SG_SG_PmS8_NS6_8equal_toIiEEEE10hipError_tPvRmT2_T3_mT4_T5_T6_T7_T8_P12ihipStream_tbENKUlT_T0_E_clISt17integral_constantIbLb1EES11_EEDaSW_SX_EUlSW_E_NS1_11comp_targetILNS1_3genE5ELNS1_11target_archE942ELNS1_3gpuE9ELNS1_3repE0EEENS1_30default_config_static_selectorELNS0_4arch9wavefront6targetE1EEEvT1_,@function
_ZN7rocprim17ROCPRIM_400000_NS6detail17trampoline_kernelINS0_14default_configENS1_29reduce_by_key_config_selectorIiiN6thrust23THRUST_200600_302600_NS4plusIiEEEEZZNS1_33reduce_by_key_impl_wrapped_configILNS1_25lookback_scan_determinismE0ES3_S9_NS6_6detail15normal_iteratorINS6_10device_ptrIiEEEESG_SG_SG_PmS8_NS6_8equal_toIiEEEE10hipError_tPvRmT2_T3_mT4_T5_T6_T7_T8_P12ihipStream_tbENKUlT_T0_E_clISt17integral_constantIbLb1EES11_EEDaSW_SX_EUlSW_E_NS1_11comp_targetILNS1_3genE5ELNS1_11target_archE942ELNS1_3gpuE9ELNS1_3repE0EEENS1_30default_config_static_selectorELNS0_4arch9wavefront6targetE1EEEvT1_: ; @_ZN7rocprim17ROCPRIM_400000_NS6detail17trampoline_kernelINS0_14default_configENS1_29reduce_by_key_config_selectorIiiN6thrust23THRUST_200600_302600_NS4plusIiEEEEZZNS1_33reduce_by_key_impl_wrapped_configILNS1_25lookback_scan_determinismE0ES3_S9_NS6_6detail15normal_iteratorINS6_10device_ptrIiEEEESG_SG_SG_PmS8_NS6_8equal_toIiEEEE10hipError_tPvRmT2_T3_mT4_T5_T6_T7_T8_P12ihipStream_tbENKUlT_T0_E_clISt17integral_constantIbLb1EES11_EEDaSW_SX_EUlSW_E_NS1_11comp_targetILNS1_3genE5ELNS1_11target_archE942ELNS1_3gpuE9ELNS1_3repE0EEENS1_30default_config_static_selectorELNS0_4arch9wavefront6targetE1EEEvT1_
; %bb.0:
	.section	.rodata,"a",@progbits
	.p2align	6, 0x0
	.amdhsa_kernel _ZN7rocprim17ROCPRIM_400000_NS6detail17trampoline_kernelINS0_14default_configENS1_29reduce_by_key_config_selectorIiiN6thrust23THRUST_200600_302600_NS4plusIiEEEEZZNS1_33reduce_by_key_impl_wrapped_configILNS1_25lookback_scan_determinismE0ES3_S9_NS6_6detail15normal_iteratorINS6_10device_ptrIiEEEESG_SG_SG_PmS8_NS6_8equal_toIiEEEE10hipError_tPvRmT2_T3_mT4_T5_T6_T7_T8_P12ihipStream_tbENKUlT_T0_E_clISt17integral_constantIbLb1EES11_EEDaSW_SX_EUlSW_E_NS1_11comp_targetILNS1_3genE5ELNS1_11target_archE942ELNS1_3gpuE9ELNS1_3repE0EEENS1_30default_config_static_selectorELNS0_4arch9wavefront6targetE1EEEvT1_
		.amdhsa_group_segment_fixed_size 0
		.amdhsa_private_segment_fixed_size 0
		.amdhsa_kernarg_size 120
		.amdhsa_user_sgpr_count 6
		.amdhsa_user_sgpr_private_segment_buffer 1
		.amdhsa_user_sgpr_dispatch_ptr 0
		.amdhsa_user_sgpr_queue_ptr 0
		.amdhsa_user_sgpr_kernarg_segment_ptr 1
		.amdhsa_user_sgpr_dispatch_id 0
		.amdhsa_user_sgpr_flat_scratch_init 0
		.amdhsa_user_sgpr_kernarg_preload_length 0
		.amdhsa_user_sgpr_kernarg_preload_offset 0
		.amdhsa_user_sgpr_private_segment_size 0
		.amdhsa_uses_dynamic_stack 0
		.amdhsa_system_sgpr_private_segment_wavefront_offset 0
		.amdhsa_system_sgpr_workgroup_id_x 1
		.amdhsa_system_sgpr_workgroup_id_y 0
		.amdhsa_system_sgpr_workgroup_id_z 0
		.amdhsa_system_sgpr_workgroup_info 0
		.amdhsa_system_vgpr_workitem_id 0
		.amdhsa_next_free_vgpr 1
		.amdhsa_next_free_sgpr 0
		.amdhsa_accum_offset 4
		.amdhsa_reserve_vcc 0
		.amdhsa_reserve_flat_scratch 0
		.amdhsa_float_round_mode_32 0
		.amdhsa_float_round_mode_16_64 0
		.amdhsa_float_denorm_mode_32 3
		.amdhsa_float_denorm_mode_16_64 3
		.amdhsa_dx10_clamp 1
		.amdhsa_ieee_mode 1
		.amdhsa_fp16_overflow 0
		.amdhsa_tg_split 0
		.amdhsa_exception_fp_ieee_invalid_op 0
		.amdhsa_exception_fp_denorm_src 0
		.amdhsa_exception_fp_ieee_div_zero 0
		.amdhsa_exception_fp_ieee_overflow 0
		.amdhsa_exception_fp_ieee_underflow 0
		.amdhsa_exception_fp_ieee_inexact 0
		.amdhsa_exception_int_div_zero 0
	.end_amdhsa_kernel
	.section	.text._ZN7rocprim17ROCPRIM_400000_NS6detail17trampoline_kernelINS0_14default_configENS1_29reduce_by_key_config_selectorIiiN6thrust23THRUST_200600_302600_NS4plusIiEEEEZZNS1_33reduce_by_key_impl_wrapped_configILNS1_25lookback_scan_determinismE0ES3_S9_NS6_6detail15normal_iteratorINS6_10device_ptrIiEEEESG_SG_SG_PmS8_NS6_8equal_toIiEEEE10hipError_tPvRmT2_T3_mT4_T5_T6_T7_T8_P12ihipStream_tbENKUlT_T0_E_clISt17integral_constantIbLb1EES11_EEDaSW_SX_EUlSW_E_NS1_11comp_targetILNS1_3genE5ELNS1_11target_archE942ELNS1_3gpuE9ELNS1_3repE0EEENS1_30default_config_static_selectorELNS0_4arch9wavefront6targetE1EEEvT1_,"axG",@progbits,_ZN7rocprim17ROCPRIM_400000_NS6detail17trampoline_kernelINS0_14default_configENS1_29reduce_by_key_config_selectorIiiN6thrust23THRUST_200600_302600_NS4plusIiEEEEZZNS1_33reduce_by_key_impl_wrapped_configILNS1_25lookback_scan_determinismE0ES3_S9_NS6_6detail15normal_iteratorINS6_10device_ptrIiEEEESG_SG_SG_PmS8_NS6_8equal_toIiEEEE10hipError_tPvRmT2_T3_mT4_T5_T6_T7_T8_P12ihipStream_tbENKUlT_T0_E_clISt17integral_constantIbLb1EES11_EEDaSW_SX_EUlSW_E_NS1_11comp_targetILNS1_3genE5ELNS1_11target_archE942ELNS1_3gpuE9ELNS1_3repE0EEENS1_30default_config_static_selectorELNS0_4arch9wavefront6targetE1EEEvT1_,comdat
.Lfunc_end556:
	.size	_ZN7rocprim17ROCPRIM_400000_NS6detail17trampoline_kernelINS0_14default_configENS1_29reduce_by_key_config_selectorIiiN6thrust23THRUST_200600_302600_NS4plusIiEEEEZZNS1_33reduce_by_key_impl_wrapped_configILNS1_25lookback_scan_determinismE0ES3_S9_NS6_6detail15normal_iteratorINS6_10device_ptrIiEEEESG_SG_SG_PmS8_NS6_8equal_toIiEEEE10hipError_tPvRmT2_T3_mT4_T5_T6_T7_T8_P12ihipStream_tbENKUlT_T0_E_clISt17integral_constantIbLb1EES11_EEDaSW_SX_EUlSW_E_NS1_11comp_targetILNS1_3genE5ELNS1_11target_archE942ELNS1_3gpuE9ELNS1_3repE0EEENS1_30default_config_static_selectorELNS0_4arch9wavefront6targetE1EEEvT1_, .Lfunc_end556-_ZN7rocprim17ROCPRIM_400000_NS6detail17trampoline_kernelINS0_14default_configENS1_29reduce_by_key_config_selectorIiiN6thrust23THRUST_200600_302600_NS4plusIiEEEEZZNS1_33reduce_by_key_impl_wrapped_configILNS1_25lookback_scan_determinismE0ES3_S9_NS6_6detail15normal_iteratorINS6_10device_ptrIiEEEESG_SG_SG_PmS8_NS6_8equal_toIiEEEE10hipError_tPvRmT2_T3_mT4_T5_T6_T7_T8_P12ihipStream_tbENKUlT_T0_E_clISt17integral_constantIbLb1EES11_EEDaSW_SX_EUlSW_E_NS1_11comp_targetILNS1_3genE5ELNS1_11target_archE942ELNS1_3gpuE9ELNS1_3repE0EEENS1_30default_config_static_selectorELNS0_4arch9wavefront6targetE1EEEvT1_
                                        ; -- End function
	.section	.AMDGPU.csdata,"",@progbits
; Kernel info:
; codeLenInByte = 0
; NumSgprs: 4
; NumVgprs: 0
; NumAgprs: 0
; TotalNumVgprs: 0
; ScratchSize: 0
; MemoryBound: 0
; FloatMode: 240
; IeeeMode: 1
; LDSByteSize: 0 bytes/workgroup (compile time only)
; SGPRBlocks: 0
; VGPRBlocks: 0
; NumSGPRsForWavesPerEU: 4
; NumVGPRsForWavesPerEU: 1
; AccumOffset: 4
; Occupancy: 8
; WaveLimiterHint : 0
; COMPUTE_PGM_RSRC2:SCRATCH_EN: 0
; COMPUTE_PGM_RSRC2:USER_SGPR: 6
; COMPUTE_PGM_RSRC2:TRAP_HANDLER: 0
; COMPUTE_PGM_RSRC2:TGID_X_EN: 1
; COMPUTE_PGM_RSRC2:TGID_Y_EN: 0
; COMPUTE_PGM_RSRC2:TGID_Z_EN: 0
; COMPUTE_PGM_RSRC2:TIDIG_COMP_CNT: 0
; COMPUTE_PGM_RSRC3_GFX90A:ACCUM_OFFSET: 0
; COMPUTE_PGM_RSRC3_GFX90A:TG_SPLIT: 0
	.section	.text._ZN7rocprim17ROCPRIM_400000_NS6detail17trampoline_kernelINS0_14default_configENS1_29reduce_by_key_config_selectorIiiN6thrust23THRUST_200600_302600_NS4plusIiEEEEZZNS1_33reduce_by_key_impl_wrapped_configILNS1_25lookback_scan_determinismE0ES3_S9_NS6_6detail15normal_iteratorINS6_10device_ptrIiEEEESG_SG_SG_PmS8_NS6_8equal_toIiEEEE10hipError_tPvRmT2_T3_mT4_T5_T6_T7_T8_P12ihipStream_tbENKUlT_T0_E_clISt17integral_constantIbLb1EES11_EEDaSW_SX_EUlSW_E_NS1_11comp_targetILNS1_3genE4ELNS1_11target_archE910ELNS1_3gpuE8ELNS1_3repE0EEENS1_30default_config_static_selectorELNS0_4arch9wavefront6targetE1EEEvT1_,"axG",@progbits,_ZN7rocprim17ROCPRIM_400000_NS6detail17trampoline_kernelINS0_14default_configENS1_29reduce_by_key_config_selectorIiiN6thrust23THRUST_200600_302600_NS4plusIiEEEEZZNS1_33reduce_by_key_impl_wrapped_configILNS1_25lookback_scan_determinismE0ES3_S9_NS6_6detail15normal_iteratorINS6_10device_ptrIiEEEESG_SG_SG_PmS8_NS6_8equal_toIiEEEE10hipError_tPvRmT2_T3_mT4_T5_T6_T7_T8_P12ihipStream_tbENKUlT_T0_E_clISt17integral_constantIbLb1EES11_EEDaSW_SX_EUlSW_E_NS1_11comp_targetILNS1_3genE4ELNS1_11target_archE910ELNS1_3gpuE8ELNS1_3repE0EEENS1_30default_config_static_selectorELNS0_4arch9wavefront6targetE1EEEvT1_,comdat
	.protected	_ZN7rocprim17ROCPRIM_400000_NS6detail17trampoline_kernelINS0_14default_configENS1_29reduce_by_key_config_selectorIiiN6thrust23THRUST_200600_302600_NS4plusIiEEEEZZNS1_33reduce_by_key_impl_wrapped_configILNS1_25lookback_scan_determinismE0ES3_S9_NS6_6detail15normal_iteratorINS6_10device_ptrIiEEEESG_SG_SG_PmS8_NS6_8equal_toIiEEEE10hipError_tPvRmT2_T3_mT4_T5_T6_T7_T8_P12ihipStream_tbENKUlT_T0_E_clISt17integral_constantIbLb1EES11_EEDaSW_SX_EUlSW_E_NS1_11comp_targetILNS1_3genE4ELNS1_11target_archE910ELNS1_3gpuE8ELNS1_3repE0EEENS1_30default_config_static_selectorELNS0_4arch9wavefront6targetE1EEEvT1_ ; -- Begin function _ZN7rocprim17ROCPRIM_400000_NS6detail17trampoline_kernelINS0_14default_configENS1_29reduce_by_key_config_selectorIiiN6thrust23THRUST_200600_302600_NS4plusIiEEEEZZNS1_33reduce_by_key_impl_wrapped_configILNS1_25lookback_scan_determinismE0ES3_S9_NS6_6detail15normal_iteratorINS6_10device_ptrIiEEEESG_SG_SG_PmS8_NS6_8equal_toIiEEEE10hipError_tPvRmT2_T3_mT4_T5_T6_T7_T8_P12ihipStream_tbENKUlT_T0_E_clISt17integral_constantIbLb1EES11_EEDaSW_SX_EUlSW_E_NS1_11comp_targetILNS1_3genE4ELNS1_11target_archE910ELNS1_3gpuE8ELNS1_3repE0EEENS1_30default_config_static_selectorELNS0_4arch9wavefront6targetE1EEEvT1_
	.globl	_ZN7rocprim17ROCPRIM_400000_NS6detail17trampoline_kernelINS0_14default_configENS1_29reduce_by_key_config_selectorIiiN6thrust23THRUST_200600_302600_NS4plusIiEEEEZZNS1_33reduce_by_key_impl_wrapped_configILNS1_25lookback_scan_determinismE0ES3_S9_NS6_6detail15normal_iteratorINS6_10device_ptrIiEEEESG_SG_SG_PmS8_NS6_8equal_toIiEEEE10hipError_tPvRmT2_T3_mT4_T5_T6_T7_T8_P12ihipStream_tbENKUlT_T0_E_clISt17integral_constantIbLb1EES11_EEDaSW_SX_EUlSW_E_NS1_11comp_targetILNS1_3genE4ELNS1_11target_archE910ELNS1_3gpuE8ELNS1_3repE0EEENS1_30default_config_static_selectorELNS0_4arch9wavefront6targetE1EEEvT1_
	.p2align	8
	.type	_ZN7rocprim17ROCPRIM_400000_NS6detail17trampoline_kernelINS0_14default_configENS1_29reduce_by_key_config_selectorIiiN6thrust23THRUST_200600_302600_NS4plusIiEEEEZZNS1_33reduce_by_key_impl_wrapped_configILNS1_25lookback_scan_determinismE0ES3_S9_NS6_6detail15normal_iteratorINS6_10device_ptrIiEEEESG_SG_SG_PmS8_NS6_8equal_toIiEEEE10hipError_tPvRmT2_T3_mT4_T5_T6_T7_T8_P12ihipStream_tbENKUlT_T0_E_clISt17integral_constantIbLb1EES11_EEDaSW_SX_EUlSW_E_NS1_11comp_targetILNS1_3genE4ELNS1_11target_archE910ELNS1_3gpuE8ELNS1_3repE0EEENS1_30default_config_static_selectorELNS0_4arch9wavefront6targetE1EEEvT1_,@function
_ZN7rocprim17ROCPRIM_400000_NS6detail17trampoline_kernelINS0_14default_configENS1_29reduce_by_key_config_selectorIiiN6thrust23THRUST_200600_302600_NS4plusIiEEEEZZNS1_33reduce_by_key_impl_wrapped_configILNS1_25lookback_scan_determinismE0ES3_S9_NS6_6detail15normal_iteratorINS6_10device_ptrIiEEEESG_SG_SG_PmS8_NS6_8equal_toIiEEEE10hipError_tPvRmT2_T3_mT4_T5_T6_T7_T8_P12ihipStream_tbENKUlT_T0_E_clISt17integral_constantIbLb1EES11_EEDaSW_SX_EUlSW_E_NS1_11comp_targetILNS1_3genE4ELNS1_11target_archE910ELNS1_3gpuE8ELNS1_3repE0EEENS1_30default_config_static_selectorELNS0_4arch9wavefront6targetE1EEEvT1_: ; @_ZN7rocprim17ROCPRIM_400000_NS6detail17trampoline_kernelINS0_14default_configENS1_29reduce_by_key_config_selectorIiiN6thrust23THRUST_200600_302600_NS4plusIiEEEEZZNS1_33reduce_by_key_impl_wrapped_configILNS1_25lookback_scan_determinismE0ES3_S9_NS6_6detail15normal_iteratorINS6_10device_ptrIiEEEESG_SG_SG_PmS8_NS6_8equal_toIiEEEE10hipError_tPvRmT2_T3_mT4_T5_T6_T7_T8_P12ihipStream_tbENKUlT_T0_E_clISt17integral_constantIbLb1EES11_EEDaSW_SX_EUlSW_E_NS1_11comp_targetILNS1_3genE4ELNS1_11target_archE910ELNS1_3gpuE8ELNS1_3repE0EEENS1_30default_config_static_selectorELNS0_4arch9wavefront6targetE1EEEvT1_
; %bb.0:
	s_load_dwordx8 s[36:43], s[4:5], 0x0
	s_load_dwordx4 s[52:55], s[4:5], 0x20
	s_load_dwordx8 s[44:51], s[4:5], 0x38
	s_load_dwordx2 s[60:61], s[4:5], 0x68
	s_load_dwordx4 s[56:59], s[4:5], 0x58
	v_cmp_ne_u32_e64 s[2:3], 0, v0
	v_cmp_eq_u32_e64 s[0:1], 0, v0
	s_and_saveexec_b64 s[6:7], s[0:1]
	s_cbranch_execz .LBB557_4
; %bb.1:
	s_mov_b64 s[10:11], exec
	v_mbcnt_lo_u32_b32 v1, s10, 0
	v_mbcnt_hi_u32_b32 v1, s11, v1
	v_cmp_eq_u32_e32 vcc, 0, v1
                                        ; implicit-def: $vgpr2
	s_and_saveexec_b64 s[8:9], vcc
	s_cbranch_execz .LBB557_3
; %bb.2:
	s_load_dwordx2 s[4:5], s[4:5], 0x70
	s_bcnt1_i32_b64 s10, s[10:11]
	v_mov_b32_e32 v2, 0
	v_mov_b32_e32 v3, s10
	s_waitcnt lgkmcnt(0)
	global_atomic_add v2, v2, v3, s[4:5] glc
.LBB557_3:
	s_or_b64 exec, exec, s[8:9]
	s_waitcnt vmcnt(0)
	v_readfirstlane_b32 s4, v2
	v_add_u32_e32 v1, s4, v1
	v_mov_b32_e32 v2, 0
	ds_write_b32 v2, v1
.LBB557_4:
	s_or_b64 exec, exec, s[6:7]
	v_mov_b32_e32 v3, 0
	s_waitcnt lgkmcnt(0)
	s_lshl_b64 s[4:5], s[38:39], 2
	s_barrier
	ds_read_b32 v1, v3
	s_add_u32 s6, s36, s4
	s_addc_u32 s7, s37, s5
	s_add_u32 s4, s40, s4
	s_mul_i32 s8, s48, s47
	s_mul_hi_u32 s9, s48, s46
	s_addc_u32 s5, s41, s5
	s_add_i32 s8, s9, s8
	s_mul_i32 s9, s49, s46
	s_add_i32 s8, s8, s9
	s_mul_i32 s9, s48, s46
	s_waitcnt lgkmcnt(0)
	v_readfirstlane_b32 s62, v1
	s_movk_i32 s10, 0xf00
	v_mul_lo_u32 v2, v1, s10
	s_add_u32 s40, s9, s62
	v_lshlrev_b64 v[2:3], 2, v[2:3]
	s_addc_u32 s41, s8, 0
	v_mov_b32_e32 v1, s7
	v_add_co_u32_e32 v38, vcc, s6, v2
	s_add_u32 s6, s50, -1
	v_addc_co_u32_e32 v39, vcc, v1, v3, vcc
	s_addc_u32 s7, s51, -1
	v_mov_b32_e32 v1, s5
	v_add_co_u32_e32 v22, vcc, s4, v2
	s_cmp_eq_u64 s[40:41], s[6:7]
	v_addc_co_u32_e32 v23, vcc, v1, v3, vcc
	s_cselect_b64 s[36:37], -1, 0
	s_cmp_lg_u64 s[40:41], s[6:7]
	s_mov_b64 s[4:5], -1
	s_cselect_b64 s[48:49], -1, 0
	s_mul_i32 s33, s6, 0xfffff100
	s_and_b64 vcc, exec, s[36:37]
	s_barrier
	s_cbranch_vccnz .LBB557_6
; %bb.5:
	v_lshlrev_b32_e32 v26, 2, v0
	v_add_co_u32_e32 v2, vcc, v38, v26
	v_addc_co_u32_e32 v3, vcc, 0, v39, vcc
	v_add_co_u32_e32 v4, vcc, 0x1000, v2
	v_addc_co_u32_e32 v5, vcc, 0, v3, vcc
	flat_load_dword v1, v[2:3]
	flat_load_dword v8, v[2:3] offset:1024
	flat_load_dword v9, v[2:3] offset:2048
	;; [unrolled: 1-line block ×3, first 2 shown]
	flat_load_dword v11, v[4:5]
	flat_load_dword v12, v[4:5] offset:1024
	flat_load_dword v13, v[4:5] offset:2048
	;; [unrolled: 1-line block ×3, first 2 shown]
	v_add_co_u32_e32 v4, vcc, 0x2000, v2
	v_addc_co_u32_e32 v5, vcc, 0, v3, vcc
	v_add_co_u32_e32 v2, vcc, 0x3000, v2
	v_addc_co_u32_e32 v3, vcc, 0, v3, vcc
	flat_load_dword v15, v[4:5]
	flat_load_dword v16, v[4:5] offset:1024
	flat_load_dword v17, v[4:5] offset:2048
	;; [unrolled: 1-line block ×3, first 2 shown]
	flat_load_dword v19, v[2:3]
	flat_load_dword v20, v[2:3] offset:1024
	flat_load_dword v21, v[2:3] offset:2048
	v_add_co_u32_e32 v2, vcc, v22, v26
	s_movk_i32 s4, 0x1000
	v_addc_co_u32_e32 v3, vcc, 0, v23, vcc
	v_add_co_u32_e32 v4, vcc, s4, v2
	s_movk_i32 s5, 0x2000
	v_addc_co_u32_e32 v5, vcc, 0, v3, vcc
	;; [unrolled: 3-line block ×3, first 2 shown]
	v_mad_u32_u24 v40, v0, 56, v26
	v_add_co_u32_e32 v24, vcc, s6, v2
	v_addc_co_u32_e32 v25, vcc, 0, v3, vcc
	s_waitcnt vmcnt(0) lgkmcnt(0)
	ds_write2st64_b32 v26, v1, v8 offset1:4
	ds_write2st64_b32 v26, v9, v10 offset0:8 offset1:12
	ds_write2st64_b32 v26, v11, v12 offset0:16 offset1:20
	;; [unrolled: 1-line block ×6, first 2 shown]
	ds_write_b32 v26, v21 offset:14336
	s_waitcnt lgkmcnt(0)
	s_barrier
	ds_read2_b32 v[20:21], v40 offset1:1
	ds_read2_b32 v[18:19], v40 offset0:2 offset1:3
	ds_read2_b32 v[16:17], v40 offset0:4 offset1:5
	;; [unrolled: 1-line block ×6, first 2 shown]
	ds_read_b32 v1, v40 offset:56
	s_waitcnt lgkmcnt(0)
	s_barrier
	flat_load_dword v27, v[2:3]
	flat_load_dword v28, v[2:3] offset:1024
	flat_load_dword v29, v[2:3] offset:2048
	flat_load_dword v30, v[2:3] offset:3072
	flat_load_dword v31, v[4:5]
	flat_load_dword v32, v[4:5] offset:1024
	flat_load_dword v33, v[4:5] offset:2048
	flat_load_dword v34, v[4:5] offset:3072
	;; [unrolled: 4-line block ×3, first 2 shown]
	flat_load_dword v44, v[24:25]
	flat_load_dword v45, v[24:25] offset:1024
	flat_load_dword v46, v[24:25] offset:2048
	v_mov_b32_e32 v36, v20
	v_mov_b32_e32 v37, v18
	;; [unrolled: 1-line block ×7, first 2 shown]
	s_waitcnt vmcnt(0) lgkmcnt(0)
	ds_write2st64_b32 v26, v27, v28 offset1:4
	ds_write2st64_b32 v26, v29, v30 offset0:8 offset1:12
	ds_write2st64_b32 v26, v31, v32 offset0:16 offset1:20
	;; [unrolled: 1-line block ×6, first 2 shown]
	ds_write_b32 v26, v46 offset:14336
	s_waitcnt lgkmcnt(0)
	s_barrier
	s_add_i32 s33, s33, s56
	s_cbranch_execz .LBB557_7
	s_branch .LBB557_54
.LBB557_6:
                                        ; implicit-def: $vgpr1
                                        ; implicit-def: $vgpr8
                                        ; implicit-def: $vgpr10
                                        ; implicit-def: $vgpr12
                                        ; implicit-def: $vgpr14
                                        ; implicit-def: $vgpr16
                                        ; implicit-def: $vgpr18
                                        ; implicit-def: $vgpr20
                                        ; implicit-def: $vgpr40
                                        ; implicit-def: $vgpr2_vgpr3
                                        ; implicit-def: $vgpr4_vgpr5
                                        ; implicit-def: $vgpr36_vgpr37
                                        ; implicit-def: $vgpr6_vgpr7
	s_andn2_b64 vcc, exec, s[4:5]
	s_add_i32 s33, s33, s56
	s_cbranch_vccnz .LBB557_54
.LBB557_7:
	v_cmp_gt_u32_e32 vcc, s33, v0
                                        ; implicit-def: $vgpr1
	s_and_saveexec_b64 s[6:7], vcc
	s_cbranch_execz .LBB557_9
; %bb.8:
	v_lshlrev_b32_e32 v1, 2, v0
	v_add_co_u32_e64 v2, s[4:5], v38, v1
	v_addc_co_u32_e64 v3, s[4:5], 0, v39, s[4:5]
	flat_load_dword v1, v[2:3]
.LBB557_9:
	s_or_b64 exec, exec, s[6:7]
	v_or_b32_e32 v2, 0x100, v0
	v_cmp_gt_u32_e64 s[4:5], s33, v2
                                        ; implicit-def: $vgpr8
	s_and_saveexec_b64 s[8:9], s[4:5]
	s_cbranch_execz .LBB557_11
; %bb.10:
	v_lshlrev_b32_e32 v2, 2, v0
	v_add_co_u32_e64 v2, s[6:7], v38, v2
	v_addc_co_u32_e64 v3, s[6:7], 0, v39, s[6:7]
	flat_load_dword v8, v[2:3] offset:1024
.LBB557_11:
	s_or_b64 exec, exec, s[8:9]
	v_or_b32_e32 v2, 0x200, v0
	v_cmp_gt_u32_e64 s[6:7], s33, v2
                                        ; implicit-def: $vgpr9
	s_and_saveexec_b64 s[10:11], s[6:7]
	s_cbranch_execz .LBB557_13
; %bb.12:
	v_lshlrev_b32_e32 v2, 2, v0
	v_add_co_u32_e64 v2, s[8:9], v38, v2
	v_addc_co_u32_e64 v3, s[8:9], 0, v39, s[8:9]
	flat_load_dword v9, v[2:3] offset:2048
.LBB557_13:
	s_or_b64 exec, exec, s[10:11]
	v_or_b32_e32 v2, 0x300, v0
	v_cmp_gt_u32_e64 s[8:9], s33, v2
                                        ; implicit-def: $vgpr10
	s_and_saveexec_b64 s[12:13], s[8:9]
	s_cbranch_execz .LBB557_15
; %bb.14:
	v_lshlrev_b32_e32 v2, 2, v0
	v_add_co_u32_e64 v2, s[10:11], v38, v2
	v_addc_co_u32_e64 v3, s[10:11], 0, v39, s[10:11]
	flat_load_dword v10, v[2:3] offset:3072
.LBB557_15:
	s_or_b64 exec, exec, s[12:13]
	v_or_b32_e32 v2, 0x400, v0
	v_cmp_gt_u32_e64 s[10:11], s33, v2
                                        ; implicit-def: $vgpr11
	s_and_saveexec_b64 s[14:15], s[10:11]
	s_cbranch_execz .LBB557_17
; %bb.16:
	v_lshlrev_b32_e32 v3, 2, v2
	v_add_co_u32_e64 v4, s[12:13], v38, v3
	v_addc_co_u32_e64 v5, s[12:13], 0, v39, s[12:13]
	flat_load_dword v11, v[4:5]
.LBB557_17:
	s_or_b64 exec, exec, s[14:15]
	v_or_b32_e32 v3, 0x500, v0
	v_cmp_gt_u32_e64 s[12:13], s33, v3
                                        ; implicit-def: $vgpr12
	s_and_saveexec_b64 s[16:17], s[12:13]
	s_cbranch_execz .LBB557_19
; %bb.18:
	v_lshlrev_b32_e32 v4, 2, v3
	v_add_co_u32_e64 v4, s[14:15], v38, v4
	v_addc_co_u32_e64 v5, s[14:15], 0, v39, s[14:15]
	flat_load_dword v12, v[4:5]
.LBB557_19:
	s_or_b64 exec, exec, s[16:17]
	v_or_b32_e32 v4, 0x600, v0
	v_cmp_gt_u32_e64 s[14:15], s33, v4
                                        ; implicit-def: $vgpr13
	s_and_saveexec_b64 s[18:19], s[14:15]
	s_cbranch_execz .LBB557_21
; %bb.20:
	v_lshlrev_b32_e32 v5, 2, v4
	v_add_co_u32_e64 v6, s[16:17], v38, v5
	v_addc_co_u32_e64 v7, s[16:17], 0, v39, s[16:17]
	flat_load_dword v13, v[6:7]
.LBB557_21:
	s_or_b64 exec, exec, s[18:19]
	v_or_b32_e32 v5, 0x700, v0
	v_cmp_gt_u32_e64 s[16:17], s33, v5
                                        ; implicit-def: $vgpr14
	s_and_saveexec_b64 s[20:21], s[16:17]
	s_cbranch_execz .LBB557_23
; %bb.22:
	v_lshlrev_b32_e32 v6, 2, v5
	v_add_co_u32_e64 v6, s[18:19], v38, v6
	v_addc_co_u32_e64 v7, s[18:19], 0, v39, s[18:19]
	flat_load_dword v14, v[6:7]
.LBB557_23:
	s_or_b64 exec, exec, s[20:21]
	v_or_b32_e32 v6, 0x800, v0
	v_cmp_gt_u32_e64 s[18:19], s33, v6
                                        ; implicit-def: $vgpr15
	s_and_saveexec_b64 s[22:23], s[18:19]
	s_cbranch_execz .LBB557_25
; %bb.24:
	v_lshlrev_b32_e32 v7, 2, v6
	v_add_co_u32_e64 v16, s[20:21], v38, v7
	v_addc_co_u32_e64 v17, s[20:21], 0, v39, s[20:21]
	flat_load_dword v15, v[16:17]
.LBB557_25:
	s_or_b64 exec, exec, s[22:23]
	v_or_b32_e32 v24, 0x900, v0
	v_cmp_gt_u32_e64 s[20:21], s33, v24
                                        ; implicit-def: $vgpr16
	s_and_saveexec_b64 s[24:25], s[20:21]
	s_cbranch_execz .LBB557_27
; %bb.26:
	v_lshlrev_b32_e32 v7, 2, v24
	v_add_co_u32_e64 v16, s[22:23], v38, v7
	v_addc_co_u32_e64 v17, s[22:23], 0, v39, s[22:23]
	flat_load_dword v16, v[16:17]
.LBB557_27:
	s_or_b64 exec, exec, s[24:25]
	v_or_b32_e32 v25, 0xa00, v0
	v_cmp_gt_u32_e64 s[22:23], s33, v25
                                        ; implicit-def: $vgpr17
	s_and_saveexec_b64 s[26:27], s[22:23]
	s_cbranch_execz .LBB557_29
; %bb.28:
	v_lshlrev_b32_e32 v7, 2, v25
	v_add_co_u32_e64 v18, s[24:25], v38, v7
	v_addc_co_u32_e64 v19, s[24:25], 0, v39, s[24:25]
	flat_load_dword v17, v[18:19]
.LBB557_29:
	s_or_b64 exec, exec, s[26:27]
	v_or_b32_e32 v26, 0xb00, v0
	v_cmp_gt_u32_e64 s[24:25], s33, v26
                                        ; implicit-def: $vgpr18
	s_and_saveexec_b64 s[28:29], s[24:25]
	s_cbranch_execz .LBB557_31
; %bb.30:
	v_lshlrev_b32_e32 v7, 2, v26
	v_add_co_u32_e64 v18, s[26:27], v38, v7
	v_addc_co_u32_e64 v19, s[26:27], 0, v39, s[26:27]
	flat_load_dword v18, v[18:19]
.LBB557_31:
	s_or_b64 exec, exec, s[28:29]
	v_or_b32_e32 v27, 0xc00, v0
	v_cmp_gt_u32_e64 s[26:27], s33, v27
                                        ; implicit-def: $vgpr19
	s_and_saveexec_b64 s[30:31], s[26:27]
	s_cbranch_execz .LBB557_33
; %bb.32:
	v_lshlrev_b32_e32 v7, 2, v27
	v_add_co_u32_e64 v20, s[28:29], v38, v7
	v_addc_co_u32_e64 v21, s[28:29], 0, v39, s[28:29]
	flat_load_dword v19, v[20:21]
.LBB557_33:
	s_or_b64 exec, exec, s[30:31]
	v_or_b32_e32 v28, 0xd00, v0
	v_cmp_gt_u32_e64 s[28:29], s33, v28
                                        ; implicit-def: $vgpr20
	s_and_saveexec_b64 s[34:35], s[28:29]
	s_cbranch_execz .LBB557_35
; %bb.34:
	v_lshlrev_b32_e32 v7, 2, v28
	v_add_co_u32_e64 v20, s[30:31], v38, v7
	v_addc_co_u32_e64 v21, s[30:31], 0, v39, s[30:31]
	flat_load_dword v20, v[20:21]
.LBB557_35:
	s_or_b64 exec, exec, s[34:35]
	v_or_b32_e32 v29, 0xe00, v0
	v_cmp_gt_u32_e64 s[30:31], s33, v29
                                        ; implicit-def: $vgpr21
	s_and_saveexec_b64 s[38:39], s[30:31]
	s_cbranch_execz .LBB557_37
; %bb.36:
	v_lshlrev_b32_e32 v7, 2, v29
	v_add_co_u32_e64 v30, s[34:35], v38, v7
	v_addc_co_u32_e64 v31, s[34:35], 0, v39, s[34:35]
	flat_load_dword v21, v[30:31]
.LBB557_37:
	s_or_b64 exec, exec, s[38:39]
	v_lshlrev_b32_e32 v7, 2, v0
	v_mad_u32_u24 v40, v0, 56, v7
	s_waitcnt vmcnt(0) lgkmcnt(0)
	ds_write2st64_b32 v7, v1, v8 offset1:4
	ds_write2st64_b32 v7, v9, v10 offset0:8 offset1:12
	ds_write2st64_b32 v7, v11, v12 offset0:16 offset1:20
	;; [unrolled: 1-line block ×6, first 2 shown]
	ds_write_b32 v7, v21 offset:14336
	s_waitcnt lgkmcnt(0)
	s_barrier
	ds_read2_b32 v[20:21], v40 offset1:1
	ds_read2_b32 v[18:19], v40 offset0:2 offset1:3
	ds_read2_b32 v[16:17], v40 offset0:4 offset1:5
	;; [unrolled: 1-line block ×6, first 2 shown]
	ds_read_b32 v1, v40 offset:56
	s_waitcnt lgkmcnt(0)
	s_barrier
	s_waitcnt lgkmcnt(0)
                                        ; implicit-def: $vgpr30
	s_and_saveexec_b64 s[34:35], vcc
	s_cbranch_execnz .LBB557_61
; %bb.38:
	s_or_b64 exec, exec, s[34:35]
                                        ; implicit-def: $vgpr31
	s_and_saveexec_b64 s[34:35], s[4:5]
	s_cbranch_execnz .LBB557_62
.LBB557_39:
	s_or_b64 exec, exec, s[34:35]
                                        ; implicit-def: $vgpr32
	s_and_saveexec_b64 s[4:5], s[6:7]
	s_cbranch_execnz .LBB557_63
.LBB557_40:
	s_or_b64 exec, exec, s[4:5]
                                        ; implicit-def: $vgpr33
	s_and_saveexec_b64 s[4:5], s[8:9]
	s_cbranch_execnz .LBB557_64
.LBB557_41:
	s_or_b64 exec, exec, s[4:5]
                                        ; implicit-def: $vgpr34
	s_and_saveexec_b64 s[4:5], s[10:11]
	s_cbranch_execnz .LBB557_65
.LBB557_42:
	s_or_b64 exec, exec, s[4:5]
                                        ; implicit-def: $vgpr2
	s_and_saveexec_b64 s[4:5], s[12:13]
	s_cbranch_execnz .LBB557_66
.LBB557_43:
	s_or_b64 exec, exec, s[4:5]
                                        ; implicit-def: $vgpr3
	s_and_saveexec_b64 s[4:5], s[14:15]
	s_cbranch_execnz .LBB557_67
.LBB557_44:
	s_or_b64 exec, exec, s[4:5]
                                        ; implicit-def: $vgpr4
	s_and_saveexec_b64 s[4:5], s[16:17]
	s_cbranch_execnz .LBB557_68
.LBB557_45:
	s_or_b64 exec, exec, s[4:5]
                                        ; implicit-def: $vgpr5
	s_and_saveexec_b64 s[4:5], s[18:19]
	s_cbranch_execnz .LBB557_69
.LBB557_46:
	s_or_b64 exec, exec, s[4:5]
                                        ; implicit-def: $vgpr6
	s_and_saveexec_b64 s[4:5], s[20:21]
	s_cbranch_execnz .LBB557_70
.LBB557_47:
	s_or_b64 exec, exec, s[4:5]
                                        ; implicit-def: $vgpr24
	s_and_saveexec_b64 s[4:5], s[22:23]
	s_cbranch_execnz .LBB557_71
.LBB557_48:
	s_or_b64 exec, exec, s[4:5]
                                        ; implicit-def: $vgpr25
	s_and_saveexec_b64 s[4:5], s[24:25]
	s_cbranch_execnz .LBB557_72
.LBB557_49:
	s_or_b64 exec, exec, s[4:5]
                                        ; implicit-def: $vgpr26
	s_and_saveexec_b64 s[4:5], s[26:27]
	s_cbranch_execnz .LBB557_73
.LBB557_50:
	s_or_b64 exec, exec, s[4:5]
                                        ; implicit-def: $vgpr27
	s_and_saveexec_b64 s[4:5], s[28:29]
	s_cbranch_execnz .LBB557_74
.LBB557_51:
	s_or_b64 exec, exec, s[4:5]
                                        ; implicit-def: $vgpr28
	s_and_saveexec_b64 s[4:5], s[30:31]
	s_cbranch_execz .LBB557_53
.LBB557_52:
	v_lshlrev_b32_e32 v28, 2, v29
	v_add_co_u32_e32 v22, vcc, v22, v28
	v_addc_co_u32_e32 v23, vcc, 0, v23, vcc
	flat_load_dword v28, v[22:23]
.LBB557_53:
	s_or_b64 exec, exec, s[4:5]
	s_waitcnt vmcnt(0) lgkmcnt(0)
	ds_write2st64_b32 v7, v30, v31 offset1:4
	ds_write2st64_b32 v7, v32, v33 offset0:8 offset1:12
	ds_write2st64_b32 v7, v34, v2 offset0:16 offset1:20
	ds_write2st64_b32 v7, v3, v4 offset0:24 offset1:28
	ds_write2st64_b32 v7, v5, v6 offset0:32 offset1:36
	ds_write2st64_b32 v7, v24, v25 offset0:40 offset1:44
	ds_write2st64_b32 v7, v26, v27 offset0:48 offset1:52
	ds_write_b32 v7, v28 offset:14336
	v_mov_b32_e32 v36, v20
	v_mov_b32_e32 v37, v18
	;; [unrolled: 1-line block ×7, first 2 shown]
	s_waitcnt lgkmcnt(0)
	s_barrier
.LBB557_54:
	ds_read2_b32 v[34:35], v40 offset1:1
	ds_read2_b32 v[32:33], v40 offset0:2 offset1:3
	ds_read2_b32 v[30:31], v40 offset0:4 offset1:5
	;; [unrolled: 1-line block ×6, first 2 shown]
	ds_read_b32 v82, v40 offset:56
	s_cmp_eq_u64 s[40:41], 0
	s_cselect_b64 s[38:39], -1, 0
	s_cmp_lg_u64 s[40:41], 0
	s_mov_b64 s[6:7], 0
	s_cselect_b64 s[8:9], -1, 0
	s_and_b64 vcc, exec, s[48:49]
	s_waitcnt lgkmcnt(0)
	s_barrier
	s_cbranch_vccz .LBB557_60
; %bb.55:
	s_and_b64 vcc, exec, s[8:9]
	s_cbranch_vccz .LBB557_75
; %bb.56:
	v_add_co_u32_e32 v40, vcc, -4, v38
	v_addc_co_u32_e32 v41, vcc, -1, v39, vcc
	flat_load_dword v7, v[40:41]
	v_lshlrev_b32_e32 v40, 2, v0
	ds_write_b32 v40, v1
	s_waitcnt lgkmcnt(0)
	s_barrier
	s_and_saveexec_b64 s[4:5], s[2:3]
	s_cbranch_execz .LBB557_58
; %bb.57:
	s_waitcnt vmcnt(0)
	v_add_u32_e32 v7, -4, v40
	ds_read_b32 v7, v7
.LBB557_58:
	s_or_b64 exec, exec, s[4:5]
	v_cmp_ne_u32_e32 vcc, v36, v21
	v_cndmask_b32_e64 v79, 0, 1, vcc
	v_cmp_ne_u32_e32 vcc, v37, v21
	v_cndmask_b32_e64 v78, 0, 1, vcc
	v_cmp_ne_u32_e32 vcc, v37, v19
	v_cndmask_b32_e64 v77, 0, 1, vcc
	v_cmp_ne_u32_e32 vcc, v4, v19
	v_cndmask_b32_e64 v76, 0, 1, vcc
	v_cmp_ne_u32_e32 vcc, v4, v17
	v_cndmask_b32_e64 v75, 0, 1, vcc
	v_cmp_ne_u32_e32 vcc, v5, v17
	v_cndmask_b32_e64 v74, 0, 1, vcc
	v_cmp_ne_u32_e32 vcc, v5, v15
	v_cndmask_b32_e64 v73, 0, 1, vcc
	v_cmp_ne_u32_e32 vcc, v2, v15
	v_cndmask_b32_e64 v72, 0, 1, vcc
	v_cmp_ne_u32_e32 vcc, v2, v13
	v_cndmask_b32_e64 v71, 0, 1, vcc
	v_cmp_ne_u32_e32 vcc, v3, v13
	v_cndmask_b32_e64 v70, 0, 1, vcc
	v_cmp_ne_u32_e32 vcc, v3, v11
	v_cndmask_b32_e64 v69, 0, 1, vcc
	v_cmp_ne_u32_e32 vcc, v6, v11
	v_cndmask_b32_e64 v68, 0, 1, vcc
	v_cmp_ne_u32_e32 vcc, v6, v9
	v_cndmask_b32_e64 v67, 0, 1, vcc
	v_cmp_ne_u32_e32 vcc, v1, v9
	v_cndmask_b32_e64 v66, 0, 1, vcc
	s_waitcnt vmcnt(0) lgkmcnt(0)
	v_cmp_ne_u32_e64 s[4:5], v7, v20
	s_mov_b64 s[6:7], -1
.LBB557_59:
                                        ; implicit-def: $sgpr12
	s_branch .LBB557_87
.LBB557_60:
                                        ; implicit-def: $sgpr4_sgpr5
                                        ; implicit-def: $vgpr66
                                        ; implicit-def: $vgpr67
                                        ; implicit-def: $vgpr68
                                        ; implicit-def: $vgpr69
                                        ; implicit-def: $vgpr70
                                        ; implicit-def: $vgpr71
                                        ; implicit-def: $vgpr72
                                        ; implicit-def: $vgpr73
                                        ; implicit-def: $vgpr74
                                        ; implicit-def: $vgpr75
                                        ; implicit-def: $vgpr76
                                        ; implicit-def: $vgpr77
                                        ; implicit-def: $vgpr78
                                        ; implicit-def: $vgpr79
                                        ; implicit-def: $sgpr12
	s_cbranch_execnz .LBB557_79
	s_branch .LBB557_87
.LBB557_61:
	v_add_co_u32_e32 v30, vcc, v22, v7
	v_addc_co_u32_e32 v31, vcc, 0, v23, vcc
	flat_load_dword v30, v[30:31]
	s_or_b64 exec, exec, s[34:35]
                                        ; implicit-def: $vgpr31
	s_and_saveexec_b64 s[34:35], s[4:5]
	s_cbranch_execz .LBB557_39
.LBB557_62:
	v_add_co_u32_e32 v32, vcc, v22, v7
	v_addc_co_u32_e32 v33, vcc, 0, v23, vcc
	flat_load_dword v31, v[32:33] offset:1024
	s_or_b64 exec, exec, s[34:35]
                                        ; implicit-def: $vgpr32
	s_and_saveexec_b64 s[4:5], s[6:7]
	s_cbranch_execz .LBB557_40
.LBB557_63:
	v_add_co_u32_e32 v32, vcc, v22, v7
	v_addc_co_u32_e32 v33, vcc, 0, v23, vcc
	flat_load_dword v32, v[32:33] offset:2048
	s_or_b64 exec, exec, s[4:5]
                                        ; implicit-def: $vgpr33
	s_and_saveexec_b64 s[4:5], s[8:9]
	s_cbranch_execz .LBB557_41
.LBB557_64:
	v_add_co_u32_e32 v34, vcc, v22, v7
	v_addc_co_u32_e32 v35, vcc, 0, v23, vcc
	flat_load_dword v33, v[34:35] offset:3072
	s_or_b64 exec, exec, s[4:5]
                                        ; implicit-def: $vgpr34
	s_and_saveexec_b64 s[4:5], s[10:11]
	s_cbranch_execz .LBB557_42
.LBB557_65:
	v_lshlrev_b32_e32 v2, 2, v2
	v_add_co_u32_e32 v34, vcc, v22, v2
	v_addc_co_u32_e32 v35, vcc, 0, v23, vcc
	flat_load_dword v34, v[34:35]
	s_or_b64 exec, exec, s[4:5]
                                        ; implicit-def: $vgpr2
	s_and_saveexec_b64 s[4:5], s[12:13]
	s_cbranch_execz .LBB557_43
.LBB557_66:
	v_lshlrev_b32_e32 v2, 2, v3
	v_add_co_u32_e32 v2, vcc, v22, v2
	v_addc_co_u32_e32 v3, vcc, 0, v23, vcc
	flat_load_dword v2, v[2:3]
	s_or_b64 exec, exec, s[4:5]
                                        ; implicit-def: $vgpr3
	s_and_saveexec_b64 s[4:5], s[14:15]
	s_cbranch_execz .LBB557_44
.LBB557_67:
	v_lshlrev_b32_e32 v3, 2, v4
	v_add_co_u32_e32 v36, vcc, v22, v3
	v_addc_co_u32_e32 v37, vcc, 0, v23, vcc
	flat_load_dword v3, v[36:37]
	s_or_b64 exec, exec, s[4:5]
                                        ; implicit-def: $vgpr4
	s_and_saveexec_b64 s[4:5], s[16:17]
	s_cbranch_execz .LBB557_45
.LBB557_68:
	v_lshlrev_b32_e32 v4, 2, v5
	v_add_co_u32_e32 v4, vcc, v22, v4
	v_addc_co_u32_e32 v5, vcc, 0, v23, vcc
	flat_load_dword v4, v[4:5]
	s_or_b64 exec, exec, s[4:5]
                                        ; implicit-def: $vgpr5
	s_and_saveexec_b64 s[4:5], s[18:19]
	s_cbranch_execz .LBB557_46
.LBB557_69:
	v_lshlrev_b32_e32 v5, 2, v6
	v_add_co_u32_e32 v36, vcc, v22, v5
	v_addc_co_u32_e32 v37, vcc, 0, v23, vcc
	flat_load_dword v5, v[36:37]
	s_or_b64 exec, exec, s[4:5]
                                        ; implicit-def: $vgpr6
	s_and_saveexec_b64 s[4:5], s[20:21]
	s_cbranch_execz .LBB557_47
.LBB557_70:
	v_lshlrev_b32_e32 v6, 2, v24
	v_add_co_u32_e32 v36, vcc, v22, v6
	v_addc_co_u32_e32 v37, vcc, 0, v23, vcc
	flat_load_dword v6, v[36:37]
	s_or_b64 exec, exec, s[4:5]
                                        ; implicit-def: $vgpr24
	s_and_saveexec_b64 s[4:5], s[22:23]
	s_cbranch_execz .LBB557_48
.LBB557_71:
	v_lshlrev_b32_e32 v24, 2, v25
	v_add_co_u32_e32 v24, vcc, v22, v24
	v_addc_co_u32_e32 v25, vcc, 0, v23, vcc
	flat_load_dword v24, v[24:25]
	s_or_b64 exec, exec, s[4:5]
                                        ; implicit-def: $vgpr25
	s_and_saveexec_b64 s[4:5], s[24:25]
	s_cbranch_execz .LBB557_49
.LBB557_72:
	v_lshlrev_b32_e32 v25, 2, v26
	v_add_co_u32_e32 v36, vcc, v22, v25
	v_addc_co_u32_e32 v37, vcc, 0, v23, vcc
	flat_load_dword v25, v[36:37]
	s_or_b64 exec, exec, s[4:5]
                                        ; implicit-def: $vgpr26
	s_and_saveexec_b64 s[4:5], s[26:27]
	s_cbranch_execz .LBB557_50
.LBB557_73:
	v_lshlrev_b32_e32 v26, 2, v27
	v_add_co_u32_e32 v26, vcc, v22, v26
	v_addc_co_u32_e32 v27, vcc, 0, v23, vcc
	flat_load_dword v26, v[26:27]
	s_or_b64 exec, exec, s[4:5]
                                        ; implicit-def: $vgpr27
	s_and_saveexec_b64 s[4:5], s[28:29]
	s_cbranch_execz .LBB557_51
.LBB557_74:
	v_lshlrev_b32_e32 v27, 2, v28
	v_add_co_u32_e32 v36, vcc, v22, v27
	v_addc_co_u32_e32 v37, vcc, 0, v23, vcc
	flat_load_dword v27, v[36:37]
	s_or_b64 exec, exec, s[4:5]
                                        ; implicit-def: $vgpr28
	s_and_saveexec_b64 s[4:5], s[30:31]
	s_cbranch_execnz .LBB557_52
	s_branch .LBB557_53
.LBB557_75:
                                        ; implicit-def: $sgpr4_sgpr5
                                        ; implicit-def: $vgpr66
                                        ; implicit-def: $vgpr67
                                        ; implicit-def: $vgpr68
                                        ; implicit-def: $vgpr69
                                        ; implicit-def: $vgpr70
                                        ; implicit-def: $vgpr71
                                        ; implicit-def: $vgpr72
                                        ; implicit-def: $vgpr73
                                        ; implicit-def: $vgpr74
                                        ; implicit-def: $vgpr75
                                        ; implicit-def: $vgpr76
                                        ; implicit-def: $vgpr77
                                        ; implicit-def: $vgpr78
                                        ; implicit-def: $vgpr79
	s_cbranch_execz .LBB557_59
; %bb.76:
	v_cmp_ne_u32_e32 vcc, v21, v36
	v_cndmask_b32_e64 v79, 0, 1, vcc
	v_cmp_ne_u32_e32 vcc, v21, v37
	v_cndmask_b32_e64 v78, 0, 1, vcc
	;; [unrolled: 2-line block ×13, first 2 shown]
	v_cmp_ne_u32_e32 vcc, v9, v1
	v_lshlrev_b32_e32 v7, 2, v0
	v_cndmask_b32_e64 v66, 0, 1, vcc
	ds_write_b32 v7, v1
	s_waitcnt lgkmcnt(0)
	s_barrier
	s_waitcnt lgkmcnt(0)
                                        ; implicit-def: $sgpr4_sgpr5
	s_and_saveexec_b64 s[10:11], s[2:3]
	s_xor_b64 s[10:11], exec, s[10:11]
	s_cbranch_execz .LBB557_78
; %bb.77:
	v_add_u32_e32 v2, -4, v7
	ds_read_b32 v2, v2
	s_or_b64 s[6:7], s[6:7], exec
	s_waitcnt lgkmcnt(0)
	v_cmp_ne_u32_e32 vcc, v2, v20
	s_and_b64 s[4:5], vcc, exec
.LBB557_78:
	s_or_b64 exec, exec, s[10:11]
	s_mov_b32 s12, 1
	s_branch .LBB557_87
.LBB557_79:
	s_mul_hi_u32 s5, s40, 0xfffff100
	s_mul_i32 s4, s41, 0xfffff100
	s_sub_i32 s5, s5, s40
	s_add_i32 s5, s5, s4
	s_mul_i32 s4, s40, 0xfffff100
	s_add_u32 s10, s4, s56
	s_addc_u32 s11, s5, s57
	s_and_b64 vcc, exec, s[8:9]
	s_cbranch_vccz .LBB557_84
; %bb.80:
	v_add_co_u32_e32 v2, vcc, -4, v38
	v_addc_co_u32_e32 v3, vcc, -1, v39, vcc
	flat_load_dword v6, v[2:3]
	v_mad_u32_u24 v4, v0, 15, 14
	v_mov_b32_e32 v5, 0
	v_cmp_gt_u64_e32 vcc, s[10:11], v[4:5]
	v_cmp_ne_u32_e64 s[4:5], v9, v1
	v_mad_u32_u24 v4, v0, 15, 13
	s_and_b64 s[6:7], vcc, s[4:5]
	v_cmp_gt_u64_e32 vcc, s[10:11], v[4:5]
	v_cmp_ne_u32_e64 s[4:5], v8, v9
	v_mad_u32_u24 v4, v0, 15, 12
	s_and_b64 s[8:9], vcc, s[4:5]
	;; [unrolled: 4-line block ×13, first 2 shown]
	v_cmp_gt_u64_e32 vcc, s[10:11], v[4:5]
	v_cmp_ne_u32_e64 s[4:5], v20, v21
	v_lshlrev_b32_e32 v3, 2, v0
	v_mul_u32_u24_e32 v2, 15, v0
	s_and_b64 s[4:5], vcc, s[4:5]
	ds_write_b32 v3, v1
	s_waitcnt lgkmcnt(0)
	s_barrier
	s_and_saveexec_b64 s[40:41], s[2:3]
	s_cbranch_execz .LBB557_82
; %bb.81:
	v_add_u32_e32 v3, -4, v3
	s_waitcnt vmcnt(0)
	ds_read_b32 v6, v3
.LBB557_82:
	s_or_b64 exec, exec, s[40:41]
	v_mov_b32_e32 v3, v5
	v_cndmask_b32_e64 v79, 0, 1, s[4:5]
	v_cmp_gt_u64_e32 vcc, s[10:11], v[2:3]
	s_waitcnt vmcnt(0) lgkmcnt(0)
	v_cmp_ne_u32_e64 s[4:5], v6, v20
	v_cndmask_b32_e64 v66, 0, 1, s[6:7]
	v_cndmask_b32_e64 v67, 0, 1, s[8:9]
	;; [unrolled: 1-line block ×13, first 2 shown]
	s_and_b64 s[4:5], vcc, s[4:5]
	s_mov_b64 s[6:7], -1
.LBB557_83:
                                        ; implicit-def: $sgpr12
	v_mov_b32_e32 v81, s12
	s_and_saveexec_b64 s[2:3], s[6:7]
	s_cbranch_execnz .LBB557_88
	s_branch .LBB557_89
.LBB557_84:
                                        ; implicit-def: $sgpr4_sgpr5
                                        ; implicit-def: $vgpr66
                                        ; implicit-def: $vgpr67
                                        ; implicit-def: $vgpr68
                                        ; implicit-def: $vgpr69
                                        ; implicit-def: $vgpr70
                                        ; implicit-def: $vgpr71
                                        ; implicit-def: $vgpr72
                                        ; implicit-def: $vgpr73
                                        ; implicit-def: $vgpr74
                                        ; implicit-def: $vgpr75
                                        ; implicit-def: $vgpr76
                                        ; implicit-def: $vgpr77
                                        ; implicit-def: $vgpr78
                                        ; implicit-def: $vgpr79
	s_cbranch_execz .LBB557_83
; %bb.85:
	v_mad_u32_u24 v2, v0, 15, 14
	v_mov_b32_e32 v3, 0
	v_cmp_gt_u64_e32 vcc, s[10:11], v[2:3]
	v_cmp_ne_u32_e64 s[4:5], v9, v1
	s_and_b64 s[4:5], vcc, s[4:5]
	v_mad_u32_u24 v2, v0, 15, 13
	v_cndmask_b32_e64 v66, 0, 1, s[4:5]
	v_cmp_gt_u64_e32 vcc, s[10:11], v[2:3]
	v_cmp_ne_u32_e64 s[4:5], v8, v9
	s_and_b64 s[4:5], vcc, s[4:5]
	v_mad_u32_u24 v2, v0, 15, 12
	v_cndmask_b32_e64 v67, 0, 1, s[4:5]
	;; [unrolled: 5-line block ×13, first 2 shown]
	v_cmp_gt_u64_e32 vcc, s[10:11], v[2:3]
	v_cmp_ne_u32_e64 s[4:5], v20, v21
	s_and_b64 s[4:5], vcc, s[4:5]
	v_lshlrev_b32_e32 v4, 2, v0
	s_mov_b32 s12, 1
	v_cndmask_b32_e64 v79, 0, 1, s[4:5]
	ds_write_b32 v4, v1
	s_waitcnt lgkmcnt(0)
	s_barrier
	s_waitcnt lgkmcnt(0)
                                        ; implicit-def: $sgpr4_sgpr5
	s_and_saveexec_b64 s[8:9], s[2:3]
	s_cbranch_execz .LBB557_196
; %bb.86:
	v_add_u32_e32 v2, -4, v4
	ds_read_b32 v4, v2
	v_mul_u32_u24_e32 v2, 15, v0
	v_cmp_gt_u64_e32 vcc, s[10:11], v[2:3]
	s_or_b64 s[6:7], s[6:7], exec
	s_waitcnt lgkmcnt(0)
	v_cmp_ne_u32_e64 s[2:3], v4, v20
	s_and_b64 s[2:3], vcc, s[2:3]
	s_and_b64 s[4:5], s[2:3], exec
	s_or_b64 exec, exec, s[8:9]
.LBB557_87:
	v_mov_b32_e32 v81, s12
	s_and_saveexec_b64 s[2:3], s[6:7]
.LBB557_88:
	v_cndmask_b32_e64 v81, 0, 1, s[4:5]
.LBB557_89:
	s_or_b64 exec, exec, s[2:3]
	s_cmp_eq_u64 s[46:47], 0
	v_add3_u32 v2, v79, v81, v78
	s_cselect_b64 s[34:35], -1, 0
	s_cmp_lg_u32 s62, 0
	v_cmp_eq_u32_e64 s[26:27], 0, v79
	v_cmp_eq_u32_e64 s[24:25], 0, v78
	;; [unrolled: 1-line block ×3, first 2 shown]
	v_add3_u32 v86, v2, v77, v76
	v_cmp_eq_u32_e64 s[20:21], 0, v76
	v_cmp_eq_u32_e64 s[18:19], 0, v75
	;; [unrolled: 1-line block ×10, first 2 shown]
	v_cmp_eq_u32_e32 vcc, 0, v66
	v_mbcnt_lo_u32_b32 v85, -1, 0
	v_lshrrev_b32_e32 v83, 6, v0
	v_or_b32_e32 v84, 63, v0
	s_cbranch_scc0 .LBB557_120
; %bb.90:
	v_cndmask_b32_e64 v2, 0, v34, s[26:27]
	v_add_u32_e32 v2, v2, v35
	v_cndmask_b32_e64 v2, 0, v2, s[24:25]
	v_add_u32_e32 v2, v2, v32
	;; [unrolled: 2-line block ×11, first 2 shown]
	v_cndmask_b32_e64 v2, 0, v2, s[4:5]
	v_add3_u32 v3, v86, v75, v74
	v_add_u32_e32 v2, v2, v22
	v_add3_u32 v3, v3, v73, v72
	v_cndmask_b32_e64 v2, 0, v2, s[2:3]
	v_add3_u32 v3, v3, v71, v70
	v_add_u32_e32 v2, v2, v23
	v_add3_u32 v3, v3, v69, v68
	v_cndmask_b32_e32 v2, 0, v2, vcc
	v_add3_u32 v3, v3, v67, v66
	v_add_u32_e32 v2, v2, v82
	v_mbcnt_hi_u32_b32 v39, -1, v85
	v_and_b32_e32 v4, 15, v39
	v_mov_b32_dpp v6, v2 row_shr:1 row_mask:0xf bank_mask:0xf
	v_cmp_eq_u32_e32 vcc, 0, v3
	v_mov_b32_dpp v5, v3 row_shr:1 row_mask:0xf bank_mask:0xf
	v_cndmask_b32_e32 v6, 0, v6, vcc
	v_cmp_eq_u32_e32 vcc, 0, v4
	v_cndmask_b32_e64 v5, v5, 0, vcc
	v_add_u32_e32 v3, v5, v3
	v_cndmask_b32_e64 v5, v6, 0, vcc
	v_add_u32_e32 v2, v5, v2
	v_cmp_eq_u32_e32 vcc, 0, v3
	v_mov_b32_dpp v5, v3 row_shr:2 row_mask:0xf bank_mask:0xf
	v_cmp_lt_u32_e64 s[28:29], 1, v4
	v_mov_b32_dpp v6, v2 row_shr:2 row_mask:0xf bank_mask:0xf
	v_cndmask_b32_e64 v5, 0, v5, s[28:29]
	s_and_b64 vcc, s[28:29], vcc
	v_cndmask_b32_e32 v6, 0, v6, vcc
	v_add_u32_e32 v3, v3, v5
	v_add_u32_e32 v2, v6, v2
	v_cmp_eq_u32_e32 vcc, 0, v3
	v_mov_b32_dpp v5, v3 row_shr:4 row_mask:0xf bank_mask:0xf
	v_cmp_lt_u32_e64 s[28:29], 3, v4
	v_mov_b32_dpp v6, v2 row_shr:4 row_mask:0xf bank_mask:0xf
	v_cndmask_b32_e64 v5, 0, v5, s[28:29]
	s_and_b64 vcc, s[28:29], vcc
	v_cndmask_b32_e32 v6, 0, v6, vcc
	v_add_u32_e32 v3, v5, v3
	v_add_u32_e32 v2, v2, v6
	v_cmp_eq_u32_e32 vcc, 0, v3
	v_cmp_lt_u32_e64 s[28:29], 7, v4
	v_mov_b32_dpp v5, v3 row_shr:8 row_mask:0xf bank_mask:0xf
	v_mov_b32_dpp v6, v2 row_shr:8 row_mask:0xf bank_mask:0xf
	s_and_b64 vcc, s[28:29], vcc
	v_cndmask_b32_e64 v4, 0, v5, s[28:29]
	v_cndmask_b32_e32 v5, 0, v6, vcc
	v_add_u32_e32 v2, v5, v2
	v_add_u32_e32 v3, v4, v3
	v_bfe_i32 v6, v39, 4, 1
	v_mov_b32_dpp v5, v2 row_bcast:15 row_mask:0xf bank_mask:0xf
	v_mov_b32_dpp v4, v3 row_bcast:15 row_mask:0xf bank_mask:0xf
	v_cmp_eq_u32_e32 vcc, 0, v3
	v_cndmask_b32_e32 v5, 0, v5, vcc
	v_and_b32_e32 v4, v6, v4
	v_add_u32_e32 v3, v4, v3
	v_and_b32_e32 v4, v6, v5
	v_add_u32_e32 v4, v4, v2
	v_mov_b32_dpp v2, v3 row_bcast:31 row_mask:0xf bank_mask:0xf
	v_cmp_eq_u32_e32 vcc, 0, v3
	v_cmp_lt_u32_e64 s[28:29], 31, v39
	v_mov_b32_dpp v5, v4 row_bcast:31 row_mask:0xf bank_mask:0xf
	v_cndmask_b32_e64 v2, 0, v2, s[28:29]
	s_and_b64 vcc, s[28:29], vcc
	v_add_u32_e32 v2, v2, v3
	v_cndmask_b32_e32 v3, 0, v5, vcc
	v_add_u32_e32 v3, v3, v4
	v_cmp_eq_u32_e32 vcc, v84, v0
	v_lshlrev_b32_e32 v4, 3, v83
	s_and_saveexec_b64 s[28:29], vcc
	s_cbranch_execz .LBB557_92
; %bb.91:
	ds_write_b64 v4, v[2:3] offset:2064
.LBB557_92:
	s_or_b64 exec, exec, s[28:29]
	v_cmp_gt_u32_e32 vcc, 4, v0
	s_waitcnt lgkmcnt(0)
	s_barrier
	s_and_saveexec_b64 s[30:31], vcc
	s_cbranch_execz .LBB557_94
; %bb.93:
	v_lshlrev_b32_e32 v5, 3, v0
	ds_read_b64 v[6:7], v5 offset:2064
	v_and_b32_e32 v36, 3, v39
	v_cmp_lt_u32_e64 s[28:29], 1, v36
	s_waitcnt lgkmcnt(0)
	v_mov_b32_dpp v38, v7 row_shr:1 row_mask:0xf bank_mask:0xf
	v_cmp_eq_u32_e32 vcc, 0, v6
	v_mov_b32_dpp v37, v6 row_shr:1 row_mask:0xf bank_mask:0xf
	v_cndmask_b32_e32 v38, 0, v38, vcc
	v_cmp_eq_u32_e32 vcc, 0, v36
	v_cndmask_b32_e64 v37, v37, 0, vcc
	v_add_u32_e32 v6, v37, v6
	v_cndmask_b32_e64 v37, v38, 0, vcc
	v_add_u32_e32 v7, v37, v7
	v_cmp_eq_u32_e32 vcc, 0, v6
	v_mov_b32_dpp v37, v6 row_shr:2 row_mask:0xf bank_mask:0xf
	v_mov_b32_dpp v38, v7 row_shr:2 row_mask:0xf bank_mask:0xf
	v_cndmask_b32_e64 v36, 0, v37, s[28:29]
	s_and_b64 vcc, s[28:29], vcc
	v_add_u32_e32 v6, v36, v6
	v_cndmask_b32_e32 v36, 0, v38, vcc
	v_add_u32_e32 v7, v36, v7
	ds_write_b64 v5, v[6:7] offset:2064
.LBB557_94:
	s_or_b64 exec, exec, s[30:31]
	v_cmp_gt_u32_e32 vcc, 64, v0
	v_cmp_lt_u32_e64 s[28:29], 63, v0
	v_mov_b32_e32 v36, 0
	v_mov_b32_e32 v37, 0
	s_waitcnt lgkmcnt(0)
	s_barrier
	s_and_saveexec_b64 s[30:31], s[28:29]
	s_cbranch_execz .LBB557_96
; %bb.95:
	ds_read_b64 v[36:37], v4 offset:2056
	v_cmp_eq_u32_e64 s[28:29], 0, v2
	s_waitcnt lgkmcnt(0)
	v_add_u32_e32 v4, v36, v2
	v_cndmask_b32_e64 v2, 0, v37, s[28:29]
	v_add_u32_e32 v3, v2, v3
	v_mov_b32_e32 v2, v4
.LBB557_96:
	s_or_b64 exec, exec, s[30:31]
	v_add_u32_e32 v4, -1, v39
	v_and_b32_e32 v5, 64, v39
	v_cmp_lt_i32_e64 s[28:29], v4, v5
	v_cndmask_b32_e64 v4, v4, v39, s[28:29]
	v_lshlrev_b32_e32 v4, 2, v4
	ds_bpermute_b32 v44, v4, v2
	ds_bpermute_b32 v45, v4, v3
	v_cmp_eq_u32_e64 s[28:29], 0, v39
	s_and_saveexec_b64 s[40:41], vcc
	s_cbranch_execz .LBB557_119
; %bb.97:
	v_mov_b32_e32 v7, 0
	ds_read_b64 v[2:3], v7 offset:2088
	s_waitcnt lgkmcnt(0)
	v_readfirstlane_b32 s48, v2
	v_readfirstlane_b32 s49, v3
	s_and_saveexec_b64 s[30:31], s[28:29]
	s_cbranch_execz .LBB557_99
; %bb.98:
	s_add_i32 s46, s62, 64
	s_mov_b32 s47, 0
	s_lshl_b64 s[50:51], s[46:47], 4
	s_add_u32 s50, s44, s50
	s_addc_u32 s51, s45, s51
	s_and_b32 s57, s49, 0xff000000
	s_mov_b32 s56, s47
	s_and_b32 s65, s49, 0xff0000
	s_mov_b32 s64, s47
	s_or_b64 s[56:57], s[64:65], s[56:57]
	s_and_b32 s65, s49, 0xff00
	s_or_b64 s[56:57], s[56:57], s[64:65]
	s_and_b32 s65, s49, 0xff
	s_or_b64 s[46:47], s[56:57], s[64:65]
	v_mov_b32_e32 v4, s48
	v_mov_b32_e32 v5, s47
	;; [unrolled: 1-line block ×3, first 2 shown]
	v_pk_mov_b32 v[2:3], s[50:51], s[50:51] op_sel:[0,1]
	;;#ASMSTART
	global_store_dwordx4 v[2:3], v[4:7] off	
s_waitcnt vmcnt(0)
	;;#ASMEND
.LBB557_99:
	s_or_b64 exec, exec, s[30:31]
	v_xad_u32 v38, v39, -1, s62
	v_add_u32_e32 v6, 64, v38
	v_lshlrev_b64 v[2:3], 4, v[6:7]
	v_mov_b32_e32 v4, s45
	v_add_co_u32_e32 v40, vcc, s44, v2
	v_addc_co_u32_e32 v41, vcc, v4, v3, vcc
	;;#ASMSTART
	global_load_dwordx4 v[2:5], v[40:41] off glc	
s_waitcnt vmcnt(0)
	;;#ASMEND
	v_and_b32_e32 v5, 0xff, v3
	v_and_b32_e32 v6, 0xff00, v3
	;; [unrolled: 1-line block ×3, first 2 shown]
	v_or3_b32 v5, 0, v5, v6
	v_or3_b32 v2, v2, 0, 0
	v_and_b32_e32 v3, 0xff000000, v3
	v_or3_b32 v3, v5, v42, v3
	v_or3_b32 v2, v2, 0, 0
	v_cmp_eq_u16_sdwa s[46:47], v4, v7 src0_sel:BYTE_0 src1_sel:DWORD
	s_and_saveexec_b64 s[30:31], s[46:47]
	s_cbranch_execz .LBB557_105
; %bb.100:
	s_mov_b32 s50, 1
	s_mov_b64 s[46:47], 0
	v_mov_b32_e32 v6, 0
.LBB557_101:                            ; =>This Loop Header: Depth=1
                                        ;     Child Loop BB557_102 Depth 2
	s_max_u32 s51, s50, 1
.LBB557_102:                            ;   Parent Loop BB557_101 Depth=1
                                        ; =>  This Inner Loop Header: Depth=2
	s_add_i32 s51, s51, -1
	s_cmp_eq_u32 s51, 0
	s_sleep 1
	s_cbranch_scc0 .LBB557_102
; %bb.103:                              ;   in Loop: Header=BB557_101 Depth=1
	s_cmp_lt_u32 s50, 32
	s_cselect_b64 s[56:57], -1, 0
	s_cmp_lg_u64 s[56:57], 0
	s_addc_u32 s50, s50, 0
	;;#ASMSTART
	global_load_dwordx4 v[2:5], v[40:41] off glc	
s_waitcnt vmcnt(0)
	;;#ASMEND
	v_cmp_ne_u16_sdwa s[56:57], v4, v6 src0_sel:BYTE_0 src1_sel:DWORD
	s_or_b64 s[46:47], s[56:57], s[46:47]
	s_andn2_b64 exec, exec, s[46:47]
	s_cbranch_execnz .LBB557_101
; %bb.104:
	s_or_b64 exec, exec, s[46:47]
.LBB557_105:
	s_or_b64 exec, exec, s[30:31]
	v_mov_b32_e32 v46, 2
	v_cmp_eq_u16_sdwa s[30:31], v4, v46 src0_sel:BYTE_0 src1_sel:DWORD
	v_lshlrev_b64 v[40:41], v39, -1
	v_and_b32_e32 v5, s31, v41
	v_and_b32_e32 v47, 63, v39
	v_or_b32_e32 v5, 0x80000000, v5
	v_cmp_ne_u32_e32 vcc, 63, v47
	v_and_b32_e32 v6, s30, v40
	v_ffbl_b32_e32 v5, v5
	v_addc_co_u32_e32 v7, vcc, 0, v39, vcc
	v_add_u32_e32 v5, 32, v5
	v_ffbl_b32_e32 v6, v6
	v_lshlrev_b32_e32 v48, 2, v7
	v_min_u32_e32 v5, v6, v5
	ds_bpermute_b32 v6, v48, v3
	v_cmp_eq_u32_e32 vcc, 0, v2
	v_cmp_lt_u32_e64 s[30:31], v47, v5
	ds_bpermute_b32 v7, v48, v2
	s_and_b64 vcc, s[30:31], vcc
	s_waitcnt lgkmcnt(1)
	v_cndmask_b32_e32 v6, 0, v6, vcc
	v_cmp_gt_u32_e32 vcc, 62, v47
	v_add_u32_e32 v3, v6, v3
	v_cndmask_b32_e64 v6, 0, 1, vcc
	v_lshlrev_b32_e32 v6, 1, v6
	v_add_lshl_u32 v49, v6, v39, 2
	s_waitcnt lgkmcnt(0)
	v_cndmask_b32_e64 v7, 0, v7, s[30:31]
	ds_bpermute_b32 v6, v49, v3
	v_add_u32_e32 v2, v7, v2
	ds_bpermute_b32 v7, v49, v2
	v_add_u32_e32 v50, 2, v47
	v_cmp_eq_u32_e32 vcc, 0, v2
	s_waitcnt lgkmcnt(1)
	v_cndmask_b32_e32 v6, 0, v6, vcc
	v_cmp_gt_u32_e32 vcc, v50, v5
	v_cndmask_b32_e64 v6, v6, 0, vcc
	v_add_u32_e32 v3, v6, v3
	s_waitcnt lgkmcnt(0)
	v_cndmask_b32_e64 v6, v7, 0, vcc
	v_cmp_gt_u32_e32 vcc, 60, v47
	v_cndmask_b32_e64 v7, 0, 1, vcc
	v_lshlrev_b32_e32 v7, 2, v7
	v_add_lshl_u32 v51, v7, v39, 2
	ds_bpermute_b32 v7, v51, v3
	v_add_u32_e32 v2, v2, v6
	ds_bpermute_b32 v6, v51, v2
	v_add_u32_e32 v52, 4, v47
	v_cmp_eq_u32_e32 vcc, 0, v2
	s_waitcnt lgkmcnt(1)
	v_cndmask_b32_e32 v7, 0, v7, vcc
	v_cmp_gt_u32_e32 vcc, v52, v5
	v_cndmask_b32_e64 v7, v7, 0, vcc
	s_waitcnt lgkmcnt(0)
	v_cndmask_b32_e64 v6, v6, 0, vcc
	v_cmp_gt_u32_e32 vcc, 56, v47
	v_add_u32_e32 v3, v3, v7
	v_cndmask_b32_e64 v7, 0, 1, vcc
	v_lshlrev_b32_e32 v7, 3, v7
	v_add_lshl_u32 v53, v7, v39, 2
	ds_bpermute_b32 v7, v53, v3
	v_add_u32_e32 v2, v2, v6
	ds_bpermute_b32 v6, v53, v2
	v_add_u32_e32 v54, 8, v47
	v_cmp_eq_u32_e32 vcc, 0, v2
	s_waitcnt lgkmcnt(1)
	v_cndmask_b32_e32 v7, 0, v7, vcc
	v_cmp_gt_u32_e32 vcc, v54, v5
	v_cndmask_b32_e64 v7, v7, 0, vcc
	s_waitcnt lgkmcnt(0)
	v_cndmask_b32_e64 v6, v6, 0, vcc
	v_cmp_gt_u32_e32 vcc, 48, v47
	v_add_u32_e32 v3, v3, v7
	v_cndmask_b32_e64 v7, 0, 1, vcc
	v_lshlrev_b32_e32 v7, 4, v7
	v_add_lshl_u32 v55, v7, v39, 2
	ds_bpermute_b32 v7, v55, v3
	v_add_u32_e32 v2, v2, v6
	ds_bpermute_b32 v6, v55, v2
	v_add_u32_e32 v56, 16, v47
	v_cmp_eq_u32_e32 vcc, 0, v2
	s_waitcnt lgkmcnt(1)
	v_cndmask_b32_e32 v7, 0, v7, vcc
	v_cmp_gt_u32_e32 vcc, v56, v5
	v_cndmask_b32_e64 v7, v7, 0, vcc
	s_waitcnt lgkmcnt(0)
	v_cndmask_b32_e64 v6, v6, 0, vcc
	v_cmp_gt_u32_e32 vcc, 32, v47
	v_add_u32_e32 v3, v3, v7
	v_cndmask_b32_e64 v7, 0, 1, vcc
	v_lshlrev_b32_e32 v7, 5, v7
	v_add_lshl_u32 v57, v7, v39, 2
	ds_bpermute_b32 v7, v57, v3
	v_add_u32_e32 v2, v2, v6
	ds_bpermute_b32 v6, v57, v2
	v_add_u32_e32 v58, 32, v47
	v_cmp_eq_u32_e32 vcc, 0, v2
	s_waitcnt lgkmcnt(1)
	v_cndmask_b32_e32 v7, 0, v7, vcc
	v_cmp_gt_u32_e32 vcc, v58, v5
	v_cndmask_b32_e64 v5, v7, 0, vcc
	v_add_u32_e32 v3, v5, v3
	s_waitcnt lgkmcnt(0)
	v_cndmask_b32_e64 v5, v6, 0, vcc
	v_add_u32_e32 v2, v5, v2
	v_mov_b32_e32 v39, 0
	s_branch .LBB557_107
.LBB557_106:                            ;   in Loop: Header=BB557_107 Depth=1
	s_or_b64 exec, exec, s[30:31]
	v_cmp_eq_u16_sdwa s[30:31], v4, v46 src0_sel:BYTE_0 src1_sel:DWORD
	v_and_b32_e32 v5, s31, v41
	v_or_b32_e32 v5, 0x80000000, v5
	v_and_b32_e32 v42, s30, v40
	v_ffbl_b32_e32 v5, v5
	v_add_u32_e32 v5, 32, v5
	v_ffbl_b32_e32 v42, v42
	v_min_u32_e32 v5, v42, v5
	ds_bpermute_b32 v42, v48, v3
	v_cmp_eq_u32_e32 vcc, 0, v2
	v_cmp_lt_u32_e64 s[30:31], v47, v5
	ds_bpermute_b32 v43, v48, v2
	s_and_b64 vcc, s[30:31], vcc
	s_waitcnt lgkmcnt(1)
	v_cndmask_b32_e32 v42, 0, v42, vcc
	v_add_u32_e32 v3, v42, v3
	ds_bpermute_b32 v42, v49, v3
	s_waitcnt lgkmcnt(1)
	v_cndmask_b32_e64 v43, 0, v43, s[30:31]
	v_add_u32_e32 v2, v43, v2
	v_cmp_eq_u32_e32 vcc, 0, v2
	ds_bpermute_b32 v43, v49, v2
	s_waitcnt lgkmcnt(1)
	v_cndmask_b32_e32 v42, 0, v42, vcc
	v_cmp_gt_u32_e32 vcc, v50, v5
	v_cndmask_b32_e64 v42, v42, 0, vcc
	v_add_u32_e32 v3, v42, v3
	ds_bpermute_b32 v42, v51, v3
	s_waitcnt lgkmcnt(1)
	v_cndmask_b32_e64 v43, v43, 0, vcc
	v_add_u32_e32 v2, v2, v43
	v_cmp_eq_u32_e32 vcc, 0, v2
	ds_bpermute_b32 v43, v51, v2
	s_waitcnt lgkmcnt(1)
	v_cndmask_b32_e32 v42, 0, v42, vcc
	v_cmp_gt_u32_e32 vcc, v52, v5
	v_cndmask_b32_e64 v42, v42, 0, vcc
	v_add_u32_e32 v3, v3, v42
	ds_bpermute_b32 v42, v53, v3
	s_waitcnt lgkmcnt(1)
	v_cndmask_b32_e64 v43, v43, 0, vcc
	v_add_u32_e32 v2, v2, v43
	ds_bpermute_b32 v43, v53, v2
	v_cmp_eq_u32_e32 vcc, 0, v2
	s_waitcnt lgkmcnt(1)
	v_cndmask_b32_e32 v42, 0, v42, vcc
	v_cmp_gt_u32_e32 vcc, v54, v5
	v_cndmask_b32_e64 v42, v42, 0, vcc
	v_add_u32_e32 v3, v3, v42
	ds_bpermute_b32 v42, v55, v3
	s_waitcnt lgkmcnt(1)
	v_cndmask_b32_e64 v43, v43, 0, vcc
	v_add_u32_e32 v2, v2, v43
	ds_bpermute_b32 v43, v55, v2
	v_cmp_eq_u32_e32 vcc, 0, v2
	;; [unrolled: 11-line block ×3, first 2 shown]
	s_waitcnt lgkmcnt(1)
	v_cndmask_b32_e32 v42, 0, v42, vcc
	v_cmp_gt_u32_e32 vcc, v58, v5
	v_cndmask_b32_e64 v5, v42, 0, vcc
	v_add_u32_e32 v3, v5, v3
	s_waitcnt lgkmcnt(0)
	v_cndmask_b32_e64 v5, v43, 0, vcc
	v_cmp_eq_u32_e32 vcc, 0, v6
	v_cndmask_b32_e32 v3, 0, v3, vcc
	v_subrev_u32_e32 v38, 64, v38
	v_add3_u32 v2, v2, v6, v5
	v_add_u32_e32 v3, v3, v7
.LBB557_107:                            ; =>This Loop Header: Depth=1
                                        ;     Child Loop BB557_110 Depth 2
                                        ;       Child Loop BB557_111 Depth 3
	v_cmp_ne_u16_sdwa s[30:31], v4, v46 src0_sel:BYTE_0 src1_sel:DWORD
	v_mov_b32_e32 v7, v3
	v_cndmask_b32_e64 v3, 0, 1, s[30:31]
	;;#ASMSTART
	;;#ASMEND
	v_cmp_ne_u32_e32 vcc, 0, v3
	s_cmp_lg_u64 vcc, exec
	v_mov_b32_e32 v6, v2
	s_cbranch_scc1 .LBB557_114
; %bb.108:                              ;   in Loop: Header=BB557_107 Depth=1
	v_lshlrev_b64 v[2:3], 4, v[38:39]
	v_mov_b32_e32 v4, s45
	v_add_co_u32_e32 v42, vcc, s44, v2
	v_addc_co_u32_e32 v43, vcc, v4, v3, vcc
	;;#ASMSTART
	global_load_dwordx4 v[2:5], v[42:43] off glc	
s_waitcnt vmcnt(0)
	;;#ASMEND
	v_and_b32_e32 v5, 0xff, v3
	v_and_b32_e32 v59, 0xff00, v3
	;; [unrolled: 1-line block ×3, first 2 shown]
	v_or3_b32 v5, 0, v5, v59
	v_or3_b32 v2, v2, 0, 0
	v_and_b32_e32 v3, 0xff000000, v3
	v_or3_b32 v3, v5, v60, v3
	v_or3_b32 v2, v2, 0, 0
	v_cmp_eq_u16_sdwa s[46:47], v4, v39 src0_sel:BYTE_0 src1_sel:DWORD
	s_and_saveexec_b64 s[30:31], s[46:47]
	s_cbranch_execz .LBB557_106
; %bb.109:                              ;   in Loop: Header=BB557_107 Depth=1
	s_mov_b32 s50, 1
	s_mov_b64 s[46:47], 0
.LBB557_110:                            ;   Parent Loop BB557_107 Depth=1
                                        ; =>  This Loop Header: Depth=2
                                        ;       Child Loop BB557_111 Depth 3
	s_max_u32 s51, s50, 1
.LBB557_111:                            ;   Parent Loop BB557_107 Depth=1
                                        ;     Parent Loop BB557_110 Depth=2
                                        ; =>    This Inner Loop Header: Depth=3
	s_add_i32 s51, s51, -1
	s_cmp_eq_u32 s51, 0
	s_sleep 1
	s_cbranch_scc0 .LBB557_111
; %bb.112:                              ;   in Loop: Header=BB557_110 Depth=2
	s_cmp_lt_u32 s50, 32
	s_cselect_b64 s[56:57], -1, 0
	s_cmp_lg_u64 s[56:57], 0
	s_addc_u32 s50, s50, 0
	;;#ASMSTART
	global_load_dwordx4 v[2:5], v[42:43] off glc	
s_waitcnt vmcnt(0)
	;;#ASMEND
	v_cmp_ne_u16_sdwa s[56:57], v4, v39 src0_sel:BYTE_0 src1_sel:DWORD
	s_or_b64 s[46:47], s[56:57], s[46:47]
	s_andn2_b64 exec, exec, s[46:47]
	s_cbranch_execnz .LBB557_110
; %bb.113:                              ;   in Loop: Header=BB557_107 Depth=1
	s_or_b64 exec, exec, s[46:47]
	s_branch .LBB557_106
.LBB557_114:                            ;   in Loop: Header=BB557_107 Depth=1
                                        ; implicit-def: $vgpr3
                                        ; implicit-def: $vgpr2
                                        ; implicit-def: $vgpr4
	s_cbranch_execz .LBB557_107
; %bb.115:
	s_and_saveexec_b64 s[30:31], s[28:29]
	s_cbranch_execz .LBB557_117
; %bb.116:
	s_cmp_eq_u32 s48, 0
	s_cselect_b64 vcc, -1, 0
	s_mov_b32 s47, 0
	v_cndmask_b32_e32 v2, 0, v7, vcc
	s_add_i32 s46, s62, 64
	v_add_u32_e32 v2, s49, v2
	s_lshl_b64 s[46:47], s[46:47], 4
	s_add_u32 s46, s44, s46
	v_and_b32_e32 v3, 0xff000000, v2
	v_and_b32_e32 v4, 0xff0000, v2
	s_addc_u32 s47, s45, s47
	v_or_b32_e32 v3, v4, v3
	v_and_b32_e32 v4, 0xff00, v2
	v_and_b32_e32 v2, 0xff, v2
	v_add_u32_e32 v38, s48, v6
	v_mov_b32_e32 v41, 0
	v_or3_b32 v39, v3, v4, v2
	v_mov_b32_e32 v40, 2
	v_pk_mov_b32 v[2:3], s[46:47], s[46:47] op_sel:[0,1]
	;;#ASMSTART
	global_store_dwordx4 v[2:3], v[38:41] off	
s_waitcnt vmcnt(0)
	;;#ASMEND
	v_mov_b32_e32 v4, s48
	v_mov_b32_e32 v5, s49
	ds_write_b128 v41, v[4:7] offset:2048
.LBB557_117:
	s_or_b64 exec, exec, s[30:31]
	s_and_b64 exec, exec, s[0:1]
	s_cbranch_execz .LBB557_119
; %bb.118:
	v_mov_b32_e32 v2, 0
	ds_write_b64 v2, v[6:7] offset:2088
.LBB557_119:
	s_or_b64 exec, exec, s[40:41]
	v_mov_b32_e32 v4, 0
	s_waitcnt lgkmcnt(0)
	s_barrier
	ds_read_b64 v[2:3], v4 offset:2088
	v_cndmask_b32_e64 v6, v44, v36, s[28:29]
	v_cmp_eq_u32_e32 vcc, 0, v6
	v_cndmask_b32_e64 v5, v45, v37, s[28:29]
	s_waitcnt lgkmcnt(0)
	v_cndmask_b32_e32 v7, 0, v3, vcc
	v_add_u32_e32 v5, v7, v5
	v_cndmask_b32_e64 v65, v5, v3, s[0:1]
	v_cndmask_b32_e64 v3, v6, 0, s[0:1]
	v_cmp_eq_u32_e32 vcc, 0, v81
	v_add_u32_e32 v64, v2, v3
	v_cndmask_b32_e32 v2, 0, v65, vcc
	v_add_u32_e32 v63, v2, v34
	v_cndmask_b32_e64 v2, 0, v63, s[26:27]
	v_add_u32_e32 v61, v2, v35
	v_cndmask_b32_e64 v2, 0, v61, s[24:25]
	v_add_u32_e32 v59, v2, v32
	v_cndmask_b32_e64 v2, 0, v59, s[22:23]
	v_add_u32_e32 v57, v2, v33
	v_cndmask_b32_e64 v2, 0, v57, s[20:21]
	v_add_u32_e32 v55, v2, v30
	v_cndmask_b32_e64 v2, 0, v55, s[18:19]
	v_add_u32_e32 v53, v2, v31
	v_cndmask_b32_e64 v2, 0, v53, s[16:17]
	v_add_u32_e32 v51, v2, v28
	v_cndmask_b32_e64 v2, 0, v51, s[14:15]
	v_add_u32_e32 v49, v2, v29
	v_cndmask_b32_e64 v2, 0, v49, s[12:13]
	v_add_u32_e32 v62, v64, v81
	v_add_u32_e32 v47, v2, v26
	v_add_u32_e32 v60, v62, v79
	v_cndmask_b32_e64 v2, 0, v47, s[10:11]
	v_add_u32_e32 v58, v60, v78
	v_add_u32_e32 v45, v2, v27
	v_add_u32_e32 v56, v58, v77
	v_cndmask_b32_e64 v2, 0, v45, s[8:9]
	;; [unrolled: 4-line block ×3, first 2 shown]
	v_add_u32_e32 v50, v52, v74
	v_add_u32_e32 v41, v2, v25
	s_barrier
	ds_read_b128 v[2:5], v4 offset:2048
	v_add_u32_e32 v48, v50, v73
	v_add_u32_e32 v46, v48, v72
	;; [unrolled: 1-line block ×4, first 2 shown]
	v_cndmask_b32_e64 v6, 0, v41, s[4:5]
	v_add_u32_e32 v40, v42, v69
	v_add_u32_e32 v39, v6, v22
	s_waitcnt lgkmcnt(0)
	v_cmp_eq_u32_e32 vcc, 0, v2
	v_add_u32_e32 v38, v40, v68
	v_cndmask_b32_e64 v6, 0, v39, s[2:3]
	v_cndmask_b32_e32 v5, 0, v5, vcc
	v_add_u32_e32 v36, v38, v67
	v_add_u32_e32 v37, v6, v23
	;; [unrolled: 1-line block ×3, first 2 shown]
	s_branch .LBB557_132
.LBB557_120:
                                        ; implicit-def: $vgpr2
                                        ; implicit-def: $vgpr80
                                        ; implicit-def: $vgpr64_vgpr65
                                        ; implicit-def: $vgpr62_vgpr63
                                        ; implicit-def: $vgpr60_vgpr61
                                        ; implicit-def: $vgpr58_vgpr59
                                        ; implicit-def: $vgpr56_vgpr57
                                        ; implicit-def: $vgpr54_vgpr55
                                        ; implicit-def: $vgpr52_vgpr53
                                        ; implicit-def: $vgpr50_vgpr51
                                        ; implicit-def: $vgpr48_vgpr49
                                        ; implicit-def: $vgpr46_vgpr47
                                        ; implicit-def: $vgpr44_vgpr45
                                        ; implicit-def: $vgpr42_vgpr43
                                        ; implicit-def: $vgpr40_vgpr41
                                        ; implicit-def: $vgpr38_vgpr39
                                        ; implicit-def: $vgpr36_vgpr37
	s_cbranch_execz .LBB557_132
; %bb.121:
	s_and_b64 s[2:3], s[34:35], exec
	s_cselect_b32 s3, 0, s61
	s_cselect_b32 s2, 0, s60
	s_cmp_eq_u64 s[2:3], 0
	v_mov_b32_e32 v6, v34
	s_cbranch_scc1 .LBB557_123
; %bb.122:
	v_mov_b32_e32 v2, 0
	global_load_dword v6, v2, s[2:3]
.LBB557_123:
	v_cmp_eq_u32_e64 s[2:3], 0, v79
	v_cndmask_b32_e64 v2, 0, v34, s[2:3]
	v_add_u32_e32 v2, v2, v35
	v_cmp_eq_u32_e64 s[4:5], 0, v78
	v_cndmask_b32_e64 v2, 0, v2, s[4:5]
	v_add_u32_e32 v2, v2, v32
	;; [unrolled: 3-line block ×11, first 2 shown]
	v_cmp_eq_u32_e64 s[24:25], 0, v68
	v_cndmask_b32_e64 v2, 0, v2, s[24:25]
	v_add3_u32 v3, v86, v75, v74
	v_add_u32_e32 v2, v2, v22
	v_cmp_eq_u32_e32 vcc, 0, v67
	v_add3_u32 v3, v3, v73, v72
	v_cndmask_b32_e32 v2, 0, v2, vcc
	v_add3_u32 v3, v3, v71, v70
	v_add_u32_e32 v2, v2, v23
	v_cmp_eq_u32_e64 s[26:27], 0, v66
	v_add3_u32 v3, v3, v69, v68
	v_cndmask_b32_e64 v2, 0, v2, s[26:27]
	v_add3_u32 v3, v3, v67, v66
	v_add_u32_e32 v2, v2, v82
	v_mbcnt_hi_u32_b32 v7, -1, v85
	v_and_b32_e32 v4, 15, v7
	v_mov_b32_dpp v36, v2 row_shr:1 row_mask:0xf bank_mask:0xf
	v_cmp_eq_u32_e64 s[26:27], 0, v3
	v_mov_b32_dpp v5, v3 row_shr:1 row_mask:0xf bank_mask:0xf
	v_cndmask_b32_e64 v36, 0, v36, s[26:27]
	v_cmp_eq_u32_e64 s[26:27], 0, v4
	v_cndmask_b32_e64 v5, v5, 0, s[26:27]
	v_add_u32_e32 v3, v5, v3
	v_cndmask_b32_e64 v5, v36, 0, s[26:27]
	v_add_u32_e32 v2, v5, v2
	v_cmp_eq_u32_e64 s[26:27], 0, v3
	v_mov_b32_dpp v5, v3 row_shr:2 row_mask:0xf bank_mask:0xf
	v_cmp_lt_u32_e64 s[28:29], 1, v4
	v_mov_b32_dpp v36, v2 row_shr:2 row_mask:0xf bank_mask:0xf
	v_cndmask_b32_e64 v5, 0, v5, s[28:29]
	s_and_b64 s[26:27], s[28:29], s[26:27]
	v_cndmask_b32_e64 v36, 0, v36, s[26:27]
	v_add_u32_e32 v3, v3, v5
	v_add_u32_e32 v2, v36, v2
	v_cmp_eq_u32_e64 s[26:27], 0, v3
	v_mov_b32_dpp v5, v3 row_shr:4 row_mask:0xf bank_mask:0xf
	v_cmp_lt_u32_e64 s[28:29], 3, v4
	v_mov_b32_dpp v36, v2 row_shr:4 row_mask:0xf bank_mask:0xf
	v_cndmask_b32_e64 v5, 0, v5, s[28:29]
	s_and_b64 s[26:27], s[28:29], s[26:27]
	v_cndmask_b32_e64 v36, 0, v36, s[26:27]
	v_add_u32_e32 v3, v5, v3
	v_add_u32_e32 v2, v2, v36
	v_cmp_eq_u32_e64 s[26:27], 0, v3
	v_cmp_lt_u32_e64 s[28:29], 7, v4
	v_mov_b32_dpp v5, v3 row_shr:8 row_mask:0xf bank_mask:0xf
	v_mov_b32_dpp v36, v2 row_shr:8 row_mask:0xf bank_mask:0xf
	s_and_b64 s[26:27], s[28:29], s[26:27]
	v_cndmask_b32_e64 v4, 0, v5, s[28:29]
	v_cndmask_b32_e64 v5, 0, v36, s[26:27]
	v_add_u32_e32 v2, v5, v2
	v_add_u32_e32 v3, v4, v3
	v_bfe_i32 v36, v7, 4, 1
	v_mov_b32_dpp v5, v2 row_bcast:15 row_mask:0xf bank_mask:0xf
	v_mov_b32_dpp v4, v3 row_bcast:15 row_mask:0xf bank_mask:0xf
	v_cmp_eq_u32_e64 s[26:27], 0, v3
	v_cndmask_b32_e64 v5, 0, v5, s[26:27]
	v_and_b32_e32 v4, v36, v4
	v_add_u32_e32 v3, v4, v3
	v_and_b32_e32 v4, v36, v5
	v_add_u32_e32 v4, v4, v2
	v_mov_b32_dpp v2, v3 row_bcast:31 row_mask:0xf bank_mask:0xf
	v_cmp_eq_u32_e64 s[26:27], 0, v3
	v_cmp_lt_u32_e64 s[28:29], 31, v7
	v_mov_b32_dpp v5, v4 row_bcast:31 row_mask:0xf bank_mask:0xf
	v_cndmask_b32_e64 v2, 0, v2, s[28:29]
	s_and_b64 s[26:27], s[28:29], s[26:27]
	v_add_u32_e32 v2, v2, v3
	v_cndmask_b32_e64 v3, 0, v5, s[26:27]
	v_add_u32_e32 v3, v3, v4
	v_cmp_eq_u32_e64 s[26:27], v84, v0
	s_and_saveexec_b64 s[28:29], s[26:27]
	s_cbranch_execz .LBB557_125
; %bb.124:
	v_lshlrev_b32_e32 v4, 3, v83
	ds_write_b64 v4, v[2:3] offset:2064
.LBB557_125:
	s_or_b64 exec, exec, s[28:29]
	v_cmp_gt_u32_e64 s[26:27], 4, v0
	s_waitcnt lgkmcnt(0)
	s_barrier
	s_and_saveexec_b64 s[30:31], s[26:27]
	s_cbranch_execz .LBB557_127
; %bb.126:
	v_lshlrev_b32_e32 v36, 3, v0
	ds_read_b64 v[4:5], v36 offset:2064
	v_and_b32_e32 v37, 3, v7
	v_cmp_lt_u32_e64 s[28:29], 1, v37
	s_waitcnt lgkmcnt(0)
	v_mov_b32_dpp v39, v5 row_shr:1 row_mask:0xf bank_mask:0xf
	v_cmp_eq_u32_e64 s[26:27], 0, v4
	v_mov_b32_dpp v38, v4 row_shr:1 row_mask:0xf bank_mask:0xf
	v_cndmask_b32_e64 v39, 0, v39, s[26:27]
	v_cmp_eq_u32_e64 s[26:27], 0, v37
	v_cndmask_b32_e64 v38, v38, 0, s[26:27]
	v_add_u32_e32 v4, v38, v4
	v_cndmask_b32_e64 v38, v39, 0, s[26:27]
	v_add_u32_e32 v5, v38, v5
	v_cmp_eq_u32_e64 s[26:27], 0, v4
	v_mov_b32_dpp v38, v4 row_shr:2 row_mask:0xf bank_mask:0xf
	v_mov_b32_dpp v39, v5 row_shr:2 row_mask:0xf bank_mask:0xf
	v_cndmask_b32_e64 v37, 0, v38, s[28:29]
	s_and_b64 s[26:27], s[28:29], s[26:27]
	v_add_u32_e32 v4, v37, v4
	v_cndmask_b32_e64 v37, 0, v39, s[26:27]
	v_add_u32_e32 v5, v37, v5
	ds_write_b64 v36, v[4:5] offset:2064
.LBB557_127:
	s_or_b64 exec, exec, s[30:31]
	v_cmp_lt_u32_e64 s[26:27], 63, v0
	v_mov_b32_e32 v36, 0
	v_mov_b32_e32 v4, 0
	s_waitcnt vmcnt(0)
	v_mov_b32_e32 v5, v6
	s_waitcnt lgkmcnt(0)
	s_barrier
	s_and_saveexec_b64 s[28:29], s[26:27]
	s_cbranch_execz .LBB557_129
; %bb.128:
	v_lshlrev_b32_e32 v4, 3, v83
	ds_read_b64 v[4:5], v4 offset:2056
	s_waitcnt lgkmcnt(0)
	v_cmp_eq_u32_e64 s[26:27], 0, v4
	v_cndmask_b32_e64 v37, 0, v6, s[26:27]
	v_add_u32_e32 v5, v37, v5
.LBB557_129:
	s_or_b64 exec, exec, s[28:29]
	v_cmp_eq_u32_e64 s[26:27], 0, v2
	v_add_u32_e32 v37, v4, v2
	v_cndmask_b32_e64 v2, 0, v5, s[26:27]
	v_add_u32_e32 v2, v2, v3
	v_add_u32_e32 v3, -1, v7
	v_and_b32_e32 v38, 64, v7
	v_cmp_lt_i32_e64 s[26:27], v3, v38
	v_cndmask_b32_e64 v3, v3, v7, s[26:27]
	v_lshlrev_b32_e32 v3, 2, v3
	ds_bpermute_b32 v2, v3, v2
	ds_bpermute_b32 v37, v3, v37
	v_cmp_eq_u32_e64 s[26:27], 0, v7
	s_waitcnt lgkmcnt(1)
	v_cndmask_b32_e64 v2, v2, v5, s[26:27]
	s_waitcnt lgkmcnt(0)
	v_cndmask_b32_e64 v3, v37, v4, s[26:27]
	v_cndmask_b32_e64 v65, v2, v6, s[0:1]
	v_cmp_eq_u32_e64 s[26:27], 0, v81
	v_cndmask_b32_e64 v2, 0, v65, s[26:27]
	v_add_u32_e32 v63, v2, v34
	v_cndmask_b32_e64 v2, 0, v63, s[2:3]
	v_add_u32_e32 v61, v2, v35
	;; [unrolled: 2-line block ×8, first 2 shown]
	v_cndmask_b32_e64 v64, v3, 0, s[0:1]
	v_cndmask_b32_e64 v2, 0, v49, s[16:17]
	v_add_u32_e32 v62, v64, v81
	v_add_u32_e32 v47, v2, v26
	v_add_u32_e32 v60, v62, v79
	v_cndmask_b32_e64 v2, 0, v47, s[18:19]
	v_add_u32_e32 v58, v60, v78
	v_add_u32_e32 v45, v2, v27
	v_add_u32_e32 v56, v58, v77
	;; [unrolled: 4-line block ×3, first 2 shown]
	v_cndmask_b32_e64 v2, 0, v43, s[22:23]
	v_add_u32_e32 v50, v52, v74
	v_add_u32_e32 v41, v2, v25
	ds_read_b64 v[2:3], v36 offset:2088
	v_add_u32_e32 v48, v50, v73
	v_add_u32_e32 v46, v48, v72
	;; [unrolled: 1-line block ×3, first 2 shown]
	v_cndmask_b32_e64 v4, 0, v41, s[24:25]
	v_add_u32_e32 v42, v44, v70
	v_add_u32_e32 v39, v4, v22
	;; [unrolled: 1-line block ×3, first 2 shown]
	v_cndmask_b32_e32 v4, 0, v39, vcc
	s_waitcnt lgkmcnt(0)
	v_cmp_eq_u32_e32 vcc, 0, v2
	v_add_u32_e32 v38, v40, v68
	v_add_u32_e32 v37, v4, v23
	v_cndmask_b32_e32 v4, 0, v6, vcc
	v_add_u32_e32 v36, v38, v67
	v_add_u32_e32 v80, v4, v3
	s_and_saveexec_b64 s[2:3], s[0:1]
	s_cbranch_execz .LBB557_131
; %bb.130:
	s_add_u32 s4, s44, 0x400
	v_and_b32_e32 v3, 0xff000000, v80
	v_and_b32_e32 v4, 0xff0000, v80
	s_addc_u32 s5, s45, 0
	v_or_b32_e32 v3, v4, v3
	v_and_b32_e32 v4, 0xff00, v80
	v_and_b32_e32 v6, 0xff, v80
	v_mov_b32_e32 v5, 0
	v_or3_b32 v3, v3, v4, v6
	v_mov_b32_e32 v4, 2
	v_pk_mov_b32 v[6:7], s[4:5], s[4:5] op_sel:[0,1]
	;;#ASMSTART
	global_store_dwordx4 v[6:7], v[2:5] off	
s_waitcnt vmcnt(0)
	;;#ASMEND
.LBB557_131:
	s_or_b64 exec, exec, s[2:3]
	v_mov_b32_e32 v4, 0
.LBB557_132:
	s_and_b64 s[2:3], s[34:35], exec
	s_cselect_b32 s3, 0, s59
	s_cselect_b32 s2, 0, s58
	s_cmp_eq_u64 s[2:3], 0
	v_pk_mov_b32 v[6:7], 0, 0
	s_barrier
	s_cbranch_scc1 .LBB557_134
; %bb.133:
	v_mov_b32_e32 v3, 0
	global_load_dwordx2 v[6:7], v3, s[2:3]
.LBB557_134:
	s_waitcnt vmcnt(0)
	v_lshlrev_b64 v[22:23], 2, v[6:7]
	v_mov_b32_e32 v3, s43
	v_add_co_u32_e32 v26, vcc, s42, v22
	v_mov_b32_e32 v5, 0
	v_addc_co_u32_e32 v27, vcc, v3, v23, vcc
	v_lshlrev_b64 v[24:25], 2, v[4:5]
	v_add_co_u32_e32 v3, vcc, v26, v24
	v_addc_co_u32_e32 v5, vcc, v27, v25, vcc
	v_cmp_eq_u32_e32 vcc, 0, v81
	v_cndmask_b32_e64 v26, 1, 2, vcc
	v_cmp_eq_u32_e32 vcc, 0, v79
	v_cndmask_b32_e64 v27, 1, 2, vcc
	v_cmp_eq_u32_e32 vcc, 0, v78
	v_and_b32_e32 v26, v27, v26
	v_cndmask_b32_e64 v27, 1, 2, vcc
	v_cmp_eq_u32_e32 vcc, 0, v77
	v_and_b32_e32 v26, v26, v27
	;; [unrolled: 3-line block ×13, first 2 shown]
	v_cndmask_b32_e64 v27, 1, 2, vcc
	s_movk_i32 s34, 0x100
	v_and_b32_e32 v26, v26, v27
	v_cmp_gt_u32_e32 vcc, s34, v2
	v_cmp_ne_u32_e64 s[30:31], 0, v81
	v_cmp_ne_u32_e64 s[28:29], 0, v79
	;; [unrolled: 1-line block ×15, first 2 shown]
	s_mov_b64 s[40:41], -1
	v_cmp_gt_i16_e64 s[34:35], 2, v26
	s_cbranch_vccz .LBB557_141
; %bb.135:
	s_and_saveexec_b64 s[40:41], s[34:35]
	s_cbranch_execz .LBB557_140
; %bb.136:
	v_cmp_ne_u16_e32 vcc, 1, v26
	s_mov_b64 s[42:43], 0
	s_and_saveexec_b64 s[34:35], vcc
	s_xor_b64 s[34:35], exec, s[34:35]
	s_cbranch_execnz .LBB557_197
; %bb.137:
	s_andn2_saveexec_b64 s[34:35], s[34:35]
	s_cbranch_execnz .LBB557_213
.LBB557_138:
	s_or_b64 exec, exec, s[34:35]
	s_and_b64 exec, exec, s[42:43]
	s_cbranch_execz .LBB557_140
.LBB557_139:
	v_sub_u32_e32 v28, v36, v4
	v_mov_b32_e32 v29, 0
	v_lshlrev_b64 v[28:29], 2, v[28:29]
	v_add_co_u32_e32 v28, vcc, v3, v28
	v_addc_co_u32_e32 v29, vcc, v5, v29, vcc
	global_store_dword v[28:29], v1, off
.LBB557_140:
	s_or_b64 exec, exec, s[40:41]
	s_mov_b64 s[40:41], 0
.LBB557_141:
	s_and_b64 vcc, exec, s[40:41]
	s_cbranch_vccz .LBB557_163
; %bb.142:
	v_cmp_gt_i16_e32 vcc, 2, v26
	s_and_saveexec_b64 s[34:35], vcc
	s_cbranch_execz .LBB557_147
; %bb.143:
	v_cmp_ne_u16_e32 vcc, 1, v26
	s_mov_b64 s[42:43], 0
	s_and_saveexec_b64 s[40:41], vcc
	s_xor_b64 s[40:41], exec, s[40:41]
	s_cbranch_execnz .LBB557_214
; %bb.144:
	s_andn2_saveexec_b64 s[2:3], s[40:41]
	s_cbranch_execnz .LBB557_230
.LBB557_145:
	s_or_b64 exec, exec, s[2:3]
	s_and_b64 exec, exec, s[42:43]
	s_cbranch_execz .LBB557_147
.LBB557_146:
	v_sub_u32_e32 v8, v36, v4
	v_lshlrev_b32_e32 v8, 2, v8
	ds_write_b32 v8, v1
.LBB557_147:
	s_or_b64 exec, exec, s[34:35]
	v_cmp_lt_u32_e32 vcc, v0, v2
	s_waitcnt lgkmcnt(0)
	s_barrier
	s_and_saveexec_b64 s[4:5], vcc
	s_cbranch_execz .LBB557_162
; %bb.148:
	v_xad_u32 v1, v0, -1, v2
	s_movk_i32 s2, 0x1700
	v_cmp_gt_u32_e64 s[6:7], s2, v1
	s_movk_i32 s2, 0x16ff
	v_cmp_lt_u32_e32 vcc, s2, v1
	v_mov_b32_e32 v8, v0
	s_and_saveexec_b64 s[8:9], vcc
	s_cbranch_execz .LBB557_159
; %bb.149:
	v_sub_u32_e32 v8, v0, v2
	v_or_b32_e32 v8, 0xff, v8
	v_cmp_ge_u32_e32 vcc, v8, v0
	s_mov_b64 s[2:3], -1
	v_mov_b32_e32 v8, v0
	s_and_saveexec_b64 s[10:11], vcc
	s_cbranch_execz .LBB557_158
; %bb.150:
	v_lshrrev_b32_e32 v12, 8, v1
	v_add_u32_e32 v8, -1, v12
	v_or_b32_e32 v1, 0x100, v0
	v_lshrrev_b32_e32 v9, 1, v8
	v_add_u32_e32 v13, 1, v9
	v_cmp_lt_u32_e32 vcc, 13, v8
	v_mov_b32_e32 v16, 0
	v_pk_mov_b32 v[8:9], v[0:1], v[0:1] op_sel:[0,1]
	s_and_saveexec_b64 s[12:13], vcc
	s_cbranch_execz .LBB557_154
; %bb.151:
	v_and_b32_e32 v14, -8, v13
	v_lshlrev_b32_e32 v15, 2, v0
	s_mov_b32 s16, 0
	s_mov_b64 s[14:15], 0
	v_mov_b32_e32 v11, 0
	v_pk_mov_b32 v[8:9], v[0:1], v[0:1] op_sel:[0,1]
.LBB557_152:                            ; =>This Inner Loop Header: Depth=1
	v_mov_b32_e32 v10, v8
	v_add_u32_e32 v14, -8, v14
	v_lshlrev_b64 v[96:97], 2, v[10:11]
	v_mov_b32_e32 v10, v9
	ds_read2st64_b32 v[18:19], v15 offset1:4
	s_add_i32 s16, s16, 16
	v_cmp_eq_u32_e32 vcc, 0, v14
	v_lshlrev_b64 v[100:101], 2, v[10:11]
	v_add_u32_e32 v10, 0x200, v8
	s_or_b64 s[14:15], vcc, s[14:15]
	v_add_co_u32_e32 v100, vcc, v3, v100
	v_add_u32_e32 v16, 0x200, v9
	v_mov_b32_e32 v17, v11
	ds_read2st64_b32 v[20:21], v15 offset0:8 offset1:12
	ds_read2st64_b32 v[28:29], v15 offset0:16 offset1:20
	v_add_co_u32_e64 v96, s[2:3], v3, v96
	v_addc_co_u32_e32 v101, vcc, v5, v101, vcc
	v_lshlrev_b64 v[102:103], 2, v[10:11]
	v_lshlrev_b64 v[98:99], 2, v[16:17]
	v_addc_co_u32_e64 v97, s[2:3], v5, v97, s[2:3]
	v_add_u32_e32 v10, 0x400, v8
	v_add_co_u32_e32 v102, vcc, v3, v102
	v_add_u32_e32 v26, 0x400, v9
	v_mov_b32_e32 v27, v11
	ds_read2st64_b32 v[32:33], v15 offset0:24 offset1:28
	v_add_co_u32_e64 v98, s[2:3], v3, v98
	v_addc_co_u32_e32 v103, vcc, v5, v103, vcc
	v_lshlrev_b64 v[104:105], 2, v[10:11]
	ds_read2st64_b32 v[82:83], v15 offset0:32 offset1:36
	ds_read2st64_b32 v[86:87], v15 offset0:40 offset1:44
	;; [unrolled: 1-line block ×4, first 2 shown]
	v_lshlrev_b64 v[26:27], 2, v[26:27]
	v_addc_co_u32_e64 v99, s[2:3], v5, v99, s[2:3]
	v_add_u32_e32 v10, 0x600, v8
	s_waitcnt lgkmcnt(7)
	global_store_dword v[96:97], v18, off
	global_store_dword v[100:101], v19, off
	s_waitcnt lgkmcnt(6)
	global_store_dword v[102:103], v20, off
	global_store_dword v[98:99], v21, off
	v_add_co_u32_e32 v18, vcc, v3, v104
	v_add_u32_e32 v30, 0x600, v9
	v_mov_b32_e32 v31, v11
	v_add_co_u32_e64 v26, s[2:3], v3, v26
	v_addc_co_u32_e32 v19, vcc, v5, v105, vcc
	v_lshlrev_b64 v[20:21], 2, v[10:11]
	v_lshlrev_b64 v[30:31], 2, v[30:31]
	v_addc_co_u32_e64 v27, s[2:3], v5, v27, s[2:3]
	v_add_u32_e32 v10, 0x800, v8
	s_waitcnt lgkmcnt(5)
	global_store_dword v[18:19], v28, off
	global_store_dword v[26:27], v29, off
	v_add_co_u32_e32 v18, vcc, v3, v20
	v_add_u32_e32 v34, 0x800, v9
	v_mov_b32_e32 v35, v11
	v_add_co_u32_e64 v30, s[2:3], v3, v30
	v_addc_co_u32_e32 v19, vcc, v5, v21, vcc
	v_lshlrev_b64 v[20:21], 2, v[10:11]
	v_lshlrev_b64 v[34:35], 2, v[34:35]
	v_addc_co_u32_e64 v31, s[2:3], v5, v31, s[2:3]
	v_add_u32_e32 v10, 0xa00, v8
	;; [unrolled: 12-line block ×4, first 2 shown]
	s_waitcnt lgkmcnt(2)
	global_store_dword v[18:19], v86, off
	global_store_dword v[84:85], v87, off
	v_add_co_u32_e32 v18, vcc, v3, v20
	v_add_u32_e32 v92, 0xe00, v9
	v_mov_b32_e32 v93, v11
	v_add_co_u32_e64 v88, s[2:3], v3, v88
	v_addc_co_u32_e32 v19, vcc, v5, v21, vcc
	v_lshlrev_b64 v[20:21], 2, v[10:11]
	v_lshlrev_b64 v[92:93], 2, v[92:93]
	v_addc_co_u32_e64 v89, s[2:3], v5, v89, s[2:3]
	s_waitcnt lgkmcnt(1)
	global_store_dword v[18:19], v90, off
	global_store_dword v[88:89], v91, off
	v_add_co_u32_e32 v18, vcc, v3, v20
	v_add_u32_e32 v15, 0x4000, v15
	v_add_u32_e32 v9, 0x1000, v9
	v_mov_b32_e32 v16, s16
	v_add_co_u32_e64 v92, s[2:3], v3, v92
	v_add_u32_e32 v8, 0x1000, v8
	v_addc_co_u32_e32 v19, vcc, v5, v21, vcc
	v_addc_co_u32_e64 v93, s[2:3], v5, v93, s[2:3]
	s_waitcnt lgkmcnt(0)
	global_store_dword v[18:19], v94, off
	global_store_dword v[92:93], v95, off
	s_andn2_b64 exec, exec, s[14:15]
	s_cbranch_execnz .LBB557_152
; %bb.153:
	s_or_b64 exec, exec, s[14:15]
.LBB557_154:
	s_or_b64 exec, exec, s[12:13]
	v_and_b32_e32 v1, 7, v13
	v_cmp_ne_u32_e32 vcc, 0, v1
	s_and_saveexec_b64 s[12:13], vcc
	s_cbranch_execz .LBB557_157
; %bb.155:
	v_lshlrev_b32_e32 v10, 2, v0
	v_lshl_or_b32 v13, v16, 10, v10
	s_mov_b64 s[14:15], 0
	v_mov_b32_e32 v11, 0
.LBB557_156:                            ; =>This Inner Loop Header: Depth=1
	ds_read2st64_b32 v[14:15], v13 offset1:4
	v_mov_b32_e32 v10, v8
	v_add_u32_e32 v1, -1, v1
	v_lshlrev_b64 v[16:17], 2, v[10:11]
	v_mov_b32_e32 v10, v9
	v_cmp_eq_u32_e32 vcc, 0, v1
	v_add_co_u32_e64 v16, s[2:3], v3, v16
	v_lshlrev_b64 v[18:19], 2, v[10:11]
	v_add_u32_e32 v8, 0x200, v8
	v_add_u32_e32 v13, 0x800, v13
	;; [unrolled: 1-line block ×3, first 2 shown]
	v_addc_co_u32_e64 v17, s[2:3], v5, v17, s[2:3]
	s_or_b64 s[14:15], vcc, s[14:15]
	v_add_co_u32_e32 v18, vcc, v3, v18
	v_addc_co_u32_e32 v19, vcc, v5, v19, vcc
	s_waitcnt lgkmcnt(0)
	global_store_dword v[16:17], v14, off
	global_store_dword v[18:19], v15, off
	s_andn2_b64 exec, exec, s[14:15]
	s_cbranch_execnz .LBB557_156
.LBB557_157:
	s_or_b64 exec, exec, s[12:13]
	v_add_u32_e32 v1, 1, v12
	v_and_b32_e32 v9, 0x1fffffe, v1
	v_cmp_ne_u32_e32 vcc, v1, v9
	v_lshl_or_b32 v8, v9, 8, v0
	s_orn2_b64 s[2:3], vcc, exec
.LBB557_158:
	s_or_b64 exec, exec, s[10:11]
	s_andn2_b64 s[6:7], s[6:7], exec
	s_and_b64 s[2:3], s[2:3], exec
	s_or_b64 s[6:7], s[6:7], s[2:3]
.LBB557_159:
	s_or_b64 exec, exec, s[8:9]
	s_and_b64 exec, exec, s[6:7]
	s_cbranch_execz .LBB557_162
; %bb.160:
	v_lshlrev_b32_e32 v1, 2, v8
	s_mov_b64 s[2:3], 0
	v_mov_b32_e32 v9, 0
.LBB557_161:                            ; =>This Inner Loop Header: Depth=1
	v_lshlrev_b64 v[10:11], 2, v[8:9]
	ds_read_b32 v12, v1
	v_add_co_u32_e32 v10, vcc, v3, v10
	v_add_u32_e32 v8, 0x100, v8
	v_addc_co_u32_e32 v11, vcc, v5, v11, vcc
	v_cmp_ge_u32_e32 vcc, v8, v2
	v_add_u32_e32 v1, 0x400, v1
	s_or_b64 s[2:3], vcc, s[2:3]
	s_waitcnt lgkmcnt(0)
	global_store_dword v[10:11], v12, off
	s_andn2_b64 exec, exec, s[2:3]
	s_cbranch_execnz .LBB557_161
.LBB557_162:
	s_or_b64 exec, exec, s[4:5]
.LBB557_163:
	s_cmpk_lg_i32 s33, 0xf00
	s_cselect_b64 s[2:3], -1, 0
	s_and_b64 s[0:1], s[0:1], s[38:39]
	v_cndmask_b32_e64 v5, v81, 0, s[0:1]
	s_mul_hi_u32 s0, s33, 0x88888889
	s_lshr_b32 s0, s0, 3
	v_mad_i32_i24 v9, v0, -15, s33
	v_cmp_eq_u32_e32 vcc, s0, v0
	v_cmp_ne_u32_e64 s[0:1], 0, v9
	v_cndmask_b32_e64 v10, 1, v5, s[0:1]
	v_cmp_ne_u32_e64 s[0:1], 1, v9
	v_cndmask_b32_e64 v11, 1, v79, s[0:1]
	;; [unrolled: 2-line block ×15, first 2 shown]
	s_and_b64 vcc, vcc, s[36:37]
	v_cndmask_b32_e32 v28, v66, v9, vcc
	v_cndmask_b32_e32 v27, v67, v27, vcc
	;; [unrolled: 1-line block ×15, first 2 shown]
	v_mov_b32_e32 v5, s53
	v_add_co_u32_e32 v9, vcc, s52, v22
	v_addc_co_u32_e32 v12, vcc, v5, v23, vcc
	v_cndmask_b32_e64 v1, 0, 1, s[38:39]
	v_add_co_u32_e32 v5, vcc, v9, v24
	v_addc_co_u32_e32 v12, vcc, v12, v25, vcc
	v_lshlrev_b32_e32 v9, 2, v1
	v_add_co_u32_e32 v9, vcc, v9, v5
	v_addc_co_u32_e32 v14, vcc, 0, v12, vcc
	v_add_co_u32_e32 v13, vcc, -4, v9
	v_addc_co_u32_e32 v14, vcc, -1, v14, vcc
	v_cmp_eq_u32_e32 vcc, 0, v10
	v_cmp_ne_u32_e64 s[28:29], 0, v10
	v_cndmask_b32_e64 v10, 1, 2, vcc
	v_cmp_eq_u32_e32 vcc, 0, v11
	v_cmp_ne_u32_e64 s[26:27], 0, v11
	v_cndmask_b32_e64 v11, 1, 2, vcc
	v_cmp_eq_u32_e32 vcc, 0, v31
	v_and_b32_e32 v10, v11, v10
	v_cndmask_b32_e64 v11, 1, 2, vcc
	v_cmp_eq_u32_e32 vcc, 0, v30
	v_and_b32_e32 v10, v10, v11
	;; [unrolled: 3-line block ×10, first 2 shown]
	v_cndmask_b32_e64 v11, 1, 2, vcc
	v_cmp_eq_u32_e32 vcc, 0, v26
	s_and_b64 s[2:3], s[2:3], s[36:37]
	v_and_b32_e32 v10, v10, v11
	v_cndmask_b32_e64 v11, 1, 2, vcc
	v_cmp_eq_u32_e32 vcc, 0, v27
	v_sub_u32_e32 v3, v2, v1
	v_cndmask_b32_e64 v8, 0, 1, s[2:3]
	v_and_b32_e32 v10, v10, v11
	v_cndmask_b32_e64 v11, 1, 2, vcc
	v_cmp_eq_u32_e32 vcc, 0, v28
	v_add_u32_e32 v3, v3, v8
	v_and_b32_e32 v10, v10, v11
	v_cndmask_b32_e64 v11, 1, 2, vcc
	s_movk_i32 s30, 0x100
	v_and_b32_e32 v10, v10, v11
	v_cmp_gt_u32_e32 vcc, s30, v3
	v_add_u32_e32 v9, v4, v1
	v_cmp_ne_u32_e64 s[24:25], 0, v31
	v_cmp_ne_u32_e64 s[22:23], 0, v30
	;; [unrolled: 1-line block ×13, first 2 shown]
	s_mov_b64 s[34:35], -1
	v_cmp_gt_i16_e64 s[30:31], 2, v10
	s_barrier
	s_cbranch_vccz .LBB557_170
; %bb.164:
	s_and_saveexec_b64 s[34:35], s[30:31]
	s_cbranch_execz .LBB557_169
; %bb.165:
	v_cmp_ne_u16_e32 vcc, 1, v10
	s_mov_b64 s[38:39], 0
	s_and_saveexec_b64 s[30:31], vcc
	s_xor_b64 s[30:31], exec, s[30:31]
	s_cbranch_execnz .LBB557_231
; %bb.166:
	s_andn2_saveexec_b64 s[30:31], s[30:31]
	s_cbranch_execnz .LBB557_247
.LBB557_167:
	s_or_b64 exec, exec, s[30:31]
	s_and_b64 exec, exec, s[38:39]
	s_cbranch_execz .LBB557_169
.LBB557_168:
	v_sub_u32_e32 v16, v36, v9
	v_mov_b32_e32 v17, 0
	v_lshlrev_b64 v[16:17], 2, v[16:17]
	v_add_co_u32_e32 v16, vcc, v13, v16
	v_addc_co_u32_e32 v17, vcc, v14, v17, vcc
	global_store_dword v[16:17], v37, off
.LBB557_169:
	s_or_b64 exec, exec, s[34:35]
	s_mov_b64 s[34:35], 0
.LBB557_170:
	s_and_b64 vcc, exec, s[34:35]
	s_cbranch_vccz .LBB557_192
; %bb.171:
	v_cmp_gt_i16_e32 vcc, 2, v10
	s_and_saveexec_b64 s[30:31], vcc
	s_cbranch_execz .LBB557_176
; %bb.172:
	v_cmp_ne_u16_e32 vcc, 1, v10
	s_mov_b64 s[38:39], 0
	s_and_saveexec_b64 s[34:35], vcc
	s_xor_b64 s[34:35], exec, s[34:35]
	s_cbranch_execnz .LBB557_248
; %bb.173:
	s_andn2_saveexec_b64 s[0:1], s[34:35]
	s_cbranch_execnz .LBB557_264
.LBB557_174:
	s_or_b64 exec, exec, s[0:1]
	s_and_b64 exec, exec, s[38:39]
	s_cbranch_execz .LBB557_176
.LBB557_175:
	v_sub_u32_e32 v9, v36, v9
	v_lshlrev_b32_e32 v9, 2, v9
	ds_write_b32 v9, v37
.LBB557_176:
	s_or_b64 exec, exec, s[30:31]
	v_cmp_lt_u32_e32 vcc, v0, v3
	s_waitcnt lgkmcnt(0)
	s_barrier
	s_and_saveexec_b64 s[2:3], vcc
	s_cbranch_execz .LBB557_191
; %bb.177:
	v_add_u32_e32 v10, v2, v8
	v_xad_u32 v8, v0, -1, v10
	v_sub_u32_e32 v9, v8, v1
	s_movk_i32 s0, 0x1900
	v_cmp_gt_u32_e64 s[4:5], s0, v9
	s_movk_i32 s0, 0x18ff
	v_cmp_lt_u32_e32 vcc, s0, v9
	v_mov_b32_e32 v8, v0
	s_and_saveexec_b64 s[6:7], vcc
	s_cbranch_execz .LBB557_188
; %bb.178:
	v_sub_u32_e32 v8, v0, v10
	v_add_u32_e32 v1, v8, v1
	v_or_b32_e32 v1, 0xff, v1
	v_cmp_ge_u32_e32 vcc, v1, v0
	s_mov_b64 s[0:1], -1
	v_mov_b32_e32 v8, v0
	s_and_saveexec_b64 s[8:9], vcc
	s_cbranch_execz .LBB557_187
; %bb.179:
	v_lshrrev_b32_e32 v15, 8, v9
	v_add_u32_e32 v8, -1, v15
	v_or_b32_e32 v1, 0x100, v0
	v_lshrrev_b32_e32 v9, 1, v8
	v_add_u32_e32 v17, 1, v9
	v_cmp_lt_u32_e32 vcc, 13, v8
	v_mov_b32_e32 v20, 0
	v_lshlrev_b32_e32 v16, 2, v0
	v_pk_mov_b32 v[8:9], v[0:1], v[0:1] op_sel:[0,1]
	s_and_saveexec_b64 s[10:11], vcc
	s_cbranch_execz .LBB557_183
; %bb.180:
	v_and_b32_e32 v18, -8, v17
	s_mov_b32 s14, 0
	s_mov_b64 s[12:13], 0
	v_mov_b32_e32 v11, 0
	v_mov_b32_e32 v19, v16
	v_pk_mov_b32 v[8:9], v[0:1], v[0:1] op_sel:[0,1]
.LBB557_181:                            ; =>This Inner Loop Header: Depth=1
	v_mov_b32_e32 v10, v8
	v_add_u32_e32 v18, -8, v18
	v_lshlrev_b64 v[50:51], 2, v[10:11]
	v_mov_b32_e32 v10, v9
	ds_read2st64_b32 v[22:23], v19 offset1:4
	s_add_i32 s14, s14, 16
	v_cmp_eq_u32_e32 vcc, 0, v18
	v_lshlrev_b64 v[54:55], 2, v[10:11]
	v_add_u32_e32 v10, 0x200, v8
	s_or_b64 s[12:13], vcc, s[12:13]
	v_add_co_u32_e32 v54, vcc, v13, v54
	v_add_u32_e32 v20, 0x200, v9
	v_mov_b32_e32 v21, v11
	ds_read2st64_b32 v[24:25], v19 offset0:8 offset1:12
	ds_read2st64_b32 v[28:29], v19 offset0:16 offset1:20
	v_add_co_u32_e64 v50, s[0:1], v13, v50
	v_addc_co_u32_e32 v55, vcc, v14, v55, vcc
	v_lshlrev_b64 v[56:57], 2, v[10:11]
	v_lshlrev_b64 v[52:53], 2, v[20:21]
	v_addc_co_u32_e64 v51, s[0:1], v14, v51, s[0:1]
	v_add_u32_e32 v10, 0x400, v8
	v_add_co_u32_e32 v56, vcc, v13, v56
	v_add_u32_e32 v26, 0x400, v9
	v_mov_b32_e32 v27, v11
	ds_read2st64_b32 v[32:33], v19 offset0:24 offset1:28
	v_add_co_u32_e64 v52, s[0:1], v13, v52
	v_addc_co_u32_e32 v57, vcc, v14, v57, vcc
	v_lshlrev_b64 v[58:59], 2, v[10:11]
	ds_read2st64_b32 v[36:37], v19 offset0:32 offset1:36
	ds_read2st64_b32 v[40:41], v19 offset0:40 offset1:44
	ds_read2st64_b32 v[44:45], v19 offset0:48 offset1:52
	ds_read2st64_b32 v[48:49], v19 offset0:56 offset1:60
	v_lshlrev_b64 v[26:27], 2, v[26:27]
	v_addc_co_u32_e64 v53, s[0:1], v14, v53, s[0:1]
	v_add_u32_e32 v10, 0x600, v8
	s_waitcnt lgkmcnt(7)
	global_store_dword v[50:51], v22, off
	global_store_dword v[54:55], v23, off
	s_waitcnt lgkmcnt(6)
	global_store_dword v[56:57], v24, off
	global_store_dword v[52:53], v25, off
	v_add_co_u32_e32 v22, vcc, v13, v58
	v_add_u32_e32 v30, 0x600, v9
	v_mov_b32_e32 v31, v11
	v_add_co_u32_e64 v26, s[0:1], v13, v26
	v_addc_co_u32_e32 v23, vcc, v14, v59, vcc
	v_lshlrev_b64 v[24:25], 2, v[10:11]
	v_lshlrev_b64 v[30:31], 2, v[30:31]
	v_addc_co_u32_e64 v27, s[0:1], v14, v27, s[0:1]
	v_add_u32_e32 v10, 0x800, v8
	s_waitcnt lgkmcnt(5)
	global_store_dword v[22:23], v28, off
	global_store_dword v[26:27], v29, off
	v_add_co_u32_e32 v22, vcc, v13, v24
	v_add_u32_e32 v34, 0x800, v9
	v_mov_b32_e32 v35, v11
	v_add_co_u32_e64 v30, s[0:1], v13, v30
	v_addc_co_u32_e32 v23, vcc, v14, v25, vcc
	v_lshlrev_b64 v[24:25], 2, v[10:11]
	v_lshlrev_b64 v[34:35], 2, v[34:35]
	v_addc_co_u32_e64 v31, s[0:1], v14, v31, s[0:1]
	v_add_u32_e32 v10, 0xa00, v8
	;; [unrolled: 12-line block ×4, first 2 shown]
	s_waitcnt lgkmcnt(2)
	global_store_dword v[22:23], v40, off
	global_store_dword v[38:39], v41, off
	v_add_co_u32_e32 v22, vcc, v13, v24
	v_add_u32_e32 v46, 0xe00, v9
	v_mov_b32_e32 v47, v11
	v_add_co_u32_e64 v42, s[0:1], v13, v42
	v_addc_co_u32_e32 v23, vcc, v14, v25, vcc
	v_lshlrev_b64 v[24:25], 2, v[10:11]
	v_lshlrev_b64 v[46:47], 2, v[46:47]
	v_addc_co_u32_e64 v43, s[0:1], v14, v43, s[0:1]
	s_waitcnt lgkmcnt(1)
	global_store_dword v[22:23], v44, off
	global_store_dword v[42:43], v45, off
	v_add_co_u32_e32 v22, vcc, v13, v24
	v_add_u32_e32 v19, 0x4000, v19
	v_add_u32_e32 v9, 0x1000, v9
	v_mov_b32_e32 v20, s14
	v_add_co_u32_e64 v46, s[0:1], v13, v46
	v_add_u32_e32 v8, 0x1000, v8
	v_addc_co_u32_e32 v23, vcc, v14, v25, vcc
	v_addc_co_u32_e64 v47, s[0:1], v14, v47, s[0:1]
	s_waitcnt lgkmcnt(0)
	global_store_dword v[22:23], v48, off
	global_store_dword v[46:47], v49, off
	s_andn2_b64 exec, exec, s[12:13]
	s_cbranch_execnz .LBB557_181
; %bb.182:
	s_or_b64 exec, exec, s[12:13]
.LBB557_183:
	s_or_b64 exec, exec, s[10:11]
	v_and_b32_e32 v1, 7, v17
	v_cmp_ne_u32_e32 vcc, 0, v1
	s_and_saveexec_b64 s[10:11], vcc
	s_cbranch_execz .LBB557_186
; %bb.184:
	v_lshl_or_b32 v16, v20, 10, v16
	s_mov_b64 s[12:13], 0
	v_mov_b32_e32 v11, 0
.LBB557_185:                            ; =>This Inner Loop Header: Depth=1
	ds_read2st64_b32 v[18:19], v16 offset1:4
	v_mov_b32_e32 v10, v8
	v_add_u32_e32 v1, -1, v1
	v_lshlrev_b64 v[20:21], 2, v[10:11]
	v_mov_b32_e32 v10, v9
	v_cmp_eq_u32_e32 vcc, 0, v1
	v_add_co_u32_e64 v20, s[0:1], v13, v20
	v_lshlrev_b64 v[22:23], 2, v[10:11]
	v_add_u32_e32 v8, 0x200, v8
	v_add_u32_e32 v16, 0x800, v16
	;; [unrolled: 1-line block ×3, first 2 shown]
	v_addc_co_u32_e64 v21, s[0:1], v14, v21, s[0:1]
	s_or_b64 s[12:13], vcc, s[12:13]
	v_add_co_u32_e32 v22, vcc, v13, v22
	v_addc_co_u32_e32 v23, vcc, v14, v23, vcc
	s_waitcnt lgkmcnt(0)
	global_store_dword v[20:21], v18, off
	global_store_dword v[22:23], v19, off
	s_andn2_b64 exec, exec, s[12:13]
	s_cbranch_execnz .LBB557_185
.LBB557_186:
	s_or_b64 exec, exec, s[10:11]
	v_add_u32_e32 v1, 1, v15
	v_and_b32_e32 v9, 0x1fffffe, v1
	v_cmp_ne_u32_e32 vcc, v1, v9
	v_lshl_or_b32 v8, v9, 8, v0
	s_orn2_b64 s[0:1], vcc, exec
.LBB557_187:
	s_or_b64 exec, exec, s[8:9]
	s_andn2_b64 s[4:5], s[4:5], exec
	s_and_b64 s[0:1], s[0:1], exec
	s_or_b64 s[4:5], s[4:5], s[0:1]
.LBB557_188:
	s_or_b64 exec, exec, s[6:7]
	s_and_b64 exec, exec, s[4:5]
	s_cbranch_execz .LBB557_191
; %bb.189:
	v_lshlrev_b32_e32 v1, 2, v8
	s_mov_b64 s[0:1], 0
	v_mov_b32_e32 v9, 0
.LBB557_190:                            ; =>This Inner Loop Header: Depth=1
	v_lshlrev_b64 v[10:11], 2, v[8:9]
	ds_read_b32 v15, v1
	v_add_co_u32_e32 v10, vcc, v13, v10
	v_add_u32_e32 v8, 0x100, v8
	v_addc_co_u32_e32 v11, vcc, v14, v11, vcc
	v_cmp_ge_u32_e32 vcc, v8, v3
	v_add_u32_e32 v1, 0x400, v1
	s_or_b64 s[0:1], vcc, s[0:1]
	s_waitcnt lgkmcnt(0)
	global_store_dword v[10:11], v15, off
	s_andn2_b64 exec, exec, s[0:1]
	s_cbranch_execnz .LBB557_190
.LBB557_191:
	s_or_b64 exec, exec, s[2:3]
.LBB557_192:
	s_movk_i32 s0, 0xff
	v_cmp_eq_u32_e32 vcc, s0, v0
	s_and_b64 s[0:1], vcc, s[36:37]
	s_and_saveexec_b64 s[2:3], s[0:1]
	s_cbranch_execz .LBB557_195
; %bb.193:
	v_add_co_u32_e32 v0, vcc, v2, v4
	v_addc_co_u32_e64 v1, s[0:1], 0, 0, vcc
	v_add_co_u32_e32 v0, vcc, v0, v6
	v_mov_b32_e32 v3, 0
	v_addc_co_u32_e32 v1, vcc, v1, v7, vcc
	s_cmpk_lg_i32 s33, 0xf00
	global_store_dwordx2 v3, v[0:1], s[54:55]
	s_cbranch_scc1 .LBB557_195
; %bb.194:
	v_lshlrev_b64 v[0:1], 2, v[2:3]
	v_add_co_u32_e32 v0, vcc, v5, v0
	v_addc_co_u32_e32 v1, vcc, v12, v1, vcc
	global_store_dword v[0:1], v80, off offset:-4
.LBB557_195:
	s_endpgm
.LBB557_196:
	s_or_b64 exec, exec, s[8:9]
	v_mov_b32_e32 v81, s12
	s_and_saveexec_b64 s[2:3], s[6:7]
	s_cbranch_execnz .LBB557_88
	s_branch .LBB557_89
.LBB557_197:
	s_and_saveexec_b64 s[42:43], s[30:31]
	s_cbranch_execnz .LBB557_265
; %bb.198:
	s_or_b64 exec, exec, s[42:43]
	s_and_saveexec_b64 s[42:43], s[28:29]
	s_cbranch_execnz .LBB557_266
.LBB557_199:
	s_or_b64 exec, exec, s[42:43]
	s_and_saveexec_b64 s[42:43], s[26:27]
	s_cbranch_execnz .LBB557_267
.LBB557_200:
	s_or_b64 exec, exec, s[42:43]
	s_and_saveexec_b64 s[42:43], s[24:25]
	s_cbranch_execnz .LBB557_268
.LBB557_201:
	s_or_b64 exec, exec, s[42:43]
	s_and_saveexec_b64 s[42:43], s[22:23]
	s_cbranch_execnz .LBB557_269
.LBB557_202:
	s_or_b64 exec, exec, s[42:43]
	s_and_saveexec_b64 s[42:43], s[20:21]
	s_cbranch_execnz .LBB557_270
.LBB557_203:
	s_or_b64 exec, exec, s[42:43]
	s_and_saveexec_b64 s[42:43], s[18:19]
	s_cbranch_execnz .LBB557_271
.LBB557_204:
	s_or_b64 exec, exec, s[42:43]
	s_and_saveexec_b64 s[42:43], s[16:17]
	s_cbranch_execnz .LBB557_272
.LBB557_205:
	s_or_b64 exec, exec, s[42:43]
	s_and_saveexec_b64 s[42:43], s[14:15]
	s_cbranch_execnz .LBB557_273
.LBB557_206:
	s_or_b64 exec, exec, s[42:43]
	s_and_saveexec_b64 s[42:43], s[12:13]
	s_cbranch_execnz .LBB557_274
.LBB557_207:
	s_or_b64 exec, exec, s[42:43]
	s_and_saveexec_b64 s[42:43], s[10:11]
	s_cbranch_execnz .LBB557_275
.LBB557_208:
	s_or_b64 exec, exec, s[42:43]
	s_and_saveexec_b64 s[42:43], s[8:9]
	s_cbranch_execnz .LBB557_276
.LBB557_209:
	s_or_b64 exec, exec, s[42:43]
	s_and_saveexec_b64 s[42:43], s[6:7]
	s_cbranch_execnz .LBB557_277
.LBB557_210:
	s_or_b64 exec, exec, s[42:43]
	s_and_saveexec_b64 s[42:43], s[4:5]
	s_cbranch_execz .LBB557_212
.LBB557_211:
	v_sub_u32_e32 v28, v38, v4
	v_mov_b32_e32 v29, 0
	v_lshlrev_b64 v[28:29], 2, v[28:29]
	v_add_co_u32_e32 v28, vcc, v3, v28
	v_addc_co_u32_e32 v29, vcc, v5, v29, vcc
	global_store_dword v[28:29], v9, off
.LBB557_212:
	s_or_b64 exec, exec, s[42:43]
	s_and_b64 s[42:43], s[2:3], exec
	s_andn2_saveexec_b64 s[34:35], s[34:35]
	s_cbranch_execz .LBB557_138
.LBB557_213:
	v_sub_u32_e32 v28, v64, v4
	v_mov_b32_e32 v29, 0
	v_lshlrev_b64 v[30:31], 2, v[28:29]
	v_add_co_u32_e32 v30, vcc, v3, v30
	v_addc_co_u32_e32 v31, vcc, v5, v31, vcc
	v_sub_u32_e32 v28, v62, v4
	global_store_dword v[30:31], v20, off
	v_lshlrev_b64 v[30:31], 2, v[28:29]
	v_add_co_u32_e32 v30, vcc, v3, v30
	v_addc_co_u32_e32 v31, vcc, v5, v31, vcc
	v_sub_u32_e32 v28, v60, v4
	global_store_dword v[30:31], v21, off
	;; [unrolled: 5-line block ×12, first 2 shown]
	v_lshlrev_b64 v[30:31], 2, v[28:29]
	v_add_co_u32_e32 v30, vcc, v3, v30
	v_sub_u32_e32 v28, v38, v4
	v_addc_co_u32_e32 v31, vcc, v5, v31, vcc
	v_lshlrev_b64 v[28:29], 2, v[28:29]
	v_add_co_u32_e32 v28, vcc, v3, v28
	v_addc_co_u32_e32 v29, vcc, v5, v29, vcc
	s_or_b64 s[42:43], s[42:43], exec
	global_store_dword v[30:31], v8, off
	global_store_dword v[28:29], v9, off
	s_or_b64 exec, exec, s[34:35]
	s_and_b64 exec, exec, s[42:43]
	s_cbranch_execnz .LBB557_139
	s_branch .LBB557_140
.LBB557_214:
	s_and_saveexec_b64 s[42:43], s[30:31]
	s_cbranch_execnz .LBB557_278
; %bb.215:
	s_or_b64 exec, exec, s[42:43]
	s_and_saveexec_b64 s[30:31], s[28:29]
	s_cbranch_execnz .LBB557_279
.LBB557_216:
	s_or_b64 exec, exec, s[30:31]
	s_and_saveexec_b64 s[28:29], s[26:27]
	s_cbranch_execnz .LBB557_280
.LBB557_217:
	s_or_b64 exec, exec, s[28:29]
	s_and_saveexec_b64 s[26:27], s[24:25]
	s_cbranch_execnz .LBB557_281
.LBB557_218:
	s_or_b64 exec, exec, s[26:27]
	s_and_saveexec_b64 s[24:25], s[22:23]
	s_cbranch_execnz .LBB557_282
.LBB557_219:
	s_or_b64 exec, exec, s[24:25]
	s_and_saveexec_b64 s[22:23], s[20:21]
	s_cbranch_execnz .LBB557_283
.LBB557_220:
	s_or_b64 exec, exec, s[22:23]
	s_and_saveexec_b64 s[20:21], s[18:19]
	s_cbranch_execnz .LBB557_284
.LBB557_221:
	s_or_b64 exec, exec, s[20:21]
	s_and_saveexec_b64 s[18:19], s[16:17]
	s_cbranch_execnz .LBB557_285
.LBB557_222:
	s_or_b64 exec, exec, s[18:19]
	s_and_saveexec_b64 s[16:17], s[14:15]
	s_cbranch_execnz .LBB557_286
.LBB557_223:
	s_or_b64 exec, exec, s[16:17]
	s_and_saveexec_b64 s[14:15], s[12:13]
	s_cbranch_execnz .LBB557_287
.LBB557_224:
	s_or_b64 exec, exec, s[14:15]
	s_and_saveexec_b64 s[12:13], s[10:11]
	s_cbranch_execnz .LBB557_288
.LBB557_225:
	s_or_b64 exec, exec, s[12:13]
	s_and_saveexec_b64 s[10:11], s[8:9]
	s_cbranch_execnz .LBB557_289
.LBB557_226:
	s_or_b64 exec, exec, s[10:11]
	s_and_saveexec_b64 s[8:9], s[6:7]
	s_cbranch_execnz .LBB557_290
.LBB557_227:
	s_or_b64 exec, exec, s[8:9]
	s_and_saveexec_b64 s[6:7], s[4:5]
	s_cbranch_execz .LBB557_229
.LBB557_228:
	v_sub_u32_e32 v8, v38, v4
	v_lshlrev_b32_e32 v8, 2, v8
	ds_write_b32 v8, v9
.LBB557_229:
	s_or_b64 exec, exec, s[6:7]
	s_and_b64 s[42:43], s[2:3], exec
                                        ; implicit-def: $vgpr8
                                        ; implicit-def: $vgpr10
                                        ; implicit-def: $vgpr12
                                        ; implicit-def: $vgpr14
                                        ; implicit-def: $vgpr16
                                        ; implicit-def: $vgpr18
                                        ; implicit-def: $vgpr20
	s_andn2_saveexec_b64 s[2:3], s[40:41]
	s_cbranch_execz .LBB557_145
.LBB557_230:
	v_sub_u32_e32 v26, v64, v4
	v_lshlrev_b32_e32 v26, 2, v26
	ds_write_b32 v26, v20
	v_sub_u32_e32 v20, v62, v4
	v_lshlrev_b32_e32 v20, 2, v20
	ds_write_b32 v20, v21
	;; [unrolled: 3-line block ×13, first 2 shown]
	v_sub_u32_e32 v8, v38, v4
	v_lshlrev_b32_e32 v8, 2, v8
	s_or_b64 s[42:43], s[42:43], exec
	ds_write_b32 v8, v9
	s_or_b64 exec, exec, s[2:3]
	s_and_b64 exec, exec, s[42:43]
	s_cbranch_execnz .LBB557_146
	s_branch .LBB557_147
.LBB557_231:
	s_and_saveexec_b64 s[38:39], s[28:29]
	s_cbranch_execnz .LBB557_291
; %bb.232:
	s_or_b64 exec, exec, s[38:39]
	s_and_saveexec_b64 s[38:39], s[26:27]
	s_cbranch_execnz .LBB557_292
.LBB557_233:
	s_or_b64 exec, exec, s[38:39]
	s_and_saveexec_b64 s[38:39], s[24:25]
	s_cbranch_execnz .LBB557_293
.LBB557_234:
	s_or_b64 exec, exec, s[38:39]
	s_and_saveexec_b64 s[38:39], s[22:23]
	s_cbranch_execnz .LBB557_294
.LBB557_235:
	s_or_b64 exec, exec, s[38:39]
	s_and_saveexec_b64 s[38:39], s[20:21]
	s_cbranch_execnz .LBB557_295
.LBB557_236:
	s_or_b64 exec, exec, s[38:39]
	s_and_saveexec_b64 s[38:39], s[18:19]
	s_cbranch_execnz .LBB557_296
.LBB557_237:
	s_or_b64 exec, exec, s[38:39]
	s_and_saveexec_b64 s[38:39], s[16:17]
	s_cbranch_execnz .LBB557_297
.LBB557_238:
	s_or_b64 exec, exec, s[38:39]
	s_and_saveexec_b64 s[38:39], s[14:15]
	s_cbranch_execnz .LBB557_298
.LBB557_239:
	s_or_b64 exec, exec, s[38:39]
	s_and_saveexec_b64 s[38:39], s[12:13]
	s_cbranch_execnz .LBB557_299
.LBB557_240:
	s_or_b64 exec, exec, s[38:39]
	s_and_saveexec_b64 s[38:39], s[10:11]
	s_cbranch_execnz .LBB557_300
.LBB557_241:
	s_or_b64 exec, exec, s[38:39]
	s_and_saveexec_b64 s[38:39], s[8:9]
	s_cbranch_execnz .LBB557_301
.LBB557_242:
	s_or_b64 exec, exec, s[38:39]
	s_and_saveexec_b64 s[38:39], s[6:7]
	s_cbranch_execnz .LBB557_302
.LBB557_243:
	s_or_b64 exec, exec, s[38:39]
	s_and_saveexec_b64 s[38:39], s[4:5]
	s_cbranch_execnz .LBB557_303
.LBB557_244:
	s_or_b64 exec, exec, s[38:39]
	s_and_saveexec_b64 s[38:39], s[2:3]
	s_cbranch_execz .LBB557_246
.LBB557_245:
	v_sub_u32_e32 v16, v38, v9
	v_mov_b32_e32 v17, 0
	v_lshlrev_b64 v[16:17], 2, v[16:17]
	v_add_co_u32_e32 v16, vcc, v13, v16
	v_addc_co_u32_e32 v17, vcc, v14, v17, vcc
	global_store_dword v[16:17], v39, off
.LBB557_246:
	s_or_b64 exec, exec, s[38:39]
	s_and_b64 s[38:39], s[0:1], exec
	s_andn2_saveexec_b64 s[30:31], s[30:31]
	s_cbranch_execz .LBB557_167
.LBB557_247:
	v_sub_u32_e32 v16, v64, v9
	v_mov_b32_e32 v17, 0
	v_lshlrev_b64 v[18:19], 2, v[16:17]
	v_add_co_u32_e32 v18, vcc, v13, v18
	v_addc_co_u32_e32 v19, vcc, v14, v19, vcc
	v_sub_u32_e32 v16, v62, v9
	global_store_dword v[18:19], v65, off
	v_lshlrev_b64 v[18:19], 2, v[16:17]
	v_add_co_u32_e32 v18, vcc, v13, v18
	v_addc_co_u32_e32 v19, vcc, v14, v19, vcc
	v_sub_u32_e32 v16, v60, v9
	global_store_dword v[18:19], v63, off
	;; [unrolled: 5-line block ×12, first 2 shown]
	v_lshlrev_b64 v[18:19], 2, v[16:17]
	v_add_co_u32_e32 v18, vcc, v13, v18
	v_sub_u32_e32 v16, v38, v9
	v_addc_co_u32_e32 v19, vcc, v14, v19, vcc
	v_lshlrev_b64 v[16:17], 2, v[16:17]
	v_add_co_u32_e32 v16, vcc, v13, v16
	v_addc_co_u32_e32 v17, vcc, v14, v17, vcc
	s_or_b64 s[38:39], s[38:39], exec
	global_store_dword v[18:19], v41, off
	global_store_dword v[16:17], v39, off
	s_or_b64 exec, exec, s[30:31]
	s_and_b64 exec, exec, s[38:39]
	s_cbranch_execnz .LBB557_168
	s_branch .LBB557_169
.LBB557_248:
	s_and_saveexec_b64 s[38:39], s[28:29]
	s_cbranch_execnz .LBB557_304
; %bb.249:
	s_or_b64 exec, exec, s[38:39]
	s_and_saveexec_b64 s[28:29], s[26:27]
	s_cbranch_execnz .LBB557_305
.LBB557_250:
	s_or_b64 exec, exec, s[28:29]
	s_and_saveexec_b64 s[26:27], s[24:25]
	s_cbranch_execnz .LBB557_306
.LBB557_251:
	s_or_b64 exec, exec, s[26:27]
	s_and_saveexec_b64 s[24:25], s[22:23]
	s_cbranch_execnz .LBB557_307
.LBB557_252:
	s_or_b64 exec, exec, s[24:25]
	s_and_saveexec_b64 s[22:23], s[20:21]
	s_cbranch_execnz .LBB557_308
.LBB557_253:
	s_or_b64 exec, exec, s[22:23]
	s_and_saveexec_b64 s[20:21], s[18:19]
	s_cbranch_execnz .LBB557_309
.LBB557_254:
	s_or_b64 exec, exec, s[20:21]
	s_and_saveexec_b64 s[18:19], s[16:17]
	s_cbranch_execnz .LBB557_310
.LBB557_255:
	s_or_b64 exec, exec, s[18:19]
	s_and_saveexec_b64 s[16:17], s[14:15]
	s_cbranch_execnz .LBB557_311
.LBB557_256:
	s_or_b64 exec, exec, s[16:17]
	s_and_saveexec_b64 s[14:15], s[12:13]
	s_cbranch_execnz .LBB557_312
.LBB557_257:
	s_or_b64 exec, exec, s[14:15]
	s_and_saveexec_b64 s[12:13], s[10:11]
	s_cbranch_execnz .LBB557_313
.LBB557_258:
	s_or_b64 exec, exec, s[12:13]
	s_and_saveexec_b64 s[10:11], s[8:9]
	s_cbranch_execnz .LBB557_314
.LBB557_259:
	s_or_b64 exec, exec, s[10:11]
	s_and_saveexec_b64 s[8:9], s[6:7]
	s_cbranch_execnz .LBB557_315
.LBB557_260:
	s_or_b64 exec, exec, s[8:9]
	s_and_saveexec_b64 s[6:7], s[4:5]
	s_cbranch_execnz .LBB557_316
.LBB557_261:
	s_or_b64 exec, exec, s[6:7]
	s_and_saveexec_b64 s[4:5], s[2:3]
	s_cbranch_execz .LBB557_263
.LBB557_262:
	v_sub_u32_e32 v10, v38, v9
	v_lshlrev_b32_e32 v10, 2, v10
	ds_write_b32 v10, v39
.LBB557_263:
	s_or_b64 exec, exec, s[4:5]
	s_and_b64 s[38:39], s[0:1], exec
                                        ; implicit-def: $vgpr64_vgpr65
                                        ; implicit-def: $vgpr62_vgpr63
                                        ; implicit-def: $vgpr60_vgpr61
                                        ; implicit-def: $vgpr58_vgpr59
                                        ; implicit-def: $vgpr56_vgpr57
                                        ; implicit-def: $vgpr54_vgpr55
                                        ; implicit-def: $vgpr52_vgpr53
                                        ; implicit-def: $vgpr50_vgpr51
                                        ; implicit-def: $vgpr48_vgpr49
                                        ; implicit-def: $vgpr46_vgpr47
                                        ; implicit-def: $vgpr44_vgpr45
                                        ; implicit-def: $vgpr42_vgpr43
                                        ; implicit-def: $vgpr40_vgpr41
                                        ; implicit-def: $vgpr38_vgpr39
	s_andn2_saveexec_b64 s[0:1], s[34:35]
	s_cbranch_execz .LBB557_174
.LBB557_264:
	v_sub_u32_e32 v10, v64, v9
	v_lshlrev_b32_e32 v10, 2, v10
	ds_write_b32 v10, v65
	v_sub_u32_e32 v10, v62, v9
	v_lshlrev_b32_e32 v10, 2, v10
	ds_write_b32 v10, v63
	;; [unrolled: 3-line block ×13, first 2 shown]
	v_sub_u32_e32 v10, v38, v9
	v_lshlrev_b32_e32 v10, 2, v10
	s_or_b64 s[38:39], s[38:39], exec
	ds_write_b32 v10, v39
	s_or_b64 exec, exec, s[0:1]
	s_and_b64 exec, exec, s[38:39]
	s_cbranch_execnz .LBB557_175
	s_branch .LBB557_176
.LBB557_265:
	v_sub_u32_e32 v28, v64, v4
	v_mov_b32_e32 v29, 0
	v_lshlrev_b64 v[28:29], 2, v[28:29]
	v_add_co_u32_e32 v28, vcc, v3, v28
	v_addc_co_u32_e32 v29, vcc, v5, v29, vcc
	global_store_dword v[28:29], v20, off
	s_or_b64 exec, exec, s[42:43]
	s_and_saveexec_b64 s[42:43], s[28:29]
	s_cbranch_execz .LBB557_199
.LBB557_266:
	v_sub_u32_e32 v28, v62, v4
	v_mov_b32_e32 v29, 0
	v_lshlrev_b64 v[28:29], 2, v[28:29]
	v_add_co_u32_e32 v28, vcc, v3, v28
	v_addc_co_u32_e32 v29, vcc, v5, v29, vcc
	global_store_dword v[28:29], v21, off
	s_or_b64 exec, exec, s[42:43]
	s_and_saveexec_b64 s[42:43], s[26:27]
	s_cbranch_execz .LBB557_200
.LBB557_267:
	v_sub_u32_e32 v28, v60, v4
	v_mov_b32_e32 v29, 0
	v_lshlrev_b64 v[28:29], 2, v[28:29]
	v_add_co_u32_e32 v28, vcc, v3, v28
	v_addc_co_u32_e32 v29, vcc, v5, v29, vcc
	global_store_dword v[28:29], v18, off
	s_or_b64 exec, exec, s[42:43]
	s_and_saveexec_b64 s[42:43], s[24:25]
	s_cbranch_execz .LBB557_201
.LBB557_268:
	v_sub_u32_e32 v28, v58, v4
	v_mov_b32_e32 v29, 0
	v_lshlrev_b64 v[28:29], 2, v[28:29]
	v_add_co_u32_e32 v28, vcc, v3, v28
	v_addc_co_u32_e32 v29, vcc, v5, v29, vcc
	global_store_dword v[28:29], v19, off
	s_or_b64 exec, exec, s[42:43]
	s_and_saveexec_b64 s[42:43], s[22:23]
	s_cbranch_execz .LBB557_202
.LBB557_269:
	v_sub_u32_e32 v28, v56, v4
	v_mov_b32_e32 v29, 0
	v_lshlrev_b64 v[28:29], 2, v[28:29]
	v_add_co_u32_e32 v28, vcc, v3, v28
	v_addc_co_u32_e32 v29, vcc, v5, v29, vcc
	global_store_dword v[28:29], v16, off
	s_or_b64 exec, exec, s[42:43]
	s_and_saveexec_b64 s[42:43], s[20:21]
	s_cbranch_execz .LBB557_203
.LBB557_270:
	v_sub_u32_e32 v28, v54, v4
	v_mov_b32_e32 v29, 0
	v_lshlrev_b64 v[28:29], 2, v[28:29]
	v_add_co_u32_e32 v28, vcc, v3, v28
	v_addc_co_u32_e32 v29, vcc, v5, v29, vcc
	global_store_dword v[28:29], v17, off
	s_or_b64 exec, exec, s[42:43]
	s_and_saveexec_b64 s[42:43], s[18:19]
	s_cbranch_execz .LBB557_204
.LBB557_271:
	v_sub_u32_e32 v28, v52, v4
	v_mov_b32_e32 v29, 0
	v_lshlrev_b64 v[28:29], 2, v[28:29]
	v_add_co_u32_e32 v28, vcc, v3, v28
	v_addc_co_u32_e32 v29, vcc, v5, v29, vcc
	global_store_dword v[28:29], v14, off
	s_or_b64 exec, exec, s[42:43]
	s_and_saveexec_b64 s[42:43], s[16:17]
	s_cbranch_execz .LBB557_205
.LBB557_272:
	v_sub_u32_e32 v28, v50, v4
	v_mov_b32_e32 v29, 0
	v_lshlrev_b64 v[28:29], 2, v[28:29]
	v_add_co_u32_e32 v28, vcc, v3, v28
	v_addc_co_u32_e32 v29, vcc, v5, v29, vcc
	global_store_dword v[28:29], v15, off
	s_or_b64 exec, exec, s[42:43]
	s_and_saveexec_b64 s[42:43], s[14:15]
	s_cbranch_execz .LBB557_206
.LBB557_273:
	v_sub_u32_e32 v28, v48, v4
	v_mov_b32_e32 v29, 0
	v_lshlrev_b64 v[28:29], 2, v[28:29]
	v_add_co_u32_e32 v28, vcc, v3, v28
	v_addc_co_u32_e32 v29, vcc, v5, v29, vcc
	global_store_dword v[28:29], v12, off
	s_or_b64 exec, exec, s[42:43]
	s_and_saveexec_b64 s[42:43], s[12:13]
	s_cbranch_execz .LBB557_207
.LBB557_274:
	v_sub_u32_e32 v28, v46, v4
	v_mov_b32_e32 v29, 0
	v_lshlrev_b64 v[28:29], 2, v[28:29]
	v_add_co_u32_e32 v28, vcc, v3, v28
	v_addc_co_u32_e32 v29, vcc, v5, v29, vcc
	global_store_dword v[28:29], v13, off
	s_or_b64 exec, exec, s[42:43]
	s_and_saveexec_b64 s[42:43], s[10:11]
	s_cbranch_execz .LBB557_208
.LBB557_275:
	v_sub_u32_e32 v28, v44, v4
	v_mov_b32_e32 v29, 0
	v_lshlrev_b64 v[28:29], 2, v[28:29]
	v_add_co_u32_e32 v28, vcc, v3, v28
	v_addc_co_u32_e32 v29, vcc, v5, v29, vcc
	global_store_dword v[28:29], v10, off
	s_or_b64 exec, exec, s[42:43]
	s_and_saveexec_b64 s[42:43], s[8:9]
	s_cbranch_execz .LBB557_209
.LBB557_276:
	v_sub_u32_e32 v28, v42, v4
	v_mov_b32_e32 v29, 0
	v_lshlrev_b64 v[28:29], 2, v[28:29]
	v_add_co_u32_e32 v28, vcc, v3, v28
	v_addc_co_u32_e32 v29, vcc, v5, v29, vcc
	global_store_dword v[28:29], v11, off
	s_or_b64 exec, exec, s[42:43]
	s_and_saveexec_b64 s[42:43], s[6:7]
	s_cbranch_execz .LBB557_210
.LBB557_277:
	v_sub_u32_e32 v28, v40, v4
	v_mov_b32_e32 v29, 0
	v_lshlrev_b64 v[28:29], 2, v[28:29]
	v_add_co_u32_e32 v28, vcc, v3, v28
	v_addc_co_u32_e32 v29, vcc, v5, v29, vcc
	global_store_dword v[28:29], v8, off
	s_or_b64 exec, exec, s[42:43]
	s_and_saveexec_b64 s[42:43], s[4:5]
	s_cbranch_execnz .LBB557_211
	s_branch .LBB557_212
.LBB557_278:
	v_sub_u32_e32 v26, v64, v4
	v_lshlrev_b32_e32 v26, 2, v26
	ds_write_b32 v26, v20
	s_or_b64 exec, exec, s[42:43]
	s_and_saveexec_b64 s[30:31], s[28:29]
	s_cbranch_execz .LBB557_216
.LBB557_279:
	v_sub_u32_e32 v20, v62, v4
	v_lshlrev_b32_e32 v20, 2, v20
	ds_write_b32 v20, v21
	s_or_b64 exec, exec, s[30:31]
	s_and_saveexec_b64 s[28:29], s[26:27]
	s_cbranch_execz .LBB557_217
.LBB557_280:
	v_sub_u32_e32 v20, v60, v4
	v_lshlrev_b32_e32 v20, 2, v20
	ds_write_b32 v20, v18
	s_or_b64 exec, exec, s[28:29]
	s_and_saveexec_b64 s[26:27], s[24:25]
	s_cbranch_execz .LBB557_218
.LBB557_281:
	v_sub_u32_e32 v18, v58, v4
	v_lshlrev_b32_e32 v18, 2, v18
	ds_write_b32 v18, v19
	s_or_b64 exec, exec, s[26:27]
	s_and_saveexec_b64 s[24:25], s[22:23]
	s_cbranch_execz .LBB557_219
.LBB557_282:
	v_sub_u32_e32 v18, v56, v4
	v_lshlrev_b32_e32 v18, 2, v18
	ds_write_b32 v18, v16
	s_or_b64 exec, exec, s[24:25]
	s_and_saveexec_b64 s[22:23], s[20:21]
	s_cbranch_execz .LBB557_220
.LBB557_283:
	v_sub_u32_e32 v16, v54, v4
	v_lshlrev_b32_e32 v16, 2, v16
	ds_write_b32 v16, v17
	s_or_b64 exec, exec, s[22:23]
	s_and_saveexec_b64 s[20:21], s[18:19]
	s_cbranch_execz .LBB557_221
.LBB557_284:
	v_sub_u32_e32 v16, v52, v4
	v_lshlrev_b32_e32 v16, 2, v16
	ds_write_b32 v16, v14
	s_or_b64 exec, exec, s[20:21]
	s_and_saveexec_b64 s[18:19], s[16:17]
	s_cbranch_execz .LBB557_222
.LBB557_285:
	v_sub_u32_e32 v14, v50, v4
	v_lshlrev_b32_e32 v14, 2, v14
	ds_write_b32 v14, v15
	s_or_b64 exec, exec, s[18:19]
	s_and_saveexec_b64 s[16:17], s[14:15]
	s_cbranch_execz .LBB557_223
.LBB557_286:
	v_sub_u32_e32 v14, v48, v4
	v_lshlrev_b32_e32 v14, 2, v14
	ds_write_b32 v14, v12
	s_or_b64 exec, exec, s[16:17]
	s_and_saveexec_b64 s[14:15], s[12:13]
	s_cbranch_execz .LBB557_224
.LBB557_287:
	v_sub_u32_e32 v12, v46, v4
	v_lshlrev_b32_e32 v12, 2, v12
	ds_write_b32 v12, v13
	s_or_b64 exec, exec, s[14:15]
	s_and_saveexec_b64 s[12:13], s[10:11]
	s_cbranch_execz .LBB557_225
.LBB557_288:
	v_sub_u32_e32 v12, v44, v4
	v_lshlrev_b32_e32 v12, 2, v12
	ds_write_b32 v12, v10
	s_or_b64 exec, exec, s[12:13]
	s_and_saveexec_b64 s[10:11], s[8:9]
	s_cbranch_execz .LBB557_226
.LBB557_289:
	v_sub_u32_e32 v10, v42, v4
	v_lshlrev_b32_e32 v10, 2, v10
	ds_write_b32 v10, v11
	s_or_b64 exec, exec, s[10:11]
	s_and_saveexec_b64 s[8:9], s[6:7]
	s_cbranch_execz .LBB557_227
.LBB557_290:
	v_sub_u32_e32 v10, v40, v4
	v_lshlrev_b32_e32 v10, 2, v10
	ds_write_b32 v10, v8
	s_or_b64 exec, exec, s[8:9]
	s_and_saveexec_b64 s[6:7], s[4:5]
	s_cbranch_execnz .LBB557_228
	s_branch .LBB557_229
.LBB557_291:
	v_sub_u32_e32 v16, v64, v9
	v_mov_b32_e32 v17, 0
	v_lshlrev_b64 v[16:17], 2, v[16:17]
	v_add_co_u32_e32 v16, vcc, v13, v16
	v_addc_co_u32_e32 v17, vcc, v14, v17, vcc
	global_store_dword v[16:17], v65, off
	s_or_b64 exec, exec, s[38:39]
	s_and_saveexec_b64 s[38:39], s[26:27]
	s_cbranch_execz .LBB557_233
.LBB557_292:
	v_sub_u32_e32 v16, v62, v9
	v_mov_b32_e32 v17, 0
	v_lshlrev_b64 v[16:17], 2, v[16:17]
	v_add_co_u32_e32 v16, vcc, v13, v16
	v_addc_co_u32_e32 v17, vcc, v14, v17, vcc
	global_store_dword v[16:17], v63, off
	s_or_b64 exec, exec, s[38:39]
	s_and_saveexec_b64 s[38:39], s[24:25]
	s_cbranch_execz .LBB557_234
.LBB557_293:
	v_sub_u32_e32 v16, v60, v9
	v_mov_b32_e32 v17, 0
	v_lshlrev_b64 v[16:17], 2, v[16:17]
	v_add_co_u32_e32 v16, vcc, v13, v16
	v_addc_co_u32_e32 v17, vcc, v14, v17, vcc
	global_store_dword v[16:17], v61, off
	s_or_b64 exec, exec, s[38:39]
	s_and_saveexec_b64 s[38:39], s[22:23]
	s_cbranch_execz .LBB557_235
.LBB557_294:
	v_sub_u32_e32 v16, v58, v9
	v_mov_b32_e32 v17, 0
	v_lshlrev_b64 v[16:17], 2, v[16:17]
	v_add_co_u32_e32 v16, vcc, v13, v16
	v_addc_co_u32_e32 v17, vcc, v14, v17, vcc
	global_store_dword v[16:17], v59, off
	s_or_b64 exec, exec, s[38:39]
	s_and_saveexec_b64 s[38:39], s[20:21]
	s_cbranch_execz .LBB557_236
.LBB557_295:
	v_sub_u32_e32 v16, v56, v9
	v_mov_b32_e32 v17, 0
	v_lshlrev_b64 v[16:17], 2, v[16:17]
	v_add_co_u32_e32 v16, vcc, v13, v16
	v_addc_co_u32_e32 v17, vcc, v14, v17, vcc
	global_store_dword v[16:17], v57, off
	s_or_b64 exec, exec, s[38:39]
	s_and_saveexec_b64 s[38:39], s[18:19]
	s_cbranch_execz .LBB557_237
.LBB557_296:
	v_sub_u32_e32 v16, v54, v9
	v_mov_b32_e32 v17, 0
	v_lshlrev_b64 v[16:17], 2, v[16:17]
	v_add_co_u32_e32 v16, vcc, v13, v16
	v_addc_co_u32_e32 v17, vcc, v14, v17, vcc
	global_store_dword v[16:17], v55, off
	s_or_b64 exec, exec, s[38:39]
	s_and_saveexec_b64 s[38:39], s[16:17]
	s_cbranch_execz .LBB557_238
.LBB557_297:
	v_sub_u32_e32 v16, v52, v9
	v_mov_b32_e32 v17, 0
	v_lshlrev_b64 v[16:17], 2, v[16:17]
	v_add_co_u32_e32 v16, vcc, v13, v16
	v_addc_co_u32_e32 v17, vcc, v14, v17, vcc
	global_store_dword v[16:17], v53, off
	s_or_b64 exec, exec, s[38:39]
	s_and_saveexec_b64 s[38:39], s[14:15]
	s_cbranch_execz .LBB557_239
.LBB557_298:
	v_sub_u32_e32 v16, v50, v9
	v_mov_b32_e32 v17, 0
	v_lshlrev_b64 v[16:17], 2, v[16:17]
	v_add_co_u32_e32 v16, vcc, v13, v16
	v_addc_co_u32_e32 v17, vcc, v14, v17, vcc
	global_store_dword v[16:17], v51, off
	s_or_b64 exec, exec, s[38:39]
	s_and_saveexec_b64 s[38:39], s[12:13]
	s_cbranch_execz .LBB557_240
.LBB557_299:
	v_sub_u32_e32 v16, v48, v9
	v_mov_b32_e32 v17, 0
	v_lshlrev_b64 v[16:17], 2, v[16:17]
	v_add_co_u32_e32 v16, vcc, v13, v16
	v_addc_co_u32_e32 v17, vcc, v14, v17, vcc
	global_store_dword v[16:17], v49, off
	s_or_b64 exec, exec, s[38:39]
	s_and_saveexec_b64 s[38:39], s[10:11]
	s_cbranch_execz .LBB557_241
.LBB557_300:
	v_sub_u32_e32 v16, v46, v9
	v_mov_b32_e32 v17, 0
	v_lshlrev_b64 v[16:17], 2, v[16:17]
	v_add_co_u32_e32 v16, vcc, v13, v16
	v_addc_co_u32_e32 v17, vcc, v14, v17, vcc
	global_store_dword v[16:17], v47, off
	s_or_b64 exec, exec, s[38:39]
	s_and_saveexec_b64 s[38:39], s[8:9]
	s_cbranch_execz .LBB557_242
.LBB557_301:
	v_sub_u32_e32 v16, v44, v9
	v_mov_b32_e32 v17, 0
	v_lshlrev_b64 v[16:17], 2, v[16:17]
	v_add_co_u32_e32 v16, vcc, v13, v16
	v_addc_co_u32_e32 v17, vcc, v14, v17, vcc
	global_store_dword v[16:17], v45, off
	s_or_b64 exec, exec, s[38:39]
	s_and_saveexec_b64 s[38:39], s[6:7]
	s_cbranch_execz .LBB557_243
.LBB557_302:
	v_sub_u32_e32 v16, v42, v9
	v_mov_b32_e32 v17, 0
	v_lshlrev_b64 v[16:17], 2, v[16:17]
	v_add_co_u32_e32 v16, vcc, v13, v16
	v_addc_co_u32_e32 v17, vcc, v14, v17, vcc
	global_store_dword v[16:17], v43, off
	s_or_b64 exec, exec, s[38:39]
	s_and_saveexec_b64 s[38:39], s[4:5]
	s_cbranch_execz .LBB557_244
.LBB557_303:
	v_sub_u32_e32 v16, v40, v9
	v_mov_b32_e32 v17, 0
	v_lshlrev_b64 v[16:17], 2, v[16:17]
	v_add_co_u32_e32 v16, vcc, v13, v16
	v_addc_co_u32_e32 v17, vcc, v14, v17, vcc
	global_store_dword v[16:17], v41, off
	s_or_b64 exec, exec, s[38:39]
	s_and_saveexec_b64 s[38:39], s[2:3]
	s_cbranch_execnz .LBB557_245
	s_branch .LBB557_246
.LBB557_304:
	v_sub_u32_e32 v10, v64, v9
	v_lshlrev_b32_e32 v10, 2, v10
	ds_write_b32 v10, v65
	s_or_b64 exec, exec, s[38:39]
	s_and_saveexec_b64 s[28:29], s[26:27]
	s_cbranch_execz .LBB557_250
.LBB557_305:
	v_sub_u32_e32 v10, v62, v9
	v_lshlrev_b32_e32 v10, 2, v10
	ds_write_b32 v10, v63
	s_or_b64 exec, exec, s[28:29]
	s_and_saveexec_b64 s[26:27], s[24:25]
	s_cbranch_execz .LBB557_251
.LBB557_306:
	v_sub_u32_e32 v10, v60, v9
	v_lshlrev_b32_e32 v10, 2, v10
	ds_write_b32 v10, v61
	s_or_b64 exec, exec, s[26:27]
	s_and_saveexec_b64 s[24:25], s[22:23]
	s_cbranch_execz .LBB557_252
.LBB557_307:
	v_sub_u32_e32 v10, v58, v9
	v_lshlrev_b32_e32 v10, 2, v10
	ds_write_b32 v10, v59
	s_or_b64 exec, exec, s[24:25]
	s_and_saveexec_b64 s[22:23], s[20:21]
	s_cbranch_execz .LBB557_253
.LBB557_308:
	v_sub_u32_e32 v10, v56, v9
	v_lshlrev_b32_e32 v10, 2, v10
	ds_write_b32 v10, v57
	s_or_b64 exec, exec, s[22:23]
	s_and_saveexec_b64 s[20:21], s[18:19]
	s_cbranch_execz .LBB557_254
.LBB557_309:
	v_sub_u32_e32 v10, v54, v9
	v_lshlrev_b32_e32 v10, 2, v10
	ds_write_b32 v10, v55
	s_or_b64 exec, exec, s[20:21]
	s_and_saveexec_b64 s[18:19], s[16:17]
	s_cbranch_execz .LBB557_255
.LBB557_310:
	v_sub_u32_e32 v10, v52, v9
	v_lshlrev_b32_e32 v10, 2, v10
	ds_write_b32 v10, v53
	s_or_b64 exec, exec, s[18:19]
	s_and_saveexec_b64 s[16:17], s[14:15]
	s_cbranch_execz .LBB557_256
.LBB557_311:
	v_sub_u32_e32 v10, v50, v9
	v_lshlrev_b32_e32 v10, 2, v10
	ds_write_b32 v10, v51
	s_or_b64 exec, exec, s[16:17]
	s_and_saveexec_b64 s[14:15], s[12:13]
	s_cbranch_execz .LBB557_257
.LBB557_312:
	v_sub_u32_e32 v10, v48, v9
	v_lshlrev_b32_e32 v10, 2, v10
	ds_write_b32 v10, v49
	s_or_b64 exec, exec, s[14:15]
	s_and_saveexec_b64 s[12:13], s[10:11]
	s_cbranch_execz .LBB557_258
.LBB557_313:
	v_sub_u32_e32 v10, v46, v9
	v_lshlrev_b32_e32 v10, 2, v10
	ds_write_b32 v10, v47
	s_or_b64 exec, exec, s[12:13]
	s_and_saveexec_b64 s[10:11], s[8:9]
	s_cbranch_execz .LBB557_259
.LBB557_314:
	v_sub_u32_e32 v10, v44, v9
	v_lshlrev_b32_e32 v10, 2, v10
	ds_write_b32 v10, v45
	s_or_b64 exec, exec, s[10:11]
	s_and_saveexec_b64 s[8:9], s[6:7]
	s_cbranch_execz .LBB557_260
.LBB557_315:
	v_sub_u32_e32 v10, v42, v9
	v_lshlrev_b32_e32 v10, 2, v10
	ds_write_b32 v10, v43
	s_or_b64 exec, exec, s[8:9]
	s_and_saveexec_b64 s[6:7], s[4:5]
	s_cbranch_execz .LBB557_261
.LBB557_316:
	v_sub_u32_e32 v10, v40, v9
	v_lshlrev_b32_e32 v10, 2, v10
	ds_write_b32 v10, v41
	s_or_b64 exec, exec, s[6:7]
	s_and_saveexec_b64 s[4:5], s[2:3]
	s_cbranch_execnz .LBB557_262
	s_branch .LBB557_263
	.section	.rodata,"a",@progbits
	.p2align	6, 0x0
	.amdhsa_kernel _ZN7rocprim17ROCPRIM_400000_NS6detail17trampoline_kernelINS0_14default_configENS1_29reduce_by_key_config_selectorIiiN6thrust23THRUST_200600_302600_NS4plusIiEEEEZZNS1_33reduce_by_key_impl_wrapped_configILNS1_25lookback_scan_determinismE0ES3_S9_NS6_6detail15normal_iteratorINS6_10device_ptrIiEEEESG_SG_SG_PmS8_NS6_8equal_toIiEEEE10hipError_tPvRmT2_T3_mT4_T5_T6_T7_T8_P12ihipStream_tbENKUlT_T0_E_clISt17integral_constantIbLb1EES11_EEDaSW_SX_EUlSW_E_NS1_11comp_targetILNS1_3genE4ELNS1_11target_archE910ELNS1_3gpuE8ELNS1_3repE0EEENS1_30default_config_static_selectorELNS0_4arch9wavefront6targetE1EEEvT1_
		.amdhsa_group_segment_fixed_size 15360
		.amdhsa_private_segment_fixed_size 0
		.amdhsa_kernarg_size 120
		.amdhsa_user_sgpr_count 6
		.amdhsa_user_sgpr_private_segment_buffer 1
		.amdhsa_user_sgpr_dispatch_ptr 0
		.amdhsa_user_sgpr_queue_ptr 0
		.amdhsa_user_sgpr_kernarg_segment_ptr 1
		.amdhsa_user_sgpr_dispatch_id 0
		.amdhsa_user_sgpr_flat_scratch_init 0
		.amdhsa_user_sgpr_kernarg_preload_length 0
		.amdhsa_user_sgpr_kernarg_preload_offset 0
		.amdhsa_user_sgpr_private_segment_size 0
		.amdhsa_uses_dynamic_stack 0
		.amdhsa_system_sgpr_private_segment_wavefront_offset 0
		.amdhsa_system_sgpr_workgroup_id_x 1
		.amdhsa_system_sgpr_workgroup_id_y 0
		.amdhsa_system_sgpr_workgroup_id_z 0
		.amdhsa_system_sgpr_workgroup_info 0
		.amdhsa_system_vgpr_workitem_id 0
		.amdhsa_next_free_vgpr 106
		.amdhsa_next_free_sgpr 66
		.amdhsa_accum_offset 108
		.amdhsa_reserve_vcc 1
		.amdhsa_reserve_flat_scratch 0
		.amdhsa_float_round_mode_32 0
		.amdhsa_float_round_mode_16_64 0
		.amdhsa_float_denorm_mode_32 3
		.amdhsa_float_denorm_mode_16_64 3
		.amdhsa_dx10_clamp 1
		.amdhsa_ieee_mode 1
		.amdhsa_fp16_overflow 0
		.amdhsa_tg_split 0
		.amdhsa_exception_fp_ieee_invalid_op 0
		.amdhsa_exception_fp_denorm_src 0
		.amdhsa_exception_fp_ieee_div_zero 0
		.amdhsa_exception_fp_ieee_overflow 0
		.amdhsa_exception_fp_ieee_underflow 0
		.amdhsa_exception_fp_ieee_inexact 0
		.amdhsa_exception_int_div_zero 0
	.end_amdhsa_kernel
	.section	.text._ZN7rocprim17ROCPRIM_400000_NS6detail17trampoline_kernelINS0_14default_configENS1_29reduce_by_key_config_selectorIiiN6thrust23THRUST_200600_302600_NS4plusIiEEEEZZNS1_33reduce_by_key_impl_wrapped_configILNS1_25lookback_scan_determinismE0ES3_S9_NS6_6detail15normal_iteratorINS6_10device_ptrIiEEEESG_SG_SG_PmS8_NS6_8equal_toIiEEEE10hipError_tPvRmT2_T3_mT4_T5_T6_T7_T8_P12ihipStream_tbENKUlT_T0_E_clISt17integral_constantIbLb1EES11_EEDaSW_SX_EUlSW_E_NS1_11comp_targetILNS1_3genE4ELNS1_11target_archE910ELNS1_3gpuE8ELNS1_3repE0EEENS1_30default_config_static_selectorELNS0_4arch9wavefront6targetE1EEEvT1_,"axG",@progbits,_ZN7rocprim17ROCPRIM_400000_NS6detail17trampoline_kernelINS0_14default_configENS1_29reduce_by_key_config_selectorIiiN6thrust23THRUST_200600_302600_NS4plusIiEEEEZZNS1_33reduce_by_key_impl_wrapped_configILNS1_25lookback_scan_determinismE0ES3_S9_NS6_6detail15normal_iteratorINS6_10device_ptrIiEEEESG_SG_SG_PmS8_NS6_8equal_toIiEEEE10hipError_tPvRmT2_T3_mT4_T5_T6_T7_T8_P12ihipStream_tbENKUlT_T0_E_clISt17integral_constantIbLb1EES11_EEDaSW_SX_EUlSW_E_NS1_11comp_targetILNS1_3genE4ELNS1_11target_archE910ELNS1_3gpuE8ELNS1_3repE0EEENS1_30default_config_static_selectorELNS0_4arch9wavefront6targetE1EEEvT1_,comdat
.Lfunc_end557:
	.size	_ZN7rocprim17ROCPRIM_400000_NS6detail17trampoline_kernelINS0_14default_configENS1_29reduce_by_key_config_selectorIiiN6thrust23THRUST_200600_302600_NS4plusIiEEEEZZNS1_33reduce_by_key_impl_wrapped_configILNS1_25lookback_scan_determinismE0ES3_S9_NS6_6detail15normal_iteratorINS6_10device_ptrIiEEEESG_SG_SG_PmS8_NS6_8equal_toIiEEEE10hipError_tPvRmT2_T3_mT4_T5_T6_T7_T8_P12ihipStream_tbENKUlT_T0_E_clISt17integral_constantIbLb1EES11_EEDaSW_SX_EUlSW_E_NS1_11comp_targetILNS1_3genE4ELNS1_11target_archE910ELNS1_3gpuE8ELNS1_3repE0EEENS1_30default_config_static_selectorELNS0_4arch9wavefront6targetE1EEEvT1_, .Lfunc_end557-_ZN7rocprim17ROCPRIM_400000_NS6detail17trampoline_kernelINS0_14default_configENS1_29reduce_by_key_config_selectorIiiN6thrust23THRUST_200600_302600_NS4plusIiEEEEZZNS1_33reduce_by_key_impl_wrapped_configILNS1_25lookback_scan_determinismE0ES3_S9_NS6_6detail15normal_iteratorINS6_10device_ptrIiEEEESG_SG_SG_PmS8_NS6_8equal_toIiEEEE10hipError_tPvRmT2_T3_mT4_T5_T6_T7_T8_P12ihipStream_tbENKUlT_T0_E_clISt17integral_constantIbLb1EES11_EEDaSW_SX_EUlSW_E_NS1_11comp_targetILNS1_3genE4ELNS1_11target_archE910ELNS1_3gpuE8ELNS1_3repE0EEENS1_30default_config_static_selectorELNS0_4arch9wavefront6targetE1EEEvT1_
                                        ; -- End function
	.section	.AMDGPU.csdata,"",@progbits
; Kernel info:
; codeLenInByte = 17256
; NumSgprs: 70
; NumVgprs: 106
; NumAgprs: 0
; TotalNumVgprs: 106
; ScratchSize: 0
; MemoryBound: 0
; FloatMode: 240
; IeeeMode: 1
; LDSByteSize: 15360 bytes/workgroup (compile time only)
; SGPRBlocks: 8
; VGPRBlocks: 13
; NumSGPRsForWavesPerEU: 70
; NumVGPRsForWavesPerEU: 106
; AccumOffset: 108
; Occupancy: 4
; WaveLimiterHint : 1
; COMPUTE_PGM_RSRC2:SCRATCH_EN: 0
; COMPUTE_PGM_RSRC2:USER_SGPR: 6
; COMPUTE_PGM_RSRC2:TRAP_HANDLER: 0
; COMPUTE_PGM_RSRC2:TGID_X_EN: 1
; COMPUTE_PGM_RSRC2:TGID_Y_EN: 0
; COMPUTE_PGM_RSRC2:TGID_Z_EN: 0
; COMPUTE_PGM_RSRC2:TIDIG_COMP_CNT: 0
; COMPUTE_PGM_RSRC3_GFX90A:ACCUM_OFFSET: 26
; COMPUTE_PGM_RSRC3_GFX90A:TG_SPLIT: 0
	.section	.text._ZN7rocprim17ROCPRIM_400000_NS6detail17trampoline_kernelINS0_14default_configENS1_29reduce_by_key_config_selectorIiiN6thrust23THRUST_200600_302600_NS4plusIiEEEEZZNS1_33reduce_by_key_impl_wrapped_configILNS1_25lookback_scan_determinismE0ES3_S9_NS6_6detail15normal_iteratorINS6_10device_ptrIiEEEESG_SG_SG_PmS8_NS6_8equal_toIiEEEE10hipError_tPvRmT2_T3_mT4_T5_T6_T7_T8_P12ihipStream_tbENKUlT_T0_E_clISt17integral_constantIbLb1EES11_EEDaSW_SX_EUlSW_E_NS1_11comp_targetILNS1_3genE3ELNS1_11target_archE908ELNS1_3gpuE7ELNS1_3repE0EEENS1_30default_config_static_selectorELNS0_4arch9wavefront6targetE1EEEvT1_,"axG",@progbits,_ZN7rocprim17ROCPRIM_400000_NS6detail17trampoline_kernelINS0_14default_configENS1_29reduce_by_key_config_selectorIiiN6thrust23THRUST_200600_302600_NS4plusIiEEEEZZNS1_33reduce_by_key_impl_wrapped_configILNS1_25lookback_scan_determinismE0ES3_S9_NS6_6detail15normal_iteratorINS6_10device_ptrIiEEEESG_SG_SG_PmS8_NS6_8equal_toIiEEEE10hipError_tPvRmT2_T3_mT4_T5_T6_T7_T8_P12ihipStream_tbENKUlT_T0_E_clISt17integral_constantIbLb1EES11_EEDaSW_SX_EUlSW_E_NS1_11comp_targetILNS1_3genE3ELNS1_11target_archE908ELNS1_3gpuE7ELNS1_3repE0EEENS1_30default_config_static_selectorELNS0_4arch9wavefront6targetE1EEEvT1_,comdat
	.protected	_ZN7rocprim17ROCPRIM_400000_NS6detail17trampoline_kernelINS0_14default_configENS1_29reduce_by_key_config_selectorIiiN6thrust23THRUST_200600_302600_NS4plusIiEEEEZZNS1_33reduce_by_key_impl_wrapped_configILNS1_25lookback_scan_determinismE0ES3_S9_NS6_6detail15normal_iteratorINS6_10device_ptrIiEEEESG_SG_SG_PmS8_NS6_8equal_toIiEEEE10hipError_tPvRmT2_T3_mT4_T5_T6_T7_T8_P12ihipStream_tbENKUlT_T0_E_clISt17integral_constantIbLb1EES11_EEDaSW_SX_EUlSW_E_NS1_11comp_targetILNS1_3genE3ELNS1_11target_archE908ELNS1_3gpuE7ELNS1_3repE0EEENS1_30default_config_static_selectorELNS0_4arch9wavefront6targetE1EEEvT1_ ; -- Begin function _ZN7rocprim17ROCPRIM_400000_NS6detail17trampoline_kernelINS0_14default_configENS1_29reduce_by_key_config_selectorIiiN6thrust23THRUST_200600_302600_NS4plusIiEEEEZZNS1_33reduce_by_key_impl_wrapped_configILNS1_25lookback_scan_determinismE0ES3_S9_NS6_6detail15normal_iteratorINS6_10device_ptrIiEEEESG_SG_SG_PmS8_NS6_8equal_toIiEEEE10hipError_tPvRmT2_T3_mT4_T5_T6_T7_T8_P12ihipStream_tbENKUlT_T0_E_clISt17integral_constantIbLb1EES11_EEDaSW_SX_EUlSW_E_NS1_11comp_targetILNS1_3genE3ELNS1_11target_archE908ELNS1_3gpuE7ELNS1_3repE0EEENS1_30default_config_static_selectorELNS0_4arch9wavefront6targetE1EEEvT1_
	.globl	_ZN7rocprim17ROCPRIM_400000_NS6detail17trampoline_kernelINS0_14default_configENS1_29reduce_by_key_config_selectorIiiN6thrust23THRUST_200600_302600_NS4plusIiEEEEZZNS1_33reduce_by_key_impl_wrapped_configILNS1_25lookback_scan_determinismE0ES3_S9_NS6_6detail15normal_iteratorINS6_10device_ptrIiEEEESG_SG_SG_PmS8_NS6_8equal_toIiEEEE10hipError_tPvRmT2_T3_mT4_T5_T6_T7_T8_P12ihipStream_tbENKUlT_T0_E_clISt17integral_constantIbLb1EES11_EEDaSW_SX_EUlSW_E_NS1_11comp_targetILNS1_3genE3ELNS1_11target_archE908ELNS1_3gpuE7ELNS1_3repE0EEENS1_30default_config_static_selectorELNS0_4arch9wavefront6targetE1EEEvT1_
	.p2align	8
	.type	_ZN7rocprim17ROCPRIM_400000_NS6detail17trampoline_kernelINS0_14default_configENS1_29reduce_by_key_config_selectorIiiN6thrust23THRUST_200600_302600_NS4plusIiEEEEZZNS1_33reduce_by_key_impl_wrapped_configILNS1_25lookback_scan_determinismE0ES3_S9_NS6_6detail15normal_iteratorINS6_10device_ptrIiEEEESG_SG_SG_PmS8_NS6_8equal_toIiEEEE10hipError_tPvRmT2_T3_mT4_T5_T6_T7_T8_P12ihipStream_tbENKUlT_T0_E_clISt17integral_constantIbLb1EES11_EEDaSW_SX_EUlSW_E_NS1_11comp_targetILNS1_3genE3ELNS1_11target_archE908ELNS1_3gpuE7ELNS1_3repE0EEENS1_30default_config_static_selectorELNS0_4arch9wavefront6targetE1EEEvT1_,@function
_ZN7rocprim17ROCPRIM_400000_NS6detail17trampoline_kernelINS0_14default_configENS1_29reduce_by_key_config_selectorIiiN6thrust23THRUST_200600_302600_NS4plusIiEEEEZZNS1_33reduce_by_key_impl_wrapped_configILNS1_25lookback_scan_determinismE0ES3_S9_NS6_6detail15normal_iteratorINS6_10device_ptrIiEEEESG_SG_SG_PmS8_NS6_8equal_toIiEEEE10hipError_tPvRmT2_T3_mT4_T5_T6_T7_T8_P12ihipStream_tbENKUlT_T0_E_clISt17integral_constantIbLb1EES11_EEDaSW_SX_EUlSW_E_NS1_11comp_targetILNS1_3genE3ELNS1_11target_archE908ELNS1_3gpuE7ELNS1_3repE0EEENS1_30default_config_static_selectorELNS0_4arch9wavefront6targetE1EEEvT1_: ; @_ZN7rocprim17ROCPRIM_400000_NS6detail17trampoline_kernelINS0_14default_configENS1_29reduce_by_key_config_selectorIiiN6thrust23THRUST_200600_302600_NS4plusIiEEEEZZNS1_33reduce_by_key_impl_wrapped_configILNS1_25lookback_scan_determinismE0ES3_S9_NS6_6detail15normal_iteratorINS6_10device_ptrIiEEEESG_SG_SG_PmS8_NS6_8equal_toIiEEEE10hipError_tPvRmT2_T3_mT4_T5_T6_T7_T8_P12ihipStream_tbENKUlT_T0_E_clISt17integral_constantIbLb1EES11_EEDaSW_SX_EUlSW_E_NS1_11comp_targetILNS1_3genE3ELNS1_11target_archE908ELNS1_3gpuE7ELNS1_3repE0EEENS1_30default_config_static_selectorELNS0_4arch9wavefront6targetE1EEEvT1_
; %bb.0:
	.section	.rodata,"a",@progbits
	.p2align	6, 0x0
	.amdhsa_kernel _ZN7rocprim17ROCPRIM_400000_NS6detail17trampoline_kernelINS0_14default_configENS1_29reduce_by_key_config_selectorIiiN6thrust23THRUST_200600_302600_NS4plusIiEEEEZZNS1_33reduce_by_key_impl_wrapped_configILNS1_25lookback_scan_determinismE0ES3_S9_NS6_6detail15normal_iteratorINS6_10device_ptrIiEEEESG_SG_SG_PmS8_NS6_8equal_toIiEEEE10hipError_tPvRmT2_T3_mT4_T5_T6_T7_T8_P12ihipStream_tbENKUlT_T0_E_clISt17integral_constantIbLb1EES11_EEDaSW_SX_EUlSW_E_NS1_11comp_targetILNS1_3genE3ELNS1_11target_archE908ELNS1_3gpuE7ELNS1_3repE0EEENS1_30default_config_static_selectorELNS0_4arch9wavefront6targetE1EEEvT1_
		.amdhsa_group_segment_fixed_size 0
		.amdhsa_private_segment_fixed_size 0
		.amdhsa_kernarg_size 120
		.amdhsa_user_sgpr_count 6
		.amdhsa_user_sgpr_private_segment_buffer 1
		.amdhsa_user_sgpr_dispatch_ptr 0
		.amdhsa_user_sgpr_queue_ptr 0
		.amdhsa_user_sgpr_kernarg_segment_ptr 1
		.amdhsa_user_sgpr_dispatch_id 0
		.amdhsa_user_sgpr_flat_scratch_init 0
		.amdhsa_user_sgpr_kernarg_preload_length 0
		.amdhsa_user_sgpr_kernarg_preload_offset 0
		.amdhsa_user_sgpr_private_segment_size 0
		.amdhsa_uses_dynamic_stack 0
		.amdhsa_system_sgpr_private_segment_wavefront_offset 0
		.amdhsa_system_sgpr_workgroup_id_x 1
		.amdhsa_system_sgpr_workgroup_id_y 0
		.amdhsa_system_sgpr_workgroup_id_z 0
		.amdhsa_system_sgpr_workgroup_info 0
		.amdhsa_system_vgpr_workitem_id 0
		.amdhsa_next_free_vgpr 1
		.amdhsa_next_free_sgpr 0
		.amdhsa_accum_offset 4
		.amdhsa_reserve_vcc 0
		.amdhsa_reserve_flat_scratch 0
		.amdhsa_float_round_mode_32 0
		.amdhsa_float_round_mode_16_64 0
		.amdhsa_float_denorm_mode_32 3
		.amdhsa_float_denorm_mode_16_64 3
		.amdhsa_dx10_clamp 1
		.amdhsa_ieee_mode 1
		.amdhsa_fp16_overflow 0
		.amdhsa_tg_split 0
		.amdhsa_exception_fp_ieee_invalid_op 0
		.amdhsa_exception_fp_denorm_src 0
		.amdhsa_exception_fp_ieee_div_zero 0
		.amdhsa_exception_fp_ieee_overflow 0
		.amdhsa_exception_fp_ieee_underflow 0
		.amdhsa_exception_fp_ieee_inexact 0
		.amdhsa_exception_int_div_zero 0
	.end_amdhsa_kernel
	.section	.text._ZN7rocprim17ROCPRIM_400000_NS6detail17trampoline_kernelINS0_14default_configENS1_29reduce_by_key_config_selectorIiiN6thrust23THRUST_200600_302600_NS4plusIiEEEEZZNS1_33reduce_by_key_impl_wrapped_configILNS1_25lookback_scan_determinismE0ES3_S9_NS6_6detail15normal_iteratorINS6_10device_ptrIiEEEESG_SG_SG_PmS8_NS6_8equal_toIiEEEE10hipError_tPvRmT2_T3_mT4_T5_T6_T7_T8_P12ihipStream_tbENKUlT_T0_E_clISt17integral_constantIbLb1EES11_EEDaSW_SX_EUlSW_E_NS1_11comp_targetILNS1_3genE3ELNS1_11target_archE908ELNS1_3gpuE7ELNS1_3repE0EEENS1_30default_config_static_selectorELNS0_4arch9wavefront6targetE1EEEvT1_,"axG",@progbits,_ZN7rocprim17ROCPRIM_400000_NS6detail17trampoline_kernelINS0_14default_configENS1_29reduce_by_key_config_selectorIiiN6thrust23THRUST_200600_302600_NS4plusIiEEEEZZNS1_33reduce_by_key_impl_wrapped_configILNS1_25lookback_scan_determinismE0ES3_S9_NS6_6detail15normal_iteratorINS6_10device_ptrIiEEEESG_SG_SG_PmS8_NS6_8equal_toIiEEEE10hipError_tPvRmT2_T3_mT4_T5_T6_T7_T8_P12ihipStream_tbENKUlT_T0_E_clISt17integral_constantIbLb1EES11_EEDaSW_SX_EUlSW_E_NS1_11comp_targetILNS1_3genE3ELNS1_11target_archE908ELNS1_3gpuE7ELNS1_3repE0EEENS1_30default_config_static_selectorELNS0_4arch9wavefront6targetE1EEEvT1_,comdat
.Lfunc_end558:
	.size	_ZN7rocprim17ROCPRIM_400000_NS6detail17trampoline_kernelINS0_14default_configENS1_29reduce_by_key_config_selectorIiiN6thrust23THRUST_200600_302600_NS4plusIiEEEEZZNS1_33reduce_by_key_impl_wrapped_configILNS1_25lookback_scan_determinismE0ES3_S9_NS6_6detail15normal_iteratorINS6_10device_ptrIiEEEESG_SG_SG_PmS8_NS6_8equal_toIiEEEE10hipError_tPvRmT2_T3_mT4_T5_T6_T7_T8_P12ihipStream_tbENKUlT_T0_E_clISt17integral_constantIbLb1EES11_EEDaSW_SX_EUlSW_E_NS1_11comp_targetILNS1_3genE3ELNS1_11target_archE908ELNS1_3gpuE7ELNS1_3repE0EEENS1_30default_config_static_selectorELNS0_4arch9wavefront6targetE1EEEvT1_, .Lfunc_end558-_ZN7rocprim17ROCPRIM_400000_NS6detail17trampoline_kernelINS0_14default_configENS1_29reduce_by_key_config_selectorIiiN6thrust23THRUST_200600_302600_NS4plusIiEEEEZZNS1_33reduce_by_key_impl_wrapped_configILNS1_25lookback_scan_determinismE0ES3_S9_NS6_6detail15normal_iteratorINS6_10device_ptrIiEEEESG_SG_SG_PmS8_NS6_8equal_toIiEEEE10hipError_tPvRmT2_T3_mT4_T5_T6_T7_T8_P12ihipStream_tbENKUlT_T0_E_clISt17integral_constantIbLb1EES11_EEDaSW_SX_EUlSW_E_NS1_11comp_targetILNS1_3genE3ELNS1_11target_archE908ELNS1_3gpuE7ELNS1_3repE0EEENS1_30default_config_static_selectorELNS0_4arch9wavefront6targetE1EEEvT1_
                                        ; -- End function
	.section	.AMDGPU.csdata,"",@progbits
; Kernel info:
; codeLenInByte = 0
; NumSgprs: 4
; NumVgprs: 0
; NumAgprs: 0
; TotalNumVgprs: 0
; ScratchSize: 0
; MemoryBound: 0
; FloatMode: 240
; IeeeMode: 1
; LDSByteSize: 0 bytes/workgroup (compile time only)
; SGPRBlocks: 0
; VGPRBlocks: 0
; NumSGPRsForWavesPerEU: 4
; NumVGPRsForWavesPerEU: 1
; AccumOffset: 4
; Occupancy: 8
; WaveLimiterHint : 0
; COMPUTE_PGM_RSRC2:SCRATCH_EN: 0
; COMPUTE_PGM_RSRC2:USER_SGPR: 6
; COMPUTE_PGM_RSRC2:TRAP_HANDLER: 0
; COMPUTE_PGM_RSRC2:TGID_X_EN: 1
; COMPUTE_PGM_RSRC2:TGID_Y_EN: 0
; COMPUTE_PGM_RSRC2:TGID_Z_EN: 0
; COMPUTE_PGM_RSRC2:TIDIG_COMP_CNT: 0
; COMPUTE_PGM_RSRC3_GFX90A:ACCUM_OFFSET: 0
; COMPUTE_PGM_RSRC3_GFX90A:TG_SPLIT: 0
	.section	.text._ZN7rocprim17ROCPRIM_400000_NS6detail17trampoline_kernelINS0_14default_configENS1_29reduce_by_key_config_selectorIiiN6thrust23THRUST_200600_302600_NS4plusIiEEEEZZNS1_33reduce_by_key_impl_wrapped_configILNS1_25lookback_scan_determinismE0ES3_S9_NS6_6detail15normal_iteratorINS6_10device_ptrIiEEEESG_SG_SG_PmS8_NS6_8equal_toIiEEEE10hipError_tPvRmT2_T3_mT4_T5_T6_T7_T8_P12ihipStream_tbENKUlT_T0_E_clISt17integral_constantIbLb1EES11_EEDaSW_SX_EUlSW_E_NS1_11comp_targetILNS1_3genE2ELNS1_11target_archE906ELNS1_3gpuE6ELNS1_3repE0EEENS1_30default_config_static_selectorELNS0_4arch9wavefront6targetE1EEEvT1_,"axG",@progbits,_ZN7rocprim17ROCPRIM_400000_NS6detail17trampoline_kernelINS0_14default_configENS1_29reduce_by_key_config_selectorIiiN6thrust23THRUST_200600_302600_NS4plusIiEEEEZZNS1_33reduce_by_key_impl_wrapped_configILNS1_25lookback_scan_determinismE0ES3_S9_NS6_6detail15normal_iteratorINS6_10device_ptrIiEEEESG_SG_SG_PmS8_NS6_8equal_toIiEEEE10hipError_tPvRmT2_T3_mT4_T5_T6_T7_T8_P12ihipStream_tbENKUlT_T0_E_clISt17integral_constantIbLb1EES11_EEDaSW_SX_EUlSW_E_NS1_11comp_targetILNS1_3genE2ELNS1_11target_archE906ELNS1_3gpuE6ELNS1_3repE0EEENS1_30default_config_static_selectorELNS0_4arch9wavefront6targetE1EEEvT1_,comdat
	.protected	_ZN7rocprim17ROCPRIM_400000_NS6detail17trampoline_kernelINS0_14default_configENS1_29reduce_by_key_config_selectorIiiN6thrust23THRUST_200600_302600_NS4plusIiEEEEZZNS1_33reduce_by_key_impl_wrapped_configILNS1_25lookback_scan_determinismE0ES3_S9_NS6_6detail15normal_iteratorINS6_10device_ptrIiEEEESG_SG_SG_PmS8_NS6_8equal_toIiEEEE10hipError_tPvRmT2_T3_mT4_T5_T6_T7_T8_P12ihipStream_tbENKUlT_T0_E_clISt17integral_constantIbLb1EES11_EEDaSW_SX_EUlSW_E_NS1_11comp_targetILNS1_3genE2ELNS1_11target_archE906ELNS1_3gpuE6ELNS1_3repE0EEENS1_30default_config_static_selectorELNS0_4arch9wavefront6targetE1EEEvT1_ ; -- Begin function _ZN7rocprim17ROCPRIM_400000_NS6detail17trampoline_kernelINS0_14default_configENS1_29reduce_by_key_config_selectorIiiN6thrust23THRUST_200600_302600_NS4plusIiEEEEZZNS1_33reduce_by_key_impl_wrapped_configILNS1_25lookback_scan_determinismE0ES3_S9_NS6_6detail15normal_iteratorINS6_10device_ptrIiEEEESG_SG_SG_PmS8_NS6_8equal_toIiEEEE10hipError_tPvRmT2_T3_mT4_T5_T6_T7_T8_P12ihipStream_tbENKUlT_T0_E_clISt17integral_constantIbLb1EES11_EEDaSW_SX_EUlSW_E_NS1_11comp_targetILNS1_3genE2ELNS1_11target_archE906ELNS1_3gpuE6ELNS1_3repE0EEENS1_30default_config_static_selectorELNS0_4arch9wavefront6targetE1EEEvT1_
	.globl	_ZN7rocprim17ROCPRIM_400000_NS6detail17trampoline_kernelINS0_14default_configENS1_29reduce_by_key_config_selectorIiiN6thrust23THRUST_200600_302600_NS4plusIiEEEEZZNS1_33reduce_by_key_impl_wrapped_configILNS1_25lookback_scan_determinismE0ES3_S9_NS6_6detail15normal_iteratorINS6_10device_ptrIiEEEESG_SG_SG_PmS8_NS6_8equal_toIiEEEE10hipError_tPvRmT2_T3_mT4_T5_T6_T7_T8_P12ihipStream_tbENKUlT_T0_E_clISt17integral_constantIbLb1EES11_EEDaSW_SX_EUlSW_E_NS1_11comp_targetILNS1_3genE2ELNS1_11target_archE906ELNS1_3gpuE6ELNS1_3repE0EEENS1_30default_config_static_selectorELNS0_4arch9wavefront6targetE1EEEvT1_
	.p2align	8
	.type	_ZN7rocprim17ROCPRIM_400000_NS6detail17trampoline_kernelINS0_14default_configENS1_29reduce_by_key_config_selectorIiiN6thrust23THRUST_200600_302600_NS4plusIiEEEEZZNS1_33reduce_by_key_impl_wrapped_configILNS1_25lookback_scan_determinismE0ES3_S9_NS6_6detail15normal_iteratorINS6_10device_ptrIiEEEESG_SG_SG_PmS8_NS6_8equal_toIiEEEE10hipError_tPvRmT2_T3_mT4_T5_T6_T7_T8_P12ihipStream_tbENKUlT_T0_E_clISt17integral_constantIbLb1EES11_EEDaSW_SX_EUlSW_E_NS1_11comp_targetILNS1_3genE2ELNS1_11target_archE906ELNS1_3gpuE6ELNS1_3repE0EEENS1_30default_config_static_selectorELNS0_4arch9wavefront6targetE1EEEvT1_,@function
_ZN7rocprim17ROCPRIM_400000_NS6detail17trampoline_kernelINS0_14default_configENS1_29reduce_by_key_config_selectorIiiN6thrust23THRUST_200600_302600_NS4plusIiEEEEZZNS1_33reduce_by_key_impl_wrapped_configILNS1_25lookback_scan_determinismE0ES3_S9_NS6_6detail15normal_iteratorINS6_10device_ptrIiEEEESG_SG_SG_PmS8_NS6_8equal_toIiEEEE10hipError_tPvRmT2_T3_mT4_T5_T6_T7_T8_P12ihipStream_tbENKUlT_T0_E_clISt17integral_constantIbLb1EES11_EEDaSW_SX_EUlSW_E_NS1_11comp_targetILNS1_3genE2ELNS1_11target_archE906ELNS1_3gpuE6ELNS1_3repE0EEENS1_30default_config_static_selectorELNS0_4arch9wavefront6targetE1EEEvT1_: ; @_ZN7rocprim17ROCPRIM_400000_NS6detail17trampoline_kernelINS0_14default_configENS1_29reduce_by_key_config_selectorIiiN6thrust23THRUST_200600_302600_NS4plusIiEEEEZZNS1_33reduce_by_key_impl_wrapped_configILNS1_25lookback_scan_determinismE0ES3_S9_NS6_6detail15normal_iteratorINS6_10device_ptrIiEEEESG_SG_SG_PmS8_NS6_8equal_toIiEEEE10hipError_tPvRmT2_T3_mT4_T5_T6_T7_T8_P12ihipStream_tbENKUlT_T0_E_clISt17integral_constantIbLb1EES11_EEDaSW_SX_EUlSW_E_NS1_11comp_targetILNS1_3genE2ELNS1_11target_archE906ELNS1_3gpuE6ELNS1_3repE0EEENS1_30default_config_static_selectorELNS0_4arch9wavefront6targetE1EEEvT1_
; %bb.0:
	.section	.rodata,"a",@progbits
	.p2align	6, 0x0
	.amdhsa_kernel _ZN7rocprim17ROCPRIM_400000_NS6detail17trampoline_kernelINS0_14default_configENS1_29reduce_by_key_config_selectorIiiN6thrust23THRUST_200600_302600_NS4plusIiEEEEZZNS1_33reduce_by_key_impl_wrapped_configILNS1_25lookback_scan_determinismE0ES3_S9_NS6_6detail15normal_iteratorINS6_10device_ptrIiEEEESG_SG_SG_PmS8_NS6_8equal_toIiEEEE10hipError_tPvRmT2_T3_mT4_T5_T6_T7_T8_P12ihipStream_tbENKUlT_T0_E_clISt17integral_constantIbLb1EES11_EEDaSW_SX_EUlSW_E_NS1_11comp_targetILNS1_3genE2ELNS1_11target_archE906ELNS1_3gpuE6ELNS1_3repE0EEENS1_30default_config_static_selectorELNS0_4arch9wavefront6targetE1EEEvT1_
		.amdhsa_group_segment_fixed_size 0
		.amdhsa_private_segment_fixed_size 0
		.amdhsa_kernarg_size 120
		.amdhsa_user_sgpr_count 6
		.amdhsa_user_sgpr_private_segment_buffer 1
		.amdhsa_user_sgpr_dispatch_ptr 0
		.amdhsa_user_sgpr_queue_ptr 0
		.amdhsa_user_sgpr_kernarg_segment_ptr 1
		.amdhsa_user_sgpr_dispatch_id 0
		.amdhsa_user_sgpr_flat_scratch_init 0
		.amdhsa_user_sgpr_kernarg_preload_length 0
		.amdhsa_user_sgpr_kernarg_preload_offset 0
		.amdhsa_user_sgpr_private_segment_size 0
		.amdhsa_uses_dynamic_stack 0
		.amdhsa_system_sgpr_private_segment_wavefront_offset 0
		.amdhsa_system_sgpr_workgroup_id_x 1
		.amdhsa_system_sgpr_workgroup_id_y 0
		.amdhsa_system_sgpr_workgroup_id_z 0
		.amdhsa_system_sgpr_workgroup_info 0
		.amdhsa_system_vgpr_workitem_id 0
		.amdhsa_next_free_vgpr 1
		.amdhsa_next_free_sgpr 0
		.amdhsa_accum_offset 4
		.amdhsa_reserve_vcc 0
		.amdhsa_reserve_flat_scratch 0
		.amdhsa_float_round_mode_32 0
		.amdhsa_float_round_mode_16_64 0
		.amdhsa_float_denorm_mode_32 3
		.amdhsa_float_denorm_mode_16_64 3
		.amdhsa_dx10_clamp 1
		.amdhsa_ieee_mode 1
		.amdhsa_fp16_overflow 0
		.amdhsa_tg_split 0
		.amdhsa_exception_fp_ieee_invalid_op 0
		.amdhsa_exception_fp_denorm_src 0
		.amdhsa_exception_fp_ieee_div_zero 0
		.amdhsa_exception_fp_ieee_overflow 0
		.amdhsa_exception_fp_ieee_underflow 0
		.amdhsa_exception_fp_ieee_inexact 0
		.amdhsa_exception_int_div_zero 0
	.end_amdhsa_kernel
	.section	.text._ZN7rocprim17ROCPRIM_400000_NS6detail17trampoline_kernelINS0_14default_configENS1_29reduce_by_key_config_selectorIiiN6thrust23THRUST_200600_302600_NS4plusIiEEEEZZNS1_33reduce_by_key_impl_wrapped_configILNS1_25lookback_scan_determinismE0ES3_S9_NS6_6detail15normal_iteratorINS6_10device_ptrIiEEEESG_SG_SG_PmS8_NS6_8equal_toIiEEEE10hipError_tPvRmT2_T3_mT4_T5_T6_T7_T8_P12ihipStream_tbENKUlT_T0_E_clISt17integral_constantIbLb1EES11_EEDaSW_SX_EUlSW_E_NS1_11comp_targetILNS1_3genE2ELNS1_11target_archE906ELNS1_3gpuE6ELNS1_3repE0EEENS1_30default_config_static_selectorELNS0_4arch9wavefront6targetE1EEEvT1_,"axG",@progbits,_ZN7rocprim17ROCPRIM_400000_NS6detail17trampoline_kernelINS0_14default_configENS1_29reduce_by_key_config_selectorIiiN6thrust23THRUST_200600_302600_NS4plusIiEEEEZZNS1_33reduce_by_key_impl_wrapped_configILNS1_25lookback_scan_determinismE0ES3_S9_NS6_6detail15normal_iteratorINS6_10device_ptrIiEEEESG_SG_SG_PmS8_NS6_8equal_toIiEEEE10hipError_tPvRmT2_T3_mT4_T5_T6_T7_T8_P12ihipStream_tbENKUlT_T0_E_clISt17integral_constantIbLb1EES11_EEDaSW_SX_EUlSW_E_NS1_11comp_targetILNS1_3genE2ELNS1_11target_archE906ELNS1_3gpuE6ELNS1_3repE0EEENS1_30default_config_static_selectorELNS0_4arch9wavefront6targetE1EEEvT1_,comdat
.Lfunc_end559:
	.size	_ZN7rocprim17ROCPRIM_400000_NS6detail17trampoline_kernelINS0_14default_configENS1_29reduce_by_key_config_selectorIiiN6thrust23THRUST_200600_302600_NS4plusIiEEEEZZNS1_33reduce_by_key_impl_wrapped_configILNS1_25lookback_scan_determinismE0ES3_S9_NS6_6detail15normal_iteratorINS6_10device_ptrIiEEEESG_SG_SG_PmS8_NS6_8equal_toIiEEEE10hipError_tPvRmT2_T3_mT4_T5_T6_T7_T8_P12ihipStream_tbENKUlT_T0_E_clISt17integral_constantIbLb1EES11_EEDaSW_SX_EUlSW_E_NS1_11comp_targetILNS1_3genE2ELNS1_11target_archE906ELNS1_3gpuE6ELNS1_3repE0EEENS1_30default_config_static_selectorELNS0_4arch9wavefront6targetE1EEEvT1_, .Lfunc_end559-_ZN7rocprim17ROCPRIM_400000_NS6detail17trampoline_kernelINS0_14default_configENS1_29reduce_by_key_config_selectorIiiN6thrust23THRUST_200600_302600_NS4plusIiEEEEZZNS1_33reduce_by_key_impl_wrapped_configILNS1_25lookback_scan_determinismE0ES3_S9_NS6_6detail15normal_iteratorINS6_10device_ptrIiEEEESG_SG_SG_PmS8_NS6_8equal_toIiEEEE10hipError_tPvRmT2_T3_mT4_T5_T6_T7_T8_P12ihipStream_tbENKUlT_T0_E_clISt17integral_constantIbLb1EES11_EEDaSW_SX_EUlSW_E_NS1_11comp_targetILNS1_3genE2ELNS1_11target_archE906ELNS1_3gpuE6ELNS1_3repE0EEENS1_30default_config_static_selectorELNS0_4arch9wavefront6targetE1EEEvT1_
                                        ; -- End function
	.section	.AMDGPU.csdata,"",@progbits
; Kernel info:
; codeLenInByte = 0
; NumSgprs: 4
; NumVgprs: 0
; NumAgprs: 0
; TotalNumVgprs: 0
; ScratchSize: 0
; MemoryBound: 0
; FloatMode: 240
; IeeeMode: 1
; LDSByteSize: 0 bytes/workgroup (compile time only)
; SGPRBlocks: 0
; VGPRBlocks: 0
; NumSGPRsForWavesPerEU: 4
; NumVGPRsForWavesPerEU: 1
; AccumOffset: 4
; Occupancy: 8
; WaveLimiterHint : 0
; COMPUTE_PGM_RSRC2:SCRATCH_EN: 0
; COMPUTE_PGM_RSRC2:USER_SGPR: 6
; COMPUTE_PGM_RSRC2:TRAP_HANDLER: 0
; COMPUTE_PGM_RSRC2:TGID_X_EN: 1
; COMPUTE_PGM_RSRC2:TGID_Y_EN: 0
; COMPUTE_PGM_RSRC2:TGID_Z_EN: 0
; COMPUTE_PGM_RSRC2:TIDIG_COMP_CNT: 0
; COMPUTE_PGM_RSRC3_GFX90A:ACCUM_OFFSET: 0
; COMPUTE_PGM_RSRC3_GFX90A:TG_SPLIT: 0
	.section	.text._ZN7rocprim17ROCPRIM_400000_NS6detail17trampoline_kernelINS0_14default_configENS1_29reduce_by_key_config_selectorIiiN6thrust23THRUST_200600_302600_NS4plusIiEEEEZZNS1_33reduce_by_key_impl_wrapped_configILNS1_25lookback_scan_determinismE0ES3_S9_NS6_6detail15normal_iteratorINS6_10device_ptrIiEEEESG_SG_SG_PmS8_NS6_8equal_toIiEEEE10hipError_tPvRmT2_T3_mT4_T5_T6_T7_T8_P12ihipStream_tbENKUlT_T0_E_clISt17integral_constantIbLb1EES11_EEDaSW_SX_EUlSW_E_NS1_11comp_targetILNS1_3genE10ELNS1_11target_archE1201ELNS1_3gpuE5ELNS1_3repE0EEENS1_30default_config_static_selectorELNS0_4arch9wavefront6targetE1EEEvT1_,"axG",@progbits,_ZN7rocprim17ROCPRIM_400000_NS6detail17trampoline_kernelINS0_14default_configENS1_29reduce_by_key_config_selectorIiiN6thrust23THRUST_200600_302600_NS4plusIiEEEEZZNS1_33reduce_by_key_impl_wrapped_configILNS1_25lookback_scan_determinismE0ES3_S9_NS6_6detail15normal_iteratorINS6_10device_ptrIiEEEESG_SG_SG_PmS8_NS6_8equal_toIiEEEE10hipError_tPvRmT2_T3_mT4_T5_T6_T7_T8_P12ihipStream_tbENKUlT_T0_E_clISt17integral_constantIbLb1EES11_EEDaSW_SX_EUlSW_E_NS1_11comp_targetILNS1_3genE10ELNS1_11target_archE1201ELNS1_3gpuE5ELNS1_3repE0EEENS1_30default_config_static_selectorELNS0_4arch9wavefront6targetE1EEEvT1_,comdat
	.protected	_ZN7rocprim17ROCPRIM_400000_NS6detail17trampoline_kernelINS0_14default_configENS1_29reduce_by_key_config_selectorIiiN6thrust23THRUST_200600_302600_NS4plusIiEEEEZZNS1_33reduce_by_key_impl_wrapped_configILNS1_25lookback_scan_determinismE0ES3_S9_NS6_6detail15normal_iteratorINS6_10device_ptrIiEEEESG_SG_SG_PmS8_NS6_8equal_toIiEEEE10hipError_tPvRmT2_T3_mT4_T5_T6_T7_T8_P12ihipStream_tbENKUlT_T0_E_clISt17integral_constantIbLb1EES11_EEDaSW_SX_EUlSW_E_NS1_11comp_targetILNS1_3genE10ELNS1_11target_archE1201ELNS1_3gpuE5ELNS1_3repE0EEENS1_30default_config_static_selectorELNS0_4arch9wavefront6targetE1EEEvT1_ ; -- Begin function _ZN7rocprim17ROCPRIM_400000_NS6detail17trampoline_kernelINS0_14default_configENS1_29reduce_by_key_config_selectorIiiN6thrust23THRUST_200600_302600_NS4plusIiEEEEZZNS1_33reduce_by_key_impl_wrapped_configILNS1_25lookback_scan_determinismE0ES3_S9_NS6_6detail15normal_iteratorINS6_10device_ptrIiEEEESG_SG_SG_PmS8_NS6_8equal_toIiEEEE10hipError_tPvRmT2_T3_mT4_T5_T6_T7_T8_P12ihipStream_tbENKUlT_T0_E_clISt17integral_constantIbLb1EES11_EEDaSW_SX_EUlSW_E_NS1_11comp_targetILNS1_3genE10ELNS1_11target_archE1201ELNS1_3gpuE5ELNS1_3repE0EEENS1_30default_config_static_selectorELNS0_4arch9wavefront6targetE1EEEvT1_
	.globl	_ZN7rocprim17ROCPRIM_400000_NS6detail17trampoline_kernelINS0_14default_configENS1_29reduce_by_key_config_selectorIiiN6thrust23THRUST_200600_302600_NS4plusIiEEEEZZNS1_33reduce_by_key_impl_wrapped_configILNS1_25lookback_scan_determinismE0ES3_S9_NS6_6detail15normal_iteratorINS6_10device_ptrIiEEEESG_SG_SG_PmS8_NS6_8equal_toIiEEEE10hipError_tPvRmT2_T3_mT4_T5_T6_T7_T8_P12ihipStream_tbENKUlT_T0_E_clISt17integral_constantIbLb1EES11_EEDaSW_SX_EUlSW_E_NS1_11comp_targetILNS1_3genE10ELNS1_11target_archE1201ELNS1_3gpuE5ELNS1_3repE0EEENS1_30default_config_static_selectorELNS0_4arch9wavefront6targetE1EEEvT1_
	.p2align	8
	.type	_ZN7rocprim17ROCPRIM_400000_NS6detail17trampoline_kernelINS0_14default_configENS1_29reduce_by_key_config_selectorIiiN6thrust23THRUST_200600_302600_NS4plusIiEEEEZZNS1_33reduce_by_key_impl_wrapped_configILNS1_25lookback_scan_determinismE0ES3_S9_NS6_6detail15normal_iteratorINS6_10device_ptrIiEEEESG_SG_SG_PmS8_NS6_8equal_toIiEEEE10hipError_tPvRmT2_T3_mT4_T5_T6_T7_T8_P12ihipStream_tbENKUlT_T0_E_clISt17integral_constantIbLb1EES11_EEDaSW_SX_EUlSW_E_NS1_11comp_targetILNS1_3genE10ELNS1_11target_archE1201ELNS1_3gpuE5ELNS1_3repE0EEENS1_30default_config_static_selectorELNS0_4arch9wavefront6targetE1EEEvT1_,@function
_ZN7rocprim17ROCPRIM_400000_NS6detail17trampoline_kernelINS0_14default_configENS1_29reduce_by_key_config_selectorIiiN6thrust23THRUST_200600_302600_NS4plusIiEEEEZZNS1_33reduce_by_key_impl_wrapped_configILNS1_25lookback_scan_determinismE0ES3_S9_NS6_6detail15normal_iteratorINS6_10device_ptrIiEEEESG_SG_SG_PmS8_NS6_8equal_toIiEEEE10hipError_tPvRmT2_T3_mT4_T5_T6_T7_T8_P12ihipStream_tbENKUlT_T0_E_clISt17integral_constantIbLb1EES11_EEDaSW_SX_EUlSW_E_NS1_11comp_targetILNS1_3genE10ELNS1_11target_archE1201ELNS1_3gpuE5ELNS1_3repE0EEENS1_30default_config_static_selectorELNS0_4arch9wavefront6targetE1EEEvT1_: ; @_ZN7rocprim17ROCPRIM_400000_NS6detail17trampoline_kernelINS0_14default_configENS1_29reduce_by_key_config_selectorIiiN6thrust23THRUST_200600_302600_NS4plusIiEEEEZZNS1_33reduce_by_key_impl_wrapped_configILNS1_25lookback_scan_determinismE0ES3_S9_NS6_6detail15normal_iteratorINS6_10device_ptrIiEEEESG_SG_SG_PmS8_NS6_8equal_toIiEEEE10hipError_tPvRmT2_T3_mT4_T5_T6_T7_T8_P12ihipStream_tbENKUlT_T0_E_clISt17integral_constantIbLb1EES11_EEDaSW_SX_EUlSW_E_NS1_11comp_targetILNS1_3genE10ELNS1_11target_archE1201ELNS1_3gpuE5ELNS1_3repE0EEENS1_30default_config_static_selectorELNS0_4arch9wavefront6targetE1EEEvT1_
; %bb.0:
	.section	.rodata,"a",@progbits
	.p2align	6, 0x0
	.amdhsa_kernel _ZN7rocprim17ROCPRIM_400000_NS6detail17trampoline_kernelINS0_14default_configENS1_29reduce_by_key_config_selectorIiiN6thrust23THRUST_200600_302600_NS4plusIiEEEEZZNS1_33reduce_by_key_impl_wrapped_configILNS1_25lookback_scan_determinismE0ES3_S9_NS6_6detail15normal_iteratorINS6_10device_ptrIiEEEESG_SG_SG_PmS8_NS6_8equal_toIiEEEE10hipError_tPvRmT2_T3_mT4_T5_T6_T7_T8_P12ihipStream_tbENKUlT_T0_E_clISt17integral_constantIbLb1EES11_EEDaSW_SX_EUlSW_E_NS1_11comp_targetILNS1_3genE10ELNS1_11target_archE1201ELNS1_3gpuE5ELNS1_3repE0EEENS1_30default_config_static_selectorELNS0_4arch9wavefront6targetE1EEEvT1_
		.amdhsa_group_segment_fixed_size 0
		.amdhsa_private_segment_fixed_size 0
		.amdhsa_kernarg_size 120
		.amdhsa_user_sgpr_count 6
		.amdhsa_user_sgpr_private_segment_buffer 1
		.amdhsa_user_sgpr_dispatch_ptr 0
		.amdhsa_user_sgpr_queue_ptr 0
		.amdhsa_user_sgpr_kernarg_segment_ptr 1
		.amdhsa_user_sgpr_dispatch_id 0
		.amdhsa_user_sgpr_flat_scratch_init 0
		.amdhsa_user_sgpr_kernarg_preload_length 0
		.amdhsa_user_sgpr_kernarg_preload_offset 0
		.amdhsa_user_sgpr_private_segment_size 0
		.amdhsa_uses_dynamic_stack 0
		.amdhsa_system_sgpr_private_segment_wavefront_offset 0
		.amdhsa_system_sgpr_workgroup_id_x 1
		.amdhsa_system_sgpr_workgroup_id_y 0
		.amdhsa_system_sgpr_workgroup_id_z 0
		.amdhsa_system_sgpr_workgroup_info 0
		.amdhsa_system_vgpr_workitem_id 0
		.amdhsa_next_free_vgpr 1
		.amdhsa_next_free_sgpr 0
		.amdhsa_accum_offset 4
		.amdhsa_reserve_vcc 0
		.amdhsa_reserve_flat_scratch 0
		.amdhsa_float_round_mode_32 0
		.amdhsa_float_round_mode_16_64 0
		.amdhsa_float_denorm_mode_32 3
		.amdhsa_float_denorm_mode_16_64 3
		.amdhsa_dx10_clamp 1
		.amdhsa_ieee_mode 1
		.amdhsa_fp16_overflow 0
		.amdhsa_tg_split 0
		.amdhsa_exception_fp_ieee_invalid_op 0
		.amdhsa_exception_fp_denorm_src 0
		.amdhsa_exception_fp_ieee_div_zero 0
		.amdhsa_exception_fp_ieee_overflow 0
		.amdhsa_exception_fp_ieee_underflow 0
		.amdhsa_exception_fp_ieee_inexact 0
		.amdhsa_exception_int_div_zero 0
	.end_amdhsa_kernel
	.section	.text._ZN7rocprim17ROCPRIM_400000_NS6detail17trampoline_kernelINS0_14default_configENS1_29reduce_by_key_config_selectorIiiN6thrust23THRUST_200600_302600_NS4plusIiEEEEZZNS1_33reduce_by_key_impl_wrapped_configILNS1_25lookback_scan_determinismE0ES3_S9_NS6_6detail15normal_iteratorINS6_10device_ptrIiEEEESG_SG_SG_PmS8_NS6_8equal_toIiEEEE10hipError_tPvRmT2_T3_mT4_T5_T6_T7_T8_P12ihipStream_tbENKUlT_T0_E_clISt17integral_constantIbLb1EES11_EEDaSW_SX_EUlSW_E_NS1_11comp_targetILNS1_3genE10ELNS1_11target_archE1201ELNS1_3gpuE5ELNS1_3repE0EEENS1_30default_config_static_selectorELNS0_4arch9wavefront6targetE1EEEvT1_,"axG",@progbits,_ZN7rocprim17ROCPRIM_400000_NS6detail17trampoline_kernelINS0_14default_configENS1_29reduce_by_key_config_selectorIiiN6thrust23THRUST_200600_302600_NS4plusIiEEEEZZNS1_33reduce_by_key_impl_wrapped_configILNS1_25lookback_scan_determinismE0ES3_S9_NS6_6detail15normal_iteratorINS6_10device_ptrIiEEEESG_SG_SG_PmS8_NS6_8equal_toIiEEEE10hipError_tPvRmT2_T3_mT4_T5_T6_T7_T8_P12ihipStream_tbENKUlT_T0_E_clISt17integral_constantIbLb1EES11_EEDaSW_SX_EUlSW_E_NS1_11comp_targetILNS1_3genE10ELNS1_11target_archE1201ELNS1_3gpuE5ELNS1_3repE0EEENS1_30default_config_static_selectorELNS0_4arch9wavefront6targetE1EEEvT1_,comdat
.Lfunc_end560:
	.size	_ZN7rocprim17ROCPRIM_400000_NS6detail17trampoline_kernelINS0_14default_configENS1_29reduce_by_key_config_selectorIiiN6thrust23THRUST_200600_302600_NS4plusIiEEEEZZNS1_33reduce_by_key_impl_wrapped_configILNS1_25lookback_scan_determinismE0ES3_S9_NS6_6detail15normal_iteratorINS6_10device_ptrIiEEEESG_SG_SG_PmS8_NS6_8equal_toIiEEEE10hipError_tPvRmT2_T3_mT4_T5_T6_T7_T8_P12ihipStream_tbENKUlT_T0_E_clISt17integral_constantIbLb1EES11_EEDaSW_SX_EUlSW_E_NS1_11comp_targetILNS1_3genE10ELNS1_11target_archE1201ELNS1_3gpuE5ELNS1_3repE0EEENS1_30default_config_static_selectorELNS0_4arch9wavefront6targetE1EEEvT1_, .Lfunc_end560-_ZN7rocprim17ROCPRIM_400000_NS6detail17trampoline_kernelINS0_14default_configENS1_29reduce_by_key_config_selectorIiiN6thrust23THRUST_200600_302600_NS4plusIiEEEEZZNS1_33reduce_by_key_impl_wrapped_configILNS1_25lookback_scan_determinismE0ES3_S9_NS6_6detail15normal_iteratorINS6_10device_ptrIiEEEESG_SG_SG_PmS8_NS6_8equal_toIiEEEE10hipError_tPvRmT2_T3_mT4_T5_T6_T7_T8_P12ihipStream_tbENKUlT_T0_E_clISt17integral_constantIbLb1EES11_EEDaSW_SX_EUlSW_E_NS1_11comp_targetILNS1_3genE10ELNS1_11target_archE1201ELNS1_3gpuE5ELNS1_3repE0EEENS1_30default_config_static_selectorELNS0_4arch9wavefront6targetE1EEEvT1_
                                        ; -- End function
	.section	.AMDGPU.csdata,"",@progbits
; Kernel info:
; codeLenInByte = 0
; NumSgprs: 4
; NumVgprs: 0
; NumAgprs: 0
; TotalNumVgprs: 0
; ScratchSize: 0
; MemoryBound: 0
; FloatMode: 240
; IeeeMode: 1
; LDSByteSize: 0 bytes/workgroup (compile time only)
; SGPRBlocks: 0
; VGPRBlocks: 0
; NumSGPRsForWavesPerEU: 4
; NumVGPRsForWavesPerEU: 1
; AccumOffset: 4
; Occupancy: 8
; WaveLimiterHint : 0
; COMPUTE_PGM_RSRC2:SCRATCH_EN: 0
; COMPUTE_PGM_RSRC2:USER_SGPR: 6
; COMPUTE_PGM_RSRC2:TRAP_HANDLER: 0
; COMPUTE_PGM_RSRC2:TGID_X_EN: 1
; COMPUTE_PGM_RSRC2:TGID_Y_EN: 0
; COMPUTE_PGM_RSRC2:TGID_Z_EN: 0
; COMPUTE_PGM_RSRC2:TIDIG_COMP_CNT: 0
; COMPUTE_PGM_RSRC3_GFX90A:ACCUM_OFFSET: 0
; COMPUTE_PGM_RSRC3_GFX90A:TG_SPLIT: 0
	.section	.text._ZN7rocprim17ROCPRIM_400000_NS6detail17trampoline_kernelINS0_14default_configENS1_29reduce_by_key_config_selectorIiiN6thrust23THRUST_200600_302600_NS4plusIiEEEEZZNS1_33reduce_by_key_impl_wrapped_configILNS1_25lookback_scan_determinismE0ES3_S9_NS6_6detail15normal_iteratorINS6_10device_ptrIiEEEESG_SG_SG_PmS8_NS6_8equal_toIiEEEE10hipError_tPvRmT2_T3_mT4_T5_T6_T7_T8_P12ihipStream_tbENKUlT_T0_E_clISt17integral_constantIbLb1EES11_EEDaSW_SX_EUlSW_E_NS1_11comp_targetILNS1_3genE10ELNS1_11target_archE1200ELNS1_3gpuE4ELNS1_3repE0EEENS1_30default_config_static_selectorELNS0_4arch9wavefront6targetE1EEEvT1_,"axG",@progbits,_ZN7rocprim17ROCPRIM_400000_NS6detail17trampoline_kernelINS0_14default_configENS1_29reduce_by_key_config_selectorIiiN6thrust23THRUST_200600_302600_NS4plusIiEEEEZZNS1_33reduce_by_key_impl_wrapped_configILNS1_25lookback_scan_determinismE0ES3_S9_NS6_6detail15normal_iteratorINS6_10device_ptrIiEEEESG_SG_SG_PmS8_NS6_8equal_toIiEEEE10hipError_tPvRmT2_T3_mT4_T5_T6_T7_T8_P12ihipStream_tbENKUlT_T0_E_clISt17integral_constantIbLb1EES11_EEDaSW_SX_EUlSW_E_NS1_11comp_targetILNS1_3genE10ELNS1_11target_archE1200ELNS1_3gpuE4ELNS1_3repE0EEENS1_30default_config_static_selectorELNS0_4arch9wavefront6targetE1EEEvT1_,comdat
	.protected	_ZN7rocprim17ROCPRIM_400000_NS6detail17trampoline_kernelINS0_14default_configENS1_29reduce_by_key_config_selectorIiiN6thrust23THRUST_200600_302600_NS4plusIiEEEEZZNS1_33reduce_by_key_impl_wrapped_configILNS1_25lookback_scan_determinismE0ES3_S9_NS6_6detail15normal_iteratorINS6_10device_ptrIiEEEESG_SG_SG_PmS8_NS6_8equal_toIiEEEE10hipError_tPvRmT2_T3_mT4_T5_T6_T7_T8_P12ihipStream_tbENKUlT_T0_E_clISt17integral_constantIbLb1EES11_EEDaSW_SX_EUlSW_E_NS1_11comp_targetILNS1_3genE10ELNS1_11target_archE1200ELNS1_3gpuE4ELNS1_3repE0EEENS1_30default_config_static_selectorELNS0_4arch9wavefront6targetE1EEEvT1_ ; -- Begin function _ZN7rocprim17ROCPRIM_400000_NS6detail17trampoline_kernelINS0_14default_configENS1_29reduce_by_key_config_selectorIiiN6thrust23THRUST_200600_302600_NS4plusIiEEEEZZNS1_33reduce_by_key_impl_wrapped_configILNS1_25lookback_scan_determinismE0ES3_S9_NS6_6detail15normal_iteratorINS6_10device_ptrIiEEEESG_SG_SG_PmS8_NS6_8equal_toIiEEEE10hipError_tPvRmT2_T3_mT4_T5_T6_T7_T8_P12ihipStream_tbENKUlT_T0_E_clISt17integral_constantIbLb1EES11_EEDaSW_SX_EUlSW_E_NS1_11comp_targetILNS1_3genE10ELNS1_11target_archE1200ELNS1_3gpuE4ELNS1_3repE0EEENS1_30default_config_static_selectorELNS0_4arch9wavefront6targetE1EEEvT1_
	.globl	_ZN7rocprim17ROCPRIM_400000_NS6detail17trampoline_kernelINS0_14default_configENS1_29reduce_by_key_config_selectorIiiN6thrust23THRUST_200600_302600_NS4plusIiEEEEZZNS1_33reduce_by_key_impl_wrapped_configILNS1_25lookback_scan_determinismE0ES3_S9_NS6_6detail15normal_iteratorINS6_10device_ptrIiEEEESG_SG_SG_PmS8_NS6_8equal_toIiEEEE10hipError_tPvRmT2_T3_mT4_T5_T6_T7_T8_P12ihipStream_tbENKUlT_T0_E_clISt17integral_constantIbLb1EES11_EEDaSW_SX_EUlSW_E_NS1_11comp_targetILNS1_3genE10ELNS1_11target_archE1200ELNS1_3gpuE4ELNS1_3repE0EEENS1_30default_config_static_selectorELNS0_4arch9wavefront6targetE1EEEvT1_
	.p2align	8
	.type	_ZN7rocprim17ROCPRIM_400000_NS6detail17trampoline_kernelINS0_14default_configENS1_29reduce_by_key_config_selectorIiiN6thrust23THRUST_200600_302600_NS4plusIiEEEEZZNS1_33reduce_by_key_impl_wrapped_configILNS1_25lookback_scan_determinismE0ES3_S9_NS6_6detail15normal_iteratorINS6_10device_ptrIiEEEESG_SG_SG_PmS8_NS6_8equal_toIiEEEE10hipError_tPvRmT2_T3_mT4_T5_T6_T7_T8_P12ihipStream_tbENKUlT_T0_E_clISt17integral_constantIbLb1EES11_EEDaSW_SX_EUlSW_E_NS1_11comp_targetILNS1_3genE10ELNS1_11target_archE1200ELNS1_3gpuE4ELNS1_3repE0EEENS1_30default_config_static_selectorELNS0_4arch9wavefront6targetE1EEEvT1_,@function
_ZN7rocprim17ROCPRIM_400000_NS6detail17trampoline_kernelINS0_14default_configENS1_29reduce_by_key_config_selectorIiiN6thrust23THRUST_200600_302600_NS4plusIiEEEEZZNS1_33reduce_by_key_impl_wrapped_configILNS1_25lookback_scan_determinismE0ES3_S9_NS6_6detail15normal_iteratorINS6_10device_ptrIiEEEESG_SG_SG_PmS8_NS6_8equal_toIiEEEE10hipError_tPvRmT2_T3_mT4_T5_T6_T7_T8_P12ihipStream_tbENKUlT_T0_E_clISt17integral_constantIbLb1EES11_EEDaSW_SX_EUlSW_E_NS1_11comp_targetILNS1_3genE10ELNS1_11target_archE1200ELNS1_3gpuE4ELNS1_3repE0EEENS1_30default_config_static_selectorELNS0_4arch9wavefront6targetE1EEEvT1_: ; @_ZN7rocprim17ROCPRIM_400000_NS6detail17trampoline_kernelINS0_14default_configENS1_29reduce_by_key_config_selectorIiiN6thrust23THRUST_200600_302600_NS4plusIiEEEEZZNS1_33reduce_by_key_impl_wrapped_configILNS1_25lookback_scan_determinismE0ES3_S9_NS6_6detail15normal_iteratorINS6_10device_ptrIiEEEESG_SG_SG_PmS8_NS6_8equal_toIiEEEE10hipError_tPvRmT2_T3_mT4_T5_T6_T7_T8_P12ihipStream_tbENKUlT_T0_E_clISt17integral_constantIbLb1EES11_EEDaSW_SX_EUlSW_E_NS1_11comp_targetILNS1_3genE10ELNS1_11target_archE1200ELNS1_3gpuE4ELNS1_3repE0EEENS1_30default_config_static_selectorELNS0_4arch9wavefront6targetE1EEEvT1_
; %bb.0:
	.section	.rodata,"a",@progbits
	.p2align	6, 0x0
	.amdhsa_kernel _ZN7rocprim17ROCPRIM_400000_NS6detail17trampoline_kernelINS0_14default_configENS1_29reduce_by_key_config_selectorIiiN6thrust23THRUST_200600_302600_NS4plusIiEEEEZZNS1_33reduce_by_key_impl_wrapped_configILNS1_25lookback_scan_determinismE0ES3_S9_NS6_6detail15normal_iteratorINS6_10device_ptrIiEEEESG_SG_SG_PmS8_NS6_8equal_toIiEEEE10hipError_tPvRmT2_T3_mT4_T5_T6_T7_T8_P12ihipStream_tbENKUlT_T0_E_clISt17integral_constantIbLb1EES11_EEDaSW_SX_EUlSW_E_NS1_11comp_targetILNS1_3genE10ELNS1_11target_archE1200ELNS1_3gpuE4ELNS1_3repE0EEENS1_30default_config_static_selectorELNS0_4arch9wavefront6targetE1EEEvT1_
		.amdhsa_group_segment_fixed_size 0
		.amdhsa_private_segment_fixed_size 0
		.amdhsa_kernarg_size 120
		.amdhsa_user_sgpr_count 6
		.amdhsa_user_sgpr_private_segment_buffer 1
		.amdhsa_user_sgpr_dispatch_ptr 0
		.amdhsa_user_sgpr_queue_ptr 0
		.amdhsa_user_sgpr_kernarg_segment_ptr 1
		.amdhsa_user_sgpr_dispatch_id 0
		.amdhsa_user_sgpr_flat_scratch_init 0
		.amdhsa_user_sgpr_kernarg_preload_length 0
		.amdhsa_user_sgpr_kernarg_preload_offset 0
		.amdhsa_user_sgpr_private_segment_size 0
		.amdhsa_uses_dynamic_stack 0
		.amdhsa_system_sgpr_private_segment_wavefront_offset 0
		.amdhsa_system_sgpr_workgroup_id_x 1
		.amdhsa_system_sgpr_workgroup_id_y 0
		.amdhsa_system_sgpr_workgroup_id_z 0
		.amdhsa_system_sgpr_workgroup_info 0
		.amdhsa_system_vgpr_workitem_id 0
		.amdhsa_next_free_vgpr 1
		.amdhsa_next_free_sgpr 0
		.amdhsa_accum_offset 4
		.amdhsa_reserve_vcc 0
		.amdhsa_reserve_flat_scratch 0
		.amdhsa_float_round_mode_32 0
		.amdhsa_float_round_mode_16_64 0
		.amdhsa_float_denorm_mode_32 3
		.amdhsa_float_denorm_mode_16_64 3
		.amdhsa_dx10_clamp 1
		.amdhsa_ieee_mode 1
		.amdhsa_fp16_overflow 0
		.amdhsa_tg_split 0
		.amdhsa_exception_fp_ieee_invalid_op 0
		.amdhsa_exception_fp_denorm_src 0
		.amdhsa_exception_fp_ieee_div_zero 0
		.amdhsa_exception_fp_ieee_overflow 0
		.amdhsa_exception_fp_ieee_underflow 0
		.amdhsa_exception_fp_ieee_inexact 0
		.amdhsa_exception_int_div_zero 0
	.end_amdhsa_kernel
	.section	.text._ZN7rocprim17ROCPRIM_400000_NS6detail17trampoline_kernelINS0_14default_configENS1_29reduce_by_key_config_selectorIiiN6thrust23THRUST_200600_302600_NS4plusIiEEEEZZNS1_33reduce_by_key_impl_wrapped_configILNS1_25lookback_scan_determinismE0ES3_S9_NS6_6detail15normal_iteratorINS6_10device_ptrIiEEEESG_SG_SG_PmS8_NS6_8equal_toIiEEEE10hipError_tPvRmT2_T3_mT4_T5_T6_T7_T8_P12ihipStream_tbENKUlT_T0_E_clISt17integral_constantIbLb1EES11_EEDaSW_SX_EUlSW_E_NS1_11comp_targetILNS1_3genE10ELNS1_11target_archE1200ELNS1_3gpuE4ELNS1_3repE0EEENS1_30default_config_static_selectorELNS0_4arch9wavefront6targetE1EEEvT1_,"axG",@progbits,_ZN7rocprim17ROCPRIM_400000_NS6detail17trampoline_kernelINS0_14default_configENS1_29reduce_by_key_config_selectorIiiN6thrust23THRUST_200600_302600_NS4plusIiEEEEZZNS1_33reduce_by_key_impl_wrapped_configILNS1_25lookback_scan_determinismE0ES3_S9_NS6_6detail15normal_iteratorINS6_10device_ptrIiEEEESG_SG_SG_PmS8_NS6_8equal_toIiEEEE10hipError_tPvRmT2_T3_mT4_T5_T6_T7_T8_P12ihipStream_tbENKUlT_T0_E_clISt17integral_constantIbLb1EES11_EEDaSW_SX_EUlSW_E_NS1_11comp_targetILNS1_3genE10ELNS1_11target_archE1200ELNS1_3gpuE4ELNS1_3repE0EEENS1_30default_config_static_selectorELNS0_4arch9wavefront6targetE1EEEvT1_,comdat
.Lfunc_end561:
	.size	_ZN7rocprim17ROCPRIM_400000_NS6detail17trampoline_kernelINS0_14default_configENS1_29reduce_by_key_config_selectorIiiN6thrust23THRUST_200600_302600_NS4plusIiEEEEZZNS1_33reduce_by_key_impl_wrapped_configILNS1_25lookback_scan_determinismE0ES3_S9_NS6_6detail15normal_iteratorINS6_10device_ptrIiEEEESG_SG_SG_PmS8_NS6_8equal_toIiEEEE10hipError_tPvRmT2_T3_mT4_T5_T6_T7_T8_P12ihipStream_tbENKUlT_T0_E_clISt17integral_constantIbLb1EES11_EEDaSW_SX_EUlSW_E_NS1_11comp_targetILNS1_3genE10ELNS1_11target_archE1200ELNS1_3gpuE4ELNS1_3repE0EEENS1_30default_config_static_selectorELNS0_4arch9wavefront6targetE1EEEvT1_, .Lfunc_end561-_ZN7rocprim17ROCPRIM_400000_NS6detail17trampoline_kernelINS0_14default_configENS1_29reduce_by_key_config_selectorIiiN6thrust23THRUST_200600_302600_NS4plusIiEEEEZZNS1_33reduce_by_key_impl_wrapped_configILNS1_25lookback_scan_determinismE0ES3_S9_NS6_6detail15normal_iteratorINS6_10device_ptrIiEEEESG_SG_SG_PmS8_NS6_8equal_toIiEEEE10hipError_tPvRmT2_T3_mT4_T5_T6_T7_T8_P12ihipStream_tbENKUlT_T0_E_clISt17integral_constantIbLb1EES11_EEDaSW_SX_EUlSW_E_NS1_11comp_targetILNS1_3genE10ELNS1_11target_archE1200ELNS1_3gpuE4ELNS1_3repE0EEENS1_30default_config_static_selectorELNS0_4arch9wavefront6targetE1EEEvT1_
                                        ; -- End function
	.section	.AMDGPU.csdata,"",@progbits
; Kernel info:
; codeLenInByte = 0
; NumSgprs: 4
; NumVgprs: 0
; NumAgprs: 0
; TotalNumVgprs: 0
; ScratchSize: 0
; MemoryBound: 0
; FloatMode: 240
; IeeeMode: 1
; LDSByteSize: 0 bytes/workgroup (compile time only)
; SGPRBlocks: 0
; VGPRBlocks: 0
; NumSGPRsForWavesPerEU: 4
; NumVGPRsForWavesPerEU: 1
; AccumOffset: 4
; Occupancy: 8
; WaveLimiterHint : 0
; COMPUTE_PGM_RSRC2:SCRATCH_EN: 0
; COMPUTE_PGM_RSRC2:USER_SGPR: 6
; COMPUTE_PGM_RSRC2:TRAP_HANDLER: 0
; COMPUTE_PGM_RSRC2:TGID_X_EN: 1
; COMPUTE_PGM_RSRC2:TGID_Y_EN: 0
; COMPUTE_PGM_RSRC2:TGID_Z_EN: 0
; COMPUTE_PGM_RSRC2:TIDIG_COMP_CNT: 0
; COMPUTE_PGM_RSRC3_GFX90A:ACCUM_OFFSET: 0
; COMPUTE_PGM_RSRC3_GFX90A:TG_SPLIT: 0
	.section	.text._ZN7rocprim17ROCPRIM_400000_NS6detail17trampoline_kernelINS0_14default_configENS1_29reduce_by_key_config_selectorIiiN6thrust23THRUST_200600_302600_NS4plusIiEEEEZZNS1_33reduce_by_key_impl_wrapped_configILNS1_25lookback_scan_determinismE0ES3_S9_NS6_6detail15normal_iteratorINS6_10device_ptrIiEEEESG_SG_SG_PmS8_NS6_8equal_toIiEEEE10hipError_tPvRmT2_T3_mT4_T5_T6_T7_T8_P12ihipStream_tbENKUlT_T0_E_clISt17integral_constantIbLb1EES11_EEDaSW_SX_EUlSW_E_NS1_11comp_targetILNS1_3genE9ELNS1_11target_archE1100ELNS1_3gpuE3ELNS1_3repE0EEENS1_30default_config_static_selectorELNS0_4arch9wavefront6targetE1EEEvT1_,"axG",@progbits,_ZN7rocprim17ROCPRIM_400000_NS6detail17trampoline_kernelINS0_14default_configENS1_29reduce_by_key_config_selectorIiiN6thrust23THRUST_200600_302600_NS4plusIiEEEEZZNS1_33reduce_by_key_impl_wrapped_configILNS1_25lookback_scan_determinismE0ES3_S9_NS6_6detail15normal_iteratorINS6_10device_ptrIiEEEESG_SG_SG_PmS8_NS6_8equal_toIiEEEE10hipError_tPvRmT2_T3_mT4_T5_T6_T7_T8_P12ihipStream_tbENKUlT_T0_E_clISt17integral_constantIbLb1EES11_EEDaSW_SX_EUlSW_E_NS1_11comp_targetILNS1_3genE9ELNS1_11target_archE1100ELNS1_3gpuE3ELNS1_3repE0EEENS1_30default_config_static_selectorELNS0_4arch9wavefront6targetE1EEEvT1_,comdat
	.protected	_ZN7rocprim17ROCPRIM_400000_NS6detail17trampoline_kernelINS0_14default_configENS1_29reduce_by_key_config_selectorIiiN6thrust23THRUST_200600_302600_NS4plusIiEEEEZZNS1_33reduce_by_key_impl_wrapped_configILNS1_25lookback_scan_determinismE0ES3_S9_NS6_6detail15normal_iteratorINS6_10device_ptrIiEEEESG_SG_SG_PmS8_NS6_8equal_toIiEEEE10hipError_tPvRmT2_T3_mT4_T5_T6_T7_T8_P12ihipStream_tbENKUlT_T0_E_clISt17integral_constantIbLb1EES11_EEDaSW_SX_EUlSW_E_NS1_11comp_targetILNS1_3genE9ELNS1_11target_archE1100ELNS1_3gpuE3ELNS1_3repE0EEENS1_30default_config_static_selectorELNS0_4arch9wavefront6targetE1EEEvT1_ ; -- Begin function _ZN7rocprim17ROCPRIM_400000_NS6detail17trampoline_kernelINS0_14default_configENS1_29reduce_by_key_config_selectorIiiN6thrust23THRUST_200600_302600_NS4plusIiEEEEZZNS1_33reduce_by_key_impl_wrapped_configILNS1_25lookback_scan_determinismE0ES3_S9_NS6_6detail15normal_iteratorINS6_10device_ptrIiEEEESG_SG_SG_PmS8_NS6_8equal_toIiEEEE10hipError_tPvRmT2_T3_mT4_T5_T6_T7_T8_P12ihipStream_tbENKUlT_T0_E_clISt17integral_constantIbLb1EES11_EEDaSW_SX_EUlSW_E_NS1_11comp_targetILNS1_3genE9ELNS1_11target_archE1100ELNS1_3gpuE3ELNS1_3repE0EEENS1_30default_config_static_selectorELNS0_4arch9wavefront6targetE1EEEvT1_
	.globl	_ZN7rocprim17ROCPRIM_400000_NS6detail17trampoline_kernelINS0_14default_configENS1_29reduce_by_key_config_selectorIiiN6thrust23THRUST_200600_302600_NS4plusIiEEEEZZNS1_33reduce_by_key_impl_wrapped_configILNS1_25lookback_scan_determinismE0ES3_S9_NS6_6detail15normal_iteratorINS6_10device_ptrIiEEEESG_SG_SG_PmS8_NS6_8equal_toIiEEEE10hipError_tPvRmT2_T3_mT4_T5_T6_T7_T8_P12ihipStream_tbENKUlT_T0_E_clISt17integral_constantIbLb1EES11_EEDaSW_SX_EUlSW_E_NS1_11comp_targetILNS1_3genE9ELNS1_11target_archE1100ELNS1_3gpuE3ELNS1_3repE0EEENS1_30default_config_static_selectorELNS0_4arch9wavefront6targetE1EEEvT1_
	.p2align	8
	.type	_ZN7rocprim17ROCPRIM_400000_NS6detail17trampoline_kernelINS0_14default_configENS1_29reduce_by_key_config_selectorIiiN6thrust23THRUST_200600_302600_NS4plusIiEEEEZZNS1_33reduce_by_key_impl_wrapped_configILNS1_25lookback_scan_determinismE0ES3_S9_NS6_6detail15normal_iteratorINS6_10device_ptrIiEEEESG_SG_SG_PmS8_NS6_8equal_toIiEEEE10hipError_tPvRmT2_T3_mT4_T5_T6_T7_T8_P12ihipStream_tbENKUlT_T0_E_clISt17integral_constantIbLb1EES11_EEDaSW_SX_EUlSW_E_NS1_11comp_targetILNS1_3genE9ELNS1_11target_archE1100ELNS1_3gpuE3ELNS1_3repE0EEENS1_30default_config_static_selectorELNS0_4arch9wavefront6targetE1EEEvT1_,@function
_ZN7rocprim17ROCPRIM_400000_NS6detail17trampoline_kernelINS0_14default_configENS1_29reduce_by_key_config_selectorIiiN6thrust23THRUST_200600_302600_NS4plusIiEEEEZZNS1_33reduce_by_key_impl_wrapped_configILNS1_25lookback_scan_determinismE0ES3_S9_NS6_6detail15normal_iteratorINS6_10device_ptrIiEEEESG_SG_SG_PmS8_NS6_8equal_toIiEEEE10hipError_tPvRmT2_T3_mT4_T5_T6_T7_T8_P12ihipStream_tbENKUlT_T0_E_clISt17integral_constantIbLb1EES11_EEDaSW_SX_EUlSW_E_NS1_11comp_targetILNS1_3genE9ELNS1_11target_archE1100ELNS1_3gpuE3ELNS1_3repE0EEENS1_30default_config_static_selectorELNS0_4arch9wavefront6targetE1EEEvT1_: ; @_ZN7rocprim17ROCPRIM_400000_NS6detail17trampoline_kernelINS0_14default_configENS1_29reduce_by_key_config_selectorIiiN6thrust23THRUST_200600_302600_NS4plusIiEEEEZZNS1_33reduce_by_key_impl_wrapped_configILNS1_25lookback_scan_determinismE0ES3_S9_NS6_6detail15normal_iteratorINS6_10device_ptrIiEEEESG_SG_SG_PmS8_NS6_8equal_toIiEEEE10hipError_tPvRmT2_T3_mT4_T5_T6_T7_T8_P12ihipStream_tbENKUlT_T0_E_clISt17integral_constantIbLb1EES11_EEDaSW_SX_EUlSW_E_NS1_11comp_targetILNS1_3genE9ELNS1_11target_archE1100ELNS1_3gpuE3ELNS1_3repE0EEENS1_30default_config_static_selectorELNS0_4arch9wavefront6targetE1EEEvT1_
; %bb.0:
	.section	.rodata,"a",@progbits
	.p2align	6, 0x0
	.amdhsa_kernel _ZN7rocprim17ROCPRIM_400000_NS6detail17trampoline_kernelINS0_14default_configENS1_29reduce_by_key_config_selectorIiiN6thrust23THRUST_200600_302600_NS4plusIiEEEEZZNS1_33reduce_by_key_impl_wrapped_configILNS1_25lookback_scan_determinismE0ES3_S9_NS6_6detail15normal_iteratorINS6_10device_ptrIiEEEESG_SG_SG_PmS8_NS6_8equal_toIiEEEE10hipError_tPvRmT2_T3_mT4_T5_T6_T7_T8_P12ihipStream_tbENKUlT_T0_E_clISt17integral_constantIbLb1EES11_EEDaSW_SX_EUlSW_E_NS1_11comp_targetILNS1_3genE9ELNS1_11target_archE1100ELNS1_3gpuE3ELNS1_3repE0EEENS1_30default_config_static_selectorELNS0_4arch9wavefront6targetE1EEEvT1_
		.amdhsa_group_segment_fixed_size 0
		.amdhsa_private_segment_fixed_size 0
		.amdhsa_kernarg_size 120
		.amdhsa_user_sgpr_count 6
		.amdhsa_user_sgpr_private_segment_buffer 1
		.amdhsa_user_sgpr_dispatch_ptr 0
		.amdhsa_user_sgpr_queue_ptr 0
		.amdhsa_user_sgpr_kernarg_segment_ptr 1
		.amdhsa_user_sgpr_dispatch_id 0
		.amdhsa_user_sgpr_flat_scratch_init 0
		.amdhsa_user_sgpr_kernarg_preload_length 0
		.amdhsa_user_sgpr_kernarg_preload_offset 0
		.amdhsa_user_sgpr_private_segment_size 0
		.amdhsa_uses_dynamic_stack 0
		.amdhsa_system_sgpr_private_segment_wavefront_offset 0
		.amdhsa_system_sgpr_workgroup_id_x 1
		.amdhsa_system_sgpr_workgroup_id_y 0
		.amdhsa_system_sgpr_workgroup_id_z 0
		.amdhsa_system_sgpr_workgroup_info 0
		.amdhsa_system_vgpr_workitem_id 0
		.amdhsa_next_free_vgpr 1
		.amdhsa_next_free_sgpr 0
		.amdhsa_accum_offset 4
		.amdhsa_reserve_vcc 0
		.amdhsa_reserve_flat_scratch 0
		.amdhsa_float_round_mode_32 0
		.amdhsa_float_round_mode_16_64 0
		.amdhsa_float_denorm_mode_32 3
		.amdhsa_float_denorm_mode_16_64 3
		.amdhsa_dx10_clamp 1
		.amdhsa_ieee_mode 1
		.amdhsa_fp16_overflow 0
		.amdhsa_tg_split 0
		.amdhsa_exception_fp_ieee_invalid_op 0
		.amdhsa_exception_fp_denorm_src 0
		.amdhsa_exception_fp_ieee_div_zero 0
		.amdhsa_exception_fp_ieee_overflow 0
		.amdhsa_exception_fp_ieee_underflow 0
		.amdhsa_exception_fp_ieee_inexact 0
		.amdhsa_exception_int_div_zero 0
	.end_amdhsa_kernel
	.section	.text._ZN7rocprim17ROCPRIM_400000_NS6detail17trampoline_kernelINS0_14default_configENS1_29reduce_by_key_config_selectorIiiN6thrust23THRUST_200600_302600_NS4plusIiEEEEZZNS1_33reduce_by_key_impl_wrapped_configILNS1_25lookback_scan_determinismE0ES3_S9_NS6_6detail15normal_iteratorINS6_10device_ptrIiEEEESG_SG_SG_PmS8_NS6_8equal_toIiEEEE10hipError_tPvRmT2_T3_mT4_T5_T6_T7_T8_P12ihipStream_tbENKUlT_T0_E_clISt17integral_constantIbLb1EES11_EEDaSW_SX_EUlSW_E_NS1_11comp_targetILNS1_3genE9ELNS1_11target_archE1100ELNS1_3gpuE3ELNS1_3repE0EEENS1_30default_config_static_selectorELNS0_4arch9wavefront6targetE1EEEvT1_,"axG",@progbits,_ZN7rocprim17ROCPRIM_400000_NS6detail17trampoline_kernelINS0_14default_configENS1_29reduce_by_key_config_selectorIiiN6thrust23THRUST_200600_302600_NS4plusIiEEEEZZNS1_33reduce_by_key_impl_wrapped_configILNS1_25lookback_scan_determinismE0ES3_S9_NS6_6detail15normal_iteratorINS6_10device_ptrIiEEEESG_SG_SG_PmS8_NS6_8equal_toIiEEEE10hipError_tPvRmT2_T3_mT4_T5_T6_T7_T8_P12ihipStream_tbENKUlT_T0_E_clISt17integral_constantIbLb1EES11_EEDaSW_SX_EUlSW_E_NS1_11comp_targetILNS1_3genE9ELNS1_11target_archE1100ELNS1_3gpuE3ELNS1_3repE0EEENS1_30default_config_static_selectorELNS0_4arch9wavefront6targetE1EEEvT1_,comdat
.Lfunc_end562:
	.size	_ZN7rocprim17ROCPRIM_400000_NS6detail17trampoline_kernelINS0_14default_configENS1_29reduce_by_key_config_selectorIiiN6thrust23THRUST_200600_302600_NS4plusIiEEEEZZNS1_33reduce_by_key_impl_wrapped_configILNS1_25lookback_scan_determinismE0ES3_S9_NS6_6detail15normal_iteratorINS6_10device_ptrIiEEEESG_SG_SG_PmS8_NS6_8equal_toIiEEEE10hipError_tPvRmT2_T3_mT4_T5_T6_T7_T8_P12ihipStream_tbENKUlT_T0_E_clISt17integral_constantIbLb1EES11_EEDaSW_SX_EUlSW_E_NS1_11comp_targetILNS1_3genE9ELNS1_11target_archE1100ELNS1_3gpuE3ELNS1_3repE0EEENS1_30default_config_static_selectorELNS0_4arch9wavefront6targetE1EEEvT1_, .Lfunc_end562-_ZN7rocprim17ROCPRIM_400000_NS6detail17trampoline_kernelINS0_14default_configENS1_29reduce_by_key_config_selectorIiiN6thrust23THRUST_200600_302600_NS4plusIiEEEEZZNS1_33reduce_by_key_impl_wrapped_configILNS1_25lookback_scan_determinismE0ES3_S9_NS6_6detail15normal_iteratorINS6_10device_ptrIiEEEESG_SG_SG_PmS8_NS6_8equal_toIiEEEE10hipError_tPvRmT2_T3_mT4_T5_T6_T7_T8_P12ihipStream_tbENKUlT_T0_E_clISt17integral_constantIbLb1EES11_EEDaSW_SX_EUlSW_E_NS1_11comp_targetILNS1_3genE9ELNS1_11target_archE1100ELNS1_3gpuE3ELNS1_3repE0EEENS1_30default_config_static_selectorELNS0_4arch9wavefront6targetE1EEEvT1_
                                        ; -- End function
	.section	.AMDGPU.csdata,"",@progbits
; Kernel info:
; codeLenInByte = 0
; NumSgprs: 4
; NumVgprs: 0
; NumAgprs: 0
; TotalNumVgprs: 0
; ScratchSize: 0
; MemoryBound: 0
; FloatMode: 240
; IeeeMode: 1
; LDSByteSize: 0 bytes/workgroup (compile time only)
; SGPRBlocks: 0
; VGPRBlocks: 0
; NumSGPRsForWavesPerEU: 4
; NumVGPRsForWavesPerEU: 1
; AccumOffset: 4
; Occupancy: 8
; WaveLimiterHint : 0
; COMPUTE_PGM_RSRC2:SCRATCH_EN: 0
; COMPUTE_PGM_RSRC2:USER_SGPR: 6
; COMPUTE_PGM_RSRC2:TRAP_HANDLER: 0
; COMPUTE_PGM_RSRC2:TGID_X_EN: 1
; COMPUTE_PGM_RSRC2:TGID_Y_EN: 0
; COMPUTE_PGM_RSRC2:TGID_Z_EN: 0
; COMPUTE_PGM_RSRC2:TIDIG_COMP_CNT: 0
; COMPUTE_PGM_RSRC3_GFX90A:ACCUM_OFFSET: 0
; COMPUTE_PGM_RSRC3_GFX90A:TG_SPLIT: 0
	.section	.text._ZN7rocprim17ROCPRIM_400000_NS6detail17trampoline_kernelINS0_14default_configENS1_29reduce_by_key_config_selectorIiiN6thrust23THRUST_200600_302600_NS4plusIiEEEEZZNS1_33reduce_by_key_impl_wrapped_configILNS1_25lookback_scan_determinismE0ES3_S9_NS6_6detail15normal_iteratorINS6_10device_ptrIiEEEESG_SG_SG_PmS8_NS6_8equal_toIiEEEE10hipError_tPvRmT2_T3_mT4_T5_T6_T7_T8_P12ihipStream_tbENKUlT_T0_E_clISt17integral_constantIbLb1EES11_EEDaSW_SX_EUlSW_E_NS1_11comp_targetILNS1_3genE8ELNS1_11target_archE1030ELNS1_3gpuE2ELNS1_3repE0EEENS1_30default_config_static_selectorELNS0_4arch9wavefront6targetE1EEEvT1_,"axG",@progbits,_ZN7rocprim17ROCPRIM_400000_NS6detail17trampoline_kernelINS0_14default_configENS1_29reduce_by_key_config_selectorIiiN6thrust23THRUST_200600_302600_NS4plusIiEEEEZZNS1_33reduce_by_key_impl_wrapped_configILNS1_25lookback_scan_determinismE0ES3_S9_NS6_6detail15normal_iteratorINS6_10device_ptrIiEEEESG_SG_SG_PmS8_NS6_8equal_toIiEEEE10hipError_tPvRmT2_T3_mT4_T5_T6_T7_T8_P12ihipStream_tbENKUlT_T0_E_clISt17integral_constantIbLb1EES11_EEDaSW_SX_EUlSW_E_NS1_11comp_targetILNS1_3genE8ELNS1_11target_archE1030ELNS1_3gpuE2ELNS1_3repE0EEENS1_30default_config_static_selectorELNS0_4arch9wavefront6targetE1EEEvT1_,comdat
	.protected	_ZN7rocprim17ROCPRIM_400000_NS6detail17trampoline_kernelINS0_14default_configENS1_29reduce_by_key_config_selectorIiiN6thrust23THRUST_200600_302600_NS4plusIiEEEEZZNS1_33reduce_by_key_impl_wrapped_configILNS1_25lookback_scan_determinismE0ES3_S9_NS6_6detail15normal_iteratorINS6_10device_ptrIiEEEESG_SG_SG_PmS8_NS6_8equal_toIiEEEE10hipError_tPvRmT2_T3_mT4_T5_T6_T7_T8_P12ihipStream_tbENKUlT_T0_E_clISt17integral_constantIbLb1EES11_EEDaSW_SX_EUlSW_E_NS1_11comp_targetILNS1_3genE8ELNS1_11target_archE1030ELNS1_3gpuE2ELNS1_3repE0EEENS1_30default_config_static_selectorELNS0_4arch9wavefront6targetE1EEEvT1_ ; -- Begin function _ZN7rocprim17ROCPRIM_400000_NS6detail17trampoline_kernelINS0_14default_configENS1_29reduce_by_key_config_selectorIiiN6thrust23THRUST_200600_302600_NS4plusIiEEEEZZNS1_33reduce_by_key_impl_wrapped_configILNS1_25lookback_scan_determinismE0ES3_S9_NS6_6detail15normal_iteratorINS6_10device_ptrIiEEEESG_SG_SG_PmS8_NS6_8equal_toIiEEEE10hipError_tPvRmT2_T3_mT4_T5_T6_T7_T8_P12ihipStream_tbENKUlT_T0_E_clISt17integral_constantIbLb1EES11_EEDaSW_SX_EUlSW_E_NS1_11comp_targetILNS1_3genE8ELNS1_11target_archE1030ELNS1_3gpuE2ELNS1_3repE0EEENS1_30default_config_static_selectorELNS0_4arch9wavefront6targetE1EEEvT1_
	.globl	_ZN7rocprim17ROCPRIM_400000_NS6detail17trampoline_kernelINS0_14default_configENS1_29reduce_by_key_config_selectorIiiN6thrust23THRUST_200600_302600_NS4plusIiEEEEZZNS1_33reduce_by_key_impl_wrapped_configILNS1_25lookback_scan_determinismE0ES3_S9_NS6_6detail15normal_iteratorINS6_10device_ptrIiEEEESG_SG_SG_PmS8_NS6_8equal_toIiEEEE10hipError_tPvRmT2_T3_mT4_T5_T6_T7_T8_P12ihipStream_tbENKUlT_T0_E_clISt17integral_constantIbLb1EES11_EEDaSW_SX_EUlSW_E_NS1_11comp_targetILNS1_3genE8ELNS1_11target_archE1030ELNS1_3gpuE2ELNS1_3repE0EEENS1_30default_config_static_selectorELNS0_4arch9wavefront6targetE1EEEvT1_
	.p2align	8
	.type	_ZN7rocprim17ROCPRIM_400000_NS6detail17trampoline_kernelINS0_14default_configENS1_29reduce_by_key_config_selectorIiiN6thrust23THRUST_200600_302600_NS4plusIiEEEEZZNS1_33reduce_by_key_impl_wrapped_configILNS1_25lookback_scan_determinismE0ES3_S9_NS6_6detail15normal_iteratorINS6_10device_ptrIiEEEESG_SG_SG_PmS8_NS6_8equal_toIiEEEE10hipError_tPvRmT2_T3_mT4_T5_T6_T7_T8_P12ihipStream_tbENKUlT_T0_E_clISt17integral_constantIbLb1EES11_EEDaSW_SX_EUlSW_E_NS1_11comp_targetILNS1_3genE8ELNS1_11target_archE1030ELNS1_3gpuE2ELNS1_3repE0EEENS1_30default_config_static_selectorELNS0_4arch9wavefront6targetE1EEEvT1_,@function
_ZN7rocprim17ROCPRIM_400000_NS6detail17trampoline_kernelINS0_14default_configENS1_29reduce_by_key_config_selectorIiiN6thrust23THRUST_200600_302600_NS4plusIiEEEEZZNS1_33reduce_by_key_impl_wrapped_configILNS1_25lookback_scan_determinismE0ES3_S9_NS6_6detail15normal_iteratorINS6_10device_ptrIiEEEESG_SG_SG_PmS8_NS6_8equal_toIiEEEE10hipError_tPvRmT2_T3_mT4_T5_T6_T7_T8_P12ihipStream_tbENKUlT_T0_E_clISt17integral_constantIbLb1EES11_EEDaSW_SX_EUlSW_E_NS1_11comp_targetILNS1_3genE8ELNS1_11target_archE1030ELNS1_3gpuE2ELNS1_3repE0EEENS1_30default_config_static_selectorELNS0_4arch9wavefront6targetE1EEEvT1_: ; @_ZN7rocprim17ROCPRIM_400000_NS6detail17trampoline_kernelINS0_14default_configENS1_29reduce_by_key_config_selectorIiiN6thrust23THRUST_200600_302600_NS4plusIiEEEEZZNS1_33reduce_by_key_impl_wrapped_configILNS1_25lookback_scan_determinismE0ES3_S9_NS6_6detail15normal_iteratorINS6_10device_ptrIiEEEESG_SG_SG_PmS8_NS6_8equal_toIiEEEE10hipError_tPvRmT2_T3_mT4_T5_T6_T7_T8_P12ihipStream_tbENKUlT_T0_E_clISt17integral_constantIbLb1EES11_EEDaSW_SX_EUlSW_E_NS1_11comp_targetILNS1_3genE8ELNS1_11target_archE1030ELNS1_3gpuE2ELNS1_3repE0EEENS1_30default_config_static_selectorELNS0_4arch9wavefront6targetE1EEEvT1_
; %bb.0:
	.section	.rodata,"a",@progbits
	.p2align	6, 0x0
	.amdhsa_kernel _ZN7rocprim17ROCPRIM_400000_NS6detail17trampoline_kernelINS0_14default_configENS1_29reduce_by_key_config_selectorIiiN6thrust23THRUST_200600_302600_NS4plusIiEEEEZZNS1_33reduce_by_key_impl_wrapped_configILNS1_25lookback_scan_determinismE0ES3_S9_NS6_6detail15normal_iteratorINS6_10device_ptrIiEEEESG_SG_SG_PmS8_NS6_8equal_toIiEEEE10hipError_tPvRmT2_T3_mT4_T5_T6_T7_T8_P12ihipStream_tbENKUlT_T0_E_clISt17integral_constantIbLb1EES11_EEDaSW_SX_EUlSW_E_NS1_11comp_targetILNS1_3genE8ELNS1_11target_archE1030ELNS1_3gpuE2ELNS1_3repE0EEENS1_30default_config_static_selectorELNS0_4arch9wavefront6targetE1EEEvT1_
		.amdhsa_group_segment_fixed_size 0
		.amdhsa_private_segment_fixed_size 0
		.amdhsa_kernarg_size 120
		.amdhsa_user_sgpr_count 6
		.amdhsa_user_sgpr_private_segment_buffer 1
		.amdhsa_user_sgpr_dispatch_ptr 0
		.amdhsa_user_sgpr_queue_ptr 0
		.amdhsa_user_sgpr_kernarg_segment_ptr 1
		.amdhsa_user_sgpr_dispatch_id 0
		.amdhsa_user_sgpr_flat_scratch_init 0
		.amdhsa_user_sgpr_kernarg_preload_length 0
		.amdhsa_user_sgpr_kernarg_preload_offset 0
		.amdhsa_user_sgpr_private_segment_size 0
		.amdhsa_uses_dynamic_stack 0
		.amdhsa_system_sgpr_private_segment_wavefront_offset 0
		.amdhsa_system_sgpr_workgroup_id_x 1
		.amdhsa_system_sgpr_workgroup_id_y 0
		.amdhsa_system_sgpr_workgroup_id_z 0
		.amdhsa_system_sgpr_workgroup_info 0
		.amdhsa_system_vgpr_workitem_id 0
		.amdhsa_next_free_vgpr 1
		.amdhsa_next_free_sgpr 0
		.amdhsa_accum_offset 4
		.amdhsa_reserve_vcc 0
		.amdhsa_reserve_flat_scratch 0
		.amdhsa_float_round_mode_32 0
		.amdhsa_float_round_mode_16_64 0
		.amdhsa_float_denorm_mode_32 3
		.amdhsa_float_denorm_mode_16_64 3
		.amdhsa_dx10_clamp 1
		.amdhsa_ieee_mode 1
		.amdhsa_fp16_overflow 0
		.amdhsa_tg_split 0
		.amdhsa_exception_fp_ieee_invalid_op 0
		.amdhsa_exception_fp_denorm_src 0
		.amdhsa_exception_fp_ieee_div_zero 0
		.amdhsa_exception_fp_ieee_overflow 0
		.amdhsa_exception_fp_ieee_underflow 0
		.amdhsa_exception_fp_ieee_inexact 0
		.amdhsa_exception_int_div_zero 0
	.end_amdhsa_kernel
	.section	.text._ZN7rocprim17ROCPRIM_400000_NS6detail17trampoline_kernelINS0_14default_configENS1_29reduce_by_key_config_selectorIiiN6thrust23THRUST_200600_302600_NS4plusIiEEEEZZNS1_33reduce_by_key_impl_wrapped_configILNS1_25lookback_scan_determinismE0ES3_S9_NS6_6detail15normal_iteratorINS6_10device_ptrIiEEEESG_SG_SG_PmS8_NS6_8equal_toIiEEEE10hipError_tPvRmT2_T3_mT4_T5_T6_T7_T8_P12ihipStream_tbENKUlT_T0_E_clISt17integral_constantIbLb1EES11_EEDaSW_SX_EUlSW_E_NS1_11comp_targetILNS1_3genE8ELNS1_11target_archE1030ELNS1_3gpuE2ELNS1_3repE0EEENS1_30default_config_static_selectorELNS0_4arch9wavefront6targetE1EEEvT1_,"axG",@progbits,_ZN7rocprim17ROCPRIM_400000_NS6detail17trampoline_kernelINS0_14default_configENS1_29reduce_by_key_config_selectorIiiN6thrust23THRUST_200600_302600_NS4plusIiEEEEZZNS1_33reduce_by_key_impl_wrapped_configILNS1_25lookback_scan_determinismE0ES3_S9_NS6_6detail15normal_iteratorINS6_10device_ptrIiEEEESG_SG_SG_PmS8_NS6_8equal_toIiEEEE10hipError_tPvRmT2_T3_mT4_T5_T6_T7_T8_P12ihipStream_tbENKUlT_T0_E_clISt17integral_constantIbLb1EES11_EEDaSW_SX_EUlSW_E_NS1_11comp_targetILNS1_3genE8ELNS1_11target_archE1030ELNS1_3gpuE2ELNS1_3repE0EEENS1_30default_config_static_selectorELNS0_4arch9wavefront6targetE1EEEvT1_,comdat
.Lfunc_end563:
	.size	_ZN7rocprim17ROCPRIM_400000_NS6detail17trampoline_kernelINS0_14default_configENS1_29reduce_by_key_config_selectorIiiN6thrust23THRUST_200600_302600_NS4plusIiEEEEZZNS1_33reduce_by_key_impl_wrapped_configILNS1_25lookback_scan_determinismE0ES3_S9_NS6_6detail15normal_iteratorINS6_10device_ptrIiEEEESG_SG_SG_PmS8_NS6_8equal_toIiEEEE10hipError_tPvRmT2_T3_mT4_T5_T6_T7_T8_P12ihipStream_tbENKUlT_T0_E_clISt17integral_constantIbLb1EES11_EEDaSW_SX_EUlSW_E_NS1_11comp_targetILNS1_3genE8ELNS1_11target_archE1030ELNS1_3gpuE2ELNS1_3repE0EEENS1_30default_config_static_selectorELNS0_4arch9wavefront6targetE1EEEvT1_, .Lfunc_end563-_ZN7rocprim17ROCPRIM_400000_NS6detail17trampoline_kernelINS0_14default_configENS1_29reduce_by_key_config_selectorIiiN6thrust23THRUST_200600_302600_NS4plusIiEEEEZZNS1_33reduce_by_key_impl_wrapped_configILNS1_25lookback_scan_determinismE0ES3_S9_NS6_6detail15normal_iteratorINS6_10device_ptrIiEEEESG_SG_SG_PmS8_NS6_8equal_toIiEEEE10hipError_tPvRmT2_T3_mT4_T5_T6_T7_T8_P12ihipStream_tbENKUlT_T0_E_clISt17integral_constantIbLb1EES11_EEDaSW_SX_EUlSW_E_NS1_11comp_targetILNS1_3genE8ELNS1_11target_archE1030ELNS1_3gpuE2ELNS1_3repE0EEENS1_30default_config_static_selectorELNS0_4arch9wavefront6targetE1EEEvT1_
                                        ; -- End function
	.section	.AMDGPU.csdata,"",@progbits
; Kernel info:
; codeLenInByte = 0
; NumSgprs: 4
; NumVgprs: 0
; NumAgprs: 0
; TotalNumVgprs: 0
; ScratchSize: 0
; MemoryBound: 0
; FloatMode: 240
; IeeeMode: 1
; LDSByteSize: 0 bytes/workgroup (compile time only)
; SGPRBlocks: 0
; VGPRBlocks: 0
; NumSGPRsForWavesPerEU: 4
; NumVGPRsForWavesPerEU: 1
; AccumOffset: 4
; Occupancy: 8
; WaveLimiterHint : 0
; COMPUTE_PGM_RSRC2:SCRATCH_EN: 0
; COMPUTE_PGM_RSRC2:USER_SGPR: 6
; COMPUTE_PGM_RSRC2:TRAP_HANDLER: 0
; COMPUTE_PGM_RSRC2:TGID_X_EN: 1
; COMPUTE_PGM_RSRC2:TGID_Y_EN: 0
; COMPUTE_PGM_RSRC2:TGID_Z_EN: 0
; COMPUTE_PGM_RSRC2:TIDIG_COMP_CNT: 0
; COMPUTE_PGM_RSRC3_GFX90A:ACCUM_OFFSET: 0
; COMPUTE_PGM_RSRC3_GFX90A:TG_SPLIT: 0
	.section	.text._ZN7rocprim17ROCPRIM_400000_NS6detail25reduce_by_key_init_kernelINS1_19lookback_scan_stateINS0_5tupleIJjiEEELb1ELb1EEEiNS1_16block_id_wrapperIjLb0EEEEEvT_jbjPmPT0_T1_,"axG",@progbits,_ZN7rocprim17ROCPRIM_400000_NS6detail25reduce_by_key_init_kernelINS1_19lookback_scan_stateINS0_5tupleIJjiEEELb1ELb1EEEiNS1_16block_id_wrapperIjLb0EEEEEvT_jbjPmPT0_T1_,comdat
	.protected	_ZN7rocprim17ROCPRIM_400000_NS6detail25reduce_by_key_init_kernelINS1_19lookback_scan_stateINS0_5tupleIJjiEEELb1ELb1EEEiNS1_16block_id_wrapperIjLb0EEEEEvT_jbjPmPT0_T1_ ; -- Begin function _ZN7rocprim17ROCPRIM_400000_NS6detail25reduce_by_key_init_kernelINS1_19lookback_scan_stateINS0_5tupleIJjiEEELb1ELb1EEEiNS1_16block_id_wrapperIjLb0EEEEEvT_jbjPmPT0_T1_
	.globl	_ZN7rocprim17ROCPRIM_400000_NS6detail25reduce_by_key_init_kernelINS1_19lookback_scan_stateINS0_5tupleIJjiEEELb1ELb1EEEiNS1_16block_id_wrapperIjLb0EEEEEvT_jbjPmPT0_T1_
	.p2align	8
	.type	_ZN7rocprim17ROCPRIM_400000_NS6detail25reduce_by_key_init_kernelINS1_19lookback_scan_stateINS0_5tupleIJjiEEELb1ELb1EEEiNS1_16block_id_wrapperIjLb0EEEEEvT_jbjPmPT0_T1_,@function
_ZN7rocprim17ROCPRIM_400000_NS6detail25reduce_by_key_init_kernelINS1_19lookback_scan_stateINS0_5tupleIJjiEEELb1ELb1EEEiNS1_16block_id_wrapperIjLb0EEEEEvT_jbjPmPT0_T1_: ; @_ZN7rocprim17ROCPRIM_400000_NS6detail25reduce_by_key_init_kernelINS1_19lookback_scan_stateINS0_5tupleIJjiEEELb1ELb1EEEiNS1_16block_id_wrapperIjLb0EEEEEvT_jbjPmPT0_T1_
; %bb.0:
	s_load_dwordx8 s[8:15], s[4:5], 0x8
	s_load_dword s2, s[4:5], 0x3c
	s_load_dwordx2 s[0:1], s[4:5], 0x0
	s_waitcnt lgkmcnt(0)
	s_and_b32 s3, s9, 1
	s_and_b32 s2, s2, 0xffff
	s_mul_i32 s6, s6, s2
	s_cmp_eq_u32 s3, 0
	v_add_u32_e32 v0, s6, v0
	s_mov_b64 s[2:3], -1
	s_cbranch_scc1 .LBB564_5
; %bb.1:
	s_andn2_b64 vcc, exec, s[2:3]
	s_cbranch_vccz .LBB564_14
.LBB564_2:
	v_cmp_gt_u32_e32 vcc, s8, v0
	s_and_saveexec_b64 s[2:3], vcc
	s_cbranch_execnz .LBB564_17
.LBB564_3:
	s_or_b64 exec, exec, s[2:3]
	v_cmp_gt_u32_e32 vcc, 64, v0
	s_and_saveexec_b64 s[2:3], vcc
	s_cbranch_execnz .LBB564_18
.LBB564_4:
	s_endpgm
.LBB564_5:
	s_cmp_lt_u32 s10, s8
	s_cselect_b32 s2, s10, 0
	v_cmp_eq_u32_e32 vcc, s2, v0
	s_and_saveexec_b64 s[2:3], vcc
	s_cbranch_execz .LBB564_13
; %bb.6:
	s_add_i32 s4, s10, 64
	s_mov_b32 s5, 0
	s_lshl_b64 s[4:5], s[4:5], 4
	s_add_u32 s10, s0, s4
	s_addc_u32 s11, s1, s5
	v_pk_mov_b32 v[2:3], s[10:11], s[10:11] op_sel:[0,1]
	;;#ASMSTART
	global_load_dwordx4 v[2:5], v[2:3] off glc	
s_waitcnt vmcnt(0)
	;;#ASMEND
	v_mov_b32_e32 v7, 0
	v_and_b32_e32 v6, 0xff, v4
	s_mov_b64 s[6:7], 0
	v_cmp_eq_u64_e32 vcc, 0, v[6:7]
	s_and_saveexec_b64 s[4:5], vcc
	s_cbranch_execz .LBB564_12
; %bb.7:
	s_mov_b32 s9, 1
	v_pk_mov_b32 v[8:9], s[10:11], s[10:11] op_sel:[0,1]
.LBB564_8:                              ; =>This Loop Header: Depth=1
                                        ;     Child Loop BB564_9 Depth 2
	s_max_u32 s10, s9, 1
.LBB564_9:                              ;   Parent Loop BB564_8 Depth=1
                                        ; =>  This Inner Loop Header: Depth=2
	s_add_i32 s10, s10, -1
	s_cmp_eq_u32 s10, 0
	s_sleep 1
	s_cbranch_scc0 .LBB564_9
; %bb.10:                               ;   in Loop: Header=BB564_8 Depth=1
	s_cmp_lt_u32 s9, 32
	s_cselect_b64 s[10:11], -1, 0
	s_cmp_lg_u64 s[10:11], 0
	;;#ASMSTART
	global_load_dwordx4 v[2:5], v[8:9] off glc	
s_waitcnt vmcnt(0)
	;;#ASMEND
	v_and_b32_e32 v6, 0xff, v4
	s_addc_u32 s9, s9, 0
	v_cmp_ne_u64_e32 vcc, 0, v[6:7]
	s_or_b64 s[6:7], vcc, s[6:7]
	s_andn2_b64 exec, exec, s[6:7]
	s_cbranch_execnz .LBB564_8
; %bb.11:
	s_or_b64 exec, exec, s[6:7]
.LBB564_12:
	s_or_b64 exec, exec, s[4:5]
	v_mov_b32_e32 v1, 0
	global_load_dwordx2 v[4:5], v1, s[12:13]
	s_waitcnt vmcnt(0)
	v_add_co_u32_e32 v4, vcc, v4, v2
	v_addc_co_u32_e32 v5, vcc, 0, v5, vcc
	global_store_dwordx2 v1, v[4:5], s[12:13]
	global_store_dword v1, v3, s[14:15]
.LBB564_13:
	s_or_b64 exec, exec, s[2:3]
	s_cbranch_execnz .LBB564_2
.LBB564_14:
	s_cmp_lg_u64 s[12:13], 0
	s_cselect_b64 s[2:3], -1, 0
	v_cmp_eq_u32_e32 vcc, 0, v0
	s_and_b64 s[4:5], s[2:3], vcc
	s_and_saveexec_b64 s[2:3], s[4:5]
	s_cbranch_execz .LBB564_16
; %bb.15:
	v_mov_b32_e32 v2, 0
	v_mov_b32_e32 v3, v2
	global_store_dwordx2 v2, v[2:3], s[12:13]
.LBB564_16:
	s_or_b64 exec, exec, s[2:3]
	v_cmp_gt_u32_e32 vcc, s8, v0
	s_and_saveexec_b64 s[2:3], vcc
	s_cbranch_execz .LBB564_3
.LBB564_17:
	v_add_u32_e32 v2, 64, v0
	v_mov_b32_e32 v3, 0
	v_lshlrev_b64 v[4:5], 4, v[2:3]
	v_mov_b32_e32 v1, s1
	v_add_co_u32_e32 v6, vcc, s0, v4
	v_addc_co_u32_e32 v7, vcc, v1, v5, vcc
	v_mov_b32_e32 v2, v3
	v_mov_b32_e32 v4, v3
	;; [unrolled: 1-line block ×3, first 2 shown]
	global_store_dwordx4 v[6:7], v[2:5], off
	s_or_b64 exec, exec, s[2:3]
	v_cmp_gt_u32_e32 vcc, 64, v0
	s_and_saveexec_b64 s[2:3], vcc
	s_cbranch_execz .LBB564_4
.LBB564_18:
	v_mov_b32_e32 v1, 0
	v_lshlrev_b64 v[2:3], 4, v[0:1]
	v_mov_b32_e32 v0, s1
	v_add_co_u32_e32 v4, vcc, s0, v2
	v_addc_co_u32_e32 v5, vcc, v0, v3, vcc
	v_mov_b32_e32 v2, 0xff
	v_mov_b32_e32 v0, v1
	;; [unrolled: 1-line block ×3, first 2 shown]
	global_store_dwordx4 v[4:5], v[0:3], off
	s_endpgm
	.section	.rodata,"a",@progbits
	.p2align	6, 0x0
	.amdhsa_kernel _ZN7rocprim17ROCPRIM_400000_NS6detail25reduce_by_key_init_kernelINS1_19lookback_scan_stateINS0_5tupleIJjiEEELb1ELb1EEEiNS1_16block_id_wrapperIjLb0EEEEEvT_jbjPmPT0_T1_
		.amdhsa_group_segment_fixed_size 0
		.amdhsa_private_segment_fixed_size 0
		.amdhsa_kernarg_size 304
		.amdhsa_user_sgpr_count 6
		.amdhsa_user_sgpr_private_segment_buffer 1
		.amdhsa_user_sgpr_dispatch_ptr 0
		.amdhsa_user_sgpr_queue_ptr 0
		.amdhsa_user_sgpr_kernarg_segment_ptr 1
		.amdhsa_user_sgpr_dispatch_id 0
		.amdhsa_user_sgpr_flat_scratch_init 0
		.amdhsa_user_sgpr_kernarg_preload_length 0
		.amdhsa_user_sgpr_kernarg_preload_offset 0
		.amdhsa_user_sgpr_private_segment_size 0
		.amdhsa_uses_dynamic_stack 0
		.amdhsa_system_sgpr_private_segment_wavefront_offset 0
		.amdhsa_system_sgpr_workgroup_id_x 1
		.amdhsa_system_sgpr_workgroup_id_y 0
		.amdhsa_system_sgpr_workgroup_id_z 0
		.amdhsa_system_sgpr_workgroup_info 0
		.amdhsa_system_vgpr_workitem_id 0
		.amdhsa_next_free_vgpr 10
		.amdhsa_next_free_sgpr 16
		.amdhsa_accum_offset 12
		.amdhsa_reserve_vcc 1
		.amdhsa_reserve_flat_scratch 0
		.amdhsa_float_round_mode_32 0
		.amdhsa_float_round_mode_16_64 0
		.amdhsa_float_denorm_mode_32 3
		.amdhsa_float_denorm_mode_16_64 3
		.amdhsa_dx10_clamp 1
		.amdhsa_ieee_mode 1
		.amdhsa_fp16_overflow 0
		.amdhsa_tg_split 0
		.amdhsa_exception_fp_ieee_invalid_op 0
		.amdhsa_exception_fp_denorm_src 0
		.amdhsa_exception_fp_ieee_div_zero 0
		.amdhsa_exception_fp_ieee_overflow 0
		.amdhsa_exception_fp_ieee_underflow 0
		.amdhsa_exception_fp_ieee_inexact 0
		.amdhsa_exception_int_div_zero 0
	.end_amdhsa_kernel
	.section	.text._ZN7rocprim17ROCPRIM_400000_NS6detail25reduce_by_key_init_kernelINS1_19lookback_scan_stateINS0_5tupleIJjiEEELb1ELb1EEEiNS1_16block_id_wrapperIjLb0EEEEEvT_jbjPmPT0_T1_,"axG",@progbits,_ZN7rocprim17ROCPRIM_400000_NS6detail25reduce_by_key_init_kernelINS1_19lookback_scan_stateINS0_5tupleIJjiEEELb1ELb1EEEiNS1_16block_id_wrapperIjLb0EEEEEvT_jbjPmPT0_T1_,comdat
.Lfunc_end564:
	.size	_ZN7rocprim17ROCPRIM_400000_NS6detail25reduce_by_key_init_kernelINS1_19lookback_scan_stateINS0_5tupleIJjiEEELb1ELb1EEEiNS1_16block_id_wrapperIjLb0EEEEEvT_jbjPmPT0_T1_, .Lfunc_end564-_ZN7rocprim17ROCPRIM_400000_NS6detail25reduce_by_key_init_kernelINS1_19lookback_scan_stateINS0_5tupleIJjiEEELb1ELb1EEEiNS1_16block_id_wrapperIjLb0EEEEEvT_jbjPmPT0_T1_
                                        ; -- End function
	.section	.AMDGPU.csdata,"",@progbits
; Kernel info:
; codeLenInByte = 508
; NumSgprs: 20
; NumVgprs: 10
; NumAgprs: 0
; TotalNumVgprs: 10
; ScratchSize: 0
; MemoryBound: 0
; FloatMode: 240
; IeeeMode: 1
; LDSByteSize: 0 bytes/workgroup (compile time only)
; SGPRBlocks: 2
; VGPRBlocks: 1
; NumSGPRsForWavesPerEU: 20
; NumVGPRsForWavesPerEU: 10
; AccumOffset: 12
; Occupancy: 8
; WaveLimiterHint : 0
; COMPUTE_PGM_RSRC2:SCRATCH_EN: 0
; COMPUTE_PGM_RSRC2:USER_SGPR: 6
; COMPUTE_PGM_RSRC2:TRAP_HANDLER: 0
; COMPUTE_PGM_RSRC2:TGID_X_EN: 1
; COMPUTE_PGM_RSRC2:TGID_Y_EN: 0
; COMPUTE_PGM_RSRC2:TGID_Z_EN: 0
; COMPUTE_PGM_RSRC2:TIDIG_COMP_CNT: 0
; COMPUTE_PGM_RSRC3_GFX90A:ACCUM_OFFSET: 2
; COMPUTE_PGM_RSRC3_GFX90A:TG_SPLIT: 0
	.section	.text._ZN7rocprim17ROCPRIM_400000_NS6detail17trampoline_kernelINS0_14default_configENS1_29reduce_by_key_config_selectorIiiN6thrust23THRUST_200600_302600_NS4plusIiEEEEZZNS1_33reduce_by_key_impl_wrapped_configILNS1_25lookback_scan_determinismE0ES3_S9_NS6_6detail15normal_iteratorINS6_10device_ptrIiEEEESG_SG_SG_PmS8_NS6_8equal_toIiEEEE10hipError_tPvRmT2_T3_mT4_T5_T6_T7_T8_P12ihipStream_tbENKUlT_T0_E_clISt17integral_constantIbLb1EES10_IbLb0EEEEDaSW_SX_EUlSW_E_NS1_11comp_targetILNS1_3genE0ELNS1_11target_archE4294967295ELNS1_3gpuE0ELNS1_3repE0EEENS1_30default_config_static_selectorELNS0_4arch9wavefront6targetE1EEEvT1_,"axG",@progbits,_ZN7rocprim17ROCPRIM_400000_NS6detail17trampoline_kernelINS0_14default_configENS1_29reduce_by_key_config_selectorIiiN6thrust23THRUST_200600_302600_NS4plusIiEEEEZZNS1_33reduce_by_key_impl_wrapped_configILNS1_25lookback_scan_determinismE0ES3_S9_NS6_6detail15normal_iteratorINS6_10device_ptrIiEEEESG_SG_SG_PmS8_NS6_8equal_toIiEEEE10hipError_tPvRmT2_T3_mT4_T5_T6_T7_T8_P12ihipStream_tbENKUlT_T0_E_clISt17integral_constantIbLb1EES10_IbLb0EEEEDaSW_SX_EUlSW_E_NS1_11comp_targetILNS1_3genE0ELNS1_11target_archE4294967295ELNS1_3gpuE0ELNS1_3repE0EEENS1_30default_config_static_selectorELNS0_4arch9wavefront6targetE1EEEvT1_,comdat
	.protected	_ZN7rocprim17ROCPRIM_400000_NS6detail17trampoline_kernelINS0_14default_configENS1_29reduce_by_key_config_selectorIiiN6thrust23THRUST_200600_302600_NS4plusIiEEEEZZNS1_33reduce_by_key_impl_wrapped_configILNS1_25lookback_scan_determinismE0ES3_S9_NS6_6detail15normal_iteratorINS6_10device_ptrIiEEEESG_SG_SG_PmS8_NS6_8equal_toIiEEEE10hipError_tPvRmT2_T3_mT4_T5_T6_T7_T8_P12ihipStream_tbENKUlT_T0_E_clISt17integral_constantIbLb1EES10_IbLb0EEEEDaSW_SX_EUlSW_E_NS1_11comp_targetILNS1_3genE0ELNS1_11target_archE4294967295ELNS1_3gpuE0ELNS1_3repE0EEENS1_30default_config_static_selectorELNS0_4arch9wavefront6targetE1EEEvT1_ ; -- Begin function _ZN7rocprim17ROCPRIM_400000_NS6detail17trampoline_kernelINS0_14default_configENS1_29reduce_by_key_config_selectorIiiN6thrust23THRUST_200600_302600_NS4plusIiEEEEZZNS1_33reduce_by_key_impl_wrapped_configILNS1_25lookback_scan_determinismE0ES3_S9_NS6_6detail15normal_iteratorINS6_10device_ptrIiEEEESG_SG_SG_PmS8_NS6_8equal_toIiEEEE10hipError_tPvRmT2_T3_mT4_T5_T6_T7_T8_P12ihipStream_tbENKUlT_T0_E_clISt17integral_constantIbLb1EES10_IbLb0EEEEDaSW_SX_EUlSW_E_NS1_11comp_targetILNS1_3genE0ELNS1_11target_archE4294967295ELNS1_3gpuE0ELNS1_3repE0EEENS1_30default_config_static_selectorELNS0_4arch9wavefront6targetE1EEEvT1_
	.globl	_ZN7rocprim17ROCPRIM_400000_NS6detail17trampoline_kernelINS0_14default_configENS1_29reduce_by_key_config_selectorIiiN6thrust23THRUST_200600_302600_NS4plusIiEEEEZZNS1_33reduce_by_key_impl_wrapped_configILNS1_25lookback_scan_determinismE0ES3_S9_NS6_6detail15normal_iteratorINS6_10device_ptrIiEEEESG_SG_SG_PmS8_NS6_8equal_toIiEEEE10hipError_tPvRmT2_T3_mT4_T5_T6_T7_T8_P12ihipStream_tbENKUlT_T0_E_clISt17integral_constantIbLb1EES10_IbLb0EEEEDaSW_SX_EUlSW_E_NS1_11comp_targetILNS1_3genE0ELNS1_11target_archE4294967295ELNS1_3gpuE0ELNS1_3repE0EEENS1_30default_config_static_selectorELNS0_4arch9wavefront6targetE1EEEvT1_
	.p2align	8
	.type	_ZN7rocprim17ROCPRIM_400000_NS6detail17trampoline_kernelINS0_14default_configENS1_29reduce_by_key_config_selectorIiiN6thrust23THRUST_200600_302600_NS4plusIiEEEEZZNS1_33reduce_by_key_impl_wrapped_configILNS1_25lookback_scan_determinismE0ES3_S9_NS6_6detail15normal_iteratorINS6_10device_ptrIiEEEESG_SG_SG_PmS8_NS6_8equal_toIiEEEE10hipError_tPvRmT2_T3_mT4_T5_T6_T7_T8_P12ihipStream_tbENKUlT_T0_E_clISt17integral_constantIbLb1EES10_IbLb0EEEEDaSW_SX_EUlSW_E_NS1_11comp_targetILNS1_3genE0ELNS1_11target_archE4294967295ELNS1_3gpuE0ELNS1_3repE0EEENS1_30default_config_static_selectorELNS0_4arch9wavefront6targetE1EEEvT1_,@function
_ZN7rocprim17ROCPRIM_400000_NS6detail17trampoline_kernelINS0_14default_configENS1_29reduce_by_key_config_selectorIiiN6thrust23THRUST_200600_302600_NS4plusIiEEEEZZNS1_33reduce_by_key_impl_wrapped_configILNS1_25lookback_scan_determinismE0ES3_S9_NS6_6detail15normal_iteratorINS6_10device_ptrIiEEEESG_SG_SG_PmS8_NS6_8equal_toIiEEEE10hipError_tPvRmT2_T3_mT4_T5_T6_T7_T8_P12ihipStream_tbENKUlT_T0_E_clISt17integral_constantIbLb1EES10_IbLb0EEEEDaSW_SX_EUlSW_E_NS1_11comp_targetILNS1_3genE0ELNS1_11target_archE4294967295ELNS1_3gpuE0ELNS1_3repE0EEENS1_30default_config_static_selectorELNS0_4arch9wavefront6targetE1EEEvT1_: ; @_ZN7rocprim17ROCPRIM_400000_NS6detail17trampoline_kernelINS0_14default_configENS1_29reduce_by_key_config_selectorIiiN6thrust23THRUST_200600_302600_NS4plusIiEEEEZZNS1_33reduce_by_key_impl_wrapped_configILNS1_25lookback_scan_determinismE0ES3_S9_NS6_6detail15normal_iteratorINS6_10device_ptrIiEEEESG_SG_SG_PmS8_NS6_8equal_toIiEEEE10hipError_tPvRmT2_T3_mT4_T5_T6_T7_T8_P12ihipStream_tbENKUlT_T0_E_clISt17integral_constantIbLb1EES10_IbLb0EEEEDaSW_SX_EUlSW_E_NS1_11comp_targetILNS1_3genE0ELNS1_11target_archE4294967295ELNS1_3gpuE0ELNS1_3repE0EEENS1_30default_config_static_selectorELNS0_4arch9wavefront6targetE1EEEvT1_
; %bb.0:
	.section	.rodata,"a",@progbits
	.p2align	6, 0x0
	.amdhsa_kernel _ZN7rocprim17ROCPRIM_400000_NS6detail17trampoline_kernelINS0_14default_configENS1_29reduce_by_key_config_selectorIiiN6thrust23THRUST_200600_302600_NS4plusIiEEEEZZNS1_33reduce_by_key_impl_wrapped_configILNS1_25lookback_scan_determinismE0ES3_S9_NS6_6detail15normal_iteratorINS6_10device_ptrIiEEEESG_SG_SG_PmS8_NS6_8equal_toIiEEEE10hipError_tPvRmT2_T3_mT4_T5_T6_T7_T8_P12ihipStream_tbENKUlT_T0_E_clISt17integral_constantIbLb1EES10_IbLb0EEEEDaSW_SX_EUlSW_E_NS1_11comp_targetILNS1_3genE0ELNS1_11target_archE4294967295ELNS1_3gpuE0ELNS1_3repE0EEENS1_30default_config_static_selectorELNS0_4arch9wavefront6targetE1EEEvT1_
		.amdhsa_group_segment_fixed_size 0
		.amdhsa_private_segment_fixed_size 0
		.amdhsa_kernarg_size 120
		.amdhsa_user_sgpr_count 6
		.amdhsa_user_sgpr_private_segment_buffer 1
		.amdhsa_user_sgpr_dispatch_ptr 0
		.amdhsa_user_sgpr_queue_ptr 0
		.amdhsa_user_sgpr_kernarg_segment_ptr 1
		.amdhsa_user_sgpr_dispatch_id 0
		.amdhsa_user_sgpr_flat_scratch_init 0
		.amdhsa_user_sgpr_kernarg_preload_length 0
		.amdhsa_user_sgpr_kernarg_preload_offset 0
		.amdhsa_user_sgpr_private_segment_size 0
		.amdhsa_uses_dynamic_stack 0
		.amdhsa_system_sgpr_private_segment_wavefront_offset 0
		.amdhsa_system_sgpr_workgroup_id_x 1
		.amdhsa_system_sgpr_workgroup_id_y 0
		.amdhsa_system_sgpr_workgroup_id_z 0
		.amdhsa_system_sgpr_workgroup_info 0
		.amdhsa_system_vgpr_workitem_id 0
		.amdhsa_next_free_vgpr 1
		.amdhsa_next_free_sgpr 0
		.amdhsa_accum_offset 4
		.amdhsa_reserve_vcc 0
		.amdhsa_reserve_flat_scratch 0
		.amdhsa_float_round_mode_32 0
		.amdhsa_float_round_mode_16_64 0
		.amdhsa_float_denorm_mode_32 3
		.amdhsa_float_denorm_mode_16_64 3
		.amdhsa_dx10_clamp 1
		.amdhsa_ieee_mode 1
		.amdhsa_fp16_overflow 0
		.amdhsa_tg_split 0
		.amdhsa_exception_fp_ieee_invalid_op 0
		.amdhsa_exception_fp_denorm_src 0
		.amdhsa_exception_fp_ieee_div_zero 0
		.amdhsa_exception_fp_ieee_overflow 0
		.amdhsa_exception_fp_ieee_underflow 0
		.amdhsa_exception_fp_ieee_inexact 0
		.amdhsa_exception_int_div_zero 0
	.end_amdhsa_kernel
	.section	.text._ZN7rocprim17ROCPRIM_400000_NS6detail17trampoline_kernelINS0_14default_configENS1_29reduce_by_key_config_selectorIiiN6thrust23THRUST_200600_302600_NS4plusIiEEEEZZNS1_33reduce_by_key_impl_wrapped_configILNS1_25lookback_scan_determinismE0ES3_S9_NS6_6detail15normal_iteratorINS6_10device_ptrIiEEEESG_SG_SG_PmS8_NS6_8equal_toIiEEEE10hipError_tPvRmT2_T3_mT4_T5_T6_T7_T8_P12ihipStream_tbENKUlT_T0_E_clISt17integral_constantIbLb1EES10_IbLb0EEEEDaSW_SX_EUlSW_E_NS1_11comp_targetILNS1_3genE0ELNS1_11target_archE4294967295ELNS1_3gpuE0ELNS1_3repE0EEENS1_30default_config_static_selectorELNS0_4arch9wavefront6targetE1EEEvT1_,"axG",@progbits,_ZN7rocprim17ROCPRIM_400000_NS6detail17trampoline_kernelINS0_14default_configENS1_29reduce_by_key_config_selectorIiiN6thrust23THRUST_200600_302600_NS4plusIiEEEEZZNS1_33reduce_by_key_impl_wrapped_configILNS1_25lookback_scan_determinismE0ES3_S9_NS6_6detail15normal_iteratorINS6_10device_ptrIiEEEESG_SG_SG_PmS8_NS6_8equal_toIiEEEE10hipError_tPvRmT2_T3_mT4_T5_T6_T7_T8_P12ihipStream_tbENKUlT_T0_E_clISt17integral_constantIbLb1EES10_IbLb0EEEEDaSW_SX_EUlSW_E_NS1_11comp_targetILNS1_3genE0ELNS1_11target_archE4294967295ELNS1_3gpuE0ELNS1_3repE0EEENS1_30default_config_static_selectorELNS0_4arch9wavefront6targetE1EEEvT1_,comdat
.Lfunc_end565:
	.size	_ZN7rocprim17ROCPRIM_400000_NS6detail17trampoline_kernelINS0_14default_configENS1_29reduce_by_key_config_selectorIiiN6thrust23THRUST_200600_302600_NS4plusIiEEEEZZNS1_33reduce_by_key_impl_wrapped_configILNS1_25lookback_scan_determinismE0ES3_S9_NS6_6detail15normal_iteratorINS6_10device_ptrIiEEEESG_SG_SG_PmS8_NS6_8equal_toIiEEEE10hipError_tPvRmT2_T3_mT4_T5_T6_T7_T8_P12ihipStream_tbENKUlT_T0_E_clISt17integral_constantIbLb1EES10_IbLb0EEEEDaSW_SX_EUlSW_E_NS1_11comp_targetILNS1_3genE0ELNS1_11target_archE4294967295ELNS1_3gpuE0ELNS1_3repE0EEENS1_30default_config_static_selectorELNS0_4arch9wavefront6targetE1EEEvT1_, .Lfunc_end565-_ZN7rocprim17ROCPRIM_400000_NS6detail17trampoline_kernelINS0_14default_configENS1_29reduce_by_key_config_selectorIiiN6thrust23THRUST_200600_302600_NS4plusIiEEEEZZNS1_33reduce_by_key_impl_wrapped_configILNS1_25lookback_scan_determinismE0ES3_S9_NS6_6detail15normal_iteratorINS6_10device_ptrIiEEEESG_SG_SG_PmS8_NS6_8equal_toIiEEEE10hipError_tPvRmT2_T3_mT4_T5_T6_T7_T8_P12ihipStream_tbENKUlT_T0_E_clISt17integral_constantIbLb1EES10_IbLb0EEEEDaSW_SX_EUlSW_E_NS1_11comp_targetILNS1_3genE0ELNS1_11target_archE4294967295ELNS1_3gpuE0ELNS1_3repE0EEENS1_30default_config_static_selectorELNS0_4arch9wavefront6targetE1EEEvT1_
                                        ; -- End function
	.section	.AMDGPU.csdata,"",@progbits
; Kernel info:
; codeLenInByte = 0
; NumSgprs: 4
; NumVgprs: 0
; NumAgprs: 0
; TotalNumVgprs: 0
; ScratchSize: 0
; MemoryBound: 0
; FloatMode: 240
; IeeeMode: 1
; LDSByteSize: 0 bytes/workgroup (compile time only)
; SGPRBlocks: 0
; VGPRBlocks: 0
; NumSGPRsForWavesPerEU: 4
; NumVGPRsForWavesPerEU: 1
; AccumOffset: 4
; Occupancy: 8
; WaveLimiterHint : 0
; COMPUTE_PGM_RSRC2:SCRATCH_EN: 0
; COMPUTE_PGM_RSRC2:USER_SGPR: 6
; COMPUTE_PGM_RSRC2:TRAP_HANDLER: 0
; COMPUTE_PGM_RSRC2:TGID_X_EN: 1
; COMPUTE_PGM_RSRC2:TGID_Y_EN: 0
; COMPUTE_PGM_RSRC2:TGID_Z_EN: 0
; COMPUTE_PGM_RSRC2:TIDIG_COMP_CNT: 0
; COMPUTE_PGM_RSRC3_GFX90A:ACCUM_OFFSET: 0
; COMPUTE_PGM_RSRC3_GFX90A:TG_SPLIT: 0
	.section	.text._ZN7rocprim17ROCPRIM_400000_NS6detail17trampoline_kernelINS0_14default_configENS1_29reduce_by_key_config_selectorIiiN6thrust23THRUST_200600_302600_NS4plusIiEEEEZZNS1_33reduce_by_key_impl_wrapped_configILNS1_25lookback_scan_determinismE0ES3_S9_NS6_6detail15normal_iteratorINS6_10device_ptrIiEEEESG_SG_SG_PmS8_NS6_8equal_toIiEEEE10hipError_tPvRmT2_T3_mT4_T5_T6_T7_T8_P12ihipStream_tbENKUlT_T0_E_clISt17integral_constantIbLb1EES10_IbLb0EEEEDaSW_SX_EUlSW_E_NS1_11comp_targetILNS1_3genE5ELNS1_11target_archE942ELNS1_3gpuE9ELNS1_3repE0EEENS1_30default_config_static_selectorELNS0_4arch9wavefront6targetE1EEEvT1_,"axG",@progbits,_ZN7rocprim17ROCPRIM_400000_NS6detail17trampoline_kernelINS0_14default_configENS1_29reduce_by_key_config_selectorIiiN6thrust23THRUST_200600_302600_NS4plusIiEEEEZZNS1_33reduce_by_key_impl_wrapped_configILNS1_25lookback_scan_determinismE0ES3_S9_NS6_6detail15normal_iteratorINS6_10device_ptrIiEEEESG_SG_SG_PmS8_NS6_8equal_toIiEEEE10hipError_tPvRmT2_T3_mT4_T5_T6_T7_T8_P12ihipStream_tbENKUlT_T0_E_clISt17integral_constantIbLb1EES10_IbLb0EEEEDaSW_SX_EUlSW_E_NS1_11comp_targetILNS1_3genE5ELNS1_11target_archE942ELNS1_3gpuE9ELNS1_3repE0EEENS1_30default_config_static_selectorELNS0_4arch9wavefront6targetE1EEEvT1_,comdat
	.protected	_ZN7rocprim17ROCPRIM_400000_NS6detail17trampoline_kernelINS0_14default_configENS1_29reduce_by_key_config_selectorIiiN6thrust23THRUST_200600_302600_NS4plusIiEEEEZZNS1_33reduce_by_key_impl_wrapped_configILNS1_25lookback_scan_determinismE0ES3_S9_NS6_6detail15normal_iteratorINS6_10device_ptrIiEEEESG_SG_SG_PmS8_NS6_8equal_toIiEEEE10hipError_tPvRmT2_T3_mT4_T5_T6_T7_T8_P12ihipStream_tbENKUlT_T0_E_clISt17integral_constantIbLb1EES10_IbLb0EEEEDaSW_SX_EUlSW_E_NS1_11comp_targetILNS1_3genE5ELNS1_11target_archE942ELNS1_3gpuE9ELNS1_3repE0EEENS1_30default_config_static_selectorELNS0_4arch9wavefront6targetE1EEEvT1_ ; -- Begin function _ZN7rocprim17ROCPRIM_400000_NS6detail17trampoline_kernelINS0_14default_configENS1_29reduce_by_key_config_selectorIiiN6thrust23THRUST_200600_302600_NS4plusIiEEEEZZNS1_33reduce_by_key_impl_wrapped_configILNS1_25lookback_scan_determinismE0ES3_S9_NS6_6detail15normal_iteratorINS6_10device_ptrIiEEEESG_SG_SG_PmS8_NS6_8equal_toIiEEEE10hipError_tPvRmT2_T3_mT4_T5_T6_T7_T8_P12ihipStream_tbENKUlT_T0_E_clISt17integral_constantIbLb1EES10_IbLb0EEEEDaSW_SX_EUlSW_E_NS1_11comp_targetILNS1_3genE5ELNS1_11target_archE942ELNS1_3gpuE9ELNS1_3repE0EEENS1_30default_config_static_selectorELNS0_4arch9wavefront6targetE1EEEvT1_
	.globl	_ZN7rocprim17ROCPRIM_400000_NS6detail17trampoline_kernelINS0_14default_configENS1_29reduce_by_key_config_selectorIiiN6thrust23THRUST_200600_302600_NS4plusIiEEEEZZNS1_33reduce_by_key_impl_wrapped_configILNS1_25lookback_scan_determinismE0ES3_S9_NS6_6detail15normal_iteratorINS6_10device_ptrIiEEEESG_SG_SG_PmS8_NS6_8equal_toIiEEEE10hipError_tPvRmT2_T3_mT4_T5_T6_T7_T8_P12ihipStream_tbENKUlT_T0_E_clISt17integral_constantIbLb1EES10_IbLb0EEEEDaSW_SX_EUlSW_E_NS1_11comp_targetILNS1_3genE5ELNS1_11target_archE942ELNS1_3gpuE9ELNS1_3repE0EEENS1_30default_config_static_selectorELNS0_4arch9wavefront6targetE1EEEvT1_
	.p2align	8
	.type	_ZN7rocprim17ROCPRIM_400000_NS6detail17trampoline_kernelINS0_14default_configENS1_29reduce_by_key_config_selectorIiiN6thrust23THRUST_200600_302600_NS4plusIiEEEEZZNS1_33reduce_by_key_impl_wrapped_configILNS1_25lookback_scan_determinismE0ES3_S9_NS6_6detail15normal_iteratorINS6_10device_ptrIiEEEESG_SG_SG_PmS8_NS6_8equal_toIiEEEE10hipError_tPvRmT2_T3_mT4_T5_T6_T7_T8_P12ihipStream_tbENKUlT_T0_E_clISt17integral_constantIbLb1EES10_IbLb0EEEEDaSW_SX_EUlSW_E_NS1_11comp_targetILNS1_3genE5ELNS1_11target_archE942ELNS1_3gpuE9ELNS1_3repE0EEENS1_30default_config_static_selectorELNS0_4arch9wavefront6targetE1EEEvT1_,@function
_ZN7rocprim17ROCPRIM_400000_NS6detail17trampoline_kernelINS0_14default_configENS1_29reduce_by_key_config_selectorIiiN6thrust23THRUST_200600_302600_NS4plusIiEEEEZZNS1_33reduce_by_key_impl_wrapped_configILNS1_25lookback_scan_determinismE0ES3_S9_NS6_6detail15normal_iteratorINS6_10device_ptrIiEEEESG_SG_SG_PmS8_NS6_8equal_toIiEEEE10hipError_tPvRmT2_T3_mT4_T5_T6_T7_T8_P12ihipStream_tbENKUlT_T0_E_clISt17integral_constantIbLb1EES10_IbLb0EEEEDaSW_SX_EUlSW_E_NS1_11comp_targetILNS1_3genE5ELNS1_11target_archE942ELNS1_3gpuE9ELNS1_3repE0EEENS1_30default_config_static_selectorELNS0_4arch9wavefront6targetE1EEEvT1_: ; @_ZN7rocprim17ROCPRIM_400000_NS6detail17trampoline_kernelINS0_14default_configENS1_29reduce_by_key_config_selectorIiiN6thrust23THRUST_200600_302600_NS4plusIiEEEEZZNS1_33reduce_by_key_impl_wrapped_configILNS1_25lookback_scan_determinismE0ES3_S9_NS6_6detail15normal_iteratorINS6_10device_ptrIiEEEESG_SG_SG_PmS8_NS6_8equal_toIiEEEE10hipError_tPvRmT2_T3_mT4_T5_T6_T7_T8_P12ihipStream_tbENKUlT_T0_E_clISt17integral_constantIbLb1EES10_IbLb0EEEEDaSW_SX_EUlSW_E_NS1_11comp_targetILNS1_3genE5ELNS1_11target_archE942ELNS1_3gpuE9ELNS1_3repE0EEENS1_30default_config_static_selectorELNS0_4arch9wavefront6targetE1EEEvT1_
; %bb.0:
	.section	.rodata,"a",@progbits
	.p2align	6, 0x0
	.amdhsa_kernel _ZN7rocprim17ROCPRIM_400000_NS6detail17trampoline_kernelINS0_14default_configENS1_29reduce_by_key_config_selectorIiiN6thrust23THRUST_200600_302600_NS4plusIiEEEEZZNS1_33reduce_by_key_impl_wrapped_configILNS1_25lookback_scan_determinismE0ES3_S9_NS6_6detail15normal_iteratorINS6_10device_ptrIiEEEESG_SG_SG_PmS8_NS6_8equal_toIiEEEE10hipError_tPvRmT2_T3_mT4_T5_T6_T7_T8_P12ihipStream_tbENKUlT_T0_E_clISt17integral_constantIbLb1EES10_IbLb0EEEEDaSW_SX_EUlSW_E_NS1_11comp_targetILNS1_3genE5ELNS1_11target_archE942ELNS1_3gpuE9ELNS1_3repE0EEENS1_30default_config_static_selectorELNS0_4arch9wavefront6targetE1EEEvT1_
		.amdhsa_group_segment_fixed_size 0
		.amdhsa_private_segment_fixed_size 0
		.amdhsa_kernarg_size 120
		.amdhsa_user_sgpr_count 6
		.amdhsa_user_sgpr_private_segment_buffer 1
		.amdhsa_user_sgpr_dispatch_ptr 0
		.amdhsa_user_sgpr_queue_ptr 0
		.amdhsa_user_sgpr_kernarg_segment_ptr 1
		.amdhsa_user_sgpr_dispatch_id 0
		.amdhsa_user_sgpr_flat_scratch_init 0
		.amdhsa_user_sgpr_kernarg_preload_length 0
		.amdhsa_user_sgpr_kernarg_preload_offset 0
		.amdhsa_user_sgpr_private_segment_size 0
		.amdhsa_uses_dynamic_stack 0
		.amdhsa_system_sgpr_private_segment_wavefront_offset 0
		.amdhsa_system_sgpr_workgroup_id_x 1
		.amdhsa_system_sgpr_workgroup_id_y 0
		.amdhsa_system_sgpr_workgroup_id_z 0
		.amdhsa_system_sgpr_workgroup_info 0
		.amdhsa_system_vgpr_workitem_id 0
		.amdhsa_next_free_vgpr 1
		.amdhsa_next_free_sgpr 0
		.amdhsa_accum_offset 4
		.amdhsa_reserve_vcc 0
		.amdhsa_reserve_flat_scratch 0
		.amdhsa_float_round_mode_32 0
		.amdhsa_float_round_mode_16_64 0
		.amdhsa_float_denorm_mode_32 3
		.amdhsa_float_denorm_mode_16_64 3
		.amdhsa_dx10_clamp 1
		.amdhsa_ieee_mode 1
		.amdhsa_fp16_overflow 0
		.amdhsa_tg_split 0
		.amdhsa_exception_fp_ieee_invalid_op 0
		.amdhsa_exception_fp_denorm_src 0
		.amdhsa_exception_fp_ieee_div_zero 0
		.amdhsa_exception_fp_ieee_overflow 0
		.amdhsa_exception_fp_ieee_underflow 0
		.amdhsa_exception_fp_ieee_inexact 0
		.amdhsa_exception_int_div_zero 0
	.end_amdhsa_kernel
	.section	.text._ZN7rocprim17ROCPRIM_400000_NS6detail17trampoline_kernelINS0_14default_configENS1_29reduce_by_key_config_selectorIiiN6thrust23THRUST_200600_302600_NS4plusIiEEEEZZNS1_33reduce_by_key_impl_wrapped_configILNS1_25lookback_scan_determinismE0ES3_S9_NS6_6detail15normal_iteratorINS6_10device_ptrIiEEEESG_SG_SG_PmS8_NS6_8equal_toIiEEEE10hipError_tPvRmT2_T3_mT4_T5_T6_T7_T8_P12ihipStream_tbENKUlT_T0_E_clISt17integral_constantIbLb1EES10_IbLb0EEEEDaSW_SX_EUlSW_E_NS1_11comp_targetILNS1_3genE5ELNS1_11target_archE942ELNS1_3gpuE9ELNS1_3repE0EEENS1_30default_config_static_selectorELNS0_4arch9wavefront6targetE1EEEvT1_,"axG",@progbits,_ZN7rocprim17ROCPRIM_400000_NS6detail17trampoline_kernelINS0_14default_configENS1_29reduce_by_key_config_selectorIiiN6thrust23THRUST_200600_302600_NS4plusIiEEEEZZNS1_33reduce_by_key_impl_wrapped_configILNS1_25lookback_scan_determinismE0ES3_S9_NS6_6detail15normal_iteratorINS6_10device_ptrIiEEEESG_SG_SG_PmS8_NS6_8equal_toIiEEEE10hipError_tPvRmT2_T3_mT4_T5_T6_T7_T8_P12ihipStream_tbENKUlT_T0_E_clISt17integral_constantIbLb1EES10_IbLb0EEEEDaSW_SX_EUlSW_E_NS1_11comp_targetILNS1_3genE5ELNS1_11target_archE942ELNS1_3gpuE9ELNS1_3repE0EEENS1_30default_config_static_selectorELNS0_4arch9wavefront6targetE1EEEvT1_,comdat
.Lfunc_end566:
	.size	_ZN7rocprim17ROCPRIM_400000_NS6detail17trampoline_kernelINS0_14default_configENS1_29reduce_by_key_config_selectorIiiN6thrust23THRUST_200600_302600_NS4plusIiEEEEZZNS1_33reduce_by_key_impl_wrapped_configILNS1_25lookback_scan_determinismE0ES3_S9_NS6_6detail15normal_iteratorINS6_10device_ptrIiEEEESG_SG_SG_PmS8_NS6_8equal_toIiEEEE10hipError_tPvRmT2_T3_mT4_T5_T6_T7_T8_P12ihipStream_tbENKUlT_T0_E_clISt17integral_constantIbLb1EES10_IbLb0EEEEDaSW_SX_EUlSW_E_NS1_11comp_targetILNS1_3genE5ELNS1_11target_archE942ELNS1_3gpuE9ELNS1_3repE0EEENS1_30default_config_static_selectorELNS0_4arch9wavefront6targetE1EEEvT1_, .Lfunc_end566-_ZN7rocprim17ROCPRIM_400000_NS6detail17trampoline_kernelINS0_14default_configENS1_29reduce_by_key_config_selectorIiiN6thrust23THRUST_200600_302600_NS4plusIiEEEEZZNS1_33reduce_by_key_impl_wrapped_configILNS1_25lookback_scan_determinismE0ES3_S9_NS6_6detail15normal_iteratorINS6_10device_ptrIiEEEESG_SG_SG_PmS8_NS6_8equal_toIiEEEE10hipError_tPvRmT2_T3_mT4_T5_T6_T7_T8_P12ihipStream_tbENKUlT_T0_E_clISt17integral_constantIbLb1EES10_IbLb0EEEEDaSW_SX_EUlSW_E_NS1_11comp_targetILNS1_3genE5ELNS1_11target_archE942ELNS1_3gpuE9ELNS1_3repE0EEENS1_30default_config_static_selectorELNS0_4arch9wavefront6targetE1EEEvT1_
                                        ; -- End function
	.section	.AMDGPU.csdata,"",@progbits
; Kernel info:
; codeLenInByte = 0
; NumSgprs: 4
; NumVgprs: 0
; NumAgprs: 0
; TotalNumVgprs: 0
; ScratchSize: 0
; MemoryBound: 0
; FloatMode: 240
; IeeeMode: 1
; LDSByteSize: 0 bytes/workgroup (compile time only)
; SGPRBlocks: 0
; VGPRBlocks: 0
; NumSGPRsForWavesPerEU: 4
; NumVGPRsForWavesPerEU: 1
; AccumOffset: 4
; Occupancy: 8
; WaveLimiterHint : 0
; COMPUTE_PGM_RSRC2:SCRATCH_EN: 0
; COMPUTE_PGM_RSRC2:USER_SGPR: 6
; COMPUTE_PGM_RSRC2:TRAP_HANDLER: 0
; COMPUTE_PGM_RSRC2:TGID_X_EN: 1
; COMPUTE_PGM_RSRC2:TGID_Y_EN: 0
; COMPUTE_PGM_RSRC2:TGID_Z_EN: 0
; COMPUTE_PGM_RSRC2:TIDIG_COMP_CNT: 0
; COMPUTE_PGM_RSRC3_GFX90A:ACCUM_OFFSET: 0
; COMPUTE_PGM_RSRC3_GFX90A:TG_SPLIT: 0
	.section	.text._ZN7rocprim17ROCPRIM_400000_NS6detail17trampoline_kernelINS0_14default_configENS1_29reduce_by_key_config_selectorIiiN6thrust23THRUST_200600_302600_NS4plusIiEEEEZZNS1_33reduce_by_key_impl_wrapped_configILNS1_25lookback_scan_determinismE0ES3_S9_NS6_6detail15normal_iteratorINS6_10device_ptrIiEEEESG_SG_SG_PmS8_NS6_8equal_toIiEEEE10hipError_tPvRmT2_T3_mT4_T5_T6_T7_T8_P12ihipStream_tbENKUlT_T0_E_clISt17integral_constantIbLb1EES10_IbLb0EEEEDaSW_SX_EUlSW_E_NS1_11comp_targetILNS1_3genE4ELNS1_11target_archE910ELNS1_3gpuE8ELNS1_3repE0EEENS1_30default_config_static_selectorELNS0_4arch9wavefront6targetE1EEEvT1_,"axG",@progbits,_ZN7rocprim17ROCPRIM_400000_NS6detail17trampoline_kernelINS0_14default_configENS1_29reduce_by_key_config_selectorIiiN6thrust23THRUST_200600_302600_NS4plusIiEEEEZZNS1_33reduce_by_key_impl_wrapped_configILNS1_25lookback_scan_determinismE0ES3_S9_NS6_6detail15normal_iteratorINS6_10device_ptrIiEEEESG_SG_SG_PmS8_NS6_8equal_toIiEEEE10hipError_tPvRmT2_T3_mT4_T5_T6_T7_T8_P12ihipStream_tbENKUlT_T0_E_clISt17integral_constantIbLb1EES10_IbLb0EEEEDaSW_SX_EUlSW_E_NS1_11comp_targetILNS1_3genE4ELNS1_11target_archE910ELNS1_3gpuE8ELNS1_3repE0EEENS1_30default_config_static_selectorELNS0_4arch9wavefront6targetE1EEEvT1_,comdat
	.protected	_ZN7rocprim17ROCPRIM_400000_NS6detail17trampoline_kernelINS0_14default_configENS1_29reduce_by_key_config_selectorIiiN6thrust23THRUST_200600_302600_NS4plusIiEEEEZZNS1_33reduce_by_key_impl_wrapped_configILNS1_25lookback_scan_determinismE0ES3_S9_NS6_6detail15normal_iteratorINS6_10device_ptrIiEEEESG_SG_SG_PmS8_NS6_8equal_toIiEEEE10hipError_tPvRmT2_T3_mT4_T5_T6_T7_T8_P12ihipStream_tbENKUlT_T0_E_clISt17integral_constantIbLb1EES10_IbLb0EEEEDaSW_SX_EUlSW_E_NS1_11comp_targetILNS1_3genE4ELNS1_11target_archE910ELNS1_3gpuE8ELNS1_3repE0EEENS1_30default_config_static_selectorELNS0_4arch9wavefront6targetE1EEEvT1_ ; -- Begin function _ZN7rocprim17ROCPRIM_400000_NS6detail17trampoline_kernelINS0_14default_configENS1_29reduce_by_key_config_selectorIiiN6thrust23THRUST_200600_302600_NS4plusIiEEEEZZNS1_33reduce_by_key_impl_wrapped_configILNS1_25lookback_scan_determinismE0ES3_S9_NS6_6detail15normal_iteratorINS6_10device_ptrIiEEEESG_SG_SG_PmS8_NS6_8equal_toIiEEEE10hipError_tPvRmT2_T3_mT4_T5_T6_T7_T8_P12ihipStream_tbENKUlT_T0_E_clISt17integral_constantIbLb1EES10_IbLb0EEEEDaSW_SX_EUlSW_E_NS1_11comp_targetILNS1_3genE4ELNS1_11target_archE910ELNS1_3gpuE8ELNS1_3repE0EEENS1_30default_config_static_selectorELNS0_4arch9wavefront6targetE1EEEvT1_
	.globl	_ZN7rocprim17ROCPRIM_400000_NS6detail17trampoline_kernelINS0_14default_configENS1_29reduce_by_key_config_selectorIiiN6thrust23THRUST_200600_302600_NS4plusIiEEEEZZNS1_33reduce_by_key_impl_wrapped_configILNS1_25lookback_scan_determinismE0ES3_S9_NS6_6detail15normal_iteratorINS6_10device_ptrIiEEEESG_SG_SG_PmS8_NS6_8equal_toIiEEEE10hipError_tPvRmT2_T3_mT4_T5_T6_T7_T8_P12ihipStream_tbENKUlT_T0_E_clISt17integral_constantIbLb1EES10_IbLb0EEEEDaSW_SX_EUlSW_E_NS1_11comp_targetILNS1_3genE4ELNS1_11target_archE910ELNS1_3gpuE8ELNS1_3repE0EEENS1_30default_config_static_selectorELNS0_4arch9wavefront6targetE1EEEvT1_
	.p2align	8
	.type	_ZN7rocprim17ROCPRIM_400000_NS6detail17trampoline_kernelINS0_14default_configENS1_29reduce_by_key_config_selectorIiiN6thrust23THRUST_200600_302600_NS4plusIiEEEEZZNS1_33reduce_by_key_impl_wrapped_configILNS1_25lookback_scan_determinismE0ES3_S9_NS6_6detail15normal_iteratorINS6_10device_ptrIiEEEESG_SG_SG_PmS8_NS6_8equal_toIiEEEE10hipError_tPvRmT2_T3_mT4_T5_T6_T7_T8_P12ihipStream_tbENKUlT_T0_E_clISt17integral_constantIbLb1EES10_IbLb0EEEEDaSW_SX_EUlSW_E_NS1_11comp_targetILNS1_3genE4ELNS1_11target_archE910ELNS1_3gpuE8ELNS1_3repE0EEENS1_30default_config_static_selectorELNS0_4arch9wavefront6targetE1EEEvT1_,@function
_ZN7rocprim17ROCPRIM_400000_NS6detail17trampoline_kernelINS0_14default_configENS1_29reduce_by_key_config_selectorIiiN6thrust23THRUST_200600_302600_NS4plusIiEEEEZZNS1_33reduce_by_key_impl_wrapped_configILNS1_25lookback_scan_determinismE0ES3_S9_NS6_6detail15normal_iteratorINS6_10device_ptrIiEEEESG_SG_SG_PmS8_NS6_8equal_toIiEEEE10hipError_tPvRmT2_T3_mT4_T5_T6_T7_T8_P12ihipStream_tbENKUlT_T0_E_clISt17integral_constantIbLb1EES10_IbLb0EEEEDaSW_SX_EUlSW_E_NS1_11comp_targetILNS1_3genE4ELNS1_11target_archE910ELNS1_3gpuE8ELNS1_3repE0EEENS1_30default_config_static_selectorELNS0_4arch9wavefront6targetE1EEEvT1_: ; @_ZN7rocprim17ROCPRIM_400000_NS6detail17trampoline_kernelINS0_14default_configENS1_29reduce_by_key_config_selectorIiiN6thrust23THRUST_200600_302600_NS4plusIiEEEEZZNS1_33reduce_by_key_impl_wrapped_configILNS1_25lookback_scan_determinismE0ES3_S9_NS6_6detail15normal_iteratorINS6_10device_ptrIiEEEESG_SG_SG_PmS8_NS6_8equal_toIiEEEE10hipError_tPvRmT2_T3_mT4_T5_T6_T7_T8_P12ihipStream_tbENKUlT_T0_E_clISt17integral_constantIbLb1EES10_IbLb0EEEEDaSW_SX_EUlSW_E_NS1_11comp_targetILNS1_3genE4ELNS1_11target_archE910ELNS1_3gpuE8ELNS1_3repE0EEENS1_30default_config_static_selectorELNS0_4arch9wavefront6targetE1EEEvT1_
; %bb.0:
	s_load_dwordx8 s[36:43], s[4:5], 0x0
	s_load_dwordx4 s[52:55], s[4:5], 0x20
	s_load_dwordx8 s[44:51], s[4:5], 0x38
	s_load_dwordx2 s[60:61], s[4:5], 0x68
	s_load_dwordx4 s[56:59], s[4:5], 0x58
	s_waitcnt lgkmcnt(0)
	s_lshl_b64 s[0:1], s[38:39], 2
	s_add_u32 s2, s36, s0
	s_addc_u32 s3, s37, s1
	s_add_u32 s4, s40, s0
	s_addc_u32 s5, s41, s1
	s_mul_i32 s0, s48, s47
	s_mul_hi_u32 s1, s48, s46
	s_add_i32 s0, s1, s0
	s_mul_i32 s1, s49, s46
	s_add_i32 s8, s0, s1
	s_mul_i32 s0, s6, 0xf00
	s_mov_b32 s1, 0
	s_lshl_b64 s[0:1], s[0:1], 2
	s_add_u32 s7, s2, s0
	s_mul_i32 s9, s48, s46
	s_addc_u32 s48, s3, s1
	s_add_u32 s49, s4, s0
	s_addc_u32 s62, s5, s1
	s_add_u32 s38, s9, s6
	s_addc_u32 s39, s8, 0
	s_add_u32 s2, s50, -1
	s_addc_u32 s3, s51, -1
	s_cmp_eq_u64 s[38:39], s[2:3]
	s_cselect_b64 s[34:35], -1, 0
	s_cmp_lg_u64 s[38:39], s[2:3]
	s_mov_b64 s[0:1], -1
	s_cselect_b64 s[40:41], -1, 0
	s_mul_i32 s33, s2, 0xfffff100
	s_and_b64 vcc, exec, s[34:35]
	s_cbranch_vccnz .LBB567_2
; %bb.1:
	v_lshlrev_b32_e32 v24, 2, v0
	v_mov_b32_e32 v1, s48
	v_add_co_u32_e32 v2, vcc, s7, v24
	v_addc_co_u32_e32 v3, vcc, 0, v1, vcc
	v_add_co_u32_e32 v4, vcc, 0x1000, v2
	v_addc_co_u32_e32 v5, vcc, 0, v3, vcc
	flat_load_dword v1, v[2:3]
	flat_load_dword v8, v[2:3] offset:1024
	flat_load_dword v9, v[2:3] offset:2048
	flat_load_dword v10, v[2:3] offset:3072
	flat_load_dword v11, v[4:5]
	flat_load_dword v12, v[4:5] offset:1024
	flat_load_dword v13, v[4:5] offset:2048
	;; [unrolled: 1-line block ×3, first 2 shown]
	v_add_co_u32_e32 v4, vcc, 0x2000, v2
	v_addc_co_u32_e32 v5, vcc, 0, v3, vcc
	v_add_co_u32_e32 v2, vcc, 0x3000, v2
	v_addc_co_u32_e32 v3, vcc, 0, v3, vcc
	flat_load_dword v15, v[4:5]
	flat_load_dword v16, v[4:5] offset:1024
	flat_load_dword v17, v[4:5] offset:2048
	;; [unrolled: 1-line block ×3, first 2 shown]
	flat_load_dword v19, v[2:3]
	flat_load_dword v20, v[2:3] offset:1024
	flat_load_dword v21, v[2:3] offset:2048
	v_mov_b32_e32 v3, s62
	v_add_co_u32_e32 v2, vcc, s49, v24
	s_movk_i32 s0, 0x1000
	v_addc_co_u32_e32 v3, vcc, 0, v3, vcc
	v_add_co_u32_e32 v4, vcc, s0, v2
	s_movk_i32 s1, 0x2000
	v_addc_co_u32_e32 v5, vcc, 0, v3, vcc
	;; [unrolled: 3-line block ×3, first 2 shown]
	v_mad_u32_u24 v38, v0, 56, v24
	v_add_co_u32_e32 v22, vcc, s2, v2
	v_addc_co_u32_e32 v23, vcc, 0, v3, vcc
	s_waitcnt vmcnt(0) lgkmcnt(0)
	ds_write2st64_b32 v24, v1, v8 offset1:4
	ds_write2st64_b32 v24, v9, v10 offset0:8 offset1:12
	ds_write2st64_b32 v24, v11, v12 offset0:16 offset1:20
	;; [unrolled: 1-line block ×6, first 2 shown]
	ds_write_b32 v24, v21 offset:14336
	s_waitcnt lgkmcnt(0)
	s_barrier
	ds_read2_b32 v[20:21], v38 offset1:1
	ds_read2_b32 v[18:19], v38 offset0:2 offset1:3
	ds_read2_b32 v[16:17], v38 offset0:4 offset1:5
	ds_read2_b32 v[14:15], v38 offset0:6 offset1:7
	ds_read2_b32 v[12:13], v38 offset0:8 offset1:9
	ds_read2_b32 v[10:11], v38 offset0:10 offset1:11
	ds_read2_b32 v[8:9], v38 offset0:12 offset1:13
	ds_read_b32 v1, v38 offset:56
	s_waitcnt lgkmcnt(0)
	s_barrier
	flat_load_dword v25, v[2:3]
	flat_load_dword v26, v[2:3] offset:1024
	flat_load_dword v27, v[2:3] offset:2048
	flat_load_dword v28, v[2:3] offset:3072
	flat_load_dword v29, v[4:5]
	flat_load_dword v30, v[4:5] offset:1024
	flat_load_dword v31, v[4:5] offset:2048
	flat_load_dword v32, v[4:5] offset:3072
	flat_load_dword v33, v[6:7]
	flat_load_dword v34, v[6:7] offset:1024
	flat_load_dword v35, v[6:7] offset:2048
	flat_load_dword v39, v[6:7] offset:3072
	flat_load_dword v40, v[22:23]
	flat_load_dword v41, v[22:23] offset:1024
	flat_load_dword v42, v[22:23] offset:2048
	v_mov_b32_e32 v36, v20
	v_mov_b32_e32 v37, v18
	;; [unrolled: 1-line block ×7, first 2 shown]
	s_waitcnt vmcnt(0) lgkmcnt(0)
	ds_write2st64_b32 v24, v25, v26 offset1:4
	ds_write2st64_b32 v24, v27, v28 offset0:8 offset1:12
	ds_write2st64_b32 v24, v29, v30 offset0:16 offset1:20
	;; [unrolled: 1-line block ×6, first 2 shown]
	ds_write_b32 v24, v42 offset:14336
	s_waitcnt lgkmcnt(0)
	s_barrier
	s_add_i32 s33, s33, s56
	s_cbranch_execz .LBB567_3
	s_branch .LBB567_50
.LBB567_2:
                                        ; implicit-def: $vgpr1
                                        ; implicit-def: $vgpr8
                                        ; implicit-def: $vgpr10
                                        ; implicit-def: $vgpr12
                                        ; implicit-def: $vgpr14
                                        ; implicit-def: $vgpr16
                                        ; implicit-def: $vgpr18
                                        ; implicit-def: $vgpr20
                                        ; implicit-def: $vgpr38
                                        ; implicit-def: $vgpr2_vgpr3
                                        ; implicit-def: $vgpr4_vgpr5
                                        ; implicit-def: $vgpr36_vgpr37
                                        ; implicit-def: $vgpr6_vgpr7
	s_andn2_b64 vcc, exec, s[0:1]
	s_add_i32 s33, s33, s56
	s_cbranch_vccnz .LBB567_50
.LBB567_3:
	v_cmp_gt_u32_e32 vcc, s33, v0
                                        ; implicit-def: $vgpr1
	s_and_saveexec_b64 s[2:3], vcc
	s_cbranch_execz .LBB567_5
; %bb.4:
	v_lshlrev_b32_e32 v1, 2, v0
	v_mov_b32_e32 v3, s48
	v_add_co_u32_e64 v2, s[0:1], s7, v1
	v_addc_co_u32_e64 v3, s[0:1], 0, v3, s[0:1]
	flat_load_dword v1, v[2:3]
.LBB567_5:
	s_or_b64 exec, exec, s[2:3]
	v_or_b32_e32 v2, 0x100, v0
	v_cmp_gt_u32_e64 s[0:1], s33, v2
                                        ; implicit-def: $vgpr8
	s_and_saveexec_b64 s[4:5], s[0:1]
	s_cbranch_execz .LBB567_7
; %bb.6:
	v_lshlrev_b32_e32 v2, 2, v0
	v_mov_b32_e32 v3, s48
	v_add_co_u32_e64 v2, s[2:3], s7, v2
	v_addc_co_u32_e64 v3, s[2:3], 0, v3, s[2:3]
	flat_load_dword v8, v[2:3] offset:1024
.LBB567_7:
	s_or_b64 exec, exec, s[4:5]
	v_or_b32_e32 v2, 0x200, v0
	v_cmp_gt_u32_e64 s[2:3], s33, v2
                                        ; implicit-def: $vgpr9
	s_and_saveexec_b64 s[8:9], s[2:3]
	s_cbranch_execz .LBB567_9
; %bb.8:
	v_lshlrev_b32_e32 v2, 2, v0
	v_mov_b32_e32 v3, s48
	v_add_co_u32_e64 v2, s[4:5], s7, v2
	v_addc_co_u32_e64 v3, s[4:5], 0, v3, s[4:5]
	flat_load_dword v9, v[2:3] offset:2048
.LBB567_9:
	s_or_b64 exec, exec, s[8:9]
	v_or_b32_e32 v2, 0x300, v0
	v_cmp_gt_u32_e64 s[4:5], s33, v2
                                        ; implicit-def: $vgpr10
	s_and_saveexec_b64 s[10:11], s[4:5]
	s_cbranch_execz .LBB567_11
; %bb.10:
	v_lshlrev_b32_e32 v2, 2, v0
	v_mov_b32_e32 v3, s48
	v_add_co_u32_e64 v2, s[8:9], s7, v2
	v_addc_co_u32_e64 v3, s[8:9], 0, v3, s[8:9]
	flat_load_dword v10, v[2:3] offset:3072
.LBB567_11:
	s_or_b64 exec, exec, s[10:11]
	v_or_b32_e32 v2, 0x400, v0
	v_cmp_gt_u32_e64 s[28:29], s33, v2
                                        ; implicit-def: $vgpr11
	s_and_saveexec_b64 s[10:11], s[28:29]
	s_cbranch_execz .LBB567_13
; %bb.12:
	v_lshlrev_b32_e32 v3, 2, v2
	v_mov_b32_e32 v5, s48
	v_add_co_u32_e64 v4, s[8:9], s7, v3
	v_addc_co_u32_e64 v5, s[8:9], 0, v5, s[8:9]
	flat_load_dword v11, v[4:5]
.LBB567_13:
	s_or_b64 exec, exec, s[10:11]
	v_or_b32_e32 v3, 0x500, v0
	v_cmp_gt_u32_e64 s[8:9], s33, v3
                                        ; implicit-def: $vgpr12
	s_and_saveexec_b64 s[12:13], s[8:9]
	s_cbranch_execz .LBB567_15
; %bb.14:
	v_lshlrev_b32_e32 v4, 2, v3
	v_mov_b32_e32 v5, s48
	v_add_co_u32_e64 v4, s[10:11], s7, v4
	v_addc_co_u32_e64 v5, s[10:11], 0, v5, s[10:11]
	flat_load_dword v12, v[4:5]
.LBB567_15:
	s_or_b64 exec, exec, s[12:13]
	v_or_b32_e32 v4, 0x600, v0
	v_cmp_gt_u32_e64 s[10:11], s33, v4
                                        ; implicit-def: $vgpr13
	s_and_saveexec_b64 s[14:15], s[10:11]
	s_cbranch_execz .LBB567_17
; %bb.16:
	v_lshlrev_b32_e32 v5, 2, v4
	v_mov_b32_e32 v7, s48
	v_add_co_u32_e64 v6, s[12:13], s7, v5
	v_addc_co_u32_e64 v7, s[12:13], 0, v7, s[12:13]
	flat_load_dword v13, v[6:7]
.LBB567_17:
	s_or_b64 exec, exec, s[14:15]
	v_or_b32_e32 v5, 0x700, v0
	v_cmp_gt_u32_e64 s[12:13], s33, v5
                                        ; implicit-def: $vgpr14
	s_and_saveexec_b64 s[16:17], s[12:13]
	s_cbranch_execz .LBB567_19
; %bb.18:
	v_lshlrev_b32_e32 v6, 2, v5
	v_mov_b32_e32 v7, s48
	v_add_co_u32_e64 v6, s[14:15], s7, v6
	v_addc_co_u32_e64 v7, s[14:15], 0, v7, s[14:15]
	flat_load_dword v14, v[6:7]
.LBB567_19:
	s_or_b64 exec, exec, s[16:17]
	v_or_b32_e32 v6, 0x800, v0
	v_cmp_gt_u32_e64 s[14:15], s33, v6
                                        ; implicit-def: $vgpr15
	s_and_saveexec_b64 s[18:19], s[14:15]
	s_cbranch_execz .LBB567_21
; %bb.20:
	v_lshlrev_b32_e32 v7, 2, v6
	v_mov_b32_e32 v15, s48
	v_add_co_u32_e64 v16, s[16:17], s7, v7
	v_addc_co_u32_e64 v17, s[16:17], 0, v15, s[16:17]
	flat_load_dword v15, v[16:17]
.LBB567_21:
	s_or_b64 exec, exec, s[18:19]
	v_or_b32_e32 v22, 0x900, v0
	v_cmp_gt_u32_e64 s[16:17], s33, v22
                                        ; implicit-def: $vgpr16
	s_and_saveexec_b64 s[20:21], s[16:17]
	s_cbranch_execz .LBB567_23
; %bb.22:
	v_lshlrev_b32_e32 v7, 2, v22
	v_mov_b32_e32 v17, s48
	v_add_co_u32_e64 v16, s[18:19], s7, v7
	v_addc_co_u32_e64 v17, s[18:19], 0, v17, s[18:19]
	flat_load_dword v16, v[16:17]
.LBB567_23:
	s_or_b64 exec, exec, s[20:21]
	v_or_b32_e32 v23, 0xa00, v0
	v_cmp_gt_u32_e64 s[18:19], s33, v23
                                        ; implicit-def: $vgpr17
	s_and_saveexec_b64 s[22:23], s[18:19]
	s_cbranch_execz .LBB567_25
; %bb.24:
	v_lshlrev_b32_e32 v7, 2, v23
	v_mov_b32_e32 v17, s48
	v_add_co_u32_e64 v18, s[20:21], s7, v7
	v_addc_co_u32_e64 v19, s[20:21], 0, v17, s[20:21]
	flat_load_dword v17, v[18:19]
.LBB567_25:
	s_or_b64 exec, exec, s[22:23]
	v_or_b32_e32 v24, 0xb00, v0
	v_cmp_gt_u32_e64 s[20:21], s33, v24
                                        ; implicit-def: $vgpr18
	s_and_saveexec_b64 s[24:25], s[20:21]
	s_cbranch_execz .LBB567_27
; %bb.26:
	v_lshlrev_b32_e32 v7, 2, v24
	v_mov_b32_e32 v19, s48
	v_add_co_u32_e64 v18, s[22:23], s7, v7
	v_addc_co_u32_e64 v19, s[22:23], 0, v19, s[22:23]
	flat_load_dword v18, v[18:19]
.LBB567_27:
	s_or_b64 exec, exec, s[24:25]
	v_or_b32_e32 v25, 0xc00, v0
	v_cmp_gt_u32_e64 s[22:23], s33, v25
                                        ; implicit-def: $vgpr19
	s_and_saveexec_b64 s[26:27], s[22:23]
	s_cbranch_execz .LBB567_29
; %bb.28:
	v_lshlrev_b32_e32 v7, 2, v25
	v_mov_b32_e32 v19, s48
	v_add_co_u32_e64 v20, s[24:25], s7, v7
	v_addc_co_u32_e64 v21, s[24:25], 0, v19, s[24:25]
	flat_load_dword v19, v[20:21]
.LBB567_29:
	s_or_b64 exec, exec, s[26:27]
	v_or_b32_e32 v26, 0xd00, v0
	v_cmp_gt_u32_e64 s[24:25], s33, v26
                                        ; implicit-def: $vgpr20
	s_and_saveexec_b64 s[30:31], s[24:25]
	s_cbranch_execz .LBB567_31
; %bb.30:
	v_lshlrev_b32_e32 v7, 2, v26
	v_mov_b32_e32 v21, s48
	v_add_co_u32_e64 v20, s[26:27], s7, v7
	v_addc_co_u32_e64 v21, s[26:27], 0, v21, s[26:27]
	flat_load_dword v20, v[20:21]
.LBB567_31:
	s_or_b64 exec, exec, s[30:31]
	v_or_b32_e32 v27, 0xe00, v0
	v_cmp_gt_u32_e64 s[26:27], s33, v27
                                        ; implicit-def: $vgpr21
	s_and_saveexec_b64 s[36:37], s[26:27]
	s_cbranch_execz .LBB567_33
; %bb.32:
	v_lshlrev_b32_e32 v7, 2, v27
	v_mov_b32_e32 v21, s48
	v_add_co_u32_e64 v28, s[30:31], s7, v7
	v_addc_co_u32_e64 v29, s[30:31], 0, v21, s[30:31]
	flat_load_dword v21, v[28:29]
.LBB567_33:
	s_or_b64 exec, exec, s[36:37]
	v_lshlrev_b32_e32 v7, 2, v0
	v_mad_u32_u24 v38, v0, 56, v7
	s_waitcnt vmcnt(0) lgkmcnt(0)
	ds_write2st64_b32 v7, v1, v8 offset1:4
	ds_write2st64_b32 v7, v9, v10 offset0:8 offset1:12
	ds_write2st64_b32 v7, v11, v12 offset0:16 offset1:20
	;; [unrolled: 1-line block ×6, first 2 shown]
	ds_write_b32 v7, v21 offset:14336
	s_waitcnt lgkmcnt(0)
	s_barrier
	ds_read2_b32 v[20:21], v38 offset1:1
	ds_read2_b32 v[18:19], v38 offset0:2 offset1:3
	ds_read2_b32 v[16:17], v38 offset0:4 offset1:5
	;; [unrolled: 1-line block ×6, first 2 shown]
	ds_read_b32 v1, v38 offset:56
	s_waitcnt lgkmcnt(0)
	s_barrier
	s_waitcnt lgkmcnt(0)
                                        ; implicit-def: $vgpr28
	s_and_saveexec_b64 s[30:31], vcc
	s_cbranch_execnz .LBB567_57
; %bb.34:
	s_or_b64 exec, exec, s[30:31]
                                        ; implicit-def: $vgpr29
	s_and_saveexec_b64 s[30:31], s[0:1]
	s_cbranch_execnz .LBB567_58
.LBB567_35:
	s_or_b64 exec, exec, s[30:31]
                                        ; implicit-def: $vgpr30
	s_and_saveexec_b64 s[0:1], s[2:3]
	s_cbranch_execnz .LBB567_59
.LBB567_36:
	s_or_b64 exec, exec, s[0:1]
                                        ; implicit-def: $vgpr31
	s_and_saveexec_b64 s[0:1], s[4:5]
	s_cbranch_execnz .LBB567_60
.LBB567_37:
	s_or_b64 exec, exec, s[0:1]
                                        ; implicit-def: $vgpr32
	s_and_saveexec_b64 s[0:1], s[28:29]
	s_cbranch_execnz .LBB567_61
.LBB567_38:
	s_or_b64 exec, exec, s[0:1]
                                        ; implicit-def: $vgpr2
	s_and_saveexec_b64 s[0:1], s[8:9]
	s_cbranch_execnz .LBB567_62
.LBB567_39:
	s_or_b64 exec, exec, s[0:1]
                                        ; implicit-def: $vgpr3
	s_and_saveexec_b64 s[0:1], s[10:11]
	s_cbranch_execnz .LBB567_63
.LBB567_40:
	s_or_b64 exec, exec, s[0:1]
                                        ; implicit-def: $vgpr4
	s_and_saveexec_b64 s[0:1], s[12:13]
	s_cbranch_execnz .LBB567_64
.LBB567_41:
	s_or_b64 exec, exec, s[0:1]
                                        ; implicit-def: $vgpr5
	s_and_saveexec_b64 s[0:1], s[14:15]
	s_cbranch_execnz .LBB567_65
.LBB567_42:
	s_or_b64 exec, exec, s[0:1]
                                        ; implicit-def: $vgpr6
	s_and_saveexec_b64 s[0:1], s[16:17]
	s_cbranch_execnz .LBB567_66
.LBB567_43:
	s_or_b64 exec, exec, s[0:1]
                                        ; implicit-def: $vgpr22
	s_and_saveexec_b64 s[0:1], s[18:19]
	s_cbranch_execnz .LBB567_67
.LBB567_44:
	s_or_b64 exec, exec, s[0:1]
                                        ; implicit-def: $vgpr23
	s_and_saveexec_b64 s[0:1], s[20:21]
	s_cbranch_execnz .LBB567_68
.LBB567_45:
	s_or_b64 exec, exec, s[0:1]
                                        ; implicit-def: $vgpr24
	s_and_saveexec_b64 s[0:1], s[22:23]
	s_cbranch_execnz .LBB567_69
.LBB567_46:
	s_or_b64 exec, exec, s[0:1]
                                        ; implicit-def: $vgpr25
	s_and_saveexec_b64 s[0:1], s[24:25]
	s_cbranch_execnz .LBB567_70
.LBB567_47:
	s_or_b64 exec, exec, s[0:1]
                                        ; implicit-def: $vgpr26
	s_and_saveexec_b64 s[0:1], s[26:27]
	s_cbranch_execz .LBB567_49
.LBB567_48:
	v_lshlrev_b32_e32 v26, 2, v27
	v_mov_b32_e32 v27, s62
	v_add_co_u32_e32 v26, vcc, s49, v26
	v_addc_co_u32_e32 v27, vcc, 0, v27, vcc
	flat_load_dword v26, v[26:27]
.LBB567_49:
	s_or_b64 exec, exec, s[0:1]
	s_waitcnt vmcnt(0) lgkmcnt(0)
	ds_write2st64_b32 v7, v28, v29 offset1:4
	ds_write2st64_b32 v7, v30, v31 offset0:8 offset1:12
	ds_write2st64_b32 v7, v32, v2 offset0:16 offset1:20
	;; [unrolled: 1-line block ×6, first 2 shown]
	ds_write_b32 v7, v26 offset:14336
	v_mov_b32_e32 v36, v20
	v_mov_b32_e32 v37, v18
	v_mov_b32_e32 v4, v16
	v_mov_b32_e32 v5, v14
	v_mov_b32_e32 v2, v12
	v_mov_b32_e32 v3, v10
	v_mov_b32_e32 v6, v8
	s_waitcnt lgkmcnt(0)
	s_barrier
.LBB567_50:
	ds_read2_b32 v[34:35], v38 offset1:1
	ds_read2_b32 v[32:33], v38 offset0:2 offset1:3
	ds_read2_b32 v[30:31], v38 offset0:4 offset1:5
	;; [unrolled: 1-line block ×6, first 2 shown]
	ds_read_b32 v82, v38 offset:56
	s_cmp_eq_u64 s[38:39], 0
	s_cselect_b64 s[36:37], -1, 0
	s_cmp_lg_u64 s[38:39], 0
	s_mov_b64 s[2:3], 0
	s_cselect_b64 s[4:5], -1, 0
	s_and_b64 vcc, exec, s[40:41]
	s_waitcnt lgkmcnt(0)
	s_barrier
	s_cbranch_vccz .LBB567_56
; %bb.51:
	s_and_b64 vcc, exec, s[4:5]
	s_cbranch_vccz .LBB567_71
; %bb.52:
	v_mov_b32_e32 v7, s48
	v_add_co_u32_e64 v38, vcc, -4, s7
	v_addc_co_u32_e32 v39, vcc, -1, v7, vcc
	flat_load_dword v7, v[38:39]
	v_lshlrev_b32_e32 v38, 2, v0
	v_cmp_ne_u32_e32 vcc, 0, v0
	ds_write_b32 v38, v1
	s_waitcnt lgkmcnt(0)
	s_barrier
	s_and_saveexec_b64 s[0:1], vcc
	s_cbranch_execz .LBB567_54
; %bb.53:
	s_waitcnt vmcnt(0)
	v_add_u32_e32 v7, -4, v38
	ds_read_b32 v7, v7
.LBB567_54:
	s_or_b64 exec, exec, s[0:1]
	v_cmp_ne_u32_e32 vcc, v36, v21
	v_cndmask_b32_e64 v79, 0, 1, vcc
	v_cmp_ne_u32_e32 vcc, v37, v21
	v_cndmask_b32_e64 v78, 0, 1, vcc
	;; [unrolled: 2-line block ×14, first 2 shown]
	s_waitcnt vmcnt(0) lgkmcnt(0)
	v_cmp_ne_u32_e64 s[0:1], v7, v20
	s_mov_b64 s[2:3], -1
.LBB567_55:
                                        ; implicit-def: $sgpr10
	s_branch .LBB567_83
.LBB567_56:
                                        ; implicit-def: $sgpr0_sgpr1
                                        ; implicit-def: $vgpr66
                                        ; implicit-def: $vgpr67
                                        ; implicit-def: $vgpr68
                                        ; implicit-def: $vgpr69
                                        ; implicit-def: $vgpr70
                                        ; implicit-def: $vgpr71
                                        ; implicit-def: $vgpr72
                                        ; implicit-def: $vgpr73
                                        ; implicit-def: $vgpr74
                                        ; implicit-def: $vgpr75
                                        ; implicit-def: $vgpr76
                                        ; implicit-def: $vgpr77
                                        ; implicit-def: $vgpr78
                                        ; implicit-def: $vgpr79
                                        ; implicit-def: $sgpr10
	s_cbranch_execnz .LBB567_75
	s_branch .LBB567_83
.LBB567_57:
	v_mov_b32_e32 v29, s62
	v_add_co_u32_e32 v28, vcc, s49, v7
	v_addc_co_u32_e32 v29, vcc, 0, v29, vcc
	flat_load_dword v28, v[28:29]
	s_or_b64 exec, exec, s[30:31]
                                        ; implicit-def: $vgpr29
	s_and_saveexec_b64 s[30:31], s[0:1]
	s_cbranch_execz .LBB567_35
.LBB567_58:
	v_mov_b32_e32 v29, s62
	v_add_co_u32_e32 v30, vcc, s49, v7
	v_addc_co_u32_e32 v31, vcc, 0, v29, vcc
	flat_load_dword v29, v[30:31] offset:1024
	s_or_b64 exec, exec, s[30:31]
                                        ; implicit-def: $vgpr30
	s_and_saveexec_b64 s[0:1], s[2:3]
	s_cbranch_execz .LBB567_36
.LBB567_59:
	v_mov_b32_e32 v31, s62
	v_add_co_u32_e32 v30, vcc, s49, v7
	v_addc_co_u32_e32 v31, vcc, 0, v31, vcc
	flat_load_dword v30, v[30:31] offset:2048
	s_or_b64 exec, exec, s[0:1]
                                        ; implicit-def: $vgpr31
	s_and_saveexec_b64 s[0:1], s[4:5]
	s_cbranch_execz .LBB567_37
.LBB567_60:
	v_mov_b32_e32 v31, s62
	v_add_co_u32_e32 v32, vcc, s49, v7
	v_addc_co_u32_e32 v33, vcc, 0, v31, vcc
	flat_load_dword v31, v[32:33] offset:3072
	s_or_b64 exec, exec, s[0:1]
                                        ; implicit-def: $vgpr32
	s_and_saveexec_b64 s[0:1], s[28:29]
	s_cbranch_execz .LBB567_38
.LBB567_61:
	v_lshlrev_b32_e32 v2, 2, v2
	v_mov_b32_e32 v33, s62
	v_add_co_u32_e32 v32, vcc, s49, v2
	v_addc_co_u32_e32 v33, vcc, 0, v33, vcc
	flat_load_dword v32, v[32:33]
	s_or_b64 exec, exec, s[0:1]
                                        ; implicit-def: $vgpr2
	s_and_saveexec_b64 s[0:1], s[8:9]
	s_cbranch_execz .LBB567_39
.LBB567_62:
	v_lshlrev_b32_e32 v2, 2, v3
	v_mov_b32_e32 v3, s62
	v_add_co_u32_e32 v2, vcc, s49, v2
	v_addc_co_u32_e32 v3, vcc, 0, v3, vcc
	flat_load_dword v2, v[2:3]
	s_or_b64 exec, exec, s[0:1]
                                        ; implicit-def: $vgpr3
	s_and_saveexec_b64 s[0:1], s[10:11]
	s_cbranch_execz .LBB567_40
.LBB567_63:
	v_lshlrev_b32_e32 v3, 2, v4
	v_mov_b32_e32 v4, s62
	v_add_co_u32_e32 v34, vcc, s49, v3
	v_addc_co_u32_e32 v35, vcc, 0, v4, vcc
	flat_load_dword v3, v[34:35]
	s_or_b64 exec, exec, s[0:1]
                                        ; implicit-def: $vgpr4
	s_and_saveexec_b64 s[0:1], s[12:13]
	s_cbranch_execz .LBB567_41
.LBB567_64:
	v_lshlrev_b32_e32 v4, 2, v5
	v_mov_b32_e32 v5, s62
	v_add_co_u32_e32 v4, vcc, s49, v4
	v_addc_co_u32_e32 v5, vcc, 0, v5, vcc
	flat_load_dword v4, v[4:5]
	s_or_b64 exec, exec, s[0:1]
                                        ; implicit-def: $vgpr5
	s_and_saveexec_b64 s[0:1], s[14:15]
	s_cbranch_execz .LBB567_42
.LBB567_65:
	v_lshlrev_b32_e32 v5, 2, v6
	v_mov_b32_e32 v6, s62
	v_add_co_u32_e32 v34, vcc, s49, v5
	v_addc_co_u32_e32 v35, vcc, 0, v6, vcc
	flat_load_dword v5, v[34:35]
	s_or_b64 exec, exec, s[0:1]
                                        ; implicit-def: $vgpr6
	s_and_saveexec_b64 s[0:1], s[16:17]
	s_cbranch_execz .LBB567_43
.LBB567_66:
	v_lshlrev_b32_e32 v6, 2, v22
	v_mov_b32_e32 v22, s62
	v_add_co_u32_e32 v34, vcc, s49, v6
	v_addc_co_u32_e32 v35, vcc, 0, v22, vcc
	flat_load_dword v6, v[34:35]
	s_or_b64 exec, exec, s[0:1]
                                        ; implicit-def: $vgpr22
	s_and_saveexec_b64 s[0:1], s[18:19]
	s_cbranch_execz .LBB567_44
.LBB567_67:
	v_lshlrev_b32_e32 v22, 2, v23
	v_mov_b32_e32 v23, s62
	v_add_co_u32_e32 v22, vcc, s49, v22
	v_addc_co_u32_e32 v23, vcc, 0, v23, vcc
	flat_load_dword v22, v[22:23]
	s_or_b64 exec, exec, s[0:1]
                                        ; implicit-def: $vgpr23
	s_and_saveexec_b64 s[0:1], s[20:21]
	s_cbranch_execz .LBB567_45
.LBB567_68:
	v_lshlrev_b32_e32 v23, 2, v24
	v_mov_b32_e32 v24, s62
	v_add_co_u32_e32 v34, vcc, s49, v23
	v_addc_co_u32_e32 v35, vcc, 0, v24, vcc
	flat_load_dword v23, v[34:35]
	s_or_b64 exec, exec, s[0:1]
                                        ; implicit-def: $vgpr24
	s_and_saveexec_b64 s[0:1], s[22:23]
	s_cbranch_execz .LBB567_46
.LBB567_69:
	v_lshlrev_b32_e32 v24, 2, v25
	v_mov_b32_e32 v25, s62
	v_add_co_u32_e32 v24, vcc, s49, v24
	v_addc_co_u32_e32 v25, vcc, 0, v25, vcc
	flat_load_dword v24, v[24:25]
	s_or_b64 exec, exec, s[0:1]
                                        ; implicit-def: $vgpr25
	s_and_saveexec_b64 s[0:1], s[24:25]
	s_cbranch_execz .LBB567_47
.LBB567_70:
	v_lshlrev_b32_e32 v25, 2, v26
	v_mov_b32_e32 v26, s62
	v_add_co_u32_e32 v34, vcc, s49, v25
	v_addc_co_u32_e32 v35, vcc, 0, v26, vcc
	flat_load_dword v25, v[34:35]
	s_or_b64 exec, exec, s[0:1]
                                        ; implicit-def: $vgpr26
	s_and_saveexec_b64 s[0:1], s[26:27]
	s_cbranch_execnz .LBB567_48
	s_branch .LBB567_49
.LBB567_71:
                                        ; implicit-def: $sgpr0_sgpr1
                                        ; implicit-def: $vgpr66
                                        ; implicit-def: $vgpr67
                                        ; implicit-def: $vgpr68
                                        ; implicit-def: $vgpr69
                                        ; implicit-def: $vgpr70
                                        ; implicit-def: $vgpr71
                                        ; implicit-def: $vgpr72
                                        ; implicit-def: $vgpr73
                                        ; implicit-def: $vgpr74
                                        ; implicit-def: $vgpr75
                                        ; implicit-def: $vgpr76
                                        ; implicit-def: $vgpr77
                                        ; implicit-def: $vgpr78
                                        ; implicit-def: $vgpr79
	s_cbranch_execz .LBB567_55
; %bb.72:
	v_cmp_ne_u32_e32 vcc, v21, v36
	v_cndmask_b32_e64 v79, 0, 1, vcc
	v_cmp_ne_u32_e32 vcc, v21, v37
	v_cndmask_b32_e64 v78, 0, 1, vcc
	;; [unrolled: 2-line block ×13, first 2 shown]
	v_cmp_ne_u32_e32 vcc, v9, v1
	v_lshlrev_b32_e32 v7, 2, v0
	v_cndmask_b32_e64 v66, 0, 1, vcc
	v_cmp_ne_u32_e32 vcc, 0, v0
	ds_write_b32 v7, v1
	s_waitcnt lgkmcnt(0)
	s_barrier
	s_waitcnt lgkmcnt(0)
                                        ; implicit-def: $sgpr0_sgpr1
	s_and_saveexec_b64 s[8:9], vcc
	s_xor_b64 s[8:9], exec, s[8:9]
	s_cbranch_execz .LBB567_74
; %bb.73:
	v_add_u32_e32 v2, -4, v7
	ds_read_b32 v2, v2
	s_or_b64 s[2:3], s[2:3], exec
	s_waitcnt lgkmcnt(0)
	v_cmp_ne_u32_e32 vcc, v2, v20
	s_and_b64 s[0:1], vcc, exec
.LBB567_74:
	s_or_b64 exec, exec, s[8:9]
	s_mov_b32 s10, 1
	s_branch .LBB567_83
.LBB567_75:
	s_mul_hi_u32 s1, s38, 0xfffff100
	s_mul_i32 s0, s39, 0xfffff100
	s_sub_i32 s1, s1, s38
	s_add_i32 s1, s1, s0
	s_mul_i32 s0, s38, 0xfffff100
	s_add_u32 s8, s0, s56
	s_addc_u32 s9, s1, s57
	s_and_b64 vcc, exec, s[4:5]
	s_cbranch_vccz .LBB567_80
; %bb.76:
	v_mov_b32_e32 v3, s48
	v_add_co_u32_e64 v2, vcc, -4, s7
	v_addc_co_u32_e32 v3, vcc, -1, v3, vcc
	flat_load_dword v6, v[2:3]
	v_mad_u32_u24 v4, v0, 15, 14
	v_mov_b32_e32 v5, 0
	v_cmp_gt_u64_e32 vcc, s[8:9], v[4:5]
	v_cmp_ne_u32_e64 s[0:1], v9, v1
	v_mad_u32_u24 v4, v0, 15, 13
	s_and_b64 s[2:3], vcc, s[0:1]
	v_cmp_gt_u64_e32 vcc, s[8:9], v[4:5]
	v_cmp_ne_u32_e64 s[0:1], v8, v9
	v_mad_u32_u24 v4, v0, 15, 12
	s_and_b64 s[4:5], vcc, s[0:1]
	;; [unrolled: 4-line block ×13, first 2 shown]
	v_cmp_gt_u64_e32 vcc, s[8:9], v[4:5]
	v_cmp_ne_u32_e64 s[0:1], v20, v21
	v_lshlrev_b32_e32 v3, 2, v0
	v_mul_u32_u24_e32 v2, 15, v0
	s_and_b64 s[0:1], vcc, s[0:1]
	v_cmp_ne_u32_e32 vcc, 0, v0
	ds_write_b32 v3, v1
	s_waitcnt lgkmcnt(0)
	s_barrier
	s_and_saveexec_b64 s[38:39], vcc
	s_cbranch_execz .LBB567_78
; %bb.77:
	v_add_u32_e32 v3, -4, v3
	s_waitcnt vmcnt(0)
	ds_read_b32 v6, v3
.LBB567_78:
	s_or_b64 exec, exec, s[38:39]
	v_mov_b32_e32 v3, v5
	v_cndmask_b32_e64 v79, 0, 1, s[0:1]
	v_cmp_gt_u64_e32 vcc, s[8:9], v[2:3]
	s_waitcnt vmcnt(0) lgkmcnt(0)
	v_cmp_ne_u32_e64 s[0:1], v6, v20
	v_cndmask_b32_e64 v66, 0, 1, s[2:3]
	v_cndmask_b32_e64 v67, 0, 1, s[4:5]
	;; [unrolled: 1-line block ×13, first 2 shown]
	s_and_b64 s[0:1], vcc, s[0:1]
	s_mov_b64 s[2:3], -1
.LBB567_79:
                                        ; implicit-def: $sgpr10
	v_mov_b32_e32 v81, s10
	s_and_saveexec_b64 s[4:5], s[2:3]
	s_cbranch_execnz .LBB567_84
	s_branch .LBB567_85
.LBB567_80:
                                        ; implicit-def: $sgpr0_sgpr1
                                        ; implicit-def: $vgpr66
                                        ; implicit-def: $vgpr67
                                        ; implicit-def: $vgpr68
                                        ; implicit-def: $vgpr69
                                        ; implicit-def: $vgpr70
                                        ; implicit-def: $vgpr71
                                        ; implicit-def: $vgpr72
                                        ; implicit-def: $vgpr73
                                        ; implicit-def: $vgpr74
                                        ; implicit-def: $vgpr75
                                        ; implicit-def: $vgpr76
                                        ; implicit-def: $vgpr77
                                        ; implicit-def: $vgpr78
                                        ; implicit-def: $vgpr79
	s_cbranch_execz .LBB567_79
; %bb.81:
	v_mad_u32_u24 v2, v0, 15, 14
	v_mov_b32_e32 v3, 0
	v_cmp_gt_u64_e32 vcc, s[8:9], v[2:3]
	v_cmp_ne_u32_e64 s[0:1], v9, v1
	s_and_b64 s[0:1], vcc, s[0:1]
	v_mad_u32_u24 v2, v0, 15, 13
	v_cndmask_b32_e64 v66, 0, 1, s[0:1]
	v_cmp_gt_u64_e32 vcc, s[8:9], v[2:3]
	v_cmp_ne_u32_e64 s[0:1], v8, v9
	s_and_b64 s[0:1], vcc, s[0:1]
	v_mad_u32_u24 v2, v0, 15, 12
	v_cndmask_b32_e64 v67, 0, 1, s[0:1]
	;; [unrolled: 5-line block ×13, first 2 shown]
	v_cmp_gt_u64_e32 vcc, s[8:9], v[2:3]
	v_cmp_ne_u32_e64 s[0:1], v20, v21
	s_and_b64 s[0:1], vcc, s[0:1]
	v_lshlrev_b32_e32 v4, 2, v0
	s_mov_b32 s10, 1
	v_cndmask_b32_e64 v79, 0, 1, s[0:1]
	v_cmp_ne_u32_e32 vcc, 0, v0
	ds_write_b32 v4, v1
	s_waitcnt lgkmcnt(0)
	s_barrier
	s_waitcnt lgkmcnt(0)
                                        ; implicit-def: $sgpr0_sgpr1
	s_and_saveexec_b64 s[4:5], vcc
	s_cbranch_execz .LBB567_192
; %bb.82:
	v_add_u32_e32 v2, -4, v4
	ds_read_b32 v4, v2
	v_mul_u32_u24_e32 v2, 15, v0
	v_cmp_gt_u64_e32 vcc, s[8:9], v[2:3]
	s_or_b64 s[2:3], s[2:3], exec
	s_waitcnt lgkmcnt(0)
	v_cmp_ne_u32_e64 s[0:1], v4, v20
	s_and_b64 s[0:1], vcc, s[0:1]
	s_and_b64 s[0:1], s[0:1], exec
	s_or_b64 exec, exec, s[4:5]
.LBB567_83:
	v_mov_b32_e32 v81, s10
	s_and_saveexec_b64 s[4:5], s[2:3]
.LBB567_84:
	v_cndmask_b32_e64 v81, 0, 1, s[0:1]
.LBB567_85:
	s_or_b64 exec, exec, s[4:5]
	s_cmp_eq_u64 s[46:47], 0
	v_add3_u32 v2, v79, v81, v78
	s_cselect_b64 s[38:39], -1, 0
	s_cmp_lg_u32 s6, 0
	v_cmp_eq_u32_e64 s[24:25], 0, v79
	v_cmp_eq_u32_e64 s[22:23], 0, v78
	v_cmp_eq_u32_e64 s[20:21], 0, v77
	v_add3_u32 v86, v2, v77, v76
	v_cmp_eq_u32_e64 s[18:19], 0, v76
	v_cmp_eq_u32_e64 s[16:17], 0, v75
	;; [unrolled: 1-line block ×10, first 2 shown]
	v_cmp_eq_u32_e32 vcc, 0, v66
	v_mbcnt_lo_u32_b32 v85, -1, 0
	v_lshrrev_b32_e32 v83, 6, v0
	v_or_b32_e32 v84, 63, v0
	s_cbranch_scc0 .LBB567_116
; %bb.86:
	v_cndmask_b32_e64 v2, 0, v34, s[24:25]
	v_add_u32_e32 v2, v2, v35
	v_cndmask_b32_e64 v2, 0, v2, s[22:23]
	v_add_u32_e32 v2, v2, v32
	;; [unrolled: 2-line block ×11, first 2 shown]
	v_cndmask_b32_e64 v2, 0, v2, s[2:3]
	v_add3_u32 v3, v86, v75, v74
	v_add_u32_e32 v2, v2, v22
	v_add3_u32 v3, v3, v73, v72
	v_cndmask_b32_e64 v2, 0, v2, s[0:1]
	v_add3_u32 v3, v3, v71, v70
	v_add_u32_e32 v2, v2, v23
	v_add3_u32 v3, v3, v69, v68
	v_cndmask_b32_e32 v2, 0, v2, vcc
	v_add3_u32 v3, v3, v67, v66
	v_add_u32_e32 v2, v2, v82
	v_mbcnt_hi_u32_b32 v39, -1, v85
	v_and_b32_e32 v4, 15, v39
	v_mov_b32_dpp v6, v2 row_shr:1 row_mask:0xf bank_mask:0xf
	v_cmp_eq_u32_e32 vcc, 0, v3
	v_mov_b32_dpp v5, v3 row_shr:1 row_mask:0xf bank_mask:0xf
	v_cndmask_b32_e32 v6, 0, v6, vcc
	v_cmp_eq_u32_e32 vcc, 0, v4
	v_cndmask_b32_e64 v5, v5, 0, vcc
	v_add_u32_e32 v3, v5, v3
	v_cndmask_b32_e64 v5, v6, 0, vcc
	v_add_u32_e32 v2, v5, v2
	v_cmp_eq_u32_e32 vcc, 0, v3
	v_mov_b32_dpp v5, v3 row_shr:2 row_mask:0xf bank_mask:0xf
	v_cmp_lt_u32_e64 s[26:27], 1, v4
	v_mov_b32_dpp v6, v2 row_shr:2 row_mask:0xf bank_mask:0xf
	v_cndmask_b32_e64 v5, 0, v5, s[26:27]
	s_and_b64 vcc, s[26:27], vcc
	v_cndmask_b32_e32 v6, 0, v6, vcc
	v_add_u32_e32 v3, v3, v5
	v_add_u32_e32 v2, v6, v2
	v_cmp_eq_u32_e32 vcc, 0, v3
	v_mov_b32_dpp v5, v3 row_shr:4 row_mask:0xf bank_mask:0xf
	v_cmp_lt_u32_e64 s[26:27], 3, v4
	v_mov_b32_dpp v6, v2 row_shr:4 row_mask:0xf bank_mask:0xf
	v_cndmask_b32_e64 v5, 0, v5, s[26:27]
	s_and_b64 vcc, s[26:27], vcc
	v_cndmask_b32_e32 v6, 0, v6, vcc
	v_add_u32_e32 v3, v5, v3
	v_add_u32_e32 v2, v2, v6
	v_cmp_eq_u32_e32 vcc, 0, v3
	v_cmp_lt_u32_e64 s[26:27], 7, v4
	v_mov_b32_dpp v5, v3 row_shr:8 row_mask:0xf bank_mask:0xf
	v_mov_b32_dpp v6, v2 row_shr:8 row_mask:0xf bank_mask:0xf
	s_and_b64 vcc, s[26:27], vcc
	v_cndmask_b32_e64 v4, 0, v5, s[26:27]
	v_cndmask_b32_e32 v5, 0, v6, vcc
	v_add_u32_e32 v2, v5, v2
	v_add_u32_e32 v3, v4, v3
	v_bfe_i32 v6, v39, 4, 1
	v_mov_b32_dpp v5, v2 row_bcast:15 row_mask:0xf bank_mask:0xf
	v_mov_b32_dpp v4, v3 row_bcast:15 row_mask:0xf bank_mask:0xf
	v_cmp_eq_u32_e32 vcc, 0, v3
	v_cndmask_b32_e32 v5, 0, v5, vcc
	v_and_b32_e32 v4, v6, v4
	v_add_u32_e32 v3, v4, v3
	v_and_b32_e32 v4, v6, v5
	v_add_u32_e32 v4, v4, v2
	v_mov_b32_dpp v2, v3 row_bcast:31 row_mask:0xf bank_mask:0xf
	v_cmp_eq_u32_e32 vcc, 0, v3
	v_cmp_lt_u32_e64 s[26:27], 31, v39
	v_mov_b32_dpp v5, v4 row_bcast:31 row_mask:0xf bank_mask:0xf
	v_cndmask_b32_e64 v2, 0, v2, s[26:27]
	s_and_b64 vcc, s[26:27], vcc
	v_add_u32_e32 v2, v2, v3
	v_cndmask_b32_e32 v3, 0, v5, vcc
	v_add_u32_e32 v3, v3, v4
	v_cmp_eq_u32_e32 vcc, v84, v0
	v_lshlrev_b32_e32 v4, 3, v83
	s_and_saveexec_b64 s[26:27], vcc
	s_cbranch_execz .LBB567_88
; %bb.87:
	ds_write_b64 v4, v[2:3] offset:2064
.LBB567_88:
	s_or_b64 exec, exec, s[26:27]
	v_cmp_gt_u32_e32 vcc, 4, v0
	s_waitcnt lgkmcnt(0)
	s_barrier
	s_and_saveexec_b64 s[30:31], vcc
	s_cbranch_execz .LBB567_90
; %bb.89:
	v_lshlrev_b32_e32 v5, 3, v0
	ds_read_b64 v[6:7], v5 offset:2064
	v_and_b32_e32 v36, 3, v39
	v_cmp_lt_u32_e64 s[26:27], 1, v36
	s_waitcnt lgkmcnt(0)
	v_mov_b32_dpp v38, v7 row_shr:1 row_mask:0xf bank_mask:0xf
	v_cmp_eq_u32_e32 vcc, 0, v6
	v_mov_b32_dpp v37, v6 row_shr:1 row_mask:0xf bank_mask:0xf
	v_cndmask_b32_e32 v38, 0, v38, vcc
	v_cmp_eq_u32_e32 vcc, 0, v36
	v_cndmask_b32_e64 v37, v37, 0, vcc
	v_add_u32_e32 v6, v37, v6
	v_cndmask_b32_e64 v37, v38, 0, vcc
	v_add_u32_e32 v7, v37, v7
	v_cmp_eq_u32_e32 vcc, 0, v6
	v_mov_b32_dpp v37, v6 row_shr:2 row_mask:0xf bank_mask:0xf
	v_mov_b32_dpp v38, v7 row_shr:2 row_mask:0xf bank_mask:0xf
	v_cndmask_b32_e64 v36, 0, v37, s[26:27]
	s_and_b64 vcc, s[26:27], vcc
	v_add_u32_e32 v6, v36, v6
	v_cndmask_b32_e32 v36, 0, v38, vcc
	v_add_u32_e32 v7, v36, v7
	ds_write_b64 v5, v[6:7] offset:2064
.LBB567_90:
	s_or_b64 exec, exec, s[30:31]
	v_cmp_gt_u32_e32 vcc, 64, v0
	v_cmp_lt_u32_e64 s[26:27], 63, v0
	v_mov_b32_e32 v36, 0
	v_mov_b32_e32 v37, 0
	s_waitcnt lgkmcnt(0)
	s_barrier
	s_and_saveexec_b64 s[30:31], s[26:27]
	s_cbranch_execz .LBB567_92
; %bb.91:
	ds_read_b64 v[36:37], v4 offset:2056
	v_cmp_eq_u32_e64 s[26:27], 0, v2
	s_waitcnt lgkmcnt(0)
	v_add_u32_e32 v4, v36, v2
	v_cndmask_b32_e64 v2, 0, v37, s[26:27]
	v_add_u32_e32 v3, v2, v3
	v_mov_b32_e32 v2, v4
.LBB567_92:
	s_or_b64 exec, exec, s[30:31]
	v_add_u32_e32 v4, -1, v39
	v_and_b32_e32 v5, 64, v39
	v_cmp_lt_i32_e64 s[26:27], v4, v5
	v_cndmask_b32_e64 v4, v4, v39, s[26:27]
	v_lshlrev_b32_e32 v4, 2, v4
	ds_bpermute_b32 v44, v4, v2
	ds_bpermute_b32 v45, v4, v3
	v_cmp_eq_u32_e64 s[26:27], 0, v39
	s_and_saveexec_b64 s[40:41], vcc
	s_cbranch_execz .LBB567_115
; %bb.93:
	v_mov_b32_e32 v7, 0
	ds_read_b64 v[2:3], v7 offset:2088
	s_waitcnt lgkmcnt(0)
	v_readfirstlane_b32 s7, v2
	v_readfirstlane_b32 s48, v3
	s_and_saveexec_b64 s[30:31], s[26:27]
	s_cbranch_execz .LBB567_95
; %bb.94:
	s_add_i32 s46, s6, 64
	s_mov_b32 s47, 0
	s_lshl_b64 s[50:51], s[46:47], 4
	s_add_u32 s50, s44, s50
	s_addc_u32 s51, s45, s51
	s_and_b32 s57, s48, 0xff000000
	s_mov_b32 s56, s47
	s_and_b32 s63, s48, 0xff0000
	s_mov_b32 s62, s47
	s_or_b64 s[56:57], s[62:63], s[56:57]
	s_and_b32 s63, s48, 0xff00
	s_or_b64 s[56:57], s[56:57], s[62:63]
	s_and_b32 s63, s48, 0xff
	s_or_b64 s[46:47], s[56:57], s[62:63]
	v_mov_b32_e32 v4, s7
	v_mov_b32_e32 v5, s47
	;; [unrolled: 1-line block ×3, first 2 shown]
	v_pk_mov_b32 v[2:3], s[50:51], s[50:51] op_sel:[0,1]
	;;#ASMSTART
	global_store_dwordx4 v[2:3], v[4:7] off	
s_waitcnt vmcnt(0)
	;;#ASMEND
.LBB567_95:
	s_or_b64 exec, exec, s[30:31]
	v_xad_u32 v38, v39, -1, s6
	v_add_u32_e32 v6, 64, v38
	v_lshlrev_b64 v[2:3], 4, v[6:7]
	v_mov_b32_e32 v4, s45
	v_add_co_u32_e32 v40, vcc, s44, v2
	v_addc_co_u32_e32 v41, vcc, v4, v3, vcc
	;;#ASMSTART
	global_load_dwordx4 v[2:5], v[40:41] off glc	
s_waitcnt vmcnt(0)
	;;#ASMEND
	v_and_b32_e32 v5, 0xff, v3
	v_and_b32_e32 v6, 0xff00, v3
	;; [unrolled: 1-line block ×3, first 2 shown]
	v_or3_b32 v5, 0, v5, v6
	v_or3_b32 v2, v2, 0, 0
	v_and_b32_e32 v3, 0xff000000, v3
	v_or3_b32 v3, v5, v42, v3
	v_or3_b32 v2, v2, 0, 0
	v_cmp_eq_u16_sdwa s[46:47], v4, v7 src0_sel:BYTE_0 src1_sel:DWORD
	s_and_saveexec_b64 s[30:31], s[46:47]
	s_cbranch_execz .LBB567_101
; %bb.96:
	s_mov_b32 s49, 1
	s_mov_b64 s[46:47], 0
	v_mov_b32_e32 v6, 0
.LBB567_97:                             ; =>This Loop Header: Depth=1
                                        ;     Child Loop BB567_98 Depth 2
	s_max_u32 s50, s49, 1
.LBB567_98:                             ;   Parent Loop BB567_97 Depth=1
                                        ; =>  This Inner Loop Header: Depth=2
	s_add_i32 s50, s50, -1
	s_cmp_eq_u32 s50, 0
	s_sleep 1
	s_cbranch_scc0 .LBB567_98
; %bb.99:                               ;   in Loop: Header=BB567_97 Depth=1
	s_cmp_lt_u32 s49, 32
	s_cselect_b64 s[50:51], -1, 0
	s_cmp_lg_u64 s[50:51], 0
	s_addc_u32 s49, s49, 0
	;;#ASMSTART
	global_load_dwordx4 v[2:5], v[40:41] off glc	
s_waitcnt vmcnt(0)
	;;#ASMEND
	v_cmp_ne_u16_sdwa s[50:51], v4, v6 src0_sel:BYTE_0 src1_sel:DWORD
	s_or_b64 s[46:47], s[50:51], s[46:47]
	s_andn2_b64 exec, exec, s[46:47]
	s_cbranch_execnz .LBB567_97
; %bb.100:
	s_or_b64 exec, exec, s[46:47]
.LBB567_101:
	s_or_b64 exec, exec, s[30:31]
	v_mov_b32_e32 v46, 2
	v_cmp_eq_u16_sdwa s[30:31], v4, v46 src0_sel:BYTE_0 src1_sel:DWORD
	v_lshlrev_b64 v[40:41], v39, -1
	v_and_b32_e32 v5, s31, v41
	v_and_b32_e32 v47, 63, v39
	v_or_b32_e32 v5, 0x80000000, v5
	v_cmp_ne_u32_e32 vcc, 63, v47
	v_and_b32_e32 v6, s30, v40
	v_ffbl_b32_e32 v5, v5
	v_addc_co_u32_e32 v7, vcc, 0, v39, vcc
	v_add_u32_e32 v5, 32, v5
	v_ffbl_b32_e32 v6, v6
	v_lshlrev_b32_e32 v48, 2, v7
	v_min_u32_e32 v5, v6, v5
	ds_bpermute_b32 v6, v48, v3
	v_cmp_eq_u32_e32 vcc, 0, v2
	v_cmp_lt_u32_e64 s[30:31], v47, v5
	ds_bpermute_b32 v7, v48, v2
	s_and_b64 vcc, s[30:31], vcc
	s_waitcnt lgkmcnt(1)
	v_cndmask_b32_e32 v6, 0, v6, vcc
	v_cmp_gt_u32_e32 vcc, 62, v47
	v_add_u32_e32 v3, v6, v3
	v_cndmask_b32_e64 v6, 0, 1, vcc
	v_lshlrev_b32_e32 v6, 1, v6
	v_add_lshl_u32 v49, v6, v39, 2
	s_waitcnt lgkmcnt(0)
	v_cndmask_b32_e64 v7, 0, v7, s[30:31]
	ds_bpermute_b32 v6, v49, v3
	v_add_u32_e32 v2, v7, v2
	ds_bpermute_b32 v7, v49, v2
	v_add_u32_e32 v50, 2, v47
	v_cmp_eq_u32_e32 vcc, 0, v2
	s_waitcnt lgkmcnt(1)
	v_cndmask_b32_e32 v6, 0, v6, vcc
	v_cmp_gt_u32_e32 vcc, v50, v5
	v_cndmask_b32_e64 v6, v6, 0, vcc
	v_add_u32_e32 v3, v6, v3
	s_waitcnt lgkmcnt(0)
	v_cndmask_b32_e64 v6, v7, 0, vcc
	v_cmp_gt_u32_e32 vcc, 60, v47
	v_cndmask_b32_e64 v7, 0, 1, vcc
	v_lshlrev_b32_e32 v7, 2, v7
	v_add_lshl_u32 v51, v7, v39, 2
	ds_bpermute_b32 v7, v51, v3
	v_add_u32_e32 v2, v2, v6
	ds_bpermute_b32 v6, v51, v2
	v_add_u32_e32 v52, 4, v47
	v_cmp_eq_u32_e32 vcc, 0, v2
	s_waitcnt lgkmcnt(1)
	v_cndmask_b32_e32 v7, 0, v7, vcc
	v_cmp_gt_u32_e32 vcc, v52, v5
	v_cndmask_b32_e64 v7, v7, 0, vcc
	s_waitcnt lgkmcnt(0)
	v_cndmask_b32_e64 v6, v6, 0, vcc
	v_cmp_gt_u32_e32 vcc, 56, v47
	v_add_u32_e32 v3, v3, v7
	v_cndmask_b32_e64 v7, 0, 1, vcc
	v_lshlrev_b32_e32 v7, 3, v7
	v_add_lshl_u32 v53, v7, v39, 2
	ds_bpermute_b32 v7, v53, v3
	v_add_u32_e32 v2, v2, v6
	ds_bpermute_b32 v6, v53, v2
	v_add_u32_e32 v54, 8, v47
	v_cmp_eq_u32_e32 vcc, 0, v2
	s_waitcnt lgkmcnt(1)
	v_cndmask_b32_e32 v7, 0, v7, vcc
	v_cmp_gt_u32_e32 vcc, v54, v5
	v_cndmask_b32_e64 v7, v7, 0, vcc
	s_waitcnt lgkmcnt(0)
	v_cndmask_b32_e64 v6, v6, 0, vcc
	v_cmp_gt_u32_e32 vcc, 48, v47
	v_add_u32_e32 v3, v3, v7
	;; [unrolled: 16-line block ×3, first 2 shown]
	v_cndmask_b32_e64 v7, 0, 1, vcc
	v_lshlrev_b32_e32 v7, 5, v7
	v_add_lshl_u32 v57, v7, v39, 2
	ds_bpermute_b32 v7, v57, v3
	v_add_u32_e32 v2, v2, v6
	ds_bpermute_b32 v6, v57, v2
	v_add_u32_e32 v58, 32, v47
	v_cmp_eq_u32_e32 vcc, 0, v2
	s_waitcnt lgkmcnt(1)
	v_cndmask_b32_e32 v7, 0, v7, vcc
	v_cmp_gt_u32_e32 vcc, v58, v5
	v_cndmask_b32_e64 v5, v7, 0, vcc
	v_add_u32_e32 v3, v5, v3
	s_waitcnt lgkmcnt(0)
	v_cndmask_b32_e64 v5, v6, 0, vcc
	v_add_u32_e32 v2, v5, v2
	v_mov_b32_e32 v39, 0
	s_branch .LBB567_103
.LBB567_102:                            ;   in Loop: Header=BB567_103 Depth=1
	s_or_b64 exec, exec, s[30:31]
	v_cmp_eq_u16_sdwa s[30:31], v4, v46 src0_sel:BYTE_0 src1_sel:DWORD
	v_and_b32_e32 v5, s31, v41
	v_or_b32_e32 v5, 0x80000000, v5
	v_and_b32_e32 v42, s30, v40
	v_ffbl_b32_e32 v5, v5
	v_add_u32_e32 v5, 32, v5
	v_ffbl_b32_e32 v42, v42
	v_min_u32_e32 v5, v42, v5
	ds_bpermute_b32 v42, v48, v3
	v_cmp_eq_u32_e32 vcc, 0, v2
	v_cmp_lt_u32_e64 s[30:31], v47, v5
	ds_bpermute_b32 v43, v48, v2
	s_and_b64 vcc, s[30:31], vcc
	s_waitcnt lgkmcnt(1)
	v_cndmask_b32_e32 v42, 0, v42, vcc
	v_add_u32_e32 v3, v42, v3
	ds_bpermute_b32 v42, v49, v3
	s_waitcnt lgkmcnt(1)
	v_cndmask_b32_e64 v43, 0, v43, s[30:31]
	v_add_u32_e32 v2, v43, v2
	v_cmp_eq_u32_e32 vcc, 0, v2
	ds_bpermute_b32 v43, v49, v2
	s_waitcnt lgkmcnt(1)
	v_cndmask_b32_e32 v42, 0, v42, vcc
	v_cmp_gt_u32_e32 vcc, v50, v5
	v_cndmask_b32_e64 v42, v42, 0, vcc
	v_add_u32_e32 v3, v42, v3
	ds_bpermute_b32 v42, v51, v3
	s_waitcnt lgkmcnt(1)
	v_cndmask_b32_e64 v43, v43, 0, vcc
	v_add_u32_e32 v2, v2, v43
	v_cmp_eq_u32_e32 vcc, 0, v2
	ds_bpermute_b32 v43, v51, v2
	s_waitcnt lgkmcnt(1)
	v_cndmask_b32_e32 v42, 0, v42, vcc
	v_cmp_gt_u32_e32 vcc, v52, v5
	v_cndmask_b32_e64 v42, v42, 0, vcc
	v_add_u32_e32 v3, v3, v42
	ds_bpermute_b32 v42, v53, v3
	s_waitcnt lgkmcnt(1)
	v_cndmask_b32_e64 v43, v43, 0, vcc
	v_add_u32_e32 v2, v2, v43
	ds_bpermute_b32 v43, v53, v2
	v_cmp_eq_u32_e32 vcc, 0, v2
	s_waitcnt lgkmcnt(1)
	v_cndmask_b32_e32 v42, 0, v42, vcc
	v_cmp_gt_u32_e32 vcc, v54, v5
	v_cndmask_b32_e64 v42, v42, 0, vcc
	v_add_u32_e32 v3, v3, v42
	ds_bpermute_b32 v42, v55, v3
	s_waitcnt lgkmcnt(1)
	v_cndmask_b32_e64 v43, v43, 0, vcc
	v_add_u32_e32 v2, v2, v43
	ds_bpermute_b32 v43, v55, v2
	v_cmp_eq_u32_e32 vcc, 0, v2
	;; [unrolled: 11-line block ×3, first 2 shown]
	s_waitcnt lgkmcnt(1)
	v_cndmask_b32_e32 v42, 0, v42, vcc
	v_cmp_gt_u32_e32 vcc, v58, v5
	v_cndmask_b32_e64 v5, v42, 0, vcc
	v_add_u32_e32 v3, v5, v3
	s_waitcnt lgkmcnt(0)
	v_cndmask_b32_e64 v5, v43, 0, vcc
	v_cmp_eq_u32_e32 vcc, 0, v6
	v_cndmask_b32_e32 v3, 0, v3, vcc
	v_subrev_u32_e32 v38, 64, v38
	v_add3_u32 v2, v2, v6, v5
	v_add_u32_e32 v3, v3, v7
.LBB567_103:                            ; =>This Loop Header: Depth=1
                                        ;     Child Loop BB567_106 Depth 2
                                        ;       Child Loop BB567_107 Depth 3
	v_cmp_ne_u16_sdwa s[30:31], v4, v46 src0_sel:BYTE_0 src1_sel:DWORD
	v_mov_b32_e32 v7, v3
	v_cndmask_b32_e64 v3, 0, 1, s[30:31]
	;;#ASMSTART
	;;#ASMEND
	v_cmp_ne_u32_e32 vcc, 0, v3
	s_cmp_lg_u64 vcc, exec
	v_mov_b32_e32 v6, v2
	s_cbranch_scc1 .LBB567_110
; %bb.104:                              ;   in Loop: Header=BB567_103 Depth=1
	v_lshlrev_b64 v[2:3], 4, v[38:39]
	v_mov_b32_e32 v4, s45
	v_add_co_u32_e32 v42, vcc, s44, v2
	v_addc_co_u32_e32 v43, vcc, v4, v3, vcc
	;;#ASMSTART
	global_load_dwordx4 v[2:5], v[42:43] off glc	
s_waitcnt vmcnt(0)
	;;#ASMEND
	v_and_b32_e32 v5, 0xff, v3
	v_and_b32_e32 v59, 0xff00, v3
	;; [unrolled: 1-line block ×3, first 2 shown]
	v_or3_b32 v5, 0, v5, v59
	v_or3_b32 v2, v2, 0, 0
	v_and_b32_e32 v3, 0xff000000, v3
	v_or3_b32 v3, v5, v60, v3
	v_or3_b32 v2, v2, 0, 0
	v_cmp_eq_u16_sdwa s[46:47], v4, v39 src0_sel:BYTE_0 src1_sel:DWORD
	s_and_saveexec_b64 s[30:31], s[46:47]
	s_cbranch_execz .LBB567_102
; %bb.105:                              ;   in Loop: Header=BB567_103 Depth=1
	s_mov_b32 s49, 1
	s_mov_b64 s[46:47], 0
.LBB567_106:                            ;   Parent Loop BB567_103 Depth=1
                                        ; =>  This Loop Header: Depth=2
                                        ;       Child Loop BB567_107 Depth 3
	s_max_u32 s50, s49, 1
.LBB567_107:                            ;   Parent Loop BB567_103 Depth=1
                                        ;     Parent Loop BB567_106 Depth=2
                                        ; =>    This Inner Loop Header: Depth=3
	s_add_i32 s50, s50, -1
	s_cmp_eq_u32 s50, 0
	s_sleep 1
	s_cbranch_scc0 .LBB567_107
; %bb.108:                              ;   in Loop: Header=BB567_106 Depth=2
	s_cmp_lt_u32 s49, 32
	s_cselect_b64 s[50:51], -1, 0
	s_cmp_lg_u64 s[50:51], 0
	s_addc_u32 s49, s49, 0
	;;#ASMSTART
	global_load_dwordx4 v[2:5], v[42:43] off glc	
s_waitcnt vmcnt(0)
	;;#ASMEND
	v_cmp_ne_u16_sdwa s[50:51], v4, v39 src0_sel:BYTE_0 src1_sel:DWORD
	s_or_b64 s[46:47], s[50:51], s[46:47]
	s_andn2_b64 exec, exec, s[46:47]
	s_cbranch_execnz .LBB567_106
; %bb.109:                              ;   in Loop: Header=BB567_103 Depth=1
	s_or_b64 exec, exec, s[46:47]
	s_branch .LBB567_102
.LBB567_110:                            ;   in Loop: Header=BB567_103 Depth=1
                                        ; implicit-def: $vgpr3
                                        ; implicit-def: $vgpr2
                                        ; implicit-def: $vgpr4
	s_cbranch_execz .LBB567_103
; %bb.111:
	s_and_saveexec_b64 s[30:31], s[26:27]
	s_cbranch_execz .LBB567_113
; %bb.112:
	s_cmp_eq_u32 s7, 0
	s_cselect_b64 vcc, -1, 0
	s_mov_b32 s47, 0
	v_cndmask_b32_e32 v2, 0, v7, vcc
	s_add_i32 s46, s6, 64
	v_add_u32_e32 v2, s48, v2
	s_lshl_b64 s[46:47], s[46:47], 4
	s_add_u32 s46, s44, s46
	v_and_b32_e32 v3, 0xff000000, v2
	v_and_b32_e32 v4, 0xff0000, v2
	s_addc_u32 s47, s45, s47
	v_or_b32_e32 v3, v4, v3
	v_and_b32_e32 v4, 0xff00, v2
	v_and_b32_e32 v2, 0xff, v2
	v_add_u32_e32 v38, s7, v6
	v_mov_b32_e32 v41, 0
	v_or3_b32 v39, v3, v4, v2
	v_mov_b32_e32 v40, 2
	v_pk_mov_b32 v[2:3], s[46:47], s[46:47] op_sel:[0,1]
	;;#ASMSTART
	global_store_dwordx4 v[2:3], v[38:41] off	
s_waitcnt vmcnt(0)
	;;#ASMEND
	v_mov_b32_e32 v4, s7
	v_mov_b32_e32 v5, s48
	ds_write_b128 v41, v[4:7] offset:2048
.LBB567_113:
	s_or_b64 exec, exec, s[30:31]
	v_cmp_eq_u32_e32 vcc, 0, v0
	s_and_b64 exec, exec, vcc
	s_cbranch_execz .LBB567_115
; %bb.114:
	v_mov_b32_e32 v2, 0
	ds_write_b64 v2, v[6:7] offset:2088
.LBB567_115:
	s_or_b64 exec, exec, s[40:41]
	v_mov_b32_e32 v4, 0
	s_waitcnt lgkmcnt(0)
	s_barrier
	ds_read_b64 v[2:3], v4 offset:2088
	v_cndmask_b32_e64 v6, v44, v36, s[26:27]
	v_cmp_eq_u32_e32 vcc, 0, v6
	v_cndmask_b32_e64 v5, v45, v37, s[26:27]
	s_waitcnt lgkmcnt(0)
	v_cndmask_b32_e32 v7, 0, v3, vcc
	v_add_u32_e32 v5, v7, v5
	v_cmp_eq_u32_e32 vcc, 0, v0
	v_cndmask_b32_e32 v65, v5, v3, vcc
	v_cndmask_b32_e64 v3, v6, 0, vcc
	v_cmp_eq_u32_e32 vcc, 0, v81
	v_add_u32_e32 v64, v2, v3
	v_cndmask_b32_e32 v2, 0, v65, vcc
	v_add_u32_e32 v63, v2, v34
	v_cndmask_b32_e64 v2, 0, v63, s[24:25]
	v_add_u32_e32 v61, v2, v35
	v_cndmask_b32_e64 v2, 0, v61, s[22:23]
	;; [unrolled: 2-line block ×8, first 2 shown]
	v_add_u32_e32 v62, v64, v81
	v_add_u32_e32 v47, v2, v26
	v_add_u32_e32 v60, v62, v79
	v_cndmask_b32_e64 v2, 0, v47, s[8:9]
	v_add_u32_e32 v58, v60, v78
	v_add_u32_e32 v45, v2, v27
	v_add_u32_e32 v56, v58, v77
	v_cndmask_b32_e64 v2, 0, v45, s[28:29]
	;; [unrolled: 4-line block ×3, first 2 shown]
	v_add_u32_e32 v50, v52, v74
	v_add_u32_e32 v41, v2, v25
	s_barrier
	ds_read_b128 v[2:5], v4 offset:2048
	v_add_u32_e32 v48, v50, v73
	v_add_u32_e32 v46, v48, v72
	;; [unrolled: 1-line block ×4, first 2 shown]
	v_cndmask_b32_e64 v6, 0, v41, s[2:3]
	v_add_u32_e32 v40, v42, v69
	v_add_u32_e32 v39, v6, v22
	s_waitcnt lgkmcnt(0)
	v_cmp_eq_u32_e32 vcc, 0, v2
	v_add_u32_e32 v38, v40, v68
	v_cndmask_b32_e64 v6, 0, v39, s[0:1]
	v_cndmask_b32_e32 v5, 0, v5, vcc
	v_add_u32_e32 v36, v38, v67
	v_add_u32_e32 v37, v6, v23
	;; [unrolled: 1-line block ×3, first 2 shown]
	s_branch .LBB567_128
.LBB567_116:
                                        ; implicit-def: $vgpr2
                                        ; implicit-def: $vgpr80
                                        ; implicit-def: $vgpr64_vgpr65
                                        ; implicit-def: $vgpr62_vgpr63
                                        ; implicit-def: $vgpr60_vgpr61
                                        ; implicit-def: $vgpr58_vgpr59
                                        ; implicit-def: $vgpr56_vgpr57
                                        ; implicit-def: $vgpr54_vgpr55
                                        ; implicit-def: $vgpr52_vgpr53
                                        ; implicit-def: $vgpr50_vgpr51
                                        ; implicit-def: $vgpr48_vgpr49
                                        ; implicit-def: $vgpr46_vgpr47
                                        ; implicit-def: $vgpr44_vgpr45
                                        ; implicit-def: $vgpr42_vgpr43
                                        ; implicit-def: $vgpr40_vgpr41
                                        ; implicit-def: $vgpr38_vgpr39
                                        ; implicit-def: $vgpr36_vgpr37
	s_cbranch_execz .LBB567_128
; %bb.117:
	s_and_b64 s[0:1], s[38:39], exec
	s_cselect_b32 s1, 0, s61
	s_cselect_b32 s0, 0, s60
	s_cmp_eq_u64 s[0:1], 0
	v_mov_b32_e32 v6, v34
	s_cbranch_scc1 .LBB567_119
; %bb.118:
	v_mov_b32_e32 v2, 0
	global_load_dword v6, v2, s[0:1]
.LBB567_119:
	v_cmp_eq_u32_e64 s[0:1], 0, v79
	v_cndmask_b32_e64 v2, 0, v34, s[0:1]
	v_add_u32_e32 v2, v2, v35
	v_cmp_eq_u32_e64 s[2:3], 0, v78
	v_cndmask_b32_e64 v2, 0, v2, s[2:3]
	v_add_u32_e32 v2, v2, v32
	;; [unrolled: 3-line block ×11, first 2 shown]
	v_cmp_eq_u32_e64 s[22:23], 0, v68
	v_cndmask_b32_e64 v2, 0, v2, s[22:23]
	v_add3_u32 v3, v86, v75, v74
	v_add_u32_e32 v2, v2, v22
	v_cmp_eq_u32_e32 vcc, 0, v67
	v_add3_u32 v3, v3, v73, v72
	v_cndmask_b32_e32 v2, 0, v2, vcc
	v_add3_u32 v3, v3, v71, v70
	v_add_u32_e32 v2, v2, v23
	v_cmp_eq_u32_e64 s[24:25], 0, v66
	v_add3_u32 v3, v3, v69, v68
	v_cndmask_b32_e64 v2, 0, v2, s[24:25]
	v_add3_u32 v3, v3, v67, v66
	v_add_u32_e32 v2, v2, v82
	v_mbcnt_hi_u32_b32 v7, -1, v85
	v_and_b32_e32 v4, 15, v7
	v_mov_b32_dpp v36, v2 row_shr:1 row_mask:0xf bank_mask:0xf
	v_cmp_eq_u32_e64 s[24:25], 0, v3
	v_mov_b32_dpp v5, v3 row_shr:1 row_mask:0xf bank_mask:0xf
	v_cndmask_b32_e64 v36, 0, v36, s[24:25]
	v_cmp_eq_u32_e64 s[24:25], 0, v4
	v_cndmask_b32_e64 v5, v5, 0, s[24:25]
	v_add_u32_e32 v3, v5, v3
	v_cndmask_b32_e64 v5, v36, 0, s[24:25]
	v_add_u32_e32 v2, v5, v2
	v_cmp_eq_u32_e64 s[24:25], 0, v3
	v_mov_b32_dpp v5, v3 row_shr:2 row_mask:0xf bank_mask:0xf
	v_cmp_lt_u32_e64 s[26:27], 1, v4
	v_mov_b32_dpp v36, v2 row_shr:2 row_mask:0xf bank_mask:0xf
	v_cndmask_b32_e64 v5, 0, v5, s[26:27]
	s_and_b64 s[24:25], s[26:27], s[24:25]
	v_cndmask_b32_e64 v36, 0, v36, s[24:25]
	v_add_u32_e32 v3, v3, v5
	v_add_u32_e32 v2, v36, v2
	v_cmp_eq_u32_e64 s[24:25], 0, v3
	v_mov_b32_dpp v5, v3 row_shr:4 row_mask:0xf bank_mask:0xf
	v_cmp_lt_u32_e64 s[26:27], 3, v4
	v_mov_b32_dpp v36, v2 row_shr:4 row_mask:0xf bank_mask:0xf
	v_cndmask_b32_e64 v5, 0, v5, s[26:27]
	s_and_b64 s[24:25], s[26:27], s[24:25]
	v_cndmask_b32_e64 v36, 0, v36, s[24:25]
	v_add_u32_e32 v3, v5, v3
	v_add_u32_e32 v2, v2, v36
	v_cmp_eq_u32_e64 s[24:25], 0, v3
	v_cmp_lt_u32_e64 s[26:27], 7, v4
	v_mov_b32_dpp v5, v3 row_shr:8 row_mask:0xf bank_mask:0xf
	v_mov_b32_dpp v36, v2 row_shr:8 row_mask:0xf bank_mask:0xf
	s_and_b64 s[24:25], s[26:27], s[24:25]
	v_cndmask_b32_e64 v4, 0, v5, s[26:27]
	v_cndmask_b32_e64 v5, 0, v36, s[24:25]
	v_add_u32_e32 v2, v5, v2
	v_add_u32_e32 v3, v4, v3
	v_bfe_i32 v36, v7, 4, 1
	v_mov_b32_dpp v5, v2 row_bcast:15 row_mask:0xf bank_mask:0xf
	v_mov_b32_dpp v4, v3 row_bcast:15 row_mask:0xf bank_mask:0xf
	v_cmp_eq_u32_e64 s[24:25], 0, v3
	v_cndmask_b32_e64 v5, 0, v5, s[24:25]
	v_and_b32_e32 v4, v36, v4
	v_add_u32_e32 v3, v4, v3
	v_and_b32_e32 v4, v36, v5
	v_add_u32_e32 v4, v4, v2
	v_mov_b32_dpp v2, v3 row_bcast:31 row_mask:0xf bank_mask:0xf
	v_cmp_eq_u32_e64 s[24:25], 0, v3
	v_cmp_lt_u32_e64 s[26:27], 31, v7
	v_mov_b32_dpp v5, v4 row_bcast:31 row_mask:0xf bank_mask:0xf
	v_cndmask_b32_e64 v2, 0, v2, s[26:27]
	s_and_b64 s[24:25], s[26:27], s[24:25]
	v_add_u32_e32 v2, v2, v3
	v_cndmask_b32_e64 v3, 0, v5, s[24:25]
	v_add_u32_e32 v3, v3, v4
	v_cmp_eq_u32_e64 s[24:25], v84, v0
	s_and_saveexec_b64 s[26:27], s[24:25]
	s_cbranch_execz .LBB567_121
; %bb.120:
	v_lshlrev_b32_e32 v4, 3, v83
	ds_write_b64 v4, v[2:3] offset:2064
.LBB567_121:
	s_or_b64 exec, exec, s[26:27]
	v_cmp_gt_u32_e64 s[24:25], 4, v0
	s_waitcnt lgkmcnt(0)
	s_barrier
	s_and_saveexec_b64 s[28:29], s[24:25]
	s_cbranch_execz .LBB567_123
; %bb.122:
	v_lshlrev_b32_e32 v36, 3, v0
	ds_read_b64 v[4:5], v36 offset:2064
	v_and_b32_e32 v37, 3, v7
	v_cmp_lt_u32_e64 s[26:27], 1, v37
	s_waitcnt lgkmcnt(0)
	v_mov_b32_dpp v39, v5 row_shr:1 row_mask:0xf bank_mask:0xf
	v_cmp_eq_u32_e64 s[24:25], 0, v4
	v_mov_b32_dpp v38, v4 row_shr:1 row_mask:0xf bank_mask:0xf
	v_cndmask_b32_e64 v39, 0, v39, s[24:25]
	v_cmp_eq_u32_e64 s[24:25], 0, v37
	v_cndmask_b32_e64 v38, v38, 0, s[24:25]
	v_add_u32_e32 v4, v38, v4
	v_cndmask_b32_e64 v38, v39, 0, s[24:25]
	v_add_u32_e32 v5, v38, v5
	v_cmp_eq_u32_e64 s[24:25], 0, v4
	v_mov_b32_dpp v38, v4 row_shr:2 row_mask:0xf bank_mask:0xf
	v_mov_b32_dpp v39, v5 row_shr:2 row_mask:0xf bank_mask:0xf
	v_cndmask_b32_e64 v37, 0, v38, s[26:27]
	s_and_b64 s[24:25], s[26:27], s[24:25]
	v_add_u32_e32 v4, v37, v4
	v_cndmask_b32_e64 v37, 0, v39, s[24:25]
	v_add_u32_e32 v5, v37, v5
	ds_write_b64 v36, v[4:5] offset:2064
.LBB567_123:
	s_or_b64 exec, exec, s[28:29]
	v_cmp_lt_u32_e64 s[24:25], 63, v0
	v_mov_b32_e32 v36, 0
	v_mov_b32_e32 v4, 0
	s_waitcnt vmcnt(0)
	v_mov_b32_e32 v5, v6
	s_waitcnt lgkmcnt(0)
	s_barrier
	s_and_saveexec_b64 s[26:27], s[24:25]
	s_cbranch_execz .LBB567_125
; %bb.124:
	v_lshlrev_b32_e32 v4, 3, v83
	ds_read_b64 v[4:5], v4 offset:2056
	s_waitcnt lgkmcnt(0)
	v_cmp_eq_u32_e64 s[24:25], 0, v4
	v_cndmask_b32_e64 v37, 0, v6, s[24:25]
	v_add_u32_e32 v5, v37, v5
.LBB567_125:
	s_or_b64 exec, exec, s[26:27]
	v_cmp_eq_u32_e64 s[24:25], 0, v2
	v_add_u32_e32 v37, v4, v2
	v_cndmask_b32_e64 v2, 0, v5, s[24:25]
	v_add_u32_e32 v2, v2, v3
	v_add_u32_e32 v3, -1, v7
	v_and_b32_e32 v38, 64, v7
	v_cmp_lt_i32_e64 s[24:25], v3, v38
	v_cndmask_b32_e64 v3, v3, v7, s[24:25]
	v_lshlrev_b32_e32 v3, 2, v3
	ds_bpermute_b32 v37, v3, v37
	ds_bpermute_b32 v2, v3, v2
	v_cmp_eq_u32_e64 s[24:25], 0, v7
	v_cmp_eq_u32_e64 s[26:27], 0, v81
	s_waitcnt lgkmcnt(1)
	v_cndmask_b32_e64 v3, v37, v4, s[24:25]
	s_waitcnt lgkmcnt(0)
	v_cndmask_b32_e64 v2, v2, v5, s[24:25]
	v_cmp_eq_u32_e64 s[24:25], 0, v0
	v_cndmask_b32_e64 v65, v2, v6, s[24:25]
	v_cndmask_b32_e64 v2, 0, v65, s[26:27]
	v_add_u32_e32 v63, v2, v34
	v_cndmask_b32_e64 v2, 0, v63, s[0:1]
	v_add_u32_e32 v61, v2, v35
	;; [unrolled: 2-line block ×8, first 2 shown]
	v_cndmask_b32_e64 v64, v3, 0, s[24:25]
	v_cndmask_b32_e64 v2, 0, v49, s[14:15]
	v_add_u32_e32 v62, v64, v81
	v_add_u32_e32 v47, v2, v26
	v_add_u32_e32 v60, v62, v79
	v_cndmask_b32_e64 v2, 0, v47, s[16:17]
	v_add_u32_e32 v58, v60, v78
	v_add_u32_e32 v45, v2, v27
	v_add_u32_e32 v56, v58, v77
	;; [unrolled: 4-line block ×3, first 2 shown]
	v_cndmask_b32_e64 v2, 0, v43, s[20:21]
	v_add_u32_e32 v50, v52, v74
	v_add_u32_e32 v41, v2, v25
	ds_read_b64 v[2:3], v36 offset:2088
	v_add_u32_e32 v48, v50, v73
	v_add_u32_e32 v46, v48, v72
	;; [unrolled: 1-line block ×3, first 2 shown]
	v_cndmask_b32_e64 v4, 0, v41, s[22:23]
	v_add_u32_e32 v42, v44, v70
	v_add_u32_e32 v39, v4, v22
	;; [unrolled: 1-line block ×3, first 2 shown]
	v_cndmask_b32_e32 v4, 0, v39, vcc
	s_waitcnt lgkmcnt(0)
	v_cmp_eq_u32_e32 vcc, 0, v2
	v_add_u32_e32 v38, v40, v68
	v_add_u32_e32 v37, v4, v23
	v_cndmask_b32_e32 v4, 0, v6, vcc
	v_add_u32_e32 v36, v38, v67
	v_add_u32_e32 v80, v4, v3
	s_and_saveexec_b64 s[0:1], s[24:25]
	s_cbranch_execz .LBB567_127
; %bb.126:
	s_add_u32 s2, s44, 0x400
	v_and_b32_e32 v3, 0xff000000, v80
	v_and_b32_e32 v4, 0xff0000, v80
	s_addc_u32 s3, s45, 0
	v_or_b32_e32 v3, v4, v3
	v_and_b32_e32 v4, 0xff00, v80
	v_and_b32_e32 v6, 0xff, v80
	v_mov_b32_e32 v5, 0
	v_or3_b32 v3, v3, v4, v6
	v_mov_b32_e32 v4, 2
	v_pk_mov_b32 v[6:7], s[2:3], s[2:3] op_sel:[0,1]
	;;#ASMSTART
	global_store_dwordx4 v[6:7], v[2:5] off	
s_waitcnt vmcnt(0)
	;;#ASMEND
.LBB567_127:
	s_or_b64 exec, exec, s[0:1]
	v_mov_b32_e32 v4, 0
.LBB567_128:
	s_and_b64 s[0:1], s[38:39], exec
	s_cselect_b32 s1, 0, s59
	s_cselect_b32 s0, 0, s58
	s_cmp_eq_u64 s[0:1], 0
	v_pk_mov_b32 v[6:7], 0, 0
	s_barrier
	s_cbranch_scc1 .LBB567_130
; %bb.129:
	v_mov_b32_e32 v3, 0
	global_load_dwordx2 v[6:7], v3, s[0:1]
.LBB567_130:
	s_waitcnt vmcnt(0)
	v_lshlrev_b64 v[22:23], 2, v[6:7]
	v_mov_b32_e32 v3, s43
	v_add_co_u32_e32 v26, vcc, s42, v22
	v_mov_b32_e32 v5, 0
	v_addc_co_u32_e32 v27, vcc, v3, v23, vcc
	v_lshlrev_b64 v[24:25], 2, v[4:5]
	v_add_co_u32_e32 v3, vcc, v26, v24
	v_addc_co_u32_e32 v5, vcc, v27, v25, vcc
	v_cmp_eq_u32_e32 vcc, 0, v81
	v_cndmask_b32_e64 v26, 1, 2, vcc
	v_cmp_eq_u32_e32 vcc, 0, v79
	v_cndmask_b32_e64 v27, 1, 2, vcc
	v_cmp_eq_u32_e32 vcc, 0, v78
	v_and_b32_e32 v26, v27, v26
	v_cndmask_b32_e64 v27, 1, 2, vcc
	v_cmp_eq_u32_e32 vcc, 0, v77
	v_and_b32_e32 v26, v26, v27
	;; [unrolled: 3-line block ×13, first 2 shown]
	v_cndmask_b32_e64 v27, 1, 2, vcc
	s_movk_i32 s30, 0x100
	v_and_b32_e32 v26, v26, v27
	v_cmp_gt_u32_e32 vcc, s30, v2
	v_cmp_ne_u32_e64 s[28:29], 0, v81
	v_cmp_ne_u32_e64 s[26:27], 0, v79
	;; [unrolled: 1-line block ×15, first 2 shown]
	s_mov_b64 s[38:39], -1
	v_cmp_gt_i16_e64 s[30:31], 2, v26
	s_cbranch_vccz .LBB567_137
; %bb.131:
	s_and_saveexec_b64 s[38:39], s[30:31]
	s_cbranch_execz .LBB567_136
; %bb.132:
	v_cmp_ne_u16_e32 vcc, 1, v26
	s_mov_b64 s[40:41], 0
	s_and_saveexec_b64 s[30:31], vcc
	s_xor_b64 s[30:31], exec, s[30:31]
	s_cbranch_execnz .LBB567_193
; %bb.133:
	s_andn2_saveexec_b64 s[30:31], s[30:31]
	s_cbranch_execnz .LBB567_209
.LBB567_134:
	s_or_b64 exec, exec, s[30:31]
	s_and_b64 exec, exec, s[40:41]
	s_cbranch_execz .LBB567_136
.LBB567_135:
	v_sub_u32_e32 v28, v36, v4
	v_mov_b32_e32 v29, 0
	v_lshlrev_b64 v[28:29], 2, v[28:29]
	v_add_co_u32_e32 v28, vcc, v3, v28
	v_addc_co_u32_e32 v29, vcc, v5, v29, vcc
	global_store_dword v[28:29], v1, off
.LBB567_136:
	s_or_b64 exec, exec, s[38:39]
	s_mov_b64 s[38:39], 0
.LBB567_137:
	s_and_b64 vcc, exec, s[38:39]
	s_cbranch_vccz .LBB567_159
; %bb.138:
	v_cmp_gt_i16_e32 vcc, 2, v26
	s_and_saveexec_b64 s[30:31], vcc
	s_cbranch_execz .LBB567_143
; %bb.139:
	v_cmp_ne_u16_e32 vcc, 1, v26
	s_mov_b64 s[40:41], 0
	s_and_saveexec_b64 s[38:39], vcc
	s_xor_b64 s[38:39], exec, s[38:39]
	s_cbranch_execnz .LBB567_210
; %bb.140:
	s_andn2_saveexec_b64 s[0:1], s[38:39]
	s_cbranch_execnz .LBB567_226
.LBB567_141:
	s_or_b64 exec, exec, s[0:1]
	s_and_b64 exec, exec, s[40:41]
	s_cbranch_execz .LBB567_143
.LBB567_142:
	v_sub_u32_e32 v8, v36, v4
	v_lshlrev_b32_e32 v8, 2, v8
	ds_write_b32 v8, v1
.LBB567_143:
	s_or_b64 exec, exec, s[30:31]
	v_cmp_lt_u32_e32 vcc, v0, v2
	s_waitcnt lgkmcnt(0)
	s_barrier
	s_and_saveexec_b64 s[2:3], vcc
	s_cbranch_execz .LBB567_158
; %bb.144:
	v_xad_u32 v1, v0, -1, v2
	s_movk_i32 s0, 0x1700
	v_cmp_gt_u32_e64 s[4:5], s0, v1
	s_movk_i32 s0, 0x16ff
	v_cmp_lt_u32_e32 vcc, s0, v1
	v_mov_b32_e32 v8, v0
	s_and_saveexec_b64 s[6:7], vcc
	s_cbranch_execz .LBB567_155
; %bb.145:
	v_sub_u32_e32 v8, v0, v2
	v_or_b32_e32 v8, 0xff, v8
	v_cmp_ge_u32_e32 vcc, v8, v0
	s_mov_b64 s[0:1], -1
	v_mov_b32_e32 v8, v0
	s_and_saveexec_b64 s[8:9], vcc
	s_cbranch_execz .LBB567_154
; %bb.146:
	v_lshrrev_b32_e32 v12, 8, v1
	v_add_u32_e32 v8, -1, v12
	v_or_b32_e32 v1, 0x100, v0
	v_lshrrev_b32_e32 v9, 1, v8
	v_add_u32_e32 v13, 1, v9
	v_cmp_lt_u32_e32 vcc, 13, v8
	v_mov_b32_e32 v16, 0
	v_pk_mov_b32 v[8:9], v[0:1], v[0:1] op_sel:[0,1]
	s_and_saveexec_b64 s[10:11], vcc
	s_cbranch_execz .LBB567_150
; %bb.147:
	v_and_b32_e32 v14, -8, v13
	v_lshlrev_b32_e32 v15, 2, v0
	s_mov_b32 s14, 0
	s_mov_b64 s[12:13], 0
	v_mov_b32_e32 v11, 0
	v_pk_mov_b32 v[8:9], v[0:1], v[0:1] op_sel:[0,1]
.LBB567_148:                            ; =>This Inner Loop Header: Depth=1
	v_mov_b32_e32 v10, v8
	v_add_u32_e32 v14, -8, v14
	v_lshlrev_b64 v[96:97], 2, v[10:11]
	v_mov_b32_e32 v10, v9
	ds_read2st64_b32 v[18:19], v15 offset1:4
	s_add_i32 s14, s14, 16
	v_cmp_eq_u32_e32 vcc, 0, v14
	v_lshlrev_b64 v[100:101], 2, v[10:11]
	v_add_u32_e32 v10, 0x200, v8
	s_or_b64 s[12:13], vcc, s[12:13]
	v_add_co_u32_e32 v100, vcc, v3, v100
	v_add_u32_e32 v16, 0x200, v9
	v_mov_b32_e32 v17, v11
	ds_read2st64_b32 v[20:21], v15 offset0:8 offset1:12
	ds_read2st64_b32 v[28:29], v15 offset0:16 offset1:20
	v_add_co_u32_e64 v96, s[0:1], v3, v96
	v_addc_co_u32_e32 v101, vcc, v5, v101, vcc
	v_lshlrev_b64 v[102:103], 2, v[10:11]
	v_lshlrev_b64 v[98:99], 2, v[16:17]
	v_addc_co_u32_e64 v97, s[0:1], v5, v97, s[0:1]
	v_add_u32_e32 v10, 0x400, v8
	v_add_co_u32_e32 v102, vcc, v3, v102
	v_add_u32_e32 v26, 0x400, v9
	v_mov_b32_e32 v27, v11
	ds_read2st64_b32 v[32:33], v15 offset0:24 offset1:28
	v_add_co_u32_e64 v98, s[0:1], v3, v98
	v_addc_co_u32_e32 v103, vcc, v5, v103, vcc
	v_lshlrev_b64 v[104:105], 2, v[10:11]
	ds_read2st64_b32 v[82:83], v15 offset0:32 offset1:36
	ds_read2st64_b32 v[86:87], v15 offset0:40 offset1:44
	;; [unrolled: 1-line block ×4, first 2 shown]
	v_lshlrev_b64 v[26:27], 2, v[26:27]
	v_addc_co_u32_e64 v99, s[0:1], v5, v99, s[0:1]
	v_add_u32_e32 v10, 0x600, v8
	s_waitcnt lgkmcnt(7)
	global_store_dword v[96:97], v18, off
	global_store_dword v[100:101], v19, off
	s_waitcnt lgkmcnt(6)
	global_store_dword v[102:103], v20, off
	global_store_dword v[98:99], v21, off
	v_add_co_u32_e32 v18, vcc, v3, v104
	v_add_u32_e32 v30, 0x600, v9
	v_mov_b32_e32 v31, v11
	v_add_co_u32_e64 v26, s[0:1], v3, v26
	v_addc_co_u32_e32 v19, vcc, v5, v105, vcc
	v_lshlrev_b64 v[20:21], 2, v[10:11]
	v_lshlrev_b64 v[30:31], 2, v[30:31]
	v_addc_co_u32_e64 v27, s[0:1], v5, v27, s[0:1]
	v_add_u32_e32 v10, 0x800, v8
	s_waitcnt lgkmcnt(5)
	global_store_dword v[18:19], v28, off
	global_store_dword v[26:27], v29, off
	v_add_co_u32_e32 v18, vcc, v3, v20
	v_add_u32_e32 v34, 0x800, v9
	v_mov_b32_e32 v35, v11
	v_add_co_u32_e64 v30, s[0:1], v3, v30
	v_addc_co_u32_e32 v19, vcc, v5, v21, vcc
	v_lshlrev_b64 v[20:21], 2, v[10:11]
	v_lshlrev_b64 v[34:35], 2, v[34:35]
	v_addc_co_u32_e64 v31, s[0:1], v5, v31, s[0:1]
	v_add_u32_e32 v10, 0xa00, v8
	;; [unrolled: 12-line block ×4, first 2 shown]
	s_waitcnt lgkmcnt(2)
	global_store_dword v[18:19], v86, off
	global_store_dword v[84:85], v87, off
	v_add_co_u32_e32 v18, vcc, v3, v20
	v_add_u32_e32 v92, 0xe00, v9
	v_mov_b32_e32 v93, v11
	v_add_co_u32_e64 v88, s[0:1], v3, v88
	v_addc_co_u32_e32 v19, vcc, v5, v21, vcc
	v_lshlrev_b64 v[20:21], 2, v[10:11]
	v_lshlrev_b64 v[92:93], 2, v[92:93]
	v_addc_co_u32_e64 v89, s[0:1], v5, v89, s[0:1]
	s_waitcnt lgkmcnt(1)
	global_store_dword v[18:19], v90, off
	global_store_dword v[88:89], v91, off
	v_add_co_u32_e32 v18, vcc, v3, v20
	v_add_u32_e32 v15, 0x4000, v15
	v_add_u32_e32 v9, 0x1000, v9
	v_mov_b32_e32 v16, s14
	v_add_co_u32_e64 v92, s[0:1], v3, v92
	v_add_u32_e32 v8, 0x1000, v8
	v_addc_co_u32_e32 v19, vcc, v5, v21, vcc
	v_addc_co_u32_e64 v93, s[0:1], v5, v93, s[0:1]
	s_waitcnt lgkmcnt(0)
	global_store_dword v[18:19], v94, off
	global_store_dword v[92:93], v95, off
	s_andn2_b64 exec, exec, s[12:13]
	s_cbranch_execnz .LBB567_148
; %bb.149:
	s_or_b64 exec, exec, s[12:13]
.LBB567_150:
	s_or_b64 exec, exec, s[10:11]
	v_and_b32_e32 v1, 7, v13
	v_cmp_ne_u32_e32 vcc, 0, v1
	s_and_saveexec_b64 s[10:11], vcc
	s_cbranch_execz .LBB567_153
; %bb.151:
	v_lshlrev_b32_e32 v10, 2, v0
	v_lshl_or_b32 v13, v16, 10, v10
	s_mov_b64 s[12:13], 0
	v_mov_b32_e32 v11, 0
.LBB567_152:                            ; =>This Inner Loop Header: Depth=1
	ds_read2st64_b32 v[14:15], v13 offset1:4
	v_mov_b32_e32 v10, v8
	v_add_u32_e32 v1, -1, v1
	v_lshlrev_b64 v[16:17], 2, v[10:11]
	v_mov_b32_e32 v10, v9
	v_cmp_eq_u32_e32 vcc, 0, v1
	v_add_co_u32_e64 v16, s[0:1], v3, v16
	v_lshlrev_b64 v[18:19], 2, v[10:11]
	v_add_u32_e32 v8, 0x200, v8
	v_add_u32_e32 v13, 0x800, v13
	;; [unrolled: 1-line block ×3, first 2 shown]
	v_addc_co_u32_e64 v17, s[0:1], v5, v17, s[0:1]
	s_or_b64 s[12:13], vcc, s[12:13]
	v_add_co_u32_e32 v18, vcc, v3, v18
	v_addc_co_u32_e32 v19, vcc, v5, v19, vcc
	s_waitcnt lgkmcnt(0)
	global_store_dword v[16:17], v14, off
	global_store_dword v[18:19], v15, off
	s_andn2_b64 exec, exec, s[12:13]
	s_cbranch_execnz .LBB567_152
.LBB567_153:
	s_or_b64 exec, exec, s[10:11]
	v_add_u32_e32 v1, 1, v12
	v_and_b32_e32 v9, 0x1fffffe, v1
	v_cmp_ne_u32_e32 vcc, v1, v9
	v_lshl_or_b32 v8, v9, 8, v0
	s_orn2_b64 s[0:1], vcc, exec
.LBB567_154:
	s_or_b64 exec, exec, s[8:9]
	s_andn2_b64 s[4:5], s[4:5], exec
	s_and_b64 s[0:1], s[0:1], exec
	s_or_b64 s[4:5], s[4:5], s[0:1]
.LBB567_155:
	s_or_b64 exec, exec, s[6:7]
	s_and_b64 exec, exec, s[4:5]
	s_cbranch_execz .LBB567_158
; %bb.156:
	v_lshlrev_b32_e32 v1, 2, v8
	s_mov_b64 s[0:1], 0
	v_mov_b32_e32 v9, 0
.LBB567_157:                            ; =>This Inner Loop Header: Depth=1
	v_lshlrev_b64 v[10:11], 2, v[8:9]
	ds_read_b32 v12, v1
	v_add_co_u32_e32 v10, vcc, v3, v10
	v_add_u32_e32 v8, 0x100, v8
	v_addc_co_u32_e32 v11, vcc, v5, v11, vcc
	v_cmp_ge_u32_e32 vcc, v8, v2
	v_add_u32_e32 v1, 0x400, v1
	s_or_b64 s[0:1], vcc, s[0:1]
	s_waitcnt lgkmcnt(0)
	global_store_dword v[10:11], v12, off
	s_andn2_b64 exec, exec, s[0:1]
	s_cbranch_execnz .LBB567_157
.LBB567_158:
	s_or_b64 exec, exec, s[2:3]
.LBB567_159:
	s_cmpk_lg_i32 s33, 0xf00
	s_cselect_b64 s[0:1], -1, 0
	s_and_b64 s[0:1], s[34:35], s[0:1]
	v_cmp_eq_u32_e32 vcc, 0, v0
	v_cndmask_b32_e64 v8, 0, 1, s[0:1]
	s_and_b64 s[0:1], vcc, s[36:37]
	v_cndmask_b32_e64 v5, v81, 0, s[0:1]
	s_mul_hi_u32 s0, s33, 0x88888889
	s_lshr_b32 s0, s0, 3
	v_mad_i32_i24 v9, v0, -15, s33
	v_cmp_eq_u32_e32 vcc, s0, v0
	v_cmp_ne_u32_e64 s[0:1], 0, v9
	v_cndmask_b32_e64 v10, 1, v5, s[0:1]
	v_cmp_ne_u32_e64 s[0:1], 1, v9
	v_cndmask_b32_e64 v11, 1, v79, s[0:1]
	;; [unrolled: 2-line block ×15, first 2 shown]
	s_and_b64 vcc, s[34:35], vcc
	v_cndmask_b32_e32 v28, v66, v9, vcc
	v_cndmask_b32_e32 v27, v67, v27, vcc
	;; [unrolled: 1-line block ×15, first 2 shown]
	v_mov_b32_e32 v5, s53
	v_add_co_u32_e32 v9, vcc, s52, v22
	v_addc_co_u32_e32 v12, vcc, v5, v23, vcc
	v_cndmask_b32_e64 v1, 0, 1, s[36:37]
	v_add_co_u32_e32 v5, vcc, v9, v24
	v_addc_co_u32_e32 v12, vcc, v12, v25, vcc
	v_lshlrev_b32_e32 v9, 2, v1
	v_add_co_u32_e32 v9, vcc, v9, v5
	v_addc_co_u32_e32 v14, vcc, 0, v12, vcc
	v_add_co_u32_e32 v13, vcc, -4, v9
	v_addc_co_u32_e32 v14, vcc, -1, v14, vcc
	v_cmp_eq_u32_e32 vcc, 0, v10
	v_cmp_ne_u32_e64 s[28:29], 0, v10
	v_cndmask_b32_e64 v10, 1, 2, vcc
	v_cmp_eq_u32_e32 vcc, 0, v11
	v_cmp_ne_u32_e64 s[26:27], 0, v11
	v_cndmask_b32_e64 v11, 1, 2, vcc
	v_cmp_eq_u32_e32 vcc, 0, v31
	v_and_b32_e32 v10, v11, v10
	v_cndmask_b32_e64 v11, 1, 2, vcc
	v_cmp_eq_u32_e32 vcc, 0, v30
	v_and_b32_e32 v10, v10, v11
	;; [unrolled: 3-line block ×11, first 2 shown]
	v_cndmask_b32_e64 v11, 1, 2, vcc
	v_cmp_eq_u32_e32 vcc, 0, v27
	v_sub_u32_e32 v3, v2, v1
	v_and_b32_e32 v10, v10, v11
	v_cndmask_b32_e64 v11, 1, 2, vcc
	v_cmp_eq_u32_e32 vcc, 0, v28
	v_add_u32_e32 v3, v3, v8
	v_and_b32_e32 v10, v10, v11
	v_cndmask_b32_e64 v11, 1, 2, vcc
	s_movk_i32 s30, 0x100
	v_and_b32_e32 v10, v10, v11
	v_cmp_gt_u32_e32 vcc, s30, v3
	v_add_u32_e32 v9, v4, v1
	v_cmp_ne_u32_e64 s[24:25], 0, v31
	v_cmp_ne_u32_e64 s[22:23], 0, v30
	;; [unrolled: 1-line block ×13, first 2 shown]
	s_mov_b64 s[36:37], -1
	v_cmp_gt_i16_e64 s[30:31], 2, v10
	s_barrier
	s_cbranch_vccz .LBB567_166
; %bb.160:
	s_and_saveexec_b64 s[36:37], s[30:31]
	s_cbranch_execz .LBB567_165
; %bb.161:
	v_cmp_ne_u16_e32 vcc, 1, v10
	s_mov_b64 s[38:39], 0
	s_and_saveexec_b64 s[30:31], vcc
	s_xor_b64 s[30:31], exec, s[30:31]
	s_cbranch_execnz .LBB567_227
; %bb.162:
	s_andn2_saveexec_b64 s[30:31], s[30:31]
	s_cbranch_execnz .LBB567_243
.LBB567_163:
	s_or_b64 exec, exec, s[30:31]
	s_and_b64 exec, exec, s[38:39]
	s_cbranch_execz .LBB567_165
.LBB567_164:
	v_sub_u32_e32 v16, v36, v9
	v_mov_b32_e32 v17, 0
	v_lshlrev_b64 v[16:17], 2, v[16:17]
	v_add_co_u32_e32 v16, vcc, v13, v16
	v_addc_co_u32_e32 v17, vcc, v14, v17, vcc
	global_store_dword v[16:17], v37, off
.LBB567_165:
	s_or_b64 exec, exec, s[36:37]
	s_mov_b64 s[36:37], 0
.LBB567_166:
	s_and_b64 vcc, exec, s[36:37]
	s_cbranch_vccz .LBB567_188
; %bb.167:
	v_cmp_gt_i16_e32 vcc, 2, v10
	s_and_saveexec_b64 s[30:31], vcc
	s_cbranch_execz .LBB567_172
; %bb.168:
	v_cmp_ne_u16_e32 vcc, 1, v10
	s_mov_b64 s[38:39], 0
	s_and_saveexec_b64 s[36:37], vcc
	s_xor_b64 s[36:37], exec, s[36:37]
	s_cbranch_execnz .LBB567_244
; %bb.169:
	s_andn2_saveexec_b64 s[0:1], s[36:37]
	s_cbranch_execnz .LBB567_260
.LBB567_170:
	s_or_b64 exec, exec, s[0:1]
	s_and_b64 exec, exec, s[38:39]
	s_cbranch_execz .LBB567_172
.LBB567_171:
	v_sub_u32_e32 v9, v36, v9
	v_lshlrev_b32_e32 v9, 2, v9
	ds_write_b32 v9, v37
.LBB567_172:
	s_or_b64 exec, exec, s[30:31]
	v_cmp_lt_u32_e32 vcc, v0, v3
	s_waitcnt lgkmcnt(0)
	s_barrier
	s_and_saveexec_b64 s[2:3], vcc
	s_cbranch_execz .LBB567_187
; %bb.173:
	v_add_u32_e32 v10, v2, v8
	v_xad_u32 v8, v0, -1, v10
	v_sub_u32_e32 v9, v8, v1
	s_movk_i32 s0, 0x1900
	v_cmp_gt_u32_e64 s[4:5], s0, v9
	s_movk_i32 s0, 0x18ff
	v_cmp_lt_u32_e32 vcc, s0, v9
	v_mov_b32_e32 v8, v0
	s_and_saveexec_b64 s[6:7], vcc
	s_cbranch_execz .LBB567_184
; %bb.174:
	v_sub_u32_e32 v8, v0, v10
	v_add_u32_e32 v1, v8, v1
	v_or_b32_e32 v1, 0xff, v1
	v_cmp_ge_u32_e32 vcc, v1, v0
	s_mov_b64 s[0:1], -1
	v_mov_b32_e32 v8, v0
	s_and_saveexec_b64 s[8:9], vcc
	s_cbranch_execz .LBB567_183
; %bb.175:
	v_lshrrev_b32_e32 v15, 8, v9
	v_add_u32_e32 v8, -1, v15
	v_or_b32_e32 v1, 0x100, v0
	v_lshrrev_b32_e32 v9, 1, v8
	v_add_u32_e32 v17, 1, v9
	v_cmp_lt_u32_e32 vcc, 13, v8
	v_mov_b32_e32 v20, 0
	v_lshlrev_b32_e32 v16, 2, v0
	v_pk_mov_b32 v[8:9], v[0:1], v[0:1] op_sel:[0,1]
	s_and_saveexec_b64 s[10:11], vcc
	s_cbranch_execz .LBB567_179
; %bb.176:
	v_and_b32_e32 v18, -8, v17
	s_mov_b32 s14, 0
	s_mov_b64 s[12:13], 0
	v_mov_b32_e32 v11, 0
	v_mov_b32_e32 v19, v16
	v_pk_mov_b32 v[8:9], v[0:1], v[0:1] op_sel:[0,1]
.LBB567_177:                            ; =>This Inner Loop Header: Depth=1
	v_mov_b32_e32 v10, v8
	v_add_u32_e32 v18, -8, v18
	v_lshlrev_b64 v[50:51], 2, v[10:11]
	v_mov_b32_e32 v10, v9
	ds_read2st64_b32 v[22:23], v19 offset1:4
	s_add_i32 s14, s14, 16
	v_cmp_eq_u32_e32 vcc, 0, v18
	v_lshlrev_b64 v[54:55], 2, v[10:11]
	v_add_u32_e32 v10, 0x200, v8
	s_or_b64 s[12:13], vcc, s[12:13]
	v_add_co_u32_e32 v54, vcc, v13, v54
	v_add_u32_e32 v20, 0x200, v9
	v_mov_b32_e32 v21, v11
	ds_read2st64_b32 v[24:25], v19 offset0:8 offset1:12
	ds_read2st64_b32 v[28:29], v19 offset0:16 offset1:20
	v_add_co_u32_e64 v50, s[0:1], v13, v50
	v_addc_co_u32_e32 v55, vcc, v14, v55, vcc
	v_lshlrev_b64 v[56:57], 2, v[10:11]
	v_lshlrev_b64 v[52:53], 2, v[20:21]
	v_addc_co_u32_e64 v51, s[0:1], v14, v51, s[0:1]
	v_add_u32_e32 v10, 0x400, v8
	v_add_co_u32_e32 v56, vcc, v13, v56
	v_add_u32_e32 v26, 0x400, v9
	v_mov_b32_e32 v27, v11
	ds_read2st64_b32 v[32:33], v19 offset0:24 offset1:28
	v_add_co_u32_e64 v52, s[0:1], v13, v52
	v_addc_co_u32_e32 v57, vcc, v14, v57, vcc
	v_lshlrev_b64 v[58:59], 2, v[10:11]
	ds_read2st64_b32 v[36:37], v19 offset0:32 offset1:36
	ds_read2st64_b32 v[40:41], v19 offset0:40 offset1:44
	;; [unrolled: 1-line block ×4, first 2 shown]
	v_lshlrev_b64 v[26:27], 2, v[26:27]
	v_addc_co_u32_e64 v53, s[0:1], v14, v53, s[0:1]
	v_add_u32_e32 v10, 0x600, v8
	s_waitcnt lgkmcnt(7)
	global_store_dword v[50:51], v22, off
	global_store_dword v[54:55], v23, off
	s_waitcnt lgkmcnt(6)
	global_store_dword v[56:57], v24, off
	global_store_dword v[52:53], v25, off
	v_add_co_u32_e32 v22, vcc, v13, v58
	v_add_u32_e32 v30, 0x600, v9
	v_mov_b32_e32 v31, v11
	v_add_co_u32_e64 v26, s[0:1], v13, v26
	v_addc_co_u32_e32 v23, vcc, v14, v59, vcc
	v_lshlrev_b64 v[24:25], 2, v[10:11]
	v_lshlrev_b64 v[30:31], 2, v[30:31]
	v_addc_co_u32_e64 v27, s[0:1], v14, v27, s[0:1]
	v_add_u32_e32 v10, 0x800, v8
	s_waitcnt lgkmcnt(5)
	global_store_dword v[22:23], v28, off
	global_store_dword v[26:27], v29, off
	v_add_co_u32_e32 v22, vcc, v13, v24
	v_add_u32_e32 v34, 0x800, v9
	v_mov_b32_e32 v35, v11
	v_add_co_u32_e64 v30, s[0:1], v13, v30
	v_addc_co_u32_e32 v23, vcc, v14, v25, vcc
	v_lshlrev_b64 v[24:25], 2, v[10:11]
	v_lshlrev_b64 v[34:35], 2, v[34:35]
	v_addc_co_u32_e64 v31, s[0:1], v14, v31, s[0:1]
	v_add_u32_e32 v10, 0xa00, v8
	;; [unrolled: 12-line block ×4, first 2 shown]
	s_waitcnt lgkmcnt(2)
	global_store_dword v[22:23], v40, off
	global_store_dword v[38:39], v41, off
	v_add_co_u32_e32 v22, vcc, v13, v24
	v_add_u32_e32 v46, 0xe00, v9
	v_mov_b32_e32 v47, v11
	v_add_co_u32_e64 v42, s[0:1], v13, v42
	v_addc_co_u32_e32 v23, vcc, v14, v25, vcc
	v_lshlrev_b64 v[24:25], 2, v[10:11]
	v_lshlrev_b64 v[46:47], 2, v[46:47]
	v_addc_co_u32_e64 v43, s[0:1], v14, v43, s[0:1]
	s_waitcnt lgkmcnt(1)
	global_store_dword v[22:23], v44, off
	global_store_dword v[42:43], v45, off
	v_add_co_u32_e32 v22, vcc, v13, v24
	v_add_u32_e32 v19, 0x4000, v19
	v_add_u32_e32 v9, 0x1000, v9
	v_mov_b32_e32 v20, s14
	v_add_co_u32_e64 v46, s[0:1], v13, v46
	v_add_u32_e32 v8, 0x1000, v8
	v_addc_co_u32_e32 v23, vcc, v14, v25, vcc
	v_addc_co_u32_e64 v47, s[0:1], v14, v47, s[0:1]
	s_waitcnt lgkmcnt(0)
	global_store_dword v[22:23], v48, off
	global_store_dword v[46:47], v49, off
	s_andn2_b64 exec, exec, s[12:13]
	s_cbranch_execnz .LBB567_177
; %bb.178:
	s_or_b64 exec, exec, s[12:13]
.LBB567_179:
	s_or_b64 exec, exec, s[10:11]
	v_and_b32_e32 v1, 7, v17
	v_cmp_ne_u32_e32 vcc, 0, v1
	s_and_saveexec_b64 s[10:11], vcc
	s_cbranch_execz .LBB567_182
; %bb.180:
	v_lshl_or_b32 v16, v20, 10, v16
	s_mov_b64 s[12:13], 0
	v_mov_b32_e32 v11, 0
.LBB567_181:                            ; =>This Inner Loop Header: Depth=1
	ds_read2st64_b32 v[18:19], v16 offset1:4
	v_mov_b32_e32 v10, v8
	v_add_u32_e32 v1, -1, v1
	v_lshlrev_b64 v[20:21], 2, v[10:11]
	v_mov_b32_e32 v10, v9
	v_cmp_eq_u32_e32 vcc, 0, v1
	v_add_co_u32_e64 v20, s[0:1], v13, v20
	v_lshlrev_b64 v[22:23], 2, v[10:11]
	v_add_u32_e32 v8, 0x200, v8
	v_add_u32_e32 v16, 0x800, v16
	;; [unrolled: 1-line block ×3, first 2 shown]
	v_addc_co_u32_e64 v21, s[0:1], v14, v21, s[0:1]
	s_or_b64 s[12:13], vcc, s[12:13]
	v_add_co_u32_e32 v22, vcc, v13, v22
	v_addc_co_u32_e32 v23, vcc, v14, v23, vcc
	s_waitcnt lgkmcnt(0)
	global_store_dword v[20:21], v18, off
	global_store_dword v[22:23], v19, off
	s_andn2_b64 exec, exec, s[12:13]
	s_cbranch_execnz .LBB567_181
.LBB567_182:
	s_or_b64 exec, exec, s[10:11]
	v_add_u32_e32 v1, 1, v15
	v_and_b32_e32 v9, 0x1fffffe, v1
	v_cmp_ne_u32_e32 vcc, v1, v9
	v_lshl_or_b32 v8, v9, 8, v0
	s_orn2_b64 s[0:1], vcc, exec
.LBB567_183:
	s_or_b64 exec, exec, s[8:9]
	s_andn2_b64 s[4:5], s[4:5], exec
	s_and_b64 s[0:1], s[0:1], exec
	s_or_b64 s[4:5], s[4:5], s[0:1]
.LBB567_184:
	s_or_b64 exec, exec, s[6:7]
	s_and_b64 exec, exec, s[4:5]
	s_cbranch_execz .LBB567_187
; %bb.185:
	v_lshlrev_b32_e32 v1, 2, v8
	s_mov_b64 s[0:1], 0
	v_mov_b32_e32 v9, 0
.LBB567_186:                            ; =>This Inner Loop Header: Depth=1
	v_lshlrev_b64 v[10:11], 2, v[8:9]
	ds_read_b32 v15, v1
	v_add_co_u32_e32 v10, vcc, v13, v10
	v_add_u32_e32 v8, 0x100, v8
	v_addc_co_u32_e32 v11, vcc, v14, v11, vcc
	v_cmp_ge_u32_e32 vcc, v8, v3
	v_add_u32_e32 v1, 0x400, v1
	s_or_b64 s[0:1], vcc, s[0:1]
	s_waitcnt lgkmcnt(0)
	global_store_dword v[10:11], v15, off
	s_andn2_b64 exec, exec, s[0:1]
	s_cbranch_execnz .LBB567_186
.LBB567_187:
	s_or_b64 exec, exec, s[2:3]
.LBB567_188:
	s_movk_i32 s0, 0xff
	v_cmp_eq_u32_e32 vcc, s0, v0
	s_and_b64 s[0:1], vcc, s[34:35]
	s_and_saveexec_b64 s[2:3], s[0:1]
	s_cbranch_execz .LBB567_191
; %bb.189:
	v_add_co_u32_e32 v0, vcc, v2, v4
	v_addc_co_u32_e64 v1, s[0:1], 0, 0, vcc
	v_add_co_u32_e32 v0, vcc, v0, v6
	v_mov_b32_e32 v3, 0
	v_addc_co_u32_e32 v1, vcc, v1, v7, vcc
	s_cmpk_lg_i32 s33, 0xf00
	global_store_dwordx2 v3, v[0:1], s[54:55]
	s_cbranch_scc1 .LBB567_191
; %bb.190:
	v_lshlrev_b64 v[0:1], 2, v[2:3]
	v_add_co_u32_e32 v0, vcc, v5, v0
	v_addc_co_u32_e32 v1, vcc, v12, v1, vcc
	global_store_dword v[0:1], v80, off offset:-4
.LBB567_191:
	s_endpgm
.LBB567_192:
	s_or_b64 exec, exec, s[4:5]
	v_mov_b32_e32 v81, s10
	s_and_saveexec_b64 s[4:5], s[2:3]
	s_cbranch_execnz .LBB567_84
	s_branch .LBB567_85
.LBB567_193:
	s_and_saveexec_b64 s[40:41], s[28:29]
	s_cbranch_execnz .LBB567_261
; %bb.194:
	s_or_b64 exec, exec, s[40:41]
	s_and_saveexec_b64 s[40:41], s[26:27]
	s_cbranch_execnz .LBB567_262
.LBB567_195:
	s_or_b64 exec, exec, s[40:41]
	s_and_saveexec_b64 s[40:41], s[24:25]
	s_cbranch_execnz .LBB567_263
.LBB567_196:
	s_or_b64 exec, exec, s[40:41]
	s_and_saveexec_b64 s[40:41], s[22:23]
	s_cbranch_execnz .LBB567_264
.LBB567_197:
	s_or_b64 exec, exec, s[40:41]
	s_and_saveexec_b64 s[40:41], s[20:21]
	s_cbranch_execnz .LBB567_265
.LBB567_198:
	s_or_b64 exec, exec, s[40:41]
	s_and_saveexec_b64 s[40:41], s[18:19]
	s_cbranch_execnz .LBB567_266
.LBB567_199:
	s_or_b64 exec, exec, s[40:41]
	s_and_saveexec_b64 s[40:41], s[16:17]
	s_cbranch_execnz .LBB567_267
.LBB567_200:
	s_or_b64 exec, exec, s[40:41]
	s_and_saveexec_b64 s[40:41], s[14:15]
	s_cbranch_execnz .LBB567_268
.LBB567_201:
	s_or_b64 exec, exec, s[40:41]
	s_and_saveexec_b64 s[40:41], s[12:13]
	s_cbranch_execnz .LBB567_269
.LBB567_202:
	s_or_b64 exec, exec, s[40:41]
	s_and_saveexec_b64 s[40:41], s[10:11]
	s_cbranch_execnz .LBB567_270
.LBB567_203:
	s_or_b64 exec, exec, s[40:41]
	s_and_saveexec_b64 s[40:41], s[8:9]
	s_cbranch_execnz .LBB567_271
.LBB567_204:
	s_or_b64 exec, exec, s[40:41]
	s_and_saveexec_b64 s[40:41], s[6:7]
	s_cbranch_execnz .LBB567_272
.LBB567_205:
	s_or_b64 exec, exec, s[40:41]
	s_and_saveexec_b64 s[40:41], s[4:5]
	s_cbranch_execnz .LBB567_273
.LBB567_206:
	s_or_b64 exec, exec, s[40:41]
	s_and_saveexec_b64 s[40:41], s[2:3]
	s_cbranch_execz .LBB567_208
.LBB567_207:
	v_sub_u32_e32 v28, v38, v4
	v_mov_b32_e32 v29, 0
	v_lshlrev_b64 v[28:29], 2, v[28:29]
	v_add_co_u32_e32 v28, vcc, v3, v28
	v_addc_co_u32_e32 v29, vcc, v5, v29, vcc
	global_store_dword v[28:29], v9, off
.LBB567_208:
	s_or_b64 exec, exec, s[40:41]
	s_and_b64 s[40:41], s[0:1], exec
	s_andn2_saveexec_b64 s[30:31], s[30:31]
	s_cbranch_execz .LBB567_134
.LBB567_209:
	v_sub_u32_e32 v28, v64, v4
	v_mov_b32_e32 v29, 0
	v_lshlrev_b64 v[30:31], 2, v[28:29]
	v_add_co_u32_e32 v30, vcc, v3, v30
	v_addc_co_u32_e32 v31, vcc, v5, v31, vcc
	v_sub_u32_e32 v28, v62, v4
	global_store_dword v[30:31], v20, off
	v_lshlrev_b64 v[30:31], 2, v[28:29]
	v_add_co_u32_e32 v30, vcc, v3, v30
	v_addc_co_u32_e32 v31, vcc, v5, v31, vcc
	v_sub_u32_e32 v28, v60, v4
	global_store_dword v[30:31], v21, off
	;; [unrolled: 5-line block ×12, first 2 shown]
	v_lshlrev_b64 v[30:31], 2, v[28:29]
	v_add_co_u32_e32 v30, vcc, v3, v30
	v_sub_u32_e32 v28, v38, v4
	v_addc_co_u32_e32 v31, vcc, v5, v31, vcc
	v_lshlrev_b64 v[28:29], 2, v[28:29]
	v_add_co_u32_e32 v28, vcc, v3, v28
	v_addc_co_u32_e32 v29, vcc, v5, v29, vcc
	s_or_b64 s[40:41], s[40:41], exec
	global_store_dword v[30:31], v8, off
	global_store_dword v[28:29], v9, off
	s_or_b64 exec, exec, s[30:31]
	s_and_b64 exec, exec, s[40:41]
	s_cbranch_execnz .LBB567_135
	s_branch .LBB567_136
.LBB567_210:
	s_and_saveexec_b64 s[40:41], s[28:29]
	s_cbranch_execnz .LBB567_274
; %bb.211:
	s_or_b64 exec, exec, s[40:41]
	s_and_saveexec_b64 s[28:29], s[26:27]
	s_cbranch_execnz .LBB567_275
.LBB567_212:
	s_or_b64 exec, exec, s[28:29]
	s_and_saveexec_b64 s[26:27], s[24:25]
	s_cbranch_execnz .LBB567_276
.LBB567_213:
	s_or_b64 exec, exec, s[26:27]
	s_and_saveexec_b64 s[24:25], s[22:23]
	s_cbranch_execnz .LBB567_277
.LBB567_214:
	s_or_b64 exec, exec, s[24:25]
	s_and_saveexec_b64 s[22:23], s[20:21]
	s_cbranch_execnz .LBB567_278
.LBB567_215:
	s_or_b64 exec, exec, s[22:23]
	s_and_saveexec_b64 s[20:21], s[18:19]
	s_cbranch_execnz .LBB567_279
.LBB567_216:
	s_or_b64 exec, exec, s[20:21]
	s_and_saveexec_b64 s[18:19], s[16:17]
	s_cbranch_execnz .LBB567_280
.LBB567_217:
	s_or_b64 exec, exec, s[18:19]
	s_and_saveexec_b64 s[16:17], s[14:15]
	s_cbranch_execnz .LBB567_281
.LBB567_218:
	s_or_b64 exec, exec, s[16:17]
	s_and_saveexec_b64 s[14:15], s[12:13]
	s_cbranch_execnz .LBB567_282
.LBB567_219:
	s_or_b64 exec, exec, s[14:15]
	s_and_saveexec_b64 s[12:13], s[10:11]
	s_cbranch_execnz .LBB567_283
.LBB567_220:
	s_or_b64 exec, exec, s[12:13]
	s_and_saveexec_b64 s[10:11], s[8:9]
	s_cbranch_execnz .LBB567_284
.LBB567_221:
	s_or_b64 exec, exec, s[10:11]
	s_and_saveexec_b64 s[8:9], s[6:7]
	s_cbranch_execnz .LBB567_285
.LBB567_222:
	s_or_b64 exec, exec, s[8:9]
	s_and_saveexec_b64 s[6:7], s[4:5]
	s_cbranch_execnz .LBB567_286
.LBB567_223:
	s_or_b64 exec, exec, s[6:7]
	s_and_saveexec_b64 s[4:5], s[2:3]
	s_cbranch_execz .LBB567_225
.LBB567_224:
	v_sub_u32_e32 v8, v38, v4
	v_lshlrev_b32_e32 v8, 2, v8
	ds_write_b32 v8, v9
.LBB567_225:
	s_or_b64 exec, exec, s[4:5]
	s_and_b64 s[40:41], s[0:1], exec
                                        ; implicit-def: $vgpr8
                                        ; implicit-def: $vgpr10
                                        ; implicit-def: $vgpr12
                                        ; implicit-def: $vgpr14
                                        ; implicit-def: $vgpr16
                                        ; implicit-def: $vgpr18
                                        ; implicit-def: $vgpr20
	s_andn2_saveexec_b64 s[0:1], s[38:39]
	s_cbranch_execz .LBB567_141
.LBB567_226:
	v_sub_u32_e32 v26, v64, v4
	v_lshlrev_b32_e32 v26, 2, v26
	ds_write_b32 v26, v20
	v_sub_u32_e32 v20, v62, v4
	v_lshlrev_b32_e32 v20, 2, v20
	ds_write_b32 v20, v21
	;; [unrolled: 3-line block ×13, first 2 shown]
	v_sub_u32_e32 v8, v38, v4
	v_lshlrev_b32_e32 v8, 2, v8
	s_or_b64 s[40:41], s[40:41], exec
	ds_write_b32 v8, v9
	s_or_b64 exec, exec, s[0:1]
	s_and_b64 exec, exec, s[40:41]
	s_cbranch_execnz .LBB567_142
	s_branch .LBB567_143
.LBB567_227:
	s_and_saveexec_b64 s[38:39], s[28:29]
	s_cbranch_execnz .LBB567_287
; %bb.228:
	s_or_b64 exec, exec, s[38:39]
	s_and_saveexec_b64 s[38:39], s[26:27]
	s_cbranch_execnz .LBB567_288
.LBB567_229:
	s_or_b64 exec, exec, s[38:39]
	s_and_saveexec_b64 s[38:39], s[24:25]
	s_cbranch_execnz .LBB567_289
.LBB567_230:
	s_or_b64 exec, exec, s[38:39]
	s_and_saveexec_b64 s[38:39], s[22:23]
	s_cbranch_execnz .LBB567_290
.LBB567_231:
	s_or_b64 exec, exec, s[38:39]
	s_and_saveexec_b64 s[38:39], s[20:21]
	s_cbranch_execnz .LBB567_291
.LBB567_232:
	s_or_b64 exec, exec, s[38:39]
	s_and_saveexec_b64 s[38:39], s[18:19]
	s_cbranch_execnz .LBB567_292
.LBB567_233:
	s_or_b64 exec, exec, s[38:39]
	s_and_saveexec_b64 s[38:39], s[16:17]
	s_cbranch_execnz .LBB567_293
.LBB567_234:
	s_or_b64 exec, exec, s[38:39]
	s_and_saveexec_b64 s[38:39], s[14:15]
	s_cbranch_execnz .LBB567_294
.LBB567_235:
	s_or_b64 exec, exec, s[38:39]
	s_and_saveexec_b64 s[38:39], s[12:13]
	s_cbranch_execnz .LBB567_295
.LBB567_236:
	s_or_b64 exec, exec, s[38:39]
	s_and_saveexec_b64 s[38:39], s[10:11]
	s_cbranch_execnz .LBB567_296
.LBB567_237:
	s_or_b64 exec, exec, s[38:39]
	s_and_saveexec_b64 s[38:39], s[8:9]
	s_cbranch_execnz .LBB567_297
.LBB567_238:
	s_or_b64 exec, exec, s[38:39]
	s_and_saveexec_b64 s[38:39], s[6:7]
	s_cbranch_execnz .LBB567_298
.LBB567_239:
	s_or_b64 exec, exec, s[38:39]
	s_and_saveexec_b64 s[38:39], s[4:5]
	s_cbranch_execnz .LBB567_299
.LBB567_240:
	s_or_b64 exec, exec, s[38:39]
	s_and_saveexec_b64 s[38:39], s[2:3]
	s_cbranch_execz .LBB567_242
.LBB567_241:
	v_sub_u32_e32 v16, v38, v9
	v_mov_b32_e32 v17, 0
	v_lshlrev_b64 v[16:17], 2, v[16:17]
	v_add_co_u32_e32 v16, vcc, v13, v16
	v_addc_co_u32_e32 v17, vcc, v14, v17, vcc
	global_store_dword v[16:17], v39, off
.LBB567_242:
	s_or_b64 exec, exec, s[38:39]
	s_and_b64 s[38:39], s[0:1], exec
	s_andn2_saveexec_b64 s[30:31], s[30:31]
	s_cbranch_execz .LBB567_163
.LBB567_243:
	v_sub_u32_e32 v16, v64, v9
	v_mov_b32_e32 v17, 0
	v_lshlrev_b64 v[18:19], 2, v[16:17]
	v_add_co_u32_e32 v18, vcc, v13, v18
	v_addc_co_u32_e32 v19, vcc, v14, v19, vcc
	v_sub_u32_e32 v16, v62, v9
	global_store_dword v[18:19], v65, off
	v_lshlrev_b64 v[18:19], 2, v[16:17]
	v_add_co_u32_e32 v18, vcc, v13, v18
	v_addc_co_u32_e32 v19, vcc, v14, v19, vcc
	v_sub_u32_e32 v16, v60, v9
	global_store_dword v[18:19], v63, off
	;; [unrolled: 5-line block ×12, first 2 shown]
	v_lshlrev_b64 v[18:19], 2, v[16:17]
	v_add_co_u32_e32 v18, vcc, v13, v18
	v_sub_u32_e32 v16, v38, v9
	v_addc_co_u32_e32 v19, vcc, v14, v19, vcc
	v_lshlrev_b64 v[16:17], 2, v[16:17]
	v_add_co_u32_e32 v16, vcc, v13, v16
	v_addc_co_u32_e32 v17, vcc, v14, v17, vcc
	s_or_b64 s[38:39], s[38:39], exec
	global_store_dword v[18:19], v41, off
	global_store_dword v[16:17], v39, off
	s_or_b64 exec, exec, s[30:31]
	s_and_b64 exec, exec, s[38:39]
	s_cbranch_execnz .LBB567_164
	s_branch .LBB567_165
.LBB567_244:
	s_and_saveexec_b64 s[38:39], s[28:29]
	s_cbranch_execnz .LBB567_300
; %bb.245:
	s_or_b64 exec, exec, s[38:39]
	s_and_saveexec_b64 s[28:29], s[26:27]
	s_cbranch_execnz .LBB567_301
.LBB567_246:
	s_or_b64 exec, exec, s[28:29]
	s_and_saveexec_b64 s[26:27], s[24:25]
	s_cbranch_execnz .LBB567_302
.LBB567_247:
	s_or_b64 exec, exec, s[26:27]
	s_and_saveexec_b64 s[24:25], s[22:23]
	s_cbranch_execnz .LBB567_303
.LBB567_248:
	s_or_b64 exec, exec, s[24:25]
	s_and_saveexec_b64 s[22:23], s[20:21]
	s_cbranch_execnz .LBB567_304
.LBB567_249:
	s_or_b64 exec, exec, s[22:23]
	s_and_saveexec_b64 s[20:21], s[18:19]
	s_cbranch_execnz .LBB567_305
.LBB567_250:
	s_or_b64 exec, exec, s[20:21]
	s_and_saveexec_b64 s[18:19], s[16:17]
	s_cbranch_execnz .LBB567_306
.LBB567_251:
	s_or_b64 exec, exec, s[18:19]
	s_and_saveexec_b64 s[16:17], s[14:15]
	s_cbranch_execnz .LBB567_307
.LBB567_252:
	s_or_b64 exec, exec, s[16:17]
	s_and_saveexec_b64 s[14:15], s[12:13]
	s_cbranch_execnz .LBB567_308
.LBB567_253:
	s_or_b64 exec, exec, s[14:15]
	s_and_saveexec_b64 s[12:13], s[10:11]
	s_cbranch_execnz .LBB567_309
.LBB567_254:
	s_or_b64 exec, exec, s[12:13]
	s_and_saveexec_b64 s[10:11], s[8:9]
	s_cbranch_execnz .LBB567_310
.LBB567_255:
	s_or_b64 exec, exec, s[10:11]
	s_and_saveexec_b64 s[8:9], s[6:7]
	s_cbranch_execnz .LBB567_311
.LBB567_256:
	s_or_b64 exec, exec, s[8:9]
	s_and_saveexec_b64 s[6:7], s[4:5]
	s_cbranch_execnz .LBB567_312
.LBB567_257:
	s_or_b64 exec, exec, s[6:7]
	s_and_saveexec_b64 s[4:5], s[2:3]
	s_cbranch_execz .LBB567_259
.LBB567_258:
	v_sub_u32_e32 v10, v38, v9
	v_lshlrev_b32_e32 v10, 2, v10
	ds_write_b32 v10, v39
.LBB567_259:
	s_or_b64 exec, exec, s[4:5]
	s_and_b64 s[38:39], s[0:1], exec
                                        ; implicit-def: $vgpr64_vgpr65
                                        ; implicit-def: $vgpr62_vgpr63
                                        ; implicit-def: $vgpr60_vgpr61
                                        ; implicit-def: $vgpr58_vgpr59
                                        ; implicit-def: $vgpr56_vgpr57
                                        ; implicit-def: $vgpr54_vgpr55
                                        ; implicit-def: $vgpr52_vgpr53
                                        ; implicit-def: $vgpr50_vgpr51
                                        ; implicit-def: $vgpr48_vgpr49
                                        ; implicit-def: $vgpr46_vgpr47
                                        ; implicit-def: $vgpr44_vgpr45
                                        ; implicit-def: $vgpr42_vgpr43
                                        ; implicit-def: $vgpr40_vgpr41
                                        ; implicit-def: $vgpr38_vgpr39
	s_andn2_saveexec_b64 s[0:1], s[36:37]
	s_cbranch_execz .LBB567_170
.LBB567_260:
	v_sub_u32_e32 v10, v64, v9
	v_lshlrev_b32_e32 v10, 2, v10
	ds_write_b32 v10, v65
	v_sub_u32_e32 v10, v62, v9
	v_lshlrev_b32_e32 v10, 2, v10
	ds_write_b32 v10, v63
	;; [unrolled: 3-line block ×13, first 2 shown]
	v_sub_u32_e32 v10, v38, v9
	v_lshlrev_b32_e32 v10, 2, v10
	s_or_b64 s[38:39], s[38:39], exec
	ds_write_b32 v10, v39
	s_or_b64 exec, exec, s[0:1]
	s_and_b64 exec, exec, s[38:39]
	s_cbranch_execnz .LBB567_171
	s_branch .LBB567_172
.LBB567_261:
	v_sub_u32_e32 v28, v64, v4
	v_mov_b32_e32 v29, 0
	v_lshlrev_b64 v[28:29], 2, v[28:29]
	v_add_co_u32_e32 v28, vcc, v3, v28
	v_addc_co_u32_e32 v29, vcc, v5, v29, vcc
	global_store_dword v[28:29], v20, off
	s_or_b64 exec, exec, s[40:41]
	s_and_saveexec_b64 s[40:41], s[26:27]
	s_cbranch_execz .LBB567_195
.LBB567_262:
	v_sub_u32_e32 v28, v62, v4
	v_mov_b32_e32 v29, 0
	v_lshlrev_b64 v[28:29], 2, v[28:29]
	v_add_co_u32_e32 v28, vcc, v3, v28
	v_addc_co_u32_e32 v29, vcc, v5, v29, vcc
	global_store_dword v[28:29], v21, off
	s_or_b64 exec, exec, s[40:41]
	s_and_saveexec_b64 s[40:41], s[24:25]
	s_cbranch_execz .LBB567_196
.LBB567_263:
	v_sub_u32_e32 v28, v60, v4
	v_mov_b32_e32 v29, 0
	v_lshlrev_b64 v[28:29], 2, v[28:29]
	v_add_co_u32_e32 v28, vcc, v3, v28
	v_addc_co_u32_e32 v29, vcc, v5, v29, vcc
	global_store_dword v[28:29], v18, off
	s_or_b64 exec, exec, s[40:41]
	s_and_saveexec_b64 s[40:41], s[22:23]
	s_cbranch_execz .LBB567_197
.LBB567_264:
	v_sub_u32_e32 v28, v58, v4
	v_mov_b32_e32 v29, 0
	v_lshlrev_b64 v[28:29], 2, v[28:29]
	v_add_co_u32_e32 v28, vcc, v3, v28
	v_addc_co_u32_e32 v29, vcc, v5, v29, vcc
	global_store_dword v[28:29], v19, off
	s_or_b64 exec, exec, s[40:41]
	s_and_saveexec_b64 s[40:41], s[20:21]
	s_cbranch_execz .LBB567_198
.LBB567_265:
	v_sub_u32_e32 v28, v56, v4
	v_mov_b32_e32 v29, 0
	v_lshlrev_b64 v[28:29], 2, v[28:29]
	v_add_co_u32_e32 v28, vcc, v3, v28
	v_addc_co_u32_e32 v29, vcc, v5, v29, vcc
	global_store_dword v[28:29], v16, off
	s_or_b64 exec, exec, s[40:41]
	s_and_saveexec_b64 s[40:41], s[18:19]
	s_cbranch_execz .LBB567_199
.LBB567_266:
	v_sub_u32_e32 v28, v54, v4
	v_mov_b32_e32 v29, 0
	v_lshlrev_b64 v[28:29], 2, v[28:29]
	v_add_co_u32_e32 v28, vcc, v3, v28
	v_addc_co_u32_e32 v29, vcc, v5, v29, vcc
	global_store_dword v[28:29], v17, off
	s_or_b64 exec, exec, s[40:41]
	s_and_saveexec_b64 s[40:41], s[16:17]
	s_cbranch_execz .LBB567_200
.LBB567_267:
	v_sub_u32_e32 v28, v52, v4
	v_mov_b32_e32 v29, 0
	v_lshlrev_b64 v[28:29], 2, v[28:29]
	v_add_co_u32_e32 v28, vcc, v3, v28
	v_addc_co_u32_e32 v29, vcc, v5, v29, vcc
	global_store_dword v[28:29], v14, off
	s_or_b64 exec, exec, s[40:41]
	s_and_saveexec_b64 s[40:41], s[14:15]
	s_cbranch_execz .LBB567_201
.LBB567_268:
	v_sub_u32_e32 v28, v50, v4
	v_mov_b32_e32 v29, 0
	v_lshlrev_b64 v[28:29], 2, v[28:29]
	v_add_co_u32_e32 v28, vcc, v3, v28
	v_addc_co_u32_e32 v29, vcc, v5, v29, vcc
	global_store_dword v[28:29], v15, off
	s_or_b64 exec, exec, s[40:41]
	s_and_saveexec_b64 s[40:41], s[12:13]
	s_cbranch_execz .LBB567_202
.LBB567_269:
	v_sub_u32_e32 v28, v48, v4
	v_mov_b32_e32 v29, 0
	v_lshlrev_b64 v[28:29], 2, v[28:29]
	v_add_co_u32_e32 v28, vcc, v3, v28
	v_addc_co_u32_e32 v29, vcc, v5, v29, vcc
	global_store_dword v[28:29], v12, off
	s_or_b64 exec, exec, s[40:41]
	s_and_saveexec_b64 s[40:41], s[10:11]
	s_cbranch_execz .LBB567_203
.LBB567_270:
	v_sub_u32_e32 v28, v46, v4
	v_mov_b32_e32 v29, 0
	v_lshlrev_b64 v[28:29], 2, v[28:29]
	v_add_co_u32_e32 v28, vcc, v3, v28
	v_addc_co_u32_e32 v29, vcc, v5, v29, vcc
	global_store_dword v[28:29], v13, off
	s_or_b64 exec, exec, s[40:41]
	s_and_saveexec_b64 s[40:41], s[8:9]
	s_cbranch_execz .LBB567_204
.LBB567_271:
	v_sub_u32_e32 v28, v44, v4
	v_mov_b32_e32 v29, 0
	v_lshlrev_b64 v[28:29], 2, v[28:29]
	v_add_co_u32_e32 v28, vcc, v3, v28
	v_addc_co_u32_e32 v29, vcc, v5, v29, vcc
	global_store_dword v[28:29], v10, off
	s_or_b64 exec, exec, s[40:41]
	s_and_saveexec_b64 s[40:41], s[6:7]
	s_cbranch_execz .LBB567_205
.LBB567_272:
	v_sub_u32_e32 v28, v42, v4
	v_mov_b32_e32 v29, 0
	v_lshlrev_b64 v[28:29], 2, v[28:29]
	v_add_co_u32_e32 v28, vcc, v3, v28
	v_addc_co_u32_e32 v29, vcc, v5, v29, vcc
	global_store_dword v[28:29], v11, off
	s_or_b64 exec, exec, s[40:41]
	s_and_saveexec_b64 s[40:41], s[4:5]
	s_cbranch_execz .LBB567_206
.LBB567_273:
	v_sub_u32_e32 v28, v40, v4
	v_mov_b32_e32 v29, 0
	v_lshlrev_b64 v[28:29], 2, v[28:29]
	v_add_co_u32_e32 v28, vcc, v3, v28
	v_addc_co_u32_e32 v29, vcc, v5, v29, vcc
	global_store_dword v[28:29], v8, off
	s_or_b64 exec, exec, s[40:41]
	s_and_saveexec_b64 s[40:41], s[2:3]
	s_cbranch_execnz .LBB567_207
	s_branch .LBB567_208
.LBB567_274:
	v_sub_u32_e32 v26, v64, v4
	v_lshlrev_b32_e32 v26, 2, v26
	ds_write_b32 v26, v20
	s_or_b64 exec, exec, s[40:41]
	s_and_saveexec_b64 s[28:29], s[26:27]
	s_cbranch_execz .LBB567_212
.LBB567_275:
	v_sub_u32_e32 v20, v62, v4
	v_lshlrev_b32_e32 v20, 2, v20
	ds_write_b32 v20, v21
	s_or_b64 exec, exec, s[28:29]
	s_and_saveexec_b64 s[26:27], s[24:25]
	s_cbranch_execz .LBB567_213
.LBB567_276:
	v_sub_u32_e32 v20, v60, v4
	v_lshlrev_b32_e32 v20, 2, v20
	ds_write_b32 v20, v18
	s_or_b64 exec, exec, s[26:27]
	s_and_saveexec_b64 s[24:25], s[22:23]
	s_cbranch_execz .LBB567_214
.LBB567_277:
	v_sub_u32_e32 v18, v58, v4
	v_lshlrev_b32_e32 v18, 2, v18
	ds_write_b32 v18, v19
	s_or_b64 exec, exec, s[24:25]
	s_and_saveexec_b64 s[22:23], s[20:21]
	s_cbranch_execz .LBB567_215
.LBB567_278:
	v_sub_u32_e32 v18, v56, v4
	v_lshlrev_b32_e32 v18, 2, v18
	ds_write_b32 v18, v16
	s_or_b64 exec, exec, s[22:23]
	s_and_saveexec_b64 s[20:21], s[18:19]
	s_cbranch_execz .LBB567_216
.LBB567_279:
	v_sub_u32_e32 v16, v54, v4
	v_lshlrev_b32_e32 v16, 2, v16
	ds_write_b32 v16, v17
	s_or_b64 exec, exec, s[20:21]
	s_and_saveexec_b64 s[18:19], s[16:17]
	s_cbranch_execz .LBB567_217
.LBB567_280:
	v_sub_u32_e32 v16, v52, v4
	v_lshlrev_b32_e32 v16, 2, v16
	ds_write_b32 v16, v14
	s_or_b64 exec, exec, s[18:19]
	s_and_saveexec_b64 s[16:17], s[14:15]
	s_cbranch_execz .LBB567_218
.LBB567_281:
	v_sub_u32_e32 v14, v50, v4
	v_lshlrev_b32_e32 v14, 2, v14
	ds_write_b32 v14, v15
	s_or_b64 exec, exec, s[16:17]
	s_and_saveexec_b64 s[14:15], s[12:13]
	s_cbranch_execz .LBB567_219
.LBB567_282:
	v_sub_u32_e32 v14, v48, v4
	v_lshlrev_b32_e32 v14, 2, v14
	ds_write_b32 v14, v12
	s_or_b64 exec, exec, s[14:15]
	s_and_saveexec_b64 s[12:13], s[10:11]
	s_cbranch_execz .LBB567_220
.LBB567_283:
	v_sub_u32_e32 v12, v46, v4
	v_lshlrev_b32_e32 v12, 2, v12
	ds_write_b32 v12, v13
	s_or_b64 exec, exec, s[12:13]
	s_and_saveexec_b64 s[10:11], s[8:9]
	s_cbranch_execz .LBB567_221
.LBB567_284:
	v_sub_u32_e32 v12, v44, v4
	v_lshlrev_b32_e32 v12, 2, v12
	ds_write_b32 v12, v10
	s_or_b64 exec, exec, s[10:11]
	s_and_saveexec_b64 s[8:9], s[6:7]
	s_cbranch_execz .LBB567_222
.LBB567_285:
	v_sub_u32_e32 v10, v42, v4
	v_lshlrev_b32_e32 v10, 2, v10
	ds_write_b32 v10, v11
	s_or_b64 exec, exec, s[8:9]
	s_and_saveexec_b64 s[6:7], s[4:5]
	s_cbranch_execz .LBB567_223
.LBB567_286:
	v_sub_u32_e32 v10, v40, v4
	v_lshlrev_b32_e32 v10, 2, v10
	ds_write_b32 v10, v8
	s_or_b64 exec, exec, s[6:7]
	s_and_saveexec_b64 s[4:5], s[2:3]
	s_cbranch_execnz .LBB567_224
	s_branch .LBB567_225
.LBB567_287:
	v_sub_u32_e32 v16, v64, v9
	v_mov_b32_e32 v17, 0
	v_lshlrev_b64 v[16:17], 2, v[16:17]
	v_add_co_u32_e32 v16, vcc, v13, v16
	v_addc_co_u32_e32 v17, vcc, v14, v17, vcc
	global_store_dword v[16:17], v65, off
	s_or_b64 exec, exec, s[38:39]
	s_and_saveexec_b64 s[38:39], s[26:27]
	s_cbranch_execz .LBB567_229
.LBB567_288:
	v_sub_u32_e32 v16, v62, v9
	v_mov_b32_e32 v17, 0
	v_lshlrev_b64 v[16:17], 2, v[16:17]
	v_add_co_u32_e32 v16, vcc, v13, v16
	v_addc_co_u32_e32 v17, vcc, v14, v17, vcc
	global_store_dword v[16:17], v63, off
	s_or_b64 exec, exec, s[38:39]
	s_and_saveexec_b64 s[38:39], s[24:25]
	s_cbranch_execz .LBB567_230
.LBB567_289:
	v_sub_u32_e32 v16, v60, v9
	v_mov_b32_e32 v17, 0
	v_lshlrev_b64 v[16:17], 2, v[16:17]
	v_add_co_u32_e32 v16, vcc, v13, v16
	v_addc_co_u32_e32 v17, vcc, v14, v17, vcc
	global_store_dword v[16:17], v61, off
	s_or_b64 exec, exec, s[38:39]
	s_and_saveexec_b64 s[38:39], s[22:23]
	s_cbranch_execz .LBB567_231
.LBB567_290:
	v_sub_u32_e32 v16, v58, v9
	v_mov_b32_e32 v17, 0
	v_lshlrev_b64 v[16:17], 2, v[16:17]
	v_add_co_u32_e32 v16, vcc, v13, v16
	v_addc_co_u32_e32 v17, vcc, v14, v17, vcc
	global_store_dword v[16:17], v59, off
	s_or_b64 exec, exec, s[38:39]
	s_and_saveexec_b64 s[38:39], s[20:21]
	s_cbranch_execz .LBB567_232
.LBB567_291:
	v_sub_u32_e32 v16, v56, v9
	v_mov_b32_e32 v17, 0
	v_lshlrev_b64 v[16:17], 2, v[16:17]
	v_add_co_u32_e32 v16, vcc, v13, v16
	v_addc_co_u32_e32 v17, vcc, v14, v17, vcc
	global_store_dword v[16:17], v57, off
	s_or_b64 exec, exec, s[38:39]
	s_and_saveexec_b64 s[38:39], s[18:19]
	s_cbranch_execz .LBB567_233
.LBB567_292:
	v_sub_u32_e32 v16, v54, v9
	v_mov_b32_e32 v17, 0
	v_lshlrev_b64 v[16:17], 2, v[16:17]
	v_add_co_u32_e32 v16, vcc, v13, v16
	v_addc_co_u32_e32 v17, vcc, v14, v17, vcc
	global_store_dword v[16:17], v55, off
	s_or_b64 exec, exec, s[38:39]
	s_and_saveexec_b64 s[38:39], s[16:17]
	s_cbranch_execz .LBB567_234
.LBB567_293:
	v_sub_u32_e32 v16, v52, v9
	v_mov_b32_e32 v17, 0
	v_lshlrev_b64 v[16:17], 2, v[16:17]
	v_add_co_u32_e32 v16, vcc, v13, v16
	v_addc_co_u32_e32 v17, vcc, v14, v17, vcc
	global_store_dword v[16:17], v53, off
	s_or_b64 exec, exec, s[38:39]
	s_and_saveexec_b64 s[38:39], s[14:15]
	s_cbranch_execz .LBB567_235
.LBB567_294:
	v_sub_u32_e32 v16, v50, v9
	v_mov_b32_e32 v17, 0
	v_lshlrev_b64 v[16:17], 2, v[16:17]
	v_add_co_u32_e32 v16, vcc, v13, v16
	v_addc_co_u32_e32 v17, vcc, v14, v17, vcc
	global_store_dword v[16:17], v51, off
	s_or_b64 exec, exec, s[38:39]
	s_and_saveexec_b64 s[38:39], s[12:13]
	s_cbranch_execz .LBB567_236
.LBB567_295:
	v_sub_u32_e32 v16, v48, v9
	v_mov_b32_e32 v17, 0
	v_lshlrev_b64 v[16:17], 2, v[16:17]
	v_add_co_u32_e32 v16, vcc, v13, v16
	v_addc_co_u32_e32 v17, vcc, v14, v17, vcc
	global_store_dword v[16:17], v49, off
	s_or_b64 exec, exec, s[38:39]
	s_and_saveexec_b64 s[38:39], s[10:11]
	s_cbranch_execz .LBB567_237
.LBB567_296:
	v_sub_u32_e32 v16, v46, v9
	v_mov_b32_e32 v17, 0
	v_lshlrev_b64 v[16:17], 2, v[16:17]
	v_add_co_u32_e32 v16, vcc, v13, v16
	v_addc_co_u32_e32 v17, vcc, v14, v17, vcc
	global_store_dword v[16:17], v47, off
	s_or_b64 exec, exec, s[38:39]
	s_and_saveexec_b64 s[38:39], s[8:9]
	s_cbranch_execz .LBB567_238
.LBB567_297:
	v_sub_u32_e32 v16, v44, v9
	v_mov_b32_e32 v17, 0
	v_lshlrev_b64 v[16:17], 2, v[16:17]
	v_add_co_u32_e32 v16, vcc, v13, v16
	v_addc_co_u32_e32 v17, vcc, v14, v17, vcc
	global_store_dword v[16:17], v45, off
	s_or_b64 exec, exec, s[38:39]
	s_and_saveexec_b64 s[38:39], s[6:7]
	s_cbranch_execz .LBB567_239
.LBB567_298:
	v_sub_u32_e32 v16, v42, v9
	v_mov_b32_e32 v17, 0
	v_lshlrev_b64 v[16:17], 2, v[16:17]
	v_add_co_u32_e32 v16, vcc, v13, v16
	v_addc_co_u32_e32 v17, vcc, v14, v17, vcc
	global_store_dword v[16:17], v43, off
	s_or_b64 exec, exec, s[38:39]
	s_and_saveexec_b64 s[38:39], s[4:5]
	s_cbranch_execz .LBB567_240
.LBB567_299:
	v_sub_u32_e32 v16, v40, v9
	v_mov_b32_e32 v17, 0
	v_lshlrev_b64 v[16:17], 2, v[16:17]
	v_add_co_u32_e32 v16, vcc, v13, v16
	v_addc_co_u32_e32 v17, vcc, v14, v17, vcc
	global_store_dword v[16:17], v41, off
	s_or_b64 exec, exec, s[38:39]
	s_and_saveexec_b64 s[38:39], s[2:3]
	s_cbranch_execnz .LBB567_241
	s_branch .LBB567_242
.LBB567_300:
	v_sub_u32_e32 v10, v64, v9
	v_lshlrev_b32_e32 v10, 2, v10
	ds_write_b32 v10, v65
	s_or_b64 exec, exec, s[38:39]
	s_and_saveexec_b64 s[28:29], s[26:27]
	s_cbranch_execz .LBB567_246
.LBB567_301:
	v_sub_u32_e32 v10, v62, v9
	v_lshlrev_b32_e32 v10, 2, v10
	ds_write_b32 v10, v63
	s_or_b64 exec, exec, s[28:29]
	s_and_saveexec_b64 s[26:27], s[24:25]
	s_cbranch_execz .LBB567_247
.LBB567_302:
	v_sub_u32_e32 v10, v60, v9
	v_lshlrev_b32_e32 v10, 2, v10
	ds_write_b32 v10, v61
	s_or_b64 exec, exec, s[26:27]
	s_and_saveexec_b64 s[24:25], s[22:23]
	s_cbranch_execz .LBB567_248
.LBB567_303:
	v_sub_u32_e32 v10, v58, v9
	v_lshlrev_b32_e32 v10, 2, v10
	ds_write_b32 v10, v59
	s_or_b64 exec, exec, s[24:25]
	s_and_saveexec_b64 s[22:23], s[20:21]
	s_cbranch_execz .LBB567_249
.LBB567_304:
	v_sub_u32_e32 v10, v56, v9
	v_lshlrev_b32_e32 v10, 2, v10
	ds_write_b32 v10, v57
	s_or_b64 exec, exec, s[22:23]
	s_and_saveexec_b64 s[20:21], s[18:19]
	s_cbranch_execz .LBB567_250
.LBB567_305:
	v_sub_u32_e32 v10, v54, v9
	v_lshlrev_b32_e32 v10, 2, v10
	ds_write_b32 v10, v55
	s_or_b64 exec, exec, s[20:21]
	s_and_saveexec_b64 s[18:19], s[16:17]
	s_cbranch_execz .LBB567_251
.LBB567_306:
	v_sub_u32_e32 v10, v52, v9
	v_lshlrev_b32_e32 v10, 2, v10
	ds_write_b32 v10, v53
	s_or_b64 exec, exec, s[18:19]
	s_and_saveexec_b64 s[16:17], s[14:15]
	s_cbranch_execz .LBB567_252
.LBB567_307:
	v_sub_u32_e32 v10, v50, v9
	v_lshlrev_b32_e32 v10, 2, v10
	ds_write_b32 v10, v51
	s_or_b64 exec, exec, s[16:17]
	s_and_saveexec_b64 s[14:15], s[12:13]
	s_cbranch_execz .LBB567_253
.LBB567_308:
	v_sub_u32_e32 v10, v48, v9
	v_lshlrev_b32_e32 v10, 2, v10
	ds_write_b32 v10, v49
	s_or_b64 exec, exec, s[14:15]
	s_and_saveexec_b64 s[12:13], s[10:11]
	s_cbranch_execz .LBB567_254
.LBB567_309:
	v_sub_u32_e32 v10, v46, v9
	v_lshlrev_b32_e32 v10, 2, v10
	ds_write_b32 v10, v47
	s_or_b64 exec, exec, s[12:13]
	s_and_saveexec_b64 s[10:11], s[8:9]
	s_cbranch_execz .LBB567_255
.LBB567_310:
	v_sub_u32_e32 v10, v44, v9
	v_lshlrev_b32_e32 v10, 2, v10
	ds_write_b32 v10, v45
	s_or_b64 exec, exec, s[10:11]
	s_and_saveexec_b64 s[8:9], s[6:7]
	s_cbranch_execz .LBB567_256
.LBB567_311:
	v_sub_u32_e32 v10, v42, v9
	v_lshlrev_b32_e32 v10, 2, v10
	ds_write_b32 v10, v43
	s_or_b64 exec, exec, s[8:9]
	s_and_saveexec_b64 s[6:7], s[4:5]
	s_cbranch_execz .LBB567_257
.LBB567_312:
	v_sub_u32_e32 v10, v40, v9
	v_lshlrev_b32_e32 v10, 2, v10
	ds_write_b32 v10, v41
	s_or_b64 exec, exec, s[6:7]
	s_and_saveexec_b64 s[4:5], s[2:3]
	s_cbranch_execnz .LBB567_258
	s_branch .LBB567_259
	.section	.rodata,"a",@progbits
	.p2align	6, 0x0
	.amdhsa_kernel _ZN7rocprim17ROCPRIM_400000_NS6detail17trampoline_kernelINS0_14default_configENS1_29reduce_by_key_config_selectorIiiN6thrust23THRUST_200600_302600_NS4plusIiEEEEZZNS1_33reduce_by_key_impl_wrapped_configILNS1_25lookback_scan_determinismE0ES3_S9_NS6_6detail15normal_iteratorINS6_10device_ptrIiEEEESG_SG_SG_PmS8_NS6_8equal_toIiEEEE10hipError_tPvRmT2_T3_mT4_T5_T6_T7_T8_P12ihipStream_tbENKUlT_T0_E_clISt17integral_constantIbLb1EES10_IbLb0EEEEDaSW_SX_EUlSW_E_NS1_11comp_targetILNS1_3genE4ELNS1_11target_archE910ELNS1_3gpuE8ELNS1_3repE0EEENS1_30default_config_static_selectorELNS0_4arch9wavefront6targetE1EEEvT1_
		.amdhsa_group_segment_fixed_size 15360
		.amdhsa_private_segment_fixed_size 0
		.amdhsa_kernarg_size 120
		.amdhsa_user_sgpr_count 6
		.amdhsa_user_sgpr_private_segment_buffer 1
		.amdhsa_user_sgpr_dispatch_ptr 0
		.amdhsa_user_sgpr_queue_ptr 0
		.amdhsa_user_sgpr_kernarg_segment_ptr 1
		.amdhsa_user_sgpr_dispatch_id 0
		.amdhsa_user_sgpr_flat_scratch_init 0
		.amdhsa_user_sgpr_kernarg_preload_length 0
		.amdhsa_user_sgpr_kernarg_preload_offset 0
		.amdhsa_user_sgpr_private_segment_size 0
		.amdhsa_uses_dynamic_stack 0
		.amdhsa_system_sgpr_private_segment_wavefront_offset 0
		.amdhsa_system_sgpr_workgroup_id_x 1
		.amdhsa_system_sgpr_workgroup_id_y 0
		.amdhsa_system_sgpr_workgroup_id_z 0
		.amdhsa_system_sgpr_workgroup_info 0
		.amdhsa_system_vgpr_workitem_id 0
		.amdhsa_next_free_vgpr 106
		.amdhsa_next_free_sgpr 64
		.amdhsa_accum_offset 108
		.amdhsa_reserve_vcc 1
		.amdhsa_reserve_flat_scratch 0
		.amdhsa_float_round_mode_32 0
		.amdhsa_float_round_mode_16_64 0
		.amdhsa_float_denorm_mode_32 3
		.amdhsa_float_denorm_mode_16_64 3
		.amdhsa_dx10_clamp 1
		.amdhsa_ieee_mode 1
		.amdhsa_fp16_overflow 0
		.amdhsa_tg_split 0
		.amdhsa_exception_fp_ieee_invalid_op 0
		.amdhsa_exception_fp_denorm_src 0
		.amdhsa_exception_fp_ieee_div_zero 0
		.amdhsa_exception_fp_ieee_overflow 0
		.amdhsa_exception_fp_ieee_underflow 0
		.amdhsa_exception_fp_ieee_inexact 0
		.amdhsa_exception_int_div_zero 0
	.end_amdhsa_kernel
	.section	.text._ZN7rocprim17ROCPRIM_400000_NS6detail17trampoline_kernelINS0_14default_configENS1_29reduce_by_key_config_selectorIiiN6thrust23THRUST_200600_302600_NS4plusIiEEEEZZNS1_33reduce_by_key_impl_wrapped_configILNS1_25lookback_scan_determinismE0ES3_S9_NS6_6detail15normal_iteratorINS6_10device_ptrIiEEEESG_SG_SG_PmS8_NS6_8equal_toIiEEEE10hipError_tPvRmT2_T3_mT4_T5_T6_T7_T8_P12ihipStream_tbENKUlT_T0_E_clISt17integral_constantIbLb1EES10_IbLb0EEEEDaSW_SX_EUlSW_E_NS1_11comp_targetILNS1_3genE4ELNS1_11target_archE910ELNS1_3gpuE8ELNS1_3repE0EEENS1_30default_config_static_selectorELNS0_4arch9wavefront6targetE1EEEvT1_,"axG",@progbits,_ZN7rocprim17ROCPRIM_400000_NS6detail17trampoline_kernelINS0_14default_configENS1_29reduce_by_key_config_selectorIiiN6thrust23THRUST_200600_302600_NS4plusIiEEEEZZNS1_33reduce_by_key_impl_wrapped_configILNS1_25lookback_scan_determinismE0ES3_S9_NS6_6detail15normal_iteratorINS6_10device_ptrIiEEEESG_SG_SG_PmS8_NS6_8equal_toIiEEEE10hipError_tPvRmT2_T3_mT4_T5_T6_T7_T8_P12ihipStream_tbENKUlT_T0_E_clISt17integral_constantIbLb1EES10_IbLb0EEEEDaSW_SX_EUlSW_E_NS1_11comp_targetILNS1_3genE4ELNS1_11target_archE910ELNS1_3gpuE8ELNS1_3repE0EEENS1_30default_config_static_selectorELNS0_4arch9wavefront6targetE1EEEvT1_,comdat
.Lfunc_end567:
	.size	_ZN7rocprim17ROCPRIM_400000_NS6detail17trampoline_kernelINS0_14default_configENS1_29reduce_by_key_config_selectorIiiN6thrust23THRUST_200600_302600_NS4plusIiEEEEZZNS1_33reduce_by_key_impl_wrapped_configILNS1_25lookback_scan_determinismE0ES3_S9_NS6_6detail15normal_iteratorINS6_10device_ptrIiEEEESG_SG_SG_PmS8_NS6_8equal_toIiEEEE10hipError_tPvRmT2_T3_mT4_T5_T6_T7_T8_P12ihipStream_tbENKUlT_T0_E_clISt17integral_constantIbLb1EES10_IbLb0EEEEDaSW_SX_EUlSW_E_NS1_11comp_targetILNS1_3genE4ELNS1_11target_archE910ELNS1_3gpuE8ELNS1_3repE0EEENS1_30default_config_static_selectorELNS0_4arch9wavefront6targetE1EEEvT1_, .Lfunc_end567-_ZN7rocprim17ROCPRIM_400000_NS6detail17trampoline_kernelINS0_14default_configENS1_29reduce_by_key_config_selectorIiiN6thrust23THRUST_200600_302600_NS4plusIiEEEEZZNS1_33reduce_by_key_impl_wrapped_configILNS1_25lookback_scan_determinismE0ES3_S9_NS6_6detail15normal_iteratorINS6_10device_ptrIiEEEESG_SG_SG_PmS8_NS6_8equal_toIiEEEE10hipError_tPvRmT2_T3_mT4_T5_T6_T7_T8_P12ihipStream_tbENKUlT_T0_E_clISt17integral_constantIbLb1EES10_IbLb0EEEEDaSW_SX_EUlSW_E_NS1_11comp_targetILNS1_3genE4ELNS1_11target_archE910ELNS1_3gpuE8ELNS1_3repE0EEENS1_30default_config_static_selectorELNS0_4arch9wavefront6targetE1EEEvT1_
                                        ; -- End function
	.section	.AMDGPU.csdata,"",@progbits
; Kernel info:
; codeLenInByte = 17272
; NumSgprs: 68
; NumVgprs: 106
; NumAgprs: 0
; TotalNumVgprs: 106
; ScratchSize: 0
; MemoryBound: 0
; FloatMode: 240
; IeeeMode: 1
; LDSByteSize: 15360 bytes/workgroup (compile time only)
; SGPRBlocks: 8
; VGPRBlocks: 13
; NumSGPRsForWavesPerEU: 68
; NumVGPRsForWavesPerEU: 106
; AccumOffset: 108
; Occupancy: 4
; WaveLimiterHint : 1
; COMPUTE_PGM_RSRC2:SCRATCH_EN: 0
; COMPUTE_PGM_RSRC2:USER_SGPR: 6
; COMPUTE_PGM_RSRC2:TRAP_HANDLER: 0
; COMPUTE_PGM_RSRC2:TGID_X_EN: 1
; COMPUTE_PGM_RSRC2:TGID_Y_EN: 0
; COMPUTE_PGM_RSRC2:TGID_Z_EN: 0
; COMPUTE_PGM_RSRC2:TIDIG_COMP_CNT: 0
; COMPUTE_PGM_RSRC3_GFX90A:ACCUM_OFFSET: 26
; COMPUTE_PGM_RSRC3_GFX90A:TG_SPLIT: 0
	.section	.text._ZN7rocprim17ROCPRIM_400000_NS6detail17trampoline_kernelINS0_14default_configENS1_29reduce_by_key_config_selectorIiiN6thrust23THRUST_200600_302600_NS4plusIiEEEEZZNS1_33reduce_by_key_impl_wrapped_configILNS1_25lookback_scan_determinismE0ES3_S9_NS6_6detail15normal_iteratorINS6_10device_ptrIiEEEESG_SG_SG_PmS8_NS6_8equal_toIiEEEE10hipError_tPvRmT2_T3_mT4_T5_T6_T7_T8_P12ihipStream_tbENKUlT_T0_E_clISt17integral_constantIbLb1EES10_IbLb0EEEEDaSW_SX_EUlSW_E_NS1_11comp_targetILNS1_3genE3ELNS1_11target_archE908ELNS1_3gpuE7ELNS1_3repE0EEENS1_30default_config_static_selectorELNS0_4arch9wavefront6targetE1EEEvT1_,"axG",@progbits,_ZN7rocprim17ROCPRIM_400000_NS6detail17trampoline_kernelINS0_14default_configENS1_29reduce_by_key_config_selectorIiiN6thrust23THRUST_200600_302600_NS4plusIiEEEEZZNS1_33reduce_by_key_impl_wrapped_configILNS1_25lookback_scan_determinismE0ES3_S9_NS6_6detail15normal_iteratorINS6_10device_ptrIiEEEESG_SG_SG_PmS8_NS6_8equal_toIiEEEE10hipError_tPvRmT2_T3_mT4_T5_T6_T7_T8_P12ihipStream_tbENKUlT_T0_E_clISt17integral_constantIbLb1EES10_IbLb0EEEEDaSW_SX_EUlSW_E_NS1_11comp_targetILNS1_3genE3ELNS1_11target_archE908ELNS1_3gpuE7ELNS1_3repE0EEENS1_30default_config_static_selectorELNS0_4arch9wavefront6targetE1EEEvT1_,comdat
	.protected	_ZN7rocprim17ROCPRIM_400000_NS6detail17trampoline_kernelINS0_14default_configENS1_29reduce_by_key_config_selectorIiiN6thrust23THRUST_200600_302600_NS4plusIiEEEEZZNS1_33reduce_by_key_impl_wrapped_configILNS1_25lookback_scan_determinismE0ES3_S9_NS6_6detail15normal_iteratorINS6_10device_ptrIiEEEESG_SG_SG_PmS8_NS6_8equal_toIiEEEE10hipError_tPvRmT2_T3_mT4_T5_T6_T7_T8_P12ihipStream_tbENKUlT_T0_E_clISt17integral_constantIbLb1EES10_IbLb0EEEEDaSW_SX_EUlSW_E_NS1_11comp_targetILNS1_3genE3ELNS1_11target_archE908ELNS1_3gpuE7ELNS1_3repE0EEENS1_30default_config_static_selectorELNS0_4arch9wavefront6targetE1EEEvT1_ ; -- Begin function _ZN7rocprim17ROCPRIM_400000_NS6detail17trampoline_kernelINS0_14default_configENS1_29reduce_by_key_config_selectorIiiN6thrust23THRUST_200600_302600_NS4plusIiEEEEZZNS1_33reduce_by_key_impl_wrapped_configILNS1_25lookback_scan_determinismE0ES3_S9_NS6_6detail15normal_iteratorINS6_10device_ptrIiEEEESG_SG_SG_PmS8_NS6_8equal_toIiEEEE10hipError_tPvRmT2_T3_mT4_T5_T6_T7_T8_P12ihipStream_tbENKUlT_T0_E_clISt17integral_constantIbLb1EES10_IbLb0EEEEDaSW_SX_EUlSW_E_NS1_11comp_targetILNS1_3genE3ELNS1_11target_archE908ELNS1_3gpuE7ELNS1_3repE0EEENS1_30default_config_static_selectorELNS0_4arch9wavefront6targetE1EEEvT1_
	.globl	_ZN7rocprim17ROCPRIM_400000_NS6detail17trampoline_kernelINS0_14default_configENS1_29reduce_by_key_config_selectorIiiN6thrust23THRUST_200600_302600_NS4plusIiEEEEZZNS1_33reduce_by_key_impl_wrapped_configILNS1_25lookback_scan_determinismE0ES3_S9_NS6_6detail15normal_iteratorINS6_10device_ptrIiEEEESG_SG_SG_PmS8_NS6_8equal_toIiEEEE10hipError_tPvRmT2_T3_mT4_T5_T6_T7_T8_P12ihipStream_tbENKUlT_T0_E_clISt17integral_constantIbLb1EES10_IbLb0EEEEDaSW_SX_EUlSW_E_NS1_11comp_targetILNS1_3genE3ELNS1_11target_archE908ELNS1_3gpuE7ELNS1_3repE0EEENS1_30default_config_static_selectorELNS0_4arch9wavefront6targetE1EEEvT1_
	.p2align	8
	.type	_ZN7rocprim17ROCPRIM_400000_NS6detail17trampoline_kernelINS0_14default_configENS1_29reduce_by_key_config_selectorIiiN6thrust23THRUST_200600_302600_NS4plusIiEEEEZZNS1_33reduce_by_key_impl_wrapped_configILNS1_25lookback_scan_determinismE0ES3_S9_NS6_6detail15normal_iteratorINS6_10device_ptrIiEEEESG_SG_SG_PmS8_NS6_8equal_toIiEEEE10hipError_tPvRmT2_T3_mT4_T5_T6_T7_T8_P12ihipStream_tbENKUlT_T0_E_clISt17integral_constantIbLb1EES10_IbLb0EEEEDaSW_SX_EUlSW_E_NS1_11comp_targetILNS1_3genE3ELNS1_11target_archE908ELNS1_3gpuE7ELNS1_3repE0EEENS1_30default_config_static_selectorELNS0_4arch9wavefront6targetE1EEEvT1_,@function
_ZN7rocprim17ROCPRIM_400000_NS6detail17trampoline_kernelINS0_14default_configENS1_29reduce_by_key_config_selectorIiiN6thrust23THRUST_200600_302600_NS4plusIiEEEEZZNS1_33reduce_by_key_impl_wrapped_configILNS1_25lookback_scan_determinismE0ES3_S9_NS6_6detail15normal_iteratorINS6_10device_ptrIiEEEESG_SG_SG_PmS8_NS6_8equal_toIiEEEE10hipError_tPvRmT2_T3_mT4_T5_T6_T7_T8_P12ihipStream_tbENKUlT_T0_E_clISt17integral_constantIbLb1EES10_IbLb0EEEEDaSW_SX_EUlSW_E_NS1_11comp_targetILNS1_3genE3ELNS1_11target_archE908ELNS1_3gpuE7ELNS1_3repE0EEENS1_30default_config_static_selectorELNS0_4arch9wavefront6targetE1EEEvT1_: ; @_ZN7rocprim17ROCPRIM_400000_NS6detail17trampoline_kernelINS0_14default_configENS1_29reduce_by_key_config_selectorIiiN6thrust23THRUST_200600_302600_NS4plusIiEEEEZZNS1_33reduce_by_key_impl_wrapped_configILNS1_25lookback_scan_determinismE0ES3_S9_NS6_6detail15normal_iteratorINS6_10device_ptrIiEEEESG_SG_SG_PmS8_NS6_8equal_toIiEEEE10hipError_tPvRmT2_T3_mT4_T5_T6_T7_T8_P12ihipStream_tbENKUlT_T0_E_clISt17integral_constantIbLb1EES10_IbLb0EEEEDaSW_SX_EUlSW_E_NS1_11comp_targetILNS1_3genE3ELNS1_11target_archE908ELNS1_3gpuE7ELNS1_3repE0EEENS1_30default_config_static_selectorELNS0_4arch9wavefront6targetE1EEEvT1_
; %bb.0:
	.section	.rodata,"a",@progbits
	.p2align	6, 0x0
	.amdhsa_kernel _ZN7rocprim17ROCPRIM_400000_NS6detail17trampoline_kernelINS0_14default_configENS1_29reduce_by_key_config_selectorIiiN6thrust23THRUST_200600_302600_NS4plusIiEEEEZZNS1_33reduce_by_key_impl_wrapped_configILNS1_25lookback_scan_determinismE0ES3_S9_NS6_6detail15normal_iteratorINS6_10device_ptrIiEEEESG_SG_SG_PmS8_NS6_8equal_toIiEEEE10hipError_tPvRmT2_T3_mT4_T5_T6_T7_T8_P12ihipStream_tbENKUlT_T0_E_clISt17integral_constantIbLb1EES10_IbLb0EEEEDaSW_SX_EUlSW_E_NS1_11comp_targetILNS1_3genE3ELNS1_11target_archE908ELNS1_3gpuE7ELNS1_3repE0EEENS1_30default_config_static_selectorELNS0_4arch9wavefront6targetE1EEEvT1_
		.amdhsa_group_segment_fixed_size 0
		.amdhsa_private_segment_fixed_size 0
		.amdhsa_kernarg_size 120
		.amdhsa_user_sgpr_count 6
		.amdhsa_user_sgpr_private_segment_buffer 1
		.amdhsa_user_sgpr_dispatch_ptr 0
		.amdhsa_user_sgpr_queue_ptr 0
		.amdhsa_user_sgpr_kernarg_segment_ptr 1
		.amdhsa_user_sgpr_dispatch_id 0
		.amdhsa_user_sgpr_flat_scratch_init 0
		.amdhsa_user_sgpr_kernarg_preload_length 0
		.amdhsa_user_sgpr_kernarg_preload_offset 0
		.amdhsa_user_sgpr_private_segment_size 0
		.amdhsa_uses_dynamic_stack 0
		.amdhsa_system_sgpr_private_segment_wavefront_offset 0
		.amdhsa_system_sgpr_workgroup_id_x 1
		.amdhsa_system_sgpr_workgroup_id_y 0
		.amdhsa_system_sgpr_workgroup_id_z 0
		.amdhsa_system_sgpr_workgroup_info 0
		.amdhsa_system_vgpr_workitem_id 0
		.amdhsa_next_free_vgpr 1
		.amdhsa_next_free_sgpr 0
		.amdhsa_accum_offset 4
		.amdhsa_reserve_vcc 0
		.amdhsa_reserve_flat_scratch 0
		.amdhsa_float_round_mode_32 0
		.amdhsa_float_round_mode_16_64 0
		.amdhsa_float_denorm_mode_32 3
		.amdhsa_float_denorm_mode_16_64 3
		.amdhsa_dx10_clamp 1
		.amdhsa_ieee_mode 1
		.amdhsa_fp16_overflow 0
		.amdhsa_tg_split 0
		.amdhsa_exception_fp_ieee_invalid_op 0
		.amdhsa_exception_fp_denorm_src 0
		.amdhsa_exception_fp_ieee_div_zero 0
		.amdhsa_exception_fp_ieee_overflow 0
		.amdhsa_exception_fp_ieee_underflow 0
		.amdhsa_exception_fp_ieee_inexact 0
		.amdhsa_exception_int_div_zero 0
	.end_amdhsa_kernel
	.section	.text._ZN7rocprim17ROCPRIM_400000_NS6detail17trampoline_kernelINS0_14default_configENS1_29reduce_by_key_config_selectorIiiN6thrust23THRUST_200600_302600_NS4plusIiEEEEZZNS1_33reduce_by_key_impl_wrapped_configILNS1_25lookback_scan_determinismE0ES3_S9_NS6_6detail15normal_iteratorINS6_10device_ptrIiEEEESG_SG_SG_PmS8_NS6_8equal_toIiEEEE10hipError_tPvRmT2_T3_mT4_T5_T6_T7_T8_P12ihipStream_tbENKUlT_T0_E_clISt17integral_constantIbLb1EES10_IbLb0EEEEDaSW_SX_EUlSW_E_NS1_11comp_targetILNS1_3genE3ELNS1_11target_archE908ELNS1_3gpuE7ELNS1_3repE0EEENS1_30default_config_static_selectorELNS0_4arch9wavefront6targetE1EEEvT1_,"axG",@progbits,_ZN7rocprim17ROCPRIM_400000_NS6detail17trampoline_kernelINS0_14default_configENS1_29reduce_by_key_config_selectorIiiN6thrust23THRUST_200600_302600_NS4plusIiEEEEZZNS1_33reduce_by_key_impl_wrapped_configILNS1_25lookback_scan_determinismE0ES3_S9_NS6_6detail15normal_iteratorINS6_10device_ptrIiEEEESG_SG_SG_PmS8_NS6_8equal_toIiEEEE10hipError_tPvRmT2_T3_mT4_T5_T6_T7_T8_P12ihipStream_tbENKUlT_T0_E_clISt17integral_constantIbLb1EES10_IbLb0EEEEDaSW_SX_EUlSW_E_NS1_11comp_targetILNS1_3genE3ELNS1_11target_archE908ELNS1_3gpuE7ELNS1_3repE0EEENS1_30default_config_static_selectorELNS0_4arch9wavefront6targetE1EEEvT1_,comdat
.Lfunc_end568:
	.size	_ZN7rocprim17ROCPRIM_400000_NS6detail17trampoline_kernelINS0_14default_configENS1_29reduce_by_key_config_selectorIiiN6thrust23THRUST_200600_302600_NS4plusIiEEEEZZNS1_33reduce_by_key_impl_wrapped_configILNS1_25lookback_scan_determinismE0ES3_S9_NS6_6detail15normal_iteratorINS6_10device_ptrIiEEEESG_SG_SG_PmS8_NS6_8equal_toIiEEEE10hipError_tPvRmT2_T3_mT4_T5_T6_T7_T8_P12ihipStream_tbENKUlT_T0_E_clISt17integral_constantIbLb1EES10_IbLb0EEEEDaSW_SX_EUlSW_E_NS1_11comp_targetILNS1_3genE3ELNS1_11target_archE908ELNS1_3gpuE7ELNS1_3repE0EEENS1_30default_config_static_selectorELNS0_4arch9wavefront6targetE1EEEvT1_, .Lfunc_end568-_ZN7rocprim17ROCPRIM_400000_NS6detail17trampoline_kernelINS0_14default_configENS1_29reduce_by_key_config_selectorIiiN6thrust23THRUST_200600_302600_NS4plusIiEEEEZZNS1_33reduce_by_key_impl_wrapped_configILNS1_25lookback_scan_determinismE0ES3_S9_NS6_6detail15normal_iteratorINS6_10device_ptrIiEEEESG_SG_SG_PmS8_NS6_8equal_toIiEEEE10hipError_tPvRmT2_T3_mT4_T5_T6_T7_T8_P12ihipStream_tbENKUlT_T0_E_clISt17integral_constantIbLb1EES10_IbLb0EEEEDaSW_SX_EUlSW_E_NS1_11comp_targetILNS1_3genE3ELNS1_11target_archE908ELNS1_3gpuE7ELNS1_3repE0EEENS1_30default_config_static_selectorELNS0_4arch9wavefront6targetE1EEEvT1_
                                        ; -- End function
	.section	.AMDGPU.csdata,"",@progbits
; Kernel info:
; codeLenInByte = 0
; NumSgprs: 4
; NumVgprs: 0
; NumAgprs: 0
; TotalNumVgprs: 0
; ScratchSize: 0
; MemoryBound: 0
; FloatMode: 240
; IeeeMode: 1
; LDSByteSize: 0 bytes/workgroup (compile time only)
; SGPRBlocks: 0
; VGPRBlocks: 0
; NumSGPRsForWavesPerEU: 4
; NumVGPRsForWavesPerEU: 1
; AccumOffset: 4
; Occupancy: 8
; WaveLimiterHint : 0
; COMPUTE_PGM_RSRC2:SCRATCH_EN: 0
; COMPUTE_PGM_RSRC2:USER_SGPR: 6
; COMPUTE_PGM_RSRC2:TRAP_HANDLER: 0
; COMPUTE_PGM_RSRC2:TGID_X_EN: 1
; COMPUTE_PGM_RSRC2:TGID_Y_EN: 0
; COMPUTE_PGM_RSRC2:TGID_Z_EN: 0
; COMPUTE_PGM_RSRC2:TIDIG_COMP_CNT: 0
; COMPUTE_PGM_RSRC3_GFX90A:ACCUM_OFFSET: 0
; COMPUTE_PGM_RSRC3_GFX90A:TG_SPLIT: 0
	.section	.text._ZN7rocprim17ROCPRIM_400000_NS6detail17trampoline_kernelINS0_14default_configENS1_29reduce_by_key_config_selectorIiiN6thrust23THRUST_200600_302600_NS4plusIiEEEEZZNS1_33reduce_by_key_impl_wrapped_configILNS1_25lookback_scan_determinismE0ES3_S9_NS6_6detail15normal_iteratorINS6_10device_ptrIiEEEESG_SG_SG_PmS8_NS6_8equal_toIiEEEE10hipError_tPvRmT2_T3_mT4_T5_T6_T7_T8_P12ihipStream_tbENKUlT_T0_E_clISt17integral_constantIbLb1EES10_IbLb0EEEEDaSW_SX_EUlSW_E_NS1_11comp_targetILNS1_3genE2ELNS1_11target_archE906ELNS1_3gpuE6ELNS1_3repE0EEENS1_30default_config_static_selectorELNS0_4arch9wavefront6targetE1EEEvT1_,"axG",@progbits,_ZN7rocprim17ROCPRIM_400000_NS6detail17trampoline_kernelINS0_14default_configENS1_29reduce_by_key_config_selectorIiiN6thrust23THRUST_200600_302600_NS4plusIiEEEEZZNS1_33reduce_by_key_impl_wrapped_configILNS1_25lookback_scan_determinismE0ES3_S9_NS6_6detail15normal_iteratorINS6_10device_ptrIiEEEESG_SG_SG_PmS8_NS6_8equal_toIiEEEE10hipError_tPvRmT2_T3_mT4_T5_T6_T7_T8_P12ihipStream_tbENKUlT_T0_E_clISt17integral_constantIbLb1EES10_IbLb0EEEEDaSW_SX_EUlSW_E_NS1_11comp_targetILNS1_3genE2ELNS1_11target_archE906ELNS1_3gpuE6ELNS1_3repE0EEENS1_30default_config_static_selectorELNS0_4arch9wavefront6targetE1EEEvT1_,comdat
	.protected	_ZN7rocprim17ROCPRIM_400000_NS6detail17trampoline_kernelINS0_14default_configENS1_29reduce_by_key_config_selectorIiiN6thrust23THRUST_200600_302600_NS4plusIiEEEEZZNS1_33reduce_by_key_impl_wrapped_configILNS1_25lookback_scan_determinismE0ES3_S9_NS6_6detail15normal_iteratorINS6_10device_ptrIiEEEESG_SG_SG_PmS8_NS6_8equal_toIiEEEE10hipError_tPvRmT2_T3_mT4_T5_T6_T7_T8_P12ihipStream_tbENKUlT_T0_E_clISt17integral_constantIbLb1EES10_IbLb0EEEEDaSW_SX_EUlSW_E_NS1_11comp_targetILNS1_3genE2ELNS1_11target_archE906ELNS1_3gpuE6ELNS1_3repE0EEENS1_30default_config_static_selectorELNS0_4arch9wavefront6targetE1EEEvT1_ ; -- Begin function _ZN7rocprim17ROCPRIM_400000_NS6detail17trampoline_kernelINS0_14default_configENS1_29reduce_by_key_config_selectorIiiN6thrust23THRUST_200600_302600_NS4plusIiEEEEZZNS1_33reduce_by_key_impl_wrapped_configILNS1_25lookback_scan_determinismE0ES3_S9_NS6_6detail15normal_iteratorINS6_10device_ptrIiEEEESG_SG_SG_PmS8_NS6_8equal_toIiEEEE10hipError_tPvRmT2_T3_mT4_T5_T6_T7_T8_P12ihipStream_tbENKUlT_T0_E_clISt17integral_constantIbLb1EES10_IbLb0EEEEDaSW_SX_EUlSW_E_NS1_11comp_targetILNS1_3genE2ELNS1_11target_archE906ELNS1_3gpuE6ELNS1_3repE0EEENS1_30default_config_static_selectorELNS0_4arch9wavefront6targetE1EEEvT1_
	.globl	_ZN7rocprim17ROCPRIM_400000_NS6detail17trampoline_kernelINS0_14default_configENS1_29reduce_by_key_config_selectorIiiN6thrust23THRUST_200600_302600_NS4plusIiEEEEZZNS1_33reduce_by_key_impl_wrapped_configILNS1_25lookback_scan_determinismE0ES3_S9_NS6_6detail15normal_iteratorINS6_10device_ptrIiEEEESG_SG_SG_PmS8_NS6_8equal_toIiEEEE10hipError_tPvRmT2_T3_mT4_T5_T6_T7_T8_P12ihipStream_tbENKUlT_T0_E_clISt17integral_constantIbLb1EES10_IbLb0EEEEDaSW_SX_EUlSW_E_NS1_11comp_targetILNS1_3genE2ELNS1_11target_archE906ELNS1_3gpuE6ELNS1_3repE0EEENS1_30default_config_static_selectorELNS0_4arch9wavefront6targetE1EEEvT1_
	.p2align	8
	.type	_ZN7rocprim17ROCPRIM_400000_NS6detail17trampoline_kernelINS0_14default_configENS1_29reduce_by_key_config_selectorIiiN6thrust23THRUST_200600_302600_NS4plusIiEEEEZZNS1_33reduce_by_key_impl_wrapped_configILNS1_25lookback_scan_determinismE0ES3_S9_NS6_6detail15normal_iteratorINS6_10device_ptrIiEEEESG_SG_SG_PmS8_NS6_8equal_toIiEEEE10hipError_tPvRmT2_T3_mT4_T5_T6_T7_T8_P12ihipStream_tbENKUlT_T0_E_clISt17integral_constantIbLb1EES10_IbLb0EEEEDaSW_SX_EUlSW_E_NS1_11comp_targetILNS1_3genE2ELNS1_11target_archE906ELNS1_3gpuE6ELNS1_3repE0EEENS1_30default_config_static_selectorELNS0_4arch9wavefront6targetE1EEEvT1_,@function
_ZN7rocprim17ROCPRIM_400000_NS6detail17trampoline_kernelINS0_14default_configENS1_29reduce_by_key_config_selectorIiiN6thrust23THRUST_200600_302600_NS4plusIiEEEEZZNS1_33reduce_by_key_impl_wrapped_configILNS1_25lookback_scan_determinismE0ES3_S9_NS6_6detail15normal_iteratorINS6_10device_ptrIiEEEESG_SG_SG_PmS8_NS6_8equal_toIiEEEE10hipError_tPvRmT2_T3_mT4_T5_T6_T7_T8_P12ihipStream_tbENKUlT_T0_E_clISt17integral_constantIbLb1EES10_IbLb0EEEEDaSW_SX_EUlSW_E_NS1_11comp_targetILNS1_3genE2ELNS1_11target_archE906ELNS1_3gpuE6ELNS1_3repE0EEENS1_30default_config_static_selectorELNS0_4arch9wavefront6targetE1EEEvT1_: ; @_ZN7rocprim17ROCPRIM_400000_NS6detail17trampoline_kernelINS0_14default_configENS1_29reduce_by_key_config_selectorIiiN6thrust23THRUST_200600_302600_NS4plusIiEEEEZZNS1_33reduce_by_key_impl_wrapped_configILNS1_25lookback_scan_determinismE0ES3_S9_NS6_6detail15normal_iteratorINS6_10device_ptrIiEEEESG_SG_SG_PmS8_NS6_8equal_toIiEEEE10hipError_tPvRmT2_T3_mT4_T5_T6_T7_T8_P12ihipStream_tbENKUlT_T0_E_clISt17integral_constantIbLb1EES10_IbLb0EEEEDaSW_SX_EUlSW_E_NS1_11comp_targetILNS1_3genE2ELNS1_11target_archE906ELNS1_3gpuE6ELNS1_3repE0EEENS1_30default_config_static_selectorELNS0_4arch9wavefront6targetE1EEEvT1_
; %bb.0:
	.section	.rodata,"a",@progbits
	.p2align	6, 0x0
	.amdhsa_kernel _ZN7rocprim17ROCPRIM_400000_NS6detail17trampoline_kernelINS0_14default_configENS1_29reduce_by_key_config_selectorIiiN6thrust23THRUST_200600_302600_NS4plusIiEEEEZZNS1_33reduce_by_key_impl_wrapped_configILNS1_25lookback_scan_determinismE0ES3_S9_NS6_6detail15normal_iteratorINS6_10device_ptrIiEEEESG_SG_SG_PmS8_NS6_8equal_toIiEEEE10hipError_tPvRmT2_T3_mT4_T5_T6_T7_T8_P12ihipStream_tbENKUlT_T0_E_clISt17integral_constantIbLb1EES10_IbLb0EEEEDaSW_SX_EUlSW_E_NS1_11comp_targetILNS1_3genE2ELNS1_11target_archE906ELNS1_3gpuE6ELNS1_3repE0EEENS1_30default_config_static_selectorELNS0_4arch9wavefront6targetE1EEEvT1_
		.amdhsa_group_segment_fixed_size 0
		.amdhsa_private_segment_fixed_size 0
		.amdhsa_kernarg_size 120
		.amdhsa_user_sgpr_count 6
		.amdhsa_user_sgpr_private_segment_buffer 1
		.amdhsa_user_sgpr_dispatch_ptr 0
		.amdhsa_user_sgpr_queue_ptr 0
		.amdhsa_user_sgpr_kernarg_segment_ptr 1
		.amdhsa_user_sgpr_dispatch_id 0
		.amdhsa_user_sgpr_flat_scratch_init 0
		.amdhsa_user_sgpr_kernarg_preload_length 0
		.amdhsa_user_sgpr_kernarg_preload_offset 0
		.amdhsa_user_sgpr_private_segment_size 0
		.amdhsa_uses_dynamic_stack 0
		.amdhsa_system_sgpr_private_segment_wavefront_offset 0
		.amdhsa_system_sgpr_workgroup_id_x 1
		.amdhsa_system_sgpr_workgroup_id_y 0
		.amdhsa_system_sgpr_workgroup_id_z 0
		.amdhsa_system_sgpr_workgroup_info 0
		.amdhsa_system_vgpr_workitem_id 0
		.amdhsa_next_free_vgpr 1
		.amdhsa_next_free_sgpr 0
		.amdhsa_accum_offset 4
		.amdhsa_reserve_vcc 0
		.amdhsa_reserve_flat_scratch 0
		.amdhsa_float_round_mode_32 0
		.amdhsa_float_round_mode_16_64 0
		.amdhsa_float_denorm_mode_32 3
		.amdhsa_float_denorm_mode_16_64 3
		.amdhsa_dx10_clamp 1
		.amdhsa_ieee_mode 1
		.amdhsa_fp16_overflow 0
		.amdhsa_tg_split 0
		.amdhsa_exception_fp_ieee_invalid_op 0
		.amdhsa_exception_fp_denorm_src 0
		.amdhsa_exception_fp_ieee_div_zero 0
		.amdhsa_exception_fp_ieee_overflow 0
		.amdhsa_exception_fp_ieee_underflow 0
		.amdhsa_exception_fp_ieee_inexact 0
		.amdhsa_exception_int_div_zero 0
	.end_amdhsa_kernel
	.section	.text._ZN7rocprim17ROCPRIM_400000_NS6detail17trampoline_kernelINS0_14default_configENS1_29reduce_by_key_config_selectorIiiN6thrust23THRUST_200600_302600_NS4plusIiEEEEZZNS1_33reduce_by_key_impl_wrapped_configILNS1_25lookback_scan_determinismE0ES3_S9_NS6_6detail15normal_iteratorINS6_10device_ptrIiEEEESG_SG_SG_PmS8_NS6_8equal_toIiEEEE10hipError_tPvRmT2_T3_mT4_T5_T6_T7_T8_P12ihipStream_tbENKUlT_T0_E_clISt17integral_constantIbLb1EES10_IbLb0EEEEDaSW_SX_EUlSW_E_NS1_11comp_targetILNS1_3genE2ELNS1_11target_archE906ELNS1_3gpuE6ELNS1_3repE0EEENS1_30default_config_static_selectorELNS0_4arch9wavefront6targetE1EEEvT1_,"axG",@progbits,_ZN7rocprim17ROCPRIM_400000_NS6detail17trampoline_kernelINS0_14default_configENS1_29reduce_by_key_config_selectorIiiN6thrust23THRUST_200600_302600_NS4plusIiEEEEZZNS1_33reduce_by_key_impl_wrapped_configILNS1_25lookback_scan_determinismE0ES3_S9_NS6_6detail15normal_iteratorINS6_10device_ptrIiEEEESG_SG_SG_PmS8_NS6_8equal_toIiEEEE10hipError_tPvRmT2_T3_mT4_T5_T6_T7_T8_P12ihipStream_tbENKUlT_T0_E_clISt17integral_constantIbLb1EES10_IbLb0EEEEDaSW_SX_EUlSW_E_NS1_11comp_targetILNS1_3genE2ELNS1_11target_archE906ELNS1_3gpuE6ELNS1_3repE0EEENS1_30default_config_static_selectorELNS0_4arch9wavefront6targetE1EEEvT1_,comdat
.Lfunc_end569:
	.size	_ZN7rocprim17ROCPRIM_400000_NS6detail17trampoline_kernelINS0_14default_configENS1_29reduce_by_key_config_selectorIiiN6thrust23THRUST_200600_302600_NS4plusIiEEEEZZNS1_33reduce_by_key_impl_wrapped_configILNS1_25lookback_scan_determinismE0ES3_S9_NS6_6detail15normal_iteratorINS6_10device_ptrIiEEEESG_SG_SG_PmS8_NS6_8equal_toIiEEEE10hipError_tPvRmT2_T3_mT4_T5_T6_T7_T8_P12ihipStream_tbENKUlT_T0_E_clISt17integral_constantIbLb1EES10_IbLb0EEEEDaSW_SX_EUlSW_E_NS1_11comp_targetILNS1_3genE2ELNS1_11target_archE906ELNS1_3gpuE6ELNS1_3repE0EEENS1_30default_config_static_selectorELNS0_4arch9wavefront6targetE1EEEvT1_, .Lfunc_end569-_ZN7rocprim17ROCPRIM_400000_NS6detail17trampoline_kernelINS0_14default_configENS1_29reduce_by_key_config_selectorIiiN6thrust23THRUST_200600_302600_NS4plusIiEEEEZZNS1_33reduce_by_key_impl_wrapped_configILNS1_25lookback_scan_determinismE0ES3_S9_NS6_6detail15normal_iteratorINS6_10device_ptrIiEEEESG_SG_SG_PmS8_NS6_8equal_toIiEEEE10hipError_tPvRmT2_T3_mT4_T5_T6_T7_T8_P12ihipStream_tbENKUlT_T0_E_clISt17integral_constantIbLb1EES10_IbLb0EEEEDaSW_SX_EUlSW_E_NS1_11comp_targetILNS1_3genE2ELNS1_11target_archE906ELNS1_3gpuE6ELNS1_3repE0EEENS1_30default_config_static_selectorELNS0_4arch9wavefront6targetE1EEEvT1_
                                        ; -- End function
	.section	.AMDGPU.csdata,"",@progbits
; Kernel info:
; codeLenInByte = 0
; NumSgprs: 4
; NumVgprs: 0
; NumAgprs: 0
; TotalNumVgprs: 0
; ScratchSize: 0
; MemoryBound: 0
; FloatMode: 240
; IeeeMode: 1
; LDSByteSize: 0 bytes/workgroup (compile time only)
; SGPRBlocks: 0
; VGPRBlocks: 0
; NumSGPRsForWavesPerEU: 4
; NumVGPRsForWavesPerEU: 1
; AccumOffset: 4
; Occupancy: 8
; WaveLimiterHint : 0
; COMPUTE_PGM_RSRC2:SCRATCH_EN: 0
; COMPUTE_PGM_RSRC2:USER_SGPR: 6
; COMPUTE_PGM_RSRC2:TRAP_HANDLER: 0
; COMPUTE_PGM_RSRC2:TGID_X_EN: 1
; COMPUTE_PGM_RSRC2:TGID_Y_EN: 0
; COMPUTE_PGM_RSRC2:TGID_Z_EN: 0
; COMPUTE_PGM_RSRC2:TIDIG_COMP_CNT: 0
; COMPUTE_PGM_RSRC3_GFX90A:ACCUM_OFFSET: 0
; COMPUTE_PGM_RSRC3_GFX90A:TG_SPLIT: 0
	.section	.text._ZN7rocprim17ROCPRIM_400000_NS6detail17trampoline_kernelINS0_14default_configENS1_29reduce_by_key_config_selectorIiiN6thrust23THRUST_200600_302600_NS4plusIiEEEEZZNS1_33reduce_by_key_impl_wrapped_configILNS1_25lookback_scan_determinismE0ES3_S9_NS6_6detail15normal_iteratorINS6_10device_ptrIiEEEESG_SG_SG_PmS8_NS6_8equal_toIiEEEE10hipError_tPvRmT2_T3_mT4_T5_T6_T7_T8_P12ihipStream_tbENKUlT_T0_E_clISt17integral_constantIbLb1EES10_IbLb0EEEEDaSW_SX_EUlSW_E_NS1_11comp_targetILNS1_3genE10ELNS1_11target_archE1201ELNS1_3gpuE5ELNS1_3repE0EEENS1_30default_config_static_selectorELNS0_4arch9wavefront6targetE1EEEvT1_,"axG",@progbits,_ZN7rocprim17ROCPRIM_400000_NS6detail17trampoline_kernelINS0_14default_configENS1_29reduce_by_key_config_selectorIiiN6thrust23THRUST_200600_302600_NS4plusIiEEEEZZNS1_33reduce_by_key_impl_wrapped_configILNS1_25lookback_scan_determinismE0ES3_S9_NS6_6detail15normal_iteratorINS6_10device_ptrIiEEEESG_SG_SG_PmS8_NS6_8equal_toIiEEEE10hipError_tPvRmT2_T3_mT4_T5_T6_T7_T8_P12ihipStream_tbENKUlT_T0_E_clISt17integral_constantIbLb1EES10_IbLb0EEEEDaSW_SX_EUlSW_E_NS1_11comp_targetILNS1_3genE10ELNS1_11target_archE1201ELNS1_3gpuE5ELNS1_3repE0EEENS1_30default_config_static_selectorELNS0_4arch9wavefront6targetE1EEEvT1_,comdat
	.protected	_ZN7rocprim17ROCPRIM_400000_NS6detail17trampoline_kernelINS0_14default_configENS1_29reduce_by_key_config_selectorIiiN6thrust23THRUST_200600_302600_NS4plusIiEEEEZZNS1_33reduce_by_key_impl_wrapped_configILNS1_25lookback_scan_determinismE0ES3_S9_NS6_6detail15normal_iteratorINS6_10device_ptrIiEEEESG_SG_SG_PmS8_NS6_8equal_toIiEEEE10hipError_tPvRmT2_T3_mT4_T5_T6_T7_T8_P12ihipStream_tbENKUlT_T0_E_clISt17integral_constantIbLb1EES10_IbLb0EEEEDaSW_SX_EUlSW_E_NS1_11comp_targetILNS1_3genE10ELNS1_11target_archE1201ELNS1_3gpuE5ELNS1_3repE0EEENS1_30default_config_static_selectorELNS0_4arch9wavefront6targetE1EEEvT1_ ; -- Begin function _ZN7rocprim17ROCPRIM_400000_NS6detail17trampoline_kernelINS0_14default_configENS1_29reduce_by_key_config_selectorIiiN6thrust23THRUST_200600_302600_NS4plusIiEEEEZZNS1_33reduce_by_key_impl_wrapped_configILNS1_25lookback_scan_determinismE0ES3_S9_NS6_6detail15normal_iteratorINS6_10device_ptrIiEEEESG_SG_SG_PmS8_NS6_8equal_toIiEEEE10hipError_tPvRmT2_T3_mT4_T5_T6_T7_T8_P12ihipStream_tbENKUlT_T0_E_clISt17integral_constantIbLb1EES10_IbLb0EEEEDaSW_SX_EUlSW_E_NS1_11comp_targetILNS1_3genE10ELNS1_11target_archE1201ELNS1_3gpuE5ELNS1_3repE0EEENS1_30default_config_static_selectorELNS0_4arch9wavefront6targetE1EEEvT1_
	.globl	_ZN7rocprim17ROCPRIM_400000_NS6detail17trampoline_kernelINS0_14default_configENS1_29reduce_by_key_config_selectorIiiN6thrust23THRUST_200600_302600_NS4plusIiEEEEZZNS1_33reduce_by_key_impl_wrapped_configILNS1_25lookback_scan_determinismE0ES3_S9_NS6_6detail15normal_iteratorINS6_10device_ptrIiEEEESG_SG_SG_PmS8_NS6_8equal_toIiEEEE10hipError_tPvRmT2_T3_mT4_T5_T6_T7_T8_P12ihipStream_tbENKUlT_T0_E_clISt17integral_constantIbLb1EES10_IbLb0EEEEDaSW_SX_EUlSW_E_NS1_11comp_targetILNS1_3genE10ELNS1_11target_archE1201ELNS1_3gpuE5ELNS1_3repE0EEENS1_30default_config_static_selectorELNS0_4arch9wavefront6targetE1EEEvT1_
	.p2align	8
	.type	_ZN7rocprim17ROCPRIM_400000_NS6detail17trampoline_kernelINS0_14default_configENS1_29reduce_by_key_config_selectorIiiN6thrust23THRUST_200600_302600_NS4plusIiEEEEZZNS1_33reduce_by_key_impl_wrapped_configILNS1_25lookback_scan_determinismE0ES3_S9_NS6_6detail15normal_iteratorINS6_10device_ptrIiEEEESG_SG_SG_PmS8_NS6_8equal_toIiEEEE10hipError_tPvRmT2_T3_mT4_T5_T6_T7_T8_P12ihipStream_tbENKUlT_T0_E_clISt17integral_constantIbLb1EES10_IbLb0EEEEDaSW_SX_EUlSW_E_NS1_11comp_targetILNS1_3genE10ELNS1_11target_archE1201ELNS1_3gpuE5ELNS1_3repE0EEENS1_30default_config_static_selectorELNS0_4arch9wavefront6targetE1EEEvT1_,@function
_ZN7rocprim17ROCPRIM_400000_NS6detail17trampoline_kernelINS0_14default_configENS1_29reduce_by_key_config_selectorIiiN6thrust23THRUST_200600_302600_NS4plusIiEEEEZZNS1_33reduce_by_key_impl_wrapped_configILNS1_25lookback_scan_determinismE0ES3_S9_NS6_6detail15normal_iteratorINS6_10device_ptrIiEEEESG_SG_SG_PmS8_NS6_8equal_toIiEEEE10hipError_tPvRmT2_T3_mT4_T5_T6_T7_T8_P12ihipStream_tbENKUlT_T0_E_clISt17integral_constantIbLb1EES10_IbLb0EEEEDaSW_SX_EUlSW_E_NS1_11comp_targetILNS1_3genE10ELNS1_11target_archE1201ELNS1_3gpuE5ELNS1_3repE0EEENS1_30default_config_static_selectorELNS0_4arch9wavefront6targetE1EEEvT1_: ; @_ZN7rocprim17ROCPRIM_400000_NS6detail17trampoline_kernelINS0_14default_configENS1_29reduce_by_key_config_selectorIiiN6thrust23THRUST_200600_302600_NS4plusIiEEEEZZNS1_33reduce_by_key_impl_wrapped_configILNS1_25lookback_scan_determinismE0ES3_S9_NS6_6detail15normal_iteratorINS6_10device_ptrIiEEEESG_SG_SG_PmS8_NS6_8equal_toIiEEEE10hipError_tPvRmT2_T3_mT4_T5_T6_T7_T8_P12ihipStream_tbENKUlT_T0_E_clISt17integral_constantIbLb1EES10_IbLb0EEEEDaSW_SX_EUlSW_E_NS1_11comp_targetILNS1_3genE10ELNS1_11target_archE1201ELNS1_3gpuE5ELNS1_3repE0EEENS1_30default_config_static_selectorELNS0_4arch9wavefront6targetE1EEEvT1_
; %bb.0:
	.section	.rodata,"a",@progbits
	.p2align	6, 0x0
	.amdhsa_kernel _ZN7rocprim17ROCPRIM_400000_NS6detail17trampoline_kernelINS0_14default_configENS1_29reduce_by_key_config_selectorIiiN6thrust23THRUST_200600_302600_NS4plusIiEEEEZZNS1_33reduce_by_key_impl_wrapped_configILNS1_25lookback_scan_determinismE0ES3_S9_NS6_6detail15normal_iteratorINS6_10device_ptrIiEEEESG_SG_SG_PmS8_NS6_8equal_toIiEEEE10hipError_tPvRmT2_T3_mT4_T5_T6_T7_T8_P12ihipStream_tbENKUlT_T0_E_clISt17integral_constantIbLb1EES10_IbLb0EEEEDaSW_SX_EUlSW_E_NS1_11comp_targetILNS1_3genE10ELNS1_11target_archE1201ELNS1_3gpuE5ELNS1_3repE0EEENS1_30default_config_static_selectorELNS0_4arch9wavefront6targetE1EEEvT1_
		.amdhsa_group_segment_fixed_size 0
		.amdhsa_private_segment_fixed_size 0
		.amdhsa_kernarg_size 120
		.amdhsa_user_sgpr_count 6
		.amdhsa_user_sgpr_private_segment_buffer 1
		.amdhsa_user_sgpr_dispatch_ptr 0
		.amdhsa_user_sgpr_queue_ptr 0
		.amdhsa_user_sgpr_kernarg_segment_ptr 1
		.amdhsa_user_sgpr_dispatch_id 0
		.amdhsa_user_sgpr_flat_scratch_init 0
		.amdhsa_user_sgpr_kernarg_preload_length 0
		.amdhsa_user_sgpr_kernarg_preload_offset 0
		.amdhsa_user_sgpr_private_segment_size 0
		.amdhsa_uses_dynamic_stack 0
		.amdhsa_system_sgpr_private_segment_wavefront_offset 0
		.amdhsa_system_sgpr_workgroup_id_x 1
		.amdhsa_system_sgpr_workgroup_id_y 0
		.amdhsa_system_sgpr_workgroup_id_z 0
		.amdhsa_system_sgpr_workgroup_info 0
		.amdhsa_system_vgpr_workitem_id 0
		.amdhsa_next_free_vgpr 1
		.amdhsa_next_free_sgpr 0
		.amdhsa_accum_offset 4
		.amdhsa_reserve_vcc 0
		.amdhsa_reserve_flat_scratch 0
		.amdhsa_float_round_mode_32 0
		.amdhsa_float_round_mode_16_64 0
		.amdhsa_float_denorm_mode_32 3
		.amdhsa_float_denorm_mode_16_64 3
		.amdhsa_dx10_clamp 1
		.amdhsa_ieee_mode 1
		.amdhsa_fp16_overflow 0
		.amdhsa_tg_split 0
		.amdhsa_exception_fp_ieee_invalid_op 0
		.amdhsa_exception_fp_denorm_src 0
		.amdhsa_exception_fp_ieee_div_zero 0
		.amdhsa_exception_fp_ieee_overflow 0
		.amdhsa_exception_fp_ieee_underflow 0
		.amdhsa_exception_fp_ieee_inexact 0
		.amdhsa_exception_int_div_zero 0
	.end_amdhsa_kernel
	.section	.text._ZN7rocprim17ROCPRIM_400000_NS6detail17trampoline_kernelINS0_14default_configENS1_29reduce_by_key_config_selectorIiiN6thrust23THRUST_200600_302600_NS4plusIiEEEEZZNS1_33reduce_by_key_impl_wrapped_configILNS1_25lookback_scan_determinismE0ES3_S9_NS6_6detail15normal_iteratorINS6_10device_ptrIiEEEESG_SG_SG_PmS8_NS6_8equal_toIiEEEE10hipError_tPvRmT2_T3_mT4_T5_T6_T7_T8_P12ihipStream_tbENKUlT_T0_E_clISt17integral_constantIbLb1EES10_IbLb0EEEEDaSW_SX_EUlSW_E_NS1_11comp_targetILNS1_3genE10ELNS1_11target_archE1201ELNS1_3gpuE5ELNS1_3repE0EEENS1_30default_config_static_selectorELNS0_4arch9wavefront6targetE1EEEvT1_,"axG",@progbits,_ZN7rocprim17ROCPRIM_400000_NS6detail17trampoline_kernelINS0_14default_configENS1_29reduce_by_key_config_selectorIiiN6thrust23THRUST_200600_302600_NS4plusIiEEEEZZNS1_33reduce_by_key_impl_wrapped_configILNS1_25lookback_scan_determinismE0ES3_S9_NS6_6detail15normal_iteratorINS6_10device_ptrIiEEEESG_SG_SG_PmS8_NS6_8equal_toIiEEEE10hipError_tPvRmT2_T3_mT4_T5_T6_T7_T8_P12ihipStream_tbENKUlT_T0_E_clISt17integral_constantIbLb1EES10_IbLb0EEEEDaSW_SX_EUlSW_E_NS1_11comp_targetILNS1_3genE10ELNS1_11target_archE1201ELNS1_3gpuE5ELNS1_3repE0EEENS1_30default_config_static_selectorELNS0_4arch9wavefront6targetE1EEEvT1_,comdat
.Lfunc_end570:
	.size	_ZN7rocprim17ROCPRIM_400000_NS6detail17trampoline_kernelINS0_14default_configENS1_29reduce_by_key_config_selectorIiiN6thrust23THRUST_200600_302600_NS4plusIiEEEEZZNS1_33reduce_by_key_impl_wrapped_configILNS1_25lookback_scan_determinismE0ES3_S9_NS6_6detail15normal_iteratorINS6_10device_ptrIiEEEESG_SG_SG_PmS8_NS6_8equal_toIiEEEE10hipError_tPvRmT2_T3_mT4_T5_T6_T7_T8_P12ihipStream_tbENKUlT_T0_E_clISt17integral_constantIbLb1EES10_IbLb0EEEEDaSW_SX_EUlSW_E_NS1_11comp_targetILNS1_3genE10ELNS1_11target_archE1201ELNS1_3gpuE5ELNS1_3repE0EEENS1_30default_config_static_selectorELNS0_4arch9wavefront6targetE1EEEvT1_, .Lfunc_end570-_ZN7rocprim17ROCPRIM_400000_NS6detail17trampoline_kernelINS0_14default_configENS1_29reduce_by_key_config_selectorIiiN6thrust23THRUST_200600_302600_NS4plusIiEEEEZZNS1_33reduce_by_key_impl_wrapped_configILNS1_25lookback_scan_determinismE0ES3_S9_NS6_6detail15normal_iteratorINS6_10device_ptrIiEEEESG_SG_SG_PmS8_NS6_8equal_toIiEEEE10hipError_tPvRmT2_T3_mT4_T5_T6_T7_T8_P12ihipStream_tbENKUlT_T0_E_clISt17integral_constantIbLb1EES10_IbLb0EEEEDaSW_SX_EUlSW_E_NS1_11comp_targetILNS1_3genE10ELNS1_11target_archE1201ELNS1_3gpuE5ELNS1_3repE0EEENS1_30default_config_static_selectorELNS0_4arch9wavefront6targetE1EEEvT1_
                                        ; -- End function
	.section	.AMDGPU.csdata,"",@progbits
; Kernel info:
; codeLenInByte = 0
; NumSgprs: 4
; NumVgprs: 0
; NumAgprs: 0
; TotalNumVgprs: 0
; ScratchSize: 0
; MemoryBound: 0
; FloatMode: 240
; IeeeMode: 1
; LDSByteSize: 0 bytes/workgroup (compile time only)
; SGPRBlocks: 0
; VGPRBlocks: 0
; NumSGPRsForWavesPerEU: 4
; NumVGPRsForWavesPerEU: 1
; AccumOffset: 4
; Occupancy: 8
; WaveLimiterHint : 0
; COMPUTE_PGM_RSRC2:SCRATCH_EN: 0
; COMPUTE_PGM_RSRC2:USER_SGPR: 6
; COMPUTE_PGM_RSRC2:TRAP_HANDLER: 0
; COMPUTE_PGM_RSRC2:TGID_X_EN: 1
; COMPUTE_PGM_RSRC2:TGID_Y_EN: 0
; COMPUTE_PGM_RSRC2:TGID_Z_EN: 0
; COMPUTE_PGM_RSRC2:TIDIG_COMP_CNT: 0
; COMPUTE_PGM_RSRC3_GFX90A:ACCUM_OFFSET: 0
; COMPUTE_PGM_RSRC3_GFX90A:TG_SPLIT: 0
	.section	.text._ZN7rocprim17ROCPRIM_400000_NS6detail17trampoline_kernelINS0_14default_configENS1_29reduce_by_key_config_selectorIiiN6thrust23THRUST_200600_302600_NS4plusIiEEEEZZNS1_33reduce_by_key_impl_wrapped_configILNS1_25lookback_scan_determinismE0ES3_S9_NS6_6detail15normal_iteratorINS6_10device_ptrIiEEEESG_SG_SG_PmS8_NS6_8equal_toIiEEEE10hipError_tPvRmT2_T3_mT4_T5_T6_T7_T8_P12ihipStream_tbENKUlT_T0_E_clISt17integral_constantIbLb1EES10_IbLb0EEEEDaSW_SX_EUlSW_E_NS1_11comp_targetILNS1_3genE10ELNS1_11target_archE1200ELNS1_3gpuE4ELNS1_3repE0EEENS1_30default_config_static_selectorELNS0_4arch9wavefront6targetE1EEEvT1_,"axG",@progbits,_ZN7rocprim17ROCPRIM_400000_NS6detail17trampoline_kernelINS0_14default_configENS1_29reduce_by_key_config_selectorIiiN6thrust23THRUST_200600_302600_NS4plusIiEEEEZZNS1_33reduce_by_key_impl_wrapped_configILNS1_25lookback_scan_determinismE0ES3_S9_NS6_6detail15normal_iteratorINS6_10device_ptrIiEEEESG_SG_SG_PmS8_NS6_8equal_toIiEEEE10hipError_tPvRmT2_T3_mT4_T5_T6_T7_T8_P12ihipStream_tbENKUlT_T0_E_clISt17integral_constantIbLb1EES10_IbLb0EEEEDaSW_SX_EUlSW_E_NS1_11comp_targetILNS1_3genE10ELNS1_11target_archE1200ELNS1_3gpuE4ELNS1_3repE0EEENS1_30default_config_static_selectorELNS0_4arch9wavefront6targetE1EEEvT1_,comdat
	.protected	_ZN7rocprim17ROCPRIM_400000_NS6detail17trampoline_kernelINS0_14default_configENS1_29reduce_by_key_config_selectorIiiN6thrust23THRUST_200600_302600_NS4plusIiEEEEZZNS1_33reduce_by_key_impl_wrapped_configILNS1_25lookback_scan_determinismE0ES3_S9_NS6_6detail15normal_iteratorINS6_10device_ptrIiEEEESG_SG_SG_PmS8_NS6_8equal_toIiEEEE10hipError_tPvRmT2_T3_mT4_T5_T6_T7_T8_P12ihipStream_tbENKUlT_T0_E_clISt17integral_constantIbLb1EES10_IbLb0EEEEDaSW_SX_EUlSW_E_NS1_11comp_targetILNS1_3genE10ELNS1_11target_archE1200ELNS1_3gpuE4ELNS1_3repE0EEENS1_30default_config_static_selectorELNS0_4arch9wavefront6targetE1EEEvT1_ ; -- Begin function _ZN7rocprim17ROCPRIM_400000_NS6detail17trampoline_kernelINS0_14default_configENS1_29reduce_by_key_config_selectorIiiN6thrust23THRUST_200600_302600_NS4plusIiEEEEZZNS1_33reduce_by_key_impl_wrapped_configILNS1_25lookback_scan_determinismE0ES3_S9_NS6_6detail15normal_iteratorINS6_10device_ptrIiEEEESG_SG_SG_PmS8_NS6_8equal_toIiEEEE10hipError_tPvRmT2_T3_mT4_T5_T6_T7_T8_P12ihipStream_tbENKUlT_T0_E_clISt17integral_constantIbLb1EES10_IbLb0EEEEDaSW_SX_EUlSW_E_NS1_11comp_targetILNS1_3genE10ELNS1_11target_archE1200ELNS1_3gpuE4ELNS1_3repE0EEENS1_30default_config_static_selectorELNS0_4arch9wavefront6targetE1EEEvT1_
	.globl	_ZN7rocprim17ROCPRIM_400000_NS6detail17trampoline_kernelINS0_14default_configENS1_29reduce_by_key_config_selectorIiiN6thrust23THRUST_200600_302600_NS4plusIiEEEEZZNS1_33reduce_by_key_impl_wrapped_configILNS1_25lookback_scan_determinismE0ES3_S9_NS6_6detail15normal_iteratorINS6_10device_ptrIiEEEESG_SG_SG_PmS8_NS6_8equal_toIiEEEE10hipError_tPvRmT2_T3_mT4_T5_T6_T7_T8_P12ihipStream_tbENKUlT_T0_E_clISt17integral_constantIbLb1EES10_IbLb0EEEEDaSW_SX_EUlSW_E_NS1_11comp_targetILNS1_3genE10ELNS1_11target_archE1200ELNS1_3gpuE4ELNS1_3repE0EEENS1_30default_config_static_selectorELNS0_4arch9wavefront6targetE1EEEvT1_
	.p2align	8
	.type	_ZN7rocprim17ROCPRIM_400000_NS6detail17trampoline_kernelINS0_14default_configENS1_29reduce_by_key_config_selectorIiiN6thrust23THRUST_200600_302600_NS4plusIiEEEEZZNS1_33reduce_by_key_impl_wrapped_configILNS1_25lookback_scan_determinismE0ES3_S9_NS6_6detail15normal_iteratorINS6_10device_ptrIiEEEESG_SG_SG_PmS8_NS6_8equal_toIiEEEE10hipError_tPvRmT2_T3_mT4_T5_T6_T7_T8_P12ihipStream_tbENKUlT_T0_E_clISt17integral_constantIbLb1EES10_IbLb0EEEEDaSW_SX_EUlSW_E_NS1_11comp_targetILNS1_3genE10ELNS1_11target_archE1200ELNS1_3gpuE4ELNS1_3repE0EEENS1_30default_config_static_selectorELNS0_4arch9wavefront6targetE1EEEvT1_,@function
_ZN7rocprim17ROCPRIM_400000_NS6detail17trampoline_kernelINS0_14default_configENS1_29reduce_by_key_config_selectorIiiN6thrust23THRUST_200600_302600_NS4plusIiEEEEZZNS1_33reduce_by_key_impl_wrapped_configILNS1_25lookback_scan_determinismE0ES3_S9_NS6_6detail15normal_iteratorINS6_10device_ptrIiEEEESG_SG_SG_PmS8_NS6_8equal_toIiEEEE10hipError_tPvRmT2_T3_mT4_T5_T6_T7_T8_P12ihipStream_tbENKUlT_T0_E_clISt17integral_constantIbLb1EES10_IbLb0EEEEDaSW_SX_EUlSW_E_NS1_11comp_targetILNS1_3genE10ELNS1_11target_archE1200ELNS1_3gpuE4ELNS1_3repE0EEENS1_30default_config_static_selectorELNS0_4arch9wavefront6targetE1EEEvT1_: ; @_ZN7rocprim17ROCPRIM_400000_NS6detail17trampoline_kernelINS0_14default_configENS1_29reduce_by_key_config_selectorIiiN6thrust23THRUST_200600_302600_NS4plusIiEEEEZZNS1_33reduce_by_key_impl_wrapped_configILNS1_25lookback_scan_determinismE0ES3_S9_NS6_6detail15normal_iteratorINS6_10device_ptrIiEEEESG_SG_SG_PmS8_NS6_8equal_toIiEEEE10hipError_tPvRmT2_T3_mT4_T5_T6_T7_T8_P12ihipStream_tbENKUlT_T0_E_clISt17integral_constantIbLb1EES10_IbLb0EEEEDaSW_SX_EUlSW_E_NS1_11comp_targetILNS1_3genE10ELNS1_11target_archE1200ELNS1_3gpuE4ELNS1_3repE0EEENS1_30default_config_static_selectorELNS0_4arch9wavefront6targetE1EEEvT1_
; %bb.0:
	.section	.rodata,"a",@progbits
	.p2align	6, 0x0
	.amdhsa_kernel _ZN7rocprim17ROCPRIM_400000_NS6detail17trampoline_kernelINS0_14default_configENS1_29reduce_by_key_config_selectorIiiN6thrust23THRUST_200600_302600_NS4plusIiEEEEZZNS1_33reduce_by_key_impl_wrapped_configILNS1_25lookback_scan_determinismE0ES3_S9_NS6_6detail15normal_iteratorINS6_10device_ptrIiEEEESG_SG_SG_PmS8_NS6_8equal_toIiEEEE10hipError_tPvRmT2_T3_mT4_T5_T6_T7_T8_P12ihipStream_tbENKUlT_T0_E_clISt17integral_constantIbLb1EES10_IbLb0EEEEDaSW_SX_EUlSW_E_NS1_11comp_targetILNS1_3genE10ELNS1_11target_archE1200ELNS1_3gpuE4ELNS1_3repE0EEENS1_30default_config_static_selectorELNS0_4arch9wavefront6targetE1EEEvT1_
		.amdhsa_group_segment_fixed_size 0
		.amdhsa_private_segment_fixed_size 0
		.amdhsa_kernarg_size 120
		.amdhsa_user_sgpr_count 6
		.amdhsa_user_sgpr_private_segment_buffer 1
		.amdhsa_user_sgpr_dispatch_ptr 0
		.amdhsa_user_sgpr_queue_ptr 0
		.amdhsa_user_sgpr_kernarg_segment_ptr 1
		.amdhsa_user_sgpr_dispatch_id 0
		.amdhsa_user_sgpr_flat_scratch_init 0
		.amdhsa_user_sgpr_kernarg_preload_length 0
		.amdhsa_user_sgpr_kernarg_preload_offset 0
		.amdhsa_user_sgpr_private_segment_size 0
		.amdhsa_uses_dynamic_stack 0
		.amdhsa_system_sgpr_private_segment_wavefront_offset 0
		.amdhsa_system_sgpr_workgroup_id_x 1
		.amdhsa_system_sgpr_workgroup_id_y 0
		.amdhsa_system_sgpr_workgroup_id_z 0
		.amdhsa_system_sgpr_workgroup_info 0
		.amdhsa_system_vgpr_workitem_id 0
		.amdhsa_next_free_vgpr 1
		.amdhsa_next_free_sgpr 0
		.amdhsa_accum_offset 4
		.amdhsa_reserve_vcc 0
		.amdhsa_reserve_flat_scratch 0
		.amdhsa_float_round_mode_32 0
		.amdhsa_float_round_mode_16_64 0
		.amdhsa_float_denorm_mode_32 3
		.amdhsa_float_denorm_mode_16_64 3
		.amdhsa_dx10_clamp 1
		.amdhsa_ieee_mode 1
		.amdhsa_fp16_overflow 0
		.amdhsa_tg_split 0
		.amdhsa_exception_fp_ieee_invalid_op 0
		.amdhsa_exception_fp_denorm_src 0
		.amdhsa_exception_fp_ieee_div_zero 0
		.amdhsa_exception_fp_ieee_overflow 0
		.amdhsa_exception_fp_ieee_underflow 0
		.amdhsa_exception_fp_ieee_inexact 0
		.amdhsa_exception_int_div_zero 0
	.end_amdhsa_kernel
	.section	.text._ZN7rocprim17ROCPRIM_400000_NS6detail17trampoline_kernelINS0_14default_configENS1_29reduce_by_key_config_selectorIiiN6thrust23THRUST_200600_302600_NS4plusIiEEEEZZNS1_33reduce_by_key_impl_wrapped_configILNS1_25lookback_scan_determinismE0ES3_S9_NS6_6detail15normal_iteratorINS6_10device_ptrIiEEEESG_SG_SG_PmS8_NS6_8equal_toIiEEEE10hipError_tPvRmT2_T3_mT4_T5_T6_T7_T8_P12ihipStream_tbENKUlT_T0_E_clISt17integral_constantIbLb1EES10_IbLb0EEEEDaSW_SX_EUlSW_E_NS1_11comp_targetILNS1_3genE10ELNS1_11target_archE1200ELNS1_3gpuE4ELNS1_3repE0EEENS1_30default_config_static_selectorELNS0_4arch9wavefront6targetE1EEEvT1_,"axG",@progbits,_ZN7rocprim17ROCPRIM_400000_NS6detail17trampoline_kernelINS0_14default_configENS1_29reduce_by_key_config_selectorIiiN6thrust23THRUST_200600_302600_NS4plusIiEEEEZZNS1_33reduce_by_key_impl_wrapped_configILNS1_25lookback_scan_determinismE0ES3_S9_NS6_6detail15normal_iteratorINS6_10device_ptrIiEEEESG_SG_SG_PmS8_NS6_8equal_toIiEEEE10hipError_tPvRmT2_T3_mT4_T5_T6_T7_T8_P12ihipStream_tbENKUlT_T0_E_clISt17integral_constantIbLb1EES10_IbLb0EEEEDaSW_SX_EUlSW_E_NS1_11comp_targetILNS1_3genE10ELNS1_11target_archE1200ELNS1_3gpuE4ELNS1_3repE0EEENS1_30default_config_static_selectorELNS0_4arch9wavefront6targetE1EEEvT1_,comdat
.Lfunc_end571:
	.size	_ZN7rocprim17ROCPRIM_400000_NS6detail17trampoline_kernelINS0_14default_configENS1_29reduce_by_key_config_selectorIiiN6thrust23THRUST_200600_302600_NS4plusIiEEEEZZNS1_33reduce_by_key_impl_wrapped_configILNS1_25lookback_scan_determinismE0ES3_S9_NS6_6detail15normal_iteratorINS6_10device_ptrIiEEEESG_SG_SG_PmS8_NS6_8equal_toIiEEEE10hipError_tPvRmT2_T3_mT4_T5_T6_T7_T8_P12ihipStream_tbENKUlT_T0_E_clISt17integral_constantIbLb1EES10_IbLb0EEEEDaSW_SX_EUlSW_E_NS1_11comp_targetILNS1_3genE10ELNS1_11target_archE1200ELNS1_3gpuE4ELNS1_3repE0EEENS1_30default_config_static_selectorELNS0_4arch9wavefront6targetE1EEEvT1_, .Lfunc_end571-_ZN7rocprim17ROCPRIM_400000_NS6detail17trampoline_kernelINS0_14default_configENS1_29reduce_by_key_config_selectorIiiN6thrust23THRUST_200600_302600_NS4plusIiEEEEZZNS1_33reduce_by_key_impl_wrapped_configILNS1_25lookback_scan_determinismE0ES3_S9_NS6_6detail15normal_iteratorINS6_10device_ptrIiEEEESG_SG_SG_PmS8_NS6_8equal_toIiEEEE10hipError_tPvRmT2_T3_mT4_T5_T6_T7_T8_P12ihipStream_tbENKUlT_T0_E_clISt17integral_constantIbLb1EES10_IbLb0EEEEDaSW_SX_EUlSW_E_NS1_11comp_targetILNS1_3genE10ELNS1_11target_archE1200ELNS1_3gpuE4ELNS1_3repE0EEENS1_30default_config_static_selectorELNS0_4arch9wavefront6targetE1EEEvT1_
                                        ; -- End function
	.section	.AMDGPU.csdata,"",@progbits
; Kernel info:
; codeLenInByte = 0
; NumSgprs: 4
; NumVgprs: 0
; NumAgprs: 0
; TotalNumVgprs: 0
; ScratchSize: 0
; MemoryBound: 0
; FloatMode: 240
; IeeeMode: 1
; LDSByteSize: 0 bytes/workgroup (compile time only)
; SGPRBlocks: 0
; VGPRBlocks: 0
; NumSGPRsForWavesPerEU: 4
; NumVGPRsForWavesPerEU: 1
; AccumOffset: 4
; Occupancy: 8
; WaveLimiterHint : 0
; COMPUTE_PGM_RSRC2:SCRATCH_EN: 0
; COMPUTE_PGM_RSRC2:USER_SGPR: 6
; COMPUTE_PGM_RSRC2:TRAP_HANDLER: 0
; COMPUTE_PGM_RSRC2:TGID_X_EN: 1
; COMPUTE_PGM_RSRC2:TGID_Y_EN: 0
; COMPUTE_PGM_RSRC2:TGID_Z_EN: 0
; COMPUTE_PGM_RSRC2:TIDIG_COMP_CNT: 0
; COMPUTE_PGM_RSRC3_GFX90A:ACCUM_OFFSET: 0
; COMPUTE_PGM_RSRC3_GFX90A:TG_SPLIT: 0
	.section	.text._ZN7rocprim17ROCPRIM_400000_NS6detail17trampoline_kernelINS0_14default_configENS1_29reduce_by_key_config_selectorIiiN6thrust23THRUST_200600_302600_NS4plusIiEEEEZZNS1_33reduce_by_key_impl_wrapped_configILNS1_25lookback_scan_determinismE0ES3_S9_NS6_6detail15normal_iteratorINS6_10device_ptrIiEEEESG_SG_SG_PmS8_NS6_8equal_toIiEEEE10hipError_tPvRmT2_T3_mT4_T5_T6_T7_T8_P12ihipStream_tbENKUlT_T0_E_clISt17integral_constantIbLb1EES10_IbLb0EEEEDaSW_SX_EUlSW_E_NS1_11comp_targetILNS1_3genE9ELNS1_11target_archE1100ELNS1_3gpuE3ELNS1_3repE0EEENS1_30default_config_static_selectorELNS0_4arch9wavefront6targetE1EEEvT1_,"axG",@progbits,_ZN7rocprim17ROCPRIM_400000_NS6detail17trampoline_kernelINS0_14default_configENS1_29reduce_by_key_config_selectorIiiN6thrust23THRUST_200600_302600_NS4plusIiEEEEZZNS1_33reduce_by_key_impl_wrapped_configILNS1_25lookback_scan_determinismE0ES3_S9_NS6_6detail15normal_iteratorINS6_10device_ptrIiEEEESG_SG_SG_PmS8_NS6_8equal_toIiEEEE10hipError_tPvRmT2_T3_mT4_T5_T6_T7_T8_P12ihipStream_tbENKUlT_T0_E_clISt17integral_constantIbLb1EES10_IbLb0EEEEDaSW_SX_EUlSW_E_NS1_11comp_targetILNS1_3genE9ELNS1_11target_archE1100ELNS1_3gpuE3ELNS1_3repE0EEENS1_30default_config_static_selectorELNS0_4arch9wavefront6targetE1EEEvT1_,comdat
	.protected	_ZN7rocprim17ROCPRIM_400000_NS6detail17trampoline_kernelINS0_14default_configENS1_29reduce_by_key_config_selectorIiiN6thrust23THRUST_200600_302600_NS4plusIiEEEEZZNS1_33reduce_by_key_impl_wrapped_configILNS1_25lookback_scan_determinismE0ES3_S9_NS6_6detail15normal_iteratorINS6_10device_ptrIiEEEESG_SG_SG_PmS8_NS6_8equal_toIiEEEE10hipError_tPvRmT2_T3_mT4_T5_T6_T7_T8_P12ihipStream_tbENKUlT_T0_E_clISt17integral_constantIbLb1EES10_IbLb0EEEEDaSW_SX_EUlSW_E_NS1_11comp_targetILNS1_3genE9ELNS1_11target_archE1100ELNS1_3gpuE3ELNS1_3repE0EEENS1_30default_config_static_selectorELNS0_4arch9wavefront6targetE1EEEvT1_ ; -- Begin function _ZN7rocprim17ROCPRIM_400000_NS6detail17trampoline_kernelINS0_14default_configENS1_29reduce_by_key_config_selectorIiiN6thrust23THRUST_200600_302600_NS4plusIiEEEEZZNS1_33reduce_by_key_impl_wrapped_configILNS1_25lookback_scan_determinismE0ES3_S9_NS6_6detail15normal_iteratorINS6_10device_ptrIiEEEESG_SG_SG_PmS8_NS6_8equal_toIiEEEE10hipError_tPvRmT2_T3_mT4_T5_T6_T7_T8_P12ihipStream_tbENKUlT_T0_E_clISt17integral_constantIbLb1EES10_IbLb0EEEEDaSW_SX_EUlSW_E_NS1_11comp_targetILNS1_3genE9ELNS1_11target_archE1100ELNS1_3gpuE3ELNS1_3repE0EEENS1_30default_config_static_selectorELNS0_4arch9wavefront6targetE1EEEvT1_
	.globl	_ZN7rocprim17ROCPRIM_400000_NS6detail17trampoline_kernelINS0_14default_configENS1_29reduce_by_key_config_selectorIiiN6thrust23THRUST_200600_302600_NS4plusIiEEEEZZNS1_33reduce_by_key_impl_wrapped_configILNS1_25lookback_scan_determinismE0ES3_S9_NS6_6detail15normal_iteratorINS6_10device_ptrIiEEEESG_SG_SG_PmS8_NS6_8equal_toIiEEEE10hipError_tPvRmT2_T3_mT4_T5_T6_T7_T8_P12ihipStream_tbENKUlT_T0_E_clISt17integral_constantIbLb1EES10_IbLb0EEEEDaSW_SX_EUlSW_E_NS1_11comp_targetILNS1_3genE9ELNS1_11target_archE1100ELNS1_3gpuE3ELNS1_3repE0EEENS1_30default_config_static_selectorELNS0_4arch9wavefront6targetE1EEEvT1_
	.p2align	8
	.type	_ZN7rocprim17ROCPRIM_400000_NS6detail17trampoline_kernelINS0_14default_configENS1_29reduce_by_key_config_selectorIiiN6thrust23THRUST_200600_302600_NS4plusIiEEEEZZNS1_33reduce_by_key_impl_wrapped_configILNS1_25lookback_scan_determinismE0ES3_S9_NS6_6detail15normal_iteratorINS6_10device_ptrIiEEEESG_SG_SG_PmS8_NS6_8equal_toIiEEEE10hipError_tPvRmT2_T3_mT4_T5_T6_T7_T8_P12ihipStream_tbENKUlT_T0_E_clISt17integral_constantIbLb1EES10_IbLb0EEEEDaSW_SX_EUlSW_E_NS1_11comp_targetILNS1_3genE9ELNS1_11target_archE1100ELNS1_3gpuE3ELNS1_3repE0EEENS1_30default_config_static_selectorELNS0_4arch9wavefront6targetE1EEEvT1_,@function
_ZN7rocprim17ROCPRIM_400000_NS6detail17trampoline_kernelINS0_14default_configENS1_29reduce_by_key_config_selectorIiiN6thrust23THRUST_200600_302600_NS4plusIiEEEEZZNS1_33reduce_by_key_impl_wrapped_configILNS1_25lookback_scan_determinismE0ES3_S9_NS6_6detail15normal_iteratorINS6_10device_ptrIiEEEESG_SG_SG_PmS8_NS6_8equal_toIiEEEE10hipError_tPvRmT2_T3_mT4_T5_T6_T7_T8_P12ihipStream_tbENKUlT_T0_E_clISt17integral_constantIbLb1EES10_IbLb0EEEEDaSW_SX_EUlSW_E_NS1_11comp_targetILNS1_3genE9ELNS1_11target_archE1100ELNS1_3gpuE3ELNS1_3repE0EEENS1_30default_config_static_selectorELNS0_4arch9wavefront6targetE1EEEvT1_: ; @_ZN7rocprim17ROCPRIM_400000_NS6detail17trampoline_kernelINS0_14default_configENS1_29reduce_by_key_config_selectorIiiN6thrust23THRUST_200600_302600_NS4plusIiEEEEZZNS1_33reduce_by_key_impl_wrapped_configILNS1_25lookback_scan_determinismE0ES3_S9_NS6_6detail15normal_iteratorINS6_10device_ptrIiEEEESG_SG_SG_PmS8_NS6_8equal_toIiEEEE10hipError_tPvRmT2_T3_mT4_T5_T6_T7_T8_P12ihipStream_tbENKUlT_T0_E_clISt17integral_constantIbLb1EES10_IbLb0EEEEDaSW_SX_EUlSW_E_NS1_11comp_targetILNS1_3genE9ELNS1_11target_archE1100ELNS1_3gpuE3ELNS1_3repE0EEENS1_30default_config_static_selectorELNS0_4arch9wavefront6targetE1EEEvT1_
; %bb.0:
	.section	.rodata,"a",@progbits
	.p2align	6, 0x0
	.amdhsa_kernel _ZN7rocprim17ROCPRIM_400000_NS6detail17trampoline_kernelINS0_14default_configENS1_29reduce_by_key_config_selectorIiiN6thrust23THRUST_200600_302600_NS4plusIiEEEEZZNS1_33reduce_by_key_impl_wrapped_configILNS1_25lookback_scan_determinismE0ES3_S9_NS6_6detail15normal_iteratorINS6_10device_ptrIiEEEESG_SG_SG_PmS8_NS6_8equal_toIiEEEE10hipError_tPvRmT2_T3_mT4_T5_T6_T7_T8_P12ihipStream_tbENKUlT_T0_E_clISt17integral_constantIbLb1EES10_IbLb0EEEEDaSW_SX_EUlSW_E_NS1_11comp_targetILNS1_3genE9ELNS1_11target_archE1100ELNS1_3gpuE3ELNS1_3repE0EEENS1_30default_config_static_selectorELNS0_4arch9wavefront6targetE1EEEvT1_
		.amdhsa_group_segment_fixed_size 0
		.amdhsa_private_segment_fixed_size 0
		.amdhsa_kernarg_size 120
		.amdhsa_user_sgpr_count 6
		.amdhsa_user_sgpr_private_segment_buffer 1
		.amdhsa_user_sgpr_dispatch_ptr 0
		.amdhsa_user_sgpr_queue_ptr 0
		.amdhsa_user_sgpr_kernarg_segment_ptr 1
		.amdhsa_user_sgpr_dispatch_id 0
		.amdhsa_user_sgpr_flat_scratch_init 0
		.amdhsa_user_sgpr_kernarg_preload_length 0
		.amdhsa_user_sgpr_kernarg_preload_offset 0
		.amdhsa_user_sgpr_private_segment_size 0
		.amdhsa_uses_dynamic_stack 0
		.amdhsa_system_sgpr_private_segment_wavefront_offset 0
		.amdhsa_system_sgpr_workgroup_id_x 1
		.amdhsa_system_sgpr_workgroup_id_y 0
		.amdhsa_system_sgpr_workgroup_id_z 0
		.amdhsa_system_sgpr_workgroup_info 0
		.amdhsa_system_vgpr_workitem_id 0
		.amdhsa_next_free_vgpr 1
		.amdhsa_next_free_sgpr 0
		.amdhsa_accum_offset 4
		.amdhsa_reserve_vcc 0
		.amdhsa_reserve_flat_scratch 0
		.amdhsa_float_round_mode_32 0
		.amdhsa_float_round_mode_16_64 0
		.amdhsa_float_denorm_mode_32 3
		.amdhsa_float_denorm_mode_16_64 3
		.amdhsa_dx10_clamp 1
		.amdhsa_ieee_mode 1
		.amdhsa_fp16_overflow 0
		.amdhsa_tg_split 0
		.amdhsa_exception_fp_ieee_invalid_op 0
		.amdhsa_exception_fp_denorm_src 0
		.amdhsa_exception_fp_ieee_div_zero 0
		.amdhsa_exception_fp_ieee_overflow 0
		.amdhsa_exception_fp_ieee_underflow 0
		.amdhsa_exception_fp_ieee_inexact 0
		.amdhsa_exception_int_div_zero 0
	.end_amdhsa_kernel
	.section	.text._ZN7rocprim17ROCPRIM_400000_NS6detail17trampoline_kernelINS0_14default_configENS1_29reduce_by_key_config_selectorIiiN6thrust23THRUST_200600_302600_NS4plusIiEEEEZZNS1_33reduce_by_key_impl_wrapped_configILNS1_25lookback_scan_determinismE0ES3_S9_NS6_6detail15normal_iteratorINS6_10device_ptrIiEEEESG_SG_SG_PmS8_NS6_8equal_toIiEEEE10hipError_tPvRmT2_T3_mT4_T5_T6_T7_T8_P12ihipStream_tbENKUlT_T0_E_clISt17integral_constantIbLb1EES10_IbLb0EEEEDaSW_SX_EUlSW_E_NS1_11comp_targetILNS1_3genE9ELNS1_11target_archE1100ELNS1_3gpuE3ELNS1_3repE0EEENS1_30default_config_static_selectorELNS0_4arch9wavefront6targetE1EEEvT1_,"axG",@progbits,_ZN7rocprim17ROCPRIM_400000_NS6detail17trampoline_kernelINS0_14default_configENS1_29reduce_by_key_config_selectorIiiN6thrust23THRUST_200600_302600_NS4plusIiEEEEZZNS1_33reduce_by_key_impl_wrapped_configILNS1_25lookback_scan_determinismE0ES3_S9_NS6_6detail15normal_iteratorINS6_10device_ptrIiEEEESG_SG_SG_PmS8_NS6_8equal_toIiEEEE10hipError_tPvRmT2_T3_mT4_T5_T6_T7_T8_P12ihipStream_tbENKUlT_T0_E_clISt17integral_constantIbLb1EES10_IbLb0EEEEDaSW_SX_EUlSW_E_NS1_11comp_targetILNS1_3genE9ELNS1_11target_archE1100ELNS1_3gpuE3ELNS1_3repE0EEENS1_30default_config_static_selectorELNS0_4arch9wavefront6targetE1EEEvT1_,comdat
.Lfunc_end572:
	.size	_ZN7rocprim17ROCPRIM_400000_NS6detail17trampoline_kernelINS0_14default_configENS1_29reduce_by_key_config_selectorIiiN6thrust23THRUST_200600_302600_NS4plusIiEEEEZZNS1_33reduce_by_key_impl_wrapped_configILNS1_25lookback_scan_determinismE0ES3_S9_NS6_6detail15normal_iteratorINS6_10device_ptrIiEEEESG_SG_SG_PmS8_NS6_8equal_toIiEEEE10hipError_tPvRmT2_T3_mT4_T5_T6_T7_T8_P12ihipStream_tbENKUlT_T0_E_clISt17integral_constantIbLb1EES10_IbLb0EEEEDaSW_SX_EUlSW_E_NS1_11comp_targetILNS1_3genE9ELNS1_11target_archE1100ELNS1_3gpuE3ELNS1_3repE0EEENS1_30default_config_static_selectorELNS0_4arch9wavefront6targetE1EEEvT1_, .Lfunc_end572-_ZN7rocprim17ROCPRIM_400000_NS6detail17trampoline_kernelINS0_14default_configENS1_29reduce_by_key_config_selectorIiiN6thrust23THRUST_200600_302600_NS4plusIiEEEEZZNS1_33reduce_by_key_impl_wrapped_configILNS1_25lookback_scan_determinismE0ES3_S9_NS6_6detail15normal_iteratorINS6_10device_ptrIiEEEESG_SG_SG_PmS8_NS6_8equal_toIiEEEE10hipError_tPvRmT2_T3_mT4_T5_T6_T7_T8_P12ihipStream_tbENKUlT_T0_E_clISt17integral_constantIbLb1EES10_IbLb0EEEEDaSW_SX_EUlSW_E_NS1_11comp_targetILNS1_3genE9ELNS1_11target_archE1100ELNS1_3gpuE3ELNS1_3repE0EEENS1_30default_config_static_selectorELNS0_4arch9wavefront6targetE1EEEvT1_
                                        ; -- End function
	.section	.AMDGPU.csdata,"",@progbits
; Kernel info:
; codeLenInByte = 0
; NumSgprs: 4
; NumVgprs: 0
; NumAgprs: 0
; TotalNumVgprs: 0
; ScratchSize: 0
; MemoryBound: 0
; FloatMode: 240
; IeeeMode: 1
; LDSByteSize: 0 bytes/workgroup (compile time only)
; SGPRBlocks: 0
; VGPRBlocks: 0
; NumSGPRsForWavesPerEU: 4
; NumVGPRsForWavesPerEU: 1
; AccumOffset: 4
; Occupancy: 8
; WaveLimiterHint : 0
; COMPUTE_PGM_RSRC2:SCRATCH_EN: 0
; COMPUTE_PGM_RSRC2:USER_SGPR: 6
; COMPUTE_PGM_RSRC2:TRAP_HANDLER: 0
; COMPUTE_PGM_RSRC2:TGID_X_EN: 1
; COMPUTE_PGM_RSRC2:TGID_Y_EN: 0
; COMPUTE_PGM_RSRC2:TGID_Z_EN: 0
; COMPUTE_PGM_RSRC2:TIDIG_COMP_CNT: 0
; COMPUTE_PGM_RSRC3_GFX90A:ACCUM_OFFSET: 0
; COMPUTE_PGM_RSRC3_GFX90A:TG_SPLIT: 0
	.section	.text._ZN7rocprim17ROCPRIM_400000_NS6detail17trampoline_kernelINS0_14default_configENS1_29reduce_by_key_config_selectorIiiN6thrust23THRUST_200600_302600_NS4plusIiEEEEZZNS1_33reduce_by_key_impl_wrapped_configILNS1_25lookback_scan_determinismE0ES3_S9_NS6_6detail15normal_iteratorINS6_10device_ptrIiEEEESG_SG_SG_PmS8_NS6_8equal_toIiEEEE10hipError_tPvRmT2_T3_mT4_T5_T6_T7_T8_P12ihipStream_tbENKUlT_T0_E_clISt17integral_constantIbLb1EES10_IbLb0EEEEDaSW_SX_EUlSW_E_NS1_11comp_targetILNS1_3genE8ELNS1_11target_archE1030ELNS1_3gpuE2ELNS1_3repE0EEENS1_30default_config_static_selectorELNS0_4arch9wavefront6targetE1EEEvT1_,"axG",@progbits,_ZN7rocprim17ROCPRIM_400000_NS6detail17trampoline_kernelINS0_14default_configENS1_29reduce_by_key_config_selectorIiiN6thrust23THRUST_200600_302600_NS4plusIiEEEEZZNS1_33reduce_by_key_impl_wrapped_configILNS1_25lookback_scan_determinismE0ES3_S9_NS6_6detail15normal_iteratorINS6_10device_ptrIiEEEESG_SG_SG_PmS8_NS6_8equal_toIiEEEE10hipError_tPvRmT2_T3_mT4_T5_T6_T7_T8_P12ihipStream_tbENKUlT_T0_E_clISt17integral_constantIbLb1EES10_IbLb0EEEEDaSW_SX_EUlSW_E_NS1_11comp_targetILNS1_3genE8ELNS1_11target_archE1030ELNS1_3gpuE2ELNS1_3repE0EEENS1_30default_config_static_selectorELNS0_4arch9wavefront6targetE1EEEvT1_,comdat
	.protected	_ZN7rocprim17ROCPRIM_400000_NS6detail17trampoline_kernelINS0_14default_configENS1_29reduce_by_key_config_selectorIiiN6thrust23THRUST_200600_302600_NS4plusIiEEEEZZNS1_33reduce_by_key_impl_wrapped_configILNS1_25lookback_scan_determinismE0ES3_S9_NS6_6detail15normal_iteratorINS6_10device_ptrIiEEEESG_SG_SG_PmS8_NS6_8equal_toIiEEEE10hipError_tPvRmT2_T3_mT4_T5_T6_T7_T8_P12ihipStream_tbENKUlT_T0_E_clISt17integral_constantIbLb1EES10_IbLb0EEEEDaSW_SX_EUlSW_E_NS1_11comp_targetILNS1_3genE8ELNS1_11target_archE1030ELNS1_3gpuE2ELNS1_3repE0EEENS1_30default_config_static_selectorELNS0_4arch9wavefront6targetE1EEEvT1_ ; -- Begin function _ZN7rocprim17ROCPRIM_400000_NS6detail17trampoline_kernelINS0_14default_configENS1_29reduce_by_key_config_selectorIiiN6thrust23THRUST_200600_302600_NS4plusIiEEEEZZNS1_33reduce_by_key_impl_wrapped_configILNS1_25lookback_scan_determinismE0ES3_S9_NS6_6detail15normal_iteratorINS6_10device_ptrIiEEEESG_SG_SG_PmS8_NS6_8equal_toIiEEEE10hipError_tPvRmT2_T3_mT4_T5_T6_T7_T8_P12ihipStream_tbENKUlT_T0_E_clISt17integral_constantIbLb1EES10_IbLb0EEEEDaSW_SX_EUlSW_E_NS1_11comp_targetILNS1_3genE8ELNS1_11target_archE1030ELNS1_3gpuE2ELNS1_3repE0EEENS1_30default_config_static_selectorELNS0_4arch9wavefront6targetE1EEEvT1_
	.globl	_ZN7rocprim17ROCPRIM_400000_NS6detail17trampoline_kernelINS0_14default_configENS1_29reduce_by_key_config_selectorIiiN6thrust23THRUST_200600_302600_NS4plusIiEEEEZZNS1_33reduce_by_key_impl_wrapped_configILNS1_25lookback_scan_determinismE0ES3_S9_NS6_6detail15normal_iteratorINS6_10device_ptrIiEEEESG_SG_SG_PmS8_NS6_8equal_toIiEEEE10hipError_tPvRmT2_T3_mT4_T5_T6_T7_T8_P12ihipStream_tbENKUlT_T0_E_clISt17integral_constantIbLb1EES10_IbLb0EEEEDaSW_SX_EUlSW_E_NS1_11comp_targetILNS1_3genE8ELNS1_11target_archE1030ELNS1_3gpuE2ELNS1_3repE0EEENS1_30default_config_static_selectorELNS0_4arch9wavefront6targetE1EEEvT1_
	.p2align	8
	.type	_ZN7rocprim17ROCPRIM_400000_NS6detail17trampoline_kernelINS0_14default_configENS1_29reduce_by_key_config_selectorIiiN6thrust23THRUST_200600_302600_NS4plusIiEEEEZZNS1_33reduce_by_key_impl_wrapped_configILNS1_25lookback_scan_determinismE0ES3_S9_NS6_6detail15normal_iteratorINS6_10device_ptrIiEEEESG_SG_SG_PmS8_NS6_8equal_toIiEEEE10hipError_tPvRmT2_T3_mT4_T5_T6_T7_T8_P12ihipStream_tbENKUlT_T0_E_clISt17integral_constantIbLb1EES10_IbLb0EEEEDaSW_SX_EUlSW_E_NS1_11comp_targetILNS1_3genE8ELNS1_11target_archE1030ELNS1_3gpuE2ELNS1_3repE0EEENS1_30default_config_static_selectorELNS0_4arch9wavefront6targetE1EEEvT1_,@function
_ZN7rocprim17ROCPRIM_400000_NS6detail17trampoline_kernelINS0_14default_configENS1_29reduce_by_key_config_selectorIiiN6thrust23THRUST_200600_302600_NS4plusIiEEEEZZNS1_33reduce_by_key_impl_wrapped_configILNS1_25lookback_scan_determinismE0ES3_S9_NS6_6detail15normal_iteratorINS6_10device_ptrIiEEEESG_SG_SG_PmS8_NS6_8equal_toIiEEEE10hipError_tPvRmT2_T3_mT4_T5_T6_T7_T8_P12ihipStream_tbENKUlT_T0_E_clISt17integral_constantIbLb1EES10_IbLb0EEEEDaSW_SX_EUlSW_E_NS1_11comp_targetILNS1_3genE8ELNS1_11target_archE1030ELNS1_3gpuE2ELNS1_3repE0EEENS1_30default_config_static_selectorELNS0_4arch9wavefront6targetE1EEEvT1_: ; @_ZN7rocprim17ROCPRIM_400000_NS6detail17trampoline_kernelINS0_14default_configENS1_29reduce_by_key_config_selectorIiiN6thrust23THRUST_200600_302600_NS4plusIiEEEEZZNS1_33reduce_by_key_impl_wrapped_configILNS1_25lookback_scan_determinismE0ES3_S9_NS6_6detail15normal_iteratorINS6_10device_ptrIiEEEESG_SG_SG_PmS8_NS6_8equal_toIiEEEE10hipError_tPvRmT2_T3_mT4_T5_T6_T7_T8_P12ihipStream_tbENKUlT_T0_E_clISt17integral_constantIbLb1EES10_IbLb0EEEEDaSW_SX_EUlSW_E_NS1_11comp_targetILNS1_3genE8ELNS1_11target_archE1030ELNS1_3gpuE2ELNS1_3repE0EEENS1_30default_config_static_selectorELNS0_4arch9wavefront6targetE1EEEvT1_
; %bb.0:
	.section	.rodata,"a",@progbits
	.p2align	6, 0x0
	.amdhsa_kernel _ZN7rocprim17ROCPRIM_400000_NS6detail17trampoline_kernelINS0_14default_configENS1_29reduce_by_key_config_selectorIiiN6thrust23THRUST_200600_302600_NS4plusIiEEEEZZNS1_33reduce_by_key_impl_wrapped_configILNS1_25lookback_scan_determinismE0ES3_S9_NS6_6detail15normal_iteratorINS6_10device_ptrIiEEEESG_SG_SG_PmS8_NS6_8equal_toIiEEEE10hipError_tPvRmT2_T3_mT4_T5_T6_T7_T8_P12ihipStream_tbENKUlT_T0_E_clISt17integral_constantIbLb1EES10_IbLb0EEEEDaSW_SX_EUlSW_E_NS1_11comp_targetILNS1_3genE8ELNS1_11target_archE1030ELNS1_3gpuE2ELNS1_3repE0EEENS1_30default_config_static_selectorELNS0_4arch9wavefront6targetE1EEEvT1_
		.amdhsa_group_segment_fixed_size 0
		.amdhsa_private_segment_fixed_size 0
		.amdhsa_kernarg_size 120
		.amdhsa_user_sgpr_count 6
		.amdhsa_user_sgpr_private_segment_buffer 1
		.amdhsa_user_sgpr_dispatch_ptr 0
		.amdhsa_user_sgpr_queue_ptr 0
		.amdhsa_user_sgpr_kernarg_segment_ptr 1
		.amdhsa_user_sgpr_dispatch_id 0
		.amdhsa_user_sgpr_flat_scratch_init 0
		.amdhsa_user_sgpr_kernarg_preload_length 0
		.amdhsa_user_sgpr_kernarg_preload_offset 0
		.amdhsa_user_sgpr_private_segment_size 0
		.amdhsa_uses_dynamic_stack 0
		.amdhsa_system_sgpr_private_segment_wavefront_offset 0
		.amdhsa_system_sgpr_workgroup_id_x 1
		.amdhsa_system_sgpr_workgroup_id_y 0
		.amdhsa_system_sgpr_workgroup_id_z 0
		.amdhsa_system_sgpr_workgroup_info 0
		.amdhsa_system_vgpr_workitem_id 0
		.amdhsa_next_free_vgpr 1
		.amdhsa_next_free_sgpr 0
		.amdhsa_accum_offset 4
		.amdhsa_reserve_vcc 0
		.amdhsa_reserve_flat_scratch 0
		.amdhsa_float_round_mode_32 0
		.amdhsa_float_round_mode_16_64 0
		.amdhsa_float_denorm_mode_32 3
		.amdhsa_float_denorm_mode_16_64 3
		.amdhsa_dx10_clamp 1
		.amdhsa_ieee_mode 1
		.amdhsa_fp16_overflow 0
		.amdhsa_tg_split 0
		.amdhsa_exception_fp_ieee_invalid_op 0
		.amdhsa_exception_fp_denorm_src 0
		.amdhsa_exception_fp_ieee_div_zero 0
		.amdhsa_exception_fp_ieee_overflow 0
		.amdhsa_exception_fp_ieee_underflow 0
		.amdhsa_exception_fp_ieee_inexact 0
		.amdhsa_exception_int_div_zero 0
	.end_amdhsa_kernel
	.section	.text._ZN7rocprim17ROCPRIM_400000_NS6detail17trampoline_kernelINS0_14default_configENS1_29reduce_by_key_config_selectorIiiN6thrust23THRUST_200600_302600_NS4plusIiEEEEZZNS1_33reduce_by_key_impl_wrapped_configILNS1_25lookback_scan_determinismE0ES3_S9_NS6_6detail15normal_iteratorINS6_10device_ptrIiEEEESG_SG_SG_PmS8_NS6_8equal_toIiEEEE10hipError_tPvRmT2_T3_mT4_T5_T6_T7_T8_P12ihipStream_tbENKUlT_T0_E_clISt17integral_constantIbLb1EES10_IbLb0EEEEDaSW_SX_EUlSW_E_NS1_11comp_targetILNS1_3genE8ELNS1_11target_archE1030ELNS1_3gpuE2ELNS1_3repE0EEENS1_30default_config_static_selectorELNS0_4arch9wavefront6targetE1EEEvT1_,"axG",@progbits,_ZN7rocprim17ROCPRIM_400000_NS6detail17trampoline_kernelINS0_14default_configENS1_29reduce_by_key_config_selectorIiiN6thrust23THRUST_200600_302600_NS4plusIiEEEEZZNS1_33reduce_by_key_impl_wrapped_configILNS1_25lookback_scan_determinismE0ES3_S9_NS6_6detail15normal_iteratorINS6_10device_ptrIiEEEESG_SG_SG_PmS8_NS6_8equal_toIiEEEE10hipError_tPvRmT2_T3_mT4_T5_T6_T7_T8_P12ihipStream_tbENKUlT_T0_E_clISt17integral_constantIbLb1EES10_IbLb0EEEEDaSW_SX_EUlSW_E_NS1_11comp_targetILNS1_3genE8ELNS1_11target_archE1030ELNS1_3gpuE2ELNS1_3repE0EEENS1_30default_config_static_selectorELNS0_4arch9wavefront6targetE1EEEvT1_,comdat
.Lfunc_end573:
	.size	_ZN7rocprim17ROCPRIM_400000_NS6detail17trampoline_kernelINS0_14default_configENS1_29reduce_by_key_config_selectorIiiN6thrust23THRUST_200600_302600_NS4plusIiEEEEZZNS1_33reduce_by_key_impl_wrapped_configILNS1_25lookback_scan_determinismE0ES3_S9_NS6_6detail15normal_iteratorINS6_10device_ptrIiEEEESG_SG_SG_PmS8_NS6_8equal_toIiEEEE10hipError_tPvRmT2_T3_mT4_T5_T6_T7_T8_P12ihipStream_tbENKUlT_T0_E_clISt17integral_constantIbLb1EES10_IbLb0EEEEDaSW_SX_EUlSW_E_NS1_11comp_targetILNS1_3genE8ELNS1_11target_archE1030ELNS1_3gpuE2ELNS1_3repE0EEENS1_30default_config_static_selectorELNS0_4arch9wavefront6targetE1EEEvT1_, .Lfunc_end573-_ZN7rocprim17ROCPRIM_400000_NS6detail17trampoline_kernelINS0_14default_configENS1_29reduce_by_key_config_selectorIiiN6thrust23THRUST_200600_302600_NS4plusIiEEEEZZNS1_33reduce_by_key_impl_wrapped_configILNS1_25lookback_scan_determinismE0ES3_S9_NS6_6detail15normal_iteratorINS6_10device_ptrIiEEEESG_SG_SG_PmS8_NS6_8equal_toIiEEEE10hipError_tPvRmT2_T3_mT4_T5_T6_T7_T8_P12ihipStream_tbENKUlT_T0_E_clISt17integral_constantIbLb1EES10_IbLb0EEEEDaSW_SX_EUlSW_E_NS1_11comp_targetILNS1_3genE8ELNS1_11target_archE1030ELNS1_3gpuE2ELNS1_3repE0EEENS1_30default_config_static_selectorELNS0_4arch9wavefront6targetE1EEEvT1_
                                        ; -- End function
	.section	.AMDGPU.csdata,"",@progbits
; Kernel info:
; codeLenInByte = 0
; NumSgprs: 4
; NumVgprs: 0
; NumAgprs: 0
; TotalNumVgprs: 0
; ScratchSize: 0
; MemoryBound: 0
; FloatMode: 240
; IeeeMode: 1
; LDSByteSize: 0 bytes/workgroup (compile time only)
; SGPRBlocks: 0
; VGPRBlocks: 0
; NumSGPRsForWavesPerEU: 4
; NumVGPRsForWavesPerEU: 1
; AccumOffset: 4
; Occupancy: 8
; WaveLimiterHint : 0
; COMPUTE_PGM_RSRC2:SCRATCH_EN: 0
; COMPUTE_PGM_RSRC2:USER_SGPR: 6
; COMPUTE_PGM_RSRC2:TRAP_HANDLER: 0
; COMPUTE_PGM_RSRC2:TGID_X_EN: 1
; COMPUTE_PGM_RSRC2:TGID_Y_EN: 0
; COMPUTE_PGM_RSRC2:TGID_Z_EN: 0
; COMPUTE_PGM_RSRC2:TIDIG_COMP_CNT: 0
; COMPUTE_PGM_RSRC3_GFX90A:ACCUM_OFFSET: 0
; COMPUTE_PGM_RSRC3_GFX90A:TG_SPLIT: 0
	.section	.text._ZN7rocprim17ROCPRIM_400000_NS6detail25reduce_by_key_init_kernelINS1_19lookback_scan_stateINS0_5tupleIJjiEEELb0ELb1EEEiNS1_16block_id_wrapperIjLb1EEEEEvT_jbjPmPT0_T1_,"axG",@progbits,_ZN7rocprim17ROCPRIM_400000_NS6detail25reduce_by_key_init_kernelINS1_19lookback_scan_stateINS0_5tupleIJjiEEELb0ELb1EEEiNS1_16block_id_wrapperIjLb1EEEEEvT_jbjPmPT0_T1_,comdat
	.protected	_ZN7rocprim17ROCPRIM_400000_NS6detail25reduce_by_key_init_kernelINS1_19lookback_scan_stateINS0_5tupleIJjiEEELb0ELb1EEEiNS1_16block_id_wrapperIjLb1EEEEEvT_jbjPmPT0_T1_ ; -- Begin function _ZN7rocprim17ROCPRIM_400000_NS6detail25reduce_by_key_init_kernelINS1_19lookback_scan_stateINS0_5tupleIJjiEEELb0ELb1EEEiNS1_16block_id_wrapperIjLb1EEEEEvT_jbjPmPT0_T1_
	.globl	_ZN7rocprim17ROCPRIM_400000_NS6detail25reduce_by_key_init_kernelINS1_19lookback_scan_stateINS0_5tupleIJjiEEELb0ELb1EEEiNS1_16block_id_wrapperIjLb1EEEEEvT_jbjPmPT0_T1_
	.p2align	8
	.type	_ZN7rocprim17ROCPRIM_400000_NS6detail25reduce_by_key_init_kernelINS1_19lookback_scan_stateINS0_5tupleIJjiEEELb0ELb1EEEiNS1_16block_id_wrapperIjLb1EEEEEvT_jbjPmPT0_T1_,@function
_ZN7rocprim17ROCPRIM_400000_NS6detail25reduce_by_key_init_kernelINS1_19lookback_scan_stateINS0_5tupleIJjiEEELb0ELb1EEEiNS1_16block_id_wrapperIjLb1EEEEEvT_jbjPmPT0_T1_: ; @_ZN7rocprim17ROCPRIM_400000_NS6detail25reduce_by_key_init_kernelINS1_19lookback_scan_stateINS0_5tupleIJjiEEELb0ELb1EEEiNS1_16block_id_wrapperIjLb1EEEEEvT_jbjPmPT0_T1_
; %bb.0:
	s_load_dwordx8 s[8:15], s[4:5], 0x8
	s_load_dword s0, s[4:5], 0x3c
	s_load_dwordx2 s[16:17], s[4:5], 0x28
	s_load_dwordx2 s[2:3], s[4:5], 0x0
	s_waitcnt lgkmcnt(0)
	s_and_b32 s1, s9, 1
	s_and_b32 s0, s0, 0xffff
	s_mul_i32 s6, s6, s0
	s_cmp_eq_u32 s1, 0
	v_add_u32_e32 v0, s6, v0
	s_mov_b64 s[0:1], -1
	s_cbranch_scc1 .LBB574_6
; %bb.1:
	s_andn2_b64 vcc, exec, s[0:1]
	v_cmp_eq_u32_e64 s[0:1], 0, v0
	s_cbranch_vccz .LBB574_13
.LBB574_2:
	v_cmp_eq_u32_e32 vcc, 0, v0
	s_and_saveexec_b64 s[0:1], vcc
	s_cbranch_execnz .LBB574_16
.LBB574_3:
	s_or_b64 exec, exec, s[0:1]
	v_cmp_gt_u32_e32 vcc, s8, v0
	s_and_saveexec_b64 s[0:1], vcc
	s_cbranch_execnz .LBB574_17
.LBB574_4:
	s_or_b64 exec, exec, s[0:1]
	v_cmp_gt_u32_e32 vcc, 64, v0
	s_and_saveexec_b64 s[0:1], vcc
	s_cbranch_execnz .LBB574_18
.LBB574_5:
	s_endpgm
.LBB574_6:
	s_cmp_lt_u32 s10, s8
	s_cselect_b32 s0, s10, 0
	v_cmp_eq_u32_e32 vcc, s0, v0
	s_and_saveexec_b64 s[0:1], vcc
	s_cbranch_execz .LBB574_12
; %bb.7:
	s_add_i32 s4, s10, 64
	s_mov_b32 s5, 0
	s_lshl_b64 s[4:5], s[4:5], 4
	s_add_u32 s10, s2, s4
	s_addc_u32 s11, s3, s5
	v_pk_mov_b32 v[2:3], s[10:11], s[10:11] op_sel:[0,1]
	;;#ASMSTART
	global_load_dwordx4 v[2:5], v[2:3] off glc	
s_waitcnt vmcnt(0)
	;;#ASMEND
	v_mov_b32_e32 v7, 0
	v_and_b32_e32 v6, 0xff, v4
	s_mov_b64 s[6:7], 0
	v_cmp_eq_u64_e32 vcc, 0, v[6:7]
	s_and_saveexec_b64 s[4:5], vcc
	s_cbranch_execz .LBB574_11
; %bb.8:
	v_pk_mov_b32 v[8:9], s[10:11], s[10:11] op_sel:[0,1]
.LBB574_9:                              ; =>This Inner Loop Header: Depth=1
	;;#ASMSTART
	global_load_dwordx4 v[2:5], v[8:9] off glc	
s_waitcnt vmcnt(0)
	;;#ASMEND
	v_and_b32_e32 v6, 0xff, v4
	v_cmp_ne_u64_e32 vcc, 0, v[6:7]
	s_or_b64 s[6:7], vcc, s[6:7]
	s_andn2_b64 exec, exec, s[6:7]
	s_cbranch_execnz .LBB574_9
; %bb.10:
	s_or_b64 exec, exec, s[6:7]
.LBB574_11:
	s_or_b64 exec, exec, s[4:5]
	v_mov_b32_e32 v1, 0
	global_load_dwordx2 v[4:5], v1, s[12:13]
	s_waitcnt vmcnt(0)
	v_add_co_u32_e32 v4, vcc, v4, v2
	v_addc_co_u32_e32 v5, vcc, 0, v5, vcc
	global_store_dwordx2 v1, v[4:5], s[12:13]
	global_store_dword v1, v3, s[14:15]
.LBB574_12:
	s_or_b64 exec, exec, s[0:1]
	v_cmp_eq_u32_e64 s[0:1], 0, v0
	s_cbranch_execnz .LBB574_2
.LBB574_13:
	s_cmp_lg_u64 s[12:13], 0
	s_cselect_b64 s[4:5], -1, 0
	s_and_b64 s[4:5], s[4:5], s[0:1]
	s_and_saveexec_b64 s[0:1], s[4:5]
	s_cbranch_execz .LBB574_15
; %bb.14:
	v_mov_b32_e32 v2, 0
	v_mov_b32_e32 v3, v2
	global_store_dwordx2 v2, v[2:3], s[12:13]
.LBB574_15:
	s_or_b64 exec, exec, s[0:1]
	v_cmp_eq_u32_e32 vcc, 0, v0
	s_and_saveexec_b64 s[0:1], vcc
	s_cbranch_execz .LBB574_3
.LBB574_16:
	v_mov_b32_e32 v1, 0
	global_store_dword v1, v1, s[16:17]
	s_or_b64 exec, exec, s[0:1]
	v_cmp_gt_u32_e32 vcc, s8, v0
	s_and_saveexec_b64 s[0:1], vcc
	s_cbranch_execz .LBB574_4
.LBB574_17:
	v_add_u32_e32 v2, 64, v0
	v_mov_b32_e32 v3, 0
	v_lshlrev_b64 v[4:5], 4, v[2:3]
	v_mov_b32_e32 v1, s3
	v_add_co_u32_e32 v6, vcc, s2, v4
	v_addc_co_u32_e32 v7, vcc, v1, v5, vcc
	v_mov_b32_e32 v2, v3
	v_mov_b32_e32 v4, v3
	;; [unrolled: 1-line block ×3, first 2 shown]
	global_store_dwordx4 v[6:7], v[2:5], off
	s_or_b64 exec, exec, s[0:1]
	v_cmp_gt_u32_e32 vcc, 64, v0
	s_and_saveexec_b64 s[0:1], vcc
	s_cbranch_execz .LBB574_5
.LBB574_18:
	v_mov_b32_e32 v1, 0
	v_lshlrev_b64 v[2:3], 4, v[0:1]
	v_mov_b32_e32 v0, s3
	v_add_co_u32_e32 v4, vcc, s2, v2
	v_addc_co_u32_e32 v5, vcc, v0, v3, vcc
	v_mov_b32_e32 v2, 0xff
	v_mov_b32_e32 v0, v1
	;; [unrolled: 1-line block ×3, first 2 shown]
	global_store_dwordx4 v[4:5], v[0:3], off
	s_endpgm
	.section	.rodata,"a",@progbits
	.p2align	6, 0x0
	.amdhsa_kernel _ZN7rocprim17ROCPRIM_400000_NS6detail25reduce_by_key_init_kernelINS1_19lookback_scan_stateINS0_5tupleIJjiEEELb0ELb1EEEiNS1_16block_id_wrapperIjLb1EEEEEvT_jbjPmPT0_T1_
		.amdhsa_group_segment_fixed_size 0
		.amdhsa_private_segment_fixed_size 0
		.amdhsa_kernarg_size 304
		.amdhsa_user_sgpr_count 6
		.amdhsa_user_sgpr_private_segment_buffer 1
		.amdhsa_user_sgpr_dispatch_ptr 0
		.amdhsa_user_sgpr_queue_ptr 0
		.amdhsa_user_sgpr_kernarg_segment_ptr 1
		.amdhsa_user_sgpr_dispatch_id 0
		.amdhsa_user_sgpr_flat_scratch_init 0
		.amdhsa_user_sgpr_kernarg_preload_length 0
		.amdhsa_user_sgpr_kernarg_preload_offset 0
		.amdhsa_user_sgpr_private_segment_size 0
		.amdhsa_uses_dynamic_stack 0
		.amdhsa_system_sgpr_private_segment_wavefront_offset 0
		.amdhsa_system_sgpr_workgroup_id_x 1
		.amdhsa_system_sgpr_workgroup_id_y 0
		.amdhsa_system_sgpr_workgroup_id_z 0
		.amdhsa_system_sgpr_workgroup_info 0
		.amdhsa_system_vgpr_workitem_id 0
		.amdhsa_next_free_vgpr 10
		.amdhsa_next_free_sgpr 18
		.amdhsa_accum_offset 12
		.amdhsa_reserve_vcc 1
		.amdhsa_reserve_flat_scratch 0
		.amdhsa_float_round_mode_32 0
		.amdhsa_float_round_mode_16_64 0
		.amdhsa_float_denorm_mode_32 3
		.amdhsa_float_denorm_mode_16_64 3
		.amdhsa_dx10_clamp 1
		.amdhsa_ieee_mode 1
		.amdhsa_fp16_overflow 0
		.amdhsa_tg_split 0
		.amdhsa_exception_fp_ieee_invalid_op 0
		.amdhsa_exception_fp_denorm_src 0
		.amdhsa_exception_fp_ieee_div_zero 0
		.amdhsa_exception_fp_ieee_overflow 0
		.amdhsa_exception_fp_ieee_underflow 0
		.amdhsa_exception_fp_ieee_inexact 0
		.amdhsa_exception_int_div_zero 0
	.end_amdhsa_kernel
	.section	.text._ZN7rocprim17ROCPRIM_400000_NS6detail25reduce_by_key_init_kernelINS1_19lookback_scan_stateINS0_5tupleIJjiEEELb0ELb1EEEiNS1_16block_id_wrapperIjLb1EEEEEvT_jbjPmPT0_T1_,"axG",@progbits,_ZN7rocprim17ROCPRIM_400000_NS6detail25reduce_by_key_init_kernelINS1_19lookback_scan_stateINS0_5tupleIJjiEEELb0ELb1EEEiNS1_16block_id_wrapperIjLb1EEEEEvT_jbjPmPT0_T1_,comdat
.Lfunc_end574:
	.size	_ZN7rocprim17ROCPRIM_400000_NS6detail25reduce_by_key_init_kernelINS1_19lookback_scan_stateINS0_5tupleIJjiEEELb0ELb1EEEiNS1_16block_id_wrapperIjLb1EEEEEvT_jbjPmPT0_T1_, .Lfunc_end574-_ZN7rocprim17ROCPRIM_400000_NS6detail25reduce_by_key_init_kernelINS1_19lookback_scan_stateINS0_5tupleIJjiEEELb0ELb1EEEiNS1_16block_id_wrapperIjLb1EEEEEvT_jbjPmPT0_T1_
                                        ; -- End function
	.section	.AMDGPU.csdata,"",@progbits
; Kernel info:
; codeLenInByte = 532
; NumSgprs: 22
; NumVgprs: 10
; NumAgprs: 0
; TotalNumVgprs: 10
; ScratchSize: 0
; MemoryBound: 0
; FloatMode: 240
; IeeeMode: 1
; LDSByteSize: 0 bytes/workgroup (compile time only)
; SGPRBlocks: 2
; VGPRBlocks: 1
; NumSGPRsForWavesPerEU: 22
; NumVGPRsForWavesPerEU: 10
; AccumOffset: 12
; Occupancy: 8
; WaveLimiterHint : 0
; COMPUTE_PGM_RSRC2:SCRATCH_EN: 0
; COMPUTE_PGM_RSRC2:USER_SGPR: 6
; COMPUTE_PGM_RSRC2:TRAP_HANDLER: 0
; COMPUTE_PGM_RSRC2:TGID_X_EN: 1
; COMPUTE_PGM_RSRC2:TGID_Y_EN: 0
; COMPUTE_PGM_RSRC2:TGID_Z_EN: 0
; COMPUTE_PGM_RSRC2:TIDIG_COMP_CNT: 0
; COMPUTE_PGM_RSRC3_GFX90A:ACCUM_OFFSET: 2
; COMPUTE_PGM_RSRC3_GFX90A:TG_SPLIT: 0
	.section	.text._ZN7rocprim17ROCPRIM_400000_NS6detail17trampoline_kernelINS0_14default_configENS1_29reduce_by_key_config_selectorIiiN6thrust23THRUST_200600_302600_NS4plusIiEEEEZZNS1_33reduce_by_key_impl_wrapped_configILNS1_25lookback_scan_determinismE0ES3_S9_NS6_6detail15normal_iteratorINS6_10device_ptrIiEEEESG_SG_SG_PmS8_NS6_8equal_toIiEEEE10hipError_tPvRmT2_T3_mT4_T5_T6_T7_T8_P12ihipStream_tbENKUlT_T0_E_clISt17integral_constantIbLb0EES10_IbLb1EEEEDaSW_SX_EUlSW_E_NS1_11comp_targetILNS1_3genE0ELNS1_11target_archE4294967295ELNS1_3gpuE0ELNS1_3repE0EEENS1_30default_config_static_selectorELNS0_4arch9wavefront6targetE1EEEvT1_,"axG",@progbits,_ZN7rocprim17ROCPRIM_400000_NS6detail17trampoline_kernelINS0_14default_configENS1_29reduce_by_key_config_selectorIiiN6thrust23THRUST_200600_302600_NS4plusIiEEEEZZNS1_33reduce_by_key_impl_wrapped_configILNS1_25lookback_scan_determinismE0ES3_S9_NS6_6detail15normal_iteratorINS6_10device_ptrIiEEEESG_SG_SG_PmS8_NS6_8equal_toIiEEEE10hipError_tPvRmT2_T3_mT4_T5_T6_T7_T8_P12ihipStream_tbENKUlT_T0_E_clISt17integral_constantIbLb0EES10_IbLb1EEEEDaSW_SX_EUlSW_E_NS1_11comp_targetILNS1_3genE0ELNS1_11target_archE4294967295ELNS1_3gpuE0ELNS1_3repE0EEENS1_30default_config_static_selectorELNS0_4arch9wavefront6targetE1EEEvT1_,comdat
	.protected	_ZN7rocprim17ROCPRIM_400000_NS6detail17trampoline_kernelINS0_14default_configENS1_29reduce_by_key_config_selectorIiiN6thrust23THRUST_200600_302600_NS4plusIiEEEEZZNS1_33reduce_by_key_impl_wrapped_configILNS1_25lookback_scan_determinismE0ES3_S9_NS6_6detail15normal_iteratorINS6_10device_ptrIiEEEESG_SG_SG_PmS8_NS6_8equal_toIiEEEE10hipError_tPvRmT2_T3_mT4_T5_T6_T7_T8_P12ihipStream_tbENKUlT_T0_E_clISt17integral_constantIbLb0EES10_IbLb1EEEEDaSW_SX_EUlSW_E_NS1_11comp_targetILNS1_3genE0ELNS1_11target_archE4294967295ELNS1_3gpuE0ELNS1_3repE0EEENS1_30default_config_static_selectorELNS0_4arch9wavefront6targetE1EEEvT1_ ; -- Begin function _ZN7rocprim17ROCPRIM_400000_NS6detail17trampoline_kernelINS0_14default_configENS1_29reduce_by_key_config_selectorIiiN6thrust23THRUST_200600_302600_NS4plusIiEEEEZZNS1_33reduce_by_key_impl_wrapped_configILNS1_25lookback_scan_determinismE0ES3_S9_NS6_6detail15normal_iteratorINS6_10device_ptrIiEEEESG_SG_SG_PmS8_NS6_8equal_toIiEEEE10hipError_tPvRmT2_T3_mT4_T5_T6_T7_T8_P12ihipStream_tbENKUlT_T0_E_clISt17integral_constantIbLb0EES10_IbLb1EEEEDaSW_SX_EUlSW_E_NS1_11comp_targetILNS1_3genE0ELNS1_11target_archE4294967295ELNS1_3gpuE0ELNS1_3repE0EEENS1_30default_config_static_selectorELNS0_4arch9wavefront6targetE1EEEvT1_
	.globl	_ZN7rocprim17ROCPRIM_400000_NS6detail17trampoline_kernelINS0_14default_configENS1_29reduce_by_key_config_selectorIiiN6thrust23THRUST_200600_302600_NS4plusIiEEEEZZNS1_33reduce_by_key_impl_wrapped_configILNS1_25lookback_scan_determinismE0ES3_S9_NS6_6detail15normal_iteratorINS6_10device_ptrIiEEEESG_SG_SG_PmS8_NS6_8equal_toIiEEEE10hipError_tPvRmT2_T3_mT4_T5_T6_T7_T8_P12ihipStream_tbENKUlT_T0_E_clISt17integral_constantIbLb0EES10_IbLb1EEEEDaSW_SX_EUlSW_E_NS1_11comp_targetILNS1_3genE0ELNS1_11target_archE4294967295ELNS1_3gpuE0ELNS1_3repE0EEENS1_30default_config_static_selectorELNS0_4arch9wavefront6targetE1EEEvT1_
	.p2align	8
	.type	_ZN7rocprim17ROCPRIM_400000_NS6detail17trampoline_kernelINS0_14default_configENS1_29reduce_by_key_config_selectorIiiN6thrust23THRUST_200600_302600_NS4plusIiEEEEZZNS1_33reduce_by_key_impl_wrapped_configILNS1_25lookback_scan_determinismE0ES3_S9_NS6_6detail15normal_iteratorINS6_10device_ptrIiEEEESG_SG_SG_PmS8_NS6_8equal_toIiEEEE10hipError_tPvRmT2_T3_mT4_T5_T6_T7_T8_P12ihipStream_tbENKUlT_T0_E_clISt17integral_constantIbLb0EES10_IbLb1EEEEDaSW_SX_EUlSW_E_NS1_11comp_targetILNS1_3genE0ELNS1_11target_archE4294967295ELNS1_3gpuE0ELNS1_3repE0EEENS1_30default_config_static_selectorELNS0_4arch9wavefront6targetE1EEEvT1_,@function
_ZN7rocprim17ROCPRIM_400000_NS6detail17trampoline_kernelINS0_14default_configENS1_29reduce_by_key_config_selectorIiiN6thrust23THRUST_200600_302600_NS4plusIiEEEEZZNS1_33reduce_by_key_impl_wrapped_configILNS1_25lookback_scan_determinismE0ES3_S9_NS6_6detail15normal_iteratorINS6_10device_ptrIiEEEESG_SG_SG_PmS8_NS6_8equal_toIiEEEE10hipError_tPvRmT2_T3_mT4_T5_T6_T7_T8_P12ihipStream_tbENKUlT_T0_E_clISt17integral_constantIbLb0EES10_IbLb1EEEEDaSW_SX_EUlSW_E_NS1_11comp_targetILNS1_3genE0ELNS1_11target_archE4294967295ELNS1_3gpuE0ELNS1_3repE0EEENS1_30default_config_static_selectorELNS0_4arch9wavefront6targetE1EEEvT1_: ; @_ZN7rocprim17ROCPRIM_400000_NS6detail17trampoline_kernelINS0_14default_configENS1_29reduce_by_key_config_selectorIiiN6thrust23THRUST_200600_302600_NS4plusIiEEEEZZNS1_33reduce_by_key_impl_wrapped_configILNS1_25lookback_scan_determinismE0ES3_S9_NS6_6detail15normal_iteratorINS6_10device_ptrIiEEEESG_SG_SG_PmS8_NS6_8equal_toIiEEEE10hipError_tPvRmT2_T3_mT4_T5_T6_T7_T8_P12ihipStream_tbENKUlT_T0_E_clISt17integral_constantIbLb0EES10_IbLb1EEEEDaSW_SX_EUlSW_E_NS1_11comp_targetILNS1_3genE0ELNS1_11target_archE4294967295ELNS1_3gpuE0ELNS1_3repE0EEENS1_30default_config_static_selectorELNS0_4arch9wavefront6targetE1EEEvT1_
; %bb.0:
	.section	.rodata,"a",@progbits
	.p2align	6, 0x0
	.amdhsa_kernel _ZN7rocprim17ROCPRIM_400000_NS6detail17trampoline_kernelINS0_14default_configENS1_29reduce_by_key_config_selectorIiiN6thrust23THRUST_200600_302600_NS4plusIiEEEEZZNS1_33reduce_by_key_impl_wrapped_configILNS1_25lookback_scan_determinismE0ES3_S9_NS6_6detail15normal_iteratorINS6_10device_ptrIiEEEESG_SG_SG_PmS8_NS6_8equal_toIiEEEE10hipError_tPvRmT2_T3_mT4_T5_T6_T7_T8_P12ihipStream_tbENKUlT_T0_E_clISt17integral_constantIbLb0EES10_IbLb1EEEEDaSW_SX_EUlSW_E_NS1_11comp_targetILNS1_3genE0ELNS1_11target_archE4294967295ELNS1_3gpuE0ELNS1_3repE0EEENS1_30default_config_static_selectorELNS0_4arch9wavefront6targetE1EEEvT1_
		.amdhsa_group_segment_fixed_size 0
		.amdhsa_private_segment_fixed_size 0
		.amdhsa_kernarg_size 120
		.amdhsa_user_sgpr_count 6
		.amdhsa_user_sgpr_private_segment_buffer 1
		.amdhsa_user_sgpr_dispatch_ptr 0
		.amdhsa_user_sgpr_queue_ptr 0
		.amdhsa_user_sgpr_kernarg_segment_ptr 1
		.amdhsa_user_sgpr_dispatch_id 0
		.amdhsa_user_sgpr_flat_scratch_init 0
		.amdhsa_user_sgpr_kernarg_preload_length 0
		.amdhsa_user_sgpr_kernarg_preload_offset 0
		.amdhsa_user_sgpr_private_segment_size 0
		.amdhsa_uses_dynamic_stack 0
		.amdhsa_system_sgpr_private_segment_wavefront_offset 0
		.amdhsa_system_sgpr_workgroup_id_x 1
		.amdhsa_system_sgpr_workgroup_id_y 0
		.amdhsa_system_sgpr_workgroup_id_z 0
		.amdhsa_system_sgpr_workgroup_info 0
		.amdhsa_system_vgpr_workitem_id 0
		.amdhsa_next_free_vgpr 1
		.amdhsa_next_free_sgpr 0
		.amdhsa_accum_offset 4
		.amdhsa_reserve_vcc 0
		.amdhsa_reserve_flat_scratch 0
		.amdhsa_float_round_mode_32 0
		.amdhsa_float_round_mode_16_64 0
		.amdhsa_float_denorm_mode_32 3
		.amdhsa_float_denorm_mode_16_64 3
		.amdhsa_dx10_clamp 1
		.amdhsa_ieee_mode 1
		.amdhsa_fp16_overflow 0
		.amdhsa_tg_split 0
		.amdhsa_exception_fp_ieee_invalid_op 0
		.amdhsa_exception_fp_denorm_src 0
		.amdhsa_exception_fp_ieee_div_zero 0
		.amdhsa_exception_fp_ieee_overflow 0
		.amdhsa_exception_fp_ieee_underflow 0
		.amdhsa_exception_fp_ieee_inexact 0
		.amdhsa_exception_int_div_zero 0
	.end_amdhsa_kernel
	.section	.text._ZN7rocprim17ROCPRIM_400000_NS6detail17trampoline_kernelINS0_14default_configENS1_29reduce_by_key_config_selectorIiiN6thrust23THRUST_200600_302600_NS4plusIiEEEEZZNS1_33reduce_by_key_impl_wrapped_configILNS1_25lookback_scan_determinismE0ES3_S9_NS6_6detail15normal_iteratorINS6_10device_ptrIiEEEESG_SG_SG_PmS8_NS6_8equal_toIiEEEE10hipError_tPvRmT2_T3_mT4_T5_T6_T7_T8_P12ihipStream_tbENKUlT_T0_E_clISt17integral_constantIbLb0EES10_IbLb1EEEEDaSW_SX_EUlSW_E_NS1_11comp_targetILNS1_3genE0ELNS1_11target_archE4294967295ELNS1_3gpuE0ELNS1_3repE0EEENS1_30default_config_static_selectorELNS0_4arch9wavefront6targetE1EEEvT1_,"axG",@progbits,_ZN7rocprim17ROCPRIM_400000_NS6detail17trampoline_kernelINS0_14default_configENS1_29reduce_by_key_config_selectorIiiN6thrust23THRUST_200600_302600_NS4plusIiEEEEZZNS1_33reduce_by_key_impl_wrapped_configILNS1_25lookback_scan_determinismE0ES3_S9_NS6_6detail15normal_iteratorINS6_10device_ptrIiEEEESG_SG_SG_PmS8_NS6_8equal_toIiEEEE10hipError_tPvRmT2_T3_mT4_T5_T6_T7_T8_P12ihipStream_tbENKUlT_T0_E_clISt17integral_constantIbLb0EES10_IbLb1EEEEDaSW_SX_EUlSW_E_NS1_11comp_targetILNS1_3genE0ELNS1_11target_archE4294967295ELNS1_3gpuE0ELNS1_3repE0EEENS1_30default_config_static_selectorELNS0_4arch9wavefront6targetE1EEEvT1_,comdat
.Lfunc_end575:
	.size	_ZN7rocprim17ROCPRIM_400000_NS6detail17trampoline_kernelINS0_14default_configENS1_29reduce_by_key_config_selectorIiiN6thrust23THRUST_200600_302600_NS4plusIiEEEEZZNS1_33reduce_by_key_impl_wrapped_configILNS1_25lookback_scan_determinismE0ES3_S9_NS6_6detail15normal_iteratorINS6_10device_ptrIiEEEESG_SG_SG_PmS8_NS6_8equal_toIiEEEE10hipError_tPvRmT2_T3_mT4_T5_T6_T7_T8_P12ihipStream_tbENKUlT_T0_E_clISt17integral_constantIbLb0EES10_IbLb1EEEEDaSW_SX_EUlSW_E_NS1_11comp_targetILNS1_3genE0ELNS1_11target_archE4294967295ELNS1_3gpuE0ELNS1_3repE0EEENS1_30default_config_static_selectorELNS0_4arch9wavefront6targetE1EEEvT1_, .Lfunc_end575-_ZN7rocprim17ROCPRIM_400000_NS6detail17trampoline_kernelINS0_14default_configENS1_29reduce_by_key_config_selectorIiiN6thrust23THRUST_200600_302600_NS4plusIiEEEEZZNS1_33reduce_by_key_impl_wrapped_configILNS1_25lookback_scan_determinismE0ES3_S9_NS6_6detail15normal_iteratorINS6_10device_ptrIiEEEESG_SG_SG_PmS8_NS6_8equal_toIiEEEE10hipError_tPvRmT2_T3_mT4_T5_T6_T7_T8_P12ihipStream_tbENKUlT_T0_E_clISt17integral_constantIbLb0EES10_IbLb1EEEEDaSW_SX_EUlSW_E_NS1_11comp_targetILNS1_3genE0ELNS1_11target_archE4294967295ELNS1_3gpuE0ELNS1_3repE0EEENS1_30default_config_static_selectorELNS0_4arch9wavefront6targetE1EEEvT1_
                                        ; -- End function
	.section	.AMDGPU.csdata,"",@progbits
; Kernel info:
; codeLenInByte = 0
; NumSgprs: 4
; NumVgprs: 0
; NumAgprs: 0
; TotalNumVgprs: 0
; ScratchSize: 0
; MemoryBound: 0
; FloatMode: 240
; IeeeMode: 1
; LDSByteSize: 0 bytes/workgroup (compile time only)
; SGPRBlocks: 0
; VGPRBlocks: 0
; NumSGPRsForWavesPerEU: 4
; NumVGPRsForWavesPerEU: 1
; AccumOffset: 4
; Occupancy: 8
; WaveLimiterHint : 0
; COMPUTE_PGM_RSRC2:SCRATCH_EN: 0
; COMPUTE_PGM_RSRC2:USER_SGPR: 6
; COMPUTE_PGM_RSRC2:TRAP_HANDLER: 0
; COMPUTE_PGM_RSRC2:TGID_X_EN: 1
; COMPUTE_PGM_RSRC2:TGID_Y_EN: 0
; COMPUTE_PGM_RSRC2:TGID_Z_EN: 0
; COMPUTE_PGM_RSRC2:TIDIG_COMP_CNT: 0
; COMPUTE_PGM_RSRC3_GFX90A:ACCUM_OFFSET: 0
; COMPUTE_PGM_RSRC3_GFX90A:TG_SPLIT: 0
	.section	.text._ZN7rocprim17ROCPRIM_400000_NS6detail17trampoline_kernelINS0_14default_configENS1_29reduce_by_key_config_selectorIiiN6thrust23THRUST_200600_302600_NS4plusIiEEEEZZNS1_33reduce_by_key_impl_wrapped_configILNS1_25lookback_scan_determinismE0ES3_S9_NS6_6detail15normal_iteratorINS6_10device_ptrIiEEEESG_SG_SG_PmS8_NS6_8equal_toIiEEEE10hipError_tPvRmT2_T3_mT4_T5_T6_T7_T8_P12ihipStream_tbENKUlT_T0_E_clISt17integral_constantIbLb0EES10_IbLb1EEEEDaSW_SX_EUlSW_E_NS1_11comp_targetILNS1_3genE5ELNS1_11target_archE942ELNS1_3gpuE9ELNS1_3repE0EEENS1_30default_config_static_selectorELNS0_4arch9wavefront6targetE1EEEvT1_,"axG",@progbits,_ZN7rocprim17ROCPRIM_400000_NS6detail17trampoline_kernelINS0_14default_configENS1_29reduce_by_key_config_selectorIiiN6thrust23THRUST_200600_302600_NS4plusIiEEEEZZNS1_33reduce_by_key_impl_wrapped_configILNS1_25lookback_scan_determinismE0ES3_S9_NS6_6detail15normal_iteratorINS6_10device_ptrIiEEEESG_SG_SG_PmS8_NS6_8equal_toIiEEEE10hipError_tPvRmT2_T3_mT4_T5_T6_T7_T8_P12ihipStream_tbENKUlT_T0_E_clISt17integral_constantIbLb0EES10_IbLb1EEEEDaSW_SX_EUlSW_E_NS1_11comp_targetILNS1_3genE5ELNS1_11target_archE942ELNS1_3gpuE9ELNS1_3repE0EEENS1_30default_config_static_selectorELNS0_4arch9wavefront6targetE1EEEvT1_,comdat
	.protected	_ZN7rocprim17ROCPRIM_400000_NS6detail17trampoline_kernelINS0_14default_configENS1_29reduce_by_key_config_selectorIiiN6thrust23THRUST_200600_302600_NS4plusIiEEEEZZNS1_33reduce_by_key_impl_wrapped_configILNS1_25lookback_scan_determinismE0ES3_S9_NS6_6detail15normal_iteratorINS6_10device_ptrIiEEEESG_SG_SG_PmS8_NS6_8equal_toIiEEEE10hipError_tPvRmT2_T3_mT4_T5_T6_T7_T8_P12ihipStream_tbENKUlT_T0_E_clISt17integral_constantIbLb0EES10_IbLb1EEEEDaSW_SX_EUlSW_E_NS1_11comp_targetILNS1_3genE5ELNS1_11target_archE942ELNS1_3gpuE9ELNS1_3repE0EEENS1_30default_config_static_selectorELNS0_4arch9wavefront6targetE1EEEvT1_ ; -- Begin function _ZN7rocprim17ROCPRIM_400000_NS6detail17trampoline_kernelINS0_14default_configENS1_29reduce_by_key_config_selectorIiiN6thrust23THRUST_200600_302600_NS4plusIiEEEEZZNS1_33reduce_by_key_impl_wrapped_configILNS1_25lookback_scan_determinismE0ES3_S9_NS6_6detail15normal_iteratorINS6_10device_ptrIiEEEESG_SG_SG_PmS8_NS6_8equal_toIiEEEE10hipError_tPvRmT2_T3_mT4_T5_T6_T7_T8_P12ihipStream_tbENKUlT_T0_E_clISt17integral_constantIbLb0EES10_IbLb1EEEEDaSW_SX_EUlSW_E_NS1_11comp_targetILNS1_3genE5ELNS1_11target_archE942ELNS1_3gpuE9ELNS1_3repE0EEENS1_30default_config_static_selectorELNS0_4arch9wavefront6targetE1EEEvT1_
	.globl	_ZN7rocprim17ROCPRIM_400000_NS6detail17trampoline_kernelINS0_14default_configENS1_29reduce_by_key_config_selectorIiiN6thrust23THRUST_200600_302600_NS4plusIiEEEEZZNS1_33reduce_by_key_impl_wrapped_configILNS1_25lookback_scan_determinismE0ES3_S9_NS6_6detail15normal_iteratorINS6_10device_ptrIiEEEESG_SG_SG_PmS8_NS6_8equal_toIiEEEE10hipError_tPvRmT2_T3_mT4_T5_T6_T7_T8_P12ihipStream_tbENKUlT_T0_E_clISt17integral_constantIbLb0EES10_IbLb1EEEEDaSW_SX_EUlSW_E_NS1_11comp_targetILNS1_3genE5ELNS1_11target_archE942ELNS1_3gpuE9ELNS1_3repE0EEENS1_30default_config_static_selectorELNS0_4arch9wavefront6targetE1EEEvT1_
	.p2align	8
	.type	_ZN7rocprim17ROCPRIM_400000_NS6detail17trampoline_kernelINS0_14default_configENS1_29reduce_by_key_config_selectorIiiN6thrust23THRUST_200600_302600_NS4plusIiEEEEZZNS1_33reduce_by_key_impl_wrapped_configILNS1_25lookback_scan_determinismE0ES3_S9_NS6_6detail15normal_iteratorINS6_10device_ptrIiEEEESG_SG_SG_PmS8_NS6_8equal_toIiEEEE10hipError_tPvRmT2_T3_mT4_T5_T6_T7_T8_P12ihipStream_tbENKUlT_T0_E_clISt17integral_constantIbLb0EES10_IbLb1EEEEDaSW_SX_EUlSW_E_NS1_11comp_targetILNS1_3genE5ELNS1_11target_archE942ELNS1_3gpuE9ELNS1_3repE0EEENS1_30default_config_static_selectorELNS0_4arch9wavefront6targetE1EEEvT1_,@function
_ZN7rocprim17ROCPRIM_400000_NS6detail17trampoline_kernelINS0_14default_configENS1_29reduce_by_key_config_selectorIiiN6thrust23THRUST_200600_302600_NS4plusIiEEEEZZNS1_33reduce_by_key_impl_wrapped_configILNS1_25lookback_scan_determinismE0ES3_S9_NS6_6detail15normal_iteratorINS6_10device_ptrIiEEEESG_SG_SG_PmS8_NS6_8equal_toIiEEEE10hipError_tPvRmT2_T3_mT4_T5_T6_T7_T8_P12ihipStream_tbENKUlT_T0_E_clISt17integral_constantIbLb0EES10_IbLb1EEEEDaSW_SX_EUlSW_E_NS1_11comp_targetILNS1_3genE5ELNS1_11target_archE942ELNS1_3gpuE9ELNS1_3repE0EEENS1_30default_config_static_selectorELNS0_4arch9wavefront6targetE1EEEvT1_: ; @_ZN7rocprim17ROCPRIM_400000_NS6detail17trampoline_kernelINS0_14default_configENS1_29reduce_by_key_config_selectorIiiN6thrust23THRUST_200600_302600_NS4plusIiEEEEZZNS1_33reduce_by_key_impl_wrapped_configILNS1_25lookback_scan_determinismE0ES3_S9_NS6_6detail15normal_iteratorINS6_10device_ptrIiEEEESG_SG_SG_PmS8_NS6_8equal_toIiEEEE10hipError_tPvRmT2_T3_mT4_T5_T6_T7_T8_P12ihipStream_tbENKUlT_T0_E_clISt17integral_constantIbLb0EES10_IbLb1EEEEDaSW_SX_EUlSW_E_NS1_11comp_targetILNS1_3genE5ELNS1_11target_archE942ELNS1_3gpuE9ELNS1_3repE0EEENS1_30default_config_static_selectorELNS0_4arch9wavefront6targetE1EEEvT1_
; %bb.0:
	.section	.rodata,"a",@progbits
	.p2align	6, 0x0
	.amdhsa_kernel _ZN7rocprim17ROCPRIM_400000_NS6detail17trampoline_kernelINS0_14default_configENS1_29reduce_by_key_config_selectorIiiN6thrust23THRUST_200600_302600_NS4plusIiEEEEZZNS1_33reduce_by_key_impl_wrapped_configILNS1_25lookback_scan_determinismE0ES3_S9_NS6_6detail15normal_iteratorINS6_10device_ptrIiEEEESG_SG_SG_PmS8_NS6_8equal_toIiEEEE10hipError_tPvRmT2_T3_mT4_T5_T6_T7_T8_P12ihipStream_tbENKUlT_T0_E_clISt17integral_constantIbLb0EES10_IbLb1EEEEDaSW_SX_EUlSW_E_NS1_11comp_targetILNS1_3genE5ELNS1_11target_archE942ELNS1_3gpuE9ELNS1_3repE0EEENS1_30default_config_static_selectorELNS0_4arch9wavefront6targetE1EEEvT1_
		.amdhsa_group_segment_fixed_size 0
		.amdhsa_private_segment_fixed_size 0
		.amdhsa_kernarg_size 120
		.amdhsa_user_sgpr_count 6
		.amdhsa_user_sgpr_private_segment_buffer 1
		.amdhsa_user_sgpr_dispatch_ptr 0
		.amdhsa_user_sgpr_queue_ptr 0
		.amdhsa_user_sgpr_kernarg_segment_ptr 1
		.amdhsa_user_sgpr_dispatch_id 0
		.amdhsa_user_sgpr_flat_scratch_init 0
		.amdhsa_user_sgpr_kernarg_preload_length 0
		.amdhsa_user_sgpr_kernarg_preload_offset 0
		.amdhsa_user_sgpr_private_segment_size 0
		.amdhsa_uses_dynamic_stack 0
		.amdhsa_system_sgpr_private_segment_wavefront_offset 0
		.amdhsa_system_sgpr_workgroup_id_x 1
		.amdhsa_system_sgpr_workgroup_id_y 0
		.amdhsa_system_sgpr_workgroup_id_z 0
		.amdhsa_system_sgpr_workgroup_info 0
		.amdhsa_system_vgpr_workitem_id 0
		.amdhsa_next_free_vgpr 1
		.amdhsa_next_free_sgpr 0
		.amdhsa_accum_offset 4
		.amdhsa_reserve_vcc 0
		.amdhsa_reserve_flat_scratch 0
		.amdhsa_float_round_mode_32 0
		.amdhsa_float_round_mode_16_64 0
		.amdhsa_float_denorm_mode_32 3
		.amdhsa_float_denorm_mode_16_64 3
		.amdhsa_dx10_clamp 1
		.amdhsa_ieee_mode 1
		.amdhsa_fp16_overflow 0
		.amdhsa_tg_split 0
		.amdhsa_exception_fp_ieee_invalid_op 0
		.amdhsa_exception_fp_denorm_src 0
		.amdhsa_exception_fp_ieee_div_zero 0
		.amdhsa_exception_fp_ieee_overflow 0
		.amdhsa_exception_fp_ieee_underflow 0
		.amdhsa_exception_fp_ieee_inexact 0
		.amdhsa_exception_int_div_zero 0
	.end_amdhsa_kernel
	.section	.text._ZN7rocprim17ROCPRIM_400000_NS6detail17trampoline_kernelINS0_14default_configENS1_29reduce_by_key_config_selectorIiiN6thrust23THRUST_200600_302600_NS4plusIiEEEEZZNS1_33reduce_by_key_impl_wrapped_configILNS1_25lookback_scan_determinismE0ES3_S9_NS6_6detail15normal_iteratorINS6_10device_ptrIiEEEESG_SG_SG_PmS8_NS6_8equal_toIiEEEE10hipError_tPvRmT2_T3_mT4_T5_T6_T7_T8_P12ihipStream_tbENKUlT_T0_E_clISt17integral_constantIbLb0EES10_IbLb1EEEEDaSW_SX_EUlSW_E_NS1_11comp_targetILNS1_3genE5ELNS1_11target_archE942ELNS1_3gpuE9ELNS1_3repE0EEENS1_30default_config_static_selectorELNS0_4arch9wavefront6targetE1EEEvT1_,"axG",@progbits,_ZN7rocprim17ROCPRIM_400000_NS6detail17trampoline_kernelINS0_14default_configENS1_29reduce_by_key_config_selectorIiiN6thrust23THRUST_200600_302600_NS4plusIiEEEEZZNS1_33reduce_by_key_impl_wrapped_configILNS1_25lookback_scan_determinismE0ES3_S9_NS6_6detail15normal_iteratorINS6_10device_ptrIiEEEESG_SG_SG_PmS8_NS6_8equal_toIiEEEE10hipError_tPvRmT2_T3_mT4_T5_T6_T7_T8_P12ihipStream_tbENKUlT_T0_E_clISt17integral_constantIbLb0EES10_IbLb1EEEEDaSW_SX_EUlSW_E_NS1_11comp_targetILNS1_3genE5ELNS1_11target_archE942ELNS1_3gpuE9ELNS1_3repE0EEENS1_30default_config_static_selectorELNS0_4arch9wavefront6targetE1EEEvT1_,comdat
.Lfunc_end576:
	.size	_ZN7rocprim17ROCPRIM_400000_NS6detail17trampoline_kernelINS0_14default_configENS1_29reduce_by_key_config_selectorIiiN6thrust23THRUST_200600_302600_NS4plusIiEEEEZZNS1_33reduce_by_key_impl_wrapped_configILNS1_25lookback_scan_determinismE0ES3_S9_NS6_6detail15normal_iteratorINS6_10device_ptrIiEEEESG_SG_SG_PmS8_NS6_8equal_toIiEEEE10hipError_tPvRmT2_T3_mT4_T5_T6_T7_T8_P12ihipStream_tbENKUlT_T0_E_clISt17integral_constantIbLb0EES10_IbLb1EEEEDaSW_SX_EUlSW_E_NS1_11comp_targetILNS1_3genE5ELNS1_11target_archE942ELNS1_3gpuE9ELNS1_3repE0EEENS1_30default_config_static_selectorELNS0_4arch9wavefront6targetE1EEEvT1_, .Lfunc_end576-_ZN7rocprim17ROCPRIM_400000_NS6detail17trampoline_kernelINS0_14default_configENS1_29reduce_by_key_config_selectorIiiN6thrust23THRUST_200600_302600_NS4plusIiEEEEZZNS1_33reduce_by_key_impl_wrapped_configILNS1_25lookback_scan_determinismE0ES3_S9_NS6_6detail15normal_iteratorINS6_10device_ptrIiEEEESG_SG_SG_PmS8_NS6_8equal_toIiEEEE10hipError_tPvRmT2_T3_mT4_T5_T6_T7_T8_P12ihipStream_tbENKUlT_T0_E_clISt17integral_constantIbLb0EES10_IbLb1EEEEDaSW_SX_EUlSW_E_NS1_11comp_targetILNS1_3genE5ELNS1_11target_archE942ELNS1_3gpuE9ELNS1_3repE0EEENS1_30default_config_static_selectorELNS0_4arch9wavefront6targetE1EEEvT1_
                                        ; -- End function
	.section	.AMDGPU.csdata,"",@progbits
; Kernel info:
; codeLenInByte = 0
; NumSgprs: 4
; NumVgprs: 0
; NumAgprs: 0
; TotalNumVgprs: 0
; ScratchSize: 0
; MemoryBound: 0
; FloatMode: 240
; IeeeMode: 1
; LDSByteSize: 0 bytes/workgroup (compile time only)
; SGPRBlocks: 0
; VGPRBlocks: 0
; NumSGPRsForWavesPerEU: 4
; NumVGPRsForWavesPerEU: 1
; AccumOffset: 4
; Occupancy: 8
; WaveLimiterHint : 0
; COMPUTE_PGM_RSRC2:SCRATCH_EN: 0
; COMPUTE_PGM_RSRC2:USER_SGPR: 6
; COMPUTE_PGM_RSRC2:TRAP_HANDLER: 0
; COMPUTE_PGM_RSRC2:TGID_X_EN: 1
; COMPUTE_PGM_RSRC2:TGID_Y_EN: 0
; COMPUTE_PGM_RSRC2:TGID_Z_EN: 0
; COMPUTE_PGM_RSRC2:TIDIG_COMP_CNT: 0
; COMPUTE_PGM_RSRC3_GFX90A:ACCUM_OFFSET: 0
; COMPUTE_PGM_RSRC3_GFX90A:TG_SPLIT: 0
	.section	.text._ZN7rocprim17ROCPRIM_400000_NS6detail17trampoline_kernelINS0_14default_configENS1_29reduce_by_key_config_selectorIiiN6thrust23THRUST_200600_302600_NS4plusIiEEEEZZNS1_33reduce_by_key_impl_wrapped_configILNS1_25lookback_scan_determinismE0ES3_S9_NS6_6detail15normal_iteratorINS6_10device_ptrIiEEEESG_SG_SG_PmS8_NS6_8equal_toIiEEEE10hipError_tPvRmT2_T3_mT4_T5_T6_T7_T8_P12ihipStream_tbENKUlT_T0_E_clISt17integral_constantIbLb0EES10_IbLb1EEEEDaSW_SX_EUlSW_E_NS1_11comp_targetILNS1_3genE4ELNS1_11target_archE910ELNS1_3gpuE8ELNS1_3repE0EEENS1_30default_config_static_selectorELNS0_4arch9wavefront6targetE1EEEvT1_,"axG",@progbits,_ZN7rocprim17ROCPRIM_400000_NS6detail17trampoline_kernelINS0_14default_configENS1_29reduce_by_key_config_selectorIiiN6thrust23THRUST_200600_302600_NS4plusIiEEEEZZNS1_33reduce_by_key_impl_wrapped_configILNS1_25lookback_scan_determinismE0ES3_S9_NS6_6detail15normal_iteratorINS6_10device_ptrIiEEEESG_SG_SG_PmS8_NS6_8equal_toIiEEEE10hipError_tPvRmT2_T3_mT4_T5_T6_T7_T8_P12ihipStream_tbENKUlT_T0_E_clISt17integral_constantIbLb0EES10_IbLb1EEEEDaSW_SX_EUlSW_E_NS1_11comp_targetILNS1_3genE4ELNS1_11target_archE910ELNS1_3gpuE8ELNS1_3repE0EEENS1_30default_config_static_selectorELNS0_4arch9wavefront6targetE1EEEvT1_,comdat
	.protected	_ZN7rocprim17ROCPRIM_400000_NS6detail17trampoline_kernelINS0_14default_configENS1_29reduce_by_key_config_selectorIiiN6thrust23THRUST_200600_302600_NS4plusIiEEEEZZNS1_33reduce_by_key_impl_wrapped_configILNS1_25lookback_scan_determinismE0ES3_S9_NS6_6detail15normal_iteratorINS6_10device_ptrIiEEEESG_SG_SG_PmS8_NS6_8equal_toIiEEEE10hipError_tPvRmT2_T3_mT4_T5_T6_T7_T8_P12ihipStream_tbENKUlT_T0_E_clISt17integral_constantIbLb0EES10_IbLb1EEEEDaSW_SX_EUlSW_E_NS1_11comp_targetILNS1_3genE4ELNS1_11target_archE910ELNS1_3gpuE8ELNS1_3repE0EEENS1_30default_config_static_selectorELNS0_4arch9wavefront6targetE1EEEvT1_ ; -- Begin function _ZN7rocprim17ROCPRIM_400000_NS6detail17trampoline_kernelINS0_14default_configENS1_29reduce_by_key_config_selectorIiiN6thrust23THRUST_200600_302600_NS4plusIiEEEEZZNS1_33reduce_by_key_impl_wrapped_configILNS1_25lookback_scan_determinismE0ES3_S9_NS6_6detail15normal_iteratorINS6_10device_ptrIiEEEESG_SG_SG_PmS8_NS6_8equal_toIiEEEE10hipError_tPvRmT2_T3_mT4_T5_T6_T7_T8_P12ihipStream_tbENKUlT_T0_E_clISt17integral_constantIbLb0EES10_IbLb1EEEEDaSW_SX_EUlSW_E_NS1_11comp_targetILNS1_3genE4ELNS1_11target_archE910ELNS1_3gpuE8ELNS1_3repE0EEENS1_30default_config_static_selectorELNS0_4arch9wavefront6targetE1EEEvT1_
	.globl	_ZN7rocprim17ROCPRIM_400000_NS6detail17trampoline_kernelINS0_14default_configENS1_29reduce_by_key_config_selectorIiiN6thrust23THRUST_200600_302600_NS4plusIiEEEEZZNS1_33reduce_by_key_impl_wrapped_configILNS1_25lookback_scan_determinismE0ES3_S9_NS6_6detail15normal_iteratorINS6_10device_ptrIiEEEESG_SG_SG_PmS8_NS6_8equal_toIiEEEE10hipError_tPvRmT2_T3_mT4_T5_T6_T7_T8_P12ihipStream_tbENKUlT_T0_E_clISt17integral_constantIbLb0EES10_IbLb1EEEEDaSW_SX_EUlSW_E_NS1_11comp_targetILNS1_3genE4ELNS1_11target_archE910ELNS1_3gpuE8ELNS1_3repE0EEENS1_30default_config_static_selectorELNS0_4arch9wavefront6targetE1EEEvT1_
	.p2align	8
	.type	_ZN7rocprim17ROCPRIM_400000_NS6detail17trampoline_kernelINS0_14default_configENS1_29reduce_by_key_config_selectorIiiN6thrust23THRUST_200600_302600_NS4plusIiEEEEZZNS1_33reduce_by_key_impl_wrapped_configILNS1_25lookback_scan_determinismE0ES3_S9_NS6_6detail15normal_iteratorINS6_10device_ptrIiEEEESG_SG_SG_PmS8_NS6_8equal_toIiEEEE10hipError_tPvRmT2_T3_mT4_T5_T6_T7_T8_P12ihipStream_tbENKUlT_T0_E_clISt17integral_constantIbLb0EES10_IbLb1EEEEDaSW_SX_EUlSW_E_NS1_11comp_targetILNS1_3genE4ELNS1_11target_archE910ELNS1_3gpuE8ELNS1_3repE0EEENS1_30default_config_static_selectorELNS0_4arch9wavefront6targetE1EEEvT1_,@function
_ZN7rocprim17ROCPRIM_400000_NS6detail17trampoline_kernelINS0_14default_configENS1_29reduce_by_key_config_selectorIiiN6thrust23THRUST_200600_302600_NS4plusIiEEEEZZNS1_33reduce_by_key_impl_wrapped_configILNS1_25lookback_scan_determinismE0ES3_S9_NS6_6detail15normal_iteratorINS6_10device_ptrIiEEEESG_SG_SG_PmS8_NS6_8equal_toIiEEEE10hipError_tPvRmT2_T3_mT4_T5_T6_T7_T8_P12ihipStream_tbENKUlT_T0_E_clISt17integral_constantIbLb0EES10_IbLb1EEEEDaSW_SX_EUlSW_E_NS1_11comp_targetILNS1_3genE4ELNS1_11target_archE910ELNS1_3gpuE8ELNS1_3repE0EEENS1_30default_config_static_selectorELNS0_4arch9wavefront6targetE1EEEvT1_: ; @_ZN7rocprim17ROCPRIM_400000_NS6detail17trampoline_kernelINS0_14default_configENS1_29reduce_by_key_config_selectorIiiN6thrust23THRUST_200600_302600_NS4plusIiEEEEZZNS1_33reduce_by_key_impl_wrapped_configILNS1_25lookback_scan_determinismE0ES3_S9_NS6_6detail15normal_iteratorINS6_10device_ptrIiEEEESG_SG_SG_PmS8_NS6_8equal_toIiEEEE10hipError_tPvRmT2_T3_mT4_T5_T6_T7_T8_P12ihipStream_tbENKUlT_T0_E_clISt17integral_constantIbLb0EES10_IbLb1EEEEDaSW_SX_EUlSW_E_NS1_11comp_targetILNS1_3genE4ELNS1_11target_archE910ELNS1_3gpuE8ELNS1_3repE0EEENS1_30default_config_static_selectorELNS0_4arch9wavefront6targetE1EEEvT1_
; %bb.0:
	s_load_dwordx8 s[36:43], s[4:5], 0x0
	s_load_dwordx4 s[52:55], s[4:5], 0x20
	s_load_dwordx8 s[44:51], s[4:5], 0x38
	s_load_dwordx2 s[60:61], s[4:5], 0x68
	s_load_dwordx4 s[56:59], s[4:5], 0x58
	v_cmp_ne_u32_e64 s[2:3], 0, v0
	v_cmp_eq_u32_e64 s[0:1], 0, v0
	s_and_saveexec_b64 s[6:7], s[0:1]
	s_cbranch_execz .LBB577_4
; %bb.1:
	s_mov_b64 s[10:11], exec
	v_mbcnt_lo_u32_b32 v1, s10, 0
	v_mbcnt_hi_u32_b32 v1, s11, v1
	v_cmp_eq_u32_e32 vcc, 0, v1
                                        ; implicit-def: $vgpr2
	s_and_saveexec_b64 s[8:9], vcc
	s_cbranch_execz .LBB577_3
; %bb.2:
	s_load_dwordx2 s[4:5], s[4:5], 0x70
	s_bcnt1_i32_b64 s10, s[10:11]
	v_mov_b32_e32 v2, 0
	v_mov_b32_e32 v3, s10
	s_waitcnt lgkmcnt(0)
	global_atomic_add v2, v2, v3, s[4:5] glc
.LBB577_3:
	s_or_b64 exec, exec, s[8:9]
	s_waitcnt vmcnt(0)
	v_readfirstlane_b32 s4, v2
	v_add_u32_e32 v1, s4, v1
	v_mov_b32_e32 v2, 0
	ds_write_b32 v2, v1
.LBB577_4:
	s_or_b64 exec, exec, s[6:7]
	v_mov_b32_e32 v3, 0
	s_waitcnt lgkmcnt(0)
	s_lshl_b64 s[4:5], s[38:39], 2
	s_barrier
	ds_read_b32 v1, v3
	s_add_u32 s6, s36, s4
	s_addc_u32 s7, s37, s5
	s_add_u32 s4, s40, s4
	s_mul_i32 s8, s48, s47
	s_mul_hi_u32 s9, s48, s46
	s_addc_u32 s5, s41, s5
	s_add_i32 s8, s9, s8
	s_mul_i32 s9, s49, s46
	s_add_i32 s8, s8, s9
	s_mul_i32 s9, s48, s46
	s_waitcnt lgkmcnt(0)
	v_readfirstlane_b32 s62, v1
	s_movk_i32 s10, 0xf00
	v_mul_lo_u32 v2, v1, s10
	s_add_u32 s40, s9, s62
	v_lshlrev_b64 v[2:3], 2, v[2:3]
	s_addc_u32 s41, s8, 0
	v_mov_b32_e32 v1, s7
	v_add_co_u32_e32 v31, vcc, s6, v2
	s_add_u32 s6, s50, -1
	v_addc_co_u32_e32 v35, vcc, v1, v3, vcc
	s_addc_u32 s7, s51, -1
	v_mov_b32_e32 v1, s5
	v_add_co_u32_e32 v22, vcc, s4, v2
	s_cmp_eq_u64 s[40:41], s[6:7]
	v_addc_co_u32_e32 v23, vcc, v1, v3, vcc
	s_cselect_b64 s[36:37], -1, 0
	s_cmp_lg_u64 s[40:41], s[6:7]
	s_mov_b64 s[4:5], -1
	s_cselect_b64 s[48:49], -1, 0
	s_mul_i32 s33, s6, 0xfffff100
	s_and_b64 vcc, exec, s[36:37]
	s_barrier
	s_cbranch_vccnz .LBB577_6
; %bb.5:
	v_lshlrev_b32_e32 v28, 2, v0
	v_add_co_u32_e32 v2, vcc, v31, v28
	v_addc_co_u32_e32 v3, vcc, 0, v35, vcc
	v_add_co_u32_e32 v4, vcc, 0x1000, v2
	v_addc_co_u32_e32 v5, vcc, 0, v3, vcc
	flat_load_dword v1, v[2:3]
	flat_load_dword v8, v[2:3] offset:1024
	flat_load_dword v9, v[2:3] offset:2048
	;; [unrolled: 1-line block ×3, first 2 shown]
	flat_load_dword v11, v[4:5]
	flat_load_dword v12, v[4:5] offset:1024
	flat_load_dword v13, v[4:5] offset:2048
	;; [unrolled: 1-line block ×3, first 2 shown]
	v_add_co_u32_e32 v4, vcc, 0x2000, v2
	v_addc_co_u32_e32 v5, vcc, 0, v3, vcc
	v_add_co_u32_e32 v2, vcc, 0x3000, v2
	v_addc_co_u32_e32 v3, vcc, 0, v3, vcc
	flat_load_dword v15, v[4:5]
	flat_load_dword v16, v[4:5] offset:1024
	flat_load_dword v17, v[4:5] offset:2048
	;; [unrolled: 1-line block ×3, first 2 shown]
	flat_load_dword v19, v[2:3]
	flat_load_dword v20, v[2:3] offset:1024
	flat_load_dword v21, v[2:3] offset:2048
	v_add_co_u32_e32 v2, vcc, v22, v28
	s_movk_i32 s4, 0x1000
	v_addc_co_u32_e32 v3, vcc, 0, v23, vcc
	v_add_co_u32_e32 v4, vcc, s4, v2
	s_movk_i32 s5, 0x2000
	v_addc_co_u32_e32 v5, vcc, 0, v3, vcc
	;; [unrolled: 3-line block ×3, first 2 shown]
	v_mad_u32_u24 v30, v0, 56, v28
	v_add_co_u32_e32 v24, vcc, s6, v2
	v_addc_co_u32_e32 v25, vcc, 0, v3, vcc
	s_waitcnt vmcnt(0) lgkmcnt(0)
	ds_write2st64_b32 v28, v1, v8 offset1:4
	ds_write2st64_b32 v28, v9, v10 offset0:8 offset1:12
	ds_write2st64_b32 v28, v11, v12 offset0:16 offset1:20
	;; [unrolled: 1-line block ×6, first 2 shown]
	ds_write_b32 v28, v21 offset:14336
	s_waitcnt lgkmcnt(0)
	s_barrier
	ds_read2_b32 v[20:21], v30 offset1:1
	ds_read2_b32 v[18:19], v30 offset0:2 offset1:3
	ds_read2_b32 v[16:17], v30 offset0:4 offset1:5
	;; [unrolled: 1-line block ×6, first 2 shown]
	ds_read_b32 v1, v30 offset:56
	s_waitcnt lgkmcnt(0)
	s_barrier
	flat_load_dword v29, v[2:3]
	flat_load_dword v32, v[2:3] offset:1024
	flat_load_dword v33, v[2:3] offset:2048
	flat_load_dword v34, v[2:3] offset:3072
	flat_load_dword v36, v[4:5]
	flat_load_dword v37, v[4:5] offset:1024
	flat_load_dword v38, v[4:5] offset:2048
	flat_load_dword v39, v[4:5] offset:3072
	;; [unrolled: 4-line block ×3, first 2 shown]
	flat_load_dword v44, v[24:25]
	flat_load_dword v45, v[24:25] offset:1024
	flat_load_dword v46, v[24:25] offset:2048
	v_mov_b32_e32 v26, v20
	v_mov_b32_e32 v27, v18
	;; [unrolled: 1-line block ×7, first 2 shown]
	s_waitcnt vmcnt(0) lgkmcnt(0)
	ds_write2st64_b32 v28, v29, v32 offset1:4
	ds_write2st64_b32 v28, v33, v34 offset0:8 offset1:12
	ds_write2st64_b32 v28, v36, v37 offset0:16 offset1:20
	;; [unrolled: 1-line block ×6, first 2 shown]
	ds_write_b32 v28, v46 offset:14336
	s_waitcnt lgkmcnt(0)
	s_barrier
	s_add_i32 s33, s33, s56
	s_cbranch_execz .LBB577_7
	s_branch .LBB577_54
.LBB577_6:
                                        ; implicit-def: $vgpr1
                                        ; implicit-def: $vgpr8
                                        ; implicit-def: $vgpr10
                                        ; implicit-def: $vgpr12
                                        ; implicit-def: $vgpr14
                                        ; implicit-def: $vgpr16
                                        ; implicit-def: $vgpr18
                                        ; implicit-def: $vgpr20
                                        ; implicit-def: $vgpr30
                                        ; implicit-def: $vgpr2_vgpr3
                                        ; implicit-def: $vgpr4_vgpr5
                                        ; implicit-def: $vgpr26_vgpr27
                                        ; implicit-def: $vgpr6_vgpr7
	s_andn2_b64 vcc, exec, s[4:5]
	s_add_i32 s33, s33, s56
	s_cbranch_vccnz .LBB577_54
.LBB577_7:
	v_cmp_gt_u32_e32 vcc, s33, v0
                                        ; implicit-def: $vgpr1
	s_and_saveexec_b64 s[6:7], vcc
	s_cbranch_execz .LBB577_9
; %bb.8:
	v_lshlrev_b32_e32 v1, 2, v0
	v_add_co_u32_e64 v2, s[4:5], v31, v1
	v_addc_co_u32_e64 v3, s[4:5], 0, v35, s[4:5]
	flat_load_dword v1, v[2:3]
.LBB577_9:
	s_or_b64 exec, exec, s[6:7]
	v_or_b32_e32 v2, 0x100, v0
	v_cmp_gt_u32_e64 s[4:5], s33, v2
                                        ; implicit-def: $vgpr8
	s_and_saveexec_b64 s[8:9], s[4:5]
	s_cbranch_execz .LBB577_11
; %bb.10:
	v_lshlrev_b32_e32 v2, 2, v0
	v_add_co_u32_e64 v2, s[6:7], v31, v2
	v_addc_co_u32_e64 v3, s[6:7], 0, v35, s[6:7]
	flat_load_dword v8, v[2:3] offset:1024
.LBB577_11:
	s_or_b64 exec, exec, s[8:9]
	v_or_b32_e32 v2, 0x200, v0
	v_cmp_gt_u32_e64 s[6:7], s33, v2
                                        ; implicit-def: $vgpr9
	s_and_saveexec_b64 s[10:11], s[6:7]
	s_cbranch_execz .LBB577_13
; %bb.12:
	v_lshlrev_b32_e32 v2, 2, v0
	v_add_co_u32_e64 v2, s[8:9], v31, v2
	v_addc_co_u32_e64 v3, s[8:9], 0, v35, s[8:9]
	flat_load_dword v9, v[2:3] offset:2048
.LBB577_13:
	s_or_b64 exec, exec, s[10:11]
	v_or_b32_e32 v2, 0x300, v0
	v_cmp_gt_u32_e64 s[8:9], s33, v2
                                        ; implicit-def: $vgpr10
	s_and_saveexec_b64 s[12:13], s[8:9]
	s_cbranch_execz .LBB577_15
; %bb.14:
	v_lshlrev_b32_e32 v2, 2, v0
	v_add_co_u32_e64 v2, s[10:11], v31, v2
	v_addc_co_u32_e64 v3, s[10:11], 0, v35, s[10:11]
	flat_load_dword v10, v[2:3] offset:3072
.LBB577_15:
	s_or_b64 exec, exec, s[12:13]
	v_or_b32_e32 v2, 0x400, v0
	v_cmp_gt_u32_e64 s[10:11], s33, v2
	v_lshlrev_b32_e32 v2, 2, v2
                                        ; implicit-def: $vgpr11
	s_and_saveexec_b64 s[14:15], s[10:11]
	s_cbranch_execz .LBB577_17
; %bb.16:
	v_add_co_u32_e64 v4, s[12:13], v31, v2
	v_addc_co_u32_e64 v5, s[12:13], 0, v35, s[12:13]
	flat_load_dword v11, v[4:5]
.LBB577_17:
	s_or_b64 exec, exec, s[14:15]
	v_or_b32_e32 v3, 0x500, v0
	v_cmp_gt_u32_e64 s[12:13], s33, v3
	v_lshlrev_b32_e32 v3, 2, v3
                                        ; implicit-def: $vgpr12
	s_and_saveexec_b64 s[16:17], s[12:13]
	s_cbranch_execz .LBB577_19
; %bb.18:
	v_add_co_u32_e64 v4, s[14:15], v31, v3
	v_addc_co_u32_e64 v5, s[14:15], 0, v35, s[14:15]
	flat_load_dword v12, v[4:5]
.LBB577_19:
	s_or_b64 exec, exec, s[16:17]
	v_or_b32_e32 v4, 0x600, v0
	v_cmp_gt_u32_e64 s[14:15], s33, v4
	v_lshlrev_b32_e32 v4, 2, v4
                                        ; implicit-def: $vgpr13
	s_and_saveexec_b64 s[18:19], s[14:15]
	s_cbranch_execz .LBB577_21
; %bb.20:
	v_add_co_u32_e64 v6, s[16:17], v31, v4
	v_addc_co_u32_e64 v7, s[16:17], 0, v35, s[16:17]
	flat_load_dword v13, v[6:7]
.LBB577_21:
	s_or_b64 exec, exec, s[18:19]
	v_or_b32_e32 v5, 0x700, v0
	v_cmp_gt_u32_e64 s[16:17], s33, v5
	v_lshlrev_b32_e32 v5, 2, v5
                                        ; implicit-def: $vgpr14
	s_and_saveexec_b64 s[20:21], s[16:17]
	s_cbranch_execz .LBB577_23
; %bb.22:
	v_add_co_u32_e64 v6, s[18:19], v31, v5
	v_addc_co_u32_e64 v7, s[18:19], 0, v35, s[18:19]
	flat_load_dword v14, v[6:7]
.LBB577_23:
	s_or_b64 exec, exec, s[20:21]
	v_or_b32_e32 v6, 0x800, v0
	v_cmp_gt_u32_e64 s[18:19], s33, v6
	v_lshlrev_b32_e32 v6, 2, v6
                                        ; implicit-def: $vgpr15
	s_and_saveexec_b64 s[22:23], s[18:19]
	s_cbranch_execz .LBB577_25
; %bb.24:
	v_add_co_u32_e64 v16, s[20:21], v31, v6
	v_addc_co_u32_e64 v17, s[20:21], 0, v35, s[20:21]
	flat_load_dword v15, v[16:17]
.LBB577_25:
	s_or_b64 exec, exec, s[22:23]
	v_or_b32_e32 v7, 0x900, v0
	v_cmp_gt_u32_e64 s[20:21], s33, v7
	v_lshlrev_b32_e32 v7, 2, v7
                                        ; implicit-def: $vgpr16
	s_and_saveexec_b64 s[24:25], s[20:21]
	s_cbranch_execz .LBB577_27
; %bb.26:
	v_add_co_u32_e64 v16, s[22:23], v31, v7
	v_addc_co_u32_e64 v17, s[22:23], 0, v35, s[22:23]
	flat_load_dword v16, v[16:17]
.LBB577_27:
	s_or_b64 exec, exec, s[24:25]
	v_or_b32_e32 v17, 0xa00, v0
	v_cmp_gt_u32_e64 s[22:23], s33, v17
	v_lshlrev_b32_e32 v25, 2, v17
                                        ; implicit-def: $vgpr17
	s_and_saveexec_b64 s[26:27], s[22:23]
	s_cbranch_execz .LBB577_29
; %bb.28:
	v_add_co_u32_e64 v18, s[24:25], v31, v25
	v_addc_co_u32_e64 v19, s[24:25], 0, v35, s[24:25]
	flat_load_dword v17, v[18:19]
.LBB577_29:
	s_or_b64 exec, exec, s[26:27]
	v_or_b32_e32 v18, 0xb00, v0
	v_cmp_gt_u32_e64 s[24:25], s33, v18
	v_lshlrev_b32_e32 v26, 2, v18
                                        ; implicit-def: $vgpr18
	s_and_saveexec_b64 s[28:29], s[24:25]
	s_cbranch_execz .LBB577_31
; %bb.30:
	v_add_co_u32_e64 v18, s[26:27], v31, v26
	v_addc_co_u32_e64 v19, s[26:27], 0, v35, s[26:27]
	flat_load_dword v18, v[18:19]
.LBB577_31:
	s_or_b64 exec, exec, s[28:29]
	v_or_b32_e32 v19, 0xc00, v0
	v_cmp_gt_u32_e64 s[26:27], s33, v19
	v_lshlrev_b32_e32 v27, 2, v19
                                        ; implicit-def: $vgpr19
	s_and_saveexec_b64 s[30:31], s[26:27]
	s_cbranch_execz .LBB577_33
; %bb.32:
	v_add_co_u32_e64 v20, s[28:29], v31, v27
	v_addc_co_u32_e64 v21, s[28:29], 0, v35, s[28:29]
	flat_load_dword v19, v[20:21]
.LBB577_33:
	s_or_b64 exec, exec, s[30:31]
	v_or_b32_e32 v20, 0xd00, v0
	v_cmp_gt_u32_e64 s[28:29], s33, v20
	v_lshlrev_b32_e32 v28, 2, v20
                                        ; implicit-def: $vgpr20
	s_and_saveexec_b64 s[34:35], s[28:29]
	s_cbranch_execz .LBB577_35
; %bb.34:
	v_add_co_u32_e64 v20, s[30:31], v31, v28
	v_addc_co_u32_e64 v21, s[30:31], 0, v35, s[30:31]
	flat_load_dword v20, v[20:21]
.LBB577_35:
	s_or_b64 exec, exec, s[34:35]
	v_or_b32_e32 v21, 0xe00, v0
	v_cmp_gt_u32_e64 s[30:31], s33, v21
	v_lshlrev_b32_e32 v29, 2, v21
                                        ; implicit-def: $vgpr21
	s_and_saveexec_b64 s[38:39], s[30:31]
	s_cbranch_execz .LBB577_37
; %bb.36:
	v_add_co_u32_e64 v32, s[34:35], v31, v29
	v_addc_co_u32_e64 v33, s[34:35], 0, v35, s[34:35]
	flat_load_dword v21, v[32:33]
.LBB577_37:
	s_or_b64 exec, exec, s[38:39]
	v_lshlrev_b32_e32 v24, 2, v0
	v_mad_u32_u24 v30, v0, 56, v24
	s_waitcnt vmcnt(0) lgkmcnt(0)
	ds_write2st64_b32 v24, v1, v8 offset1:4
	ds_write2st64_b32 v24, v9, v10 offset0:8 offset1:12
	ds_write2st64_b32 v24, v11, v12 offset0:16 offset1:20
	;; [unrolled: 1-line block ×6, first 2 shown]
	ds_write_b32 v24, v21 offset:14336
	s_waitcnt lgkmcnt(0)
	s_barrier
	ds_read2_b32 v[20:21], v30 offset1:1
	ds_read2_b32 v[18:19], v30 offset0:2 offset1:3
	ds_read2_b32 v[16:17], v30 offset0:4 offset1:5
	;; [unrolled: 1-line block ×6, first 2 shown]
	ds_read_b32 v1, v30 offset:56
	s_waitcnt lgkmcnt(0)
	s_barrier
	s_waitcnt lgkmcnt(0)
                                        ; implicit-def: $vgpr32
	s_and_saveexec_b64 s[34:35], vcc
	s_cbranch_execnz .LBB577_61
; %bb.38:
	s_or_b64 exec, exec, s[34:35]
                                        ; implicit-def: $vgpr33
	s_and_saveexec_b64 s[34:35], s[4:5]
	s_cbranch_execnz .LBB577_62
.LBB577_39:
	s_or_b64 exec, exec, s[34:35]
                                        ; implicit-def: $vgpr34
	s_and_saveexec_b64 s[4:5], s[6:7]
	s_cbranch_execnz .LBB577_63
.LBB577_40:
	s_or_b64 exec, exec, s[4:5]
                                        ; implicit-def: $vgpr36
	s_and_saveexec_b64 s[4:5], s[8:9]
	s_cbranch_execnz .LBB577_64
.LBB577_41:
	s_or_b64 exec, exec, s[4:5]
                                        ; implicit-def: $vgpr37
	s_and_saveexec_b64 s[4:5], s[10:11]
	s_cbranch_execnz .LBB577_65
.LBB577_42:
	s_or_b64 exec, exec, s[4:5]
                                        ; implicit-def: $vgpr2
	s_and_saveexec_b64 s[4:5], s[12:13]
	s_cbranch_execnz .LBB577_66
.LBB577_43:
	s_or_b64 exec, exec, s[4:5]
                                        ; implicit-def: $vgpr3
	s_and_saveexec_b64 s[4:5], s[14:15]
	s_cbranch_execnz .LBB577_67
.LBB577_44:
	s_or_b64 exec, exec, s[4:5]
                                        ; implicit-def: $vgpr4
	s_and_saveexec_b64 s[4:5], s[16:17]
	s_cbranch_execnz .LBB577_68
.LBB577_45:
	s_or_b64 exec, exec, s[4:5]
                                        ; implicit-def: $vgpr5
	s_and_saveexec_b64 s[4:5], s[18:19]
	s_cbranch_execnz .LBB577_69
.LBB577_46:
	s_or_b64 exec, exec, s[4:5]
                                        ; implicit-def: $vgpr6
	s_and_saveexec_b64 s[4:5], s[20:21]
	s_cbranch_execnz .LBB577_70
.LBB577_47:
	s_or_b64 exec, exec, s[4:5]
                                        ; implicit-def: $vgpr7
	s_and_saveexec_b64 s[4:5], s[22:23]
	s_cbranch_execnz .LBB577_71
.LBB577_48:
	s_or_b64 exec, exec, s[4:5]
                                        ; implicit-def: $vgpr25
	s_and_saveexec_b64 s[4:5], s[24:25]
	s_cbranch_execnz .LBB577_72
.LBB577_49:
	s_or_b64 exec, exec, s[4:5]
                                        ; implicit-def: $vgpr26
	s_and_saveexec_b64 s[4:5], s[26:27]
	s_cbranch_execnz .LBB577_73
.LBB577_50:
	s_or_b64 exec, exec, s[4:5]
                                        ; implicit-def: $vgpr27
	s_and_saveexec_b64 s[4:5], s[28:29]
	s_cbranch_execnz .LBB577_74
.LBB577_51:
	s_or_b64 exec, exec, s[4:5]
                                        ; implicit-def: $vgpr28
	s_and_saveexec_b64 s[4:5], s[30:31]
	s_cbranch_execz .LBB577_53
.LBB577_52:
	v_add_co_u32_e32 v22, vcc, v22, v29
	v_addc_co_u32_e32 v23, vcc, 0, v23, vcc
	flat_load_dword v28, v[22:23]
.LBB577_53:
	s_or_b64 exec, exec, s[4:5]
	s_waitcnt vmcnt(0) lgkmcnt(0)
	ds_write2st64_b32 v24, v32, v33 offset1:4
	ds_write2st64_b32 v24, v34, v36 offset0:8 offset1:12
	ds_write2st64_b32 v24, v37, v2 offset0:16 offset1:20
	;; [unrolled: 1-line block ×6, first 2 shown]
	ds_write_b32 v24, v28 offset:14336
	v_mov_b32_e32 v26, v20
	v_mov_b32_e32 v27, v18
	;; [unrolled: 1-line block ×7, first 2 shown]
	s_waitcnt lgkmcnt(0)
	s_barrier
.LBB577_54:
	ds_read2_b32 v[48:49], v30 offset1:1
	ds_read2_b32 v[42:43], v30 offset0:2 offset1:3
	ds_read2_b32 v[36:37], v30 offset0:4 offset1:5
	;; [unrolled: 1-line block ×6, first 2 shown]
	ds_read_b32 v82, v30 offset:56
	s_cmp_eq_u64 s[40:41], 0
	s_cselect_b64 s[38:39], -1, 0
	s_cmp_lg_u64 s[40:41], 0
	s_mov_b64 s[34:35], 0
	s_cselect_b64 s[6:7], -1, 0
	s_and_b64 vcc, exec, s[48:49]
	s_waitcnt lgkmcnt(0)
	s_barrier
	s_cbranch_vccz .LBB577_60
; %bb.55:
	s_and_b64 vcc, exec, s[6:7]
	s_cbranch_vccz .LBB577_75
; %bb.56:
	v_add_co_u32_e32 v38, vcc, -4, v31
	v_addc_co_u32_e32 v39, vcc, -1, v35, vcc
	flat_load_dword v7, v[38:39]
	v_lshlrev_b32_e32 v30, 2, v0
	ds_write_b32 v30, v1
	s_waitcnt lgkmcnt(0)
	s_barrier
	s_and_saveexec_b64 s[4:5], s[2:3]
	s_cbranch_execz .LBB577_58
; %bb.57:
	s_waitcnt vmcnt(0)
	v_add_u32_e32 v7, -4, v30
	ds_read_b32 v7, v7
.LBB577_58:
	s_or_b64 exec, exec, s[4:5]
	v_cmp_ne_u32_e32 vcc, v26, v21
	v_cndmask_b32_e64 v79, 0, 1, vcc
	v_cmp_ne_u32_e32 vcc, v27, v21
	v_cndmask_b32_e64 v78, 0, 1, vcc
	;; [unrolled: 2-line block ×14, first 2 shown]
	s_waitcnt vmcnt(0) lgkmcnt(0)
	v_cmp_ne_u32_e64 s[4:5], v7, v20
	s_mov_b64 s[34:35], -1
.LBB577_59:
                                        ; implicit-def: $sgpr10
	s_branch .LBB577_87
.LBB577_60:
                                        ; implicit-def: $sgpr4_sgpr5
                                        ; implicit-def: $vgpr66
                                        ; implicit-def: $vgpr67
                                        ; implicit-def: $vgpr68
                                        ; implicit-def: $vgpr69
                                        ; implicit-def: $vgpr70
                                        ; implicit-def: $vgpr71
                                        ; implicit-def: $vgpr72
                                        ; implicit-def: $vgpr73
                                        ; implicit-def: $vgpr74
                                        ; implicit-def: $vgpr75
                                        ; implicit-def: $vgpr76
                                        ; implicit-def: $vgpr77
                                        ; implicit-def: $vgpr78
                                        ; implicit-def: $vgpr79
                                        ; implicit-def: $sgpr10
	s_cbranch_execnz .LBB577_79
	s_branch .LBB577_87
.LBB577_61:
	v_add_co_u32_e32 v32, vcc, v22, v24
	v_addc_co_u32_e32 v33, vcc, 0, v23, vcc
	flat_load_dword v32, v[32:33]
	s_or_b64 exec, exec, s[34:35]
                                        ; implicit-def: $vgpr33
	s_and_saveexec_b64 s[34:35], s[4:5]
	s_cbranch_execz .LBB577_39
.LBB577_62:
	v_add_co_u32_e32 v36, vcc, v22, v24
	v_addc_co_u32_e32 v37, vcc, 0, v23, vcc
	flat_load_dword v33, v[36:37] offset:1024
	s_or_b64 exec, exec, s[34:35]
                                        ; implicit-def: $vgpr34
	s_and_saveexec_b64 s[4:5], s[6:7]
	s_cbranch_execz .LBB577_40
.LBB577_63:
	v_add_co_u32_e32 v36, vcc, v22, v24
	v_addc_co_u32_e32 v37, vcc, 0, v23, vcc
	flat_load_dword v34, v[36:37] offset:2048
	s_or_b64 exec, exec, s[4:5]
                                        ; implicit-def: $vgpr36
	s_and_saveexec_b64 s[4:5], s[8:9]
	s_cbranch_execz .LBB577_41
.LBB577_64:
	v_add_co_u32_e32 v36, vcc, v22, v24
	v_addc_co_u32_e32 v37, vcc, 0, v23, vcc
	flat_load_dword v36, v[36:37] offset:3072
	s_or_b64 exec, exec, s[4:5]
                                        ; implicit-def: $vgpr37
	s_and_saveexec_b64 s[4:5], s[10:11]
	s_cbranch_execz .LBB577_42
.LBB577_65:
	v_add_co_u32_e32 v38, vcc, v22, v2
	v_addc_co_u32_e32 v39, vcc, 0, v23, vcc
	flat_load_dword v37, v[38:39]
	s_or_b64 exec, exec, s[4:5]
                                        ; implicit-def: $vgpr2
	s_and_saveexec_b64 s[4:5], s[12:13]
	s_cbranch_execz .LBB577_43
.LBB577_66:
	v_add_co_u32_e32 v2, vcc, v22, v3
	v_addc_co_u32_e32 v3, vcc, 0, v23, vcc
	flat_load_dword v2, v[2:3]
	s_or_b64 exec, exec, s[4:5]
                                        ; implicit-def: $vgpr3
	s_and_saveexec_b64 s[4:5], s[14:15]
	s_cbranch_execz .LBB577_44
.LBB577_67:
	v_add_co_u32_e32 v38, vcc, v22, v4
	v_addc_co_u32_e32 v39, vcc, 0, v23, vcc
	flat_load_dword v3, v[38:39]
	s_or_b64 exec, exec, s[4:5]
                                        ; implicit-def: $vgpr4
	s_and_saveexec_b64 s[4:5], s[16:17]
	s_cbranch_execz .LBB577_45
.LBB577_68:
	v_add_co_u32_e32 v4, vcc, v22, v5
	v_addc_co_u32_e32 v5, vcc, 0, v23, vcc
	flat_load_dword v4, v[4:5]
	s_or_b64 exec, exec, s[4:5]
                                        ; implicit-def: $vgpr5
	s_and_saveexec_b64 s[4:5], s[18:19]
	s_cbranch_execz .LBB577_46
.LBB577_69:
	v_add_co_u32_e32 v38, vcc, v22, v6
	v_addc_co_u32_e32 v39, vcc, 0, v23, vcc
	flat_load_dword v5, v[38:39]
	s_or_b64 exec, exec, s[4:5]
                                        ; implicit-def: $vgpr6
	s_and_saveexec_b64 s[4:5], s[20:21]
	s_cbranch_execz .LBB577_47
.LBB577_70:
	v_add_co_u32_e32 v6, vcc, v22, v7
	v_addc_co_u32_e32 v7, vcc, 0, v23, vcc
	flat_load_dword v6, v[6:7]
	s_or_b64 exec, exec, s[4:5]
                                        ; implicit-def: $vgpr7
	s_and_saveexec_b64 s[4:5], s[22:23]
	s_cbranch_execz .LBB577_48
.LBB577_71:
	v_add_co_u32_e32 v38, vcc, v22, v25
	v_addc_co_u32_e32 v39, vcc, 0, v23, vcc
	flat_load_dword v7, v[38:39]
	s_or_b64 exec, exec, s[4:5]
                                        ; implicit-def: $vgpr25
	s_and_saveexec_b64 s[4:5], s[24:25]
	s_cbranch_execz .LBB577_49
.LBB577_72:
	v_add_co_u32_e32 v38, vcc, v22, v26
	v_addc_co_u32_e32 v39, vcc, 0, v23, vcc
	flat_load_dword v25, v[38:39]
	s_or_b64 exec, exec, s[4:5]
                                        ; implicit-def: $vgpr26
	s_and_saveexec_b64 s[4:5], s[26:27]
	s_cbranch_execz .LBB577_50
.LBB577_73:
	v_add_co_u32_e32 v26, vcc, v22, v27
	v_addc_co_u32_e32 v27, vcc, 0, v23, vcc
	flat_load_dword v26, v[26:27]
	s_or_b64 exec, exec, s[4:5]
                                        ; implicit-def: $vgpr27
	s_and_saveexec_b64 s[4:5], s[28:29]
	s_cbranch_execz .LBB577_51
.LBB577_74:
	v_add_co_u32_e32 v38, vcc, v22, v28
	v_addc_co_u32_e32 v39, vcc, 0, v23, vcc
	flat_load_dword v27, v[38:39]
	s_or_b64 exec, exec, s[4:5]
                                        ; implicit-def: $vgpr28
	s_and_saveexec_b64 s[4:5], s[30:31]
	s_cbranch_execnz .LBB577_52
	s_branch .LBB577_53
.LBB577_75:
                                        ; implicit-def: $sgpr4_sgpr5
                                        ; implicit-def: $vgpr66
                                        ; implicit-def: $vgpr67
                                        ; implicit-def: $vgpr68
                                        ; implicit-def: $vgpr69
                                        ; implicit-def: $vgpr70
                                        ; implicit-def: $vgpr71
                                        ; implicit-def: $vgpr72
                                        ; implicit-def: $vgpr73
                                        ; implicit-def: $vgpr74
                                        ; implicit-def: $vgpr75
                                        ; implicit-def: $vgpr76
                                        ; implicit-def: $vgpr77
                                        ; implicit-def: $vgpr78
                                        ; implicit-def: $vgpr79
	s_cbranch_execz .LBB577_59
; %bb.76:
	v_cmp_ne_u32_e32 vcc, v21, v26
	v_cndmask_b32_e64 v79, 0, 1, vcc
	v_cmp_ne_u32_e32 vcc, v21, v27
	v_cndmask_b32_e64 v78, 0, 1, vcc
	;; [unrolled: 2-line block ×13, first 2 shown]
	v_cmp_ne_u32_e32 vcc, v9, v1
	v_lshlrev_b32_e32 v7, 2, v0
	v_cndmask_b32_e64 v66, 0, 1, vcc
	ds_write_b32 v7, v1
	s_waitcnt lgkmcnt(0)
	s_barrier
	s_waitcnt lgkmcnt(0)
                                        ; implicit-def: $sgpr4_sgpr5
	s_and_saveexec_b64 s[8:9], s[2:3]
	s_xor_b64 s[8:9], exec, s[8:9]
	s_cbranch_execz .LBB577_78
; %bb.77:
	v_add_u32_e32 v2, -4, v7
	ds_read_b32 v2, v2
	s_or_b64 s[34:35], s[34:35], exec
	s_waitcnt lgkmcnt(0)
	v_cmp_ne_u32_e32 vcc, v2, v20
	s_and_b64 s[4:5], vcc, exec
.LBB577_78:
	s_or_b64 exec, exec, s[8:9]
	s_mov_b32 s10, 1
	s_branch .LBB577_87
.LBB577_79:
	s_mul_hi_u32 s5, s40, 0xfffff100
	s_mul_i32 s4, s41, 0xfffff100
	s_sub_i32 s5, s5, s40
	s_add_i32 s5, s5, s4
	s_mul_i32 s4, s40, 0xfffff100
	s_add_u32 s40, s4, s56
	s_addc_u32 s41, s5, s57
	s_and_b64 vcc, exec, s[6:7]
	v_cmp_ne_u32_e64 s[30:31], v9, v1
	v_cmp_ne_u32_e64 s[28:29], v8, v9
	;; [unrolled: 1-line block ×14, first 2 shown]
	v_mad_u32_u24 v2, v0, 15, 14
	v_mad_u32_u24 v56, v0, 15, 13
	;; [unrolled: 1-line block ×14, first 2 shown]
	s_cbranch_vccz .LBB577_84
; %bb.80:
	v_add_co_u32_e32 v58, vcc, -4, v31
	v_addc_co_u32_e32 v59, vcc, -1, v35, vcc
	flat_load_dword v60, v[58:59]
	v_mov_b32_e32 v3, 0
	v_cmp_gt_u64_e32 vcc, s[40:41], v[2:3]
	v_mov_b32_e32 v57, v3
	s_and_b64 s[30:31], vcc, s[30:31]
	v_cmp_gt_u64_e32 vcc, s[40:41], v[56:57]
	v_mov_b32_e32 v55, v3
	s_and_b64 s[28:29], vcc, s[28:29]
	;; [unrolled: 3-line block ×13, first 2 shown]
	v_cmp_gt_u64_e32 vcc, s[40:41], v[4:5]
	v_lshlrev_b32_e32 v59, 2, v0
	v_mul_u32_u24_e32 v58, 15, v0
	s_and_b64 s[4:5], vcc, s[4:5]
	ds_write_b32 v59, v1
	s_waitcnt lgkmcnt(0)
	s_barrier
	s_and_saveexec_b64 s[34:35], s[2:3]
	s_cbranch_execz .LBB577_82
; %bb.81:
	v_add_u32_e32 v5, -4, v59
	s_waitcnt vmcnt(0)
	ds_read_b32 v60, v5
.LBB577_82:
	s_or_b64 exec, exec, s[34:35]
	v_mov_b32_e32 v59, v3
	v_cndmask_b32_e64 v79, 0, 1, s[4:5]
	v_cmp_gt_u64_e32 vcc, s[40:41], v[58:59]
	s_waitcnt vmcnt(0) lgkmcnt(0)
	v_cmp_ne_u32_e64 s[4:5], v60, v20
	v_cndmask_b32_e64 v66, 0, 1, s[30:31]
	v_cndmask_b32_e64 v67, 0, 1, s[28:29]
	;; [unrolled: 1-line block ×13, first 2 shown]
	s_and_b64 s[4:5], vcc, s[4:5]
	s_mov_b64 s[34:35], -1
.LBB577_83:
                                        ; implicit-def: $sgpr10
	v_mov_b32_e32 v81, s10
	s_and_saveexec_b64 s[2:3], s[34:35]
	s_cbranch_execnz .LBB577_88
	s_branch .LBB577_89
.LBB577_84:
                                        ; implicit-def: $sgpr4_sgpr5
                                        ; implicit-def: $vgpr66
                                        ; implicit-def: $vgpr67
                                        ; implicit-def: $vgpr68
                                        ; implicit-def: $vgpr69
                                        ; implicit-def: $vgpr70
                                        ; implicit-def: $vgpr71
                                        ; implicit-def: $vgpr72
                                        ; implicit-def: $vgpr73
                                        ; implicit-def: $vgpr74
                                        ; implicit-def: $vgpr75
                                        ; implicit-def: $vgpr76
                                        ; implicit-def: $vgpr77
                                        ; implicit-def: $vgpr78
                                        ; implicit-def: $vgpr79
	s_cbranch_execz .LBB577_83
; %bb.85:
	v_mov_b32_e32 v3, 0
	v_cmp_gt_u64_e32 vcc, s[40:41], v[2:3]
	v_cmp_ne_u32_e64 s[4:5], v9, v1
	s_and_b64 s[4:5], vcc, s[4:5]
	v_mov_b32_e32 v57, v3
	v_cndmask_b32_e64 v66, 0, 1, s[4:5]
	v_cmp_gt_u64_e32 vcc, s[40:41], v[56:57]
	v_cmp_ne_u32_e64 s[4:5], v8, v9
	s_and_b64 s[4:5], vcc, s[4:5]
	v_mov_b32_e32 v55, v3
	v_cndmask_b32_e64 v67, 0, 1, s[4:5]
	;; [unrolled: 5-line block ×13, first 2 shown]
	v_cmp_gt_u64_e32 vcc, s[40:41], v[4:5]
	v_cmp_ne_u32_e64 s[4:5], v20, v21
	s_and_b64 s[4:5], vcc, s[4:5]
	v_lshlrev_b32_e32 v58, 2, v0
	s_mov_b32 s10, 1
	v_cndmask_b32_e64 v79, 0, 1, s[4:5]
	ds_write_b32 v58, v1
	s_waitcnt lgkmcnt(0)
	s_barrier
	s_waitcnt lgkmcnt(0)
                                        ; implicit-def: $sgpr4_sgpr5
	s_and_saveexec_b64 s[6:7], s[2:3]
	s_cbranch_execz .LBB577_192
; %bb.86:
	v_add_u32_e32 v2, -4, v58
	ds_read_b32 v4, v2
	v_mul_u32_u24_e32 v2, 15, v0
	v_cmp_gt_u64_e32 vcc, s[40:41], v[2:3]
	s_or_b64 s[34:35], s[34:35], exec
	s_waitcnt lgkmcnt(0)
	v_cmp_ne_u32_e64 s[2:3], v4, v20
	s_and_b64 s[2:3], vcc, s[2:3]
	s_and_b64 s[4:5], s[2:3], exec
	s_or_b64 exec, exec, s[6:7]
.LBB577_87:
	v_mov_b32_e32 v81, s10
	s_and_saveexec_b64 s[2:3], s[34:35]
.LBB577_88:
	v_cndmask_b32_e64 v81, 0, 1, s[4:5]
.LBB577_89:
	s_or_b64 exec, exec, s[2:3]
	s_cmp_eq_u64 s[46:47], 0
	v_add3_u32 v2, v79, v81, v78
	s_cselect_b64 s[34:35], -1, 0
	s_cmp_lg_u32 s62, 0
	v_cmp_eq_u32_e64 s[26:27], 0, v79
	v_cmp_eq_u32_e64 s[24:25], 0, v78
	;; [unrolled: 1-line block ×3, first 2 shown]
	v_add3_u32 v86, v2, v77, v76
	v_cmp_eq_u32_e64 s[20:21], 0, v76
	v_cmp_eq_u32_e64 s[18:19], 0, v75
	;; [unrolled: 1-line block ×10, first 2 shown]
	v_cmp_eq_u32_e32 vcc, 0, v66
	v_mbcnt_lo_u32_b32 v85, -1, 0
	v_lshrrev_b32_e32 v83, 6, v0
	v_or_b32_e32 v84, 63, v0
	s_cbranch_scc0 .LBB577_116
; %bb.90:
	v_cndmask_b32_e64 v2, 0, v48, s[26:27]
	v_add_u32_e32 v2, v2, v49
	v_cndmask_b32_e64 v2, 0, v2, s[24:25]
	v_add_u32_e32 v2, v2, v42
	;; [unrolled: 2-line block ×11, first 2 shown]
	v_cndmask_b32_e64 v2, 0, v2, s[4:5]
	v_add3_u32 v3, v86, v75, v74
	v_add_u32_e32 v2, v2, v22
	v_add3_u32 v3, v3, v73, v72
	v_cndmask_b32_e64 v2, 0, v2, s[2:3]
	v_add3_u32 v3, v3, v71, v70
	v_add_u32_e32 v2, v2, v23
	v_add3_u32 v3, v3, v69, v68
	v_cndmask_b32_e32 v2, 0, v2, vcc
	v_add3_u32 v3, v3, v67, v66
	v_add_u32_e32 v2, v2, v82
	v_mbcnt_hi_u32_b32 v31, -1, v85
	v_and_b32_e32 v4, 15, v31
	v_mov_b32_dpp v6, v2 row_shr:1 row_mask:0xf bank_mask:0xf
	v_cmp_eq_u32_e32 vcc, 0, v3
	v_mov_b32_dpp v5, v3 row_shr:1 row_mask:0xf bank_mask:0xf
	v_cndmask_b32_e32 v6, 0, v6, vcc
	v_cmp_eq_u32_e32 vcc, 0, v4
	v_cndmask_b32_e64 v5, v5, 0, vcc
	v_add_u32_e32 v3, v5, v3
	v_cndmask_b32_e64 v5, v6, 0, vcc
	v_add_u32_e32 v2, v5, v2
	v_cmp_eq_u32_e32 vcc, 0, v3
	v_mov_b32_dpp v5, v3 row_shr:2 row_mask:0xf bank_mask:0xf
	v_cmp_lt_u32_e64 s[28:29], 1, v4
	v_mov_b32_dpp v6, v2 row_shr:2 row_mask:0xf bank_mask:0xf
	v_cndmask_b32_e64 v5, 0, v5, s[28:29]
	s_and_b64 vcc, s[28:29], vcc
	v_cndmask_b32_e32 v6, 0, v6, vcc
	v_add_u32_e32 v3, v3, v5
	v_add_u32_e32 v2, v6, v2
	v_cmp_eq_u32_e32 vcc, 0, v3
	v_mov_b32_dpp v5, v3 row_shr:4 row_mask:0xf bank_mask:0xf
	v_cmp_lt_u32_e64 s[28:29], 3, v4
	v_mov_b32_dpp v6, v2 row_shr:4 row_mask:0xf bank_mask:0xf
	v_cndmask_b32_e64 v5, 0, v5, s[28:29]
	s_and_b64 vcc, s[28:29], vcc
	v_cndmask_b32_e32 v6, 0, v6, vcc
	v_add_u32_e32 v3, v5, v3
	v_add_u32_e32 v2, v2, v6
	v_cmp_eq_u32_e32 vcc, 0, v3
	v_cmp_lt_u32_e64 s[28:29], 7, v4
	v_mov_b32_dpp v5, v3 row_shr:8 row_mask:0xf bank_mask:0xf
	v_mov_b32_dpp v6, v2 row_shr:8 row_mask:0xf bank_mask:0xf
	s_and_b64 vcc, s[28:29], vcc
	v_cndmask_b32_e64 v4, 0, v5, s[28:29]
	v_cndmask_b32_e32 v5, 0, v6, vcc
	v_add_u32_e32 v2, v5, v2
	v_add_u32_e32 v3, v4, v3
	v_bfe_i32 v6, v31, 4, 1
	v_mov_b32_dpp v5, v2 row_bcast:15 row_mask:0xf bank_mask:0xf
	v_mov_b32_dpp v4, v3 row_bcast:15 row_mask:0xf bank_mask:0xf
	v_cmp_eq_u32_e32 vcc, 0, v3
	v_cndmask_b32_e32 v5, 0, v5, vcc
	v_and_b32_e32 v4, v6, v4
	v_add_u32_e32 v3, v4, v3
	v_and_b32_e32 v4, v6, v5
	v_add_u32_e32 v4, v4, v2
	v_mov_b32_dpp v2, v3 row_bcast:31 row_mask:0xf bank_mask:0xf
	v_cmp_eq_u32_e32 vcc, 0, v3
	v_cmp_lt_u32_e64 s[28:29], 31, v31
	v_mov_b32_dpp v5, v4 row_bcast:31 row_mask:0xf bank_mask:0xf
	v_cndmask_b32_e64 v2, 0, v2, s[28:29]
	s_and_b64 vcc, s[28:29], vcc
	v_add_u32_e32 v2, v2, v3
	v_cndmask_b32_e32 v3, 0, v5, vcc
	v_add_u32_e32 v3, v3, v4
	v_cmp_eq_u32_e32 vcc, v84, v0
	v_lshlrev_b32_e32 v4, 3, v83
	s_and_saveexec_b64 s[28:29], vcc
	s_cbranch_execz .LBB577_92
; %bb.91:
	ds_write_b64 v4, v[2:3] offset:2064
.LBB577_92:
	s_or_b64 exec, exec, s[28:29]
	v_cmp_gt_u32_e32 vcc, 4, v0
	s_waitcnt lgkmcnt(0)
	s_barrier
	s_and_saveexec_b64 s[30:31], vcc
	s_cbranch_execz .LBB577_94
; %bb.93:
	v_lshlrev_b32_e32 v5, 3, v0
	ds_read_b64 v[6:7], v5 offset:2064
	v_and_b32_e32 v26, 3, v31
	v_cmp_lt_u32_e64 s[28:29], 1, v26
	s_waitcnt lgkmcnt(0)
	v_mov_b32_dpp v30, v7 row_shr:1 row_mask:0xf bank_mask:0xf
	v_cmp_eq_u32_e32 vcc, 0, v6
	v_mov_b32_dpp v27, v6 row_shr:1 row_mask:0xf bank_mask:0xf
	v_cndmask_b32_e32 v30, 0, v30, vcc
	v_cmp_eq_u32_e32 vcc, 0, v26
	v_cndmask_b32_e64 v27, v27, 0, vcc
	v_add_u32_e32 v6, v27, v6
	v_cndmask_b32_e64 v27, v30, 0, vcc
	v_add_u32_e32 v7, v27, v7
	v_cmp_eq_u32_e32 vcc, 0, v6
	v_mov_b32_dpp v27, v6 row_shr:2 row_mask:0xf bank_mask:0xf
	v_mov_b32_dpp v30, v7 row_shr:2 row_mask:0xf bank_mask:0xf
	v_cndmask_b32_e64 v26, 0, v27, s[28:29]
	s_and_b64 vcc, s[28:29], vcc
	v_add_u32_e32 v6, v26, v6
	v_cndmask_b32_e32 v26, 0, v30, vcc
	v_add_u32_e32 v7, v26, v7
	ds_write_b64 v5, v[6:7] offset:2064
.LBB577_94:
	s_or_b64 exec, exec, s[30:31]
	v_cmp_gt_u32_e32 vcc, 64, v0
	v_cmp_lt_u32_e64 s[28:29], 63, v0
	v_mov_b32_e32 v26, 0
	v_mov_b32_e32 v27, 0
	s_waitcnt lgkmcnt(0)
	s_barrier
	s_and_saveexec_b64 s[30:31], s[28:29]
	s_cbranch_execz .LBB577_96
; %bb.95:
	ds_read_b64 v[26:27], v4 offset:2056
	v_cmp_eq_u32_e64 s[28:29], 0, v2
	s_waitcnt lgkmcnt(0)
	v_add_u32_e32 v4, v26, v2
	v_cndmask_b32_e64 v2, 0, v27, s[28:29]
	v_add_u32_e32 v3, v2, v3
	v_mov_b32_e32 v2, v4
.LBB577_96:
	s_or_b64 exec, exec, s[30:31]
	v_add_u32_e32 v4, -1, v31
	v_and_b32_e32 v5, 64, v31
	v_cmp_lt_i32_e64 s[28:29], v4, v5
	v_cndmask_b32_e64 v4, v4, v31, s[28:29]
	v_lshlrev_b32_e32 v4, 2, v4
	ds_bpermute_b32 v40, v4, v2
	ds_bpermute_b32 v41, v4, v3
	v_cmp_eq_u32_e64 s[28:29], 0, v31
	s_and_saveexec_b64 s[40:41], vcc
	s_cbranch_execz .LBB577_115
; %bb.97:
	v_mov_b32_e32 v7, 0
	ds_read_b64 v[2:3], v7 offset:2088
	s_waitcnt lgkmcnt(0)
	v_readfirstlane_b32 s48, v2
	v_readfirstlane_b32 s49, v3
	s_and_saveexec_b64 s[30:31], s[28:29]
	s_cbranch_execz .LBB577_99
; %bb.98:
	s_add_i32 s46, s62, 64
	s_mov_b32 s47, 0
	s_lshl_b64 s[50:51], s[46:47], 4
	s_add_u32 s50, s44, s50
	s_addc_u32 s51, s45, s51
	s_and_b32 s57, s49, 0xff000000
	s_mov_b32 s56, s47
	s_and_b32 s65, s49, 0xff0000
	s_mov_b32 s64, s47
	s_or_b64 s[56:57], s[64:65], s[56:57]
	s_and_b32 s65, s49, 0xff00
	s_or_b64 s[56:57], s[56:57], s[64:65]
	s_and_b32 s65, s49, 0xff
	s_or_b64 s[46:47], s[56:57], s[64:65]
	v_mov_b32_e32 v4, s48
	v_mov_b32_e32 v5, s47
	;; [unrolled: 1-line block ×3, first 2 shown]
	v_pk_mov_b32 v[2:3], s[50:51], s[50:51] op_sel:[0,1]
	;;#ASMSTART
	global_store_dwordx4 v[2:3], v[4:7] off	
s_waitcnt vmcnt(0)
	;;#ASMEND
.LBB577_99:
	s_or_b64 exec, exec, s[30:31]
	v_xad_u32 v30, v31, -1, s62
	v_add_u32_e32 v6, 64, v30
	v_lshlrev_b64 v[2:3], 4, v[6:7]
	v_mov_b32_e32 v4, s45
	v_add_co_u32_e32 v34, vcc, s44, v2
	v_addc_co_u32_e32 v35, vcc, v4, v3, vcc
	;;#ASMSTART
	global_load_dwordx4 v[2:5], v[34:35] off glc	
s_waitcnt vmcnt(0)
	;;#ASMEND
	v_and_b32_e32 v5, 0xff, v3
	v_and_b32_e32 v6, 0xff00, v3
	;; [unrolled: 1-line block ×3, first 2 shown]
	v_or3_b32 v5, 0, v5, v6
	v_or3_b32 v2, v2, 0, 0
	v_and_b32_e32 v3, 0xff000000, v3
	v_or3_b32 v3, v5, v38, v3
	v_or3_b32 v2, v2, 0, 0
	v_cmp_eq_u16_sdwa s[46:47], v4, v7 src0_sel:BYTE_0 src1_sel:DWORD
	s_and_saveexec_b64 s[30:31], s[46:47]
	s_cbranch_execz .LBB577_103
; %bb.100:
	s_mov_b64 s[46:47], 0
	v_mov_b32_e32 v6, 0
.LBB577_101:                            ; =>This Inner Loop Header: Depth=1
	;;#ASMSTART
	global_load_dwordx4 v[2:5], v[34:35] off glc	
s_waitcnt vmcnt(0)
	;;#ASMEND
	v_cmp_ne_u16_sdwa s[50:51], v4, v6 src0_sel:BYTE_0 src1_sel:DWORD
	s_or_b64 s[46:47], s[50:51], s[46:47]
	s_andn2_b64 exec, exec, s[46:47]
	s_cbranch_execnz .LBB577_101
; %bb.102:
	s_or_b64 exec, exec, s[46:47]
.LBB577_103:
	s_or_b64 exec, exec, s[30:31]
	v_mov_b32_e32 v44, 2
	v_cmp_eq_u16_sdwa s[30:31], v4, v44 src0_sel:BYTE_0 src1_sel:DWORD
	v_lshlrev_b64 v[34:35], v31, -1
	v_and_b32_e32 v5, s31, v35
	v_and_b32_e32 v45, 63, v31
	v_or_b32_e32 v5, 0x80000000, v5
	v_cmp_ne_u32_e32 vcc, 63, v45
	v_and_b32_e32 v6, s30, v34
	v_ffbl_b32_e32 v5, v5
	v_addc_co_u32_e32 v7, vcc, 0, v31, vcc
	v_add_u32_e32 v5, 32, v5
	v_ffbl_b32_e32 v6, v6
	v_lshlrev_b32_e32 v46, 2, v7
	v_min_u32_e32 v5, v6, v5
	ds_bpermute_b32 v6, v46, v3
	v_cmp_eq_u32_e32 vcc, 0, v2
	v_cmp_lt_u32_e64 s[30:31], v45, v5
	ds_bpermute_b32 v7, v46, v2
	s_and_b64 vcc, s[30:31], vcc
	s_waitcnt lgkmcnt(1)
	v_cndmask_b32_e32 v6, 0, v6, vcc
	v_cmp_gt_u32_e32 vcc, 62, v45
	v_add_u32_e32 v3, v6, v3
	v_cndmask_b32_e64 v6, 0, 1, vcc
	v_lshlrev_b32_e32 v6, 1, v6
	v_add_lshl_u32 v47, v6, v31, 2
	s_waitcnt lgkmcnt(0)
	v_cndmask_b32_e64 v7, 0, v7, s[30:31]
	ds_bpermute_b32 v6, v47, v3
	v_add_u32_e32 v2, v7, v2
	ds_bpermute_b32 v7, v47, v2
	v_add_u32_e32 v50, 2, v45
	v_cmp_eq_u32_e32 vcc, 0, v2
	s_waitcnt lgkmcnt(1)
	v_cndmask_b32_e32 v6, 0, v6, vcc
	v_cmp_gt_u32_e32 vcc, v50, v5
	v_cndmask_b32_e64 v6, v6, 0, vcc
	v_add_u32_e32 v3, v6, v3
	s_waitcnt lgkmcnt(0)
	v_cndmask_b32_e64 v6, v7, 0, vcc
	v_cmp_gt_u32_e32 vcc, 60, v45
	v_cndmask_b32_e64 v7, 0, 1, vcc
	v_lshlrev_b32_e32 v7, 2, v7
	v_add_lshl_u32 v51, v7, v31, 2
	ds_bpermute_b32 v7, v51, v3
	v_add_u32_e32 v2, v2, v6
	ds_bpermute_b32 v6, v51, v2
	v_add_u32_e32 v52, 4, v45
	v_cmp_eq_u32_e32 vcc, 0, v2
	s_waitcnt lgkmcnt(1)
	v_cndmask_b32_e32 v7, 0, v7, vcc
	v_cmp_gt_u32_e32 vcc, v52, v5
	v_cndmask_b32_e64 v7, v7, 0, vcc
	s_waitcnt lgkmcnt(0)
	v_cndmask_b32_e64 v6, v6, 0, vcc
	v_cmp_gt_u32_e32 vcc, 56, v45
	v_add_u32_e32 v3, v3, v7
	v_cndmask_b32_e64 v7, 0, 1, vcc
	v_lshlrev_b32_e32 v7, 3, v7
	v_add_lshl_u32 v53, v7, v31, 2
	ds_bpermute_b32 v7, v53, v3
	v_add_u32_e32 v2, v2, v6
	ds_bpermute_b32 v6, v53, v2
	v_add_u32_e32 v54, 8, v45
	v_cmp_eq_u32_e32 vcc, 0, v2
	s_waitcnt lgkmcnt(1)
	v_cndmask_b32_e32 v7, 0, v7, vcc
	v_cmp_gt_u32_e32 vcc, v54, v5
	v_cndmask_b32_e64 v7, v7, 0, vcc
	s_waitcnt lgkmcnt(0)
	v_cndmask_b32_e64 v6, v6, 0, vcc
	v_cmp_gt_u32_e32 vcc, 48, v45
	v_add_u32_e32 v3, v3, v7
	;; [unrolled: 16-line block ×3, first 2 shown]
	v_cndmask_b32_e64 v7, 0, 1, vcc
	v_lshlrev_b32_e32 v7, 5, v7
	v_add_lshl_u32 v57, v7, v31, 2
	ds_bpermute_b32 v7, v57, v3
	v_add_u32_e32 v2, v2, v6
	ds_bpermute_b32 v6, v57, v2
	v_add_u32_e32 v58, 32, v45
	v_cmp_eq_u32_e32 vcc, 0, v2
	s_waitcnt lgkmcnt(1)
	v_cndmask_b32_e32 v7, 0, v7, vcc
	v_cmp_gt_u32_e32 vcc, v58, v5
	v_cndmask_b32_e64 v5, v7, 0, vcc
	v_add_u32_e32 v3, v5, v3
	s_waitcnt lgkmcnt(0)
	v_cndmask_b32_e64 v5, v6, 0, vcc
	v_add_u32_e32 v2, v5, v2
	v_mov_b32_e32 v31, 0
	s_branch .LBB577_105
.LBB577_104:                            ;   in Loop: Header=BB577_105 Depth=1
	s_or_b64 exec, exec, s[30:31]
	v_cmp_eq_u16_sdwa s[30:31], v4, v44 src0_sel:BYTE_0 src1_sel:DWORD
	v_and_b32_e32 v5, s31, v35
	v_or_b32_e32 v5, 0x80000000, v5
	v_and_b32_e32 v38, s30, v34
	v_ffbl_b32_e32 v5, v5
	v_add_u32_e32 v5, 32, v5
	v_ffbl_b32_e32 v38, v38
	v_min_u32_e32 v5, v38, v5
	ds_bpermute_b32 v38, v46, v3
	v_cmp_eq_u32_e32 vcc, 0, v2
	v_cmp_lt_u32_e64 s[30:31], v45, v5
	ds_bpermute_b32 v39, v46, v2
	s_and_b64 vcc, s[30:31], vcc
	s_waitcnt lgkmcnt(1)
	v_cndmask_b32_e32 v38, 0, v38, vcc
	v_add_u32_e32 v3, v38, v3
	ds_bpermute_b32 v38, v47, v3
	s_waitcnt lgkmcnt(1)
	v_cndmask_b32_e64 v39, 0, v39, s[30:31]
	v_add_u32_e32 v2, v39, v2
	v_cmp_eq_u32_e32 vcc, 0, v2
	ds_bpermute_b32 v39, v47, v2
	s_waitcnt lgkmcnt(1)
	v_cndmask_b32_e32 v38, 0, v38, vcc
	v_cmp_gt_u32_e32 vcc, v50, v5
	v_cndmask_b32_e64 v38, v38, 0, vcc
	v_add_u32_e32 v3, v38, v3
	ds_bpermute_b32 v38, v51, v3
	s_waitcnt lgkmcnt(1)
	v_cndmask_b32_e64 v39, v39, 0, vcc
	v_add_u32_e32 v2, v2, v39
	v_cmp_eq_u32_e32 vcc, 0, v2
	ds_bpermute_b32 v39, v51, v2
	s_waitcnt lgkmcnt(1)
	v_cndmask_b32_e32 v38, 0, v38, vcc
	v_cmp_gt_u32_e32 vcc, v52, v5
	v_cndmask_b32_e64 v38, v38, 0, vcc
	v_add_u32_e32 v3, v3, v38
	ds_bpermute_b32 v38, v53, v3
	s_waitcnt lgkmcnt(1)
	v_cndmask_b32_e64 v39, v39, 0, vcc
	v_add_u32_e32 v2, v2, v39
	ds_bpermute_b32 v39, v53, v2
	v_cmp_eq_u32_e32 vcc, 0, v2
	s_waitcnt lgkmcnt(1)
	v_cndmask_b32_e32 v38, 0, v38, vcc
	v_cmp_gt_u32_e32 vcc, v54, v5
	v_cndmask_b32_e64 v38, v38, 0, vcc
	v_add_u32_e32 v3, v3, v38
	ds_bpermute_b32 v38, v55, v3
	s_waitcnt lgkmcnt(1)
	v_cndmask_b32_e64 v39, v39, 0, vcc
	v_add_u32_e32 v2, v2, v39
	ds_bpermute_b32 v39, v55, v2
	v_cmp_eq_u32_e32 vcc, 0, v2
	;; [unrolled: 11-line block ×3, first 2 shown]
	s_waitcnt lgkmcnt(1)
	v_cndmask_b32_e32 v38, 0, v38, vcc
	v_cmp_gt_u32_e32 vcc, v58, v5
	v_cndmask_b32_e64 v5, v38, 0, vcc
	v_add_u32_e32 v3, v5, v3
	s_waitcnt lgkmcnt(0)
	v_cndmask_b32_e64 v5, v39, 0, vcc
	v_cmp_eq_u32_e32 vcc, 0, v6
	v_cndmask_b32_e32 v3, 0, v3, vcc
	v_subrev_u32_e32 v30, 64, v30
	v_add3_u32 v2, v2, v6, v5
	v_add_u32_e32 v3, v3, v7
.LBB577_105:                            ; =>This Loop Header: Depth=1
                                        ;     Child Loop BB577_108 Depth 2
	v_cmp_ne_u16_sdwa s[30:31], v4, v44 src0_sel:BYTE_0 src1_sel:DWORD
	v_mov_b32_e32 v7, v3
	v_cndmask_b32_e64 v3, 0, 1, s[30:31]
	;;#ASMSTART
	;;#ASMEND
	v_cmp_ne_u32_e32 vcc, 0, v3
	s_cmp_lg_u64 vcc, exec
	v_mov_b32_e32 v6, v2
	s_cbranch_scc1 .LBB577_110
; %bb.106:                              ;   in Loop: Header=BB577_105 Depth=1
	v_lshlrev_b64 v[2:3], 4, v[30:31]
	v_mov_b32_e32 v4, s45
	v_add_co_u32_e32 v38, vcc, s44, v2
	v_addc_co_u32_e32 v39, vcc, v4, v3, vcc
	;;#ASMSTART
	global_load_dwordx4 v[2:5], v[38:39] off glc	
s_waitcnt vmcnt(0)
	;;#ASMEND
	v_and_b32_e32 v5, 0xff, v3
	v_and_b32_e32 v59, 0xff00, v3
	;; [unrolled: 1-line block ×3, first 2 shown]
	v_or3_b32 v5, 0, v5, v59
	v_or3_b32 v2, v2, 0, 0
	v_and_b32_e32 v3, 0xff000000, v3
	v_or3_b32 v3, v5, v60, v3
	v_or3_b32 v2, v2, 0, 0
	v_cmp_eq_u16_sdwa s[46:47], v4, v31 src0_sel:BYTE_0 src1_sel:DWORD
	s_and_saveexec_b64 s[30:31], s[46:47]
	s_cbranch_execz .LBB577_104
; %bb.107:                              ;   in Loop: Header=BB577_105 Depth=1
	s_mov_b64 s[46:47], 0
.LBB577_108:                            ;   Parent Loop BB577_105 Depth=1
                                        ; =>  This Inner Loop Header: Depth=2
	;;#ASMSTART
	global_load_dwordx4 v[2:5], v[38:39] off glc	
s_waitcnt vmcnt(0)
	;;#ASMEND
	v_cmp_ne_u16_sdwa s[50:51], v4, v31 src0_sel:BYTE_0 src1_sel:DWORD
	s_or_b64 s[46:47], s[50:51], s[46:47]
	s_andn2_b64 exec, exec, s[46:47]
	s_cbranch_execnz .LBB577_108
; %bb.109:                              ;   in Loop: Header=BB577_105 Depth=1
	s_or_b64 exec, exec, s[46:47]
	s_branch .LBB577_104
.LBB577_110:                            ;   in Loop: Header=BB577_105 Depth=1
                                        ; implicit-def: $vgpr3
                                        ; implicit-def: $vgpr2
                                        ; implicit-def: $vgpr4
	s_cbranch_execz .LBB577_105
; %bb.111:
	s_and_saveexec_b64 s[30:31], s[28:29]
	s_cbranch_execz .LBB577_113
; %bb.112:
	s_cmp_eq_u32 s48, 0
	s_cselect_b64 vcc, -1, 0
	s_mov_b32 s47, 0
	v_cndmask_b32_e32 v2, 0, v7, vcc
	s_add_i32 s46, s62, 64
	v_add_u32_e32 v2, s49, v2
	s_lshl_b64 s[46:47], s[46:47], 4
	s_add_u32 s46, s44, s46
	v_and_b32_e32 v3, 0xff000000, v2
	v_and_b32_e32 v4, 0xff0000, v2
	s_addc_u32 s47, s45, s47
	v_or_b32_e32 v3, v4, v3
	v_and_b32_e32 v4, 0xff00, v2
	v_and_b32_e32 v2, 0xff, v2
	v_add_u32_e32 v44, s48, v6
	v_mov_b32_e32 v47, 0
	v_or3_b32 v45, v3, v4, v2
	v_mov_b32_e32 v46, 2
	v_pk_mov_b32 v[2:3], s[46:47], s[46:47] op_sel:[0,1]
	;;#ASMSTART
	global_store_dwordx4 v[2:3], v[44:47] off	
s_waitcnt vmcnt(0)
	;;#ASMEND
	v_mov_b32_e32 v4, s48
	v_mov_b32_e32 v5, s49
	ds_write_b128 v47, v[4:7] offset:2048
.LBB577_113:
	s_or_b64 exec, exec, s[30:31]
	s_and_b64 exec, exec, s[0:1]
	s_cbranch_execz .LBB577_115
; %bb.114:
	v_mov_b32_e32 v2, 0
	ds_write_b64 v2, v[6:7] offset:2088
.LBB577_115:
	s_or_b64 exec, exec, s[40:41]
	v_mov_b32_e32 v4, 0
	s_waitcnt lgkmcnt(0)
	s_barrier
	ds_read_b64 v[2:3], v4 offset:2088
	v_cndmask_b32_e64 v6, v40, v26, s[28:29]
	v_cmp_eq_u32_e32 vcc, 0, v6
	v_cndmask_b32_e64 v5, v41, v27, s[28:29]
	s_waitcnt lgkmcnt(0)
	v_cndmask_b32_e32 v7, 0, v3, vcc
	v_add_u32_e32 v5, v7, v5
	v_cndmask_b32_e64 v65, v5, v3, s[0:1]
	v_cndmask_b32_e64 v3, v6, 0, s[0:1]
	v_cmp_eq_u32_e32 vcc, 0, v81
	v_add_u32_e32 v64, v2, v3
	v_cndmask_b32_e32 v2, 0, v65, vcc
	v_add_u32_e32 v63, v2, v48
	v_cndmask_b32_e64 v2, 0, v63, s[26:27]
	v_add_u32_e32 v61, v2, v49
	v_cndmask_b32_e64 v2, 0, v61, s[24:25]
	;; [unrolled: 2-line block ×8, first 2 shown]
	v_add_u32_e32 v62, v64, v81
	v_add_u32_e32 v45, v2, v28
	v_add_u32_e32 v60, v62, v79
	v_cndmask_b32_e64 v2, 0, v45, s[10:11]
	v_add_u32_e32 v58, v60, v78
	v_add_u32_e32 v41, v2, v29
	v_add_u32_e32 v56, v58, v77
	v_cndmask_b32_e64 v2, 0, v41, s[8:9]
	;; [unrolled: 4-line block ×3, first 2 shown]
	v_add_u32_e32 v50, v52, v74
	v_add_u32_e32 v35, v2, v25
	s_barrier
	ds_read_b128 v[2:5], v4 offset:2048
	v_add_u32_e32 v46, v50, v73
	v_add_u32_e32 v44, v46, v72
	;; [unrolled: 1-line block ×4, first 2 shown]
	v_cndmask_b32_e64 v6, 0, v35, s[4:5]
	v_add_u32_e32 v34, v38, v69
	v_add_u32_e32 v31, v6, v22
	s_waitcnt lgkmcnt(0)
	v_cmp_eq_u32_e32 vcc, 0, v2
	v_add_u32_e32 v30, v34, v68
	v_cndmask_b32_e64 v6, 0, v31, s[2:3]
	v_cndmask_b32_e32 v5, 0, v5, vcc
	v_add_u32_e32 v26, v30, v67
	v_add_u32_e32 v27, v6, v23
	;; [unrolled: 1-line block ×3, first 2 shown]
	s_branch .LBB577_128
.LBB577_116:
                                        ; implicit-def: $vgpr2
                                        ; implicit-def: $vgpr80
                                        ; implicit-def: $vgpr64_vgpr65
                                        ; implicit-def: $vgpr62_vgpr63
                                        ; implicit-def: $vgpr60_vgpr61
                                        ; implicit-def: $vgpr58_vgpr59
                                        ; implicit-def: $vgpr56_vgpr57
                                        ; implicit-def: $vgpr54_vgpr55
                                        ; implicit-def: $vgpr52_vgpr53
                                        ; implicit-def: $vgpr50_vgpr51
                                        ; implicit-def: $vgpr46_vgpr47
                                        ; implicit-def: $vgpr44_vgpr45
                                        ; implicit-def: $vgpr40_vgpr41
                                        ; implicit-def: $vgpr38_vgpr39
                                        ; implicit-def: $vgpr34_vgpr35
                                        ; implicit-def: $vgpr30_vgpr31
                                        ; implicit-def: $vgpr26_vgpr27
	s_cbranch_execz .LBB577_128
; %bb.117:
	s_and_b64 s[2:3], s[34:35], exec
	s_cselect_b32 s3, 0, s61
	s_cselect_b32 s2, 0, s60
	s_cmp_eq_u64 s[2:3], 0
	v_mov_b32_e32 v6, v48
	s_cbranch_scc1 .LBB577_119
; %bb.118:
	v_mov_b32_e32 v2, 0
	global_load_dword v6, v2, s[2:3]
.LBB577_119:
	v_cmp_eq_u32_e64 s[2:3], 0, v79
	v_cndmask_b32_e64 v2, 0, v48, s[2:3]
	v_add_u32_e32 v2, v2, v49
	v_cmp_eq_u32_e64 s[4:5], 0, v78
	v_cndmask_b32_e64 v2, 0, v2, s[4:5]
	v_add_u32_e32 v2, v2, v42
	;; [unrolled: 3-line block ×11, first 2 shown]
	v_cmp_eq_u32_e64 s[24:25], 0, v68
	v_cndmask_b32_e64 v2, 0, v2, s[24:25]
	v_add3_u32 v3, v86, v75, v74
	v_add_u32_e32 v2, v2, v22
	v_cmp_eq_u32_e32 vcc, 0, v67
	v_add3_u32 v3, v3, v73, v72
	v_cndmask_b32_e32 v2, 0, v2, vcc
	v_add3_u32 v3, v3, v71, v70
	v_add_u32_e32 v2, v2, v23
	v_cmp_eq_u32_e64 s[26:27], 0, v66
	v_add3_u32 v3, v3, v69, v68
	v_cndmask_b32_e64 v2, 0, v2, s[26:27]
	v_add3_u32 v3, v3, v67, v66
	v_add_u32_e32 v2, v2, v82
	v_mbcnt_hi_u32_b32 v7, -1, v85
	v_and_b32_e32 v4, 15, v7
	v_mov_b32_dpp v26, v2 row_shr:1 row_mask:0xf bank_mask:0xf
	v_cmp_eq_u32_e64 s[26:27], 0, v3
	v_mov_b32_dpp v5, v3 row_shr:1 row_mask:0xf bank_mask:0xf
	v_cndmask_b32_e64 v26, 0, v26, s[26:27]
	v_cmp_eq_u32_e64 s[26:27], 0, v4
	v_cndmask_b32_e64 v5, v5, 0, s[26:27]
	v_add_u32_e32 v3, v5, v3
	v_cndmask_b32_e64 v5, v26, 0, s[26:27]
	v_add_u32_e32 v2, v5, v2
	v_cmp_eq_u32_e64 s[26:27], 0, v3
	v_mov_b32_dpp v5, v3 row_shr:2 row_mask:0xf bank_mask:0xf
	v_cmp_lt_u32_e64 s[28:29], 1, v4
	v_mov_b32_dpp v26, v2 row_shr:2 row_mask:0xf bank_mask:0xf
	v_cndmask_b32_e64 v5, 0, v5, s[28:29]
	s_and_b64 s[26:27], s[28:29], s[26:27]
	v_cndmask_b32_e64 v26, 0, v26, s[26:27]
	v_add_u32_e32 v3, v3, v5
	v_add_u32_e32 v2, v26, v2
	v_cmp_eq_u32_e64 s[26:27], 0, v3
	v_mov_b32_dpp v5, v3 row_shr:4 row_mask:0xf bank_mask:0xf
	v_cmp_lt_u32_e64 s[28:29], 3, v4
	v_mov_b32_dpp v26, v2 row_shr:4 row_mask:0xf bank_mask:0xf
	v_cndmask_b32_e64 v5, 0, v5, s[28:29]
	s_and_b64 s[26:27], s[28:29], s[26:27]
	v_cndmask_b32_e64 v26, 0, v26, s[26:27]
	v_add_u32_e32 v3, v5, v3
	v_add_u32_e32 v2, v2, v26
	v_cmp_eq_u32_e64 s[26:27], 0, v3
	v_cmp_lt_u32_e64 s[28:29], 7, v4
	v_mov_b32_dpp v5, v3 row_shr:8 row_mask:0xf bank_mask:0xf
	v_mov_b32_dpp v26, v2 row_shr:8 row_mask:0xf bank_mask:0xf
	s_and_b64 s[26:27], s[28:29], s[26:27]
	v_cndmask_b32_e64 v4, 0, v5, s[28:29]
	v_cndmask_b32_e64 v5, 0, v26, s[26:27]
	v_add_u32_e32 v2, v5, v2
	v_add_u32_e32 v3, v4, v3
	v_bfe_i32 v26, v7, 4, 1
	v_mov_b32_dpp v5, v2 row_bcast:15 row_mask:0xf bank_mask:0xf
	v_mov_b32_dpp v4, v3 row_bcast:15 row_mask:0xf bank_mask:0xf
	v_cmp_eq_u32_e64 s[26:27], 0, v3
	v_cndmask_b32_e64 v5, 0, v5, s[26:27]
	v_and_b32_e32 v4, v26, v4
	v_add_u32_e32 v3, v4, v3
	v_and_b32_e32 v4, v26, v5
	v_add_u32_e32 v4, v4, v2
	v_mov_b32_dpp v2, v3 row_bcast:31 row_mask:0xf bank_mask:0xf
	v_cmp_eq_u32_e64 s[26:27], 0, v3
	v_cmp_lt_u32_e64 s[28:29], 31, v7
	v_mov_b32_dpp v5, v4 row_bcast:31 row_mask:0xf bank_mask:0xf
	v_cndmask_b32_e64 v2, 0, v2, s[28:29]
	s_and_b64 s[26:27], s[28:29], s[26:27]
	v_add_u32_e32 v2, v2, v3
	v_cndmask_b32_e64 v3, 0, v5, s[26:27]
	v_add_u32_e32 v3, v3, v4
	v_cmp_eq_u32_e64 s[26:27], v84, v0
	v_lshlrev_b32_e32 v5, 3, v83
	s_and_saveexec_b64 s[28:29], s[26:27]
	s_cbranch_execz .LBB577_121
; %bb.120:
	ds_write_b64 v5, v[2:3] offset:2064
.LBB577_121:
	s_or_b64 exec, exec, s[28:29]
	v_cmp_gt_u32_e64 s[26:27], 4, v0
	s_waitcnt lgkmcnt(0)
	s_barrier
	s_and_saveexec_b64 s[30:31], s[26:27]
	s_cbranch_execz .LBB577_123
; %bb.122:
	v_lshlrev_b32_e32 v4, 3, v0
	ds_read_b64 v[26:27], v4 offset:2064
	v_and_b32_e32 v30, 3, v7
	v_cmp_lt_u32_e64 s[28:29], 1, v30
	s_waitcnt lgkmcnt(0)
	v_mov_b32_dpp v34, v27 row_shr:1 row_mask:0xf bank_mask:0xf
	v_cmp_eq_u32_e64 s[26:27], 0, v26
	v_mov_b32_dpp v31, v26 row_shr:1 row_mask:0xf bank_mask:0xf
	v_cndmask_b32_e64 v34, 0, v34, s[26:27]
	v_cmp_eq_u32_e64 s[26:27], 0, v30
	v_cndmask_b32_e64 v31, v31, 0, s[26:27]
	v_add_u32_e32 v26, v31, v26
	v_cndmask_b32_e64 v31, v34, 0, s[26:27]
	v_add_u32_e32 v27, v31, v27
	v_cmp_eq_u32_e64 s[26:27], 0, v26
	v_mov_b32_dpp v31, v26 row_shr:2 row_mask:0xf bank_mask:0xf
	v_mov_b32_dpp v34, v27 row_shr:2 row_mask:0xf bank_mask:0xf
	v_cndmask_b32_e64 v30, 0, v31, s[28:29]
	s_and_b64 s[26:27], s[28:29], s[26:27]
	v_add_u32_e32 v26, v30, v26
	v_cndmask_b32_e64 v30, 0, v34, s[26:27]
	v_add_u32_e32 v27, v30, v27
	ds_write_b64 v4, v[26:27] offset:2064
.LBB577_123:
	s_or_b64 exec, exec, s[30:31]
	v_cmp_lt_u32_e64 s[26:27], 63, v0
	v_mov_b32_e32 v26, 0
	v_mov_b32_e32 v4, 0
	s_waitcnt vmcnt(0)
	v_mov_b32_e32 v27, v6
	s_waitcnt lgkmcnt(0)
	s_barrier
	s_and_saveexec_b64 s[28:29], s[26:27]
	s_cbranch_execz .LBB577_125
; %bb.124:
	ds_read_b64 v[4:5], v5 offset:2056
	s_waitcnt lgkmcnt(0)
	v_cmp_eq_u32_e64 s[26:27], 0, v4
	v_cndmask_b32_e64 v27, 0, v6, s[26:27]
	v_add_u32_e32 v27, v27, v5
.LBB577_125:
	s_or_b64 exec, exec, s[28:29]
	v_cmp_eq_u32_e64 s[26:27], 0, v2
	v_add_u32_e32 v5, v4, v2
	v_cndmask_b32_e64 v2, 0, v27, s[26:27]
	v_add_u32_e32 v2, v2, v3
	v_add_u32_e32 v3, -1, v7
	v_and_b32_e32 v30, 64, v7
	v_cmp_lt_i32_e64 s[26:27], v3, v30
	v_cndmask_b32_e64 v3, v3, v7, s[26:27]
	v_lshlrev_b32_e32 v3, 2, v3
	ds_bpermute_b32 v2, v3, v2
	ds_bpermute_b32 v5, v3, v5
	v_cmp_eq_u32_e64 s[26:27], 0, v7
	s_waitcnt lgkmcnt(1)
	v_cndmask_b32_e64 v2, v2, v27, s[26:27]
	s_waitcnt lgkmcnt(0)
	v_cndmask_b32_e64 v3, v5, v4, s[26:27]
	v_cndmask_b32_e64 v65, v2, v6, s[0:1]
	v_cmp_eq_u32_e64 s[26:27], 0, v81
	v_cndmask_b32_e64 v2, 0, v65, s[26:27]
	v_add_u32_e32 v63, v2, v48
	v_cndmask_b32_e64 v2, 0, v63, s[2:3]
	v_add_u32_e32 v61, v2, v49
	;; [unrolled: 2-line block ×8, first 2 shown]
	v_cndmask_b32_e64 v64, v3, 0, s[0:1]
	v_cndmask_b32_e64 v2, 0, v47, s[16:17]
	v_add_u32_e32 v62, v64, v81
	v_add_u32_e32 v45, v2, v28
	v_add_u32_e32 v60, v62, v79
	v_cndmask_b32_e64 v2, 0, v45, s[18:19]
	v_add_u32_e32 v58, v60, v78
	v_add_u32_e32 v41, v2, v29
	v_add_u32_e32 v56, v58, v77
	;; [unrolled: 4-line block ×3, first 2 shown]
	v_cndmask_b32_e64 v2, 0, v39, s[22:23]
	v_add_u32_e32 v50, v52, v74
	v_add_u32_e32 v35, v2, v25
	ds_read_b64 v[2:3], v26 offset:2088
	v_add_u32_e32 v46, v50, v73
	v_add_u32_e32 v44, v46, v72
	;; [unrolled: 1-line block ×3, first 2 shown]
	v_cndmask_b32_e64 v4, 0, v35, s[24:25]
	v_add_u32_e32 v38, v40, v70
	v_add_u32_e32 v31, v4, v22
	;; [unrolled: 1-line block ×3, first 2 shown]
	v_cndmask_b32_e32 v4, 0, v31, vcc
	s_waitcnt lgkmcnt(0)
	v_cmp_eq_u32_e32 vcc, 0, v2
	v_add_u32_e32 v30, v34, v68
	v_add_u32_e32 v27, v4, v23
	v_cndmask_b32_e32 v4, 0, v6, vcc
	v_add_u32_e32 v26, v30, v67
	v_add_u32_e32 v80, v4, v3
	s_and_saveexec_b64 s[2:3], s[0:1]
	s_cbranch_execz .LBB577_127
; %bb.126:
	s_add_u32 s4, s44, 0x400
	v_and_b32_e32 v3, 0xff000000, v80
	v_and_b32_e32 v4, 0xff0000, v80
	s_addc_u32 s5, s45, 0
	v_or_b32_e32 v3, v4, v3
	v_and_b32_e32 v4, 0xff00, v80
	v_and_b32_e32 v6, 0xff, v80
	v_mov_b32_e32 v5, 0
	v_or3_b32 v3, v3, v4, v6
	v_mov_b32_e32 v4, 2
	v_pk_mov_b32 v[6:7], s[4:5], s[4:5] op_sel:[0,1]
	;;#ASMSTART
	global_store_dwordx4 v[6:7], v[2:5] off	
s_waitcnt vmcnt(0)
	;;#ASMEND
.LBB577_127:
	s_or_b64 exec, exec, s[2:3]
	v_mov_b32_e32 v4, 0
.LBB577_128:
	s_and_b64 s[2:3], s[34:35], exec
	s_cselect_b32 s3, 0, s59
	s_cselect_b32 s2, 0, s58
	s_cmp_eq_u64 s[2:3], 0
	v_pk_mov_b32 v[6:7], 0, 0
	s_barrier
	s_cbranch_scc1 .LBB577_130
; %bb.129:
	v_mov_b32_e32 v3, 0
	global_load_dwordx2 v[6:7], v3, s[2:3]
.LBB577_130:
	s_waitcnt vmcnt(0)
	v_lshlrev_b64 v[22:23], 2, v[6:7]
	v_mov_b32_e32 v3, s43
	v_add_co_u32_e32 v28, vcc, s42, v22
	v_mov_b32_e32 v5, 0
	v_addc_co_u32_e32 v29, vcc, v3, v23, vcc
	v_lshlrev_b64 v[24:25], 2, v[4:5]
	v_add_co_u32_e32 v3, vcc, v28, v24
	v_addc_co_u32_e32 v5, vcc, v29, v25, vcc
	v_cmp_eq_u32_e32 vcc, 0, v81
	v_cndmask_b32_e64 v28, 1, 2, vcc
	v_cmp_eq_u32_e32 vcc, 0, v79
	v_cndmask_b32_e64 v29, 1, 2, vcc
	v_cmp_eq_u32_e32 vcc, 0, v78
	v_and_b32_e32 v28, v29, v28
	v_cndmask_b32_e64 v29, 1, 2, vcc
	v_cmp_eq_u32_e32 vcc, 0, v77
	v_and_b32_e32 v28, v28, v29
	v_cndmask_b32_e64 v29, 1, 2, vcc
	v_cmp_eq_u32_e32 vcc, 0, v76
	v_and_b32_e32 v28, v28, v29
	v_cndmask_b32_e64 v29, 1, 2, vcc
	v_cmp_eq_u32_e32 vcc, 0, v75
	v_and_b32_e32 v28, v28, v29
	v_cndmask_b32_e64 v29, 1, 2, vcc
	v_cmp_eq_u32_e32 vcc, 0, v74
	v_and_b32_e32 v28, v28, v29
	v_cndmask_b32_e64 v29, 1, 2, vcc
	v_cmp_eq_u32_e32 vcc, 0, v73
	v_and_b32_e32 v28, v28, v29
	v_cndmask_b32_e64 v29, 1, 2, vcc
	v_cmp_eq_u32_e32 vcc, 0, v72
	v_and_b32_e32 v28, v28, v29
	v_cndmask_b32_e64 v29, 1, 2, vcc
	v_cmp_eq_u32_e32 vcc, 0, v71
	v_and_b32_e32 v28, v28, v29
	v_cndmask_b32_e64 v29, 1, 2, vcc
	v_cmp_eq_u32_e32 vcc, 0, v70
	v_and_b32_e32 v28, v28, v29
	v_cndmask_b32_e64 v29, 1, 2, vcc
	v_cmp_eq_u32_e32 vcc, 0, v69
	v_and_b32_e32 v28, v28, v29
	v_cndmask_b32_e64 v29, 1, 2, vcc
	v_cmp_eq_u32_e32 vcc, 0, v68
	v_and_b32_e32 v28, v28, v29
	v_cndmask_b32_e64 v29, 1, 2, vcc
	v_cmp_eq_u32_e32 vcc, 0, v67
	v_and_b32_e32 v28, v28, v29
	v_cndmask_b32_e64 v29, 1, 2, vcc
	v_cmp_eq_u32_e32 vcc, 0, v66
	v_and_b32_e32 v28, v28, v29
	v_cndmask_b32_e64 v29, 1, 2, vcc
	s_movk_i32 s34, 0x100
	v_and_b32_e32 v28, v28, v29
	v_cmp_gt_u32_e32 vcc, s34, v2
	v_cmp_ne_u32_e64 s[30:31], 0, v81
	v_cmp_ne_u32_e64 s[28:29], 0, v79
	;; [unrolled: 1-line block ×15, first 2 shown]
	s_mov_b64 s[40:41], -1
	v_cmp_gt_i16_e64 s[34:35], 2, v28
	s_cbranch_vccz .LBB577_137
; %bb.131:
	s_and_saveexec_b64 s[40:41], s[34:35]
	s_cbranch_execz .LBB577_136
; %bb.132:
	v_cmp_ne_u16_e32 vcc, 1, v28
	s_mov_b64 s[42:43], 0
	s_and_saveexec_b64 s[34:35], vcc
	s_xor_b64 s[34:35], exec, s[34:35]
	s_cbranch_execnz .LBB577_193
; %bb.133:
	s_andn2_saveexec_b64 s[34:35], s[34:35]
	s_cbranch_execnz .LBB577_209
.LBB577_134:
	s_or_b64 exec, exec, s[34:35]
	s_and_b64 exec, exec, s[42:43]
	s_cbranch_execz .LBB577_136
.LBB577_135:
	v_sub_u32_e32 v32, v26, v4
	v_mov_b32_e32 v33, 0
	v_lshlrev_b64 v[32:33], 2, v[32:33]
	v_add_co_u32_e32 v32, vcc, v3, v32
	v_addc_co_u32_e32 v33, vcc, v5, v33, vcc
	global_store_dword v[32:33], v1, off
.LBB577_136:
	s_or_b64 exec, exec, s[40:41]
	s_mov_b64 s[40:41], 0
.LBB577_137:
	s_and_b64 vcc, exec, s[40:41]
	s_cbranch_vccz .LBB577_159
; %bb.138:
	v_cmp_gt_i16_e32 vcc, 2, v28
	s_and_saveexec_b64 s[34:35], vcc
	s_cbranch_execz .LBB577_143
; %bb.139:
	v_cmp_ne_u16_e32 vcc, 1, v28
	s_mov_b64 s[42:43], 0
	s_and_saveexec_b64 s[40:41], vcc
	s_xor_b64 s[40:41], exec, s[40:41]
	s_cbranch_execnz .LBB577_210
; %bb.140:
	s_andn2_saveexec_b64 s[2:3], s[40:41]
	s_cbranch_execnz .LBB577_226
.LBB577_141:
	s_or_b64 exec, exec, s[2:3]
	s_and_b64 exec, exec, s[42:43]
	s_cbranch_execz .LBB577_143
.LBB577_142:
	v_sub_u32_e32 v8, v26, v4
	v_lshlrev_b32_e32 v8, 2, v8
	ds_write_b32 v8, v1
.LBB577_143:
	s_or_b64 exec, exec, s[34:35]
	v_cmp_lt_u32_e32 vcc, v0, v2
	s_waitcnt lgkmcnt(0)
	s_barrier
	s_and_saveexec_b64 s[4:5], vcc
	s_cbranch_execz .LBB577_158
; %bb.144:
	v_xad_u32 v1, v0, -1, v2
	s_movk_i32 s2, 0x1700
	v_cmp_gt_u32_e64 s[6:7], s2, v1
	s_movk_i32 s2, 0x16ff
	v_cmp_lt_u32_e32 vcc, s2, v1
	v_mov_b32_e32 v8, v0
	s_and_saveexec_b64 s[8:9], vcc
	s_cbranch_execz .LBB577_155
; %bb.145:
	v_sub_u32_e32 v8, v0, v2
	v_or_b32_e32 v8, 0xff, v8
	v_cmp_ge_u32_e32 vcc, v8, v0
	s_mov_b64 s[2:3], -1
	v_mov_b32_e32 v8, v0
	s_and_saveexec_b64 s[10:11], vcc
	s_cbranch_execz .LBB577_154
; %bb.146:
	v_lshrrev_b32_e32 v12, 8, v1
	v_add_u32_e32 v8, -1, v12
	v_or_b32_e32 v1, 0x100, v0
	v_lshrrev_b32_e32 v9, 1, v8
	v_add_u32_e32 v13, 1, v9
	v_cmp_lt_u32_e32 vcc, 13, v8
	v_mov_b32_e32 v16, 0
	v_pk_mov_b32 v[8:9], v[0:1], v[0:1] op_sel:[0,1]
	s_and_saveexec_b64 s[12:13], vcc
	s_cbranch_execz .LBB577_150
; %bb.147:
	v_and_b32_e32 v14, -8, v13
	v_lshlrev_b32_e32 v15, 2, v0
	s_mov_b32 s16, 0
	s_mov_b64 s[14:15], 0
	v_mov_b32_e32 v11, 0
	v_pk_mov_b32 v[8:9], v[0:1], v[0:1] op_sel:[0,1]
.LBB577_148:                            ; =>This Inner Loop Header: Depth=1
	v_mov_b32_e32 v10, v8
	v_add_u32_e32 v14, -8, v14
	v_lshlrev_b64 v[96:97], 2, v[10:11]
	v_mov_b32_e32 v10, v9
	ds_read2st64_b32 v[18:19], v15 offset1:4
	s_add_i32 s16, s16, 16
	v_cmp_eq_u32_e32 vcc, 0, v14
	v_lshlrev_b64 v[100:101], 2, v[10:11]
	v_add_u32_e32 v10, 0x200, v8
	s_or_b64 s[14:15], vcc, s[14:15]
	v_add_co_u32_e32 v100, vcc, v3, v100
	v_add_u32_e32 v16, 0x200, v9
	v_mov_b32_e32 v17, v11
	ds_read2st64_b32 v[20:21], v15 offset0:8 offset1:12
	ds_read2st64_b32 v[32:33], v15 offset0:16 offset1:20
	v_add_co_u32_e64 v96, s[2:3], v3, v96
	v_addc_co_u32_e32 v101, vcc, v5, v101, vcc
	v_lshlrev_b64 v[102:103], 2, v[10:11]
	v_lshlrev_b64 v[98:99], 2, v[16:17]
	v_addc_co_u32_e64 v97, s[2:3], v5, v97, s[2:3]
	v_add_u32_e32 v10, 0x400, v8
	v_add_co_u32_e32 v102, vcc, v3, v102
	v_add_u32_e32 v28, 0x400, v9
	v_mov_b32_e32 v29, v11
	ds_read2st64_b32 v[42:43], v15 offset0:24 offset1:28
	v_add_co_u32_e64 v98, s[2:3], v3, v98
	v_addc_co_u32_e32 v103, vcc, v5, v103, vcc
	v_lshlrev_b64 v[104:105], 2, v[10:11]
	ds_read2st64_b32 v[82:83], v15 offset0:32 offset1:36
	ds_read2st64_b32 v[86:87], v15 offset0:40 offset1:44
	;; [unrolled: 1-line block ×4, first 2 shown]
	v_lshlrev_b64 v[28:29], 2, v[28:29]
	v_addc_co_u32_e64 v99, s[2:3], v5, v99, s[2:3]
	v_add_u32_e32 v10, 0x600, v8
	s_waitcnt lgkmcnt(7)
	global_store_dword v[96:97], v18, off
	global_store_dword v[100:101], v19, off
	s_waitcnt lgkmcnt(6)
	global_store_dword v[102:103], v20, off
	global_store_dword v[98:99], v21, off
	v_add_co_u32_e32 v18, vcc, v3, v104
	v_add_u32_e32 v36, 0x600, v9
	v_mov_b32_e32 v37, v11
	v_add_co_u32_e64 v28, s[2:3], v3, v28
	v_addc_co_u32_e32 v19, vcc, v5, v105, vcc
	v_lshlrev_b64 v[20:21], 2, v[10:11]
	v_lshlrev_b64 v[36:37], 2, v[36:37]
	v_addc_co_u32_e64 v29, s[2:3], v5, v29, s[2:3]
	v_add_u32_e32 v10, 0x800, v8
	s_waitcnt lgkmcnt(5)
	global_store_dword v[18:19], v32, off
	global_store_dword v[28:29], v33, off
	v_add_co_u32_e32 v18, vcc, v3, v20
	v_add_u32_e32 v48, 0x800, v9
	v_mov_b32_e32 v49, v11
	v_add_co_u32_e64 v36, s[2:3], v3, v36
	v_addc_co_u32_e32 v19, vcc, v5, v21, vcc
	v_lshlrev_b64 v[20:21], 2, v[10:11]
	v_lshlrev_b64 v[48:49], 2, v[48:49]
	v_addc_co_u32_e64 v37, s[2:3], v5, v37, s[2:3]
	v_add_u32_e32 v10, 0xa00, v8
	;; [unrolled: 12-line block ×4, first 2 shown]
	s_waitcnt lgkmcnt(2)
	global_store_dword v[18:19], v86, off
	global_store_dword v[84:85], v87, off
	v_add_co_u32_e32 v18, vcc, v3, v20
	v_add_u32_e32 v92, 0xe00, v9
	v_mov_b32_e32 v93, v11
	v_add_co_u32_e64 v88, s[2:3], v3, v88
	v_addc_co_u32_e32 v19, vcc, v5, v21, vcc
	v_lshlrev_b64 v[20:21], 2, v[10:11]
	v_lshlrev_b64 v[92:93], 2, v[92:93]
	v_addc_co_u32_e64 v89, s[2:3], v5, v89, s[2:3]
	s_waitcnt lgkmcnt(1)
	global_store_dword v[18:19], v90, off
	global_store_dword v[88:89], v91, off
	v_add_co_u32_e32 v18, vcc, v3, v20
	v_add_u32_e32 v15, 0x4000, v15
	v_add_u32_e32 v9, 0x1000, v9
	v_mov_b32_e32 v16, s16
	v_add_co_u32_e64 v92, s[2:3], v3, v92
	v_add_u32_e32 v8, 0x1000, v8
	v_addc_co_u32_e32 v19, vcc, v5, v21, vcc
	v_addc_co_u32_e64 v93, s[2:3], v5, v93, s[2:3]
	s_waitcnt lgkmcnt(0)
	global_store_dword v[18:19], v94, off
	global_store_dword v[92:93], v95, off
	s_andn2_b64 exec, exec, s[14:15]
	s_cbranch_execnz .LBB577_148
; %bb.149:
	s_or_b64 exec, exec, s[14:15]
.LBB577_150:
	s_or_b64 exec, exec, s[12:13]
	v_and_b32_e32 v1, 7, v13
	v_cmp_ne_u32_e32 vcc, 0, v1
	s_and_saveexec_b64 s[12:13], vcc
	s_cbranch_execz .LBB577_153
; %bb.151:
	v_lshlrev_b32_e32 v10, 2, v0
	v_lshl_or_b32 v13, v16, 10, v10
	s_mov_b64 s[14:15], 0
	v_mov_b32_e32 v11, 0
.LBB577_152:                            ; =>This Inner Loop Header: Depth=1
	ds_read2st64_b32 v[14:15], v13 offset1:4
	v_mov_b32_e32 v10, v8
	v_add_u32_e32 v1, -1, v1
	v_lshlrev_b64 v[16:17], 2, v[10:11]
	v_mov_b32_e32 v10, v9
	v_cmp_eq_u32_e32 vcc, 0, v1
	v_add_co_u32_e64 v16, s[2:3], v3, v16
	v_lshlrev_b64 v[18:19], 2, v[10:11]
	v_add_u32_e32 v8, 0x200, v8
	v_add_u32_e32 v13, 0x800, v13
	;; [unrolled: 1-line block ×3, first 2 shown]
	v_addc_co_u32_e64 v17, s[2:3], v5, v17, s[2:3]
	s_or_b64 s[14:15], vcc, s[14:15]
	v_add_co_u32_e32 v18, vcc, v3, v18
	v_addc_co_u32_e32 v19, vcc, v5, v19, vcc
	s_waitcnt lgkmcnt(0)
	global_store_dword v[16:17], v14, off
	global_store_dword v[18:19], v15, off
	s_andn2_b64 exec, exec, s[14:15]
	s_cbranch_execnz .LBB577_152
.LBB577_153:
	s_or_b64 exec, exec, s[12:13]
	v_add_u32_e32 v1, 1, v12
	v_and_b32_e32 v9, 0x1fffffe, v1
	v_cmp_ne_u32_e32 vcc, v1, v9
	v_lshl_or_b32 v8, v9, 8, v0
	s_orn2_b64 s[2:3], vcc, exec
.LBB577_154:
	s_or_b64 exec, exec, s[10:11]
	s_andn2_b64 s[6:7], s[6:7], exec
	s_and_b64 s[2:3], s[2:3], exec
	s_or_b64 s[6:7], s[6:7], s[2:3]
.LBB577_155:
	s_or_b64 exec, exec, s[8:9]
	s_and_b64 exec, exec, s[6:7]
	s_cbranch_execz .LBB577_158
; %bb.156:
	v_lshlrev_b32_e32 v1, 2, v8
	s_mov_b64 s[2:3], 0
	v_mov_b32_e32 v9, 0
.LBB577_157:                            ; =>This Inner Loop Header: Depth=1
	v_lshlrev_b64 v[10:11], 2, v[8:9]
	ds_read_b32 v12, v1
	v_add_co_u32_e32 v10, vcc, v3, v10
	v_add_u32_e32 v8, 0x100, v8
	v_addc_co_u32_e32 v11, vcc, v5, v11, vcc
	v_cmp_ge_u32_e32 vcc, v8, v2
	v_add_u32_e32 v1, 0x400, v1
	s_or_b64 s[2:3], vcc, s[2:3]
	s_waitcnt lgkmcnt(0)
	global_store_dword v[10:11], v12, off
	s_andn2_b64 exec, exec, s[2:3]
	s_cbranch_execnz .LBB577_157
.LBB577_158:
	s_or_b64 exec, exec, s[4:5]
.LBB577_159:
	s_cmpk_lg_i32 s33, 0xf00
	s_cselect_b64 s[2:3], -1, 0
	s_and_b64 s[0:1], s[0:1], s[38:39]
	v_cndmask_b32_e64 v5, v81, 0, s[0:1]
	s_mul_hi_u32 s0, s33, 0x88888889
	s_lshr_b32 s0, s0, 3
	v_mad_i32_i24 v9, v0, -15, s33
	v_cmp_eq_u32_e32 vcc, s0, v0
	v_cmp_ne_u32_e64 s[0:1], 0, v9
	v_cndmask_b32_e64 v10, 1, v5, s[0:1]
	v_cmp_ne_u32_e64 s[0:1], 1, v9
	v_cndmask_b32_e64 v11, 1, v79, s[0:1]
	;; [unrolled: 2-line block ×15, first 2 shown]
	s_and_b64 vcc, vcc, s[36:37]
	v_cndmask_b32_e32 v32, v66, v9, vcc
	v_cndmask_b32_e32 v29, v67, v29, vcc
	;; [unrolled: 1-line block ×15, first 2 shown]
	v_mov_b32_e32 v5, s53
	v_add_co_u32_e32 v9, vcc, s52, v22
	v_addc_co_u32_e32 v12, vcc, v5, v23, vcc
	v_cndmask_b32_e64 v1, 0, 1, s[38:39]
	v_add_co_u32_e32 v5, vcc, v9, v24
	v_addc_co_u32_e32 v12, vcc, v12, v25, vcc
	v_lshlrev_b32_e32 v9, 2, v1
	v_add_co_u32_e32 v9, vcc, v9, v5
	v_addc_co_u32_e32 v14, vcc, 0, v12, vcc
	v_add_co_u32_e32 v13, vcc, -4, v9
	v_addc_co_u32_e32 v14, vcc, -1, v14, vcc
	v_cmp_eq_u32_e32 vcc, 0, v10
	v_cmp_ne_u32_e64 s[28:29], 0, v10
	v_cndmask_b32_e64 v10, 1, 2, vcc
	v_cmp_eq_u32_e32 vcc, 0, v11
	v_cmp_ne_u32_e64 s[26:27], 0, v11
	v_cndmask_b32_e64 v11, 1, 2, vcc
	v_cmp_eq_u32_e32 vcc, 0, v37
	v_and_b32_e32 v10, v11, v10
	v_cndmask_b32_e64 v11, 1, 2, vcc
	v_cmp_eq_u32_e32 vcc, 0, v36
	v_and_b32_e32 v10, v10, v11
	;; [unrolled: 3-line block ×10, first 2 shown]
	v_cndmask_b32_e64 v11, 1, 2, vcc
	v_cmp_eq_u32_e32 vcc, 0, v28
	s_and_b64 s[2:3], s[2:3], s[36:37]
	v_and_b32_e32 v10, v10, v11
	v_cndmask_b32_e64 v11, 1, 2, vcc
	v_cmp_eq_u32_e32 vcc, 0, v29
	v_sub_u32_e32 v3, v2, v1
	v_cndmask_b32_e64 v8, 0, 1, s[2:3]
	v_and_b32_e32 v10, v10, v11
	v_cndmask_b32_e64 v11, 1, 2, vcc
	v_cmp_eq_u32_e32 vcc, 0, v32
	v_add_u32_e32 v3, v3, v8
	v_and_b32_e32 v10, v10, v11
	v_cndmask_b32_e64 v11, 1, 2, vcc
	s_movk_i32 s30, 0x100
	v_and_b32_e32 v10, v10, v11
	v_cmp_gt_u32_e32 vcc, s30, v3
	v_add_u32_e32 v9, v4, v1
	v_cmp_ne_u32_e64 s[24:25], 0, v37
	v_cmp_ne_u32_e64 s[22:23], 0, v36
	;; [unrolled: 1-line block ×13, first 2 shown]
	s_mov_b64 s[34:35], -1
	v_cmp_gt_i16_e64 s[30:31], 2, v10
	s_barrier
	s_cbranch_vccz .LBB577_166
; %bb.160:
	s_and_saveexec_b64 s[34:35], s[30:31]
	s_cbranch_execz .LBB577_165
; %bb.161:
	v_cmp_ne_u16_e32 vcc, 1, v10
	s_mov_b64 s[38:39], 0
	s_and_saveexec_b64 s[30:31], vcc
	s_xor_b64 s[30:31], exec, s[30:31]
	s_cbranch_execnz .LBB577_227
; %bb.162:
	s_andn2_saveexec_b64 s[30:31], s[30:31]
	s_cbranch_execnz .LBB577_243
.LBB577_163:
	s_or_b64 exec, exec, s[30:31]
	s_and_b64 exec, exec, s[38:39]
	s_cbranch_execz .LBB577_165
.LBB577_164:
	v_sub_u32_e32 v16, v26, v9
	v_mov_b32_e32 v17, 0
	v_lshlrev_b64 v[16:17], 2, v[16:17]
	v_add_co_u32_e32 v16, vcc, v13, v16
	v_addc_co_u32_e32 v17, vcc, v14, v17, vcc
	global_store_dword v[16:17], v27, off
.LBB577_165:
	s_or_b64 exec, exec, s[34:35]
	s_mov_b64 s[34:35], 0
.LBB577_166:
	s_and_b64 vcc, exec, s[34:35]
	s_cbranch_vccz .LBB577_188
; %bb.167:
	v_cmp_gt_i16_e32 vcc, 2, v10
	s_and_saveexec_b64 s[30:31], vcc
	s_cbranch_execz .LBB577_172
; %bb.168:
	v_cmp_ne_u16_e32 vcc, 1, v10
	s_mov_b64 s[38:39], 0
	s_and_saveexec_b64 s[34:35], vcc
	s_xor_b64 s[34:35], exec, s[34:35]
	s_cbranch_execnz .LBB577_244
; %bb.169:
	s_andn2_saveexec_b64 s[0:1], s[34:35]
	s_cbranch_execnz .LBB577_260
.LBB577_170:
	s_or_b64 exec, exec, s[0:1]
	s_and_b64 exec, exec, s[38:39]
	s_cbranch_execz .LBB577_172
.LBB577_171:
	v_sub_u32_e32 v9, v26, v9
	v_lshlrev_b32_e32 v9, 2, v9
	ds_write_b32 v9, v27
.LBB577_172:
	s_or_b64 exec, exec, s[30:31]
	v_cmp_lt_u32_e32 vcc, v0, v3
	s_waitcnt lgkmcnt(0)
	s_barrier
	s_and_saveexec_b64 s[2:3], vcc
	s_cbranch_execz .LBB577_187
; %bb.173:
	v_add_u32_e32 v10, v2, v8
	v_xad_u32 v8, v0, -1, v10
	v_sub_u32_e32 v9, v8, v1
	s_movk_i32 s0, 0x1900
	v_cmp_gt_u32_e64 s[4:5], s0, v9
	s_movk_i32 s0, 0x18ff
	v_cmp_lt_u32_e32 vcc, s0, v9
	v_mov_b32_e32 v8, v0
	s_and_saveexec_b64 s[6:7], vcc
	s_cbranch_execz .LBB577_184
; %bb.174:
	v_sub_u32_e32 v8, v0, v10
	v_add_u32_e32 v1, v8, v1
	v_or_b32_e32 v1, 0xff, v1
	v_cmp_ge_u32_e32 vcc, v1, v0
	s_mov_b64 s[0:1], -1
	v_mov_b32_e32 v8, v0
	s_and_saveexec_b64 s[8:9], vcc
	s_cbranch_execz .LBB577_183
; %bb.175:
	v_lshrrev_b32_e32 v15, 8, v9
	v_add_u32_e32 v8, -1, v15
	v_or_b32_e32 v1, 0x100, v0
	v_lshrrev_b32_e32 v9, 1, v8
	v_add_u32_e32 v17, 1, v9
	v_cmp_lt_u32_e32 vcc, 13, v8
	v_mov_b32_e32 v20, 0
	v_lshlrev_b32_e32 v16, 2, v0
	v_pk_mov_b32 v[8:9], v[0:1], v[0:1] op_sel:[0,1]
	s_and_saveexec_b64 s[10:11], vcc
	s_cbranch_execz .LBB577_179
; %bb.176:
	v_and_b32_e32 v18, -8, v17
	s_mov_b32 s14, 0
	s_mov_b64 s[12:13], 0
	v_mov_b32_e32 v11, 0
	v_mov_b32_e32 v19, v16
	v_pk_mov_b32 v[8:9], v[0:1], v[0:1] op_sel:[0,1]
.LBB577_177:                            ; =>This Inner Loop Header: Depth=1
	v_mov_b32_e32 v10, v8
	v_add_u32_e32 v18, -8, v18
	v_lshlrev_b64 v[50:51], 2, v[10:11]
	v_mov_b32_e32 v10, v9
	ds_read2st64_b32 v[22:23], v19 offset1:4
	s_add_i32 s14, s14, 16
	v_cmp_eq_u32_e32 vcc, 0, v18
	v_lshlrev_b64 v[54:55], 2, v[10:11]
	v_add_u32_e32 v10, 0x200, v8
	s_or_b64 s[12:13], vcc, s[12:13]
	v_add_co_u32_e32 v54, vcc, v13, v54
	v_add_u32_e32 v20, 0x200, v9
	v_mov_b32_e32 v21, v11
	ds_read2st64_b32 v[24:25], v19 offset0:8 offset1:12
	ds_read2st64_b32 v[28:29], v19 offset0:16 offset1:20
	v_add_co_u32_e64 v50, s[0:1], v13, v50
	v_addc_co_u32_e32 v55, vcc, v14, v55, vcc
	v_lshlrev_b64 v[56:57], 2, v[10:11]
	v_lshlrev_b64 v[52:53], 2, v[20:21]
	v_addc_co_u32_e64 v51, s[0:1], v14, v51, s[0:1]
	v_add_u32_e32 v10, 0x400, v8
	v_add_co_u32_e32 v56, vcc, v13, v56
	v_add_u32_e32 v26, 0x400, v9
	v_mov_b32_e32 v27, v11
	ds_read2st64_b32 v[32:33], v19 offset0:24 offset1:28
	v_add_co_u32_e64 v52, s[0:1], v13, v52
	v_addc_co_u32_e32 v57, vcc, v14, v57, vcc
	v_lshlrev_b64 v[58:59], 2, v[10:11]
	ds_read2st64_b32 v[36:37], v19 offset0:32 offset1:36
	ds_read2st64_b32 v[40:41], v19 offset0:40 offset1:44
	;; [unrolled: 1-line block ×4, first 2 shown]
	v_lshlrev_b64 v[26:27], 2, v[26:27]
	v_addc_co_u32_e64 v53, s[0:1], v14, v53, s[0:1]
	v_add_u32_e32 v10, 0x600, v8
	s_waitcnt lgkmcnt(7)
	global_store_dword v[50:51], v22, off
	global_store_dword v[54:55], v23, off
	s_waitcnt lgkmcnt(6)
	global_store_dword v[56:57], v24, off
	global_store_dword v[52:53], v25, off
	v_add_co_u32_e32 v22, vcc, v13, v58
	v_add_u32_e32 v30, 0x600, v9
	v_mov_b32_e32 v31, v11
	v_add_co_u32_e64 v26, s[0:1], v13, v26
	v_addc_co_u32_e32 v23, vcc, v14, v59, vcc
	v_lshlrev_b64 v[24:25], 2, v[10:11]
	v_lshlrev_b64 v[30:31], 2, v[30:31]
	v_addc_co_u32_e64 v27, s[0:1], v14, v27, s[0:1]
	v_add_u32_e32 v10, 0x800, v8
	s_waitcnt lgkmcnt(5)
	global_store_dword v[22:23], v28, off
	global_store_dword v[26:27], v29, off
	v_add_co_u32_e32 v22, vcc, v13, v24
	v_add_u32_e32 v34, 0x800, v9
	v_mov_b32_e32 v35, v11
	v_add_co_u32_e64 v30, s[0:1], v13, v30
	v_addc_co_u32_e32 v23, vcc, v14, v25, vcc
	v_lshlrev_b64 v[24:25], 2, v[10:11]
	v_lshlrev_b64 v[34:35], 2, v[34:35]
	v_addc_co_u32_e64 v31, s[0:1], v14, v31, s[0:1]
	v_add_u32_e32 v10, 0xa00, v8
	;; [unrolled: 12-line block ×4, first 2 shown]
	s_waitcnt lgkmcnt(2)
	global_store_dword v[22:23], v40, off
	global_store_dword v[38:39], v41, off
	v_add_co_u32_e32 v22, vcc, v13, v24
	v_add_u32_e32 v46, 0xe00, v9
	v_mov_b32_e32 v47, v11
	v_add_co_u32_e64 v42, s[0:1], v13, v42
	v_addc_co_u32_e32 v23, vcc, v14, v25, vcc
	v_lshlrev_b64 v[24:25], 2, v[10:11]
	v_lshlrev_b64 v[46:47], 2, v[46:47]
	v_addc_co_u32_e64 v43, s[0:1], v14, v43, s[0:1]
	s_waitcnt lgkmcnt(1)
	global_store_dword v[22:23], v44, off
	global_store_dword v[42:43], v45, off
	v_add_co_u32_e32 v22, vcc, v13, v24
	v_add_u32_e32 v19, 0x4000, v19
	v_add_u32_e32 v9, 0x1000, v9
	v_mov_b32_e32 v20, s14
	v_add_co_u32_e64 v46, s[0:1], v13, v46
	v_add_u32_e32 v8, 0x1000, v8
	v_addc_co_u32_e32 v23, vcc, v14, v25, vcc
	v_addc_co_u32_e64 v47, s[0:1], v14, v47, s[0:1]
	s_waitcnt lgkmcnt(0)
	global_store_dword v[22:23], v48, off
	global_store_dword v[46:47], v49, off
	s_andn2_b64 exec, exec, s[12:13]
	s_cbranch_execnz .LBB577_177
; %bb.178:
	s_or_b64 exec, exec, s[12:13]
.LBB577_179:
	s_or_b64 exec, exec, s[10:11]
	v_and_b32_e32 v1, 7, v17
	v_cmp_ne_u32_e32 vcc, 0, v1
	s_and_saveexec_b64 s[10:11], vcc
	s_cbranch_execz .LBB577_182
; %bb.180:
	v_lshl_or_b32 v16, v20, 10, v16
	s_mov_b64 s[12:13], 0
	v_mov_b32_e32 v11, 0
.LBB577_181:                            ; =>This Inner Loop Header: Depth=1
	ds_read2st64_b32 v[18:19], v16 offset1:4
	v_mov_b32_e32 v10, v8
	v_add_u32_e32 v1, -1, v1
	v_lshlrev_b64 v[20:21], 2, v[10:11]
	v_mov_b32_e32 v10, v9
	v_cmp_eq_u32_e32 vcc, 0, v1
	v_add_co_u32_e64 v20, s[0:1], v13, v20
	v_lshlrev_b64 v[22:23], 2, v[10:11]
	v_add_u32_e32 v8, 0x200, v8
	v_add_u32_e32 v16, 0x800, v16
	v_add_u32_e32 v9, 0x200, v9
	v_addc_co_u32_e64 v21, s[0:1], v14, v21, s[0:1]
	s_or_b64 s[12:13], vcc, s[12:13]
	v_add_co_u32_e32 v22, vcc, v13, v22
	v_addc_co_u32_e32 v23, vcc, v14, v23, vcc
	s_waitcnt lgkmcnt(0)
	global_store_dword v[20:21], v18, off
	global_store_dword v[22:23], v19, off
	s_andn2_b64 exec, exec, s[12:13]
	s_cbranch_execnz .LBB577_181
.LBB577_182:
	s_or_b64 exec, exec, s[10:11]
	v_add_u32_e32 v1, 1, v15
	v_and_b32_e32 v9, 0x1fffffe, v1
	v_cmp_ne_u32_e32 vcc, v1, v9
	v_lshl_or_b32 v8, v9, 8, v0
	s_orn2_b64 s[0:1], vcc, exec
.LBB577_183:
	s_or_b64 exec, exec, s[8:9]
	s_andn2_b64 s[4:5], s[4:5], exec
	s_and_b64 s[0:1], s[0:1], exec
	s_or_b64 s[4:5], s[4:5], s[0:1]
.LBB577_184:
	s_or_b64 exec, exec, s[6:7]
	s_and_b64 exec, exec, s[4:5]
	s_cbranch_execz .LBB577_187
; %bb.185:
	v_lshlrev_b32_e32 v1, 2, v8
	s_mov_b64 s[0:1], 0
	v_mov_b32_e32 v9, 0
.LBB577_186:                            ; =>This Inner Loop Header: Depth=1
	v_lshlrev_b64 v[10:11], 2, v[8:9]
	ds_read_b32 v15, v1
	v_add_co_u32_e32 v10, vcc, v13, v10
	v_add_u32_e32 v8, 0x100, v8
	v_addc_co_u32_e32 v11, vcc, v14, v11, vcc
	v_cmp_ge_u32_e32 vcc, v8, v3
	v_add_u32_e32 v1, 0x400, v1
	s_or_b64 s[0:1], vcc, s[0:1]
	s_waitcnt lgkmcnt(0)
	global_store_dword v[10:11], v15, off
	s_andn2_b64 exec, exec, s[0:1]
	s_cbranch_execnz .LBB577_186
.LBB577_187:
	s_or_b64 exec, exec, s[2:3]
.LBB577_188:
	s_movk_i32 s0, 0xff
	v_cmp_eq_u32_e32 vcc, s0, v0
	s_and_b64 s[0:1], vcc, s[36:37]
	s_and_saveexec_b64 s[2:3], s[0:1]
	s_cbranch_execz .LBB577_191
; %bb.189:
	v_add_co_u32_e32 v0, vcc, v2, v4
	v_addc_co_u32_e64 v1, s[0:1], 0, 0, vcc
	v_add_co_u32_e32 v0, vcc, v0, v6
	v_mov_b32_e32 v3, 0
	v_addc_co_u32_e32 v1, vcc, v1, v7, vcc
	s_cmpk_lg_i32 s33, 0xf00
	global_store_dwordx2 v3, v[0:1], s[54:55]
	s_cbranch_scc1 .LBB577_191
; %bb.190:
	v_lshlrev_b64 v[0:1], 2, v[2:3]
	v_add_co_u32_e32 v0, vcc, v5, v0
	v_addc_co_u32_e32 v1, vcc, v12, v1, vcc
	global_store_dword v[0:1], v80, off offset:-4
.LBB577_191:
	s_endpgm
.LBB577_192:
	s_or_b64 exec, exec, s[6:7]
	v_mov_b32_e32 v81, s10
	s_and_saveexec_b64 s[2:3], s[34:35]
	s_cbranch_execnz .LBB577_88
	s_branch .LBB577_89
.LBB577_193:
	s_and_saveexec_b64 s[42:43], s[30:31]
	s_cbranch_execnz .LBB577_261
; %bb.194:
	s_or_b64 exec, exec, s[42:43]
	s_and_saveexec_b64 s[42:43], s[28:29]
	s_cbranch_execnz .LBB577_262
.LBB577_195:
	s_or_b64 exec, exec, s[42:43]
	s_and_saveexec_b64 s[42:43], s[26:27]
	s_cbranch_execnz .LBB577_263
.LBB577_196:
	s_or_b64 exec, exec, s[42:43]
	s_and_saveexec_b64 s[42:43], s[24:25]
	s_cbranch_execnz .LBB577_264
.LBB577_197:
	s_or_b64 exec, exec, s[42:43]
	s_and_saveexec_b64 s[42:43], s[22:23]
	s_cbranch_execnz .LBB577_265
.LBB577_198:
	s_or_b64 exec, exec, s[42:43]
	s_and_saveexec_b64 s[42:43], s[20:21]
	s_cbranch_execnz .LBB577_266
.LBB577_199:
	s_or_b64 exec, exec, s[42:43]
	s_and_saveexec_b64 s[42:43], s[18:19]
	s_cbranch_execnz .LBB577_267
.LBB577_200:
	s_or_b64 exec, exec, s[42:43]
	s_and_saveexec_b64 s[42:43], s[16:17]
	s_cbranch_execnz .LBB577_268
.LBB577_201:
	s_or_b64 exec, exec, s[42:43]
	s_and_saveexec_b64 s[42:43], s[14:15]
	s_cbranch_execnz .LBB577_269
.LBB577_202:
	s_or_b64 exec, exec, s[42:43]
	s_and_saveexec_b64 s[42:43], s[12:13]
	s_cbranch_execnz .LBB577_270
.LBB577_203:
	s_or_b64 exec, exec, s[42:43]
	s_and_saveexec_b64 s[42:43], s[10:11]
	s_cbranch_execnz .LBB577_271
.LBB577_204:
	s_or_b64 exec, exec, s[42:43]
	s_and_saveexec_b64 s[42:43], s[8:9]
	s_cbranch_execnz .LBB577_272
.LBB577_205:
	s_or_b64 exec, exec, s[42:43]
	s_and_saveexec_b64 s[42:43], s[6:7]
	s_cbranch_execnz .LBB577_273
.LBB577_206:
	s_or_b64 exec, exec, s[42:43]
	s_and_saveexec_b64 s[42:43], s[4:5]
	s_cbranch_execz .LBB577_208
.LBB577_207:
	v_sub_u32_e32 v32, v30, v4
	v_mov_b32_e32 v33, 0
	v_lshlrev_b64 v[32:33], 2, v[32:33]
	v_add_co_u32_e32 v32, vcc, v3, v32
	v_addc_co_u32_e32 v33, vcc, v5, v33, vcc
	global_store_dword v[32:33], v9, off
.LBB577_208:
	s_or_b64 exec, exec, s[42:43]
	s_and_b64 s[42:43], s[2:3], exec
	s_andn2_saveexec_b64 s[34:35], s[34:35]
	s_cbranch_execz .LBB577_134
.LBB577_209:
	v_sub_u32_e32 v32, v64, v4
	v_mov_b32_e32 v33, 0
	v_lshlrev_b64 v[36:37], 2, v[32:33]
	v_add_co_u32_e32 v36, vcc, v3, v36
	v_addc_co_u32_e32 v37, vcc, v5, v37, vcc
	v_sub_u32_e32 v32, v62, v4
	global_store_dword v[36:37], v20, off
	v_lshlrev_b64 v[36:37], 2, v[32:33]
	v_add_co_u32_e32 v36, vcc, v3, v36
	v_addc_co_u32_e32 v37, vcc, v5, v37, vcc
	v_sub_u32_e32 v32, v60, v4
	global_store_dword v[36:37], v21, off
	v_lshlrev_b64 v[36:37], 2, v[32:33]
	v_add_co_u32_e32 v36, vcc, v3, v36
	v_addc_co_u32_e32 v37, vcc, v5, v37, vcc
	v_sub_u32_e32 v32, v58, v4
	global_store_dword v[36:37], v18, off
	v_lshlrev_b64 v[36:37], 2, v[32:33]
	v_add_co_u32_e32 v36, vcc, v3, v36
	v_addc_co_u32_e32 v37, vcc, v5, v37, vcc
	v_sub_u32_e32 v32, v56, v4
	global_store_dword v[36:37], v19, off
	v_lshlrev_b64 v[36:37], 2, v[32:33]
	v_add_co_u32_e32 v36, vcc, v3, v36
	v_addc_co_u32_e32 v37, vcc, v5, v37, vcc
	v_sub_u32_e32 v32, v54, v4
	global_store_dword v[36:37], v16, off
	v_lshlrev_b64 v[36:37], 2, v[32:33]
	v_add_co_u32_e32 v36, vcc, v3, v36
	v_addc_co_u32_e32 v37, vcc, v5, v37, vcc
	v_sub_u32_e32 v32, v52, v4
	global_store_dword v[36:37], v17, off
	v_lshlrev_b64 v[36:37], 2, v[32:33]
	v_add_co_u32_e32 v36, vcc, v3, v36
	v_addc_co_u32_e32 v37, vcc, v5, v37, vcc
	v_sub_u32_e32 v32, v50, v4
	global_store_dword v[36:37], v14, off
	v_lshlrev_b64 v[36:37], 2, v[32:33]
	v_add_co_u32_e32 v36, vcc, v3, v36
	v_addc_co_u32_e32 v37, vcc, v5, v37, vcc
	v_sub_u32_e32 v32, v46, v4
	global_store_dword v[36:37], v15, off
	v_lshlrev_b64 v[36:37], 2, v[32:33]
	v_add_co_u32_e32 v36, vcc, v3, v36
	v_addc_co_u32_e32 v37, vcc, v5, v37, vcc
	v_sub_u32_e32 v32, v44, v4
	global_store_dword v[36:37], v12, off
	v_lshlrev_b64 v[36:37], 2, v[32:33]
	v_add_co_u32_e32 v36, vcc, v3, v36
	v_addc_co_u32_e32 v37, vcc, v5, v37, vcc
	v_sub_u32_e32 v32, v40, v4
	global_store_dword v[36:37], v13, off
	v_lshlrev_b64 v[36:37], 2, v[32:33]
	v_add_co_u32_e32 v36, vcc, v3, v36
	v_addc_co_u32_e32 v37, vcc, v5, v37, vcc
	v_sub_u32_e32 v32, v38, v4
	global_store_dword v[36:37], v10, off
	v_lshlrev_b64 v[36:37], 2, v[32:33]
	v_add_co_u32_e32 v36, vcc, v3, v36
	v_addc_co_u32_e32 v37, vcc, v5, v37, vcc
	v_sub_u32_e32 v32, v34, v4
	global_store_dword v[36:37], v11, off
	v_lshlrev_b64 v[36:37], 2, v[32:33]
	v_add_co_u32_e32 v36, vcc, v3, v36
	v_sub_u32_e32 v32, v30, v4
	v_addc_co_u32_e32 v37, vcc, v5, v37, vcc
	v_lshlrev_b64 v[32:33], 2, v[32:33]
	v_add_co_u32_e32 v32, vcc, v3, v32
	v_addc_co_u32_e32 v33, vcc, v5, v33, vcc
	s_or_b64 s[42:43], s[42:43], exec
	global_store_dword v[36:37], v8, off
	global_store_dword v[32:33], v9, off
	s_or_b64 exec, exec, s[34:35]
	s_and_b64 exec, exec, s[42:43]
	s_cbranch_execnz .LBB577_135
	s_branch .LBB577_136
.LBB577_210:
	s_and_saveexec_b64 s[42:43], s[30:31]
	s_cbranch_execnz .LBB577_274
; %bb.211:
	s_or_b64 exec, exec, s[42:43]
	s_and_saveexec_b64 s[30:31], s[28:29]
	s_cbranch_execnz .LBB577_275
.LBB577_212:
	s_or_b64 exec, exec, s[30:31]
	s_and_saveexec_b64 s[28:29], s[26:27]
	s_cbranch_execnz .LBB577_276
.LBB577_213:
	s_or_b64 exec, exec, s[28:29]
	s_and_saveexec_b64 s[26:27], s[24:25]
	s_cbranch_execnz .LBB577_277
.LBB577_214:
	s_or_b64 exec, exec, s[26:27]
	s_and_saveexec_b64 s[24:25], s[22:23]
	s_cbranch_execnz .LBB577_278
.LBB577_215:
	s_or_b64 exec, exec, s[24:25]
	s_and_saveexec_b64 s[22:23], s[20:21]
	s_cbranch_execnz .LBB577_279
.LBB577_216:
	s_or_b64 exec, exec, s[22:23]
	s_and_saveexec_b64 s[20:21], s[18:19]
	s_cbranch_execnz .LBB577_280
.LBB577_217:
	s_or_b64 exec, exec, s[20:21]
	s_and_saveexec_b64 s[18:19], s[16:17]
	s_cbranch_execnz .LBB577_281
.LBB577_218:
	s_or_b64 exec, exec, s[18:19]
	s_and_saveexec_b64 s[16:17], s[14:15]
	s_cbranch_execnz .LBB577_282
.LBB577_219:
	s_or_b64 exec, exec, s[16:17]
	s_and_saveexec_b64 s[14:15], s[12:13]
	s_cbranch_execnz .LBB577_283
.LBB577_220:
	s_or_b64 exec, exec, s[14:15]
	s_and_saveexec_b64 s[12:13], s[10:11]
	s_cbranch_execnz .LBB577_284
.LBB577_221:
	s_or_b64 exec, exec, s[12:13]
	s_and_saveexec_b64 s[10:11], s[8:9]
	s_cbranch_execnz .LBB577_285
.LBB577_222:
	s_or_b64 exec, exec, s[10:11]
	s_and_saveexec_b64 s[8:9], s[6:7]
	s_cbranch_execnz .LBB577_286
.LBB577_223:
	s_or_b64 exec, exec, s[8:9]
	s_and_saveexec_b64 s[6:7], s[4:5]
	s_cbranch_execz .LBB577_225
.LBB577_224:
	v_sub_u32_e32 v8, v30, v4
	v_lshlrev_b32_e32 v8, 2, v8
	ds_write_b32 v8, v9
.LBB577_225:
	s_or_b64 exec, exec, s[6:7]
	s_and_b64 s[42:43], s[2:3], exec
                                        ; implicit-def: $vgpr8
                                        ; implicit-def: $vgpr10
                                        ; implicit-def: $vgpr12
                                        ; implicit-def: $vgpr14
                                        ; implicit-def: $vgpr16
                                        ; implicit-def: $vgpr18
                                        ; implicit-def: $vgpr20
	s_andn2_saveexec_b64 s[2:3], s[40:41]
	s_cbranch_execz .LBB577_141
.LBB577_226:
	v_sub_u32_e32 v28, v64, v4
	v_lshlrev_b32_e32 v28, 2, v28
	ds_write_b32 v28, v20
	v_sub_u32_e32 v20, v62, v4
	v_lshlrev_b32_e32 v20, 2, v20
	ds_write_b32 v20, v21
	v_sub_u32_e32 v20, v60, v4
	v_lshlrev_b32_e32 v20, 2, v20
	ds_write_b32 v20, v18
	v_sub_u32_e32 v18, v58, v4
	v_lshlrev_b32_e32 v18, 2, v18
	ds_write_b32 v18, v19
	v_sub_u32_e32 v18, v56, v4
	v_lshlrev_b32_e32 v18, 2, v18
	ds_write_b32 v18, v16
	v_sub_u32_e32 v16, v54, v4
	v_lshlrev_b32_e32 v16, 2, v16
	ds_write_b32 v16, v17
	v_sub_u32_e32 v16, v52, v4
	v_lshlrev_b32_e32 v16, 2, v16
	ds_write_b32 v16, v14
	v_sub_u32_e32 v14, v50, v4
	v_lshlrev_b32_e32 v14, 2, v14
	ds_write_b32 v14, v15
	v_sub_u32_e32 v14, v46, v4
	v_lshlrev_b32_e32 v14, 2, v14
	ds_write_b32 v14, v12
	v_sub_u32_e32 v12, v44, v4
	v_lshlrev_b32_e32 v12, 2, v12
	ds_write_b32 v12, v13
	v_sub_u32_e32 v12, v40, v4
	v_lshlrev_b32_e32 v12, 2, v12
	ds_write_b32 v12, v10
	v_sub_u32_e32 v10, v38, v4
	v_lshlrev_b32_e32 v10, 2, v10
	ds_write_b32 v10, v11
	v_sub_u32_e32 v10, v34, v4
	v_lshlrev_b32_e32 v10, 2, v10
	ds_write_b32 v10, v8
	v_sub_u32_e32 v8, v30, v4
	v_lshlrev_b32_e32 v8, 2, v8
	s_or_b64 s[42:43], s[42:43], exec
	ds_write_b32 v8, v9
	s_or_b64 exec, exec, s[2:3]
	s_and_b64 exec, exec, s[42:43]
	s_cbranch_execnz .LBB577_142
	s_branch .LBB577_143
.LBB577_227:
	s_and_saveexec_b64 s[38:39], s[28:29]
	s_cbranch_execnz .LBB577_287
; %bb.228:
	s_or_b64 exec, exec, s[38:39]
	s_and_saveexec_b64 s[38:39], s[26:27]
	s_cbranch_execnz .LBB577_288
.LBB577_229:
	s_or_b64 exec, exec, s[38:39]
	s_and_saveexec_b64 s[38:39], s[24:25]
	s_cbranch_execnz .LBB577_289
.LBB577_230:
	s_or_b64 exec, exec, s[38:39]
	s_and_saveexec_b64 s[38:39], s[22:23]
	s_cbranch_execnz .LBB577_290
.LBB577_231:
	s_or_b64 exec, exec, s[38:39]
	s_and_saveexec_b64 s[38:39], s[20:21]
	s_cbranch_execnz .LBB577_291
.LBB577_232:
	s_or_b64 exec, exec, s[38:39]
	s_and_saveexec_b64 s[38:39], s[18:19]
	s_cbranch_execnz .LBB577_292
.LBB577_233:
	s_or_b64 exec, exec, s[38:39]
	s_and_saveexec_b64 s[38:39], s[16:17]
	s_cbranch_execnz .LBB577_293
.LBB577_234:
	s_or_b64 exec, exec, s[38:39]
	s_and_saveexec_b64 s[38:39], s[14:15]
	s_cbranch_execnz .LBB577_294
.LBB577_235:
	s_or_b64 exec, exec, s[38:39]
	s_and_saveexec_b64 s[38:39], s[12:13]
	s_cbranch_execnz .LBB577_295
.LBB577_236:
	s_or_b64 exec, exec, s[38:39]
	s_and_saveexec_b64 s[38:39], s[10:11]
	s_cbranch_execnz .LBB577_296
.LBB577_237:
	s_or_b64 exec, exec, s[38:39]
	s_and_saveexec_b64 s[38:39], s[8:9]
	s_cbranch_execnz .LBB577_297
.LBB577_238:
	s_or_b64 exec, exec, s[38:39]
	s_and_saveexec_b64 s[38:39], s[6:7]
	s_cbranch_execnz .LBB577_298
.LBB577_239:
	s_or_b64 exec, exec, s[38:39]
	s_and_saveexec_b64 s[38:39], s[4:5]
	s_cbranch_execnz .LBB577_299
.LBB577_240:
	s_or_b64 exec, exec, s[38:39]
	s_and_saveexec_b64 s[38:39], s[2:3]
	s_cbranch_execz .LBB577_242
.LBB577_241:
	v_sub_u32_e32 v16, v30, v9
	v_mov_b32_e32 v17, 0
	v_lshlrev_b64 v[16:17], 2, v[16:17]
	v_add_co_u32_e32 v16, vcc, v13, v16
	v_addc_co_u32_e32 v17, vcc, v14, v17, vcc
	global_store_dword v[16:17], v31, off
.LBB577_242:
	s_or_b64 exec, exec, s[38:39]
	s_and_b64 s[38:39], s[0:1], exec
	s_andn2_saveexec_b64 s[30:31], s[30:31]
	s_cbranch_execz .LBB577_163
.LBB577_243:
	v_sub_u32_e32 v16, v64, v9
	v_mov_b32_e32 v17, 0
	v_lshlrev_b64 v[18:19], 2, v[16:17]
	v_add_co_u32_e32 v18, vcc, v13, v18
	v_addc_co_u32_e32 v19, vcc, v14, v19, vcc
	v_sub_u32_e32 v16, v62, v9
	global_store_dword v[18:19], v65, off
	v_lshlrev_b64 v[18:19], 2, v[16:17]
	v_add_co_u32_e32 v18, vcc, v13, v18
	v_addc_co_u32_e32 v19, vcc, v14, v19, vcc
	v_sub_u32_e32 v16, v60, v9
	global_store_dword v[18:19], v63, off
	v_lshlrev_b64 v[18:19], 2, v[16:17]
	v_add_co_u32_e32 v18, vcc, v13, v18
	v_addc_co_u32_e32 v19, vcc, v14, v19, vcc
	v_sub_u32_e32 v16, v58, v9
	global_store_dword v[18:19], v61, off
	v_lshlrev_b64 v[18:19], 2, v[16:17]
	v_add_co_u32_e32 v18, vcc, v13, v18
	v_addc_co_u32_e32 v19, vcc, v14, v19, vcc
	v_sub_u32_e32 v16, v56, v9
	global_store_dword v[18:19], v59, off
	v_lshlrev_b64 v[18:19], 2, v[16:17]
	v_add_co_u32_e32 v18, vcc, v13, v18
	v_addc_co_u32_e32 v19, vcc, v14, v19, vcc
	v_sub_u32_e32 v16, v54, v9
	global_store_dword v[18:19], v57, off
	v_lshlrev_b64 v[18:19], 2, v[16:17]
	v_add_co_u32_e32 v18, vcc, v13, v18
	v_addc_co_u32_e32 v19, vcc, v14, v19, vcc
	v_sub_u32_e32 v16, v52, v9
	global_store_dword v[18:19], v55, off
	v_lshlrev_b64 v[18:19], 2, v[16:17]
	v_add_co_u32_e32 v18, vcc, v13, v18
	v_addc_co_u32_e32 v19, vcc, v14, v19, vcc
	v_sub_u32_e32 v16, v50, v9
	global_store_dword v[18:19], v53, off
	v_lshlrev_b64 v[18:19], 2, v[16:17]
	v_add_co_u32_e32 v18, vcc, v13, v18
	v_addc_co_u32_e32 v19, vcc, v14, v19, vcc
	v_sub_u32_e32 v16, v46, v9
	global_store_dword v[18:19], v51, off
	v_lshlrev_b64 v[18:19], 2, v[16:17]
	v_add_co_u32_e32 v18, vcc, v13, v18
	v_addc_co_u32_e32 v19, vcc, v14, v19, vcc
	v_sub_u32_e32 v16, v44, v9
	global_store_dword v[18:19], v47, off
	v_lshlrev_b64 v[18:19], 2, v[16:17]
	v_add_co_u32_e32 v18, vcc, v13, v18
	v_addc_co_u32_e32 v19, vcc, v14, v19, vcc
	v_sub_u32_e32 v16, v40, v9
	global_store_dword v[18:19], v45, off
	v_lshlrev_b64 v[18:19], 2, v[16:17]
	v_add_co_u32_e32 v18, vcc, v13, v18
	v_addc_co_u32_e32 v19, vcc, v14, v19, vcc
	v_sub_u32_e32 v16, v38, v9
	global_store_dword v[18:19], v41, off
	v_lshlrev_b64 v[18:19], 2, v[16:17]
	v_add_co_u32_e32 v18, vcc, v13, v18
	v_addc_co_u32_e32 v19, vcc, v14, v19, vcc
	v_sub_u32_e32 v16, v34, v9
	global_store_dword v[18:19], v39, off
	v_lshlrev_b64 v[18:19], 2, v[16:17]
	v_add_co_u32_e32 v18, vcc, v13, v18
	v_sub_u32_e32 v16, v30, v9
	v_addc_co_u32_e32 v19, vcc, v14, v19, vcc
	v_lshlrev_b64 v[16:17], 2, v[16:17]
	v_add_co_u32_e32 v16, vcc, v13, v16
	v_addc_co_u32_e32 v17, vcc, v14, v17, vcc
	s_or_b64 s[38:39], s[38:39], exec
	global_store_dword v[18:19], v35, off
	global_store_dword v[16:17], v31, off
	s_or_b64 exec, exec, s[30:31]
	s_and_b64 exec, exec, s[38:39]
	s_cbranch_execnz .LBB577_164
	s_branch .LBB577_165
.LBB577_244:
	s_and_saveexec_b64 s[38:39], s[28:29]
	s_cbranch_execnz .LBB577_300
; %bb.245:
	s_or_b64 exec, exec, s[38:39]
	s_and_saveexec_b64 s[28:29], s[26:27]
	s_cbranch_execnz .LBB577_301
.LBB577_246:
	s_or_b64 exec, exec, s[28:29]
	s_and_saveexec_b64 s[26:27], s[24:25]
	s_cbranch_execnz .LBB577_302
.LBB577_247:
	s_or_b64 exec, exec, s[26:27]
	s_and_saveexec_b64 s[24:25], s[22:23]
	s_cbranch_execnz .LBB577_303
.LBB577_248:
	s_or_b64 exec, exec, s[24:25]
	s_and_saveexec_b64 s[22:23], s[20:21]
	s_cbranch_execnz .LBB577_304
.LBB577_249:
	s_or_b64 exec, exec, s[22:23]
	s_and_saveexec_b64 s[20:21], s[18:19]
	s_cbranch_execnz .LBB577_305
.LBB577_250:
	s_or_b64 exec, exec, s[20:21]
	s_and_saveexec_b64 s[18:19], s[16:17]
	s_cbranch_execnz .LBB577_306
.LBB577_251:
	s_or_b64 exec, exec, s[18:19]
	s_and_saveexec_b64 s[16:17], s[14:15]
	s_cbranch_execnz .LBB577_307
.LBB577_252:
	s_or_b64 exec, exec, s[16:17]
	s_and_saveexec_b64 s[14:15], s[12:13]
	s_cbranch_execnz .LBB577_308
.LBB577_253:
	s_or_b64 exec, exec, s[14:15]
	s_and_saveexec_b64 s[12:13], s[10:11]
	s_cbranch_execnz .LBB577_309
.LBB577_254:
	s_or_b64 exec, exec, s[12:13]
	s_and_saveexec_b64 s[10:11], s[8:9]
	s_cbranch_execnz .LBB577_310
.LBB577_255:
	s_or_b64 exec, exec, s[10:11]
	s_and_saveexec_b64 s[8:9], s[6:7]
	s_cbranch_execnz .LBB577_311
.LBB577_256:
	s_or_b64 exec, exec, s[8:9]
	s_and_saveexec_b64 s[6:7], s[4:5]
	s_cbranch_execnz .LBB577_312
.LBB577_257:
	s_or_b64 exec, exec, s[6:7]
	s_and_saveexec_b64 s[4:5], s[2:3]
	s_cbranch_execz .LBB577_259
.LBB577_258:
	v_sub_u32_e32 v10, v30, v9
	v_lshlrev_b32_e32 v10, 2, v10
	ds_write_b32 v10, v31
.LBB577_259:
	s_or_b64 exec, exec, s[4:5]
	s_and_b64 s[38:39], s[0:1], exec
                                        ; implicit-def: $vgpr64_vgpr65
                                        ; implicit-def: $vgpr62_vgpr63
                                        ; implicit-def: $vgpr60_vgpr61
                                        ; implicit-def: $vgpr58_vgpr59
                                        ; implicit-def: $vgpr56_vgpr57
                                        ; implicit-def: $vgpr54_vgpr55
                                        ; implicit-def: $vgpr52_vgpr53
                                        ; implicit-def: $vgpr50_vgpr51
                                        ; implicit-def: $vgpr46_vgpr47
                                        ; implicit-def: $vgpr44_vgpr45
                                        ; implicit-def: $vgpr40_vgpr41
                                        ; implicit-def: $vgpr38_vgpr39
                                        ; implicit-def: $vgpr34_vgpr35
                                        ; implicit-def: $vgpr30_vgpr31
	s_andn2_saveexec_b64 s[0:1], s[34:35]
	s_cbranch_execz .LBB577_170
.LBB577_260:
	v_sub_u32_e32 v10, v64, v9
	v_lshlrev_b32_e32 v10, 2, v10
	ds_write_b32 v10, v65
	v_sub_u32_e32 v10, v62, v9
	v_lshlrev_b32_e32 v10, 2, v10
	ds_write_b32 v10, v63
	;; [unrolled: 3-line block ×13, first 2 shown]
	v_sub_u32_e32 v10, v30, v9
	v_lshlrev_b32_e32 v10, 2, v10
	s_or_b64 s[38:39], s[38:39], exec
	ds_write_b32 v10, v31
	s_or_b64 exec, exec, s[0:1]
	s_and_b64 exec, exec, s[38:39]
	s_cbranch_execnz .LBB577_171
	s_branch .LBB577_172
.LBB577_261:
	v_sub_u32_e32 v32, v64, v4
	v_mov_b32_e32 v33, 0
	v_lshlrev_b64 v[32:33], 2, v[32:33]
	v_add_co_u32_e32 v32, vcc, v3, v32
	v_addc_co_u32_e32 v33, vcc, v5, v33, vcc
	global_store_dword v[32:33], v20, off
	s_or_b64 exec, exec, s[42:43]
	s_and_saveexec_b64 s[42:43], s[28:29]
	s_cbranch_execz .LBB577_195
.LBB577_262:
	v_sub_u32_e32 v32, v62, v4
	v_mov_b32_e32 v33, 0
	v_lshlrev_b64 v[32:33], 2, v[32:33]
	v_add_co_u32_e32 v32, vcc, v3, v32
	v_addc_co_u32_e32 v33, vcc, v5, v33, vcc
	global_store_dword v[32:33], v21, off
	s_or_b64 exec, exec, s[42:43]
	s_and_saveexec_b64 s[42:43], s[26:27]
	s_cbranch_execz .LBB577_196
.LBB577_263:
	v_sub_u32_e32 v32, v60, v4
	v_mov_b32_e32 v33, 0
	v_lshlrev_b64 v[32:33], 2, v[32:33]
	v_add_co_u32_e32 v32, vcc, v3, v32
	v_addc_co_u32_e32 v33, vcc, v5, v33, vcc
	global_store_dword v[32:33], v18, off
	s_or_b64 exec, exec, s[42:43]
	s_and_saveexec_b64 s[42:43], s[24:25]
	s_cbranch_execz .LBB577_197
.LBB577_264:
	v_sub_u32_e32 v32, v58, v4
	v_mov_b32_e32 v33, 0
	v_lshlrev_b64 v[32:33], 2, v[32:33]
	v_add_co_u32_e32 v32, vcc, v3, v32
	v_addc_co_u32_e32 v33, vcc, v5, v33, vcc
	global_store_dword v[32:33], v19, off
	s_or_b64 exec, exec, s[42:43]
	s_and_saveexec_b64 s[42:43], s[22:23]
	s_cbranch_execz .LBB577_198
.LBB577_265:
	v_sub_u32_e32 v32, v56, v4
	v_mov_b32_e32 v33, 0
	v_lshlrev_b64 v[32:33], 2, v[32:33]
	v_add_co_u32_e32 v32, vcc, v3, v32
	v_addc_co_u32_e32 v33, vcc, v5, v33, vcc
	global_store_dword v[32:33], v16, off
	s_or_b64 exec, exec, s[42:43]
	s_and_saveexec_b64 s[42:43], s[20:21]
	s_cbranch_execz .LBB577_199
.LBB577_266:
	v_sub_u32_e32 v32, v54, v4
	v_mov_b32_e32 v33, 0
	v_lshlrev_b64 v[32:33], 2, v[32:33]
	v_add_co_u32_e32 v32, vcc, v3, v32
	v_addc_co_u32_e32 v33, vcc, v5, v33, vcc
	global_store_dword v[32:33], v17, off
	s_or_b64 exec, exec, s[42:43]
	s_and_saveexec_b64 s[42:43], s[18:19]
	s_cbranch_execz .LBB577_200
.LBB577_267:
	v_sub_u32_e32 v32, v52, v4
	v_mov_b32_e32 v33, 0
	v_lshlrev_b64 v[32:33], 2, v[32:33]
	v_add_co_u32_e32 v32, vcc, v3, v32
	v_addc_co_u32_e32 v33, vcc, v5, v33, vcc
	global_store_dword v[32:33], v14, off
	s_or_b64 exec, exec, s[42:43]
	s_and_saveexec_b64 s[42:43], s[16:17]
	s_cbranch_execz .LBB577_201
.LBB577_268:
	v_sub_u32_e32 v32, v50, v4
	v_mov_b32_e32 v33, 0
	v_lshlrev_b64 v[32:33], 2, v[32:33]
	v_add_co_u32_e32 v32, vcc, v3, v32
	v_addc_co_u32_e32 v33, vcc, v5, v33, vcc
	global_store_dword v[32:33], v15, off
	s_or_b64 exec, exec, s[42:43]
	s_and_saveexec_b64 s[42:43], s[14:15]
	s_cbranch_execz .LBB577_202
.LBB577_269:
	v_sub_u32_e32 v32, v46, v4
	v_mov_b32_e32 v33, 0
	v_lshlrev_b64 v[32:33], 2, v[32:33]
	v_add_co_u32_e32 v32, vcc, v3, v32
	v_addc_co_u32_e32 v33, vcc, v5, v33, vcc
	global_store_dword v[32:33], v12, off
	s_or_b64 exec, exec, s[42:43]
	s_and_saveexec_b64 s[42:43], s[12:13]
	s_cbranch_execz .LBB577_203
.LBB577_270:
	v_sub_u32_e32 v32, v44, v4
	v_mov_b32_e32 v33, 0
	v_lshlrev_b64 v[32:33], 2, v[32:33]
	v_add_co_u32_e32 v32, vcc, v3, v32
	v_addc_co_u32_e32 v33, vcc, v5, v33, vcc
	global_store_dword v[32:33], v13, off
	s_or_b64 exec, exec, s[42:43]
	s_and_saveexec_b64 s[42:43], s[10:11]
	s_cbranch_execz .LBB577_204
.LBB577_271:
	v_sub_u32_e32 v32, v40, v4
	v_mov_b32_e32 v33, 0
	v_lshlrev_b64 v[32:33], 2, v[32:33]
	v_add_co_u32_e32 v32, vcc, v3, v32
	v_addc_co_u32_e32 v33, vcc, v5, v33, vcc
	global_store_dword v[32:33], v10, off
	s_or_b64 exec, exec, s[42:43]
	s_and_saveexec_b64 s[42:43], s[8:9]
	s_cbranch_execz .LBB577_205
.LBB577_272:
	v_sub_u32_e32 v32, v38, v4
	v_mov_b32_e32 v33, 0
	v_lshlrev_b64 v[32:33], 2, v[32:33]
	v_add_co_u32_e32 v32, vcc, v3, v32
	v_addc_co_u32_e32 v33, vcc, v5, v33, vcc
	global_store_dword v[32:33], v11, off
	s_or_b64 exec, exec, s[42:43]
	s_and_saveexec_b64 s[42:43], s[6:7]
	s_cbranch_execz .LBB577_206
.LBB577_273:
	v_sub_u32_e32 v32, v34, v4
	v_mov_b32_e32 v33, 0
	v_lshlrev_b64 v[32:33], 2, v[32:33]
	v_add_co_u32_e32 v32, vcc, v3, v32
	v_addc_co_u32_e32 v33, vcc, v5, v33, vcc
	global_store_dword v[32:33], v8, off
	s_or_b64 exec, exec, s[42:43]
	s_and_saveexec_b64 s[42:43], s[4:5]
	s_cbranch_execnz .LBB577_207
	s_branch .LBB577_208
.LBB577_274:
	v_sub_u32_e32 v28, v64, v4
	v_lshlrev_b32_e32 v28, 2, v28
	ds_write_b32 v28, v20
	s_or_b64 exec, exec, s[42:43]
	s_and_saveexec_b64 s[30:31], s[28:29]
	s_cbranch_execz .LBB577_212
.LBB577_275:
	v_sub_u32_e32 v20, v62, v4
	v_lshlrev_b32_e32 v20, 2, v20
	ds_write_b32 v20, v21
	s_or_b64 exec, exec, s[30:31]
	s_and_saveexec_b64 s[28:29], s[26:27]
	s_cbranch_execz .LBB577_213
.LBB577_276:
	v_sub_u32_e32 v20, v60, v4
	v_lshlrev_b32_e32 v20, 2, v20
	ds_write_b32 v20, v18
	s_or_b64 exec, exec, s[28:29]
	s_and_saveexec_b64 s[26:27], s[24:25]
	s_cbranch_execz .LBB577_214
.LBB577_277:
	v_sub_u32_e32 v18, v58, v4
	v_lshlrev_b32_e32 v18, 2, v18
	ds_write_b32 v18, v19
	s_or_b64 exec, exec, s[26:27]
	s_and_saveexec_b64 s[24:25], s[22:23]
	s_cbranch_execz .LBB577_215
.LBB577_278:
	v_sub_u32_e32 v18, v56, v4
	v_lshlrev_b32_e32 v18, 2, v18
	ds_write_b32 v18, v16
	s_or_b64 exec, exec, s[24:25]
	s_and_saveexec_b64 s[22:23], s[20:21]
	s_cbranch_execz .LBB577_216
.LBB577_279:
	v_sub_u32_e32 v16, v54, v4
	v_lshlrev_b32_e32 v16, 2, v16
	ds_write_b32 v16, v17
	s_or_b64 exec, exec, s[22:23]
	s_and_saveexec_b64 s[20:21], s[18:19]
	s_cbranch_execz .LBB577_217
.LBB577_280:
	v_sub_u32_e32 v16, v52, v4
	v_lshlrev_b32_e32 v16, 2, v16
	ds_write_b32 v16, v14
	s_or_b64 exec, exec, s[20:21]
	s_and_saveexec_b64 s[18:19], s[16:17]
	s_cbranch_execz .LBB577_218
.LBB577_281:
	v_sub_u32_e32 v14, v50, v4
	v_lshlrev_b32_e32 v14, 2, v14
	ds_write_b32 v14, v15
	s_or_b64 exec, exec, s[18:19]
	s_and_saveexec_b64 s[16:17], s[14:15]
	s_cbranch_execz .LBB577_219
.LBB577_282:
	v_sub_u32_e32 v14, v46, v4
	v_lshlrev_b32_e32 v14, 2, v14
	ds_write_b32 v14, v12
	s_or_b64 exec, exec, s[16:17]
	s_and_saveexec_b64 s[14:15], s[12:13]
	s_cbranch_execz .LBB577_220
.LBB577_283:
	v_sub_u32_e32 v12, v44, v4
	v_lshlrev_b32_e32 v12, 2, v12
	ds_write_b32 v12, v13
	s_or_b64 exec, exec, s[14:15]
	s_and_saveexec_b64 s[12:13], s[10:11]
	s_cbranch_execz .LBB577_221
.LBB577_284:
	v_sub_u32_e32 v12, v40, v4
	v_lshlrev_b32_e32 v12, 2, v12
	ds_write_b32 v12, v10
	s_or_b64 exec, exec, s[12:13]
	s_and_saveexec_b64 s[10:11], s[8:9]
	s_cbranch_execz .LBB577_222
.LBB577_285:
	v_sub_u32_e32 v10, v38, v4
	v_lshlrev_b32_e32 v10, 2, v10
	ds_write_b32 v10, v11
	s_or_b64 exec, exec, s[10:11]
	s_and_saveexec_b64 s[8:9], s[6:7]
	s_cbranch_execz .LBB577_223
.LBB577_286:
	v_sub_u32_e32 v10, v34, v4
	v_lshlrev_b32_e32 v10, 2, v10
	ds_write_b32 v10, v8
	s_or_b64 exec, exec, s[8:9]
	s_and_saveexec_b64 s[6:7], s[4:5]
	s_cbranch_execnz .LBB577_224
	s_branch .LBB577_225
.LBB577_287:
	v_sub_u32_e32 v16, v64, v9
	v_mov_b32_e32 v17, 0
	v_lshlrev_b64 v[16:17], 2, v[16:17]
	v_add_co_u32_e32 v16, vcc, v13, v16
	v_addc_co_u32_e32 v17, vcc, v14, v17, vcc
	global_store_dword v[16:17], v65, off
	s_or_b64 exec, exec, s[38:39]
	s_and_saveexec_b64 s[38:39], s[26:27]
	s_cbranch_execz .LBB577_229
.LBB577_288:
	v_sub_u32_e32 v16, v62, v9
	v_mov_b32_e32 v17, 0
	v_lshlrev_b64 v[16:17], 2, v[16:17]
	v_add_co_u32_e32 v16, vcc, v13, v16
	v_addc_co_u32_e32 v17, vcc, v14, v17, vcc
	global_store_dword v[16:17], v63, off
	s_or_b64 exec, exec, s[38:39]
	s_and_saveexec_b64 s[38:39], s[24:25]
	s_cbranch_execz .LBB577_230
.LBB577_289:
	v_sub_u32_e32 v16, v60, v9
	v_mov_b32_e32 v17, 0
	v_lshlrev_b64 v[16:17], 2, v[16:17]
	v_add_co_u32_e32 v16, vcc, v13, v16
	v_addc_co_u32_e32 v17, vcc, v14, v17, vcc
	global_store_dword v[16:17], v61, off
	s_or_b64 exec, exec, s[38:39]
	s_and_saveexec_b64 s[38:39], s[22:23]
	s_cbranch_execz .LBB577_231
.LBB577_290:
	v_sub_u32_e32 v16, v58, v9
	v_mov_b32_e32 v17, 0
	v_lshlrev_b64 v[16:17], 2, v[16:17]
	v_add_co_u32_e32 v16, vcc, v13, v16
	v_addc_co_u32_e32 v17, vcc, v14, v17, vcc
	global_store_dword v[16:17], v59, off
	s_or_b64 exec, exec, s[38:39]
	s_and_saveexec_b64 s[38:39], s[20:21]
	s_cbranch_execz .LBB577_232
.LBB577_291:
	v_sub_u32_e32 v16, v56, v9
	v_mov_b32_e32 v17, 0
	v_lshlrev_b64 v[16:17], 2, v[16:17]
	v_add_co_u32_e32 v16, vcc, v13, v16
	v_addc_co_u32_e32 v17, vcc, v14, v17, vcc
	global_store_dword v[16:17], v57, off
	s_or_b64 exec, exec, s[38:39]
	s_and_saveexec_b64 s[38:39], s[18:19]
	s_cbranch_execz .LBB577_233
.LBB577_292:
	v_sub_u32_e32 v16, v54, v9
	v_mov_b32_e32 v17, 0
	v_lshlrev_b64 v[16:17], 2, v[16:17]
	v_add_co_u32_e32 v16, vcc, v13, v16
	v_addc_co_u32_e32 v17, vcc, v14, v17, vcc
	global_store_dword v[16:17], v55, off
	s_or_b64 exec, exec, s[38:39]
	s_and_saveexec_b64 s[38:39], s[16:17]
	s_cbranch_execz .LBB577_234
.LBB577_293:
	v_sub_u32_e32 v16, v52, v9
	v_mov_b32_e32 v17, 0
	v_lshlrev_b64 v[16:17], 2, v[16:17]
	v_add_co_u32_e32 v16, vcc, v13, v16
	v_addc_co_u32_e32 v17, vcc, v14, v17, vcc
	global_store_dword v[16:17], v53, off
	s_or_b64 exec, exec, s[38:39]
	s_and_saveexec_b64 s[38:39], s[14:15]
	s_cbranch_execz .LBB577_235
.LBB577_294:
	v_sub_u32_e32 v16, v50, v9
	v_mov_b32_e32 v17, 0
	v_lshlrev_b64 v[16:17], 2, v[16:17]
	v_add_co_u32_e32 v16, vcc, v13, v16
	v_addc_co_u32_e32 v17, vcc, v14, v17, vcc
	global_store_dword v[16:17], v51, off
	s_or_b64 exec, exec, s[38:39]
	s_and_saveexec_b64 s[38:39], s[12:13]
	s_cbranch_execz .LBB577_236
.LBB577_295:
	v_sub_u32_e32 v16, v46, v9
	v_mov_b32_e32 v17, 0
	v_lshlrev_b64 v[16:17], 2, v[16:17]
	v_add_co_u32_e32 v16, vcc, v13, v16
	v_addc_co_u32_e32 v17, vcc, v14, v17, vcc
	global_store_dword v[16:17], v47, off
	s_or_b64 exec, exec, s[38:39]
	s_and_saveexec_b64 s[38:39], s[10:11]
	s_cbranch_execz .LBB577_237
.LBB577_296:
	v_sub_u32_e32 v16, v44, v9
	v_mov_b32_e32 v17, 0
	v_lshlrev_b64 v[16:17], 2, v[16:17]
	v_add_co_u32_e32 v16, vcc, v13, v16
	v_addc_co_u32_e32 v17, vcc, v14, v17, vcc
	global_store_dword v[16:17], v45, off
	s_or_b64 exec, exec, s[38:39]
	s_and_saveexec_b64 s[38:39], s[8:9]
	s_cbranch_execz .LBB577_238
.LBB577_297:
	v_sub_u32_e32 v16, v40, v9
	v_mov_b32_e32 v17, 0
	v_lshlrev_b64 v[16:17], 2, v[16:17]
	v_add_co_u32_e32 v16, vcc, v13, v16
	v_addc_co_u32_e32 v17, vcc, v14, v17, vcc
	global_store_dword v[16:17], v41, off
	s_or_b64 exec, exec, s[38:39]
	s_and_saveexec_b64 s[38:39], s[6:7]
	s_cbranch_execz .LBB577_239
.LBB577_298:
	v_sub_u32_e32 v16, v38, v9
	v_mov_b32_e32 v17, 0
	v_lshlrev_b64 v[16:17], 2, v[16:17]
	v_add_co_u32_e32 v16, vcc, v13, v16
	v_addc_co_u32_e32 v17, vcc, v14, v17, vcc
	global_store_dword v[16:17], v39, off
	s_or_b64 exec, exec, s[38:39]
	s_and_saveexec_b64 s[38:39], s[4:5]
	s_cbranch_execz .LBB577_240
.LBB577_299:
	v_sub_u32_e32 v16, v34, v9
	v_mov_b32_e32 v17, 0
	v_lshlrev_b64 v[16:17], 2, v[16:17]
	v_add_co_u32_e32 v16, vcc, v13, v16
	v_addc_co_u32_e32 v17, vcc, v14, v17, vcc
	global_store_dword v[16:17], v35, off
	s_or_b64 exec, exec, s[38:39]
	s_and_saveexec_b64 s[38:39], s[2:3]
	s_cbranch_execnz .LBB577_241
	s_branch .LBB577_242
.LBB577_300:
	v_sub_u32_e32 v10, v64, v9
	v_lshlrev_b32_e32 v10, 2, v10
	ds_write_b32 v10, v65
	s_or_b64 exec, exec, s[38:39]
	s_and_saveexec_b64 s[28:29], s[26:27]
	s_cbranch_execz .LBB577_246
.LBB577_301:
	v_sub_u32_e32 v10, v62, v9
	v_lshlrev_b32_e32 v10, 2, v10
	ds_write_b32 v10, v63
	s_or_b64 exec, exec, s[28:29]
	s_and_saveexec_b64 s[26:27], s[24:25]
	s_cbranch_execz .LBB577_247
.LBB577_302:
	v_sub_u32_e32 v10, v60, v9
	v_lshlrev_b32_e32 v10, 2, v10
	ds_write_b32 v10, v61
	s_or_b64 exec, exec, s[26:27]
	s_and_saveexec_b64 s[24:25], s[22:23]
	s_cbranch_execz .LBB577_248
.LBB577_303:
	v_sub_u32_e32 v10, v58, v9
	v_lshlrev_b32_e32 v10, 2, v10
	ds_write_b32 v10, v59
	s_or_b64 exec, exec, s[24:25]
	s_and_saveexec_b64 s[22:23], s[20:21]
	s_cbranch_execz .LBB577_249
.LBB577_304:
	v_sub_u32_e32 v10, v56, v9
	v_lshlrev_b32_e32 v10, 2, v10
	ds_write_b32 v10, v57
	s_or_b64 exec, exec, s[22:23]
	s_and_saveexec_b64 s[20:21], s[18:19]
	s_cbranch_execz .LBB577_250
.LBB577_305:
	v_sub_u32_e32 v10, v54, v9
	v_lshlrev_b32_e32 v10, 2, v10
	ds_write_b32 v10, v55
	s_or_b64 exec, exec, s[20:21]
	s_and_saveexec_b64 s[18:19], s[16:17]
	s_cbranch_execz .LBB577_251
.LBB577_306:
	v_sub_u32_e32 v10, v52, v9
	v_lshlrev_b32_e32 v10, 2, v10
	ds_write_b32 v10, v53
	s_or_b64 exec, exec, s[18:19]
	s_and_saveexec_b64 s[16:17], s[14:15]
	s_cbranch_execz .LBB577_252
.LBB577_307:
	v_sub_u32_e32 v10, v50, v9
	v_lshlrev_b32_e32 v10, 2, v10
	ds_write_b32 v10, v51
	s_or_b64 exec, exec, s[16:17]
	s_and_saveexec_b64 s[14:15], s[12:13]
	s_cbranch_execz .LBB577_253
.LBB577_308:
	v_sub_u32_e32 v10, v46, v9
	v_lshlrev_b32_e32 v10, 2, v10
	ds_write_b32 v10, v47
	s_or_b64 exec, exec, s[14:15]
	s_and_saveexec_b64 s[12:13], s[10:11]
	s_cbranch_execz .LBB577_254
.LBB577_309:
	v_sub_u32_e32 v10, v44, v9
	v_lshlrev_b32_e32 v10, 2, v10
	ds_write_b32 v10, v45
	s_or_b64 exec, exec, s[12:13]
	s_and_saveexec_b64 s[10:11], s[8:9]
	s_cbranch_execz .LBB577_255
.LBB577_310:
	v_sub_u32_e32 v10, v40, v9
	v_lshlrev_b32_e32 v10, 2, v10
	ds_write_b32 v10, v41
	s_or_b64 exec, exec, s[10:11]
	s_and_saveexec_b64 s[8:9], s[6:7]
	s_cbranch_execz .LBB577_256
.LBB577_311:
	v_sub_u32_e32 v10, v38, v9
	v_lshlrev_b32_e32 v10, 2, v10
	ds_write_b32 v10, v39
	s_or_b64 exec, exec, s[8:9]
	s_and_saveexec_b64 s[6:7], s[4:5]
	s_cbranch_execz .LBB577_257
.LBB577_312:
	v_sub_u32_e32 v10, v34, v9
	v_lshlrev_b32_e32 v10, 2, v10
	ds_write_b32 v10, v35
	s_or_b64 exec, exec, s[6:7]
	s_and_saveexec_b64 s[4:5], s[2:3]
	s_cbranch_execnz .LBB577_258
	s_branch .LBB577_259
	.section	.rodata,"a",@progbits
	.p2align	6, 0x0
	.amdhsa_kernel _ZN7rocprim17ROCPRIM_400000_NS6detail17trampoline_kernelINS0_14default_configENS1_29reduce_by_key_config_selectorIiiN6thrust23THRUST_200600_302600_NS4plusIiEEEEZZNS1_33reduce_by_key_impl_wrapped_configILNS1_25lookback_scan_determinismE0ES3_S9_NS6_6detail15normal_iteratorINS6_10device_ptrIiEEEESG_SG_SG_PmS8_NS6_8equal_toIiEEEE10hipError_tPvRmT2_T3_mT4_T5_T6_T7_T8_P12ihipStream_tbENKUlT_T0_E_clISt17integral_constantIbLb0EES10_IbLb1EEEEDaSW_SX_EUlSW_E_NS1_11comp_targetILNS1_3genE4ELNS1_11target_archE910ELNS1_3gpuE8ELNS1_3repE0EEENS1_30default_config_static_selectorELNS0_4arch9wavefront6targetE1EEEvT1_
		.amdhsa_group_segment_fixed_size 15360
		.amdhsa_private_segment_fixed_size 0
		.amdhsa_kernarg_size 120
		.amdhsa_user_sgpr_count 6
		.amdhsa_user_sgpr_private_segment_buffer 1
		.amdhsa_user_sgpr_dispatch_ptr 0
		.amdhsa_user_sgpr_queue_ptr 0
		.amdhsa_user_sgpr_kernarg_segment_ptr 1
		.amdhsa_user_sgpr_dispatch_id 0
		.amdhsa_user_sgpr_flat_scratch_init 0
		.amdhsa_user_sgpr_kernarg_preload_length 0
		.amdhsa_user_sgpr_kernarg_preload_offset 0
		.amdhsa_user_sgpr_private_segment_size 0
		.amdhsa_uses_dynamic_stack 0
		.amdhsa_system_sgpr_private_segment_wavefront_offset 0
		.amdhsa_system_sgpr_workgroup_id_x 1
		.amdhsa_system_sgpr_workgroup_id_y 0
		.amdhsa_system_sgpr_workgroup_id_z 0
		.amdhsa_system_sgpr_workgroup_info 0
		.amdhsa_system_vgpr_workitem_id 0
		.amdhsa_next_free_vgpr 106
		.amdhsa_next_free_sgpr 66
		.amdhsa_accum_offset 108
		.amdhsa_reserve_vcc 1
		.amdhsa_reserve_flat_scratch 0
		.amdhsa_float_round_mode_32 0
		.amdhsa_float_round_mode_16_64 0
		.amdhsa_float_denorm_mode_32 3
		.amdhsa_float_denorm_mode_16_64 3
		.amdhsa_dx10_clamp 1
		.amdhsa_ieee_mode 1
		.amdhsa_fp16_overflow 0
		.amdhsa_tg_split 0
		.amdhsa_exception_fp_ieee_invalid_op 0
		.amdhsa_exception_fp_denorm_src 0
		.amdhsa_exception_fp_ieee_div_zero 0
		.amdhsa_exception_fp_ieee_overflow 0
		.amdhsa_exception_fp_ieee_underflow 0
		.amdhsa_exception_fp_ieee_inexact 0
		.amdhsa_exception_int_div_zero 0
	.end_amdhsa_kernel
	.section	.text._ZN7rocprim17ROCPRIM_400000_NS6detail17trampoline_kernelINS0_14default_configENS1_29reduce_by_key_config_selectorIiiN6thrust23THRUST_200600_302600_NS4plusIiEEEEZZNS1_33reduce_by_key_impl_wrapped_configILNS1_25lookback_scan_determinismE0ES3_S9_NS6_6detail15normal_iteratorINS6_10device_ptrIiEEEESG_SG_SG_PmS8_NS6_8equal_toIiEEEE10hipError_tPvRmT2_T3_mT4_T5_T6_T7_T8_P12ihipStream_tbENKUlT_T0_E_clISt17integral_constantIbLb0EES10_IbLb1EEEEDaSW_SX_EUlSW_E_NS1_11comp_targetILNS1_3genE4ELNS1_11target_archE910ELNS1_3gpuE8ELNS1_3repE0EEENS1_30default_config_static_selectorELNS0_4arch9wavefront6targetE1EEEvT1_,"axG",@progbits,_ZN7rocprim17ROCPRIM_400000_NS6detail17trampoline_kernelINS0_14default_configENS1_29reduce_by_key_config_selectorIiiN6thrust23THRUST_200600_302600_NS4plusIiEEEEZZNS1_33reduce_by_key_impl_wrapped_configILNS1_25lookback_scan_determinismE0ES3_S9_NS6_6detail15normal_iteratorINS6_10device_ptrIiEEEESG_SG_SG_PmS8_NS6_8equal_toIiEEEE10hipError_tPvRmT2_T3_mT4_T5_T6_T7_T8_P12ihipStream_tbENKUlT_T0_E_clISt17integral_constantIbLb0EES10_IbLb1EEEEDaSW_SX_EUlSW_E_NS1_11comp_targetILNS1_3genE4ELNS1_11target_archE910ELNS1_3gpuE8ELNS1_3repE0EEENS1_30default_config_static_selectorELNS0_4arch9wavefront6targetE1EEEvT1_,comdat
.Lfunc_end577:
	.size	_ZN7rocprim17ROCPRIM_400000_NS6detail17trampoline_kernelINS0_14default_configENS1_29reduce_by_key_config_selectorIiiN6thrust23THRUST_200600_302600_NS4plusIiEEEEZZNS1_33reduce_by_key_impl_wrapped_configILNS1_25lookback_scan_determinismE0ES3_S9_NS6_6detail15normal_iteratorINS6_10device_ptrIiEEEESG_SG_SG_PmS8_NS6_8equal_toIiEEEE10hipError_tPvRmT2_T3_mT4_T5_T6_T7_T8_P12ihipStream_tbENKUlT_T0_E_clISt17integral_constantIbLb0EES10_IbLb1EEEEDaSW_SX_EUlSW_E_NS1_11comp_targetILNS1_3genE4ELNS1_11target_archE910ELNS1_3gpuE8ELNS1_3repE0EEENS1_30default_config_static_selectorELNS0_4arch9wavefront6targetE1EEEvT1_, .Lfunc_end577-_ZN7rocprim17ROCPRIM_400000_NS6detail17trampoline_kernelINS0_14default_configENS1_29reduce_by_key_config_selectorIiiN6thrust23THRUST_200600_302600_NS4plusIiEEEEZZNS1_33reduce_by_key_impl_wrapped_configILNS1_25lookback_scan_determinismE0ES3_S9_NS6_6detail15normal_iteratorINS6_10device_ptrIiEEEESG_SG_SG_PmS8_NS6_8equal_toIiEEEE10hipError_tPvRmT2_T3_mT4_T5_T6_T7_T8_P12ihipStream_tbENKUlT_T0_E_clISt17integral_constantIbLb0EES10_IbLb1EEEEDaSW_SX_EUlSW_E_NS1_11comp_targetILNS1_3genE4ELNS1_11target_archE910ELNS1_3gpuE8ELNS1_3repE0EEENS1_30default_config_static_selectorELNS0_4arch9wavefront6targetE1EEEvT1_
                                        ; -- End function
	.section	.AMDGPU.csdata,"",@progbits
; Kernel info:
; codeLenInByte = 17120
; NumSgprs: 70
; NumVgprs: 106
; NumAgprs: 0
; TotalNumVgprs: 106
; ScratchSize: 0
; MemoryBound: 0
; FloatMode: 240
; IeeeMode: 1
; LDSByteSize: 15360 bytes/workgroup (compile time only)
; SGPRBlocks: 8
; VGPRBlocks: 13
; NumSGPRsForWavesPerEU: 70
; NumVGPRsForWavesPerEU: 106
; AccumOffset: 108
; Occupancy: 4
; WaveLimiterHint : 1
; COMPUTE_PGM_RSRC2:SCRATCH_EN: 0
; COMPUTE_PGM_RSRC2:USER_SGPR: 6
; COMPUTE_PGM_RSRC2:TRAP_HANDLER: 0
; COMPUTE_PGM_RSRC2:TGID_X_EN: 1
; COMPUTE_PGM_RSRC2:TGID_Y_EN: 0
; COMPUTE_PGM_RSRC2:TGID_Z_EN: 0
; COMPUTE_PGM_RSRC2:TIDIG_COMP_CNT: 0
; COMPUTE_PGM_RSRC3_GFX90A:ACCUM_OFFSET: 26
; COMPUTE_PGM_RSRC3_GFX90A:TG_SPLIT: 0
	.section	.text._ZN7rocprim17ROCPRIM_400000_NS6detail17trampoline_kernelINS0_14default_configENS1_29reduce_by_key_config_selectorIiiN6thrust23THRUST_200600_302600_NS4plusIiEEEEZZNS1_33reduce_by_key_impl_wrapped_configILNS1_25lookback_scan_determinismE0ES3_S9_NS6_6detail15normal_iteratorINS6_10device_ptrIiEEEESG_SG_SG_PmS8_NS6_8equal_toIiEEEE10hipError_tPvRmT2_T3_mT4_T5_T6_T7_T8_P12ihipStream_tbENKUlT_T0_E_clISt17integral_constantIbLb0EES10_IbLb1EEEEDaSW_SX_EUlSW_E_NS1_11comp_targetILNS1_3genE3ELNS1_11target_archE908ELNS1_3gpuE7ELNS1_3repE0EEENS1_30default_config_static_selectorELNS0_4arch9wavefront6targetE1EEEvT1_,"axG",@progbits,_ZN7rocprim17ROCPRIM_400000_NS6detail17trampoline_kernelINS0_14default_configENS1_29reduce_by_key_config_selectorIiiN6thrust23THRUST_200600_302600_NS4plusIiEEEEZZNS1_33reduce_by_key_impl_wrapped_configILNS1_25lookback_scan_determinismE0ES3_S9_NS6_6detail15normal_iteratorINS6_10device_ptrIiEEEESG_SG_SG_PmS8_NS6_8equal_toIiEEEE10hipError_tPvRmT2_T3_mT4_T5_T6_T7_T8_P12ihipStream_tbENKUlT_T0_E_clISt17integral_constantIbLb0EES10_IbLb1EEEEDaSW_SX_EUlSW_E_NS1_11comp_targetILNS1_3genE3ELNS1_11target_archE908ELNS1_3gpuE7ELNS1_3repE0EEENS1_30default_config_static_selectorELNS0_4arch9wavefront6targetE1EEEvT1_,comdat
	.protected	_ZN7rocprim17ROCPRIM_400000_NS6detail17trampoline_kernelINS0_14default_configENS1_29reduce_by_key_config_selectorIiiN6thrust23THRUST_200600_302600_NS4plusIiEEEEZZNS1_33reduce_by_key_impl_wrapped_configILNS1_25lookback_scan_determinismE0ES3_S9_NS6_6detail15normal_iteratorINS6_10device_ptrIiEEEESG_SG_SG_PmS8_NS6_8equal_toIiEEEE10hipError_tPvRmT2_T3_mT4_T5_T6_T7_T8_P12ihipStream_tbENKUlT_T0_E_clISt17integral_constantIbLb0EES10_IbLb1EEEEDaSW_SX_EUlSW_E_NS1_11comp_targetILNS1_3genE3ELNS1_11target_archE908ELNS1_3gpuE7ELNS1_3repE0EEENS1_30default_config_static_selectorELNS0_4arch9wavefront6targetE1EEEvT1_ ; -- Begin function _ZN7rocprim17ROCPRIM_400000_NS6detail17trampoline_kernelINS0_14default_configENS1_29reduce_by_key_config_selectorIiiN6thrust23THRUST_200600_302600_NS4plusIiEEEEZZNS1_33reduce_by_key_impl_wrapped_configILNS1_25lookback_scan_determinismE0ES3_S9_NS6_6detail15normal_iteratorINS6_10device_ptrIiEEEESG_SG_SG_PmS8_NS6_8equal_toIiEEEE10hipError_tPvRmT2_T3_mT4_T5_T6_T7_T8_P12ihipStream_tbENKUlT_T0_E_clISt17integral_constantIbLb0EES10_IbLb1EEEEDaSW_SX_EUlSW_E_NS1_11comp_targetILNS1_3genE3ELNS1_11target_archE908ELNS1_3gpuE7ELNS1_3repE0EEENS1_30default_config_static_selectorELNS0_4arch9wavefront6targetE1EEEvT1_
	.globl	_ZN7rocprim17ROCPRIM_400000_NS6detail17trampoline_kernelINS0_14default_configENS1_29reduce_by_key_config_selectorIiiN6thrust23THRUST_200600_302600_NS4plusIiEEEEZZNS1_33reduce_by_key_impl_wrapped_configILNS1_25lookback_scan_determinismE0ES3_S9_NS6_6detail15normal_iteratorINS6_10device_ptrIiEEEESG_SG_SG_PmS8_NS6_8equal_toIiEEEE10hipError_tPvRmT2_T3_mT4_T5_T6_T7_T8_P12ihipStream_tbENKUlT_T0_E_clISt17integral_constantIbLb0EES10_IbLb1EEEEDaSW_SX_EUlSW_E_NS1_11comp_targetILNS1_3genE3ELNS1_11target_archE908ELNS1_3gpuE7ELNS1_3repE0EEENS1_30default_config_static_selectorELNS0_4arch9wavefront6targetE1EEEvT1_
	.p2align	8
	.type	_ZN7rocprim17ROCPRIM_400000_NS6detail17trampoline_kernelINS0_14default_configENS1_29reduce_by_key_config_selectorIiiN6thrust23THRUST_200600_302600_NS4plusIiEEEEZZNS1_33reduce_by_key_impl_wrapped_configILNS1_25lookback_scan_determinismE0ES3_S9_NS6_6detail15normal_iteratorINS6_10device_ptrIiEEEESG_SG_SG_PmS8_NS6_8equal_toIiEEEE10hipError_tPvRmT2_T3_mT4_T5_T6_T7_T8_P12ihipStream_tbENKUlT_T0_E_clISt17integral_constantIbLb0EES10_IbLb1EEEEDaSW_SX_EUlSW_E_NS1_11comp_targetILNS1_3genE3ELNS1_11target_archE908ELNS1_3gpuE7ELNS1_3repE0EEENS1_30default_config_static_selectorELNS0_4arch9wavefront6targetE1EEEvT1_,@function
_ZN7rocprim17ROCPRIM_400000_NS6detail17trampoline_kernelINS0_14default_configENS1_29reduce_by_key_config_selectorIiiN6thrust23THRUST_200600_302600_NS4plusIiEEEEZZNS1_33reduce_by_key_impl_wrapped_configILNS1_25lookback_scan_determinismE0ES3_S9_NS6_6detail15normal_iteratorINS6_10device_ptrIiEEEESG_SG_SG_PmS8_NS6_8equal_toIiEEEE10hipError_tPvRmT2_T3_mT4_T5_T6_T7_T8_P12ihipStream_tbENKUlT_T0_E_clISt17integral_constantIbLb0EES10_IbLb1EEEEDaSW_SX_EUlSW_E_NS1_11comp_targetILNS1_3genE3ELNS1_11target_archE908ELNS1_3gpuE7ELNS1_3repE0EEENS1_30default_config_static_selectorELNS0_4arch9wavefront6targetE1EEEvT1_: ; @_ZN7rocprim17ROCPRIM_400000_NS6detail17trampoline_kernelINS0_14default_configENS1_29reduce_by_key_config_selectorIiiN6thrust23THRUST_200600_302600_NS4plusIiEEEEZZNS1_33reduce_by_key_impl_wrapped_configILNS1_25lookback_scan_determinismE0ES3_S9_NS6_6detail15normal_iteratorINS6_10device_ptrIiEEEESG_SG_SG_PmS8_NS6_8equal_toIiEEEE10hipError_tPvRmT2_T3_mT4_T5_T6_T7_T8_P12ihipStream_tbENKUlT_T0_E_clISt17integral_constantIbLb0EES10_IbLb1EEEEDaSW_SX_EUlSW_E_NS1_11comp_targetILNS1_3genE3ELNS1_11target_archE908ELNS1_3gpuE7ELNS1_3repE0EEENS1_30default_config_static_selectorELNS0_4arch9wavefront6targetE1EEEvT1_
; %bb.0:
	.section	.rodata,"a",@progbits
	.p2align	6, 0x0
	.amdhsa_kernel _ZN7rocprim17ROCPRIM_400000_NS6detail17trampoline_kernelINS0_14default_configENS1_29reduce_by_key_config_selectorIiiN6thrust23THRUST_200600_302600_NS4plusIiEEEEZZNS1_33reduce_by_key_impl_wrapped_configILNS1_25lookback_scan_determinismE0ES3_S9_NS6_6detail15normal_iteratorINS6_10device_ptrIiEEEESG_SG_SG_PmS8_NS6_8equal_toIiEEEE10hipError_tPvRmT2_T3_mT4_T5_T6_T7_T8_P12ihipStream_tbENKUlT_T0_E_clISt17integral_constantIbLb0EES10_IbLb1EEEEDaSW_SX_EUlSW_E_NS1_11comp_targetILNS1_3genE3ELNS1_11target_archE908ELNS1_3gpuE7ELNS1_3repE0EEENS1_30default_config_static_selectorELNS0_4arch9wavefront6targetE1EEEvT1_
		.amdhsa_group_segment_fixed_size 0
		.amdhsa_private_segment_fixed_size 0
		.amdhsa_kernarg_size 120
		.amdhsa_user_sgpr_count 6
		.amdhsa_user_sgpr_private_segment_buffer 1
		.amdhsa_user_sgpr_dispatch_ptr 0
		.amdhsa_user_sgpr_queue_ptr 0
		.amdhsa_user_sgpr_kernarg_segment_ptr 1
		.amdhsa_user_sgpr_dispatch_id 0
		.amdhsa_user_sgpr_flat_scratch_init 0
		.amdhsa_user_sgpr_kernarg_preload_length 0
		.amdhsa_user_sgpr_kernarg_preload_offset 0
		.amdhsa_user_sgpr_private_segment_size 0
		.amdhsa_uses_dynamic_stack 0
		.amdhsa_system_sgpr_private_segment_wavefront_offset 0
		.amdhsa_system_sgpr_workgroup_id_x 1
		.amdhsa_system_sgpr_workgroup_id_y 0
		.amdhsa_system_sgpr_workgroup_id_z 0
		.amdhsa_system_sgpr_workgroup_info 0
		.amdhsa_system_vgpr_workitem_id 0
		.amdhsa_next_free_vgpr 1
		.amdhsa_next_free_sgpr 0
		.amdhsa_accum_offset 4
		.amdhsa_reserve_vcc 0
		.amdhsa_reserve_flat_scratch 0
		.amdhsa_float_round_mode_32 0
		.amdhsa_float_round_mode_16_64 0
		.amdhsa_float_denorm_mode_32 3
		.amdhsa_float_denorm_mode_16_64 3
		.amdhsa_dx10_clamp 1
		.amdhsa_ieee_mode 1
		.amdhsa_fp16_overflow 0
		.amdhsa_tg_split 0
		.amdhsa_exception_fp_ieee_invalid_op 0
		.amdhsa_exception_fp_denorm_src 0
		.amdhsa_exception_fp_ieee_div_zero 0
		.amdhsa_exception_fp_ieee_overflow 0
		.amdhsa_exception_fp_ieee_underflow 0
		.amdhsa_exception_fp_ieee_inexact 0
		.amdhsa_exception_int_div_zero 0
	.end_amdhsa_kernel
	.section	.text._ZN7rocprim17ROCPRIM_400000_NS6detail17trampoline_kernelINS0_14default_configENS1_29reduce_by_key_config_selectorIiiN6thrust23THRUST_200600_302600_NS4plusIiEEEEZZNS1_33reduce_by_key_impl_wrapped_configILNS1_25lookback_scan_determinismE0ES3_S9_NS6_6detail15normal_iteratorINS6_10device_ptrIiEEEESG_SG_SG_PmS8_NS6_8equal_toIiEEEE10hipError_tPvRmT2_T3_mT4_T5_T6_T7_T8_P12ihipStream_tbENKUlT_T0_E_clISt17integral_constantIbLb0EES10_IbLb1EEEEDaSW_SX_EUlSW_E_NS1_11comp_targetILNS1_3genE3ELNS1_11target_archE908ELNS1_3gpuE7ELNS1_3repE0EEENS1_30default_config_static_selectorELNS0_4arch9wavefront6targetE1EEEvT1_,"axG",@progbits,_ZN7rocprim17ROCPRIM_400000_NS6detail17trampoline_kernelINS0_14default_configENS1_29reduce_by_key_config_selectorIiiN6thrust23THRUST_200600_302600_NS4plusIiEEEEZZNS1_33reduce_by_key_impl_wrapped_configILNS1_25lookback_scan_determinismE0ES3_S9_NS6_6detail15normal_iteratorINS6_10device_ptrIiEEEESG_SG_SG_PmS8_NS6_8equal_toIiEEEE10hipError_tPvRmT2_T3_mT4_T5_T6_T7_T8_P12ihipStream_tbENKUlT_T0_E_clISt17integral_constantIbLb0EES10_IbLb1EEEEDaSW_SX_EUlSW_E_NS1_11comp_targetILNS1_3genE3ELNS1_11target_archE908ELNS1_3gpuE7ELNS1_3repE0EEENS1_30default_config_static_selectorELNS0_4arch9wavefront6targetE1EEEvT1_,comdat
.Lfunc_end578:
	.size	_ZN7rocprim17ROCPRIM_400000_NS6detail17trampoline_kernelINS0_14default_configENS1_29reduce_by_key_config_selectorIiiN6thrust23THRUST_200600_302600_NS4plusIiEEEEZZNS1_33reduce_by_key_impl_wrapped_configILNS1_25lookback_scan_determinismE0ES3_S9_NS6_6detail15normal_iteratorINS6_10device_ptrIiEEEESG_SG_SG_PmS8_NS6_8equal_toIiEEEE10hipError_tPvRmT2_T3_mT4_T5_T6_T7_T8_P12ihipStream_tbENKUlT_T0_E_clISt17integral_constantIbLb0EES10_IbLb1EEEEDaSW_SX_EUlSW_E_NS1_11comp_targetILNS1_3genE3ELNS1_11target_archE908ELNS1_3gpuE7ELNS1_3repE0EEENS1_30default_config_static_selectorELNS0_4arch9wavefront6targetE1EEEvT1_, .Lfunc_end578-_ZN7rocprim17ROCPRIM_400000_NS6detail17trampoline_kernelINS0_14default_configENS1_29reduce_by_key_config_selectorIiiN6thrust23THRUST_200600_302600_NS4plusIiEEEEZZNS1_33reduce_by_key_impl_wrapped_configILNS1_25lookback_scan_determinismE0ES3_S9_NS6_6detail15normal_iteratorINS6_10device_ptrIiEEEESG_SG_SG_PmS8_NS6_8equal_toIiEEEE10hipError_tPvRmT2_T3_mT4_T5_T6_T7_T8_P12ihipStream_tbENKUlT_T0_E_clISt17integral_constantIbLb0EES10_IbLb1EEEEDaSW_SX_EUlSW_E_NS1_11comp_targetILNS1_3genE3ELNS1_11target_archE908ELNS1_3gpuE7ELNS1_3repE0EEENS1_30default_config_static_selectorELNS0_4arch9wavefront6targetE1EEEvT1_
                                        ; -- End function
	.section	.AMDGPU.csdata,"",@progbits
; Kernel info:
; codeLenInByte = 0
; NumSgprs: 4
; NumVgprs: 0
; NumAgprs: 0
; TotalNumVgprs: 0
; ScratchSize: 0
; MemoryBound: 0
; FloatMode: 240
; IeeeMode: 1
; LDSByteSize: 0 bytes/workgroup (compile time only)
; SGPRBlocks: 0
; VGPRBlocks: 0
; NumSGPRsForWavesPerEU: 4
; NumVGPRsForWavesPerEU: 1
; AccumOffset: 4
; Occupancy: 8
; WaveLimiterHint : 0
; COMPUTE_PGM_RSRC2:SCRATCH_EN: 0
; COMPUTE_PGM_RSRC2:USER_SGPR: 6
; COMPUTE_PGM_RSRC2:TRAP_HANDLER: 0
; COMPUTE_PGM_RSRC2:TGID_X_EN: 1
; COMPUTE_PGM_RSRC2:TGID_Y_EN: 0
; COMPUTE_PGM_RSRC2:TGID_Z_EN: 0
; COMPUTE_PGM_RSRC2:TIDIG_COMP_CNT: 0
; COMPUTE_PGM_RSRC3_GFX90A:ACCUM_OFFSET: 0
; COMPUTE_PGM_RSRC3_GFX90A:TG_SPLIT: 0
	.section	.text._ZN7rocprim17ROCPRIM_400000_NS6detail17trampoline_kernelINS0_14default_configENS1_29reduce_by_key_config_selectorIiiN6thrust23THRUST_200600_302600_NS4plusIiEEEEZZNS1_33reduce_by_key_impl_wrapped_configILNS1_25lookback_scan_determinismE0ES3_S9_NS6_6detail15normal_iteratorINS6_10device_ptrIiEEEESG_SG_SG_PmS8_NS6_8equal_toIiEEEE10hipError_tPvRmT2_T3_mT4_T5_T6_T7_T8_P12ihipStream_tbENKUlT_T0_E_clISt17integral_constantIbLb0EES10_IbLb1EEEEDaSW_SX_EUlSW_E_NS1_11comp_targetILNS1_3genE2ELNS1_11target_archE906ELNS1_3gpuE6ELNS1_3repE0EEENS1_30default_config_static_selectorELNS0_4arch9wavefront6targetE1EEEvT1_,"axG",@progbits,_ZN7rocprim17ROCPRIM_400000_NS6detail17trampoline_kernelINS0_14default_configENS1_29reduce_by_key_config_selectorIiiN6thrust23THRUST_200600_302600_NS4plusIiEEEEZZNS1_33reduce_by_key_impl_wrapped_configILNS1_25lookback_scan_determinismE0ES3_S9_NS6_6detail15normal_iteratorINS6_10device_ptrIiEEEESG_SG_SG_PmS8_NS6_8equal_toIiEEEE10hipError_tPvRmT2_T3_mT4_T5_T6_T7_T8_P12ihipStream_tbENKUlT_T0_E_clISt17integral_constantIbLb0EES10_IbLb1EEEEDaSW_SX_EUlSW_E_NS1_11comp_targetILNS1_3genE2ELNS1_11target_archE906ELNS1_3gpuE6ELNS1_3repE0EEENS1_30default_config_static_selectorELNS0_4arch9wavefront6targetE1EEEvT1_,comdat
	.protected	_ZN7rocprim17ROCPRIM_400000_NS6detail17trampoline_kernelINS0_14default_configENS1_29reduce_by_key_config_selectorIiiN6thrust23THRUST_200600_302600_NS4plusIiEEEEZZNS1_33reduce_by_key_impl_wrapped_configILNS1_25lookback_scan_determinismE0ES3_S9_NS6_6detail15normal_iteratorINS6_10device_ptrIiEEEESG_SG_SG_PmS8_NS6_8equal_toIiEEEE10hipError_tPvRmT2_T3_mT4_T5_T6_T7_T8_P12ihipStream_tbENKUlT_T0_E_clISt17integral_constantIbLb0EES10_IbLb1EEEEDaSW_SX_EUlSW_E_NS1_11comp_targetILNS1_3genE2ELNS1_11target_archE906ELNS1_3gpuE6ELNS1_3repE0EEENS1_30default_config_static_selectorELNS0_4arch9wavefront6targetE1EEEvT1_ ; -- Begin function _ZN7rocprim17ROCPRIM_400000_NS6detail17trampoline_kernelINS0_14default_configENS1_29reduce_by_key_config_selectorIiiN6thrust23THRUST_200600_302600_NS4plusIiEEEEZZNS1_33reduce_by_key_impl_wrapped_configILNS1_25lookback_scan_determinismE0ES3_S9_NS6_6detail15normal_iteratorINS6_10device_ptrIiEEEESG_SG_SG_PmS8_NS6_8equal_toIiEEEE10hipError_tPvRmT2_T3_mT4_T5_T6_T7_T8_P12ihipStream_tbENKUlT_T0_E_clISt17integral_constantIbLb0EES10_IbLb1EEEEDaSW_SX_EUlSW_E_NS1_11comp_targetILNS1_3genE2ELNS1_11target_archE906ELNS1_3gpuE6ELNS1_3repE0EEENS1_30default_config_static_selectorELNS0_4arch9wavefront6targetE1EEEvT1_
	.globl	_ZN7rocprim17ROCPRIM_400000_NS6detail17trampoline_kernelINS0_14default_configENS1_29reduce_by_key_config_selectorIiiN6thrust23THRUST_200600_302600_NS4plusIiEEEEZZNS1_33reduce_by_key_impl_wrapped_configILNS1_25lookback_scan_determinismE0ES3_S9_NS6_6detail15normal_iteratorINS6_10device_ptrIiEEEESG_SG_SG_PmS8_NS6_8equal_toIiEEEE10hipError_tPvRmT2_T3_mT4_T5_T6_T7_T8_P12ihipStream_tbENKUlT_T0_E_clISt17integral_constantIbLb0EES10_IbLb1EEEEDaSW_SX_EUlSW_E_NS1_11comp_targetILNS1_3genE2ELNS1_11target_archE906ELNS1_3gpuE6ELNS1_3repE0EEENS1_30default_config_static_selectorELNS0_4arch9wavefront6targetE1EEEvT1_
	.p2align	8
	.type	_ZN7rocprim17ROCPRIM_400000_NS6detail17trampoline_kernelINS0_14default_configENS1_29reduce_by_key_config_selectorIiiN6thrust23THRUST_200600_302600_NS4plusIiEEEEZZNS1_33reduce_by_key_impl_wrapped_configILNS1_25lookback_scan_determinismE0ES3_S9_NS6_6detail15normal_iteratorINS6_10device_ptrIiEEEESG_SG_SG_PmS8_NS6_8equal_toIiEEEE10hipError_tPvRmT2_T3_mT4_T5_T6_T7_T8_P12ihipStream_tbENKUlT_T0_E_clISt17integral_constantIbLb0EES10_IbLb1EEEEDaSW_SX_EUlSW_E_NS1_11comp_targetILNS1_3genE2ELNS1_11target_archE906ELNS1_3gpuE6ELNS1_3repE0EEENS1_30default_config_static_selectorELNS0_4arch9wavefront6targetE1EEEvT1_,@function
_ZN7rocprim17ROCPRIM_400000_NS6detail17trampoline_kernelINS0_14default_configENS1_29reduce_by_key_config_selectorIiiN6thrust23THRUST_200600_302600_NS4plusIiEEEEZZNS1_33reduce_by_key_impl_wrapped_configILNS1_25lookback_scan_determinismE0ES3_S9_NS6_6detail15normal_iteratorINS6_10device_ptrIiEEEESG_SG_SG_PmS8_NS6_8equal_toIiEEEE10hipError_tPvRmT2_T3_mT4_T5_T6_T7_T8_P12ihipStream_tbENKUlT_T0_E_clISt17integral_constantIbLb0EES10_IbLb1EEEEDaSW_SX_EUlSW_E_NS1_11comp_targetILNS1_3genE2ELNS1_11target_archE906ELNS1_3gpuE6ELNS1_3repE0EEENS1_30default_config_static_selectorELNS0_4arch9wavefront6targetE1EEEvT1_: ; @_ZN7rocprim17ROCPRIM_400000_NS6detail17trampoline_kernelINS0_14default_configENS1_29reduce_by_key_config_selectorIiiN6thrust23THRUST_200600_302600_NS4plusIiEEEEZZNS1_33reduce_by_key_impl_wrapped_configILNS1_25lookback_scan_determinismE0ES3_S9_NS6_6detail15normal_iteratorINS6_10device_ptrIiEEEESG_SG_SG_PmS8_NS6_8equal_toIiEEEE10hipError_tPvRmT2_T3_mT4_T5_T6_T7_T8_P12ihipStream_tbENKUlT_T0_E_clISt17integral_constantIbLb0EES10_IbLb1EEEEDaSW_SX_EUlSW_E_NS1_11comp_targetILNS1_3genE2ELNS1_11target_archE906ELNS1_3gpuE6ELNS1_3repE0EEENS1_30default_config_static_selectorELNS0_4arch9wavefront6targetE1EEEvT1_
; %bb.0:
	.section	.rodata,"a",@progbits
	.p2align	6, 0x0
	.amdhsa_kernel _ZN7rocprim17ROCPRIM_400000_NS6detail17trampoline_kernelINS0_14default_configENS1_29reduce_by_key_config_selectorIiiN6thrust23THRUST_200600_302600_NS4plusIiEEEEZZNS1_33reduce_by_key_impl_wrapped_configILNS1_25lookback_scan_determinismE0ES3_S9_NS6_6detail15normal_iteratorINS6_10device_ptrIiEEEESG_SG_SG_PmS8_NS6_8equal_toIiEEEE10hipError_tPvRmT2_T3_mT4_T5_T6_T7_T8_P12ihipStream_tbENKUlT_T0_E_clISt17integral_constantIbLb0EES10_IbLb1EEEEDaSW_SX_EUlSW_E_NS1_11comp_targetILNS1_3genE2ELNS1_11target_archE906ELNS1_3gpuE6ELNS1_3repE0EEENS1_30default_config_static_selectorELNS0_4arch9wavefront6targetE1EEEvT1_
		.amdhsa_group_segment_fixed_size 0
		.amdhsa_private_segment_fixed_size 0
		.amdhsa_kernarg_size 120
		.amdhsa_user_sgpr_count 6
		.amdhsa_user_sgpr_private_segment_buffer 1
		.amdhsa_user_sgpr_dispatch_ptr 0
		.amdhsa_user_sgpr_queue_ptr 0
		.amdhsa_user_sgpr_kernarg_segment_ptr 1
		.amdhsa_user_sgpr_dispatch_id 0
		.amdhsa_user_sgpr_flat_scratch_init 0
		.amdhsa_user_sgpr_kernarg_preload_length 0
		.amdhsa_user_sgpr_kernarg_preload_offset 0
		.amdhsa_user_sgpr_private_segment_size 0
		.amdhsa_uses_dynamic_stack 0
		.amdhsa_system_sgpr_private_segment_wavefront_offset 0
		.amdhsa_system_sgpr_workgroup_id_x 1
		.amdhsa_system_sgpr_workgroup_id_y 0
		.amdhsa_system_sgpr_workgroup_id_z 0
		.amdhsa_system_sgpr_workgroup_info 0
		.amdhsa_system_vgpr_workitem_id 0
		.amdhsa_next_free_vgpr 1
		.amdhsa_next_free_sgpr 0
		.amdhsa_accum_offset 4
		.amdhsa_reserve_vcc 0
		.amdhsa_reserve_flat_scratch 0
		.amdhsa_float_round_mode_32 0
		.amdhsa_float_round_mode_16_64 0
		.amdhsa_float_denorm_mode_32 3
		.amdhsa_float_denorm_mode_16_64 3
		.amdhsa_dx10_clamp 1
		.amdhsa_ieee_mode 1
		.amdhsa_fp16_overflow 0
		.amdhsa_tg_split 0
		.amdhsa_exception_fp_ieee_invalid_op 0
		.amdhsa_exception_fp_denorm_src 0
		.amdhsa_exception_fp_ieee_div_zero 0
		.amdhsa_exception_fp_ieee_overflow 0
		.amdhsa_exception_fp_ieee_underflow 0
		.amdhsa_exception_fp_ieee_inexact 0
		.amdhsa_exception_int_div_zero 0
	.end_amdhsa_kernel
	.section	.text._ZN7rocprim17ROCPRIM_400000_NS6detail17trampoline_kernelINS0_14default_configENS1_29reduce_by_key_config_selectorIiiN6thrust23THRUST_200600_302600_NS4plusIiEEEEZZNS1_33reduce_by_key_impl_wrapped_configILNS1_25lookback_scan_determinismE0ES3_S9_NS6_6detail15normal_iteratorINS6_10device_ptrIiEEEESG_SG_SG_PmS8_NS6_8equal_toIiEEEE10hipError_tPvRmT2_T3_mT4_T5_T6_T7_T8_P12ihipStream_tbENKUlT_T0_E_clISt17integral_constantIbLb0EES10_IbLb1EEEEDaSW_SX_EUlSW_E_NS1_11comp_targetILNS1_3genE2ELNS1_11target_archE906ELNS1_3gpuE6ELNS1_3repE0EEENS1_30default_config_static_selectorELNS0_4arch9wavefront6targetE1EEEvT1_,"axG",@progbits,_ZN7rocprim17ROCPRIM_400000_NS6detail17trampoline_kernelINS0_14default_configENS1_29reduce_by_key_config_selectorIiiN6thrust23THRUST_200600_302600_NS4plusIiEEEEZZNS1_33reduce_by_key_impl_wrapped_configILNS1_25lookback_scan_determinismE0ES3_S9_NS6_6detail15normal_iteratorINS6_10device_ptrIiEEEESG_SG_SG_PmS8_NS6_8equal_toIiEEEE10hipError_tPvRmT2_T3_mT4_T5_T6_T7_T8_P12ihipStream_tbENKUlT_T0_E_clISt17integral_constantIbLb0EES10_IbLb1EEEEDaSW_SX_EUlSW_E_NS1_11comp_targetILNS1_3genE2ELNS1_11target_archE906ELNS1_3gpuE6ELNS1_3repE0EEENS1_30default_config_static_selectorELNS0_4arch9wavefront6targetE1EEEvT1_,comdat
.Lfunc_end579:
	.size	_ZN7rocprim17ROCPRIM_400000_NS6detail17trampoline_kernelINS0_14default_configENS1_29reduce_by_key_config_selectorIiiN6thrust23THRUST_200600_302600_NS4plusIiEEEEZZNS1_33reduce_by_key_impl_wrapped_configILNS1_25lookback_scan_determinismE0ES3_S9_NS6_6detail15normal_iteratorINS6_10device_ptrIiEEEESG_SG_SG_PmS8_NS6_8equal_toIiEEEE10hipError_tPvRmT2_T3_mT4_T5_T6_T7_T8_P12ihipStream_tbENKUlT_T0_E_clISt17integral_constantIbLb0EES10_IbLb1EEEEDaSW_SX_EUlSW_E_NS1_11comp_targetILNS1_3genE2ELNS1_11target_archE906ELNS1_3gpuE6ELNS1_3repE0EEENS1_30default_config_static_selectorELNS0_4arch9wavefront6targetE1EEEvT1_, .Lfunc_end579-_ZN7rocprim17ROCPRIM_400000_NS6detail17trampoline_kernelINS0_14default_configENS1_29reduce_by_key_config_selectorIiiN6thrust23THRUST_200600_302600_NS4plusIiEEEEZZNS1_33reduce_by_key_impl_wrapped_configILNS1_25lookback_scan_determinismE0ES3_S9_NS6_6detail15normal_iteratorINS6_10device_ptrIiEEEESG_SG_SG_PmS8_NS6_8equal_toIiEEEE10hipError_tPvRmT2_T3_mT4_T5_T6_T7_T8_P12ihipStream_tbENKUlT_T0_E_clISt17integral_constantIbLb0EES10_IbLb1EEEEDaSW_SX_EUlSW_E_NS1_11comp_targetILNS1_3genE2ELNS1_11target_archE906ELNS1_3gpuE6ELNS1_3repE0EEENS1_30default_config_static_selectorELNS0_4arch9wavefront6targetE1EEEvT1_
                                        ; -- End function
	.section	.AMDGPU.csdata,"",@progbits
; Kernel info:
; codeLenInByte = 0
; NumSgprs: 4
; NumVgprs: 0
; NumAgprs: 0
; TotalNumVgprs: 0
; ScratchSize: 0
; MemoryBound: 0
; FloatMode: 240
; IeeeMode: 1
; LDSByteSize: 0 bytes/workgroup (compile time only)
; SGPRBlocks: 0
; VGPRBlocks: 0
; NumSGPRsForWavesPerEU: 4
; NumVGPRsForWavesPerEU: 1
; AccumOffset: 4
; Occupancy: 8
; WaveLimiterHint : 0
; COMPUTE_PGM_RSRC2:SCRATCH_EN: 0
; COMPUTE_PGM_RSRC2:USER_SGPR: 6
; COMPUTE_PGM_RSRC2:TRAP_HANDLER: 0
; COMPUTE_PGM_RSRC2:TGID_X_EN: 1
; COMPUTE_PGM_RSRC2:TGID_Y_EN: 0
; COMPUTE_PGM_RSRC2:TGID_Z_EN: 0
; COMPUTE_PGM_RSRC2:TIDIG_COMP_CNT: 0
; COMPUTE_PGM_RSRC3_GFX90A:ACCUM_OFFSET: 0
; COMPUTE_PGM_RSRC3_GFX90A:TG_SPLIT: 0
	.section	.text._ZN7rocprim17ROCPRIM_400000_NS6detail17trampoline_kernelINS0_14default_configENS1_29reduce_by_key_config_selectorIiiN6thrust23THRUST_200600_302600_NS4plusIiEEEEZZNS1_33reduce_by_key_impl_wrapped_configILNS1_25lookback_scan_determinismE0ES3_S9_NS6_6detail15normal_iteratorINS6_10device_ptrIiEEEESG_SG_SG_PmS8_NS6_8equal_toIiEEEE10hipError_tPvRmT2_T3_mT4_T5_T6_T7_T8_P12ihipStream_tbENKUlT_T0_E_clISt17integral_constantIbLb0EES10_IbLb1EEEEDaSW_SX_EUlSW_E_NS1_11comp_targetILNS1_3genE10ELNS1_11target_archE1201ELNS1_3gpuE5ELNS1_3repE0EEENS1_30default_config_static_selectorELNS0_4arch9wavefront6targetE1EEEvT1_,"axG",@progbits,_ZN7rocprim17ROCPRIM_400000_NS6detail17trampoline_kernelINS0_14default_configENS1_29reduce_by_key_config_selectorIiiN6thrust23THRUST_200600_302600_NS4plusIiEEEEZZNS1_33reduce_by_key_impl_wrapped_configILNS1_25lookback_scan_determinismE0ES3_S9_NS6_6detail15normal_iteratorINS6_10device_ptrIiEEEESG_SG_SG_PmS8_NS6_8equal_toIiEEEE10hipError_tPvRmT2_T3_mT4_T5_T6_T7_T8_P12ihipStream_tbENKUlT_T0_E_clISt17integral_constantIbLb0EES10_IbLb1EEEEDaSW_SX_EUlSW_E_NS1_11comp_targetILNS1_3genE10ELNS1_11target_archE1201ELNS1_3gpuE5ELNS1_3repE0EEENS1_30default_config_static_selectorELNS0_4arch9wavefront6targetE1EEEvT1_,comdat
	.protected	_ZN7rocprim17ROCPRIM_400000_NS6detail17trampoline_kernelINS0_14default_configENS1_29reduce_by_key_config_selectorIiiN6thrust23THRUST_200600_302600_NS4plusIiEEEEZZNS1_33reduce_by_key_impl_wrapped_configILNS1_25lookback_scan_determinismE0ES3_S9_NS6_6detail15normal_iteratorINS6_10device_ptrIiEEEESG_SG_SG_PmS8_NS6_8equal_toIiEEEE10hipError_tPvRmT2_T3_mT4_T5_T6_T7_T8_P12ihipStream_tbENKUlT_T0_E_clISt17integral_constantIbLb0EES10_IbLb1EEEEDaSW_SX_EUlSW_E_NS1_11comp_targetILNS1_3genE10ELNS1_11target_archE1201ELNS1_3gpuE5ELNS1_3repE0EEENS1_30default_config_static_selectorELNS0_4arch9wavefront6targetE1EEEvT1_ ; -- Begin function _ZN7rocprim17ROCPRIM_400000_NS6detail17trampoline_kernelINS0_14default_configENS1_29reduce_by_key_config_selectorIiiN6thrust23THRUST_200600_302600_NS4plusIiEEEEZZNS1_33reduce_by_key_impl_wrapped_configILNS1_25lookback_scan_determinismE0ES3_S9_NS6_6detail15normal_iteratorINS6_10device_ptrIiEEEESG_SG_SG_PmS8_NS6_8equal_toIiEEEE10hipError_tPvRmT2_T3_mT4_T5_T6_T7_T8_P12ihipStream_tbENKUlT_T0_E_clISt17integral_constantIbLb0EES10_IbLb1EEEEDaSW_SX_EUlSW_E_NS1_11comp_targetILNS1_3genE10ELNS1_11target_archE1201ELNS1_3gpuE5ELNS1_3repE0EEENS1_30default_config_static_selectorELNS0_4arch9wavefront6targetE1EEEvT1_
	.globl	_ZN7rocprim17ROCPRIM_400000_NS6detail17trampoline_kernelINS0_14default_configENS1_29reduce_by_key_config_selectorIiiN6thrust23THRUST_200600_302600_NS4plusIiEEEEZZNS1_33reduce_by_key_impl_wrapped_configILNS1_25lookback_scan_determinismE0ES3_S9_NS6_6detail15normal_iteratorINS6_10device_ptrIiEEEESG_SG_SG_PmS8_NS6_8equal_toIiEEEE10hipError_tPvRmT2_T3_mT4_T5_T6_T7_T8_P12ihipStream_tbENKUlT_T0_E_clISt17integral_constantIbLb0EES10_IbLb1EEEEDaSW_SX_EUlSW_E_NS1_11comp_targetILNS1_3genE10ELNS1_11target_archE1201ELNS1_3gpuE5ELNS1_3repE0EEENS1_30default_config_static_selectorELNS0_4arch9wavefront6targetE1EEEvT1_
	.p2align	8
	.type	_ZN7rocprim17ROCPRIM_400000_NS6detail17trampoline_kernelINS0_14default_configENS1_29reduce_by_key_config_selectorIiiN6thrust23THRUST_200600_302600_NS4plusIiEEEEZZNS1_33reduce_by_key_impl_wrapped_configILNS1_25lookback_scan_determinismE0ES3_S9_NS6_6detail15normal_iteratorINS6_10device_ptrIiEEEESG_SG_SG_PmS8_NS6_8equal_toIiEEEE10hipError_tPvRmT2_T3_mT4_T5_T6_T7_T8_P12ihipStream_tbENKUlT_T0_E_clISt17integral_constantIbLb0EES10_IbLb1EEEEDaSW_SX_EUlSW_E_NS1_11comp_targetILNS1_3genE10ELNS1_11target_archE1201ELNS1_3gpuE5ELNS1_3repE0EEENS1_30default_config_static_selectorELNS0_4arch9wavefront6targetE1EEEvT1_,@function
_ZN7rocprim17ROCPRIM_400000_NS6detail17trampoline_kernelINS0_14default_configENS1_29reduce_by_key_config_selectorIiiN6thrust23THRUST_200600_302600_NS4plusIiEEEEZZNS1_33reduce_by_key_impl_wrapped_configILNS1_25lookback_scan_determinismE0ES3_S9_NS6_6detail15normal_iteratorINS6_10device_ptrIiEEEESG_SG_SG_PmS8_NS6_8equal_toIiEEEE10hipError_tPvRmT2_T3_mT4_T5_T6_T7_T8_P12ihipStream_tbENKUlT_T0_E_clISt17integral_constantIbLb0EES10_IbLb1EEEEDaSW_SX_EUlSW_E_NS1_11comp_targetILNS1_3genE10ELNS1_11target_archE1201ELNS1_3gpuE5ELNS1_3repE0EEENS1_30default_config_static_selectorELNS0_4arch9wavefront6targetE1EEEvT1_: ; @_ZN7rocprim17ROCPRIM_400000_NS6detail17trampoline_kernelINS0_14default_configENS1_29reduce_by_key_config_selectorIiiN6thrust23THRUST_200600_302600_NS4plusIiEEEEZZNS1_33reduce_by_key_impl_wrapped_configILNS1_25lookback_scan_determinismE0ES3_S9_NS6_6detail15normal_iteratorINS6_10device_ptrIiEEEESG_SG_SG_PmS8_NS6_8equal_toIiEEEE10hipError_tPvRmT2_T3_mT4_T5_T6_T7_T8_P12ihipStream_tbENKUlT_T0_E_clISt17integral_constantIbLb0EES10_IbLb1EEEEDaSW_SX_EUlSW_E_NS1_11comp_targetILNS1_3genE10ELNS1_11target_archE1201ELNS1_3gpuE5ELNS1_3repE0EEENS1_30default_config_static_selectorELNS0_4arch9wavefront6targetE1EEEvT1_
; %bb.0:
	.section	.rodata,"a",@progbits
	.p2align	6, 0x0
	.amdhsa_kernel _ZN7rocprim17ROCPRIM_400000_NS6detail17trampoline_kernelINS0_14default_configENS1_29reduce_by_key_config_selectorIiiN6thrust23THRUST_200600_302600_NS4plusIiEEEEZZNS1_33reduce_by_key_impl_wrapped_configILNS1_25lookback_scan_determinismE0ES3_S9_NS6_6detail15normal_iteratorINS6_10device_ptrIiEEEESG_SG_SG_PmS8_NS6_8equal_toIiEEEE10hipError_tPvRmT2_T3_mT4_T5_T6_T7_T8_P12ihipStream_tbENKUlT_T0_E_clISt17integral_constantIbLb0EES10_IbLb1EEEEDaSW_SX_EUlSW_E_NS1_11comp_targetILNS1_3genE10ELNS1_11target_archE1201ELNS1_3gpuE5ELNS1_3repE0EEENS1_30default_config_static_selectorELNS0_4arch9wavefront6targetE1EEEvT1_
		.amdhsa_group_segment_fixed_size 0
		.amdhsa_private_segment_fixed_size 0
		.amdhsa_kernarg_size 120
		.amdhsa_user_sgpr_count 6
		.amdhsa_user_sgpr_private_segment_buffer 1
		.amdhsa_user_sgpr_dispatch_ptr 0
		.amdhsa_user_sgpr_queue_ptr 0
		.amdhsa_user_sgpr_kernarg_segment_ptr 1
		.amdhsa_user_sgpr_dispatch_id 0
		.amdhsa_user_sgpr_flat_scratch_init 0
		.amdhsa_user_sgpr_kernarg_preload_length 0
		.amdhsa_user_sgpr_kernarg_preload_offset 0
		.amdhsa_user_sgpr_private_segment_size 0
		.amdhsa_uses_dynamic_stack 0
		.amdhsa_system_sgpr_private_segment_wavefront_offset 0
		.amdhsa_system_sgpr_workgroup_id_x 1
		.amdhsa_system_sgpr_workgroup_id_y 0
		.amdhsa_system_sgpr_workgroup_id_z 0
		.amdhsa_system_sgpr_workgroup_info 0
		.amdhsa_system_vgpr_workitem_id 0
		.amdhsa_next_free_vgpr 1
		.amdhsa_next_free_sgpr 0
		.amdhsa_accum_offset 4
		.amdhsa_reserve_vcc 0
		.amdhsa_reserve_flat_scratch 0
		.amdhsa_float_round_mode_32 0
		.amdhsa_float_round_mode_16_64 0
		.amdhsa_float_denorm_mode_32 3
		.amdhsa_float_denorm_mode_16_64 3
		.amdhsa_dx10_clamp 1
		.amdhsa_ieee_mode 1
		.amdhsa_fp16_overflow 0
		.amdhsa_tg_split 0
		.amdhsa_exception_fp_ieee_invalid_op 0
		.amdhsa_exception_fp_denorm_src 0
		.amdhsa_exception_fp_ieee_div_zero 0
		.amdhsa_exception_fp_ieee_overflow 0
		.amdhsa_exception_fp_ieee_underflow 0
		.amdhsa_exception_fp_ieee_inexact 0
		.amdhsa_exception_int_div_zero 0
	.end_amdhsa_kernel
	.section	.text._ZN7rocprim17ROCPRIM_400000_NS6detail17trampoline_kernelINS0_14default_configENS1_29reduce_by_key_config_selectorIiiN6thrust23THRUST_200600_302600_NS4plusIiEEEEZZNS1_33reduce_by_key_impl_wrapped_configILNS1_25lookback_scan_determinismE0ES3_S9_NS6_6detail15normal_iteratorINS6_10device_ptrIiEEEESG_SG_SG_PmS8_NS6_8equal_toIiEEEE10hipError_tPvRmT2_T3_mT4_T5_T6_T7_T8_P12ihipStream_tbENKUlT_T0_E_clISt17integral_constantIbLb0EES10_IbLb1EEEEDaSW_SX_EUlSW_E_NS1_11comp_targetILNS1_3genE10ELNS1_11target_archE1201ELNS1_3gpuE5ELNS1_3repE0EEENS1_30default_config_static_selectorELNS0_4arch9wavefront6targetE1EEEvT1_,"axG",@progbits,_ZN7rocprim17ROCPRIM_400000_NS6detail17trampoline_kernelINS0_14default_configENS1_29reduce_by_key_config_selectorIiiN6thrust23THRUST_200600_302600_NS4plusIiEEEEZZNS1_33reduce_by_key_impl_wrapped_configILNS1_25lookback_scan_determinismE0ES3_S9_NS6_6detail15normal_iteratorINS6_10device_ptrIiEEEESG_SG_SG_PmS8_NS6_8equal_toIiEEEE10hipError_tPvRmT2_T3_mT4_T5_T6_T7_T8_P12ihipStream_tbENKUlT_T0_E_clISt17integral_constantIbLb0EES10_IbLb1EEEEDaSW_SX_EUlSW_E_NS1_11comp_targetILNS1_3genE10ELNS1_11target_archE1201ELNS1_3gpuE5ELNS1_3repE0EEENS1_30default_config_static_selectorELNS0_4arch9wavefront6targetE1EEEvT1_,comdat
.Lfunc_end580:
	.size	_ZN7rocprim17ROCPRIM_400000_NS6detail17trampoline_kernelINS0_14default_configENS1_29reduce_by_key_config_selectorIiiN6thrust23THRUST_200600_302600_NS4plusIiEEEEZZNS1_33reduce_by_key_impl_wrapped_configILNS1_25lookback_scan_determinismE0ES3_S9_NS6_6detail15normal_iteratorINS6_10device_ptrIiEEEESG_SG_SG_PmS8_NS6_8equal_toIiEEEE10hipError_tPvRmT2_T3_mT4_T5_T6_T7_T8_P12ihipStream_tbENKUlT_T0_E_clISt17integral_constantIbLb0EES10_IbLb1EEEEDaSW_SX_EUlSW_E_NS1_11comp_targetILNS1_3genE10ELNS1_11target_archE1201ELNS1_3gpuE5ELNS1_3repE0EEENS1_30default_config_static_selectorELNS0_4arch9wavefront6targetE1EEEvT1_, .Lfunc_end580-_ZN7rocprim17ROCPRIM_400000_NS6detail17trampoline_kernelINS0_14default_configENS1_29reduce_by_key_config_selectorIiiN6thrust23THRUST_200600_302600_NS4plusIiEEEEZZNS1_33reduce_by_key_impl_wrapped_configILNS1_25lookback_scan_determinismE0ES3_S9_NS6_6detail15normal_iteratorINS6_10device_ptrIiEEEESG_SG_SG_PmS8_NS6_8equal_toIiEEEE10hipError_tPvRmT2_T3_mT4_T5_T6_T7_T8_P12ihipStream_tbENKUlT_T0_E_clISt17integral_constantIbLb0EES10_IbLb1EEEEDaSW_SX_EUlSW_E_NS1_11comp_targetILNS1_3genE10ELNS1_11target_archE1201ELNS1_3gpuE5ELNS1_3repE0EEENS1_30default_config_static_selectorELNS0_4arch9wavefront6targetE1EEEvT1_
                                        ; -- End function
	.section	.AMDGPU.csdata,"",@progbits
; Kernel info:
; codeLenInByte = 0
; NumSgprs: 4
; NumVgprs: 0
; NumAgprs: 0
; TotalNumVgprs: 0
; ScratchSize: 0
; MemoryBound: 0
; FloatMode: 240
; IeeeMode: 1
; LDSByteSize: 0 bytes/workgroup (compile time only)
; SGPRBlocks: 0
; VGPRBlocks: 0
; NumSGPRsForWavesPerEU: 4
; NumVGPRsForWavesPerEU: 1
; AccumOffset: 4
; Occupancy: 8
; WaveLimiterHint : 0
; COMPUTE_PGM_RSRC2:SCRATCH_EN: 0
; COMPUTE_PGM_RSRC2:USER_SGPR: 6
; COMPUTE_PGM_RSRC2:TRAP_HANDLER: 0
; COMPUTE_PGM_RSRC2:TGID_X_EN: 1
; COMPUTE_PGM_RSRC2:TGID_Y_EN: 0
; COMPUTE_PGM_RSRC2:TGID_Z_EN: 0
; COMPUTE_PGM_RSRC2:TIDIG_COMP_CNT: 0
; COMPUTE_PGM_RSRC3_GFX90A:ACCUM_OFFSET: 0
; COMPUTE_PGM_RSRC3_GFX90A:TG_SPLIT: 0
	.section	.text._ZN7rocprim17ROCPRIM_400000_NS6detail17trampoline_kernelINS0_14default_configENS1_29reduce_by_key_config_selectorIiiN6thrust23THRUST_200600_302600_NS4plusIiEEEEZZNS1_33reduce_by_key_impl_wrapped_configILNS1_25lookback_scan_determinismE0ES3_S9_NS6_6detail15normal_iteratorINS6_10device_ptrIiEEEESG_SG_SG_PmS8_NS6_8equal_toIiEEEE10hipError_tPvRmT2_T3_mT4_T5_T6_T7_T8_P12ihipStream_tbENKUlT_T0_E_clISt17integral_constantIbLb0EES10_IbLb1EEEEDaSW_SX_EUlSW_E_NS1_11comp_targetILNS1_3genE10ELNS1_11target_archE1200ELNS1_3gpuE4ELNS1_3repE0EEENS1_30default_config_static_selectorELNS0_4arch9wavefront6targetE1EEEvT1_,"axG",@progbits,_ZN7rocprim17ROCPRIM_400000_NS6detail17trampoline_kernelINS0_14default_configENS1_29reduce_by_key_config_selectorIiiN6thrust23THRUST_200600_302600_NS4plusIiEEEEZZNS1_33reduce_by_key_impl_wrapped_configILNS1_25lookback_scan_determinismE0ES3_S9_NS6_6detail15normal_iteratorINS6_10device_ptrIiEEEESG_SG_SG_PmS8_NS6_8equal_toIiEEEE10hipError_tPvRmT2_T3_mT4_T5_T6_T7_T8_P12ihipStream_tbENKUlT_T0_E_clISt17integral_constantIbLb0EES10_IbLb1EEEEDaSW_SX_EUlSW_E_NS1_11comp_targetILNS1_3genE10ELNS1_11target_archE1200ELNS1_3gpuE4ELNS1_3repE0EEENS1_30default_config_static_selectorELNS0_4arch9wavefront6targetE1EEEvT1_,comdat
	.protected	_ZN7rocprim17ROCPRIM_400000_NS6detail17trampoline_kernelINS0_14default_configENS1_29reduce_by_key_config_selectorIiiN6thrust23THRUST_200600_302600_NS4plusIiEEEEZZNS1_33reduce_by_key_impl_wrapped_configILNS1_25lookback_scan_determinismE0ES3_S9_NS6_6detail15normal_iteratorINS6_10device_ptrIiEEEESG_SG_SG_PmS8_NS6_8equal_toIiEEEE10hipError_tPvRmT2_T3_mT4_T5_T6_T7_T8_P12ihipStream_tbENKUlT_T0_E_clISt17integral_constantIbLb0EES10_IbLb1EEEEDaSW_SX_EUlSW_E_NS1_11comp_targetILNS1_3genE10ELNS1_11target_archE1200ELNS1_3gpuE4ELNS1_3repE0EEENS1_30default_config_static_selectorELNS0_4arch9wavefront6targetE1EEEvT1_ ; -- Begin function _ZN7rocprim17ROCPRIM_400000_NS6detail17trampoline_kernelINS0_14default_configENS1_29reduce_by_key_config_selectorIiiN6thrust23THRUST_200600_302600_NS4plusIiEEEEZZNS1_33reduce_by_key_impl_wrapped_configILNS1_25lookback_scan_determinismE0ES3_S9_NS6_6detail15normal_iteratorINS6_10device_ptrIiEEEESG_SG_SG_PmS8_NS6_8equal_toIiEEEE10hipError_tPvRmT2_T3_mT4_T5_T6_T7_T8_P12ihipStream_tbENKUlT_T0_E_clISt17integral_constantIbLb0EES10_IbLb1EEEEDaSW_SX_EUlSW_E_NS1_11comp_targetILNS1_3genE10ELNS1_11target_archE1200ELNS1_3gpuE4ELNS1_3repE0EEENS1_30default_config_static_selectorELNS0_4arch9wavefront6targetE1EEEvT1_
	.globl	_ZN7rocprim17ROCPRIM_400000_NS6detail17trampoline_kernelINS0_14default_configENS1_29reduce_by_key_config_selectorIiiN6thrust23THRUST_200600_302600_NS4plusIiEEEEZZNS1_33reduce_by_key_impl_wrapped_configILNS1_25lookback_scan_determinismE0ES3_S9_NS6_6detail15normal_iteratorINS6_10device_ptrIiEEEESG_SG_SG_PmS8_NS6_8equal_toIiEEEE10hipError_tPvRmT2_T3_mT4_T5_T6_T7_T8_P12ihipStream_tbENKUlT_T0_E_clISt17integral_constantIbLb0EES10_IbLb1EEEEDaSW_SX_EUlSW_E_NS1_11comp_targetILNS1_3genE10ELNS1_11target_archE1200ELNS1_3gpuE4ELNS1_3repE0EEENS1_30default_config_static_selectorELNS0_4arch9wavefront6targetE1EEEvT1_
	.p2align	8
	.type	_ZN7rocprim17ROCPRIM_400000_NS6detail17trampoline_kernelINS0_14default_configENS1_29reduce_by_key_config_selectorIiiN6thrust23THRUST_200600_302600_NS4plusIiEEEEZZNS1_33reduce_by_key_impl_wrapped_configILNS1_25lookback_scan_determinismE0ES3_S9_NS6_6detail15normal_iteratorINS6_10device_ptrIiEEEESG_SG_SG_PmS8_NS6_8equal_toIiEEEE10hipError_tPvRmT2_T3_mT4_T5_T6_T7_T8_P12ihipStream_tbENKUlT_T0_E_clISt17integral_constantIbLb0EES10_IbLb1EEEEDaSW_SX_EUlSW_E_NS1_11comp_targetILNS1_3genE10ELNS1_11target_archE1200ELNS1_3gpuE4ELNS1_3repE0EEENS1_30default_config_static_selectorELNS0_4arch9wavefront6targetE1EEEvT1_,@function
_ZN7rocprim17ROCPRIM_400000_NS6detail17trampoline_kernelINS0_14default_configENS1_29reduce_by_key_config_selectorIiiN6thrust23THRUST_200600_302600_NS4plusIiEEEEZZNS1_33reduce_by_key_impl_wrapped_configILNS1_25lookback_scan_determinismE0ES3_S9_NS6_6detail15normal_iteratorINS6_10device_ptrIiEEEESG_SG_SG_PmS8_NS6_8equal_toIiEEEE10hipError_tPvRmT2_T3_mT4_T5_T6_T7_T8_P12ihipStream_tbENKUlT_T0_E_clISt17integral_constantIbLb0EES10_IbLb1EEEEDaSW_SX_EUlSW_E_NS1_11comp_targetILNS1_3genE10ELNS1_11target_archE1200ELNS1_3gpuE4ELNS1_3repE0EEENS1_30default_config_static_selectorELNS0_4arch9wavefront6targetE1EEEvT1_: ; @_ZN7rocprim17ROCPRIM_400000_NS6detail17trampoline_kernelINS0_14default_configENS1_29reduce_by_key_config_selectorIiiN6thrust23THRUST_200600_302600_NS4plusIiEEEEZZNS1_33reduce_by_key_impl_wrapped_configILNS1_25lookback_scan_determinismE0ES3_S9_NS6_6detail15normal_iteratorINS6_10device_ptrIiEEEESG_SG_SG_PmS8_NS6_8equal_toIiEEEE10hipError_tPvRmT2_T3_mT4_T5_T6_T7_T8_P12ihipStream_tbENKUlT_T0_E_clISt17integral_constantIbLb0EES10_IbLb1EEEEDaSW_SX_EUlSW_E_NS1_11comp_targetILNS1_3genE10ELNS1_11target_archE1200ELNS1_3gpuE4ELNS1_3repE0EEENS1_30default_config_static_selectorELNS0_4arch9wavefront6targetE1EEEvT1_
; %bb.0:
	.section	.rodata,"a",@progbits
	.p2align	6, 0x0
	.amdhsa_kernel _ZN7rocprim17ROCPRIM_400000_NS6detail17trampoline_kernelINS0_14default_configENS1_29reduce_by_key_config_selectorIiiN6thrust23THRUST_200600_302600_NS4plusIiEEEEZZNS1_33reduce_by_key_impl_wrapped_configILNS1_25lookback_scan_determinismE0ES3_S9_NS6_6detail15normal_iteratorINS6_10device_ptrIiEEEESG_SG_SG_PmS8_NS6_8equal_toIiEEEE10hipError_tPvRmT2_T3_mT4_T5_T6_T7_T8_P12ihipStream_tbENKUlT_T0_E_clISt17integral_constantIbLb0EES10_IbLb1EEEEDaSW_SX_EUlSW_E_NS1_11comp_targetILNS1_3genE10ELNS1_11target_archE1200ELNS1_3gpuE4ELNS1_3repE0EEENS1_30default_config_static_selectorELNS0_4arch9wavefront6targetE1EEEvT1_
		.amdhsa_group_segment_fixed_size 0
		.amdhsa_private_segment_fixed_size 0
		.amdhsa_kernarg_size 120
		.amdhsa_user_sgpr_count 6
		.amdhsa_user_sgpr_private_segment_buffer 1
		.amdhsa_user_sgpr_dispatch_ptr 0
		.amdhsa_user_sgpr_queue_ptr 0
		.amdhsa_user_sgpr_kernarg_segment_ptr 1
		.amdhsa_user_sgpr_dispatch_id 0
		.amdhsa_user_sgpr_flat_scratch_init 0
		.amdhsa_user_sgpr_kernarg_preload_length 0
		.amdhsa_user_sgpr_kernarg_preload_offset 0
		.amdhsa_user_sgpr_private_segment_size 0
		.amdhsa_uses_dynamic_stack 0
		.amdhsa_system_sgpr_private_segment_wavefront_offset 0
		.amdhsa_system_sgpr_workgroup_id_x 1
		.amdhsa_system_sgpr_workgroup_id_y 0
		.amdhsa_system_sgpr_workgroup_id_z 0
		.amdhsa_system_sgpr_workgroup_info 0
		.amdhsa_system_vgpr_workitem_id 0
		.amdhsa_next_free_vgpr 1
		.amdhsa_next_free_sgpr 0
		.amdhsa_accum_offset 4
		.amdhsa_reserve_vcc 0
		.amdhsa_reserve_flat_scratch 0
		.amdhsa_float_round_mode_32 0
		.amdhsa_float_round_mode_16_64 0
		.amdhsa_float_denorm_mode_32 3
		.amdhsa_float_denorm_mode_16_64 3
		.amdhsa_dx10_clamp 1
		.amdhsa_ieee_mode 1
		.amdhsa_fp16_overflow 0
		.amdhsa_tg_split 0
		.amdhsa_exception_fp_ieee_invalid_op 0
		.amdhsa_exception_fp_denorm_src 0
		.amdhsa_exception_fp_ieee_div_zero 0
		.amdhsa_exception_fp_ieee_overflow 0
		.amdhsa_exception_fp_ieee_underflow 0
		.amdhsa_exception_fp_ieee_inexact 0
		.amdhsa_exception_int_div_zero 0
	.end_amdhsa_kernel
	.section	.text._ZN7rocprim17ROCPRIM_400000_NS6detail17trampoline_kernelINS0_14default_configENS1_29reduce_by_key_config_selectorIiiN6thrust23THRUST_200600_302600_NS4plusIiEEEEZZNS1_33reduce_by_key_impl_wrapped_configILNS1_25lookback_scan_determinismE0ES3_S9_NS6_6detail15normal_iteratorINS6_10device_ptrIiEEEESG_SG_SG_PmS8_NS6_8equal_toIiEEEE10hipError_tPvRmT2_T3_mT4_T5_T6_T7_T8_P12ihipStream_tbENKUlT_T0_E_clISt17integral_constantIbLb0EES10_IbLb1EEEEDaSW_SX_EUlSW_E_NS1_11comp_targetILNS1_3genE10ELNS1_11target_archE1200ELNS1_3gpuE4ELNS1_3repE0EEENS1_30default_config_static_selectorELNS0_4arch9wavefront6targetE1EEEvT1_,"axG",@progbits,_ZN7rocprim17ROCPRIM_400000_NS6detail17trampoline_kernelINS0_14default_configENS1_29reduce_by_key_config_selectorIiiN6thrust23THRUST_200600_302600_NS4plusIiEEEEZZNS1_33reduce_by_key_impl_wrapped_configILNS1_25lookback_scan_determinismE0ES3_S9_NS6_6detail15normal_iteratorINS6_10device_ptrIiEEEESG_SG_SG_PmS8_NS6_8equal_toIiEEEE10hipError_tPvRmT2_T3_mT4_T5_T6_T7_T8_P12ihipStream_tbENKUlT_T0_E_clISt17integral_constantIbLb0EES10_IbLb1EEEEDaSW_SX_EUlSW_E_NS1_11comp_targetILNS1_3genE10ELNS1_11target_archE1200ELNS1_3gpuE4ELNS1_3repE0EEENS1_30default_config_static_selectorELNS0_4arch9wavefront6targetE1EEEvT1_,comdat
.Lfunc_end581:
	.size	_ZN7rocprim17ROCPRIM_400000_NS6detail17trampoline_kernelINS0_14default_configENS1_29reduce_by_key_config_selectorIiiN6thrust23THRUST_200600_302600_NS4plusIiEEEEZZNS1_33reduce_by_key_impl_wrapped_configILNS1_25lookback_scan_determinismE0ES3_S9_NS6_6detail15normal_iteratorINS6_10device_ptrIiEEEESG_SG_SG_PmS8_NS6_8equal_toIiEEEE10hipError_tPvRmT2_T3_mT4_T5_T6_T7_T8_P12ihipStream_tbENKUlT_T0_E_clISt17integral_constantIbLb0EES10_IbLb1EEEEDaSW_SX_EUlSW_E_NS1_11comp_targetILNS1_3genE10ELNS1_11target_archE1200ELNS1_3gpuE4ELNS1_3repE0EEENS1_30default_config_static_selectorELNS0_4arch9wavefront6targetE1EEEvT1_, .Lfunc_end581-_ZN7rocprim17ROCPRIM_400000_NS6detail17trampoline_kernelINS0_14default_configENS1_29reduce_by_key_config_selectorIiiN6thrust23THRUST_200600_302600_NS4plusIiEEEEZZNS1_33reduce_by_key_impl_wrapped_configILNS1_25lookback_scan_determinismE0ES3_S9_NS6_6detail15normal_iteratorINS6_10device_ptrIiEEEESG_SG_SG_PmS8_NS6_8equal_toIiEEEE10hipError_tPvRmT2_T3_mT4_T5_T6_T7_T8_P12ihipStream_tbENKUlT_T0_E_clISt17integral_constantIbLb0EES10_IbLb1EEEEDaSW_SX_EUlSW_E_NS1_11comp_targetILNS1_3genE10ELNS1_11target_archE1200ELNS1_3gpuE4ELNS1_3repE0EEENS1_30default_config_static_selectorELNS0_4arch9wavefront6targetE1EEEvT1_
                                        ; -- End function
	.section	.AMDGPU.csdata,"",@progbits
; Kernel info:
; codeLenInByte = 0
; NumSgprs: 4
; NumVgprs: 0
; NumAgprs: 0
; TotalNumVgprs: 0
; ScratchSize: 0
; MemoryBound: 0
; FloatMode: 240
; IeeeMode: 1
; LDSByteSize: 0 bytes/workgroup (compile time only)
; SGPRBlocks: 0
; VGPRBlocks: 0
; NumSGPRsForWavesPerEU: 4
; NumVGPRsForWavesPerEU: 1
; AccumOffset: 4
; Occupancy: 8
; WaveLimiterHint : 0
; COMPUTE_PGM_RSRC2:SCRATCH_EN: 0
; COMPUTE_PGM_RSRC2:USER_SGPR: 6
; COMPUTE_PGM_RSRC2:TRAP_HANDLER: 0
; COMPUTE_PGM_RSRC2:TGID_X_EN: 1
; COMPUTE_PGM_RSRC2:TGID_Y_EN: 0
; COMPUTE_PGM_RSRC2:TGID_Z_EN: 0
; COMPUTE_PGM_RSRC2:TIDIG_COMP_CNT: 0
; COMPUTE_PGM_RSRC3_GFX90A:ACCUM_OFFSET: 0
; COMPUTE_PGM_RSRC3_GFX90A:TG_SPLIT: 0
	.section	.text._ZN7rocprim17ROCPRIM_400000_NS6detail17trampoline_kernelINS0_14default_configENS1_29reduce_by_key_config_selectorIiiN6thrust23THRUST_200600_302600_NS4plusIiEEEEZZNS1_33reduce_by_key_impl_wrapped_configILNS1_25lookback_scan_determinismE0ES3_S9_NS6_6detail15normal_iteratorINS6_10device_ptrIiEEEESG_SG_SG_PmS8_NS6_8equal_toIiEEEE10hipError_tPvRmT2_T3_mT4_T5_T6_T7_T8_P12ihipStream_tbENKUlT_T0_E_clISt17integral_constantIbLb0EES10_IbLb1EEEEDaSW_SX_EUlSW_E_NS1_11comp_targetILNS1_3genE9ELNS1_11target_archE1100ELNS1_3gpuE3ELNS1_3repE0EEENS1_30default_config_static_selectorELNS0_4arch9wavefront6targetE1EEEvT1_,"axG",@progbits,_ZN7rocprim17ROCPRIM_400000_NS6detail17trampoline_kernelINS0_14default_configENS1_29reduce_by_key_config_selectorIiiN6thrust23THRUST_200600_302600_NS4plusIiEEEEZZNS1_33reduce_by_key_impl_wrapped_configILNS1_25lookback_scan_determinismE0ES3_S9_NS6_6detail15normal_iteratorINS6_10device_ptrIiEEEESG_SG_SG_PmS8_NS6_8equal_toIiEEEE10hipError_tPvRmT2_T3_mT4_T5_T6_T7_T8_P12ihipStream_tbENKUlT_T0_E_clISt17integral_constantIbLb0EES10_IbLb1EEEEDaSW_SX_EUlSW_E_NS1_11comp_targetILNS1_3genE9ELNS1_11target_archE1100ELNS1_3gpuE3ELNS1_3repE0EEENS1_30default_config_static_selectorELNS0_4arch9wavefront6targetE1EEEvT1_,comdat
	.protected	_ZN7rocprim17ROCPRIM_400000_NS6detail17trampoline_kernelINS0_14default_configENS1_29reduce_by_key_config_selectorIiiN6thrust23THRUST_200600_302600_NS4plusIiEEEEZZNS1_33reduce_by_key_impl_wrapped_configILNS1_25lookback_scan_determinismE0ES3_S9_NS6_6detail15normal_iteratorINS6_10device_ptrIiEEEESG_SG_SG_PmS8_NS6_8equal_toIiEEEE10hipError_tPvRmT2_T3_mT4_T5_T6_T7_T8_P12ihipStream_tbENKUlT_T0_E_clISt17integral_constantIbLb0EES10_IbLb1EEEEDaSW_SX_EUlSW_E_NS1_11comp_targetILNS1_3genE9ELNS1_11target_archE1100ELNS1_3gpuE3ELNS1_3repE0EEENS1_30default_config_static_selectorELNS0_4arch9wavefront6targetE1EEEvT1_ ; -- Begin function _ZN7rocprim17ROCPRIM_400000_NS6detail17trampoline_kernelINS0_14default_configENS1_29reduce_by_key_config_selectorIiiN6thrust23THRUST_200600_302600_NS4plusIiEEEEZZNS1_33reduce_by_key_impl_wrapped_configILNS1_25lookback_scan_determinismE0ES3_S9_NS6_6detail15normal_iteratorINS6_10device_ptrIiEEEESG_SG_SG_PmS8_NS6_8equal_toIiEEEE10hipError_tPvRmT2_T3_mT4_T5_T6_T7_T8_P12ihipStream_tbENKUlT_T0_E_clISt17integral_constantIbLb0EES10_IbLb1EEEEDaSW_SX_EUlSW_E_NS1_11comp_targetILNS1_3genE9ELNS1_11target_archE1100ELNS1_3gpuE3ELNS1_3repE0EEENS1_30default_config_static_selectorELNS0_4arch9wavefront6targetE1EEEvT1_
	.globl	_ZN7rocprim17ROCPRIM_400000_NS6detail17trampoline_kernelINS0_14default_configENS1_29reduce_by_key_config_selectorIiiN6thrust23THRUST_200600_302600_NS4plusIiEEEEZZNS1_33reduce_by_key_impl_wrapped_configILNS1_25lookback_scan_determinismE0ES3_S9_NS6_6detail15normal_iteratorINS6_10device_ptrIiEEEESG_SG_SG_PmS8_NS6_8equal_toIiEEEE10hipError_tPvRmT2_T3_mT4_T5_T6_T7_T8_P12ihipStream_tbENKUlT_T0_E_clISt17integral_constantIbLb0EES10_IbLb1EEEEDaSW_SX_EUlSW_E_NS1_11comp_targetILNS1_3genE9ELNS1_11target_archE1100ELNS1_3gpuE3ELNS1_3repE0EEENS1_30default_config_static_selectorELNS0_4arch9wavefront6targetE1EEEvT1_
	.p2align	8
	.type	_ZN7rocprim17ROCPRIM_400000_NS6detail17trampoline_kernelINS0_14default_configENS1_29reduce_by_key_config_selectorIiiN6thrust23THRUST_200600_302600_NS4plusIiEEEEZZNS1_33reduce_by_key_impl_wrapped_configILNS1_25lookback_scan_determinismE0ES3_S9_NS6_6detail15normal_iteratorINS6_10device_ptrIiEEEESG_SG_SG_PmS8_NS6_8equal_toIiEEEE10hipError_tPvRmT2_T3_mT4_T5_T6_T7_T8_P12ihipStream_tbENKUlT_T0_E_clISt17integral_constantIbLb0EES10_IbLb1EEEEDaSW_SX_EUlSW_E_NS1_11comp_targetILNS1_3genE9ELNS1_11target_archE1100ELNS1_3gpuE3ELNS1_3repE0EEENS1_30default_config_static_selectorELNS0_4arch9wavefront6targetE1EEEvT1_,@function
_ZN7rocprim17ROCPRIM_400000_NS6detail17trampoline_kernelINS0_14default_configENS1_29reduce_by_key_config_selectorIiiN6thrust23THRUST_200600_302600_NS4plusIiEEEEZZNS1_33reduce_by_key_impl_wrapped_configILNS1_25lookback_scan_determinismE0ES3_S9_NS6_6detail15normal_iteratorINS6_10device_ptrIiEEEESG_SG_SG_PmS8_NS6_8equal_toIiEEEE10hipError_tPvRmT2_T3_mT4_T5_T6_T7_T8_P12ihipStream_tbENKUlT_T0_E_clISt17integral_constantIbLb0EES10_IbLb1EEEEDaSW_SX_EUlSW_E_NS1_11comp_targetILNS1_3genE9ELNS1_11target_archE1100ELNS1_3gpuE3ELNS1_3repE0EEENS1_30default_config_static_selectorELNS0_4arch9wavefront6targetE1EEEvT1_: ; @_ZN7rocprim17ROCPRIM_400000_NS6detail17trampoline_kernelINS0_14default_configENS1_29reduce_by_key_config_selectorIiiN6thrust23THRUST_200600_302600_NS4plusIiEEEEZZNS1_33reduce_by_key_impl_wrapped_configILNS1_25lookback_scan_determinismE0ES3_S9_NS6_6detail15normal_iteratorINS6_10device_ptrIiEEEESG_SG_SG_PmS8_NS6_8equal_toIiEEEE10hipError_tPvRmT2_T3_mT4_T5_T6_T7_T8_P12ihipStream_tbENKUlT_T0_E_clISt17integral_constantIbLb0EES10_IbLb1EEEEDaSW_SX_EUlSW_E_NS1_11comp_targetILNS1_3genE9ELNS1_11target_archE1100ELNS1_3gpuE3ELNS1_3repE0EEENS1_30default_config_static_selectorELNS0_4arch9wavefront6targetE1EEEvT1_
; %bb.0:
	.section	.rodata,"a",@progbits
	.p2align	6, 0x0
	.amdhsa_kernel _ZN7rocprim17ROCPRIM_400000_NS6detail17trampoline_kernelINS0_14default_configENS1_29reduce_by_key_config_selectorIiiN6thrust23THRUST_200600_302600_NS4plusIiEEEEZZNS1_33reduce_by_key_impl_wrapped_configILNS1_25lookback_scan_determinismE0ES3_S9_NS6_6detail15normal_iteratorINS6_10device_ptrIiEEEESG_SG_SG_PmS8_NS6_8equal_toIiEEEE10hipError_tPvRmT2_T3_mT4_T5_T6_T7_T8_P12ihipStream_tbENKUlT_T0_E_clISt17integral_constantIbLb0EES10_IbLb1EEEEDaSW_SX_EUlSW_E_NS1_11comp_targetILNS1_3genE9ELNS1_11target_archE1100ELNS1_3gpuE3ELNS1_3repE0EEENS1_30default_config_static_selectorELNS0_4arch9wavefront6targetE1EEEvT1_
		.amdhsa_group_segment_fixed_size 0
		.amdhsa_private_segment_fixed_size 0
		.amdhsa_kernarg_size 120
		.amdhsa_user_sgpr_count 6
		.amdhsa_user_sgpr_private_segment_buffer 1
		.amdhsa_user_sgpr_dispatch_ptr 0
		.amdhsa_user_sgpr_queue_ptr 0
		.amdhsa_user_sgpr_kernarg_segment_ptr 1
		.amdhsa_user_sgpr_dispatch_id 0
		.amdhsa_user_sgpr_flat_scratch_init 0
		.amdhsa_user_sgpr_kernarg_preload_length 0
		.amdhsa_user_sgpr_kernarg_preload_offset 0
		.amdhsa_user_sgpr_private_segment_size 0
		.amdhsa_uses_dynamic_stack 0
		.amdhsa_system_sgpr_private_segment_wavefront_offset 0
		.amdhsa_system_sgpr_workgroup_id_x 1
		.amdhsa_system_sgpr_workgroup_id_y 0
		.amdhsa_system_sgpr_workgroup_id_z 0
		.amdhsa_system_sgpr_workgroup_info 0
		.amdhsa_system_vgpr_workitem_id 0
		.amdhsa_next_free_vgpr 1
		.amdhsa_next_free_sgpr 0
		.amdhsa_accum_offset 4
		.amdhsa_reserve_vcc 0
		.amdhsa_reserve_flat_scratch 0
		.amdhsa_float_round_mode_32 0
		.amdhsa_float_round_mode_16_64 0
		.amdhsa_float_denorm_mode_32 3
		.amdhsa_float_denorm_mode_16_64 3
		.amdhsa_dx10_clamp 1
		.amdhsa_ieee_mode 1
		.amdhsa_fp16_overflow 0
		.amdhsa_tg_split 0
		.amdhsa_exception_fp_ieee_invalid_op 0
		.amdhsa_exception_fp_denorm_src 0
		.amdhsa_exception_fp_ieee_div_zero 0
		.amdhsa_exception_fp_ieee_overflow 0
		.amdhsa_exception_fp_ieee_underflow 0
		.amdhsa_exception_fp_ieee_inexact 0
		.amdhsa_exception_int_div_zero 0
	.end_amdhsa_kernel
	.section	.text._ZN7rocprim17ROCPRIM_400000_NS6detail17trampoline_kernelINS0_14default_configENS1_29reduce_by_key_config_selectorIiiN6thrust23THRUST_200600_302600_NS4plusIiEEEEZZNS1_33reduce_by_key_impl_wrapped_configILNS1_25lookback_scan_determinismE0ES3_S9_NS6_6detail15normal_iteratorINS6_10device_ptrIiEEEESG_SG_SG_PmS8_NS6_8equal_toIiEEEE10hipError_tPvRmT2_T3_mT4_T5_T6_T7_T8_P12ihipStream_tbENKUlT_T0_E_clISt17integral_constantIbLb0EES10_IbLb1EEEEDaSW_SX_EUlSW_E_NS1_11comp_targetILNS1_3genE9ELNS1_11target_archE1100ELNS1_3gpuE3ELNS1_3repE0EEENS1_30default_config_static_selectorELNS0_4arch9wavefront6targetE1EEEvT1_,"axG",@progbits,_ZN7rocprim17ROCPRIM_400000_NS6detail17trampoline_kernelINS0_14default_configENS1_29reduce_by_key_config_selectorIiiN6thrust23THRUST_200600_302600_NS4plusIiEEEEZZNS1_33reduce_by_key_impl_wrapped_configILNS1_25lookback_scan_determinismE0ES3_S9_NS6_6detail15normal_iteratorINS6_10device_ptrIiEEEESG_SG_SG_PmS8_NS6_8equal_toIiEEEE10hipError_tPvRmT2_T3_mT4_T5_T6_T7_T8_P12ihipStream_tbENKUlT_T0_E_clISt17integral_constantIbLb0EES10_IbLb1EEEEDaSW_SX_EUlSW_E_NS1_11comp_targetILNS1_3genE9ELNS1_11target_archE1100ELNS1_3gpuE3ELNS1_3repE0EEENS1_30default_config_static_selectorELNS0_4arch9wavefront6targetE1EEEvT1_,comdat
.Lfunc_end582:
	.size	_ZN7rocprim17ROCPRIM_400000_NS6detail17trampoline_kernelINS0_14default_configENS1_29reduce_by_key_config_selectorIiiN6thrust23THRUST_200600_302600_NS4plusIiEEEEZZNS1_33reduce_by_key_impl_wrapped_configILNS1_25lookback_scan_determinismE0ES3_S9_NS6_6detail15normal_iteratorINS6_10device_ptrIiEEEESG_SG_SG_PmS8_NS6_8equal_toIiEEEE10hipError_tPvRmT2_T3_mT4_T5_T6_T7_T8_P12ihipStream_tbENKUlT_T0_E_clISt17integral_constantIbLb0EES10_IbLb1EEEEDaSW_SX_EUlSW_E_NS1_11comp_targetILNS1_3genE9ELNS1_11target_archE1100ELNS1_3gpuE3ELNS1_3repE0EEENS1_30default_config_static_selectorELNS0_4arch9wavefront6targetE1EEEvT1_, .Lfunc_end582-_ZN7rocprim17ROCPRIM_400000_NS6detail17trampoline_kernelINS0_14default_configENS1_29reduce_by_key_config_selectorIiiN6thrust23THRUST_200600_302600_NS4plusIiEEEEZZNS1_33reduce_by_key_impl_wrapped_configILNS1_25lookback_scan_determinismE0ES3_S9_NS6_6detail15normal_iteratorINS6_10device_ptrIiEEEESG_SG_SG_PmS8_NS6_8equal_toIiEEEE10hipError_tPvRmT2_T3_mT4_T5_T6_T7_T8_P12ihipStream_tbENKUlT_T0_E_clISt17integral_constantIbLb0EES10_IbLb1EEEEDaSW_SX_EUlSW_E_NS1_11comp_targetILNS1_3genE9ELNS1_11target_archE1100ELNS1_3gpuE3ELNS1_3repE0EEENS1_30default_config_static_selectorELNS0_4arch9wavefront6targetE1EEEvT1_
                                        ; -- End function
	.section	.AMDGPU.csdata,"",@progbits
; Kernel info:
; codeLenInByte = 0
; NumSgprs: 4
; NumVgprs: 0
; NumAgprs: 0
; TotalNumVgprs: 0
; ScratchSize: 0
; MemoryBound: 0
; FloatMode: 240
; IeeeMode: 1
; LDSByteSize: 0 bytes/workgroup (compile time only)
; SGPRBlocks: 0
; VGPRBlocks: 0
; NumSGPRsForWavesPerEU: 4
; NumVGPRsForWavesPerEU: 1
; AccumOffset: 4
; Occupancy: 8
; WaveLimiterHint : 0
; COMPUTE_PGM_RSRC2:SCRATCH_EN: 0
; COMPUTE_PGM_RSRC2:USER_SGPR: 6
; COMPUTE_PGM_RSRC2:TRAP_HANDLER: 0
; COMPUTE_PGM_RSRC2:TGID_X_EN: 1
; COMPUTE_PGM_RSRC2:TGID_Y_EN: 0
; COMPUTE_PGM_RSRC2:TGID_Z_EN: 0
; COMPUTE_PGM_RSRC2:TIDIG_COMP_CNT: 0
; COMPUTE_PGM_RSRC3_GFX90A:ACCUM_OFFSET: 0
; COMPUTE_PGM_RSRC3_GFX90A:TG_SPLIT: 0
	.section	.text._ZN7rocprim17ROCPRIM_400000_NS6detail17trampoline_kernelINS0_14default_configENS1_29reduce_by_key_config_selectorIiiN6thrust23THRUST_200600_302600_NS4plusIiEEEEZZNS1_33reduce_by_key_impl_wrapped_configILNS1_25lookback_scan_determinismE0ES3_S9_NS6_6detail15normal_iteratorINS6_10device_ptrIiEEEESG_SG_SG_PmS8_NS6_8equal_toIiEEEE10hipError_tPvRmT2_T3_mT4_T5_T6_T7_T8_P12ihipStream_tbENKUlT_T0_E_clISt17integral_constantIbLb0EES10_IbLb1EEEEDaSW_SX_EUlSW_E_NS1_11comp_targetILNS1_3genE8ELNS1_11target_archE1030ELNS1_3gpuE2ELNS1_3repE0EEENS1_30default_config_static_selectorELNS0_4arch9wavefront6targetE1EEEvT1_,"axG",@progbits,_ZN7rocprim17ROCPRIM_400000_NS6detail17trampoline_kernelINS0_14default_configENS1_29reduce_by_key_config_selectorIiiN6thrust23THRUST_200600_302600_NS4plusIiEEEEZZNS1_33reduce_by_key_impl_wrapped_configILNS1_25lookback_scan_determinismE0ES3_S9_NS6_6detail15normal_iteratorINS6_10device_ptrIiEEEESG_SG_SG_PmS8_NS6_8equal_toIiEEEE10hipError_tPvRmT2_T3_mT4_T5_T6_T7_T8_P12ihipStream_tbENKUlT_T0_E_clISt17integral_constantIbLb0EES10_IbLb1EEEEDaSW_SX_EUlSW_E_NS1_11comp_targetILNS1_3genE8ELNS1_11target_archE1030ELNS1_3gpuE2ELNS1_3repE0EEENS1_30default_config_static_selectorELNS0_4arch9wavefront6targetE1EEEvT1_,comdat
	.protected	_ZN7rocprim17ROCPRIM_400000_NS6detail17trampoline_kernelINS0_14default_configENS1_29reduce_by_key_config_selectorIiiN6thrust23THRUST_200600_302600_NS4plusIiEEEEZZNS1_33reduce_by_key_impl_wrapped_configILNS1_25lookback_scan_determinismE0ES3_S9_NS6_6detail15normal_iteratorINS6_10device_ptrIiEEEESG_SG_SG_PmS8_NS6_8equal_toIiEEEE10hipError_tPvRmT2_T3_mT4_T5_T6_T7_T8_P12ihipStream_tbENKUlT_T0_E_clISt17integral_constantIbLb0EES10_IbLb1EEEEDaSW_SX_EUlSW_E_NS1_11comp_targetILNS1_3genE8ELNS1_11target_archE1030ELNS1_3gpuE2ELNS1_3repE0EEENS1_30default_config_static_selectorELNS0_4arch9wavefront6targetE1EEEvT1_ ; -- Begin function _ZN7rocprim17ROCPRIM_400000_NS6detail17trampoline_kernelINS0_14default_configENS1_29reduce_by_key_config_selectorIiiN6thrust23THRUST_200600_302600_NS4plusIiEEEEZZNS1_33reduce_by_key_impl_wrapped_configILNS1_25lookback_scan_determinismE0ES3_S9_NS6_6detail15normal_iteratorINS6_10device_ptrIiEEEESG_SG_SG_PmS8_NS6_8equal_toIiEEEE10hipError_tPvRmT2_T3_mT4_T5_T6_T7_T8_P12ihipStream_tbENKUlT_T0_E_clISt17integral_constantIbLb0EES10_IbLb1EEEEDaSW_SX_EUlSW_E_NS1_11comp_targetILNS1_3genE8ELNS1_11target_archE1030ELNS1_3gpuE2ELNS1_3repE0EEENS1_30default_config_static_selectorELNS0_4arch9wavefront6targetE1EEEvT1_
	.globl	_ZN7rocprim17ROCPRIM_400000_NS6detail17trampoline_kernelINS0_14default_configENS1_29reduce_by_key_config_selectorIiiN6thrust23THRUST_200600_302600_NS4plusIiEEEEZZNS1_33reduce_by_key_impl_wrapped_configILNS1_25lookback_scan_determinismE0ES3_S9_NS6_6detail15normal_iteratorINS6_10device_ptrIiEEEESG_SG_SG_PmS8_NS6_8equal_toIiEEEE10hipError_tPvRmT2_T3_mT4_T5_T6_T7_T8_P12ihipStream_tbENKUlT_T0_E_clISt17integral_constantIbLb0EES10_IbLb1EEEEDaSW_SX_EUlSW_E_NS1_11comp_targetILNS1_3genE8ELNS1_11target_archE1030ELNS1_3gpuE2ELNS1_3repE0EEENS1_30default_config_static_selectorELNS0_4arch9wavefront6targetE1EEEvT1_
	.p2align	8
	.type	_ZN7rocprim17ROCPRIM_400000_NS6detail17trampoline_kernelINS0_14default_configENS1_29reduce_by_key_config_selectorIiiN6thrust23THRUST_200600_302600_NS4plusIiEEEEZZNS1_33reduce_by_key_impl_wrapped_configILNS1_25lookback_scan_determinismE0ES3_S9_NS6_6detail15normal_iteratorINS6_10device_ptrIiEEEESG_SG_SG_PmS8_NS6_8equal_toIiEEEE10hipError_tPvRmT2_T3_mT4_T5_T6_T7_T8_P12ihipStream_tbENKUlT_T0_E_clISt17integral_constantIbLb0EES10_IbLb1EEEEDaSW_SX_EUlSW_E_NS1_11comp_targetILNS1_3genE8ELNS1_11target_archE1030ELNS1_3gpuE2ELNS1_3repE0EEENS1_30default_config_static_selectorELNS0_4arch9wavefront6targetE1EEEvT1_,@function
_ZN7rocprim17ROCPRIM_400000_NS6detail17trampoline_kernelINS0_14default_configENS1_29reduce_by_key_config_selectorIiiN6thrust23THRUST_200600_302600_NS4plusIiEEEEZZNS1_33reduce_by_key_impl_wrapped_configILNS1_25lookback_scan_determinismE0ES3_S9_NS6_6detail15normal_iteratorINS6_10device_ptrIiEEEESG_SG_SG_PmS8_NS6_8equal_toIiEEEE10hipError_tPvRmT2_T3_mT4_T5_T6_T7_T8_P12ihipStream_tbENKUlT_T0_E_clISt17integral_constantIbLb0EES10_IbLb1EEEEDaSW_SX_EUlSW_E_NS1_11comp_targetILNS1_3genE8ELNS1_11target_archE1030ELNS1_3gpuE2ELNS1_3repE0EEENS1_30default_config_static_selectorELNS0_4arch9wavefront6targetE1EEEvT1_: ; @_ZN7rocprim17ROCPRIM_400000_NS6detail17trampoline_kernelINS0_14default_configENS1_29reduce_by_key_config_selectorIiiN6thrust23THRUST_200600_302600_NS4plusIiEEEEZZNS1_33reduce_by_key_impl_wrapped_configILNS1_25lookback_scan_determinismE0ES3_S9_NS6_6detail15normal_iteratorINS6_10device_ptrIiEEEESG_SG_SG_PmS8_NS6_8equal_toIiEEEE10hipError_tPvRmT2_T3_mT4_T5_T6_T7_T8_P12ihipStream_tbENKUlT_T0_E_clISt17integral_constantIbLb0EES10_IbLb1EEEEDaSW_SX_EUlSW_E_NS1_11comp_targetILNS1_3genE8ELNS1_11target_archE1030ELNS1_3gpuE2ELNS1_3repE0EEENS1_30default_config_static_selectorELNS0_4arch9wavefront6targetE1EEEvT1_
; %bb.0:
	.section	.rodata,"a",@progbits
	.p2align	6, 0x0
	.amdhsa_kernel _ZN7rocprim17ROCPRIM_400000_NS6detail17trampoline_kernelINS0_14default_configENS1_29reduce_by_key_config_selectorIiiN6thrust23THRUST_200600_302600_NS4plusIiEEEEZZNS1_33reduce_by_key_impl_wrapped_configILNS1_25lookback_scan_determinismE0ES3_S9_NS6_6detail15normal_iteratorINS6_10device_ptrIiEEEESG_SG_SG_PmS8_NS6_8equal_toIiEEEE10hipError_tPvRmT2_T3_mT4_T5_T6_T7_T8_P12ihipStream_tbENKUlT_T0_E_clISt17integral_constantIbLb0EES10_IbLb1EEEEDaSW_SX_EUlSW_E_NS1_11comp_targetILNS1_3genE8ELNS1_11target_archE1030ELNS1_3gpuE2ELNS1_3repE0EEENS1_30default_config_static_selectorELNS0_4arch9wavefront6targetE1EEEvT1_
		.amdhsa_group_segment_fixed_size 0
		.amdhsa_private_segment_fixed_size 0
		.amdhsa_kernarg_size 120
		.amdhsa_user_sgpr_count 6
		.amdhsa_user_sgpr_private_segment_buffer 1
		.amdhsa_user_sgpr_dispatch_ptr 0
		.amdhsa_user_sgpr_queue_ptr 0
		.amdhsa_user_sgpr_kernarg_segment_ptr 1
		.amdhsa_user_sgpr_dispatch_id 0
		.amdhsa_user_sgpr_flat_scratch_init 0
		.amdhsa_user_sgpr_kernarg_preload_length 0
		.amdhsa_user_sgpr_kernarg_preload_offset 0
		.amdhsa_user_sgpr_private_segment_size 0
		.amdhsa_uses_dynamic_stack 0
		.amdhsa_system_sgpr_private_segment_wavefront_offset 0
		.amdhsa_system_sgpr_workgroup_id_x 1
		.amdhsa_system_sgpr_workgroup_id_y 0
		.amdhsa_system_sgpr_workgroup_id_z 0
		.amdhsa_system_sgpr_workgroup_info 0
		.amdhsa_system_vgpr_workitem_id 0
		.amdhsa_next_free_vgpr 1
		.amdhsa_next_free_sgpr 0
		.amdhsa_accum_offset 4
		.amdhsa_reserve_vcc 0
		.amdhsa_reserve_flat_scratch 0
		.amdhsa_float_round_mode_32 0
		.amdhsa_float_round_mode_16_64 0
		.amdhsa_float_denorm_mode_32 3
		.amdhsa_float_denorm_mode_16_64 3
		.amdhsa_dx10_clamp 1
		.amdhsa_ieee_mode 1
		.amdhsa_fp16_overflow 0
		.amdhsa_tg_split 0
		.amdhsa_exception_fp_ieee_invalid_op 0
		.amdhsa_exception_fp_denorm_src 0
		.amdhsa_exception_fp_ieee_div_zero 0
		.amdhsa_exception_fp_ieee_overflow 0
		.amdhsa_exception_fp_ieee_underflow 0
		.amdhsa_exception_fp_ieee_inexact 0
		.amdhsa_exception_int_div_zero 0
	.end_amdhsa_kernel
	.section	.text._ZN7rocprim17ROCPRIM_400000_NS6detail17trampoline_kernelINS0_14default_configENS1_29reduce_by_key_config_selectorIiiN6thrust23THRUST_200600_302600_NS4plusIiEEEEZZNS1_33reduce_by_key_impl_wrapped_configILNS1_25lookback_scan_determinismE0ES3_S9_NS6_6detail15normal_iteratorINS6_10device_ptrIiEEEESG_SG_SG_PmS8_NS6_8equal_toIiEEEE10hipError_tPvRmT2_T3_mT4_T5_T6_T7_T8_P12ihipStream_tbENKUlT_T0_E_clISt17integral_constantIbLb0EES10_IbLb1EEEEDaSW_SX_EUlSW_E_NS1_11comp_targetILNS1_3genE8ELNS1_11target_archE1030ELNS1_3gpuE2ELNS1_3repE0EEENS1_30default_config_static_selectorELNS0_4arch9wavefront6targetE1EEEvT1_,"axG",@progbits,_ZN7rocprim17ROCPRIM_400000_NS6detail17trampoline_kernelINS0_14default_configENS1_29reduce_by_key_config_selectorIiiN6thrust23THRUST_200600_302600_NS4plusIiEEEEZZNS1_33reduce_by_key_impl_wrapped_configILNS1_25lookback_scan_determinismE0ES3_S9_NS6_6detail15normal_iteratorINS6_10device_ptrIiEEEESG_SG_SG_PmS8_NS6_8equal_toIiEEEE10hipError_tPvRmT2_T3_mT4_T5_T6_T7_T8_P12ihipStream_tbENKUlT_T0_E_clISt17integral_constantIbLb0EES10_IbLb1EEEEDaSW_SX_EUlSW_E_NS1_11comp_targetILNS1_3genE8ELNS1_11target_archE1030ELNS1_3gpuE2ELNS1_3repE0EEENS1_30default_config_static_selectorELNS0_4arch9wavefront6targetE1EEEvT1_,comdat
.Lfunc_end583:
	.size	_ZN7rocprim17ROCPRIM_400000_NS6detail17trampoline_kernelINS0_14default_configENS1_29reduce_by_key_config_selectorIiiN6thrust23THRUST_200600_302600_NS4plusIiEEEEZZNS1_33reduce_by_key_impl_wrapped_configILNS1_25lookback_scan_determinismE0ES3_S9_NS6_6detail15normal_iteratorINS6_10device_ptrIiEEEESG_SG_SG_PmS8_NS6_8equal_toIiEEEE10hipError_tPvRmT2_T3_mT4_T5_T6_T7_T8_P12ihipStream_tbENKUlT_T0_E_clISt17integral_constantIbLb0EES10_IbLb1EEEEDaSW_SX_EUlSW_E_NS1_11comp_targetILNS1_3genE8ELNS1_11target_archE1030ELNS1_3gpuE2ELNS1_3repE0EEENS1_30default_config_static_selectorELNS0_4arch9wavefront6targetE1EEEvT1_, .Lfunc_end583-_ZN7rocprim17ROCPRIM_400000_NS6detail17trampoline_kernelINS0_14default_configENS1_29reduce_by_key_config_selectorIiiN6thrust23THRUST_200600_302600_NS4plusIiEEEEZZNS1_33reduce_by_key_impl_wrapped_configILNS1_25lookback_scan_determinismE0ES3_S9_NS6_6detail15normal_iteratorINS6_10device_ptrIiEEEESG_SG_SG_PmS8_NS6_8equal_toIiEEEE10hipError_tPvRmT2_T3_mT4_T5_T6_T7_T8_P12ihipStream_tbENKUlT_T0_E_clISt17integral_constantIbLb0EES10_IbLb1EEEEDaSW_SX_EUlSW_E_NS1_11comp_targetILNS1_3genE8ELNS1_11target_archE1030ELNS1_3gpuE2ELNS1_3repE0EEENS1_30default_config_static_selectorELNS0_4arch9wavefront6targetE1EEEvT1_
                                        ; -- End function
	.section	.AMDGPU.csdata,"",@progbits
; Kernel info:
; codeLenInByte = 0
; NumSgprs: 4
; NumVgprs: 0
; NumAgprs: 0
; TotalNumVgprs: 0
; ScratchSize: 0
; MemoryBound: 0
; FloatMode: 240
; IeeeMode: 1
; LDSByteSize: 0 bytes/workgroup (compile time only)
; SGPRBlocks: 0
; VGPRBlocks: 0
; NumSGPRsForWavesPerEU: 4
; NumVGPRsForWavesPerEU: 1
; AccumOffset: 4
; Occupancy: 8
; WaveLimiterHint : 0
; COMPUTE_PGM_RSRC2:SCRATCH_EN: 0
; COMPUTE_PGM_RSRC2:USER_SGPR: 6
; COMPUTE_PGM_RSRC2:TRAP_HANDLER: 0
; COMPUTE_PGM_RSRC2:TGID_X_EN: 1
; COMPUTE_PGM_RSRC2:TGID_Y_EN: 0
; COMPUTE_PGM_RSRC2:TGID_Z_EN: 0
; COMPUTE_PGM_RSRC2:TIDIG_COMP_CNT: 0
; COMPUTE_PGM_RSRC3_GFX90A:ACCUM_OFFSET: 0
; COMPUTE_PGM_RSRC3_GFX90A:TG_SPLIT: 0
	.section	.text._ZN7rocprim17ROCPRIM_400000_NS6detail17trampoline_kernelINS0_14default_configENS1_29reduce_by_key_config_selectorIiiN6thrust23THRUST_200600_302600_NS4plusIiEEEEZZNS1_33reduce_by_key_impl_wrapped_configILNS1_25lookback_scan_determinismE0ES3_S9_NS6_6detail15normal_iteratorINS6_10device_ptrIiEEEESG_SG_SG_PmS8_22is_equal_div_10_reduceIiEEE10hipError_tPvRmT2_T3_mT4_T5_T6_T7_T8_P12ihipStream_tbENKUlT_T0_E_clISt17integral_constantIbLb0EES11_EEDaSW_SX_EUlSW_E_NS1_11comp_targetILNS1_3genE0ELNS1_11target_archE4294967295ELNS1_3gpuE0ELNS1_3repE0EEENS1_30default_config_static_selectorELNS0_4arch9wavefront6targetE1EEEvT1_,"axG",@progbits,_ZN7rocprim17ROCPRIM_400000_NS6detail17trampoline_kernelINS0_14default_configENS1_29reduce_by_key_config_selectorIiiN6thrust23THRUST_200600_302600_NS4plusIiEEEEZZNS1_33reduce_by_key_impl_wrapped_configILNS1_25lookback_scan_determinismE0ES3_S9_NS6_6detail15normal_iteratorINS6_10device_ptrIiEEEESG_SG_SG_PmS8_22is_equal_div_10_reduceIiEEE10hipError_tPvRmT2_T3_mT4_T5_T6_T7_T8_P12ihipStream_tbENKUlT_T0_E_clISt17integral_constantIbLb0EES11_EEDaSW_SX_EUlSW_E_NS1_11comp_targetILNS1_3genE0ELNS1_11target_archE4294967295ELNS1_3gpuE0ELNS1_3repE0EEENS1_30default_config_static_selectorELNS0_4arch9wavefront6targetE1EEEvT1_,comdat
	.protected	_ZN7rocprim17ROCPRIM_400000_NS6detail17trampoline_kernelINS0_14default_configENS1_29reduce_by_key_config_selectorIiiN6thrust23THRUST_200600_302600_NS4plusIiEEEEZZNS1_33reduce_by_key_impl_wrapped_configILNS1_25lookback_scan_determinismE0ES3_S9_NS6_6detail15normal_iteratorINS6_10device_ptrIiEEEESG_SG_SG_PmS8_22is_equal_div_10_reduceIiEEE10hipError_tPvRmT2_T3_mT4_T5_T6_T7_T8_P12ihipStream_tbENKUlT_T0_E_clISt17integral_constantIbLb0EES11_EEDaSW_SX_EUlSW_E_NS1_11comp_targetILNS1_3genE0ELNS1_11target_archE4294967295ELNS1_3gpuE0ELNS1_3repE0EEENS1_30default_config_static_selectorELNS0_4arch9wavefront6targetE1EEEvT1_ ; -- Begin function _ZN7rocprim17ROCPRIM_400000_NS6detail17trampoline_kernelINS0_14default_configENS1_29reduce_by_key_config_selectorIiiN6thrust23THRUST_200600_302600_NS4plusIiEEEEZZNS1_33reduce_by_key_impl_wrapped_configILNS1_25lookback_scan_determinismE0ES3_S9_NS6_6detail15normal_iteratorINS6_10device_ptrIiEEEESG_SG_SG_PmS8_22is_equal_div_10_reduceIiEEE10hipError_tPvRmT2_T3_mT4_T5_T6_T7_T8_P12ihipStream_tbENKUlT_T0_E_clISt17integral_constantIbLb0EES11_EEDaSW_SX_EUlSW_E_NS1_11comp_targetILNS1_3genE0ELNS1_11target_archE4294967295ELNS1_3gpuE0ELNS1_3repE0EEENS1_30default_config_static_selectorELNS0_4arch9wavefront6targetE1EEEvT1_
	.globl	_ZN7rocprim17ROCPRIM_400000_NS6detail17trampoline_kernelINS0_14default_configENS1_29reduce_by_key_config_selectorIiiN6thrust23THRUST_200600_302600_NS4plusIiEEEEZZNS1_33reduce_by_key_impl_wrapped_configILNS1_25lookback_scan_determinismE0ES3_S9_NS6_6detail15normal_iteratorINS6_10device_ptrIiEEEESG_SG_SG_PmS8_22is_equal_div_10_reduceIiEEE10hipError_tPvRmT2_T3_mT4_T5_T6_T7_T8_P12ihipStream_tbENKUlT_T0_E_clISt17integral_constantIbLb0EES11_EEDaSW_SX_EUlSW_E_NS1_11comp_targetILNS1_3genE0ELNS1_11target_archE4294967295ELNS1_3gpuE0ELNS1_3repE0EEENS1_30default_config_static_selectorELNS0_4arch9wavefront6targetE1EEEvT1_
	.p2align	8
	.type	_ZN7rocprim17ROCPRIM_400000_NS6detail17trampoline_kernelINS0_14default_configENS1_29reduce_by_key_config_selectorIiiN6thrust23THRUST_200600_302600_NS4plusIiEEEEZZNS1_33reduce_by_key_impl_wrapped_configILNS1_25lookback_scan_determinismE0ES3_S9_NS6_6detail15normal_iteratorINS6_10device_ptrIiEEEESG_SG_SG_PmS8_22is_equal_div_10_reduceIiEEE10hipError_tPvRmT2_T3_mT4_T5_T6_T7_T8_P12ihipStream_tbENKUlT_T0_E_clISt17integral_constantIbLb0EES11_EEDaSW_SX_EUlSW_E_NS1_11comp_targetILNS1_3genE0ELNS1_11target_archE4294967295ELNS1_3gpuE0ELNS1_3repE0EEENS1_30default_config_static_selectorELNS0_4arch9wavefront6targetE1EEEvT1_,@function
_ZN7rocprim17ROCPRIM_400000_NS6detail17trampoline_kernelINS0_14default_configENS1_29reduce_by_key_config_selectorIiiN6thrust23THRUST_200600_302600_NS4plusIiEEEEZZNS1_33reduce_by_key_impl_wrapped_configILNS1_25lookback_scan_determinismE0ES3_S9_NS6_6detail15normal_iteratorINS6_10device_ptrIiEEEESG_SG_SG_PmS8_22is_equal_div_10_reduceIiEEE10hipError_tPvRmT2_T3_mT4_T5_T6_T7_T8_P12ihipStream_tbENKUlT_T0_E_clISt17integral_constantIbLb0EES11_EEDaSW_SX_EUlSW_E_NS1_11comp_targetILNS1_3genE0ELNS1_11target_archE4294967295ELNS1_3gpuE0ELNS1_3repE0EEENS1_30default_config_static_selectorELNS0_4arch9wavefront6targetE1EEEvT1_: ; @_ZN7rocprim17ROCPRIM_400000_NS6detail17trampoline_kernelINS0_14default_configENS1_29reduce_by_key_config_selectorIiiN6thrust23THRUST_200600_302600_NS4plusIiEEEEZZNS1_33reduce_by_key_impl_wrapped_configILNS1_25lookback_scan_determinismE0ES3_S9_NS6_6detail15normal_iteratorINS6_10device_ptrIiEEEESG_SG_SG_PmS8_22is_equal_div_10_reduceIiEEE10hipError_tPvRmT2_T3_mT4_T5_T6_T7_T8_P12ihipStream_tbENKUlT_T0_E_clISt17integral_constantIbLb0EES11_EEDaSW_SX_EUlSW_E_NS1_11comp_targetILNS1_3genE0ELNS1_11target_archE4294967295ELNS1_3gpuE0ELNS1_3repE0EEENS1_30default_config_static_selectorELNS0_4arch9wavefront6targetE1EEEvT1_
; %bb.0:
	.section	.rodata,"a",@progbits
	.p2align	6, 0x0
	.amdhsa_kernel _ZN7rocprim17ROCPRIM_400000_NS6detail17trampoline_kernelINS0_14default_configENS1_29reduce_by_key_config_selectorIiiN6thrust23THRUST_200600_302600_NS4plusIiEEEEZZNS1_33reduce_by_key_impl_wrapped_configILNS1_25lookback_scan_determinismE0ES3_S9_NS6_6detail15normal_iteratorINS6_10device_ptrIiEEEESG_SG_SG_PmS8_22is_equal_div_10_reduceIiEEE10hipError_tPvRmT2_T3_mT4_T5_T6_T7_T8_P12ihipStream_tbENKUlT_T0_E_clISt17integral_constantIbLb0EES11_EEDaSW_SX_EUlSW_E_NS1_11comp_targetILNS1_3genE0ELNS1_11target_archE4294967295ELNS1_3gpuE0ELNS1_3repE0EEENS1_30default_config_static_selectorELNS0_4arch9wavefront6targetE1EEEvT1_
		.amdhsa_group_segment_fixed_size 0
		.amdhsa_private_segment_fixed_size 0
		.amdhsa_kernarg_size 120
		.amdhsa_user_sgpr_count 6
		.amdhsa_user_sgpr_private_segment_buffer 1
		.amdhsa_user_sgpr_dispatch_ptr 0
		.amdhsa_user_sgpr_queue_ptr 0
		.amdhsa_user_sgpr_kernarg_segment_ptr 1
		.amdhsa_user_sgpr_dispatch_id 0
		.amdhsa_user_sgpr_flat_scratch_init 0
		.amdhsa_user_sgpr_kernarg_preload_length 0
		.amdhsa_user_sgpr_kernarg_preload_offset 0
		.amdhsa_user_sgpr_private_segment_size 0
		.amdhsa_uses_dynamic_stack 0
		.amdhsa_system_sgpr_private_segment_wavefront_offset 0
		.amdhsa_system_sgpr_workgroup_id_x 1
		.amdhsa_system_sgpr_workgroup_id_y 0
		.amdhsa_system_sgpr_workgroup_id_z 0
		.amdhsa_system_sgpr_workgroup_info 0
		.amdhsa_system_vgpr_workitem_id 0
		.amdhsa_next_free_vgpr 1
		.amdhsa_next_free_sgpr 0
		.amdhsa_accum_offset 4
		.amdhsa_reserve_vcc 0
		.amdhsa_reserve_flat_scratch 0
		.amdhsa_float_round_mode_32 0
		.amdhsa_float_round_mode_16_64 0
		.amdhsa_float_denorm_mode_32 3
		.amdhsa_float_denorm_mode_16_64 3
		.amdhsa_dx10_clamp 1
		.amdhsa_ieee_mode 1
		.amdhsa_fp16_overflow 0
		.amdhsa_tg_split 0
		.amdhsa_exception_fp_ieee_invalid_op 0
		.amdhsa_exception_fp_denorm_src 0
		.amdhsa_exception_fp_ieee_div_zero 0
		.amdhsa_exception_fp_ieee_overflow 0
		.amdhsa_exception_fp_ieee_underflow 0
		.amdhsa_exception_fp_ieee_inexact 0
		.amdhsa_exception_int_div_zero 0
	.end_amdhsa_kernel
	.section	.text._ZN7rocprim17ROCPRIM_400000_NS6detail17trampoline_kernelINS0_14default_configENS1_29reduce_by_key_config_selectorIiiN6thrust23THRUST_200600_302600_NS4plusIiEEEEZZNS1_33reduce_by_key_impl_wrapped_configILNS1_25lookback_scan_determinismE0ES3_S9_NS6_6detail15normal_iteratorINS6_10device_ptrIiEEEESG_SG_SG_PmS8_22is_equal_div_10_reduceIiEEE10hipError_tPvRmT2_T3_mT4_T5_T6_T7_T8_P12ihipStream_tbENKUlT_T0_E_clISt17integral_constantIbLb0EES11_EEDaSW_SX_EUlSW_E_NS1_11comp_targetILNS1_3genE0ELNS1_11target_archE4294967295ELNS1_3gpuE0ELNS1_3repE0EEENS1_30default_config_static_selectorELNS0_4arch9wavefront6targetE1EEEvT1_,"axG",@progbits,_ZN7rocprim17ROCPRIM_400000_NS6detail17trampoline_kernelINS0_14default_configENS1_29reduce_by_key_config_selectorIiiN6thrust23THRUST_200600_302600_NS4plusIiEEEEZZNS1_33reduce_by_key_impl_wrapped_configILNS1_25lookback_scan_determinismE0ES3_S9_NS6_6detail15normal_iteratorINS6_10device_ptrIiEEEESG_SG_SG_PmS8_22is_equal_div_10_reduceIiEEE10hipError_tPvRmT2_T3_mT4_T5_T6_T7_T8_P12ihipStream_tbENKUlT_T0_E_clISt17integral_constantIbLb0EES11_EEDaSW_SX_EUlSW_E_NS1_11comp_targetILNS1_3genE0ELNS1_11target_archE4294967295ELNS1_3gpuE0ELNS1_3repE0EEENS1_30default_config_static_selectorELNS0_4arch9wavefront6targetE1EEEvT1_,comdat
.Lfunc_end584:
	.size	_ZN7rocprim17ROCPRIM_400000_NS6detail17trampoline_kernelINS0_14default_configENS1_29reduce_by_key_config_selectorIiiN6thrust23THRUST_200600_302600_NS4plusIiEEEEZZNS1_33reduce_by_key_impl_wrapped_configILNS1_25lookback_scan_determinismE0ES3_S9_NS6_6detail15normal_iteratorINS6_10device_ptrIiEEEESG_SG_SG_PmS8_22is_equal_div_10_reduceIiEEE10hipError_tPvRmT2_T3_mT4_T5_T6_T7_T8_P12ihipStream_tbENKUlT_T0_E_clISt17integral_constantIbLb0EES11_EEDaSW_SX_EUlSW_E_NS1_11comp_targetILNS1_3genE0ELNS1_11target_archE4294967295ELNS1_3gpuE0ELNS1_3repE0EEENS1_30default_config_static_selectorELNS0_4arch9wavefront6targetE1EEEvT1_, .Lfunc_end584-_ZN7rocprim17ROCPRIM_400000_NS6detail17trampoline_kernelINS0_14default_configENS1_29reduce_by_key_config_selectorIiiN6thrust23THRUST_200600_302600_NS4plusIiEEEEZZNS1_33reduce_by_key_impl_wrapped_configILNS1_25lookback_scan_determinismE0ES3_S9_NS6_6detail15normal_iteratorINS6_10device_ptrIiEEEESG_SG_SG_PmS8_22is_equal_div_10_reduceIiEEE10hipError_tPvRmT2_T3_mT4_T5_T6_T7_T8_P12ihipStream_tbENKUlT_T0_E_clISt17integral_constantIbLb0EES11_EEDaSW_SX_EUlSW_E_NS1_11comp_targetILNS1_3genE0ELNS1_11target_archE4294967295ELNS1_3gpuE0ELNS1_3repE0EEENS1_30default_config_static_selectorELNS0_4arch9wavefront6targetE1EEEvT1_
                                        ; -- End function
	.section	.AMDGPU.csdata,"",@progbits
; Kernel info:
; codeLenInByte = 0
; NumSgprs: 4
; NumVgprs: 0
; NumAgprs: 0
; TotalNumVgprs: 0
; ScratchSize: 0
; MemoryBound: 0
; FloatMode: 240
; IeeeMode: 1
; LDSByteSize: 0 bytes/workgroup (compile time only)
; SGPRBlocks: 0
; VGPRBlocks: 0
; NumSGPRsForWavesPerEU: 4
; NumVGPRsForWavesPerEU: 1
; AccumOffset: 4
; Occupancy: 8
; WaveLimiterHint : 0
; COMPUTE_PGM_RSRC2:SCRATCH_EN: 0
; COMPUTE_PGM_RSRC2:USER_SGPR: 6
; COMPUTE_PGM_RSRC2:TRAP_HANDLER: 0
; COMPUTE_PGM_RSRC2:TGID_X_EN: 1
; COMPUTE_PGM_RSRC2:TGID_Y_EN: 0
; COMPUTE_PGM_RSRC2:TGID_Z_EN: 0
; COMPUTE_PGM_RSRC2:TIDIG_COMP_CNT: 0
; COMPUTE_PGM_RSRC3_GFX90A:ACCUM_OFFSET: 0
; COMPUTE_PGM_RSRC3_GFX90A:TG_SPLIT: 0
	.section	.text._ZN7rocprim17ROCPRIM_400000_NS6detail17trampoline_kernelINS0_14default_configENS1_29reduce_by_key_config_selectorIiiN6thrust23THRUST_200600_302600_NS4plusIiEEEEZZNS1_33reduce_by_key_impl_wrapped_configILNS1_25lookback_scan_determinismE0ES3_S9_NS6_6detail15normal_iteratorINS6_10device_ptrIiEEEESG_SG_SG_PmS8_22is_equal_div_10_reduceIiEEE10hipError_tPvRmT2_T3_mT4_T5_T6_T7_T8_P12ihipStream_tbENKUlT_T0_E_clISt17integral_constantIbLb0EES11_EEDaSW_SX_EUlSW_E_NS1_11comp_targetILNS1_3genE5ELNS1_11target_archE942ELNS1_3gpuE9ELNS1_3repE0EEENS1_30default_config_static_selectorELNS0_4arch9wavefront6targetE1EEEvT1_,"axG",@progbits,_ZN7rocprim17ROCPRIM_400000_NS6detail17trampoline_kernelINS0_14default_configENS1_29reduce_by_key_config_selectorIiiN6thrust23THRUST_200600_302600_NS4plusIiEEEEZZNS1_33reduce_by_key_impl_wrapped_configILNS1_25lookback_scan_determinismE0ES3_S9_NS6_6detail15normal_iteratorINS6_10device_ptrIiEEEESG_SG_SG_PmS8_22is_equal_div_10_reduceIiEEE10hipError_tPvRmT2_T3_mT4_T5_T6_T7_T8_P12ihipStream_tbENKUlT_T0_E_clISt17integral_constantIbLb0EES11_EEDaSW_SX_EUlSW_E_NS1_11comp_targetILNS1_3genE5ELNS1_11target_archE942ELNS1_3gpuE9ELNS1_3repE0EEENS1_30default_config_static_selectorELNS0_4arch9wavefront6targetE1EEEvT1_,comdat
	.protected	_ZN7rocprim17ROCPRIM_400000_NS6detail17trampoline_kernelINS0_14default_configENS1_29reduce_by_key_config_selectorIiiN6thrust23THRUST_200600_302600_NS4plusIiEEEEZZNS1_33reduce_by_key_impl_wrapped_configILNS1_25lookback_scan_determinismE0ES3_S9_NS6_6detail15normal_iteratorINS6_10device_ptrIiEEEESG_SG_SG_PmS8_22is_equal_div_10_reduceIiEEE10hipError_tPvRmT2_T3_mT4_T5_T6_T7_T8_P12ihipStream_tbENKUlT_T0_E_clISt17integral_constantIbLb0EES11_EEDaSW_SX_EUlSW_E_NS1_11comp_targetILNS1_3genE5ELNS1_11target_archE942ELNS1_3gpuE9ELNS1_3repE0EEENS1_30default_config_static_selectorELNS0_4arch9wavefront6targetE1EEEvT1_ ; -- Begin function _ZN7rocprim17ROCPRIM_400000_NS6detail17trampoline_kernelINS0_14default_configENS1_29reduce_by_key_config_selectorIiiN6thrust23THRUST_200600_302600_NS4plusIiEEEEZZNS1_33reduce_by_key_impl_wrapped_configILNS1_25lookback_scan_determinismE0ES3_S9_NS6_6detail15normal_iteratorINS6_10device_ptrIiEEEESG_SG_SG_PmS8_22is_equal_div_10_reduceIiEEE10hipError_tPvRmT2_T3_mT4_T5_T6_T7_T8_P12ihipStream_tbENKUlT_T0_E_clISt17integral_constantIbLb0EES11_EEDaSW_SX_EUlSW_E_NS1_11comp_targetILNS1_3genE5ELNS1_11target_archE942ELNS1_3gpuE9ELNS1_3repE0EEENS1_30default_config_static_selectorELNS0_4arch9wavefront6targetE1EEEvT1_
	.globl	_ZN7rocprim17ROCPRIM_400000_NS6detail17trampoline_kernelINS0_14default_configENS1_29reduce_by_key_config_selectorIiiN6thrust23THRUST_200600_302600_NS4plusIiEEEEZZNS1_33reduce_by_key_impl_wrapped_configILNS1_25lookback_scan_determinismE0ES3_S9_NS6_6detail15normal_iteratorINS6_10device_ptrIiEEEESG_SG_SG_PmS8_22is_equal_div_10_reduceIiEEE10hipError_tPvRmT2_T3_mT4_T5_T6_T7_T8_P12ihipStream_tbENKUlT_T0_E_clISt17integral_constantIbLb0EES11_EEDaSW_SX_EUlSW_E_NS1_11comp_targetILNS1_3genE5ELNS1_11target_archE942ELNS1_3gpuE9ELNS1_3repE0EEENS1_30default_config_static_selectorELNS0_4arch9wavefront6targetE1EEEvT1_
	.p2align	8
	.type	_ZN7rocprim17ROCPRIM_400000_NS6detail17trampoline_kernelINS0_14default_configENS1_29reduce_by_key_config_selectorIiiN6thrust23THRUST_200600_302600_NS4plusIiEEEEZZNS1_33reduce_by_key_impl_wrapped_configILNS1_25lookback_scan_determinismE0ES3_S9_NS6_6detail15normal_iteratorINS6_10device_ptrIiEEEESG_SG_SG_PmS8_22is_equal_div_10_reduceIiEEE10hipError_tPvRmT2_T3_mT4_T5_T6_T7_T8_P12ihipStream_tbENKUlT_T0_E_clISt17integral_constantIbLb0EES11_EEDaSW_SX_EUlSW_E_NS1_11comp_targetILNS1_3genE5ELNS1_11target_archE942ELNS1_3gpuE9ELNS1_3repE0EEENS1_30default_config_static_selectorELNS0_4arch9wavefront6targetE1EEEvT1_,@function
_ZN7rocprim17ROCPRIM_400000_NS6detail17trampoline_kernelINS0_14default_configENS1_29reduce_by_key_config_selectorIiiN6thrust23THRUST_200600_302600_NS4plusIiEEEEZZNS1_33reduce_by_key_impl_wrapped_configILNS1_25lookback_scan_determinismE0ES3_S9_NS6_6detail15normal_iteratorINS6_10device_ptrIiEEEESG_SG_SG_PmS8_22is_equal_div_10_reduceIiEEE10hipError_tPvRmT2_T3_mT4_T5_T6_T7_T8_P12ihipStream_tbENKUlT_T0_E_clISt17integral_constantIbLb0EES11_EEDaSW_SX_EUlSW_E_NS1_11comp_targetILNS1_3genE5ELNS1_11target_archE942ELNS1_3gpuE9ELNS1_3repE0EEENS1_30default_config_static_selectorELNS0_4arch9wavefront6targetE1EEEvT1_: ; @_ZN7rocprim17ROCPRIM_400000_NS6detail17trampoline_kernelINS0_14default_configENS1_29reduce_by_key_config_selectorIiiN6thrust23THRUST_200600_302600_NS4plusIiEEEEZZNS1_33reduce_by_key_impl_wrapped_configILNS1_25lookback_scan_determinismE0ES3_S9_NS6_6detail15normal_iteratorINS6_10device_ptrIiEEEESG_SG_SG_PmS8_22is_equal_div_10_reduceIiEEE10hipError_tPvRmT2_T3_mT4_T5_T6_T7_T8_P12ihipStream_tbENKUlT_T0_E_clISt17integral_constantIbLb0EES11_EEDaSW_SX_EUlSW_E_NS1_11comp_targetILNS1_3genE5ELNS1_11target_archE942ELNS1_3gpuE9ELNS1_3repE0EEENS1_30default_config_static_selectorELNS0_4arch9wavefront6targetE1EEEvT1_
; %bb.0:
	.section	.rodata,"a",@progbits
	.p2align	6, 0x0
	.amdhsa_kernel _ZN7rocprim17ROCPRIM_400000_NS6detail17trampoline_kernelINS0_14default_configENS1_29reduce_by_key_config_selectorIiiN6thrust23THRUST_200600_302600_NS4plusIiEEEEZZNS1_33reduce_by_key_impl_wrapped_configILNS1_25lookback_scan_determinismE0ES3_S9_NS6_6detail15normal_iteratorINS6_10device_ptrIiEEEESG_SG_SG_PmS8_22is_equal_div_10_reduceIiEEE10hipError_tPvRmT2_T3_mT4_T5_T6_T7_T8_P12ihipStream_tbENKUlT_T0_E_clISt17integral_constantIbLb0EES11_EEDaSW_SX_EUlSW_E_NS1_11comp_targetILNS1_3genE5ELNS1_11target_archE942ELNS1_3gpuE9ELNS1_3repE0EEENS1_30default_config_static_selectorELNS0_4arch9wavefront6targetE1EEEvT1_
		.amdhsa_group_segment_fixed_size 0
		.amdhsa_private_segment_fixed_size 0
		.amdhsa_kernarg_size 120
		.amdhsa_user_sgpr_count 6
		.amdhsa_user_sgpr_private_segment_buffer 1
		.amdhsa_user_sgpr_dispatch_ptr 0
		.amdhsa_user_sgpr_queue_ptr 0
		.amdhsa_user_sgpr_kernarg_segment_ptr 1
		.amdhsa_user_sgpr_dispatch_id 0
		.amdhsa_user_sgpr_flat_scratch_init 0
		.amdhsa_user_sgpr_kernarg_preload_length 0
		.amdhsa_user_sgpr_kernarg_preload_offset 0
		.amdhsa_user_sgpr_private_segment_size 0
		.amdhsa_uses_dynamic_stack 0
		.amdhsa_system_sgpr_private_segment_wavefront_offset 0
		.amdhsa_system_sgpr_workgroup_id_x 1
		.amdhsa_system_sgpr_workgroup_id_y 0
		.amdhsa_system_sgpr_workgroup_id_z 0
		.amdhsa_system_sgpr_workgroup_info 0
		.amdhsa_system_vgpr_workitem_id 0
		.amdhsa_next_free_vgpr 1
		.amdhsa_next_free_sgpr 0
		.amdhsa_accum_offset 4
		.amdhsa_reserve_vcc 0
		.amdhsa_reserve_flat_scratch 0
		.amdhsa_float_round_mode_32 0
		.amdhsa_float_round_mode_16_64 0
		.amdhsa_float_denorm_mode_32 3
		.amdhsa_float_denorm_mode_16_64 3
		.amdhsa_dx10_clamp 1
		.amdhsa_ieee_mode 1
		.amdhsa_fp16_overflow 0
		.amdhsa_tg_split 0
		.amdhsa_exception_fp_ieee_invalid_op 0
		.amdhsa_exception_fp_denorm_src 0
		.amdhsa_exception_fp_ieee_div_zero 0
		.amdhsa_exception_fp_ieee_overflow 0
		.amdhsa_exception_fp_ieee_underflow 0
		.amdhsa_exception_fp_ieee_inexact 0
		.amdhsa_exception_int_div_zero 0
	.end_amdhsa_kernel
	.section	.text._ZN7rocprim17ROCPRIM_400000_NS6detail17trampoline_kernelINS0_14default_configENS1_29reduce_by_key_config_selectorIiiN6thrust23THRUST_200600_302600_NS4plusIiEEEEZZNS1_33reduce_by_key_impl_wrapped_configILNS1_25lookback_scan_determinismE0ES3_S9_NS6_6detail15normal_iteratorINS6_10device_ptrIiEEEESG_SG_SG_PmS8_22is_equal_div_10_reduceIiEEE10hipError_tPvRmT2_T3_mT4_T5_T6_T7_T8_P12ihipStream_tbENKUlT_T0_E_clISt17integral_constantIbLb0EES11_EEDaSW_SX_EUlSW_E_NS1_11comp_targetILNS1_3genE5ELNS1_11target_archE942ELNS1_3gpuE9ELNS1_3repE0EEENS1_30default_config_static_selectorELNS0_4arch9wavefront6targetE1EEEvT1_,"axG",@progbits,_ZN7rocprim17ROCPRIM_400000_NS6detail17trampoline_kernelINS0_14default_configENS1_29reduce_by_key_config_selectorIiiN6thrust23THRUST_200600_302600_NS4plusIiEEEEZZNS1_33reduce_by_key_impl_wrapped_configILNS1_25lookback_scan_determinismE0ES3_S9_NS6_6detail15normal_iteratorINS6_10device_ptrIiEEEESG_SG_SG_PmS8_22is_equal_div_10_reduceIiEEE10hipError_tPvRmT2_T3_mT4_T5_T6_T7_T8_P12ihipStream_tbENKUlT_T0_E_clISt17integral_constantIbLb0EES11_EEDaSW_SX_EUlSW_E_NS1_11comp_targetILNS1_3genE5ELNS1_11target_archE942ELNS1_3gpuE9ELNS1_3repE0EEENS1_30default_config_static_selectorELNS0_4arch9wavefront6targetE1EEEvT1_,comdat
.Lfunc_end585:
	.size	_ZN7rocprim17ROCPRIM_400000_NS6detail17trampoline_kernelINS0_14default_configENS1_29reduce_by_key_config_selectorIiiN6thrust23THRUST_200600_302600_NS4plusIiEEEEZZNS1_33reduce_by_key_impl_wrapped_configILNS1_25lookback_scan_determinismE0ES3_S9_NS6_6detail15normal_iteratorINS6_10device_ptrIiEEEESG_SG_SG_PmS8_22is_equal_div_10_reduceIiEEE10hipError_tPvRmT2_T3_mT4_T5_T6_T7_T8_P12ihipStream_tbENKUlT_T0_E_clISt17integral_constantIbLb0EES11_EEDaSW_SX_EUlSW_E_NS1_11comp_targetILNS1_3genE5ELNS1_11target_archE942ELNS1_3gpuE9ELNS1_3repE0EEENS1_30default_config_static_selectorELNS0_4arch9wavefront6targetE1EEEvT1_, .Lfunc_end585-_ZN7rocprim17ROCPRIM_400000_NS6detail17trampoline_kernelINS0_14default_configENS1_29reduce_by_key_config_selectorIiiN6thrust23THRUST_200600_302600_NS4plusIiEEEEZZNS1_33reduce_by_key_impl_wrapped_configILNS1_25lookback_scan_determinismE0ES3_S9_NS6_6detail15normal_iteratorINS6_10device_ptrIiEEEESG_SG_SG_PmS8_22is_equal_div_10_reduceIiEEE10hipError_tPvRmT2_T3_mT4_T5_T6_T7_T8_P12ihipStream_tbENKUlT_T0_E_clISt17integral_constantIbLb0EES11_EEDaSW_SX_EUlSW_E_NS1_11comp_targetILNS1_3genE5ELNS1_11target_archE942ELNS1_3gpuE9ELNS1_3repE0EEENS1_30default_config_static_selectorELNS0_4arch9wavefront6targetE1EEEvT1_
                                        ; -- End function
	.section	.AMDGPU.csdata,"",@progbits
; Kernel info:
; codeLenInByte = 0
; NumSgprs: 4
; NumVgprs: 0
; NumAgprs: 0
; TotalNumVgprs: 0
; ScratchSize: 0
; MemoryBound: 0
; FloatMode: 240
; IeeeMode: 1
; LDSByteSize: 0 bytes/workgroup (compile time only)
; SGPRBlocks: 0
; VGPRBlocks: 0
; NumSGPRsForWavesPerEU: 4
; NumVGPRsForWavesPerEU: 1
; AccumOffset: 4
; Occupancy: 8
; WaveLimiterHint : 0
; COMPUTE_PGM_RSRC2:SCRATCH_EN: 0
; COMPUTE_PGM_RSRC2:USER_SGPR: 6
; COMPUTE_PGM_RSRC2:TRAP_HANDLER: 0
; COMPUTE_PGM_RSRC2:TGID_X_EN: 1
; COMPUTE_PGM_RSRC2:TGID_Y_EN: 0
; COMPUTE_PGM_RSRC2:TGID_Z_EN: 0
; COMPUTE_PGM_RSRC2:TIDIG_COMP_CNT: 0
; COMPUTE_PGM_RSRC3_GFX90A:ACCUM_OFFSET: 0
; COMPUTE_PGM_RSRC3_GFX90A:TG_SPLIT: 0
	.section	.text._ZN7rocprim17ROCPRIM_400000_NS6detail17trampoline_kernelINS0_14default_configENS1_29reduce_by_key_config_selectorIiiN6thrust23THRUST_200600_302600_NS4plusIiEEEEZZNS1_33reduce_by_key_impl_wrapped_configILNS1_25lookback_scan_determinismE0ES3_S9_NS6_6detail15normal_iteratorINS6_10device_ptrIiEEEESG_SG_SG_PmS8_22is_equal_div_10_reduceIiEEE10hipError_tPvRmT2_T3_mT4_T5_T6_T7_T8_P12ihipStream_tbENKUlT_T0_E_clISt17integral_constantIbLb0EES11_EEDaSW_SX_EUlSW_E_NS1_11comp_targetILNS1_3genE4ELNS1_11target_archE910ELNS1_3gpuE8ELNS1_3repE0EEENS1_30default_config_static_selectorELNS0_4arch9wavefront6targetE1EEEvT1_,"axG",@progbits,_ZN7rocprim17ROCPRIM_400000_NS6detail17trampoline_kernelINS0_14default_configENS1_29reduce_by_key_config_selectorIiiN6thrust23THRUST_200600_302600_NS4plusIiEEEEZZNS1_33reduce_by_key_impl_wrapped_configILNS1_25lookback_scan_determinismE0ES3_S9_NS6_6detail15normal_iteratorINS6_10device_ptrIiEEEESG_SG_SG_PmS8_22is_equal_div_10_reduceIiEEE10hipError_tPvRmT2_T3_mT4_T5_T6_T7_T8_P12ihipStream_tbENKUlT_T0_E_clISt17integral_constantIbLb0EES11_EEDaSW_SX_EUlSW_E_NS1_11comp_targetILNS1_3genE4ELNS1_11target_archE910ELNS1_3gpuE8ELNS1_3repE0EEENS1_30default_config_static_selectorELNS0_4arch9wavefront6targetE1EEEvT1_,comdat
	.protected	_ZN7rocprim17ROCPRIM_400000_NS6detail17trampoline_kernelINS0_14default_configENS1_29reduce_by_key_config_selectorIiiN6thrust23THRUST_200600_302600_NS4plusIiEEEEZZNS1_33reduce_by_key_impl_wrapped_configILNS1_25lookback_scan_determinismE0ES3_S9_NS6_6detail15normal_iteratorINS6_10device_ptrIiEEEESG_SG_SG_PmS8_22is_equal_div_10_reduceIiEEE10hipError_tPvRmT2_T3_mT4_T5_T6_T7_T8_P12ihipStream_tbENKUlT_T0_E_clISt17integral_constantIbLb0EES11_EEDaSW_SX_EUlSW_E_NS1_11comp_targetILNS1_3genE4ELNS1_11target_archE910ELNS1_3gpuE8ELNS1_3repE0EEENS1_30default_config_static_selectorELNS0_4arch9wavefront6targetE1EEEvT1_ ; -- Begin function _ZN7rocprim17ROCPRIM_400000_NS6detail17trampoline_kernelINS0_14default_configENS1_29reduce_by_key_config_selectorIiiN6thrust23THRUST_200600_302600_NS4plusIiEEEEZZNS1_33reduce_by_key_impl_wrapped_configILNS1_25lookback_scan_determinismE0ES3_S9_NS6_6detail15normal_iteratorINS6_10device_ptrIiEEEESG_SG_SG_PmS8_22is_equal_div_10_reduceIiEEE10hipError_tPvRmT2_T3_mT4_T5_T6_T7_T8_P12ihipStream_tbENKUlT_T0_E_clISt17integral_constantIbLb0EES11_EEDaSW_SX_EUlSW_E_NS1_11comp_targetILNS1_3genE4ELNS1_11target_archE910ELNS1_3gpuE8ELNS1_3repE0EEENS1_30default_config_static_selectorELNS0_4arch9wavefront6targetE1EEEvT1_
	.globl	_ZN7rocprim17ROCPRIM_400000_NS6detail17trampoline_kernelINS0_14default_configENS1_29reduce_by_key_config_selectorIiiN6thrust23THRUST_200600_302600_NS4plusIiEEEEZZNS1_33reduce_by_key_impl_wrapped_configILNS1_25lookback_scan_determinismE0ES3_S9_NS6_6detail15normal_iteratorINS6_10device_ptrIiEEEESG_SG_SG_PmS8_22is_equal_div_10_reduceIiEEE10hipError_tPvRmT2_T3_mT4_T5_T6_T7_T8_P12ihipStream_tbENKUlT_T0_E_clISt17integral_constantIbLb0EES11_EEDaSW_SX_EUlSW_E_NS1_11comp_targetILNS1_3genE4ELNS1_11target_archE910ELNS1_3gpuE8ELNS1_3repE0EEENS1_30default_config_static_selectorELNS0_4arch9wavefront6targetE1EEEvT1_
	.p2align	8
	.type	_ZN7rocprim17ROCPRIM_400000_NS6detail17trampoline_kernelINS0_14default_configENS1_29reduce_by_key_config_selectorIiiN6thrust23THRUST_200600_302600_NS4plusIiEEEEZZNS1_33reduce_by_key_impl_wrapped_configILNS1_25lookback_scan_determinismE0ES3_S9_NS6_6detail15normal_iteratorINS6_10device_ptrIiEEEESG_SG_SG_PmS8_22is_equal_div_10_reduceIiEEE10hipError_tPvRmT2_T3_mT4_T5_T6_T7_T8_P12ihipStream_tbENKUlT_T0_E_clISt17integral_constantIbLb0EES11_EEDaSW_SX_EUlSW_E_NS1_11comp_targetILNS1_3genE4ELNS1_11target_archE910ELNS1_3gpuE8ELNS1_3repE0EEENS1_30default_config_static_selectorELNS0_4arch9wavefront6targetE1EEEvT1_,@function
_ZN7rocprim17ROCPRIM_400000_NS6detail17trampoline_kernelINS0_14default_configENS1_29reduce_by_key_config_selectorIiiN6thrust23THRUST_200600_302600_NS4plusIiEEEEZZNS1_33reduce_by_key_impl_wrapped_configILNS1_25lookback_scan_determinismE0ES3_S9_NS6_6detail15normal_iteratorINS6_10device_ptrIiEEEESG_SG_SG_PmS8_22is_equal_div_10_reduceIiEEE10hipError_tPvRmT2_T3_mT4_T5_T6_T7_T8_P12ihipStream_tbENKUlT_T0_E_clISt17integral_constantIbLb0EES11_EEDaSW_SX_EUlSW_E_NS1_11comp_targetILNS1_3genE4ELNS1_11target_archE910ELNS1_3gpuE8ELNS1_3repE0EEENS1_30default_config_static_selectorELNS0_4arch9wavefront6targetE1EEEvT1_: ; @_ZN7rocprim17ROCPRIM_400000_NS6detail17trampoline_kernelINS0_14default_configENS1_29reduce_by_key_config_selectorIiiN6thrust23THRUST_200600_302600_NS4plusIiEEEEZZNS1_33reduce_by_key_impl_wrapped_configILNS1_25lookback_scan_determinismE0ES3_S9_NS6_6detail15normal_iteratorINS6_10device_ptrIiEEEESG_SG_SG_PmS8_22is_equal_div_10_reduceIiEEE10hipError_tPvRmT2_T3_mT4_T5_T6_T7_T8_P12ihipStream_tbENKUlT_T0_E_clISt17integral_constantIbLb0EES11_EEDaSW_SX_EUlSW_E_NS1_11comp_targetILNS1_3genE4ELNS1_11target_archE910ELNS1_3gpuE8ELNS1_3repE0EEENS1_30default_config_static_selectorELNS0_4arch9wavefront6targetE1EEEvT1_
; %bb.0:
	s_load_dwordx8 s[36:43], s[4:5], 0x0
	s_load_dwordx4 s[52:55], s[4:5], 0x20
	s_load_dwordx8 s[44:51], s[4:5], 0x38
	s_load_dwordx2 s[60:61], s[4:5], 0x68
	s_load_dwordx4 s[56:59], s[4:5], 0x58
	s_waitcnt lgkmcnt(0)
	s_lshl_b64 s[0:1], s[38:39], 2
	s_add_u32 s2, s36, s0
	s_addc_u32 s3, s37, s1
	s_add_u32 s4, s40, s0
	s_addc_u32 s5, s41, s1
	s_mul_i32 s0, s48, s47
	s_mul_hi_u32 s1, s48, s46
	s_add_i32 s0, s1, s0
	s_mul_i32 s1, s49, s46
	s_add_i32 s8, s0, s1
	s_mul_i32 s0, s6, 0xf00
	s_mov_b32 s1, 0
	s_lshl_b64 s[0:1], s[0:1], 2
	s_add_u32 s7, s2, s0
	s_mul_i32 s9, s48, s46
	s_addc_u32 s48, s3, s1
	s_add_u32 s49, s4, s0
	s_addc_u32 s62, s5, s1
	s_add_u32 s38, s9, s6
	s_addc_u32 s39, s8, 0
	s_add_u32 s2, s50, -1
	s_addc_u32 s3, s51, -1
	s_cmp_eq_u64 s[38:39], s[2:3]
	s_cselect_b64 s[34:35], -1, 0
	s_cmp_lg_u64 s[38:39], s[2:3]
	s_mov_b64 s[0:1], -1
	s_cselect_b64 s[40:41], -1, 0
	s_mul_i32 s33, s2, 0xfffff100
	s_and_b64 vcc, exec, s[34:35]
	v_mul_u32_u24_e32 v2, 15, v0
	s_cbranch_vccnz .LBB586_2
; %bb.1:
	v_lshlrev_b32_e32 v26, 2, v0
	v_mov_b32_e32 v1, s48
	v_add_co_u32_e32 v4, vcc, s7, v26
	v_addc_co_u32_e32 v5, vcc, 0, v1, vcc
	v_add_co_u32_e32 v6, vcc, 0x1000, v4
	v_addc_co_u32_e32 v7, vcc, 0, v5, vcc
	flat_load_dword v1, v[4:5]
	flat_load_dword v8, v[4:5] offset:1024
	flat_load_dword v9, v[4:5] offset:2048
	;; [unrolled: 1-line block ×3, first 2 shown]
	flat_load_dword v11, v[6:7]
	flat_load_dword v12, v[6:7] offset:1024
	flat_load_dword v13, v[6:7] offset:2048
	;; [unrolled: 1-line block ×3, first 2 shown]
	v_add_co_u32_e32 v6, vcc, 0x2000, v4
	v_addc_co_u32_e32 v7, vcc, 0, v5, vcc
	v_add_co_u32_e32 v4, vcc, 0x3000, v4
	v_addc_co_u32_e32 v5, vcc, 0, v5, vcc
	flat_load_dword v15, v[6:7]
	flat_load_dword v16, v[6:7] offset:1024
	flat_load_dword v17, v[6:7] offset:2048
	;; [unrolled: 1-line block ×3, first 2 shown]
	flat_load_dword v19, v[4:5]
	flat_load_dword v20, v[4:5] offset:1024
	flat_load_dword v21, v[4:5] offset:2048
	v_mov_b32_e32 v5, s62
	v_add_co_u32_e32 v4, vcc, s49, v26
	s_movk_i32 s0, 0x1000
	v_addc_co_u32_e32 v5, vcc, 0, v5, vcc
	v_add_co_u32_e32 v6, vcc, s0, v4
	s_movk_i32 s1, 0x2000
	v_addc_co_u32_e32 v7, vcc, 0, v5, vcc
	v_add_co_u32_e32 v22, vcc, s1, v4
	s_movk_i32 s2, 0x3000
	v_addc_co_u32_e32 v23, vcc, 0, v5, vcc
	v_mad_u32_u24 v3, v0, 56, v26
	v_add_co_u32_e32 v24, vcc, s2, v4
	v_addc_co_u32_e32 v25, vcc, 0, v5, vcc
	s_waitcnt vmcnt(0) lgkmcnt(0)
	ds_write2st64_b32 v26, v1, v8 offset1:4
	ds_write2st64_b32 v26, v9, v10 offset0:8 offset1:12
	ds_write2st64_b32 v26, v11, v12 offset0:16 offset1:20
	;; [unrolled: 1-line block ×6, first 2 shown]
	ds_write_b32 v26, v21 offset:14336
	s_waitcnt lgkmcnt(0)
	s_barrier
	ds_read2_b32 v[20:21], v3 offset1:1
	ds_read2_b32 v[18:19], v3 offset0:2 offset1:3
	ds_read2_b32 v[16:17], v3 offset0:4 offset1:5
	;; [unrolled: 1-line block ×6, first 2 shown]
	ds_read_b32 v1, v3 offset:56
	s_waitcnt lgkmcnt(0)
	s_barrier
	flat_load_dword v27, v[4:5]
	flat_load_dword v28, v[4:5] offset:1024
	flat_load_dword v29, v[4:5] offset:2048
	flat_load_dword v30, v[4:5] offset:3072
	flat_load_dword v31, v[6:7]
	flat_load_dword v32, v[6:7] offset:1024
	flat_load_dword v33, v[6:7] offset:2048
	flat_load_dword v34, v[6:7] offset:3072
	;; [unrolled: 4-line block ×3, first 2 shown]
	flat_load_dword v39, v[24:25]
	flat_load_dword v40, v[24:25] offset:1024
	flat_load_dword v41, v[24:25] offset:2048
	v_mul_u32_u24_e32 v4, 15, v0
	s_waitcnt vmcnt(0) lgkmcnt(0)
	ds_write2st64_b32 v26, v27, v28 offset1:4
	ds_write2st64_b32 v26, v29, v30 offset0:8 offset1:12
	ds_write2st64_b32 v26, v31, v32 offset0:16 offset1:20
	;; [unrolled: 1-line block ×6, first 2 shown]
	ds_write_b32 v26, v41 offset:14336
	s_waitcnt lgkmcnt(0)
	s_barrier
	s_add_i32 s33, s33, s56
	s_cbranch_execz .LBB586_3
	s_branch .LBB586_50
.LBB586_2:
                                        ; implicit-def: $vgpr8_vgpr9
                                        ; implicit-def: $vgpr10_vgpr11
                                        ; implicit-def: $vgpr12_vgpr13
                                        ; implicit-def: $vgpr14_vgpr15
                                        ; implicit-def: $vgpr16_vgpr17
                                        ; implicit-def: $vgpr18_vgpr19
                                        ; implicit-def: $vgpr20_vgpr21
                                        ; implicit-def: $vgpr4
                                        ; implicit-def: $vgpr3
                                        ; implicit-def: $vgpr1
	s_andn2_b64 vcc, exec, s[0:1]
	s_add_i32 s33, s33, s56
	s_cbranch_vccnz .LBB586_50
.LBB586_3:
	v_cmp_gt_u32_e32 vcc, s33, v0
                                        ; implicit-def: $vgpr1
	s_and_saveexec_b64 s[2:3], vcc
	s_cbranch_execz .LBB586_5
; %bb.4:
	v_lshlrev_b32_e32 v1, 2, v0
	v_mov_b32_e32 v3, s48
	v_add_co_u32_e64 v4, s[0:1], s7, v1
	v_addc_co_u32_e64 v5, s[0:1], 0, v3, s[0:1]
	flat_load_dword v1, v[4:5]
.LBB586_5:
	s_or_b64 exec, exec, s[2:3]
	v_or_b32_e32 v3, 0x100, v0
	v_cmp_gt_u32_e64 s[0:1], s33, v3
                                        ; implicit-def: $vgpr3
	s_and_saveexec_b64 s[4:5], s[0:1]
	s_cbranch_execz .LBB586_7
; %bb.6:
	v_lshlrev_b32_e32 v3, 2, v0
	v_mov_b32_e32 v5, s48
	v_add_co_u32_e64 v4, s[2:3], s7, v3
	v_addc_co_u32_e64 v5, s[2:3], 0, v5, s[2:3]
	flat_load_dword v3, v[4:5] offset:1024
.LBB586_7:
	s_or_b64 exec, exec, s[4:5]
	v_or_b32_e32 v4, 0x200, v0
	v_cmp_gt_u32_e64 s[2:3], s33, v4
                                        ; implicit-def: $vgpr8
	s_and_saveexec_b64 s[8:9], s[2:3]
	s_cbranch_execz .LBB586_9
; %bb.8:
	v_lshlrev_b32_e32 v4, 2, v0
	v_mov_b32_e32 v5, s48
	v_add_co_u32_e64 v4, s[4:5], s7, v4
	v_addc_co_u32_e64 v5, s[4:5], 0, v5, s[4:5]
	flat_load_dword v8, v[4:5] offset:2048
.LBB586_9:
	s_or_b64 exec, exec, s[8:9]
	v_or_b32_e32 v4, 0x300, v0
	v_cmp_gt_u32_e64 s[4:5], s33, v4
                                        ; implicit-def: $vgpr9
	s_and_saveexec_b64 s[10:11], s[4:5]
	s_cbranch_execz .LBB586_11
; %bb.10:
	v_lshlrev_b32_e32 v4, 2, v0
	v_mov_b32_e32 v5, s48
	v_add_co_u32_e64 v4, s[8:9], s7, v4
	v_addc_co_u32_e64 v5, s[8:9], 0, v5, s[8:9]
	flat_load_dword v9, v[4:5] offset:3072
.LBB586_11:
	s_or_b64 exec, exec, s[10:11]
	v_or_b32_e32 v4, 0x400, v0
	v_cmp_gt_u32_e64 s[28:29], s33, v4
	v_lshlrev_b32_e32 v4, 2, v4
                                        ; implicit-def: $vgpr10
	s_and_saveexec_b64 s[10:11], s[28:29]
	s_cbranch_execz .LBB586_13
; %bb.12:
	v_mov_b32_e32 v5, s48
	v_add_co_u32_e64 v6, s[8:9], s7, v4
	v_addc_co_u32_e64 v7, s[8:9], 0, v5, s[8:9]
	flat_load_dword v10, v[6:7]
.LBB586_13:
	s_or_b64 exec, exec, s[10:11]
	v_or_b32_e32 v5, 0x500, v0
	v_cmp_gt_u32_e64 s[8:9], s33, v5
	v_lshlrev_b32_e32 v5, 2, v5
                                        ; implicit-def: $vgpr11
	s_and_saveexec_b64 s[12:13], s[8:9]
	s_cbranch_execz .LBB586_15
; %bb.14:
	v_mov_b32_e32 v7, s48
	v_add_co_u32_e64 v6, s[10:11], s7, v5
	v_addc_co_u32_e64 v7, s[10:11], 0, v7, s[10:11]
	flat_load_dword v11, v[6:7]
.LBB586_15:
	s_or_b64 exec, exec, s[12:13]
	v_or_b32_e32 v6, 0x600, v0
	v_cmp_gt_u32_e64 s[10:11], s33, v6
	v_lshlrev_b32_e32 v6, 2, v6
                                        ; implicit-def: $vgpr12
	s_and_saveexec_b64 s[14:15], s[10:11]
	s_cbranch_execz .LBB586_17
; %bb.16:
	v_mov_b32_e32 v7, s48
	v_add_co_u32_e64 v12, s[12:13], s7, v6
	v_addc_co_u32_e64 v13, s[12:13], 0, v7, s[12:13]
	flat_load_dword v12, v[12:13]
.LBB586_17:
	s_or_b64 exec, exec, s[14:15]
	v_or_b32_e32 v7, 0x700, v0
	v_cmp_gt_u32_e64 s[12:13], s33, v7
	v_lshlrev_b32_e32 v7, 2, v7
                                        ; implicit-def: $vgpr13
	s_and_saveexec_b64 s[16:17], s[12:13]
	s_cbranch_execz .LBB586_19
; %bb.18:
	v_mov_b32_e32 v13, s48
	v_add_co_u32_e64 v14, s[14:15], s7, v7
	v_addc_co_u32_e64 v15, s[14:15], 0, v13, s[14:15]
	flat_load_dword v13, v[14:15]
.LBB586_19:
	s_or_b64 exec, exec, s[16:17]
	v_or_b32_e32 v14, 0x800, v0
	v_cmp_gt_u32_e64 s[14:15], s33, v14
	v_lshlrev_b32_e32 v22, 2, v14
                                        ; implicit-def: $vgpr14
	s_and_saveexec_b64 s[18:19], s[14:15]
	s_cbranch_execz .LBB586_21
; %bb.20:
	v_mov_b32_e32 v15, s48
	v_add_co_u32_e64 v14, s[16:17], s7, v22
	v_addc_co_u32_e64 v15, s[16:17], 0, v15, s[16:17]
	flat_load_dword v14, v[14:15]
.LBB586_21:
	s_or_b64 exec, exec, s[18:19]
	v_or_b32_e32 v15, 0x900, v0
	v_cmp_gt_u32_e64 s[16:17], s33, v15
	v_lshlrev_b32_e32 v23, 2, v15
                                        ; implicit-def: $vgpr15
	s_and_saveexec_b64 s[20:21], s[16:17]
	s_cbranch_execz .LBB586_23
; %bb.22:
	v_mov_b32_e32 v15, s48
	v_add_co_u32_e64 v16, s[18:19], s7, v23
	v_addc_co_u32_e64 v17, s[18:19], 0, v15, s[18:19]
	flat_load_dword v15, v[16:17]
.LBB586_23:
	s_or_b64 exec, exec, s[20:21]
	v_or_b32_e32 v16, 0xa00, v0
	v_cmp_gt_u32_e64 s[18:19], s33, v16
	v_lshlrev_b32_e32 v24, 2, v16
                                        ; implicit-def: $vgpr16
	s_and_saveexec_b64 s[22:23], s[18:19]
	s_cbranch_execz .LBB586_25
; %bb.24:
	v_mov_b32_e32 v17, s48
	v_add_co_u32_e64 v16, s[20:21], s7, v24
	v_addc_co_u32_e64 v17, s[20:21], 0, v17, s[20:21]
	flat_load_dword v16, v[16:17]
.LBB586_25:
	s_or_b64 exec, exec, s[22:23]
	v_or_b32_e32 v17, 0xb00, v0
	v_cmp_gt_u32_e64 s[20:21], s33, v17
	v_lshlrev_b32_e32 v25, 2, v17
                                        ; implicit-def: $vgpr17
	s_and_saveexec_b64 s[24:25], s[20:21]
	s_cbranch_execz .LBB586_27
; %bb.26:
	v_mov_b32_e32 v17, s48
	v_add_co_u32_e64 v18, s[22:23], s7, v25
	v_addc_co_u32_e64 v19, s[22:23], 0, v17, s[22:23]
	flat_load_dword v17, v[18:19]
.LBB586_27:
	s_or_b64 exec, exec, s[24:25]
	v_or_b32_e32 v18, 0xc00, v0
	v_cmp_gt_u32_e64 s[22:23], s33, v18
	v_lshlrev_b32_e32 v26, 2, v18
                                        ; implicit-def: $vgpr18
	s_and_saveexec_b64 s[26:27], s[22:23]
	s_cbranch_execz .LBB586_29
; %bb.28:
	v_mov_b32_e32 v19, s48
	v_add_co_u32_e64 v18, s[24:25], s7, v26
	v_addc_co_u32_e64 v19, s[24:25], 0, v19, s[24:25]
	flat_load_dword v18, v[18:19]
.LBB586_29:
	s_or_b64 exec, exec, s[26:27]
	v_or_b32_e32 v19, 0xd00, v0
	v_cmp_gt_u32_e64 s[24:25], s33, v19
	v_lshlrev_b32_e32 v27, 2, v19
                                        ; implicit-def: $vgpr19
	s_and_saveexec_b64 s[30:31], s[24:25]
	s_cbranch_execz .LBB586_31
; %bb.30:
	v_mov_b32_e32 v19, s48
	v_add_co_u32_e64 v20, s[26:27], s7, v27
	v_addc_co_u32_e64 v21, s[26:27], 0, v19, s[26:27]
	flat_load_dword v19, v[20:21]
.LBB586_31:
	s_or_b64 exec, exec, s[30:31]
	v_or_b32_e32 v20, 0xe00, v0
	v_cmp_gt_u32_e64 s[26:27], s33, v20
	v_lshlrev_b32_e32 v28, 2, v20
                                        ; implicit-def: $vgpr20
	s_and_saveexec_b64 s[36:37], s[26:27]
	s_cbranch_execz .LBB586_33
; %bb.32:
	v_mov_b32_e32 v21, s48
	v_add_co_u32_e64 v20, s[30:31], s7, v28
	v_addc_co_u32_e64 v21, s[30:31], 0, v21, s[30:31]
	flat_load_dword v20, v[20:21]
.LBB586_33:
	s_or_b64 exec, exec, s[36:37]
	v_lshlrev_b32_e32 v29, 2, v0
	s_waitcnt vmcnt(0) lgkmcnt(0)
	ds_write2st64_b32 v29, v1, v3 offset1:4
	ds_write2st64_b32 v29, v8, v9 offset0:8 offset1:12
	ds_write2st64_b32 v29, v10, v11 offset0:16 offset1:20
	;; [unrolled: 1-line block ×6, first 2 shown]
	ds_write_b32 v29, v20 offset:14336
	v_mad_u32_u24 v3, v0, 56, v29
	s_waitcnt lgkmcnt(0)
	s_barrier
	ds_read2_b32 v[20:21], v3 offset1:1
	ds_read2_b32 v[18:19], v3 offset0:2 offset1:3
	ds_read2_b32 v[16:17], v3 offset0:4 offset1:5
	;; [unrolled: 1-line block ×6, first 2 shown]
	ds_read_b32 v1, v3 offset:56
	s_waitcnt lgkmcnt(0)
	s_barrier
	s_waitcnt lgkmcnt(0)
                                        ; implicit-def: $vgpr30
	s_and_saveexec_b64 s[30:31], vcc
	s_cbranch_execnz .LBB586_57
; %bb.34:
	s_or_b64 exec, exec, s[30:31]
                                        ; implicit-def: $vgpr31
	s_and_saveexec_b64 s[30:31], s[0:1]
	s_cbranch_execnz .LBB586_58
.LBB586_35:
	s_or_b64 exec, exec, s[30:31]
                                        ; implicit-def: $vgpr32
	s_and_saveexec_b64 s[0:1], s[2:3]
	s_cbranch_execnz .LBB586_59
.LBB586_36:
	s_or_b64 exec, exec, s[0:1]
                                        ; implicit-def: $vgpr33
	s_and_saveexec_b64 s[0:1], s[4:5]
	s_cbranch_execnz .LBB586_60
.LBB586_37:
	s_or_b64 exec, exec, s[0:1]
                                        ; implicit-def: $vgpr34
	s_and_saveexec_b64 s[0:1], s[28:29]
	s_cbranch_execnz .LBB586_61
.LBB586_38:
	s_or_b64 exec, exec, s[0:1]
                                        ; implicit-def: $vgpr4
	s_and_saveexec_b64 s[0:1], s[8:9]
	s_cbranch_execnz .LBB586_62
.LBB586_39:
	s_or_b64 exec, exec, s[0:1]
                                        ; implicit-def: $vgpr5
	s_and_saveexec_b64 s[0:1], s[10:11]
	s_cbranch_execnz .LBB586_63
.LBB586_40:
	s_or_b64 exec, exec, s[0:1]
                                        ; implicit-def: $vgpr6
	s_and_saveexec_b64 s[0:1], s[12:13]
	s_cbranch_execnz .LBB586_64
.LBB586_41:
	s_or_b64 exec, exec, s[0:1]
                                        ; implicit-def: $vgpr7
	s_and_saveexec_b64 s[0:1], s[14:15]
	s_cbranch_execnz .LBB586_65
.LBB586_42:
	s_or_b64 exec, exec, s[0:1]
                                        ; implicit-def: $vgpr22
	s_and_saveexec_b64 s[0:1], s[16:17]
	s_cbranch_execnz .LBB586_66
.LBB586_43:
	s_or_b64 exec, exec, s[0:1]
                                        ; implicit-def: $vgpr23
	s_and_saveexec_b64 s[0:1], s[18:19]
	s_cbranch_execnz .LBB586_67
.LBB586_44:
	s_or_b64 exec, exec, s[0:1]
                                        ; implicit-def: $vgpr24
	s_and_saveexec_b64 s[0:1], s[20:21]
	s_cbranch_execnz .LBB586_68
.LBB586_45:
	s_or_b64 exec, exec, s[0:1]
                                        ; implicit-def: $vgpr25
	s_and_saveexec_b64 s[0:1], s[22:23]
	s_cbranch_execnz .LBB586_69
.LBB586_46:
	s_or_b64 exec, exec, s[0:1]
                                        ; implicit-def: $vgpr26
	s_and_saveexec_b64 s[0:1], s[24:25]
	s_cbranch_execnz .LBB586_70
.LBB586_47:
	s_or_b64 exec, exec, s[0:1]
                                        ; implicit-def: $vgpr27
	s_and_saveexec_b64 s[0:1], s[26:27]
	s_cbranch_execz .LBB586_49
.LBB586_48:
	v_mov_b32_e32 v27, s62
	v_add_co_u32_e32 v36, vcc, s49, v28
	v_addc_co_u32_e32 v37, vcc, 0, v27, vcc
	flat_load_dword v27, v[36:37]
.LBB586_49:
	s_or_b64 exec, exec, s[0:1]
	s_waitcnt vmcnt(0) lgkmcnt(0)
	ds_write2st64_b32 v29, v30, v31 offset1:4
	ds_write2st64_b32 v29, v32, v33 offset0:8 offset1:12
	ds_write2st64_b32 v29, v34, v4 offset0:16 offset1:20
	;; [unrolled: 1-line block ×6, first 2 shown]
	ds_write_b32 v29, v27 offset:14336
	v_mov_b32_e32 v4, v2
	s_waitcnt lgkmcnt(0)
	s_barrier
.LBB586_50:
	v_lshlrev_b32_e32 v4, 2, v4
	ds_read2_b32 v[46:47], v3 offset1:2
	ds_read2_b32 v[42:43], v3 offset0:4 offset1:6
	ds_read2_b32 v[38:39], v3 offset0:8 offset1:10
	;; [unrolled: 1-line block ×6, first 2 shown]
	ds_read_b32 v82, v4 offset:52
	s_cmp_eq_u64 s[38:39], 0
	s_cselect_b64 s[36:37], -1, 0
	s_cmp_lg_u64 s[38:39], 0
	s_mov_b64 s[0:1], 0
	s_cselect_b64 s[8:9], -1, 0
	s_and_b64 vcc, exec, s[40:41]
	s_waitcnt lgkmcnt(0)
	s_barrier
	s_cbranch_vccz .LBB586_56
; %bb.51:
	s_and_b64 vcc, exec, s[8:9]
	s_cbranch_vccz .LBB586_71
; %bb.52:
	v_mov_b32_e32 v3, s48
	v_add_co_u32_e64 v4, vcc, -4, s7
	v_addc_co_u32_e32 v5, vcc, -1, v3, vcc
	flat_load_dword v3, v[4:5]
	v_lshlrev_b32_e32 v4, 2, v0
	v_cmp_ne_u32_e32 vcc, 0, v0
	ds_write_b32 v4, v1
	s_waitcnt lgkmcnt(0)
	s_barrier
	s_and_saveexec_b64 s[0:1], vcc
	s_cbranch_execz .LBB586_54
; %bb.53:
	s_waitcnt vmcnt(0)
	v_add_u32_e32 v3, -4, v4
	ds_read_b32 v3, v3
.LBB586_54:
	s_or_b64 exec, exec, s[0:1]
	s_mov_b32 s0, 0x66666667
	v_mul_hi_i32 v4, v9, s0
	v_lshrrev_b32_e32 v5, 31, v4
	v_ashrrev_i32_e32 v4, 2, v4
	v_add_u32_e32 v4, v4, v5
	v_mul_hi_i32 v5, v8, s0
	v_lshrrev_b32_e32 v6, 31, v5
	v_ashrrev_i32_e32 v5, 2, v5
	v_add_u32_e32 v5, v5, v6
	;; [unrolled: 4-line block ×15, first 2 shown]
	v_cmp_ne_u32_e32 vcc, v30, v34
	v_cndmask_b32_e64 v35, 0, 1, vcc
	v_cmp_ne_u32_e32 vcc, v30, v31
	v_cndmask_b32_e64 v32, 0, 1, vcc
	;; [unrolled: 2-line block ×12, first 2 shown]
	v_cmp_ne_u32_e32 vcc, v4, v5
	s_waitcnt vmcnt(0) lgkmcnt(0)
	v_mul_hi_i32 v3, v3, s0
	v_cndmask_b32_e64 v5, 0, 1, vcc
	v_cmp_ne_u32_e32 vcc, v4, v6
	v_lshrrev_b32_e32 v4, 31, v3
	v_ashrrev_i32_e32 v3, 2, v3
	v_add_u32_e32 v3, v3, v4
	v_cndmask_b32_e64 v80, 0, 1, vcc
	v_cmp_ne_u32_e64 s[4:5], v3, v34
	s_mov_b64 s[0:1], -1
.LBB586_55:
                                        ; implicit-def: $sgpr10
	s_branch .LBB586_75
.LBB586_56:
                                        ; implicit-def: $sgpr4_sgpr5
                                        ; implicit-def: $vgpr80
                                        ; implicit-def: $vgpr5
                                        ; implicit-def: $vgpr81
                                        ; implicit-def: $vgpr23
                                        ; implicit-def: $vgpr22
                                        ; implicit-def: $vgpr25
                                        ; implicit-def: $vgpr24
                                        ; implicit-def: $vgpr27
                                        ; implicit-def: $vgpr26
                                        ; implicit-def: $vgpr31
                                        ; implicit-def: $vgpr30
                                        ; implicit-def: $vgpr33
                                        ; implicit-def: $vgpr32
                                        ; implicit-def: $vgpr35
                                        ; implicit-def: $vgpr29
                                        ; implicit-def: $sgpr10
	s_cbranch_execnz .LBB586_76
	s_branch .LBB586_111
.LBB586_57:
	v_mov_b32_e32 v31, s62
	v_add_co_u32_e32 v30, vcc, s49, v29
	v_addc_co_u32_e32 v31, vcc, 0, v31, vcc
	flat_load_dword v30, v[30:31]
	s_or_b64 exec, exec, s[30:31]
                                        ; implicit-def: $vgpr31
	s_and_saveexec_b64 s[30:31], s[0:1]
	s_cbranch_execz .LBB586_35
.LBB586_58:
	v_mov_b32_e32 v31, s62
	v_add_co_u32_e32 v32, vcc, s49, v29
	v_addc_co_u32_e32 v33, vcc, 0, v31, vcc
	flat_load_dword v31, v[32:33] offset:1024
	s_or_b64 exec, exec, s[30:31]
                                        ; implicit-def: $vgpr32
	s_and_saveexec_b64 s[0:1], s[2:3]
	s_cbranch_execz .LBB586_36
.LBB586_59:
	v_mov_b32_e32 v33, s62
	v_add_co_u32_e32 v32, vcc, s49, v29
	v_addc_co_u32_e32 v33, vcc, 0, v33, vcc
	flat_load_dword v32, v[32:33] offset:2048
	s_or_b64 exec, exec, s[0:1]
                                        ; implicit-def: $vgpr33
	s_and_saveexec_b64 s[0:1], s[4:5]
	s_cbranch_execz .LBB586_37
.LBB586_60:
	v_mov_b32_e32 v33, s62
	v_add_co_u32_e32 v34, vcc, s49, v29
	v_addc_co_u32_e32 v35, vcc, 0, v33, vcc
	flat_load_dword v33, v[34:35] offset:3072
	s_or_b64 exec, exec, s[0:1]
                                        ; implicit-def: $vgpr34
	s_and_saveexec_b64 s[0:1], s[28:29]
	s_cbranch_execz .LBB586_38
.LBB586_61:
	v_mov_b32_e32 v35, s62
	v_add_co_u32_e32 v34, vcc, s49, v4
	v_addc_co_u32_e32 v35, vcc, 0, v35, vcc
	flat_load_dword v34, v[34:35]
	s_or_b64 exec, exec, s[0:1]
                                        ; implicit-def: $vgpr4
	s_and_saveexec_b64 s[0:1], s[8:9]
	s_cbranch_execz .LBB586_39
.LBB586_62:
	v_mov_b32_e32 v35, s62
	v_add_co_u32_e32 v4, vcc, s49, v5
	v_addc_co_u32_e32 v5, vcc, 0, v35, vcc
	flat_load_dword v4, v[4:5]
	s_or_b64 exec, exec, s[0:1]
                                        ; implicit-def: $vgpr5
	s_and_saveexec_b64 s[0:1], s[10:11]
	s_cbranch_execz .LBB586_40
.LBB586_63:
	v_mov_b32_e32 v5, s62
	v_add_co_u32_e32 v36, vcc, s49, v6
	v_addc_co_u32_e32 v37, vcc, 0, v5, vcc
	flat_load_dword v5, v[36:37]
	s_or_b64 exec, exec, s[0:1]
                                        ; implicit-def: $vgpr6
	s_and_saveexec_b64 s[0:1], s[12:13]
	s_cbranch_execz .LBB586_41
.LBB586_64:
	v_mov_b32_e32 v35, s62
	v_add_co_u32_e32 v6, vcc, s49, v7
	v_addc_co_u32_e32 v7, vcc, 0, v35, vcc
	flat_load_dword v6, v[6:7]
	s_or_b64 exec, exec, s[0:1]
                                        ; implicit-def: $vgpr7
	s_and_saveexec_b64 s[0:1], s[14:15]
	s_cbranch_execz .LBB586_42
.LBB586_65:
	v_mov_b32_e32 v7, s62
	v_add_co_u32_e32 v36, vcc, s49, v22
	v_addc_co_u32_e32 v37, vcc, 0, v7, vcc
	flat_load_dword v7, v[36:37]
	s_or_b64 exec, exec, s[0:1]
                                        ; implicit-def: $vgpr22
	s_and_saveexec_b64 s[0:1], s[16:17]
	s_cbranch_execz .LBB586_43
.LBB586_66:
	v_mov_b32_e32 v35, s62
	v_add_co_u32_e32 v22, vcc, s49, v23
	v_addc_co_u32_e32 v23, vcc, 0, v35, vcc
	flat_load_dword v22, v[22:23]
	s_or_b64 exec, exec, s[0:1]
                                        ; implicit-def: $vgpr23
	s_and_saveexec_b64 s[0:1], s[18:19]
	s_cbranch_execz .LBB586_44
.LBB586_67:
	v_mov_b32_e32 v23, s62
	v_add_co_u32_e32 v36, vcc, s49, v24
	v_addc_co_u32_e32 v37, vcc, 0, v23, vcc
	flat_load_dword v23, v[36:37]
	s_or_b64 exec, exec, s[0:1]
                                        ; implicit-def: $vgpr24
	s_and_saveexec_b64 s[0:1], s[20:21]
	s_cbranch_execz .LBB586_45
.LBB586_68:
	v_mov_b32_e32 v35, s62
	v_add_co_u32_e32 v24, vcc, s49, v25
	v_addc_co_u32_e32 v25, vcc, 0, v35, vcc
	flat_load_dword v24, v[24:25]
	s_or_b64 exec, exec, s[0:1]
                                        ; implicit-def: $vgpr25
	s_and_saveexec_b64 s[0:1], s[22:23]
	s_cbranch_execz .LBB586_46
.LBB586_69:
	v_mov_b32_e32 v25, s62
	v_add_co_u32_e32 v36, vcc, s49, v26
	v_addc_co_u32_e32 v37, vcc, 0, v25, vcc
	flat_load_dword v25, v[36:37]
	s_or_b64 exec, exec, s[0:1]
                                        ; implicit-def: $vgpr26
	s_and_saveexec_b64 s[0:1], s[24:25]
	s_cbranch_execz .LBB586_47
.LBB586_70:
	v_mov_b32_e32 v35, s62
	v_add_co_u32_e32 v26, vcc, s49, v27
	v_addc_co_u32_e32 v27, vcc, 0, v35, vcc
	flat_load_dword v26, v[26:27]
	s_or_b64 exec, exec, s[0:1]
                                        ; implicit-def: $vgpr27
	s_and_saveexec_b64 s[0:1], s[26:27]
	s_cbranch_execnz .LBB586_48
	s_branch .LBB586_49
.LBB586_71:
                                        ; implicit-def: $sgpr4_sgpr5
                                        ; implicit-def: $vgpr80
                                        ; implicit-def: $vgpr5
                                        ; implicit-def: $vgpr81
                                        ; implicit-def: $vgpr23
                                        ; implicit-def: $vgpr22
                                        ; implicit-def: $vgpr25
                                        ; implicit-def: $vgpr24
                                        ; implicit-def: $vgpr27
                                        ; implicit-def: $vgpr26
                                        ; implicit-def: $vgpr31
                                        ; implicit-def: $vgpr30
                                        ; implicit-def: $vgpr33
                                        ; implicit-def: $vgpr32
                                        ; implicit-def: $vgpr35
	s_cbranch_execz .LBB586_55
; %bb.72:
	s_mov_b32 s10, 0x66666667
	v_mul_hi_i32 v4, v9, s10
	v_lshrrev_b32_e32 v5, 31, v4
	v_ashrrev_i32_e32 v4, 2, v4
	v_add_u32_e32 v6, v4, v5
	v_mul_hi_i32 v4, v8, s10
	v_lshrrev_b32_e32 v5, 31, v4
	v_ashrrev_i32_e32 v4, 2, v4
	v_add_u32_e32 v5, v4, v5
	;; [unrolled: 4-line block ×15, first 2 shown]
	v_cmp_ne_u32_e32 vcc, v31, v4
	v_cndmask_b32_e64 v35, 0, 1, vcc
	v_cmp_ne_u32_e32 vcc, v31, v33
	v_cndmask_b32_e64 v32, 0, 1, vcc
	;; [unrolled: 2-line block ×13, first 2 shown]
	v_cmp_ne_u32_e32 vcc, v6, v7
	v_lshlrev_b32_e32 v3, 2, v0
	v_cndmask_b32_e64 v80, 0, 1, vcc
	v_cmp_ne_u32_e32 vcc, 0, v0
	ds_write_b32 v3, v1
	s_waitcnt lgkmcnt(0)
	s_barrier
	s_waitcnt lgkmcnt(0)
                                        ; implicit-def: $sgpr4_sgpr5
	s_and_saveexec_b64 s[2:3], vcc
	s_xor_b64 s[2:3], exec, s[2:3]
	s_cbranch_execz .LBB586_74
; %bb.73:
	v_add_u32_e32 v3, -4, v3
	ds_read_b32 v3, v3
	s_or_b64 s[0:1], s[0:1], exec
	s_waitcnt lgkmcnt(0)
	v_mul_hi_i32 v3, v3, s10
	v_lshrrev_b32_e32 v6, 31, v3
	v_ashrrev_i32_e32 v3, 2, v3
	v_add_u32_e32 v3, v3, v6
	v_cmp_ne_u32_e32 vcc, v3, v4
	s_and_b64 s[4:5], vcc, exec
.LBB586_74:
	s_or_b64 exec, exec, s[2:3]
	s_mov_b32 s10, 1
.LBB586_75:
	v_mov_b32_e32 v29, v5
	s_branch .LBB586_111
.LBB586_76:
	s_mul_hi_u32 s3, s38, 0xfffff100
	s_mul_i32 s2, s39, 0xfffff100
	s_sub_i32 s3, s3, s38
	s_add_i32 s3, s3, s2
	s_mul_i32 s2, s38, 0xfffff100
	s_add_u32 s2, s2, s56
	s_addc_u32 s3, s3, s57
	s_and_b64 vcc, exec, s[8:9]
	v_mad_u32_u24 v28, v0, 15, 14
	s_cbranch_vccz .LBB586_216
; %bb.77:
	v_mov_b32_e32 v3, s48
	v_add_co_u32_e64 v4, vcc, -4, s7
	v_addc_co_u32_e32 v5, vcc, -1, v3, vcc
	flat_load_dword v6, v[4:5]
	v_mov_b32_e32 v5, 0
	v_mov_b32_e32 v29, v5
	v_lshlrev_b32_e32 v3, 2, v0
	v_cmp_gt_u64_e32 vcc, s[2:3], v[28:29]
	v_mov_b32_e32 v80, 0
	ds_write_b32 v3, v1
	s_and_saveexec_b64 s[0:1], vcc
; %bb.78:
	s_mov_b32 s4, 0x66666667
	v_mul_hi_i32 v4, v9, s4
	v_lshrrev_b32_e32 v7, 31, v4
	v_ashrrev_i32_e32 v4, 2, v4
	v_add_u32_e32 v4, v4, v7
	v_mul_hi_i32 v7, v1, s4
	v_lshrrev_b32_e32 v22, 31, v7
	v_ashrrev_i32_e32 v7, 2, v7
	v_add_u32_e32 v7, v7, v22
	v_cmp_ne_u32_e32 vcc, v4, v7
	v_cndmask_b32_e64 v80, 0, 1, vcc
; %bb.79:
	s_or_b64 exec, exec, s[0:1]
	v_add_u32_e32 v4, 13, v2
	v_cmp_gt_u64_e32 vcc, s[2:3], v[4:5]
	s_and_saveexec_b64 s[0:1], vcc
; %bb.80:
	s_mov_b32 s4, 0x66666667
	v_mul_hi_i32 v4, v8, s4
	v_lshrrev_b32_e32 v5, 31, v4
	v_ashrrev_i32_e32 v4, 2, v4
	v_add_u32_e32 v4, v4, v5
	v_mul_hi_i32 v5, v9, s4
	v_lshrrev_b32_e32 v7, 31, v5
	v_ashrrev_i32_e32 v5, 2, v5
	v_add_u32_e32 v5, v5, v7
	v_cmp_ne_u32_e32 vcc, v4, v5
	v_cndmask_b32_e64 v5, 0, 1, vcc
; %bb.81:
	s_or_b64 exec, exec, s[0:1]
	v_add_u32_e32 v22, 12, v2
	v_mov_b32_e32 v23, 0
	v_cmp_gt_u64_e32 vcc, s[2:3], v[22:23]
	v_mov_b32_e32 v81, 0
	s_and_saveexec_b64 s[0:1], vcc
; %bb.82:
	s_mov_b32 s4, 0x66666667
	v_mul_hi_i32 v4, v11, s4
	v_lshrrev_b32_e32 v7, 31, v4
	v_ashrrev_i32_e32 v4, 2, v4
	v_add_u32_e32 v4, v4, v7
	v_mul_hi_i32 v7, v8, s4
	v_lshrrev_b32_e32 v22, 31, v7
	v_ashrrev_i32_e32 v7, 2, v7
	v_add_u32_e32 v7, v7, v22
	v_cmp_ne_u32_e32 vcc, v4, v7
	v_cndmask_b32_e64 v81, 0, 1, vcc
; %bb.83:
	s_or_b64 exec, exec, s[0:1]
	v_add_u32_e32 v22, 11, v2
	v_cmp_gt_u64_e32 vcc, s[2:3], v[22:23]
	s_and_saveexec_b64 s[0:1], vcc
; %bb.84:
	s_mov_b32 s4, 0x66666667
	v_mul_hi_i32 v4, v10, s4
	v_lshrrev_b32_e32 v7, 31, v4
	v_ashrrev_i32_e32 v4, 2, v4
	v_add_u32_e32 v4, v4, v7
	v_mul_hi_i32 v7, v11, s4
	v_lshrrev_b32_e32 v22, 31, v7
	v_ashrrev_i32_e32 v7, 2, v7
	v_add_u32_e32 v7, v7, v22
	v_cmp_ne_u32_e32 vcc, v4, v7
	v_cndmask_b32_e64 v23, 0, 1, vcc
; %bb.85:
	s_or_b64 exec, exec, s[0:1]
	v_add_u32_e32 v24, 10, v2
	v_mov_b32_e32 v25, 0
	v_cmp_gt_u64_e32 vcc, s[2:3], v[24:25]
	v_mov_b32_e32 v22, 0
	;; [unrolled: 36-line block ×6, first 2 shown]
	s_and_saveexec_b64 s[0:1], vcc
; %bb.102:
	s_mov_b32 s4, 0x66666667
	v_mul_hi_i32 v4, v21, s4
	v_lshrrev_b32_e32 v7, 31, v4
	v_ashrrev_i32_e32 v4, 2, v4
	v_add_u32_e32 v4, v4, v7
	v_mul_hi_i32 v7, v18, s4
	v_lshrrev_b32_e32 v29, 31, v7
	v_ashrrev_i32_e32 v7, 2, v7
	v_add_u32_e32 v7, v7, v29
	v_cmp_ne_u32_e32 vcc, v4, v7
	v_cndmask_b32_e64 v32, 0, 1, vcc
; %bb.103:
	s_or_b64 exec, exec, s[0:1]
	v_add_u32_e32 v34, 1, v2
	v_cmp_gt_u64_e32 vcc, s[2:3], v[34:35]
	s_and_saveexec_b64 s[0:1], vcc
; %bb.104:
	s_mov_b32 s4, 0x66666667
	v_mul_hi_i32 v4, v20, s4
	v_lshrrev_b32_e32 v7, 31, v4
	v_ashrrev_i32_e32 v4, 2, v4
	v_add_u32_e32 v4, v4, v7
	v_mul_hi_i32 v7, v21, s4
	v_lshrrev_b32_e32 v29, 31, v7
	v_ashrrev_i32_e32 v7, 2, v7
	v_add_u32_e32 v7, v7, v29
	v_cmp_ne_u32_e32 vcc, v4, v7
	v_cndmask_b32_e64 v35, 0, 1, vcc
; %bb.105:
	s_or_b64 exec, exec, s[0:1]
	v_cmp_ne_u32_e32 vcc, 0, v0
	s_waitcnt lgkmcnt(0)
	s_barrier
	s_and_saveexec_b64 s[0:1], vcc
	s_cbranch_execz .LBB586_107
; %bb.106:
	v_add_u32_e32 v3, -4, v3
	s_waitcnt vmcnt(0)
	ds_read_b32 v6, v3
.LBB586_107:
	s_or_b64 exec, exec, s[0:1]
	v_mov_b32_e32 v3, 0
	v_cmp_gt_u64_e32 vcc, s[2:3], v[2:3]
	s_mov_b64 s[8:9], 0
	s_mov_b64 s[4:5], 0
	s_and_saveexec_b64 s[0:1], vcc
	s_cbranch_execz .LBB586_109
; %bb.108:
	s_mov_b32 s4, 0x66666667
	s_waitcnt vmcnt(0) lgkmcnt(0)
	v_mul_hi_i32 v3, v6, s4
	v_lshrrev_b32_e32 v4, 31, v3
	v_ashrrev_i32_e32 v3, 2, v3
	v_add_u32_e32 v3, v3, v4
	v_mul_hi_i32 v4, v20, s4
	v_lshrrev_b32_e32 v6, 31, v4
	v_ashrrev_i32_e32 v4, 2, v4
	v_add_u32_e32 v4, v4, v6
	v_cmp_ne_u32_e32 vcc, v3, v4
	s_and_b64 s[4:5], vcc, exec
.LBB586_109:
	s_or_b64 exec, exec, s[0:1]
	s_mov_b64 s[0:1], -1
	s_and_b64 vcc, exec, s[8:9]
	s_cbranch_vccnz .LBB586_217
.LBB586_110:
                                        ; implicit-def: $vgpr29
                                        ; implicit-def: $sgpr10
.LBB586_111:
	v_mov_b32_e32 v34, s10
	s_and_saveexec_b64 s[2:3], s[0:1]
.LBB586_112:
	v_cndmask_b32_e64 v34, 0, 1, s[4:5]
	v_mov_b32_e32 v29, v5
.LBB586_113:
	s_or_b64 exec, exec, s[2:3]
	s_cmp_eq_u64 s[46:47], 0
	v_add3_u32 v2, v35, v34, v32
	s_cselect_b64 s[38:39], -1, 0
	s_cmp_lg_u32 s6, 0
	v_cmp_eq_u32_e64 s[24:25], 0, v35
	v_cmp_eq_u32_e64 s[22:23], 0, v32
	;; [unrolled: 1-line block ×3, first 2 shown]
	v_add3_u32 v86, v2, v33, v30
	v_cmp_eq_u32_e64 s[18:19], 0, v30
	v_cmp_eq_u32_e64 s[16:17], 0, v31
	;; [unrolled: 1-line block ×10, first 2 shown]
	v_cmp_eq_u32_e32 vcc, 0, v80
	v_mbcnt_lo_u32_b32 v85, -1, 0
	v_lshrrev_b32_e32 v83, 6, v0
	v_or_b32_e32 v84, 63, v0
	s_cbranch_scc0 .LBB586_140
; %bb.114:
	v_cndmask_b32_e64 v2, 0, v46, s[24:25]
	v_add_u32_e32 v2, v2, v48
	v_cndmask_b32_e64 v2, 0, v2, s[22:23]
	v_add_u32_e32 v2, v2, v47
	;; [unrolled: 2-line block ×11, first 2 shown]
	v_cndmask_b32_e64 v2, 0, v2, s[2:3]
	v_add3_u32 v3, v86, v31, v26
	v_add_u32_e32 v2, v2, v36
	v_add3_u32 v3, v3, v27, v24
	v_cndmask_b32_e64 v2, 0, v2, s[0:1]
	v_add3_u32 v3, v3, v25, v22
	v_add_u32_e32 v2, v2, v82
	v_add3_u32 v3, v3, v23, v81
	v_cndmask_b32_e32 v2, 0, v2, vcc
	v_add3_u32 v3, v3, v29, v80
	v_add_u32_e32 v2, v2, v37
	v_mbcnt_hi_u32_b32 v53, -1, v85
	v_and_b32_e32 v4, 15, v53
	s_waitcnt vmcnt(0) lgkmcnt(0)
	v_mov_b32_dpp v6, v2 row_shr:1 row_mask:0xf bank_mask:0xf
	v_cmp_eq_u32_e32 vcc, 0, v3
	v_mov_b32_dpp v5, v3 row_shr:1 row_mask:0xf bank_mask:0xf
	v_cndmask_b32_e32 v6, 0, v6, vcc
	v_cmp_eq_u32_e32 vcc, 0, v4
	v_cndmask_b32_e64 v5, v5, 0, vcc
	v_add_u32_e32 v3, v5, v3
	v_cndmask_b32_e64 v5, v6, 0, vcc
	v_add_u32_e32 v2, v5, v2
	v_cmp_eq_u32_e32 vcc, 0, v3
	v_mov_b32_dpp v5, v3 row_shr:2 row_mask:0xf bank_mask:0xf
	v_cmp_lt_u32_e64 s[26:27], 1, v4
	v_mov_b32_dpp v6, v2 row_shr:2 row_mask:0xf bank_mask:0xf
	v_cndmask_b32_e64 v5, 0, v5, s[26:27]
	s_and_b64 vcc, s[26:27], vcc
	v_cndmask_b32_e32 v6, 0, v6, vcc
	v_add_u32_e32 v3, v3, v5
	v_add_u32_e32 v2, v6, v2
	v_cmp_eq_u32_e32 vcc, 0, v3
	v_mov_b32_dpp v5, v3 row_shr:4 row_mask:0xf bank_mask:0xf
	v_cmp_lt_u32_e64 s[26:27], 3, v4
	v_mov_b32_dpp v6, v2 row_shr:4 row_mask:0xf bank_mask:0xf
	v_cndmask_b32_e64 v5, 0, v5, s[26:27]
	s_and_b64 vcc, s[26:27], vcc
	v_cndmask_b32_e32 v6, 0, v6, vcc
	v_add_u32_e32 v3, v5, v3
	v_add_u32_e32 v2, v2, v6
	v_cmp_eq_u32_e32 vcc, 0, v3
	v_cmp_lt_u32_e64 s[26:27], 7, v4
	v_mov_b32_dpp v5, v3 row_shr:8 row_mask:0xf bank_mask:0xf
	v_mov_b32_dpp v6, v2 row_shr:8 row_mask:0xf bank_mask:0xf
	s_and_b64 vcc, s[26:27], vcc
	v_cndmask_b32_e64 v4, 0, v5, s[26:27]
	v_cndmask_b32_e32 v5, 0, v6, vcc
	v_add_u32_e32 v2, v5, v2
	v_add_u32_e32 v3, v4, v3
	v_bfe_i32 v6, v53, 4, 1
	v_mov_b32_dpp v5, v2 row_bcast:15 row_mask:0xf bank_mask:0xf
	v_mov_b32_dpp v4, v3 row_bcast:15 row_mask:0xf bank_mask:0xf
	v_cmp_eq_u32_e32 vcc, 0, v3
	v_cndmask_b32_e32 v5, 0, v5, vcc
	v_and_b32_e32 v4, v6, v4
	v_add_u32_e32 v3, v4, v3
	v_and_b32_e32 v4, v6, v5
	v_add_u32_e32 v4, v4, v2
	v_mov_b32_dpp v2, v3 row_bcast:31 row_mask:0xf bank_mask:0xf
	v_cmp_eq_u32_e32 vcc, 0, v3
	v_cmp_lt_u32_e64 s[26:27], 31, v53
	v_mov_b32_dpp v5, v4 row_bcast:31 row_mask:0xf bank_mask:0xf
	v_cndmask_b32_e64 v2, 0, v2, s[26:27]
	s_and_b64 vcc, s[26:27], vcc
	v_add_u32_e32 v2, v2, v3
	v_cndmask_b32_e32 v3, 0, v5, vcc
	v_add_u32_e32 v3, v3, v4
	v_cmp_eq_u32_e32 vcc, v84, v0
	v_lshlrev_b32_e32 v4, 3, v83
	s_and_saveexec_b64 s[26:27], vcc
	s_cbranch_execz .LBB586_116
; %bb.115:
	ds_write_b64 v4, v[2:3] offset:2064
.LBB586_116:
	s_or_b64 exec, exec, s[26:27]
	v_cmp_gt_u32_e32 vcc, 4, v0
	s_waitcnt lgkmcnt(0)
	s_barrier
	s_and_saveexec_b64 s[30:31], vcc
	s_cbranch_execz .LBB586_118
; %bb.117:
	v_lshlrev_b32_e32 v5, 3, v0
	ds_read_b64 v[6:7], v5 offset:2064
	v_and_b32_e32 v28, 3, v53
	v_cmp_lt_u32_e64 s[26:27], 1, v28
	s_waitcnt lgkmcnt(0)
	v_mov_b32_dpp v51, v7 row_shr:1 row_mask:0xf bank_mask:0xf
	v_cmp_eq_u32_e32 vcc, 0, v6
	v_mov_b32_dpp v50, v6 row_shr:1 row_mask:0xf bank_mask:0xf
	v_cndmask_b32_e32 v51, 0, v51, vcc
	v_cmp_eq_u32_e32 vcc, 0, v28
	v_cndmask_b32_e64 v50, v50, 0, vcc
	v_add_u32_e32 v6, v50, v6
	v_cndmask_b32_e64 v50, v51, 0, vcc
	v_add_u32_e32 v7, v50, v7
	v_cmp_eq_u32_e32 vcc, 0, v6
	v_mov_b32_dpp v50, v6 row_shr:2 row_mask:0xf bank_mask:0xf
	v_mov_b32_dpp v51, v7 row_shr:2 row_mask:0xf bank_mask:0xf
	v_cndmask_b32_e64 v28, 0, v50, s[26:27]
	s_and_b64 vcc, s[26:27], vcc
	v_add_u32_e32 v6, v28, v6
	v_cndmask_b32_e32 v28, 0, v51, vcc
	v_add_u32_e32 v7, v28, v7
	ds_write_b64 v5, v[6:7] offset:2064
.LBB586_118:
	s_or_b64 exec, exec, s[30:31]
	v_cmp_gt_u32_e32 vcc, 64, v0
	v_cmp_lt_u32_e64 s[26:27], 63, v0
	v_mov_b32_e32 v50, 0
	v_mov_b32_e32 v51, 0
	s_waitcnt lgkmcnt(0)
	s_barrier
	s_and_saveexec_b64 s[30:31], s[26:27]
	s_cbranch_execz .LBB586_120
; %bb.119:
	ds_read_b64 v[50:51], v4 offset:2056
	v_cmp_eq_u32_e64 s[26:27], 0, v2
	s_waitcnt lgkmcnt(0)
	v_add_u32_e32 v4, v50, v2
	v_cndmask_b32_e64 v2, 0, v51, s[26:27]
	v_add_u32_e32 v3, v2, v3
	v_mov_b32_e32 v2, v4
.LBB586_120:
	s_or_b64 exec, exec, s[30:31]
	v_add_u32_e32 v4, -1, v53
	v_and_b32_e32 v5, 64, v53
	v_cmp_lt_i32_e64 s[26:27], v4, v5
	v_cndmask_b32_e64 v4, v4, v53, s[26:27]
	v_lshlrev_b32_e32 v4, 2, v4
	ds_bpermute_b32 v28, v4, v2
	ds_bpermute_b32 v58, v4, v3
	v_cmp_eq_u32_e64 s[26:27], 0, v53
	s_and_saveexec_b64 s[40:41], vcc
	s_cbranch_execz .LBB586_139
; %bb.121:
	v_mov_b32_e32 v7, 0
	ds_read_b64 v[2:3], v7 offset:2088
	s_waitcnt lgkmcnt(0)
	v_readfirstlane_b32 s7, v2
	v_readfirstlane_b32 s48, v3
	s_and_saveexec_b64 s[30:31], s[26:27]
	s_cbranch_execz .LBB586_123
; %bb.122:
	s_add_i32 s46, s6, 64
	s_mov_b32 s47, 0
	s_lshl_b64 s[50:51], s[46:47], 4
	s_add_u32 s50, s44, s50
	s_addc_u32 s51, s45, s51
	s_and_b32 s57, s48, 0xff000000
	s_mov_b32 s56, s47
	s_and_b32 s63, s48, 0xff0000
	s_mov_b32 s62, s47
	s_or_b64 s[56:57], s[62:63], s[56:57]
	s_and_b32 s63, s48, 0xff00
	s_or_b64 s[56:57], s[56:57], s[62:63]
	s_and_b32 s63, s48, 0xff
	s_or_b64 s[46:47], s[56:57], s[62:63]
	v_mov_b32_e32 v4, s7
	v_mov_b32_e32 v5, s47
	;; [unrolled: 1-line block ×3, first 2 shown]
	v_pk_mov_b32 v[2:3], s[50:51], s[50:51] op_sel:[0,1]
	;;#ASMSTART
	global_store_dwordx4 v[2:3], v[4:7] off	
s_waitcnt vmcnt(0)
	;;#ASMEND
.LBB586_123:
	s_or_b64 exec, exec, s[30:31]
	v_xad_u32 v52, v53, -1, s6
	v_add_u32_e32 v6, 64, v52
	v_lshlrev_b64 v[2:3], 4, v[6:7]
	v_mov_b32_e32 v4, s45
	v_add_co_u32_e32 v54, vcc, s44, v2
	v_addc_co_u32_e32 v55, vcc, v4, v3, vcc
	;;#ASMSTART
	global_load_dwordx4 v[2:5], v[54:55] off glc	
s_waitcnt vmcnt(0)
	;;#ASMEND
	v_and_b32_e32 v5, 0xff, v3
	v_and_b32_e32 v6, 0xff00, v3
	;; [unrolled: 1-line block ×3, first 2 shown]
	v_or3_b32 v5, 0, v5, v6
	v_or3_b32 v2, v2, 0, 0
	v_and_b32_e32 v3, 0xff000000, v3
	v_or3_b32 v3, v5, v56, v3
	v_or3_b32 v2, v2, 0, 0
	v_cmp_eq_u16_sdwa s[46:47], v4, v7 src0_sel:BYTE_0 src1_sel:DWORD
	s_and_saveexec_b64 s[30:31], s[46:47]
	s_cbranch_execz .LBB586_127
; %bb.124:
	s_mov_b64 s[46:47], 0
	v_mov_b32_e32 v6, 0
.LBB586_125:                            ; =>This Inner Loop Header: Depth=1
	;;#ASMSTART
	global_load_dwordx4 v[2:5], v[54:55] off glc	
s_waitcnt vmcnt(0)
	;;#ASMEND
	v_cmp_ne_u16_sdwa s[50:51], v4, v6 src0_sel:BYTE_0 src1_sel:DWORD
	s_or_b64 s[46:47], s[50:51], s[46:47]
	s_andn2_b64 exec, exec, s[46:47]
	s_cbranch_execnz .LBB586_125
; %bb.126:
	s_or_b64 exec, exec, s[46:47]
.LBB586_127:
	s_or_b64 exec, exec, s[30:31]
	v_mov_b32_e32 v59, 2
	v_cmp_eq_u16_sdwa s[30:31], v4, v59 src0_sel:BYTE_0 src1_sel:DWORD
	v_lshlrev_b64 v[54:55], v53, -1
	v_and_b32_e32 v5, s31, v55
	v_and_b32_e32 v60, 63, v53
	v_or_b32_e32 v5, 0x80000000, v5
	v_cmp_ne_u32_e32 vcc, 63, v60
	v_and_b32_e32 v6, s30, v54
	v_ffbl_b32_e32 v5, v5
	v_addc_co_u32_e32 v7, vcc, 0, v53, vcc
	v_add_u32_e32 v5, 32, v5
	v_ffbl_b32_e32 v6, v6
	v_lshlrev_b32_e32 v61, 2, v7
	v_min_u32_e32 v5, v6, v5
	ds_bpermute_b32 v6, v61, v3
	v_cmp_eq_u32_e32 vcc, 0, v2
	v_cmp_lt_u32_e64 s[30:31], v60, v5
	ds_bpermute_b32 v7, v61, v2
	s_and_b64 vcc, s[30:31], vcc
	s_waitcnt lgkmcnt(1)
	v_cndmask_b32_e32 v6, 0, v6, vcc
	v_cmp_gt_u32_e32 vcc, 62, v60
	v_add_u32_e32 v3, v6, v3
	v_cndmask_b32_e64 v6, 0, 1, vcc
	v_lshlrev_b32_e32 v6, 1, v6
	v_add_lshl_u32 v62, v6, v53, 2
	s_waitcnt lgkmcnt(0)
	v_cndmask_b32_e64 v7, 0, v7, s[30:31]
	ds_bpermute_b32 v6, v62, v3
	v_add_u32_e32 v2, v7, v2
	ds_bpermute_b32 v7, v62, v2
	v_add_u32_e32 v63, 2, v60
	v_cmp_eq_u32_e32 vcc, 0, v2
	s_waitcnt lgkmcnt(1)
	v_cndmask_b32_e32 v6, 0, v6, vcc
	v_cmp_gt_u32_e32 vcc, v63, v5
	v_cndmask_b32_e64 v6, v6, 0, vcc
	v_add_u32_e32 v3, v6, v3
	s_waitcnt lgkmcnt(0)
	v_cndmask_b32_e64 v6, v7, 0, vcc
	v_cmp_gt_u32_e32 vcc, 60, v60
	v_cndmask_b32_e64 v7, 0, 1, vcc
	v_lshlrev_b32_e32 v7, 2, v7
	v_add_lshl_u32 v64, v7, v53, 2
	ds_bpermute_b32 v7, v64, v3
	v_add_u32_e32 v2, v2, v6
	ds_bpermute_b32 v6, v64, v2
	v_add_u32_e32 v65, 4, v60
	v_cmp_eq_u32_e32 vcc, 0, v2
	s_waitcnt lgkmcnt(1)
	v_cndmask_b32_e32 v7, 0, v7, vcc
	v_cmp_gt_u32_e32 vcc, v65, v5
	v_cndmask_b32_e64 v7, v7, 0, vcc
	s_waitcnt lgkmcnt(0)
	v_cndmask_b32_e64 v6, v6, 0, vcc
	v_cmp_gt_u32_e32 vcc, 56, v60
	v_add_u32_e32 v3, v3, v7
	v_cndmask_b32_e64 v7, 0, 1, vcc
	v_lshlrev_b32_e32 v7, 3, v7
	v_add_lshl_u32 v66, v7, v53, 2
	ds_bpermute_b32 v7, v66, v3
	v_add_u32_e32 v2, v2, v6
	ds_bpermute_b32 v6, v66, v2
	v_add_u32_e32 v67, 8, v60
	v_cmp_eq_u32_e32 vcc, 0, v2
	s_waitcnt lgkmcnt(1)
	v_cndmask_b32_e32 v7, 0, v7, vcc
	v_cmp_gt_u32_e32 vcc, v67, v5
	v_cndmask_b32_e64 v7, v7, 0, vcc
	s_waitcnt lgkmcnt(0)
	v_cndmask_b32_e64 v6, v6, 0, vcc
	v_cmp_gt_u32_e32 vcc, 48, v60
	v_add_u32_e32 v3, v3, v7
	v_cndmask_b32_e64 v7, 0, 1, vcc
	v_lshlrev_b32_e32 v7, 4, v7
	v_add_lshl_u32 v68, v7, v53, 2
	ds_bpermute_b32 v7, v68, v3
	v_add_u32_e32 v2, v2, v6
	ds_bpermute_b32 v6, v68, v2
	v_add_u32_e32 v69, 16, v60
	v_cmp_eq_u32_e32 vcc, 0, v2
	s_waitcnt lgkmcnt(1)
	v_cndmask_b32_e32 v7, 0, v7, vcc
	v_cmp_gt_u32_e32 vcc, v69, v5
	v_cndmask_b32_e64 v7, v7, 0, vcc
	s_waitcnt lgkmcnt(0)
	v_cndmask_b32_e64 v6, v6, 0, vcc
	v_cmp_gt_u32_e32 vcc, 32, v60
	v_add_u32_e32 v3, v3, v7
	v_cndmask_b32_e64 v7, 0, 1, vcc
	v_lshlrev_b32_e32 v7, 5, v7
	v_add_lshl_u32 v70, v7, v53, 2
	ds_bpermute_b32 v7, v70, v3
	v_add_u32_e32 v2, v2, v6
	ds_bpermute_b32 v6, v70, v2
	v_add_u32_e32 v71, 32, v60
	v_cmp_eq_u32_e32 vcc, 0, v2
	s_waitcnt lgkmcnt(1)
	v_cndmask_b32_e32 v7, 0, v7, vcc
	v_cmp_gt_u32_e32 vcc, v71, v5
	v_cndmask_b32_e64 v5, v7, 0, vcc
	v_add_u32_e32 v3, v5, v3
	s_waitcnt lgkmcnt(0)
	v_cndmask_b32_e64 v5, v6, 0, vcc
	v_add_u32_e32 v2, v5, v2
	v_mov_b32_e32 v53, 0
	s_branch .LBB586_129
.LBB586_128:                            ;   in Loop: Header=BB586_129 Depth=1
	s_or_b64 exec, exec, s[30:31]
	v_cmp_eq_u16_sdwa s[30:31], v4, v59 src0_sel:BYTE_0 src1_sel:DWORD
	v_and_b32_e32 v5, s31, v55
	v_or_b32_e32 v5, 0x80000000, v5
	v_and_b32_e32 v56, s30, v54
	v_ffbl_b32_e32 v5, v5
	v_add_u32_e32 v5, 32, v5
	v_ffbl_b32_e32 v56, v56
	v_min_u32_e32 v5, v56, v5
	ds_bpermute_b32 v56, v61, v3
	v_cmp_eq_u32_e32 vcc, 0, v2
	v_cmp_lt_u32_e64 s[30:31], v60, v5
	ds_bpermute_b32 v57, v61, v2
	s_and_b64 vcc, s[30:31], vcc
	s_waitcnt lgkmcnt(1)
	v_cndmask_b32_e32 v56, 0, v56, vcc
	v_add_u32_e32 v3, v56, v3
	ds_bpermute_b32 v56, v62, v3
	s_waitcnt lgkmcnt(1)
	v_cndmask_b32_e64 v57, 0, v57, s[30:31]
	v_add_u32_e32 v2, v57, v2
	v_cmp_eq_u32_e32 vcc, 0, v2
	ds_bpermute_b32 v57, v62, v2
	s_waitcnt lgkmcnt(1)
	v_cndmask_b32_e32 v56, 0, v56, vcc
	v_cmp_gt_u32_e32 vcc, v63, v5
	v_cndmask_b32_e64 v56, v56, 0, vcc
	v_add_u32_e32 v3, v56, v3
	ds_bpermute_b32 v56, v64, v3
	s_waitcnt lgkmcnt(1)
	v_cndmask_b32_e64 v57, v57, 0, vcc
	v_add_u32_e32 v2, v2, v57
	v_cmp_eq_u32_e32 vcc, 0, v2
	ds_bpermute_b32 v57, v64, v2
	s_waitcnt lgkmcnt(1)
	v_cndmask_b32_e32 v56, 0, v56, vcc
	v_cmp_gt_u32_e32 vcc, v65, v5
	v_cndmask_b32_e64 v56, v56, 0, vcc
	v_add_u32_e32 v3, v3, v56
	ds_bpermute_b32 v56, v66, v3
	s_waitcnt lgkmcnt(1)
	v_cndmask_b32_e64 v57, v57, 0, vcc
	v_add_u32_e32 v2, v2, v57
	ds_bpermute_b32 v57, v66, v2
	v_cmp_eq_u32_e32 vcc, 0, v2
	s_waitcnt lgkmcnt(1)
	v_cndmask_b32_e32 v56, 0, v56, vcc
	v_cmp_gt_u32_e32 vcc, v67, v5
	v_cndmask_b32_e64 v56, v56, 0, vcc
	v_add_u32_e32 v3, v3, v56
	ds_bpermute_b32 v56, v68, v3
	s_waitcnt lgkmcnt(1)
	v_cndmask_b32_e64 v57, v57, 0, vcc
	v_add_u32_e32 v2, v2, v57
	ds_bpermute_b32 v57, v68, v2
	v_cmp_eq_u32_e32 vcc, 0, v2
	;; [unrolled: 11-line block ×3, first 2 shown]
	s_waitcnt lgkmcnt(1)
	v_cndmask_b32_e32 v56, 0, v56, vcc
	v_cmp_gt_u32_e32 vcc, v71, v5
	v_cndmask_b32_e64 v5, v56, 0, vcc
	v_add_u32_e32 v3, v5, v3
	s_waitcnt lgkmcnt(0)
	v_cndmask_b32_e64 v5, v57, 0, vcc
	v_cmp_eq_u32_e32 vcc, 0, v6
	v_cndmask_b32_e32 v3, 0, v3, vcc
	v_subrev_u32_e32 v52, 64, v52
	v_add3_u32 v2, v2, v6, v5
	v_add_u32_e32 v3, v3, v7
.LBB586_129:                            ; =>This Loop Header: Depth=1
                                        ;     Child Loop BB586_132 Depth 2
	v_cmp_ne_u16_sdwa s[30:31], v4, v59 src0_sel:BYTE_0 src1_sel:DWORD
	v_mov_b32_e32 v7, v3
	v_cndmask_b32_e64 v3, 0, 1, s[30:31]
	;;#ASMSTART
	;;#ASMEND
	v_cmp_ne_u32_e32 vcc, 0, v3
	s_cmp_lg_u64 vcc, exec
	v_mov_b32_e32 v6, v2
	s_cbranch_scc1 .LBB586_134
; %bb.130:                              ;   in Loop: Header=BB586_129 Depth=1
	v_lshlrev_b64 v[2:3], 4, v[52:53]
	v_mov_b32_e32 v4, s45
	v_add_co_u32_e32 v56, vcc, s44, v2
	v_addc_co_u32_e32 v57, vcc, v4, v3, vcc
	;;#ASMSTART
	global_load_dwordx4 v[2:5], v[56:57] off glc	
s_waitcnt vmcnt(0)
	;;#ASMEND
	v_and_b32_e32 v5, 0xff, v3
	v_and_b32_e32 v72, 0xff00, v3
	;; [unrolled: 1-line block ×3, first 2 shown]
	v_or3_b32 v5, 0, v5, v72
	v_or3_b32 v2, v2, 0, 0
	v_and_b32_e32 v3, 0xff000000, v3
	v_or3_b32 v3, v5, v73, v3
	v_or3_b32 v2, v2, 0, 0
	v_cmp_eq_u16_sdwa s[46:47], v4, v53 src0_sel:BYTE_0 src1_sel:DWORD
	s_and_saveexec_b64 s[30:31], s[46:47]
	s_cbranch_execz .LBB586_128
; %bb.131:                              ;   in Loop: Header=BB586_129 Depth=1
	s_mov_b64 s[46:47], 0
.LBB586_132:                            ;   Parent Loop BB586_129 Depth=1
                                        ; =>  This Inner Loop Header: Depth=2
	;;#ASMSTART
	global_load_dwordx4 v[2:5], v[56:57] off glc	
s_waitcnt vmcnt(0)
	;;#ASMEND
	v_cmp_ne_u16_sdwa s[50:51], v4, v53 src0_sel:BYTE_0 src1_sel:DWORD
	s_or_b64 s[46:47], s[50:51], s[46:47]
	s_andn2_b64 exec, exec, s[46:47]
	s_cbranch_execnz .LBB586_132
; %bb.133:                              ;   in Loop: Header=BB586_129 Depth=1
	s_or_b64 exec, exec, s[46:47]
	s_branch .LBB586_128
.LBB586_134:                            ;   in Loop: Header=BB586_129 Depth=1
                                        ; implicit-def: $vgpr3
                                        ; implicit-def: $vgpr2
                                        ; implicit-def: $vgpr4
	s_cbranch_execz .LBB586_129
; %bb.135:
	s_and_saveexec_b64 s[30:31], s[26:27]
	s_cbranch_execz .LBB586_137
; %bb.136:
	s_cmp_eq_u32 s7, 0
	s_cselect_b64 vcc, -1, 0
	s_mov_b32 s47, 0
	v_cndmask_b32_e32 v2, 0, v7, vcc
	s_add_i32 s46, s6, 64
	v_add_u32_e32 v2, s48, v2
	s_lshl_b64 s[46:47], s[46:47], 4
	s_add_u32 s46, s44, s46
	v_and_b32_e32 v3, 0xff000000, v2
	v_and_b32_e32 v4, 0xff0000, v2
	s_addc_u32 s47, s45, s47
	v_or_b32_e32 v3, v4, v3
	v_and_b32_e32 v4, 0xff00, v2
	v_and_b32_e32 v2, 0xff, v2
	v_add_u32_e32 v52, s7, v6
	v_mov_b32_e32 v55, 0
	v_or3_b32 v53, v3, v4, v2
	v_mov_b32_e32 v54, 2
	v_pk_mov_b32 v[2:3], s[46:47], s[46:47] op_sel:[0,1]
	;;#ASMSTART
	global_store_dwordx4 v[2:3], v[52:55] off	
s_waitcnt vmcnt(0)
	;;#ASMEND
	v_mov_b32_e32 v4, s7
	v_mov_b32_e32 v5, s48
	ds_write_b128 v55, v[4:7] offset:2048
.LBB586_137:
	s_or_b64 exec, exec, s[30:31]
	v_cmp_eq_u32_e32 vcc, 0, v0
	s_and_b64 exec, exec, vcc
	s_cbranch_execz .LBB586_139
; %bb.138:
	v_mov_b32_e32 v2, 0
	ds_write_b64 v2, v[6:7] offset:2088
.LBB586_139:
	s_or_b64 exec, exec, s[40:41]
	v_mov_b32_e32 v4, 0
	s_waitcnt lgkmcnt(0)
	s_barrier
	ds_read_b64 v[2:3], v4 offset:2088
	v_cndmask_b32_e64 v6, v28, v50, s[26:27]
	v_cmp_eq_u32_e32 vcc, 0, v6
	v_cndmask_b32_e64 v5, v58, v51, s[26:27]
	s_waitcnt lgkmcnt(0)
	v_cndmask_b32_e32 v7, 0, v3, vcc
	v_add_u32_e32 v5, v7, v5
	v_cmp_eq_u32_e32 vcc, 0, v0
	v_cndmask_b32_e32 v79, v5, v3, vcc
	v_cndmask_b32_e64 v3, v6, 0, vcc
	v_cmp_eq_u32_e32 vcc, 0, v34
	v_add_u32_e32 v78, v2, v3
	v_cndmask_b32_e32 v2, 0, v79, vcc
	v_add_u32_e32 v77, v2, v46
	v_cndmask_b32_e64 v2, 0, v77, s[24:25]
	v_add_u32_e32 v75, v2, v48
	v_cndmask_b32_e64 v2, 0, v75, s[22:23]
	;; [unrolled: 2-line block ×8, first 2 shown]
	v_add_u32_e32 v76, v78, v34
	v_add_u32_e32 v61, v2, v38
	v_add_u32_e32 v74, v76, v35
	v_cndmask_b32_e64 v2, 0, v61, s[8:9]
	v_add_u32_e32 v72, v74, v32
	v_add_u32_e32 v59, v2, v40
	v_add_u32_e32 v70, v72, v33
	v_cndmask_b32_e64 v2, 0, v59, s[28:29]
	;; [unrolled: 4-line block ×3, first 2 shown]
	v_add_u32_e32 v64, v66, v26
	v_add_u32_e32 v55, v2, v41
	s_barrier
	ds_read_b128 v[2:5], v4 offset:2048
	v_add_u32_e32 v62, v64, v27
	v_add_u32_e32 v60, v62, v24
	;; [unrolled: 1-line block ×4, first 2 shown]
	v_cndmask_b32_e64 v6, 0, v55, s[2:3]
	v_add_u32_e32 v54, v56, v23
	v_add_u32_e32 v53, v6, v36
	s_waitcnt lgkmcnt(0)
	v_cmp_eq_u32_e32 vcc, 0, v2
	v_add_u32_e32 v52, v54, v81
	v_cndmask_b32_e64 v6, 0, v53, s[0:1]
	v_cndmask_b32_e32 v5, 0, v5, vcc
	v_add_u32_e32 v50, v52, v29
	v_add_u32_e32 v51, v6, v82
	v_add_u32_e32 v28, v5, v3
	s_branch .LBB586_152
.LBB586_140:
                                        ; implicit-def: $vgpr2
                                        ; implicit-def: $vgpr28
                                        ; implicit-def: $vgpr78_vgpr79
                                        ; implicit-def: $vgpr76_vgpr77
                                        ; implicit-def: $vgpr74_vgpr75
                                        ; implicit-def: $vgpr72_vgpr73
                                        ; implicit-def: $vgpr70_vgpr71
                                        ; implicit-def: $vgpr68_vgpr69
                                        ; implicit-def: $vgpr66_vgpr67
                                        ; implicit-def: $vgpr64_vgpr65
                                        ; implicit-def: $vgpr62_vgpr63
                                        ; implicit-def: $vgpr60_vgpr61
                                        ; implicit-def: $vgpr58_vgpr59
                                        ; implicit-def: $vgpr56_vgpr57
                                        ; implicit-def: $vgpr54_vgpr55
                                        ; implicit-def: $vgpr52_vgpr53
                                        ; implicit-def: $vgpr50_vgpr51
	s_cbranch_execz .LBB586_152
; %bb.141:
	s_and_b64 s[0:1], s[38:39], exec
	s_cselect_b32 s1, 0, s61
	s_cselect_b32 s0, 0, s60
	s_cmp_eq_u64 s[0:1], 0
	s_waitcnt vmcnt(0) lgkmcnt(0)
	v_mov_b32_e32 v6, v46
	s_cbranch_scc1 .LBB586_143
; %bb.142:
	v_mov_b32_e32 v2, 0
	global_load_dword v6, v2, s[0:1]
.LBB586_143:
	v_cmp_eq_u32_e64 s[0:1], 0, v35
	v_cndmask_b32_e64 v2, 0, v46, s[0:1]
	v_add_u32_e32 v2, v2, v48
	v_cmp_eq_u32_e64 s[2:3], 0, v32
	v_cndmask_b32_e64 v2, 0, v2, s[2:3]
	v_add_u32_e32 v2, v2, v47
	;; [unrolled: 3-line block ×11, first 2 shown]
	v_cmp_eq_u32_e64 s[22:23], 0, v81
	v_cndmask_b32_e64 v2, 0, v2, s[22:23]
	v_add3_u32 v3, v86, v31, v26
	v_add_u32_e32 v2, v2, v36
	v_cmp_eq_u32_e32 vcc, 0, v29
	v_add3_u32 v3, v3, v27, v24
	v_cndmask_b32_e32 v2, 0, v2, vcc
	v_add3_u32 v3, v3, v25, v22
	v_add_u32_e32 v2, v2, v82
	v_cmp_eq_u32_e64 s[24:25], 0, v80
	v_add3_u32 v3, v3, v23, v81
	v_cndmask_b32_e64 v2, 0, v2, s[24:25]
	v_add3_u32 v3, v3, v29, v80
	v_add_u32_e32 v2, v2, v37
	v_mbcnt_hi_u32_b32 v7, -1, v85
	v_and_b32_e32 v4, 15, v7
	v_mov_b32_dpp v28, v2 row_shr:1 row_mask:0xf bank_mask:0xf
	v_cmp_eq_u32_e64 s[24:25], 0, v3
	v_mov_b32_dpp v5, v3 row_shr:1 row_mask:0xf bank_mask:0xf
	v_cndmask_b32_e64 v28, 0, v28, s[24:25]
	v_cmp_eq_u32_e64 s[24:25], 0, v4
	v_cndmask_b32_e64 v5, v5, 0, s[24:25]
	v_add_u32_e32 v3, v5, v3
	v_cndmask_b32_e64 v5, v28, 0, s[24:25]
	v_add_u32_e32 v2, v5, v2
	v_cmp_eq_u32_e64 s[24:25], 0, v3
	v_mov_b32_dpp v5, v3 row_shr:2 row_mask:0xf bank_mask:0xf
	v_cmp_lt_u32_e64 s[26:27], 1, v4
	v_mov_b32_dpp v28, v2 row_shr:2 row_mask:0xf bank_mask:0xf
	v_cndmask_b32_e64 v5, 0, v5, s[26:27]
	s_and_b64 s[24:25], s[26:27], s[24:25]
	v_cndmask_b32_e64 v28, 0, v28, s[24:25]
	v_add_u32_e32 v3, v3, v5
	v_add_u32_e32 v2, v28, v2
	v_cmp_eq_u32_e64 s[24:25], 0, v3
	v_mov_b32_dpp v5, v3 row_shr:4 row_mask:0xf bank_mask:0xf
	v_cmp_lt_u32_e64 s[26:27], 3, v4
	v_mov_b32_dpp v28, v2 row_shr:4 row_mask:0xf bank_mask:0xf
	v_cndmask_b32_e64 v5, 0, v5, s[26:27]
	s_and_b64 s[24:25], s[26:27], s[24:25]
	v_cndmask_b32_e64 v28, 0, v28, s[24:25]
	v_add_u32_e32 v3, v5, v3
	v_add_u32_e32 v2, v2, v28
	v_cmp_eq_u32_e64 s[24:25], 0, v3
	v_cmp_lt_u32_e64 s[26:27], 7, v4
	v_mov_b32_dpp v5, v3 row_shr:8 row_mask:0xf bank_mask:0xf
	v_mov_b32_dpp v28, v2 row_shr:8 row_mask:0xf bank_mask:0xf
	s_and_b64 s[24:25], s[26:27], s[24:25]
	v_cndmask_b32_e64 v4, 0, v5, s[26:27]
	v_cndmask_b32_e64 v5, 0, v28, s[24:25]
	v_add_u32_e32 v2, v5, v2
	v_add_u32_e32 v3, v4, v3
	v_bfe_i32 v28, v7, 4, 1
	v_mov_b32_dpp v5, v2 row_bcast:15 row_mask:0xf bank_mask:0xf
	v_mov_b32_dpp v4, v3 row_bcast:15 row_mask:0xf bank_mask:0xf
	v_cmp_eq_u32_e64 s[24:25], 0, v3
	v_cndmask_b32_e64 v5, 0, v5, s[24:25]
	v_and_b32_e32 v4, v28, v4
	v_add_u32_e32 v3, v4, v3
	v_and_b32_e32 v4, v28, v5
	v_add_u32_e32 v4, v4, v2
	v_mov_b32_dpp v2, v3 row_bcast:31 row_mask:0xf bank_mask:0xf
	v_cmp_eq_u32_e64 s[24:25], 0, v3
	v_cmp_lt_u32_e64 s[26:27], 31, v7
	v_mov_b32_dpp v5, v4 row_bcast:31 row_mask:0xf bank_mask:0xf
	v_cndmask_b32_e64 v2, 0, v2, s[26:27]
	s_and_b64 s[24:25], s[26:27], s[24:25]
	v_add_u32_e32 v2, v2, v3
	v_cndmask_b32_e64 v3, 0, v5, s[24:25]
	v_add_u32_e32 v3, v3, v4
	v_cmp_eq_u32_e64 s[24:25], v84, v0
	v_lshlrev_b32_e32 v5, 3, v83
	s_and_saveexec_b64 s[26:27], s[24:25]
	s_cbranch_execz .LBB586_145
; %bb.144:
	ds_write_b64 v5, v[2:3] offset:2064
.LBB586_145:
	s_or_b64 exec, exec, s[26:27]
	v_cmp_gt_u32_e64 s[24:25], 4, v0
	s_waitcnt lgkmcnt(0)
	s_barrier
	s_and_saveexec_b64 s[28:29], s[24:25]
	s_cbranch_execz .LBB586_147
; %bb.146:
	v_lshlrev_b32_e32 v4, 3, v0
	ds_read_b64 v[50:51], v4 offset:2064
	v_and_b32_e32 v28, 3, v7
	v_cmp_lt_u32_e64 s[26:27], 1, v28
	s_waitcnt lgkmcnt(0)
	v_mov_b32_dpp v52, v51 row_shr:1 row_mask:0xf bank_mask:0xf
	v_cmp_eq_u32_e64 s[24:25], 0, v50
	v_mov_b32_dpp v37, v50 row_shr:1 row_mask:0xf bank_mask:0xf
	v_cndmask_b32_e64 v52, 0, v52, s[24:25]
	v_cmp_eq_u32_e64 s[24:25], 0, v28
	v_cndmask_b32_e64 v37, v37, 0, s[24:25]
	v_add_u32_e32 v37, v37, v50
	v_cndmask_b32_e64 v50, v52, 0, s[24:25]
	v_add_u32_e32 v51, v50, v51
	v_cmp_eq_u32_e64 s[24:25], 0, v37
	v_mov_b32_dpp v50, v37 row_shr:2 row_mask:0xf bank_mask:0xf
	v_mov_b32_dpp v52, v51 row_shr:2 row_mask:0xf bank_mask:0xf
	v_cndmask_b32_e64 v28, 0, v50, s[26:27]
	s_and_b64 s[24:25], s[26:27], s[24:25]
	v_add_u32_e32 v50, v28, v37
	v_cndmask_b32_e64 v28, 0, v52, s[24:25]
	v_add_u32_e32 v51, v28, v51
	ds_write_b64 v4, v[50:51] offset:2064
.LBB586_147:
	s_or_b64 exec, exec, s[28:29]
	v_cmp_lt_u32_e64 s[24:25], 63, v0
	v_mov_b32_e32 v28, 0
	v_mov_b32_e32 v4, 0
	s_waitcnt vmcnt(0)
	v_mov_b32_e32 v37, v6
	s_waitcnt lgkmcnt(0)
	s_barrier
	s_and_saveexec_b64 s[26:27], s[24:25]
	s_cbranch_execz .LBB586_149
; %bb.148:
	ds_read_b64 v[4:5], v5 offset:2056
	s_waitcnt lgkmcnt(0)
	v_cmp_eq_u32_e64 s[24:25], 0, v4
	v_cndmask_b32_e64 v37, 0, v6, s[24:25]
	v_add_u32_e32 v37, v37, v5
.LBB586_149:
	s_or_b64 exec, exec, s[26:27]
	v_cmp_eq_u32_e64 s[24:25], 0, v2
	v_add_u32_e32 v5, v4, v2
	v_cndmask_b32_e64 v2, 0, v37, s[24:25]
	v_add_u32_e32 v2, v2, v3
	v_add_u32_e32 v3, -1, v7
	v_and_b32_e32 v50, 64, v7
	v_cmp_lt_i32_e64 s[24:25], v3, v50
	v_cndmask_b32_e64 v3, v3, v7, s[24:25]
	v_lshlrev_b32_e32 v3, 2, v3
	ds_bpermute_b32 v5, v3, v5
	ds_bpermute_b32 v2, v3, v2
	v_cmp_eq_u32_e64 s[24:25], 0, v7
	v_cmp_eq_u32_e64 s[26:27], 0, v34
	s_waitcnt lgkmcnt(1)
	v_cndmask_b32_e64 v3, v5, v4, s[24:25]
	s_waitcnt lgkmcnt(0)
	v_cndmask_b32_e64 v2, v2, v37, s[24:25]
	v_cmp_eq_u32_e64 s[24:25], 0, v0
	v_cndmask_b32_e64 v79, v2, v6, s[24:25]
	v_cndmask_b32_e64 v2, 0, v79, s[26:27]
	v_add_u32_e32 v77, v2, v46
	v_cndmask_b32_e64 v2, 0, v77, s[0:1]
	v_add_u32_e32 v75, v2, v48
	;; [unrolled: 2-line block ×8, first 2 shown]
	v_cndmask_b32_e64 v78, v3, 0, s[24:25]
	v_cndmask_b32_e64 v2, 0, v63, s[14:15]
	v_add_u32_e32 v76, v78, v34
	v_add_u32_e32 v61, v2, v38
	v_add_u32_e32 v74, v76, v35
	v_cndmask_b32_e64 v2, 0, v61, s[16:17]
	v_add_u32_e32 v72, v74, v32
	v_add_u32_e32 v59, v2, v40
	v_add_u32_e32 v70, v72, v33
	;; [unrolled: 4-line block ×3, first 2 shown]
	v_cndmask_b32_e64 v2, 0, v57, s[20:21]
	v_add_u32_e32 v64, v66, v26
	v_add_u32_e32 v55, v2, v41
	ds_read_b64 v[2:3], v28 offset:2088
	v_add_u32_e32 v62, v64, v27
	v_add_u32_e32 v60, v62, v24
	;; [unrolled: 1-line block ×3, first 2 shown]
	v_cndmask_b32_e64 v4, 0, v55, s[22:23]
	v_add_u32_e32 v56, v58, v22
	v_add_u32_e32 v53, v4, v36
	;; [unrolled: 1-line block ×3, first 2 shown]
	v_cndmask_b32_e32 v4, 0, v53, vcc
	s_waitcnt lgkmcnt(0)
	v_cmp_eq_u32_e32 vcc, 0, v2
	v_add_u32_e32 v52, v54, v81
	v_add_u32_e32 v51, v4, v82
	v_cndmask_b32_e32 v4, 0, v6, vcc
	v_add_u32_e32 v50, v52, v29
	v_add_u32_e32 v28, v4, v3
	s_and_saveexec_b64 s[0:1], s[24:25]
	s_cbranch_execz .LBB586_151
; %bb.150:
	s_add_u32 s2, s44, 0x400
	v_and_b32_e32 v3, 0xff000000, v28
	v_and_b32_e32 v4, 0xff0000, v28
	s_addc_u32 s3, s45, 0
	v_or_b32_e32 v3, v4, v3
	v_and_b32_e32 v4, 0xff00, v28
	v_and_b32_e32 v6, 0xff, v28
	v_mov_b32_e32 v5, 0
	v_or3_b32 v3, v3, v4, v6
	v_mov_b32_e32 v4, 2
	v_pk_mov_b32 v[6:7], s[2:3], s[2:3] op_sel:[0,1]
	;;#ASMSTART
	global_store_dwordx4 v[6:7], v[2:5] off	
s_waitcnt vmcnt(0)
	;;#ASMEND
.LBB586_151:
	s_or_b64 exec, exec, s[0:1]
	v_mov_b32_e32 v4, 0
.LBB586_152:
	s_and_b64 s[0:1], s[38:39], exec
	s_cselect_b32 s1, 0, s59
	s_cselect_b32 s0, 0, s58
	s_cmp_eq_u64 s[0:1], 0
	s_waitcnt vmcnt(0) lgkmcnt(0)
	v_pk_mov_b32 v[6:7], 0, 0
	s_barrier
	s_cbranch_scc1 .LBB586_154
; %bb.153:
	v_mov_b32_e32 v3, 0
	global_load_dwordx2 v[6:7], v3, s[0:1]
.LBB586_154:
	s_waitcnt vmcnt(0)
	v_lshlrev_b64 v[36:37], 2, v[6:7]
	v_mov_b32_e32 v3, s43
	v_add_co_u32_e32 v40, vcc, s42, v36
	v_mov_b32_e32 v5, 0
	v_addc_co_u32_e32 v41, vcc, v3, v37, vcc
	v_lshlrev_b64 v[38:39], 2, v[4:5]
	v_add_co_u32_e32 v3, vcc, v40, v38
	v_addc_co_u32_e32 v5, vcc, v41, v39, vcc
	v_cmp_eq_u32_e32 vcc, 0, v34
	v_cndmask_b32_e64 v40, 1, 2, vcc
	v_cmp_eq_u32_e32 vcc, 0, v35
	v_cndmask_b32_e64 v41, 1, 2, vcc
	v_cmp_eq_u32_e32 vcc, 0, v32
	v_and_b32_e32 v40, v41, v40
	v_cndmask_b32_e64 v41, 1, 2, vcc
	v_cmp_eq_u32_e32 vcc, 0, v33
	v_and_b32_e32 v40, v40, v41
	;; [unrolled: 3-line block ×13, first 2 shown]
	v_cndmask_b32_e64 v41, 1, 2, vcc
	s_movk_i32 s30, 0x100
	v_and_b32_e32 v40, v40, v41
	v_cmp_gt_u32_e32 vcc, s30, v2
	v_cmp_ne_u32_e64 s[28:29], 0, v34
	v_cmp_ne_u32_e64 s[26:27], 0, v35
	;; [unrolled: 1-line block ×15, first 2 shown]
	s_mov_b64 s[38:39], -1
	v_cmp_gt_i16_e64 s[30:31], 2, v40
	s_cbranch_vccz .LBB586_161
; %bb.155:
	s_and_saveexec_b64 s[38:39], s[30:31]
	s_cbranch_execz .LBB586_160
; %bb.156:
	v_cmp_ne_u16_e32 vcc, 1, v40
	s_mov_b64 s[40:41], 0
	s_and_saveexec_b64 s[30:31], vcc
	s_xor_b64 s[30:31], exec, s[30:31]
	s_cbranch_execnz .LBB586_250
; %bb.157:
	s_andn2_saveexec_b64 s[30:31], s[30:31]
	s_cbranch_execnz .LBB586_266
.LBB586_158:
	s_or_b64 exec, exec, s[30:31]
	s_and_b64 exec, exec, s[40:41]
	s_cbranch_execz .LBB586_160
.LBB586_159:
	v_sub_u32_e32 v42, v50, v4
	v_mov_b32_e32 v43, 0
	v_lshlrev_b64 v[42:43], 2, v[42:43]
	v_add_co_u32_e32 v42, vcc, v3, v42
	v_addc_co_u32_e32 v43, vcc, v5, v43, vcc
	global_store_dword v[42:43], v1, off
.LBB586_160:
	s_or_b64 exec, exec, s[38:39]
	s_mov_b64 s[38:39], 0
.LBB586_161:
	s_and_b64 vcc, exec, s[38:39]
	s_cbranch_vccz .LBB586_183
; %bb.162:
	v_cmp_gt_i16_e32 vcc, 2, v40
	s_and_saveexec_b64 s[30:31], vcc
	s_cbranch_execz .LBB586_167
; %bb.163:
	v_cmp_ne_u16_e32 vcc, 1, v40
	s_mov_b64 s[40:41], 0
	s_and_saveexec_b64 s[38:39], vcc
	s_xor_b64 s[38:39], exec, s[38:39]
	s_cbranch_execnz .LBB586_267
; %bb.164:
	s_andn2_saveexec_b64 s[0:1], s[38:39]
	s_cbranch_execnz .LBB586_283
.LBB586_165:
	s_or_b64 exec, exec, s[0:1]
	s_and_b64 exec, exec, s[40:41]
	s_cbranch_execz .LBB586_167
.LBB586_166:
	v_sub_u32_e32 v8, v50, v4
	v_lshlrev_b32_e32 v8, 2, v8
	ds_write_b32 v8, v1
.LBB586_167:
	s_or_b64 exec, exec, s[30:31]
	v_cmp_lt_u32_e32 vcc, v0, v2
	s_waitcnt lgkmcnt(0)
	s_barrier
	s_and_saveexec_b64 s[2:3], vcc
	s_cbranch_execz .LBB586_182
; %bb.168:
	v_xad_u32 v1, v0, -1, v2
	s_movk_i32 s0, 0x1700
	v_cmp_gt_u32_e64 s[4:5], s0, v1
	s_movk_i32 s0, 0x16ff
	v_cmp_lt_u32_e32 vcc, s0, v1
	v_mov_b32_e32 v8, v0
	s_and_saveexec_b64 s[6:7], vcc
	s_cbranch_execz .LBB586_179
; %bb.169:
	v_sub_u32_e32 v8, v0, v2
	v_or_b32_e32 v8, 0xff, v8
	v_cmp_ge_u32_e32 vcc, v8, v0
	s_mov_b64 s[0:1], -1
	v_mov_b32_e32 v8, v0
	s_and_saveexec_b64 s[8:9], vcc
	s_cbranch_execz .LBB586_178
; %bb.170:
	v_lshrrev_b32_e32 v12, 8, v1
	v_add_u32_e32 v8, -1, v12
	v_or_b32_e32 v1, 0x100, v0
	v_lshrrev_b32_e32 v9, 1, v8
	v_add_u32_e32 v13, 1, v9
	v_cmp_lt_u32_e32 vcc, 13, v8
	v_mov_b32_e32 v16, 0
	v_pk_mov_b32 v[8:9], v[0:1], v[0:1] op_sel:[0,1]
	s_and_saveexec_b64 s[10:11], vcc
	s_cbranch_execz .LBB586_174
; %bb.171:
	v_and_b32_e32 v14, -8, v13
	v_lshlrev_b32_e32 v15, 2, v0
	s_mov_b32 s14, 0
	s_mov_b64 s[12:13], 0
	v_mov_b32_e32 v11, 0
	v_pk_mov_b32 v[8:9], v[0:1], v[0:1] op_sel:[0,1]
.LBB586_172:                            ; =>This Inner Loop Header: Depth=1
	v_mov_b32_e32 v10, v8
	v_add_u32_e32 v14, -8, v14
	v_lshlrev_b64 v[96:97], 2, v[10:11]
	v_mov_b32_e32 v10, v9
	ds_read2st64_b32 v[18:19], v15 offset1:4
	s_add_i32 s14, s14, 16
	v_cmp_eq_u32_e32 vcc, 0, v14
	v_lshlrev_b64 v[100:101], 2, v[10:11]
	v_add_u32_e32 v10, 0x200, v8
	s_or_b64 s[12:13], vcc, s[12:13]
	v_add_co_u32_e32 v100, vcc, v3, v100
	v_add_u32_e32 v16, 0x200, v9
	v_mov_b32_e32 v17, v11
	ds_read2st64_b32 v[20:21], v15 offset0:8 offset1:12
	ds_read2st64_b32 v[42:43], v15 offset0:16 offset1:20
	v_add_co_u32_e64 v96, s[0:1], v3, v96
	v_addc_co_u32_e32 v101, vcc, v5, v101, vcc
	v_lshlrev_b64 v[102:103], 2, v[10:11]
	v_lshlrev_b64 v[98:99], 2, v[16:17]
	v_addc_co_u32_e64 v97, s[0:1], v5, v97, s[0:1]
	v_add_u32_e32 v10, 0x400, v8
	v_add_co_u32_e32 v102, vcc, v3, v102
	v_add_u32_e32 v40, 0x400, v9
	v_mov_b32_e32 v41, v11
	ds_read2st64_b32 v[46:47], v15 offset0:24 offset1:28
	v_add_co_u32_e64 v98, s[0:1], v3, v98
	v_addc_co_u32_e32 v103, vcc, v5, v103, vcc
	v_lshlrev_b64 v[104:105], 2, v[10:11]
	ds_read2st64_b32 v[82:83], v15 offset0:32 offset1:36
	ds_read2st64_b32 v[86:87], v15 offset0:40 offset1:44
	;; [unrolled: 1-line block ×4, first 2 shown]
	v_lshlrev_b64 v[40:41], 2, v[40:41]
	v_addc_co_u32_e64 v99, s[0:1], v5, v99, s[0:1]
	v_add_u32_e32 v10, 0x600, v8
	s_waitcnt lgkmcnt(7)
	global_store_dword v[96:97], v18, off
	global_store_dword v[100:101], v19, off
	s_waitcnt lgkmcnt(6)
	global_store_dword v[102:103], v20, off
	global_store_dword v[98:99], v21, off
	v_add_co_u32_e32 v18, vcc, v3, v104
	v_add_u32_e32 v44, 0x600, v9
	v_mov_b32_e32 v45, v11
	v_add_co_u32_e64 v40, s[0:1], v3, v40
	v_addc_co_u32_e32 v19, vcc, v5, v105, vcc
	v_lshlrev_b64 v[20:21], 2, v[10:11]
	v_lshlrev_b64 v[44:45], 2, v[44:45]
	v_addc_co_u32_e64 v41, s[0:1], v5, v41, s[0:1]
	v_add_u32_e32 v10, 0x800, v8
	s_waitcnt lgkmcnt(5)
	global_store_dword v[18:19], v42, off
	global_store_dword v[40:41], v43, off
	v_add_co_u32_e32 v18, vcc, v3, v20
	v_add_u32_e32 v48, 0x800, v9
	v_mov_b32_e32 v49, v11
	v_add_co_u32_e64 v44, s[0:1], v3, v44
	v_addc_co_u32_e32 v19, vcc, v5, v21, vcc
	v_lshlrev_b64 v[20:21], 2, v[10:11]
	v_lshlrev_b64 v[48:49], 2, v[48:49]
	v_addc_co_u32_e64 v45, s[0:1], v5, v45, s[0:1]
	v_add_u32_e32 v10, 0xa00, v8
	;; [unrolled: 12-line block ×4, first 2 shown]
	s_waitcnt lgkmcnt(2)
	global_store_dword v[18:19], v86, off
	global_store_dword v[84:85], v87, off
	v_add_co_u32_e32 v18, vcc, v3, v20
	v_add_u32_e32 v92, 0xe00, v9
	v_mov_b32_e32 v93, v11
	v_add_co_u32_e64 v88, s[0:1], v3, v88
	v_addc_co_u32_e32 v19, vcc, v5, v21, vcc
	v_lshlrev_b64 v[20:21], 2, v[10:11]
	v_lshlrev_b64 v[92:93], 2, v[92:93]
	v_addc_co_u32_e64 v89, s[0:1], v5, v89, s[0:1]
	s_waitcnt lgkmcnt(1)
	global_store_dword v[18:19], v90, off
	global_store_dword v[88:89], v91, off
	v_add_co_u32_e32 v18, vcc, v3, v20
	v_add_u32_e32 v15, 0x4000, v15
	v_add_u32_e32 v9, 0x1000, v9
	v_mov_b32_e32 v16, s14
	v_add_co_u32_e64 v92, s[0:1], v3, v92
	v_add_u32_e32 v8, 0x1000, v8
	v_addc_co_u32_e32 v19, vcc, v5, v21, vcc
	v_addc_co_u32_e64 v93, s[0:1], v5, v93, s[0:1]
	s_waitcnt lgkmcnt(0)
	global_store_dword v[18:19], v94, off
	global_store_dword v[92:93], v95, off
	s_andn2_b64 exec, exec, s[12:13]
	s_cbranch_execnz .LBB586_172
; %bb.173:
	s_or_b64 exec, exec, s[12:13]
.LBB586_174:
	s_or_b64 exec, exec, s[10:11]
	v_and_b32_e32 v1, 7, v13
	v_cmp_ne_u32_e32 vcc, 0, v1
	s_and_saveexec_b64 s[10:11], vcc
	s_cbranch_execz .LBB586_177
; %bb.175:
	v_lshlrev_b32_e32 v10, 2, v0
	v_lshl_or_b32 v13, v16, 10, v10
	s_mov_b64 s[12:13], 0
	v_mov_b32_e32 v11, 0
.LBB586_176:                            ; =>This Inner Loop Header: Depth=1
	ds_read2st64_b32 v[14:15], v13 offset1:4
	v_mov_b32_e32 v10, v8
	v_add_u32_e32 v1, -1, v1
	v_lshlrev_b64 v[16:17], 2, v[10:11]
	v_mov_b32_e32 v10, v9
	v_cmp_eq_u32_e32 vcc, 0, v1
	v_add_co_u32_e64 v16, s[0:1], v3, v16
	v_lshlrev_b64 v[18:19], 2, v[10:11]
	v_add_u32_e32 v8, 0x200, v8
	v_add_u32_e32 v13, 0x800, v13
	;; [unrolled: 1-line block ×3, first 2 shown]
	v_addc_co_u32_e64 v17, s[0:1], v5, v17, s[0:1]
	s_or_b64 s[12:13], vcc, s[12:13]
	v_add_co_u32_e32 v18, vcc, v3, v18
	v_addc_co_u32_e32 v19, vcc, v5, v19, vcc
	s_waitcnt lgkmcnt(0)
	global_store_dword v[16:17], v14, off
	global_store_dword v[18:19], v15, off
	s_andn2_b64 exec, exec, s[12:13]
	s_cbranch_execnz .LBB586_176
.LBB586_177:
	s_or_b64 exec, exec, s[10:11]
	v_add_u32_e32 v1, 1, v12
	v_and_b32_e32 v9, 0x1fffffe, v1
	v_cmp_ne_u32_e32 vcc, v1, v9
	v_lshl_or_b32 v8, v9, 8, v0
	s_orn2_b64 s[0:1], vcc, exec
.LBB586_178:
	s_or_b64 exec, exec, s[8:9]
	s_andn2_b64 s[4:5], s[4:5], exec
	s_and_b64 s[0:1], s[0:1], exec
	s_or_b64 s[4:5], s[4:5], s[0:1]
.LBB586_179:
	s_or_b64 exec, exec, s[6:7]
	s_and_b64 exec, exec, s[4:5]
	s_cbranch_execz .LBB586_182
; %bb.180:
	v_lshlrev_b32_e32 v1, 2, v8
	s_mov_b64 s[0:1], 0
	v_mov_b32_e32 v9, 0
.LBB586_181:                            ; =>This Inner Loop Header: Depth=1
	v_lshlrev_b64 v[10:11], 2, v[8:9]
	ds_read_b32 v12, v1
	v_add_co_u32_e32 v10, vcc, v3, v10
	v_add_u32_e32 v8, 0x100, v8
	v_addc_co_u32_e32 v11, vcc, v5, v11, vcc
	v_cmp_ge_u32_e32 vcc, v8, v2
	v_add_u32_e32 v1, 0x400, v1
	s_or_b64 s[0:1], vcc, s[0:1]
	s_waitcnt lgkmcnt(0)
	global_store_dword v[10:11], v12, off
	s_andn2_b64 exec, exec, s[0:1]
	s_cbranch_execnz .LBB586_181
.LBB586_182:
	s_or_b64 exec, exec, s[2:3]
.LBB586_183:
	s_cmpk_lg_i32 s33, 0xf00
	s_cselect_b64 s[0:1], -1, 0
	s_and_b64 s[0:1], s[34:35], s[0:1]
	v_cmp_eq_u32_e32 vcc, 0, v0
	v_cndmask_b32_e64 v8, 0, 1, s[0:1]
	s_and_b64 s[0:1], vcc, s[36:37]
	v_cndmask_b32_e64 v5, v34, 0, s[0:1]
	s_mul_hi_u32 s0, s33, 0x88888889
	s_lshr_b32 s0, s0, 3
	v_mad_i32_i24 v9, v0, -15, s33
	v_cmp_eq_u32_e32 vcc, s0, v0
	v_cmp_ne_u32_e64 s[0:1], 0, v9
	v_cndmask_b32_e64 v10, 1, v5, s[0:1]
	v_cmp_ne_u32_e64 s[0:1], 1, v9
	v_cndmask_b32_e64 v11, 1, v35, s[0:1]
	;; [unrolled: 2-line block ×15, first 2 shown]
	s_and_b64 vcc, s[34:35], vcc
	v_cndmask_b32_e32 v41, v80, v9, vcc
	v_cndmask_b32_e32 v29, v29, v40, vcc
	;; [unrolled: 1-line block ×15, first 2 shown]
	v_mov_b32_e32 v5, s53
	v_add_co_u32_e32 v9, vcc, s52, v36
	v_addc_co_u32_e32 v12, vcc, v5, v37, vcc
	v_cndmask_b32_e64 v1, 0, 1, s[36:37]
	v_add_co_u32_e32 v5, vcc, v9, v38
	v_addc_co_u32_e32 v12, vcc, v12, v39, vcc
	v_lshlrev_b32_e32 v9, 2, v1
	v_add_co_u32_e32 v9, vcc, v9, v5
	v_addc_co_u32_e32 v14, vcc, 0, v12, vcc
	v_add_co_u32_e32 v13, vcc, -4, v9
	v_addc_co_u32_e32 v14, vcc, -1, v14, vcc
	v_cmp_eq_u32_e32 vcc, 0, v10
	v_cmp_ne_u32_e64 s[28:29], 0, v10
	v_cndmask_b32_e64 v10, 1, 2, vcc
	v_cmp_eq_u32_e32 vcc, 0, v11
	v_cmp_ne_u32_e64 s[26:27], 0, v11
	v_cndmask_b32_e64 v11, 1, 2, vcc
	v_cmp_eq_u32_e32 vcc, 0, v24
	v_and_b32_e32 v10, v11, v10
	v_cndmask_b32_e64 v11, 1, 2, vcc
	v_cmp_eq_u32_e32 vcc, 0, v23
	v_and_b32_e32 v10, v10, v11
	;; [unrolled: 3-line block ×11, first 2 shown]
	v_cndmask_b32_e64 v11, 1, 2, vcc
	v_cmp_eq_u32_e32 vcc, 0, v29
	v_sub_u32_e32 v3, v2, v1
	v_and_b32_e32 v10, v10, v11
	v_cndmask_b32_e64 v11, 1, 2, vcc
	v_cmp_eq_u32_e32 vcc, 0, v41
	v_add_u32_e32 v3, v3, v8
	v_and_b32_e32 v10, v10, v11
	v_cndmask_b32_e64 v11, 1, 2, vcc
	s_movk_i32 s30, 0x100
	v_and_b32_e32 v10, v10, v11
	v_cmp_gt_u32_e32 vcc, s30, v3
	v_add_u32_e32 v9, v4, v1
	v_cmp_ne_u32_e64 s[24:25], 0, v24
	v_cmp_ne_u32_e64 s[22:23], 0, v23
	;; [unrolled: 1-line block ×13, first 2 shown]
	s_mov_b64 s[36:37], -1
	v_cmp_gt_i16_e64 s[30:31], 2, v10
	s_barrier
	s_cbranch_vccz .LBB586_190
; %bb.184:
	s_and_saveexec_b64 s[36:37], s[30:31]
	s_cbranch_execz .LBB586_189
; %bb.185:
	v_cmp_ne_u16_e32 vcc, 1, v10
	s_mov_b64 s[38:39], 0
	s_and_saveexec_b64 s[30:31], vcc
	s_xor_b64 s[30:31], exec, s[30:31]
	s_cbranch_execnz .LBB586_284
; %bb.186:
	s_andn2_saveexec_b64 s[30:31], s[30:31]
	s_cbranch_execnz .LBB586_300
.LBB586_187:
	s_or_b64 exec, exec, s[30:31]
	s_and_b64 exec, exec, s[38:39]
	s_cbranch_execz .LBB586_189
.LBB586_188:
	v_sub_u32_e32 v16, v50, v9
	v_mov_b32_e32 v17, 0
	v_lshlrev_b64 v[16:17], 2, v[16:17]
	v_add_co_u32_e32 v16, vcc, v13, v16
	v_addc_co_u32_e32 v17, vcc, v14, v17, vcc
	global_store_dword v[16:17], v51, off
.LBB586_189:
	s_or_b64 exec, exec, s[36:37]
	s_mov_b64 s[36:37], 0
.LBB586_190:
	s_and_b64 vcc, exec, s[36:37]
	s_cbranch_vccz .LBB586_212
; %bb.191:
	v_cmp_gt_i16_e32 vcc, 2, v10
	s_and_saveexec_b64 s[30:31], vcc
	s_cbranch_execz .LBB586_196
; %bb.192:
	v_cmp_ne_u16_e32 vcc, 1, v10
	s_mov_b64 s[38:39], 0
	s_and_saveexec_b64 s[36:37], vcc
	s_xor_b64 s[36:37], exec, s[36:37]
	s_cbranch_execnz .LBB586_301
; %bb.193:
	s_andn2_saveexec_b64 s[0:1], s[36:37]
	s_cbranch_execnz .LBB586_317
.LBB586_194:
	s_or_b64 exec, exec, s[0:1]
	s_and_b64 exec, exec, s[38:39]
	s_cbranch_execz .LBB586_196
.LBB586_195:
	v_sub_u32_e32 v9, v50, v9
	v_lshlrev_b32_e32 v9, 2, v9
	ds_write_b32 v9, v51
.LBB586_196:
	s_or_b64 exec, exec, s[30:31]
	v_cmp_lt_u32_e32 vcc, v0, v3
	s_waitcnt lgkmcnt(0)
	s_barrier
	s_and_saveexec_b64 s[2:3], vcc
	s_cbranch_execz .LBB586_211
; %bb.197:
	v_add_u32_e32 v10, v2, v8
	v_xad_u32 v8, v0, -1, v10
	v_sub_u32_e32 v9, v8, v1
	s_movk_i32 s0, 0x1900
	v_cmp_gt_u32_e64 s[4:5], s0, v9
	s_movk_i32 s0, 0x18ff
	v_cmp_lt_u32_e32 vcc, s0, v9
	v_mov_b32_e32 v8, v0
	s_and_saveexec_b64 s[6:7], vcc
	s_cbranch_execz .LBB586_208
; %bb.198:
	v_sub_u32_e32 v8, v0, v10
	v_add_u32_e32 v1, v8, v1
	v_or_b32_e32 v1, 0xff, v1
	v_cmp_ge_u32_e32 vcc, v1, v0
	s_mov_b64 s[0:1], -1
	v_mov_b32_e32 v8, v0
	s_and_saveexec_b64 s[8:9], vcc
	s_cbranch_execz .LBB586_207
; %bb.199:
	v_lshrrev_b32_e32 v15, 8, v9
	v_add_u32_e32 v8, -1, v15
	v_or_b32_e32 v1, 0x100, v0
	v_lshrrev_b32_e32 v9, 1, v8
	v_add_u32_e32 v17, 1, v9
	v_cmp_lt_u32_e32 vcc, 13, v8
	v_mov_b32_e32 v20, 0
	v_lshlrev_b32_e32 v16, 2, v0
	v_pk_mov_b32 v[8:9], v[0:1], v[0:1] op_sel:[0,1]
	s_and_saveexec_b64 s[10:11], vcc
	s_cbranch_execz .LBB586_203
; %bb.200:
	v_and_b32_e32 v18, -8, v17
	s_mov_b32 s14, 0
	s_mov_b64 s[12:13], 0
	v_mov_b32_e32 v11, 0
	v_mov_b32_e32 v19, v16
	v_pk_mov_b32 v[8:9], v[0:1], v[0:1] op_sel:[0,1]
.LBB586_201:                            ; =>This Inner Loop Header: Depth=1
	v_mov_b32_e32 v10, v8
	v_add_u32_e32 v18, -8, v18
	v_lshlrev_b64 v[52:53], 2, v[10:11]
	v_mov_b32_e32 v10, v9
	ds_read2st64_b32 v[22:23], v19 offset1:4
	s_add_i32 s14, s14, 16
	v_cmp_eq_u32_e32 vcc, 0, v18
	v_lshlrev_b64 v[56:57], 2, v[10:11]
	v_add_u32_e32 v10, 0x200, v8
	s_or_b64 s[12:13], vcc, s[12:13]
	v_add_co_u32_e32 v56, vcc, v13, v56
	v_add_u32_e32 v20, 0x200, v9
	v_mov_b32_e32 v21, v11
	ds_read2st64_b32 v[24:25], v19 offset0:8 offset1:12
	ds_read2st64_b32 v[30:31], v19 offset0:16 offset1:20
	v_add_co_u32_e64 v52, s[0:1], v13, v52
	v_addc_co_u32_e32 v57, vcc, v14, v57, vcc
	v_lshlrev_b64 v[58:59], 2, v[10:11]
	v_lshlrev_b64 v[54:55], 2, v[20:21]
	v_addc_co_u32_e64 v53, s[0:1], v14, v53, s[0:1]
	v_add_u32_e32 v10, 0x400, v8
	v_add_co_u32_e32 v58, vcc, v13, v58
	v_add_u32_e32 v26, 0x400, v9
	v_mov_b32_e32 v27, v11
	ds_read2st64_b32 v[34:35], v19 offset0:24 offset1:28
	v_add_co_u32_e64 v54, s[0:1], v13, v54
	v_addc_co_u32_e32 v59, vcc, v14, v59, vcc
	v_lshlrev_b64 v[60:61], 2, v[10:11]
	ds_read2st64_b32 v[38:39], v19 offset0:32 offset1:36
	ds_read2st64_b32 v[42:43], v19 offset0:40 offset1:44
	;; [unrolled: 1-line block ×4, first 2 shown]
	v_lshlrev_b64 v[26:27], 2, v[26:27]
	v_addc_co_u32_e64 v55, s[0:1], v14, v55, s[0:1]
	v_add_u32_e32 v10, 0x600, v8
	s_waitcnt lgkmcnt(7)
	global_store_dword v[52:53], v22, off
	global_store_dword v[56:57], v23, off
	s_waitcnt lgkmcnt(6)
	global_store_dword v[58:59], v24, off
	global_store_dword v[54:55], v25, off
	v_add_co_u32_e32 v22, vcc, v13, v60
	v_add_u32_e32 v32, 0x600, v9
	v_mov_b32_e32 v33, v11
	v_add_co_u32_e64 v26, s[0:1], v13, v26
	v_addc_co_u32_e32 v23, vcc, v14, v61, vcc
	v_lshlrev_b64 v[24:25], 2, v[10:11]
	v_lshlrev_b64 v[32:33], 2, v[32:33]
	v_addc_co_u32_e64 v27, s[0:1], v14, v27, s[0:1]
	v_add_u32_e32 v10, 0x800, v8
	s_waitcnt lgkmcnt(5)
	global_store_dword v[22:23], v30, off
	global_store_dword v[26:27], v31, off
	v_add_co_u32_e32 v22, vcc, v13, v24
	v_add_u32_e32 v36, 0x800, v9
	v_mov_b32_e32 v37, v11
	v_add_co_u32_e64 v32, s[0:1], v13, v32
	v_addc_co_u32_e32 v23, vcc, v14, v25, vcc
	v_lshlrev_b64 v[24:25], 2, v[10:11]
	v_lshlrev_b64 v[36:37], 2, v[36:37]
	v_addc_co_u32_e64 v33, s[0:1], v14, v33, s[0:1]
	v_add_u32_e32 v10, 0xa00, v8
	;; [unrolled: 12-line block ×4, first 2 shown]
	s_waitcnt lgkmcnt(2)
	global_store_dword v[22:23], v42, off
	global_store_dword v[40:41], v43, off
	v_add_co_u32_e32 v22, vcc, v13, v24
	v_add_u32_e32 v48, 0xe00, v9
	v_mov_b32_e32 v49, v11
	v_add_co_u32_e64 v44, s[0:1], v13, v44
	v_addc_co_u32_e32 v23, vcc, v14, v25, vcc
	v_lshlrev_b64 v[24:25], 2, v[10:11]
	v_lshlrev_b64 v[48:49], 2, v[48:49]
	v_addc_co_u32_e64 v45, s[0:1], v14, v45, s[0:1]
	s_waitcnt lgkmcnt(1)
	global_store_dword v[22:23], v46, off
	global_store_dword v[44:45], v47, off
	v_add_co_u32_e32 v22, vcc, v13, v24
	v_add_u32_e32 v19, 0x4000, v19
	v_add_u32_e32 v9, 0x1000, v9
	v_mov_b32_e32 v20, s14
	v_add_co_u32_e64 v48, s[0:1], v13, v48
	v_add_u32_e32 v8, 0x1000, v8
	v_addc_co_u32_e32 v23, vcc, v14, v25, vcc
	v_addc_co_u32_e64 v49, s[0:1], v14, v49, s[0:1]
	s_waitcnt lgkmcnt(0)
	global_store_dword v[22:23], v50, off
	global_store_dword v[48:49], v51, off
	s_andn2_b64 exec, exec, s[12:13]
	s_cbranch_execnz .LBB586_201
; %bb.202:
	s_or_b64 exec, exec, s[12:13]
.LBB586_203:
	s_or_b64 exec, exec, s[10:11]
	v_and_b32_e32 v1, 7, v17
	v_cmp_ne_u32_e32 vcc, 0, v1
	s_and_saveexec_b64 s[10:11], vcc
	s_cbranch_execz .LBB586_206
; %bb.204:
	v_lshl_or_b32 v16, v20, 10, v16
	s_mov_b64 s[12:13], 0
	v_mov_b32_e32 v11, 0
.LBB586_205:                            ; =>This Inner Loop Header: Depth=1
	ds_read2st64_b32 v[18:19], v16 offset1:4
	v_mov_b32_e32 v10, v8
	v_add_u32_e32 v1, -1, v1
	v_lshlrev_b64 v[20:21], 2, v[10:11]
	v_mov_b32_e32 v10, v9
	v_cmp_eq_u32_e32 vcc, 0, v1
	v_add_co_u32_e64 v20, s[0:1], v13, v20
	v_lshlrev_b64 v[22:23], 2, v[10:11]
	v_add_u32_e32 v8, 0x200, v8
	v_add_u32_e32 v16, 0x800, v16
	;; [unrolled: 1-line block ×3, first 2 shown]
	v_addc_co_u32_e64 v21, s[0:1], v14, v21, s[0:1]
	s_or_b64 s[12:13], vcc, s[12:13]
	v_add_co_u32_e32 v22, vcc, v13, v22
	v_addc_co_u32_e32 v23, vcc, v14, v23, vcc
	s_waitcnt lgkmcnt(0)
	global_store_dword v[20:21], v18, off
	global_store_dword v[22:23], v19, off
	s_andn2_b64 exec, exec, s[12:13]
	s_cbranch_execnz .LBB586_205
.LBB586_206:
	s_or_b64 exec, exec, s[10:11]
	v_add_u32_e32 v1, 1, v15
	v_and_b32_e32 v9, 0x1fffffe, v1
	v_cmp_ne_u32_e32 vcc, v1, v9
	v_lshl_or_b32 v8, v9, 8, v0
	s_orn2_b64 s[0:1], vcc, exec
.LBB586_207:
	s_or_b64 exec, exec, s[8:9]
	s_andn2_b64 s[4:5], s[4:5], exec
	s_and_b64 s[0:1], s[0:1], exec
	s_or_b64 s[4:5], s[4:5], s[0:1]
.LBB586_208:
	s_or_b64 exec, exec, s[6:7]
	s_and_b64 exec, exec, s[4:5]
	s_cbranch_execz .LBB586_211
; %bb.209:
	v_lshlrev_b32_e32 v1, 2, v8
	s_mov_b64 s[0:1], 0
	v_mov_b32_e32 v9, 0
.LBB586_210:                            ; =>This Inner Loop Header: Depth=1
	v_lshlrev_b64 v[10:11], 2, v[8:9]
	ds_read_b32 v15, v1
	v_add_co_u32_e32 v10, vcc, v13, v10
	v_add_u32_e32 v8, 0x100, v8
	v_addc_co_u32_e32 v11, vcc, v14, v11, vcc
	v_cmp_ge_u32_e32 vcc, v8, v3
	v_add_u32_e32 v1, 0x400, v1
	s_or_b64 s[0:1], vcc, s[0:1]
	s_waitcnt lgkmcnt(0)
	global_store_dword v[10:11], v15, off
	s_andn2_b64 exec, exec, s[0:1]
	s_cbranch_execnz .LBB586_210
.LBB586_211:
	s_or_b64 exec, exec, s[2:3]
.LBB586_212:
	s_movk_i32 s0, 0xff
	v_cmp_eq_u32_e32 vcc, s0, v0
	s_and_b64 s[0:1], vcc, s[34:35]
	s_and_saveexec_b64 s[2:3], s[0:1]
	s_cbranch_execz .LBB586_215
; %bb.213:
	v_add_co_u32_e32 v0, vcc, v2, v4
	v_addc_co_u32_e64 v1, s[0:1], 0, 0, vcc
	v_add_co_u32_e32 v0, vcc, v0, v6
	v_mov_b32_e32 v3, 0
	v_addc_co_u32_e32 v1, vcc, v1, v7, vcc
	s_cmpk_lg_i32 s33, 0xf00
	global_store_dwordx2 v3, v[0:1], s[54:55]
	s_cbranch_scc1 .LBB586_215
; %bb.214:
	v_lshlrev_b64 v[0:1], 2, v[2:3]
	v_add_co_u32_e32 v0, vcc, v5, v0
	v_addc_co_u32_e32 v1, vcc, v12, v1, vcc
	global_store_dword v[0:1], v28, off offset:-4
.LBB586_215:
	s_endpgm
.LBB586_216:
                                        ; implicit-def: $sgpr4_sgpr5
                                        ; implicit-def: $vgpr80
                                        ; implicit-def: $vgpr5
                                        ; implicit-def: $vgpr81
                                        ; implicit-def: $vgpr23
                                        ; implicit-def: $vgpr22
                                        ; implicit-def: $vgpr25
                                        ; implicit-def: $vgpr24
                                        ; implicit-def: $vgpr27
                                        ; implicit-def: $vgpr26
                                        ; implicit-def: $vgpr31
                                        ; implicit-def: $vgpr30
                                        ; implicit-def: $vgpr33
                                        ; implicit-def: $vgpr32
                                        ; implicit-def: $vgpr35
	s_cbranch_execz .LBB586_110
.LBB586_217:
	v_mov_b32_e32 v29, 0
	v_lshlrev_b32_e32 v4, 2, v0
	v_cmp_gt_u64_e32 vcc, s[2:3], v[28:29]
	v_mov_b32_e32 v80, 0
	ds_write_b32 v4, v1
	s_and_saveexec_b64 s[4:5], vcc
	s_cbranch_execz .LBB586_219
; %bb.218:
	s_mov_b32 s7, 0x66666667
	v_mul_hi_i32 v3, v9, s7
	v_lshrrev_b32_e32 v5, 31, v3
	v_ashrrev_i32_e32 v3, 2, v3
	v_add_u32_e32 v3, v3, v5
	v_mul_hi_i32 v5, v1, s7
	s_waitcnt vmcnt(0) lgkmcnt(0)
	v_lshrrev_b32_e32 v6, 31, v5
	v_ashrrev_i32_e32 v5, 2, v5
	v_add_u32_e32 v5, v5, v6
	v_cmp_ne_u32_e32 vcc, v3, v5
	v_cndmask_b32_e64 v80, 0, 1, vcc
.LBB586_219:
	s_or_b64 exec, exec, s[4:5]
	v_add_u32_e32 v28, 13, v2
	v_cmp_gt_u64_e32 vcc, s[2:3], v[28:29]
	s_and_saveexec_b64 s[4:5], vcc
	s_cbranch_execz .LBB586_221
; %bb.220:
	s_mov_b32 s7, 0x66666667
	v_mul_hi_i32 v3, v8, s7
	v_lshrrev_b32_e32 v5, 31, v3
	v_ashrrev_i32_e32 v3, 2, v3
	v_add_u32_e32 v3, v3, v5
	v_mul_hi_i32 v5, v9, s7
	s_waitcnt vmcnt(0) lgkmcnt(0)
	v_lshrrev_b32_e32 v6, 31, v5
	v_ashrrev_i32_e32 v5, 2, v5
	v_add_u32_e32 v5, v5, v6
	v_cmp_ne_u32_e32 vcc, v3, v5
	v_cndmask_b32_e64 v29, 0, 1, vcc
.LBB586_221:
	s_or_b64 exec, exec, s[4:5]
	v_add_u32_e32 v22, 12, v2
	v_mov_b32_e32 v23, 0
	v_cmp_gt_u64_e32 vcc, s[2:3], v[22:23]
	v_mov_b32_e32 v81, 0
	s_and_saveexec_b64 s[4:5], vcc
	s_cbranch_execz .LBB586_223
; %bb.222:
	s_mov_b32 s7, 0x66666667
	v_mul_hi_i32 v3, v11, s7
	v_lshrrev_b32_e32 v5, 31, v3
	v_ashrrev_i32_e32 v3, 2, v3
	v_add_u32_e32 v3, v3, v5
	v_mul_hi_i32 v5, v8, s7
	s_waitcnt vmcnt(0) lgkmcnt(0)
	v_lshrrev_b32_e32 v6, 31, v5
	v_ashrrev_i32_e32 v5, 2, v5
	v_add_u32_e32 v5, v5, v6
	v_cmp_ne_u32_e32 vcc, v3, v5
	v_cndmask_b32_e64 v81, 0, 1, vcc
.LBB586_223:
	s_or_b64 exec, exec, s[4:5]
	v_add_u32_e32 v22, 11, v2
	v_cmp_gt_u64_e32 vcc, s[2:3], v[22:23]
	s_and_saveexec_b64 s[4:5], vcc
	s_cbranch_execz .LBB586_225
; %bb.224:
	s_mov_b32 s7, 0x66666667
	v_mul_hi_i32 v3, v10, s7
	v_lshrrev_b32_e32 v5, 31, v3
	v_ashrrev_i32_e32 v3, 2, v3
	v_add_u32_e32 v3, v3, v5
	v_mul_hi_i32 v5, v11, s7
	s_waitcnt vmcnt(0) lgkmcnt(0)
	v_lshrrev_b32_e32 v6, 31, v5
	v_ashrrev_i32_e32 v5, 2, v5
	v_add_u32_e32 v5, v5, v6
	v_cmp_ne_u32_e32 vcc, v3, v5
	v_cndmask_b32_e64 v23, 0, 1, vcc
.LBB586_225:
	s_or_b64 exec, exec, s[4:5]
	v_add_u32_e32 v24, 10, v2
	v_mov_b32_e32 v25, 0
	v_cmp_gt_u64_e32 vcc, s[2:3], v[24:25]
	v_mov_b32_e32 v22, 0
	;; [unrolled: 40-line block ×6, first 2 shown]
	s_and_saveexec_b64 s[4:5], vcc
	s_cbranch_execz .LBB586_243
; %bb.242:
	s_mov_b32 s7, 0x66666667
	v_mul_hi_i32 v3, v21, s7
	v_lshrrev_b32_e32 v5, 31, v3
	v_ashrrev_i32_e32 v3, 2, v3
	v_add_u32_e32 v3, v3, v5
	v_mul_hi_i32 v5, v18, s7
	s_waitcnt vmcnt(0) lgkmcnt(0)
	v_lshrrev_b32_e32 v6, 31, v5
	v_ashrrev_i32_e32 v5, 2, v5
	v_add_u32_e32 v5, v5, v6
	v_cmp_ne_u32_e32 vcc, v3, v5
	v_cndmask_b32_e64 v32, 0, 1, vcc
.LBB586_243:
	s_or_b64 exec, exec, s[4:5]
	v_add_u32_e32 v34, 1, v2
	v_cmp_gt_u64_e32 vcc, s[2:3], v[34:35]
	s_and_saveexec_b64 s[4:5], vcc
	s_cbranch_execz .LBB586_245
; %bb.244:
	s_mov_b32 s7, 0x66666667
	v_mul_hi_i32 v3, v20, s7
	v_lshrrev_b32_e32 v5, 31, v3
	v_ashrrev_i32_e32 v3, 2, v3
	v_add_u32_e32 v3, v3, v5
	v_mul_hi_i32 v5, v21, s7
	s_waitcnt vmcnt(0) lgkmcnt(0)
	v_lshrrev_b32_e32 v6, 31, v5
	v_ashrrev_i32_e32 v5, 2, v5
	v_add_u32_e32 v5, v5, v6
	v_cmp_ne_u32_e32 vcc, v3, v5
	v_cndmask_b32_e64 v35, 0, 1, vcc
.LBB586_245:
	s_or_b64 exec, exec, s[4:5]
	v_cmp_ne_u32_e32 vcc, 0, v0
	s_waitcnt lgkmcnt(0)
	s_barrier
	s_waitcnt lgkmcnt(0)
                                        ; implicit-def: $sgpr4_sgpr5
	s_and_saveexec_b64 s[8:9], vcc
	s_cbranch_execz .LBB586_249
; %bb.246:
	v_mov_b32_e32 v3, 0
	v_cmp_gt_u64_e32 vcc, s[2:3], v[2:3]
	s_mov_b64 s[4:5], 0
	s_and_saveexec_b64 s[2:3], vcc
	s_cbranch_execz .LBB586_248
; %bb.247:
	v_add_u32_e32 v2, -4, v4
	ds_read_b32 v2, v2
	s_mov_b32 s4, 0x66666667
	v_mul_hi_i32 v3, v20, s4
	v_lshrrev_b32_e32 v4, 31, v3
	v_ashrrev_i32_e32 v3, 2, v3
	s_waitcnt lgkmcnt(0)
	v_mul_hi_i32 v2, v2, s4
	v_lshrrev_b32_e32 v5, 31, v2
	v_ashrrev_i32_e32 v2, 2, v2
	v_add_u32_e32 v2, v2, v5
	v_add_u32_e32 v3, v3, v4
	v_cmp_ne_u32_e32 vcc, v2, v3
	s_and_b64 s[4:5], vcc, exec
.LBB586_248:
	s_or_b64 exec, exec, s[2:3]
	s_and_b64 s[4:5], s[4:5], exec
	s_or_b64 s[0:1], s[0:1], exec
.LBB586_249:
	s_or_b64 exec, exec, s[8:9]
	s_mov_b32 s10, 1
	v_mov_b32_e32 v5, v29
	v_mov_b32_e32 v34, s10
	s_and_saveexec_b64 s[2:3], s[0:1]
	s_cbranch_execnz .LBB586_112
	s_branch .LBB586_113
.LBB586_250:
	s_and_saveexec_b64 s[40:41], s[28:29]
	s_cbranch_execnz .LBB586_318
; %bb.251:
	s_or_b64 exec, exec, s[40:41]
	s_and_saveexec_b64 s[40:41], s[26:27]
	s_cbranch_execnz .LBB586_319
.LBB586_252:
	s_or_b64 exec, exec, s[40:41]
	s_and_saveexec_b64 s[40:41], s[24:25]
	s_cbranch_execnz .LBB586_320
.LBB586_253:
	s_or_b64 exec, exec, s[40:41]
	s_and_saveexec_b64 s[40:41], s[22:23]
	s_cbranch_execnz .LBB586_321
.LBB586_254:
	s_or_b64 exec, exec, s[40:41]
	s_and_saveexec_b64 s[40:41], s[20:21]
	s_cbranch_execnz .LBB586_322
.LBB586_255:
	s_or_b64 exec, exec, s[40:41]
	s_and_saveexec_b64 s[40:41], s[18:19]
	s_cbranch_execnz .LBB586_323
.LBB586_256:
	s_or_b64 exec, exec, s[40:41]
	s_and_saveexec_b64 s[40:41], s[16:17]
	s_cbranch_execnz .LBB586_324
.LBB586_257:
	s_or_b64 exec, exec, s[40:41]
	s_and_saveexec_b64 s[40:41], s[14:15]
	s_cbranch_execnz .LBB586_325
.LBB586_258:
	s_or_b64 exec, exec, s[40:41]
	s_and_saveexec_b64 s[40:41], s[12:13]
	s_cbranch_execnz .LBB586_326
.LBB586_259:
	s_or_b64 exec, exec, s[40:41]
	s_and_saveexec_b64 s[40:41], s[10:11]
	s_cbranch_execnz .LBB586_327
.LBB586_260:
	s_or_b64 exec, exec, s[40:41]
	s_and_saveexec_b64 s[40:41], s[8:9]
	s_cbranch_execnz .LBB586_328
.LBB586_261:
	s_or_b64 exec, exec, s[40:41]
	s_and_saveexec_b64 s[40:41], s[6:7]
	s_cbranch_execnz .LBB586_329
.LBB586_262:
	s_or_b64 exec, exec, s[40:41]
	s_and_saveexec_b64 s[40:41], s[4:5]
	s_cbranch_execnz .LBB586_330
.LBB586_263:
	s_or_b64 exec, exec, s[40:41]
	s_and_saveexec_b64 s[40:41], s[2:3]
	s_cbranch_execz .LBB586_265
.LBB586_264:
	v_sub_u32_e32 v42, v52, v4
	v_mov_b32_e32 v43, 0
	v_lshlrev_b64 v[42:43], 2, v[42:43]
	v_add_co_u32_e32 v42, vcc, v3, v42
	v_addc_co_u32_e32 v43, vcc, v5, v43, vcc
	global_store_dword v[42:43], v9, off
.LBB586_265:
	s_or_b64 exec, exec, s[40:41]
	s_and_b64 s[40:41], s[0:1], exec
	s_andn2_saveexec_b64 s[30:31], s[30:31]
	s_cbranch_execz .LBB586_158
.LBB586_266:
	v_sub_u32_e32 v42, v78, v4
	v_mov_b32_e32 v43, 0
	v_lshlrev_b64 v[44:45], 2, v[42:43]
	v_add_co_u32_e32 v44, vcc, v3, v44
	v_addc_co_u32_e32 v45, vcc, v5, v45, vcc
	v_sub_u32_e32 v42, v76, v4
	global_store_dword v[44:45], v20, off
	v_lshlrev_b64 v[44:45], 2, v[42:43]
	v_add_co_u32_e32 v44, vcc, v3, v44
	v_addc_co_u32_e32 v45, vcc, v5, v45, vcc
	v_sub_u32_e32 v42, v74, v4
	global_store_dword v[44:45], v21, off
	;; [unrolled: 5-line block ×12, first 2 shown]
	v_lshlrev_b64 v[44:45], 2, v[42:43]
	v_add_co_u32_e32 v44, vcc, v3, v44
	v_sub_u32_e32 v42, v52, v4
	v_addc_co_u32_e32 v45, vcc, v5, v45, vcc
	v_lshlrev_b64 v[42:43], 2, v[42:43]
	v_add_co_u32_e32 v42, vcc, v3, v42
	v_addc_co_u32_e32 v43, vcc, v5, v43, vcc
	s_or_b64 s[40:41], s[40:41], exec
	global_store_dword v[44:45], v8, off
	global_store_dword v[42:43], v9, off
	s_or_b64 exec, exec, s[30:31]
	s_and_b64 exec, exec, s[40:41]
	s_cbranch_execnz .LBB586_159
	s_branch .LBB586_160
.LBB586_267:
	s_and_saveexec_b64 s[40:41], s[28:29]
	s_cbranch_execnz .LBB586_331
; %bb.268:
	s_or_b64 exec, exec, s[40:41]
	s_and_saveexec_b64 s[28:29], s[26:27]
	s_cbranch_execnz .LBB586_332
.LBB586_269:
	s_or_b64 exec, exec, s[28:29]
	s_and_saveexec_b64 s[26:27], s[24:25]
	s_cbranch_execnz .LBB586_333
.LBB586_270:
	s_or_b64 exec, exec, s[26:27]
	s_and_saveexec_b64 s[24:25], s[22:23]
	s_cbranch_execnz .LBB586_334
.LBB586_271:
	s_or_b64 exec, exec, s[24:25]
	s_and_saveexec_b64 s[22:23], s[20:21]
	s_cbranch_execnz .LBB586_335
.LBB586_272:
	s_or_b64 exec, exec, s[22:23]
	s_and_saveexec_b64 s[20:21], s[18:19]
	s_cbranch_execnz .LBB586_336
.LBB586_273:
	s_or_b64 exec, exec, s[20:21]
	s_and_saveexec_b64 s[18:19], s[16:17]
	s_cbranch_execnz .LBB586_337
.LBB586_274:
	s_or_b64 exec, exec, s[18:19]
	s_and_saveexec_b64 s[16:17], s[14:15]
	s_cbranch_execnz .LBB586_338
.LBB586_275:
	s_or_b64 exec, exec, s[16:17]
	s_and_saveexec_b64 s[14:15], s[12:13]
	s_cbranch_execnz .LBB586_339
.LBB586_276:
	s_or_b64 exec, exec, s[14:15]
	s_and_saveexec_b64 s[12:13], s[10:11]
	s_cbranch_execnz .LBB586_340
.LBB586_277:
	s_or_b64 exec, exec, s[12:13]
	s_and_saveexec_b64 s[10:11], s[8:9]
	s_cbranch_execnz .LBB586_341
.LBB586_278:
	s_or_b64 exec, exec, s[10:11]
	s_and_saveexec_b64 s[8:9], s[6:7]
	s_cbranch_execnz .LBB586_342
.LBB586_279:
	s_or_b64 exec, exec, s[8:9]
	s_and_saveexec_b64 s[6:7], s[4:5]
	s_cbranch_execnz .LBB586_343
.LBB586_280:
	s_or_b64 exec, exec, s[6:7]
	s_and_saveexec_b64 s[4:5], s[2:3]
	s_cbranch_execz .LBB586_282
.LBB586_281:
	v_sub_u32_e32 v8, v52, v4
	v_lshlrev_b32_e32 v8, 2, v8
	ds_write_b32 v8, v9
.LBB586_282:
	s_or_b64 exec, exec, s[4:5]
	s_and_b64 s[40:41], s[0:1], exec
                                        ; implicit-def: $vgpr20_vgpr21
                                        ; implicit-def: $vgpr18_vgpr19
                                        ; implicit-def: $vgpr16_vgpr17
                                        ; implicit-def: $vgpr14_vgpr15
                                        ; implicit-def: $vgpr12_vgpr13
                                        ; implicit-def: $vgpr10_vgpr11
                                        ; implicit-def: $vgpr8_vgpr9
	s_andn2_saveexec_b64 s[0:1], s[38:39]
	s_cbranch_execz .LBB586_165
.LBB586_283:
	v_sub_u32_e32 v40, v78, v4
	v_lshlrev_b32_e32 v40, 2, v40
	ds_write_b32 v40, v20
	v_sub_u32_e32 v20, v76, v4
	v_lshlrev_b32_e32 v20, 2, v20
	ds_write_b32 v20, v21
	;; [unrolled: 3-line block ×13, first 2 shown]
	v_sub_u32_e32 v8, v52, v4
	v_lshlrev_b32_e32 v8, 2, v8
	s_or_b64 s[40:41], s[40:41], exec
	ds_write_b32 v8, v9
	s_or_b64 exec, exec, s[0:1]
	s_and_b64 exec, exec, s[40:41]
	s_cbranch_execnz .LBB586_166
	s_branch .LBB586_167
.LBB586_284:
	s_and_saveexec_b64 s[38:39], s[28:29]
	s_cbranch_execnz .LBB586_344
; %bb.285:
	s_or_b64 exec, exec, s[38:39]
	s_and_saveexec_b64 s[38:39], s[26:27]
	s_cbranch_execnz .LBB586_345
.LBB586_286:
	s_or_b64 exec, exec, s[38:39]
	s_and_saveexec_b64 s[38:39], s[24:25]
	s_cbranch_execnz .LBB586_346
.LBB586_287:
	s_or_b64 exec, exec, s[38:39]
	s_and_saveexec_b64 s[38:39], s[22:23]
	s_cbranch_execnz .LBB586_347
.LBB586_288:
	s_or_b64 exec, exec, s[38:39]
	s_and_saveexec_b64 s[38:39], s[20:21]
	s_cbranch_execnz .LBB586_348
.LBB586_289:
	s_or_b64 exec, exec, s[38:39]
	s_and_saveexec_b64 s[38:39], s[18:19]
	s_cbranch_execnz .LBB586_349
.LBB586_290:
	s_or_b64 exec, exec, s[38:39]
	s_and_saveexec_b64 s[38:39], s[16:17]
	s_cbranch_execnz .LBB586_350
.LBB586_291:
	s_or_b64 exec, exec, s[38:39]
	s_and_saveexec_b64 s[38:39], s[14:15]
	s_cbranch_execnz .LBB586_351
.LBB586_292:
	s_or_b64 exec, exec, s[38:39]
	s_and_saveexec_b64 s[38:39], s[12:13]
	s_cbranch_execnz .LBB586_352
.LBB586_293:
	s_or_b64 exec, exec, s[38:39]
	s_and_saveexec_b64 s[38:39], s[10:11]
	s_cbranch_execnz .LBB586_353
.LBB586_294:
	s_or_b64 exec, exec, s[38:39]
	s_and_saveexec_b64 s[38:39], s[8:9]
	s_cbranch_execnz .LBB586_354
.LBB586_295:
	s_or_b64 exec, exec, s[38:39]
	s_and_saveexec_b64 s[38:39], s[6:7]
	s_cbranch_execnz .LBB586_355
.LBB586_296:
	s_or_b64 exec, exec, s[38:39]
	s_and_saveexec_b64 s[38:39], s[4:5]
	s_cbranch_execnz .LBB586_356
.LBB586_297:
	s_or_b64 exec, exec, s[38:39]
	s_and_saveexec_b64 s[38:39], s[2:3]
	s_cbranch_execz .LBB586_299
.LBB586_298:
	v_sub_u32_e32 v16, v52, v9
	v_mov_b32_e32 v17, 0
	v_lshlrev_b64 v[16:17], 2, v[16:17]
	v_add_co_u32_e32 v16, vcc, v13, v16
	v_addc_co_u32_e32 v17, vcc, v14, v17, vcc
	global_store_dword v[16:17], v53, off
.LBB586_299:
	s_or_b64 exec, exec, s[38:39]
	s_and_b64 s[38:39], s[0:1], exec
	s_andn2_saveexec_b64 s[30:31], s[30:31]
	s_cbranch_execz .LBB586_187
.LBB586_300:
	v_sub_u32_e32 v16, v78, v9
	v_mov_b32_e32 v17, 0
	v_lshlrev_b64 v[18:19], 2, v[16:17]
	v_add_co_u32_e32 v18, vcc, v13, v18
	v_addc_co_u32_e32 v19, vcc, v14, v19, vcc
	v_sub_u32_e32 v16, v76, v9
	global_store_dword v[18:19], v79, off
	v_lshlrev_b64 v[18:19], 2, v[16:17]
	v_add_co_u32_e32 v18, vcc, v13, v18
	v_addc_co_u32_e32 v19, vcc, v14, v19, vcc
	v_sub_u32_e32 v16, v74, v9
	global_store_dword v[18:19], v77, off
	;; [unrolled: 5-line block ×12, first 2 shown]
	v_lshlrev_b64 v[18:19], 2, v[16:17]
	v_add_co_u32_e32 v18, vcc, v13, v18
	v_sub_u32_e32 v16, v52, v9
	v_addc_co_u32_e32 v19, vcc, v14, v19, vcc
	v_lshlrev_b64 v[16:17], 2, v[16:17]
	v_add_co_u32_e32 v16, vcc, v13, v16
	v_addc_co_u32_e32 v17, vcc, v14, v17, vcc
	s_or_b64 s[38:39], s[38:39], exec
	global_store_dword v[18:19], v55, off
	global_store_dword v[16:17], v53, off
	s_or_b64 exec, exec, s[30:31]
	s_and_b64 exec, exec, s[38:39]
	s_cbranch_execnz .LBB586_188
	s_branch .LBB586_189
.LBB586_301:
	s_and_saveexec_b64 s[38:39], s[28:29]
	s_cbranch_execnz .LBB586_357
; %bb.302:
	s_or_b64 exec, exec, s[38:39]
	s_and_saveexec_b64 s[28:29], s[26:27]
	s_cbranch_execnz .LBB586_358
.LBB586_303:
	s_or_b64 exec, exec, s[28:29]
	s_and_saveexec_b64 s[26:27], s[24:25]
	s_cbranch_execnz .LBB586_359
.LBB586_304:
	s_or_b64 exec, exec, s[26:27]
	s_and_saveexec_b64 s[24:25], s[22:23]
	s_cbranch_execnz .LBB586_360
.LBB586_305:
	s_or_b64 exec, exec, s[24:25]
	s_and_saveexec_b64 s[22:23], s[20:21]
	s_cbranch_execnz .LBB586_361
.LBB586_306:
	s_or_b64 exec, exec, s[22:23]
	s_and_saveexec_b64 s[20:21], s[18:19]
	s_cbranch_execnz .LBB586_362
.LBB586_307:
	s_or_b64 exec, exec, s[20:21]
	s_and_saveexec_b64 s[18:19], s[16:17]
	s_cbranch_execnz .LBB586_363
.LBB586_308:
	s_or_b64 exec, exec, s[18:19]
	s_and_saveexec_b64 s[16:17], s[14:15]
	s_cbranch_execnz .LBB586_364
.LBB586_309:
	s_or_b64 exec, exec, s[16:17]
	s_and_saveexec_b64 s[14:15], s[12:13]
	s_cbranch_execnz .LBB586_365
.LBB586_310:
	s_or_b64 exec, exec, s[14:15]
	s_and_saveexec_b64 s[12:13], s[10:11]
	s_cbranch_execnz .LBB586_366
.LBB586_311:
	s_or_b64 exec, exec, s[12:13]
	s_and_saveexec_b64 s[10:11], s[8:9]
	s_cbranch_execnz .LBB586_367
.LBB586_312:
	s_or_b64 exec, exec, s[10:11]
	s_and_saveexec_b64 s[8:9], s[6:7]
	s_cbranch_execnz .LBB586_368
.LBB586_313:
	s_or_b64 exec, exec, s[8:9]
	s_and_saveexec_b64 s[6:7], s[4:5]
	s_cbranch_execnz .LBB586_369
.LBB586_314:
	s_or_b64 exec, exec, s[6:7]
	s_and_saveexec_b64 s[4:5], s[2:3]
	s_cbranch_execz .LBB586_316
.LBB586_315:
	v_sub_u32_e32 v10, v52, v9
	v_lshlrev_b32_e32 v10, 2, v10
	ds_write_b32 v10, v53
.LBB586_316:
	s_or_b64 exec, exec, s[4:5]
	s_and_b64 s[38:39], s[0:1], exec
                                        ; implicit-def: $vgpr78_vgpr79
                                        ; implicit-def: $vgpr76_vgpr77
                                        ; implicit-def: $vgpr74_vgpr75
                                        ; implicit-def: $vgpr72_vgpr73
                                        ; implicit-def: $vgpr70_vgpr71
                                        ; implicit-def: $vgpr68_vgpr69
                                        ; implicit-def: $vgpr66_vgpr67
                                        ; implicit-def: $vgpr64_vgpr65
                                        ; implicit-def: $vgpr62_vgpr63
                                        ; implicit-def: $vgpr60_vgpr61
                                        ; implicit-def: $vgpr58_vgpr59
                                        ; implicit-def: $vgpr56_vgpr57
                                        ; implicit-def: $vgpr54_vgpr55
                                        ; implicit-def: $vgpr52_vgpr53
	s_andn2_saveexec_b64 s[0:1], s[36:37]
	s_cbranch_execz .LBB586_194
.LBB586_317:
	v_sub_u32_e32 v10, v78, v9
	v_lshlrev_b32_e32 v10, 2, v10
	ds_write_b32 v10, v79
	v_sub_u32_e32 v10, v76, v9
	v_lshlrev_b32_e32 v10, 2, v10
	ds_write_b32 v10, v77
	;; [unrolled: 3-line block ×13, first 2 shown]
	v_sub_u32_e32 v10, v52, v9
	v_lshlrev_b32_e32 v10, 2, v10
	s_or_b64 s[38:39], s[38:39], exec
	ds_write_b32 v10, v53
	s_or_b64 exec, exec, s[0:1]
	s_and_b64 exec, exec, s[38:39]
	s_cbranch_execnz .LBB586_195
	s_branch .LBB586_196
.LBB586_318:
	v_sub_u32_e32 v42, v78, v4
	v_mov_b32_e32 v43, 0
	v_lshlrev_b64 v[42:43], 2, v[42:43]
	v_add_co_u32_e32 v42, vcc, v3, v42
	v_addc_co_u32_e32 v43, vcc, v5, v43, vcc
	global_store_dword v[42:43], v20, off
	s_or_b64 exec, exec, s[40:41]
	s_and_saveexec_b64 s[40:41], s[26:27]
	s_cbranch_execz .LBB586_252
.LBB586_319:
	v_sub_u32_e32 v42, v76, v4
	v_mov_b32_e32 v43, 0
	v_lshlrev_b64 v[42:43], 2, v[42:43]
	v_add_co_u32_e32 v42, vcc, v3, v42
	v_addc_co_u32_e32 v43, vcc, v5, v43, vcc
	global_store_dword v[42:43], v21, off
	s_or_b64 exec, exec, s[40:41]
	s_and_saveexec_b64 s[40:41], s[24:25]
	s_cbranch_execz .LBB586_253
.LBB586_320:
	v_sub_u32_e32 v42, v74, v4
	v_mov_b32_e32 v43, 0
	v_lshlrev_b64 v[42:43], 2, v[42:43]
	v_add_co_u32_e32 v42, vcc, v3, v42
	v_addc_co_u32_e32 v43, vcc, v5, v43, vcc
	global_store_dword v[42:43], v18, off
	s_or_b64 exec, exec, s[40:41]
	s_and_saveexec_b64 s[40:41], s[22:23]
	s_cbranch_execz .LBB586_254
.LBB586_321:
	v_sub_u32_e32 v42, v72, v4
	v_mov_b32_e32 v43, 0
	v_lshlrev_b64 v[42:43], 2, v[42:43]
	v_add_co_u32_e32 v42, vcc, v3, v42
	v_addc_co_u32_e32 v43, vcc, v5, v43, vcc
	global_store_dword v[42:43], v19, off
	s_or_b64 exec, exec, s[40:41]
	s_and_saveexec_b64 s[40:41], s[20:21]
	s_cbranch_execz .LBB586_255
.LBB586_322:
	v_sub_u32_e32 v42, v70, v4
	v_mov_b32_e32 v43, 0
	v_lshlrev_b64 v[42:43], 2, v[42:43]
	v_add_co_u32_e32 v42, vcc, v3, v42
	v_addc_co_u32_e32 v43, vcc, v5, v43, vcc
	global_store_dword v[42:43], v16, off
	s_or_b64 exec, exec, s[40:41]
	s_and_saveexec_b64 s[40:41], s[18:19]
	s_cbranch_execz .LBB586_256
.LBB586_323:
	v_sub_u32_e32 v42, v68, v4
	v_mov_b32_e32 v43, 0
	v_lshlrev_b64 v[42:43], 2, v[42:43]
	v_add_co_u32_e32 v42, vcc, v3, v42
	v_addc_co_u32_e32 v43, vcc, v5, v43, vcc
	global_store_dword v[42:43], v17, off
	s_or_b64 exec, exec, s[40:41]
	s_and_saveexec_b64 s[40:41], s[16:17]
	s_cbranch_execz .LBB586_257
.LBB586_324:
	v_sub_u32_e32 v42, v66, v4
	v_mov_b32_e32 v43, 0
	v_lshlrev_b64 v[42:43], 2, v[42:43]
	v_add_co_u32_e32 v42, vcc, v3, v42
	v_addc_co_u32_e32 v43, vcc, v5, v43, vcc
	global_store_dword v[42:43], v14, off
	s_or_b64 exec, exec, s[40:41]
	s_and_saveexec_b64 s[40:41], s[14:15]
	s_cbranch_execz .LBB586_258
.LBB586_325:
	v_sub_u32_e32 v42, v64, v4
	v_mov_b32_e32 v43, 0
	v_lshlrev_b64 v[42:43], 2, v[42:43]
	v_add_co_u32_e32 v42, vcc, v3, v42
	v_addc_co_u32_e32 v43, vcc, v5, v43, vcc
	global_store_dword v[42:43], v15, off
	s_or_b64 exec, exec, s[40:41]
	s_and_saveexec_b64 s[40:41], s[12:13]
	s_cbranch_execz .LBB586_259
.LBB586_326:
	v_sub_u32_e32 v42, v62, v4
	v_mov_b32_e32 v43, 0
	v_lshlrev_b64 v[42:43], 2, v[42:43]
	v_add_co_u32_e32 v42, vcc, v3, v42
	v_addc_co_u32_e32 v43, vcc, v5, v43, vcc
	global_store_dword v[42:43], v12, off
	s_or_b64 exec, exec, s[40:41]
	s_and_saveexec_b64 s[40:41], s[10:11]
	s_cbranch_execz .LBB586_260
.LBB586_327:
	v_sub_u32_e32 v42, v60, v4
	v_mov_b32_e32 v43, 0
	v_lshlrev_b64 v[42:43], 2, v[42:43]
	v_add_co_u32_e32 v42, vcc, v3, v42
	v_addc_co_u32_e32 v43, vcc, v5, v43, vcc
	global_store_dword v[42:43], v13, off
	s_or_b64 exec, exec, s[40:41]
	s_and_saveexec_b64 s[40:41], s[8:9]
	s_cbranch_execz .LBB586_261
.LBB586_328:
	v_sub_u32_e32 v42, v58, v4
	v_mov_b32_e32 v43, 0
	v_lshlrev_b64 v[42:43], 2, v[42:43]
	v_add_co_u32_e32 v42, vcc, v3, v42
	v_addc_co_u32_e32 v43, vcc, v5, v43, vcc
	global_store_dword v[42:43], v10, off
	s_or_b64 exec, exec, s[40:41]
	s_and_saveexec_b64 s[40:41], s[6:7]
	s_cbranch_execz .LBB586_262
.LBB586_329:
	v_sub_u32_e32 v42, v56, v4
	v_mov_b32_e32 v43, 0
	v_lshlrev_b64 v[42:43], 2, v[42:43]
	v_add_co_u32_e32 v42, vcc, v3, v42
	v_addc_co_u32_e32 v43, vcc, v5, v43, vcc
	global_store_dword v[42:43], v11, off
	s_or_b64 exec, exec, s[40:41]
	s_and_saveexec_b64 s[40:41], s[4:5]
	s_cbranch_execz .LBB586_263
.LBB586_330:
	v_sub_u32_e32 v42, v54, v4
	v_mov_b32_e32 v43, 0
	v_lshlrev_b64 v[42:43], 2, v[42:43]
	v_add_co_u32_e32 v42, vcc, v3, v42
	v_addc_co_u32_e32 v43, vcc, v5, v43, vcc
	global_store_dword v[42:43], v8, off
	s_or_b64 exec, exec, s[40:41]
	s_and_saveexec_b64 s[40:41], s[2:3]
	s_cbranch_execnz .LBB586_264
	s_branch .LBB586_265
.LBB586_331:
	v_sub_u32_e32 v40, v78, v4
	v_lshlrev_b32_e32 v40, 2, v40
	ds_write_b32 v40, v20
	s_or_b64 exec, exec, s[40:41]
	s_and_saveexec_b64 s[28:29], s[26:27]
	s_cbranch_execz .LBB586_269
.LBB586_332:
	v_sub_u32_e32 v20, v76, v4
	v_lshlrev_b32_e32 v20, 2, v20
	ds_write_b32 v20, v21
	s_or_b64 exec, exec, s[28:29]
	s_and_saveexec_b64 s[26:27], s[24:25]
	s_cbranch_execz .LBB586_270
.LBB586_333:
	v_sub_u32_e32 v20, v74, v4
	v_lshlrev_b32_e32 v20, 2, v20
	ds_write_b32 v20, v18
	s_or_b64 exec, exec, s[26:27]
	s_and_saveexec_b64 s[24:25], s[22:23]
	s_cbranch_execz .LBB586_271
.LBB586_334:
	v_sub_u32_e32 v18, v72, v4
	v_lshlrev_b32_e32 v18, 2, v18
	ds_write_b32 v18, v19
	s_or_b64 exec, exec, s[24:25]
	s_and_saveexec_b64 s[22:23], s[20:21]
	s_cbranch_execz .LBB586_272
.LBB586_335:
	v_sub_u32_e32 v18, v70, v4
	v_lshlrev_b32_e32 v18, 2, v18
	ds_write_b32 v18, v16
	s_or_b64 exec, exec, s[22:23]
	s_and_saveexec_b64 s[20:21], s[18:19]
	s_cbranch_execz .LBB586_273
.LBB586_336:
	v_sub_u32_e32 v16, v68, v4
	v_lshlrev_b32_e32 v16, 2, v16
	ds_write_b32 v16, v17
	s_or_b64 exec, exec, s[20:21]
	s_and_saveexec_b64 s[18:19], s[16:17]
	s_cbranch_execz .LBB586_274
.LBB586_337:
	v_sub_u32_e32 v16, v66, v4
	v_lshlrev_b32_e32 v16, 2, v16
	ds_write_b32 v16, v14
	s_or_b64 exec, exec, s[18:19]
	s_and_saveexec_b64 s[16:17], s[14:15]
	s_cbranch_execz .LBB586_275
.LBB586_338:
	v_sub_u32_e32 v14, v64, v4
	v_lshlrev_b32_e32 v14, 2, v14
	ds_write_b32 v14, v15
	s_or_b64 exec, exec, s[16:17]
	s_and_saveexec_b64 s[14:15], s[12:13]
	s_cbranch_execz .LBB586_276
.LBB586_339:
	v_sub_u32_e32 v14, v62, v4
	v_lshlrev_b32_e32 v14, 2, v14
	ds_write_b32 v14, v12
	s_or_b64 exec, exec, s[14:15]
	s_and_saveexec_b64 s[12:13], s[10:11]
	s_cbranch_execz .LBB586_277
.LBB586_340:
	v_sub_u32_e32 v12, v60, v4
	v_lshlrev_b32_e32 v12, 2, v12
	ds_write_b32 v12, v13
	s_or_b64 exec, exec, s[12:13]
	s_and_saveexec_b64 s[10:11], s[8:9]
	s_cbranch_execz .LBB586_278
.LBB586_341:
	v_sub_u32_e32 v12, v58, v4
	v_lshlrev_b32_e32 v12, 2, v12
	ds_write_b32 v12, v10
	s_or_b64 exec, exec, s[10:11]
	s_and_saveexec_b64 s[8:9], s[6:7]
	s_cbranch_execz .LBB586_279
.LBB586_342:
	v_sub_u32_e32 v10, v56, v4
	v_lshlrev_b32_e32 v10, 2, v10
	ds_write_b32 v10, v11
	s_or_b64 exec, exec, s[8:9]
	s_and_saveexec_b64 s[6:7], s[4:5]
	s_cbranch_execz .LBB586_280
.LBB586_343:
	v_sub_u32_e32 v10, v54, v4
	v_lshlrev_b32_e32 v10, 2, v10
	ds_write_b32 v10, v8
	s_or_b64 exec, exec, s[6:7]
	s_and_saveexec_b64 s[4:5], s[2:3]
	s_cbranch_execnz .LBB586_281
	s_branch .LBB586_282
.LBB586_344:
	v_sub_u32_e32 v16, v78, v9
	v_mov_b32_e32 v17, 0
	v_lshlrev_b64 v[16:17], 2, v[16:17]
	v_add_co_u32_e32 v16, vcc, v13, v16
	v_addc_co_u32_e32 v17, vcc, v14, v17, vcc
	global_store_dword v[16:17], v79, off
	s_or_b64 exec, exec, s[38:39]
	s_and_saveexec_b64 s[38:39], s[26:27]
	s_cbranch_execz .LBB586_286
.LBB586_345:
	v_sub_u32_e32 v16, v76, v9
	v_mov_b32_e32 v17, 0
	v_lshlrev_b64 v[16:17], 2, v[16:17]
	v_add_co_u32_e32 v16, vcc, v13, v16
	v_addc_co_u32_e32 v17, vcc, v14, v17, vcc
	global_store_dword v[16:17], v77, off
	s_or_b64 exec, exec, s[38:39]
	s_and_saveexec_b64 s[38:39], s[24:25]
	s_cbranch_execz .LBB586_287
.LBB586_346:
	v_sub_u32_e32 v16, v74, v9
	v_mov_b32_e32 v17, 0
	v_lshlrev_b64 v[16:17], 2, v[16:17]
	v_add_co_u32_e32 v16, vcc, v13, v16
	v_addc_co_u32_e32 v17, vcc, v14, v17, vcc
	global_store_dword v[16:17], v75, off
	s_or_b64 exec, exec, s[38:39]
	s_and_saveexec_b64 s[38:39], s[22:23]
	s_cbranch_execz .LBB586_288
.LBB586_347:
	v_sub_u32_e32 v16, v72, v9
	v_mov_b32_e32 v17, 0
	v_lshlrev_b64 v[16:17], 2, v[16:17]
	v_add_co_u32_e32 v16, vcc, v13, v16
	v_addc_co_u32_e32 v17, vcc, v14, v17, vcc
	global_store_dword v[16:17], v73, off
	s_or_b64 exec, exec, s[38:39]
	s_and_saveexec_b64 s[38:39], s[20:21]
	s_cbranch_execz .LBB586_289
.LBB586_348:
	v_sub_u32_e32 v16, v70, v9
	v_mov_b32_e32 v17, 0
	v_lshlrev_b64 v[16:17], 2, v[16:17]
	v_add_co_u32_e32 v16, vcc, v13, v16
	v_addc_co_u32_e32 v17, vcc, v14, v17, vcc
	global_store_dword v[16:17], v71, off
	s_or_b64 exec, exec, s[38:39]
	s_and_saveexec_b64 s[38:39], s[18:19]
	s_cbranch_execz .LBB586_290
.LBB586_349:
	v_sub_u32_e32 v16, v68, v9
	v_mov_b32_e32 v17, 0
	v_lshlrev_b64 v[16:17], 2, v[16:17]
	v_add_co_u32_e32 v16, vcc, v13, v16
	v_addc_co_u32_e32 v17, vcc, v14, v17, vcc
	global_store_dword v[16:17], v69, off
	s_or_b64 exec, exec, s[38:39]
	s_and_saveexec_b64 s[38:39], s[16:17]
	s_cbranch_execz .LBB586_291
.LBB586_350:
	v_sub_u32_e32 v16, v66, v9
	v_mov_b32_e32 v17, 0
	v_lshlrev_b64 v[16:17], 2, v[16:17]
	v_add_co_u32_e32 v16, vcc, v13, v16
	v_addc_co_u32_e32 v17, vcc, v14, v17, vcc
	global_store_dword v[16:17], v67, off
	s_or_b64 exec, exec, s[38:39]
	s_and_saveexec_b64 s[38:39], s[14:15]
	s_cbranch_execz .LBB586_292
.LBB586_351:
	v_sub_u32_e32 v16, v64, v9
	v_mov_b32_e32 v17, 0
	v_lshlrev_b64 v[16:17], 2, v[16:17]
	v_add_co_u32_e32 v16, vcc, v13, v16
	v_addc_co_u32_e32 v17, vcc, v14, v17, vcc
	global_store_dword v[16:17], v65, off
	s_or_b64 exec, exec, s[38:39]
	s_and_saveexec_b64 s[38:39], s[12:13]
	s_cbranch_execz .LBB586_293
.LBB586_352:
	v_sub_u32_e32 v16, v62, v9
	v_mov_b32_e32 v17, 0
	v_lshlrev_b64 v[16:17], 2, v[16:17]
	v_add_co_u32_e32 v16, vcc, v13, v16
	v_addc_co_u32_e32 v17, vcc, v14, v17, vcc
	global_store_dword v[16:17], v63, off
	s_or_b64 exec, exec, s[38:39]
	s_and_saveexec_b64 s[38:39], s[10:11]
	s_cbranch_execz .LBB586_294
.LBB586_353:
	v_sub_u32_e32 v16, v60, v9
	v_mov_b32_e32 v17, 0
	v_lshlrev_b64 v[16:17], 2, v[16:17]
	v_add_co_u32_e32 v16, vcc, v13, v16
	v_addc_co_u32_e32 v17, vcc, v14, v17, vcc
	global_store_dword v[16:17], v61, off
	s_or_b64 exec, exec, s[38:39]
	s_and_saveexec_b64 s[38:39], s[8:9]
	s_cbranch_execz .LBB586_295
.LBB586_354:
	v_sub_u32_e32 v16, v58, v9
	v_mov_b32_e32 v17, 0
	v_lshlrev_b64 v[16:17], 2, v[16:17]
	v_add_co_u32_e32 v16, vcc, v13, v16
	v_addc_co_u32_e32 v17, vcc, v14, v17, vcc
	global_store_dword v[16:17], v59, off
	s_or_b64 exec, exec, s[38:39]
	s_and_saveexec_b64 s[38:39], s[6:7]
	s_cbranch_execz .LBB586_296
.LBB586_355:
	v_sub_u32_e32 v16, v56, v9
	v_mov_b32_e32 v17, 0
	v_lshlrev_b64 v[16:17], 2, v[16:17]
	v_add_co_u32_e32 v16, vcc, v13, v16
	v_addc_co_u32_e32 v17, vcc, v14, v17, vcc
	global_store_dword v[16:17], v57, off
	s_or_b64 exec, exec, s[38:39]
	s_and_saveexec_b64 s[38:39], s[4:5]
	s_cbranch_execz .LBB586_297
.LBB586_356:
	v_sub_u32_e32 v16, v54, v9
	v_mov_b32_e32 v17, 0
	v_lshlrev_b64 v[16:17], 2, v[16:17]
	v_add_co_u32_e32 v16, vcc, v13, v16
	v_addc_co_u32_e32 v17, vcc, v14, v17, vcc
	global_store_dword v[16:17], v55, off
	s_or_b64 exec, exec, s[38:39]
	s_and_saveexec_b64 s[38:39], s[2:3]
	s_cbranch_execnz .LBB586_298
	s_branch .LBB586_299
.LBB586_357:
	v_sub_u32_e32 v10, v78, v9
	v_lshlrev_b32_e32 v10, 2, v10
	ds_write_b32 v10, v79
	s_or_b64 exec, exec, s[38:39]
	s_and_saveexec_b64 s[28:29], s[26:27]
	s_cbranch_execz .LBB586_303
.LBB586_358:
	v_sub_u32_e32 v10, v76, v9
	v_lshlrev_b32_e32 v10, 2, v10
	ds_write_b32 v10, v77
	s_or_b64 exec, exec, s[28:29]
	s_and_saveexec_b64 s[26:27], s[24:25]
	s_cbranch_execz .LBB586_304
.LBB586_359:
	v_sub_u32_e32 v10, v74, v9
	v_lshlrev_b32_e32 v10, 2, v10
	ds_write_b32 v10, v75
	s_or_b64 exec, exec, s[26:27]
	s_and_saveexec_b64 s[24:25], s[22:23]
	s_cbranch_execz .LBB586_305
.LBB586_360:
	v_sub_u32_e32 v10, v72, v9
	v_lshlrev_b32_e32 v10, 2, v10
	ds_write_b32 v10, v73
	s_or_b64 exec, exec, s[24:25]
	s_and_saveexec_b64 s[22:23], s[20:21]
	s_cbranch_execz .LBB586_306
.LBB586_361:
	v_sub_u32_e32 v10, v70, v9
	v_lshlrev_b32_e32 v10, 2, v10
	ds_write_b32 v10, v71
	s_or_b64 exec, exec, s[22:23]
	s_and_saveexec_b64 s[20:21], s[18:19]
	s_cbranch_execz .LBB586_307
.LBB586_362:
	v_sub_u32_e32 v10, v68, v9
	v_lshlrev_b32_e32 v10, 2, v10
	ds_write_b32 v10, v69
	s_or_b64 exec, exec, s[20:21]
	s_and_saveexec_b64 s[18:19], s[16:17]
	s_cbranch_execz .LBB586_308
.LBB586_363:
	v_sub_u32_e32 v10, v66, v9
	v_lshlrev_b32_e32 v10, 2, v10
	ds_write_b32 v10, v67
	s_or_b64 exec, exec, s[18:19]
	s_and_saveexec_b64 s[16:17], s[14:15]
	s_cbranch_execz .LBB586_309
.LBB586_364:
	v_sub_u32_e32 v10, v64, v9
	v_lshlrev_b32_e32 v10, 2, v10
	ds_write_b32 v10, v65
	s_or_b64 exec, exec, s[16:17]
	s_and_saveexec_b64 s[14:15], s[12:13]
	s_cbranch_execz .LBB586_310
.LBB586_365:
	v_sub_u32_e32 v10, v62, v9
	v_lshlrev_b32_e32 v10, 2, v10
	ds_write_b32 v10, v63
	s_or_b64 exec, exec, s[14:15]
	s_and_saveexec_b64 s[12:13], s[10:11]
	s_cbranch_execz .LBB586_311
.LBB586_366:
	v_sub_u32_e32 v10, v60, v9
	v_lshlrev_b32_e32 v10, 2, v10
	ds_write_b32 v10, v61
	s_or_b64 exec, exec, s[12:13]
	s_and_saveexec_b64 s[10:11], s[8:9]
	s_cbranch_execz .LBB586_312
.LBB586_367:
	v_sub_u32_e32 v10, v58, v9
	v_lshlrev_b32_e32 v10, 2, v10
	ds_write_b32 v10, v59
	s_or_b64 exec, exec, s[10:11]
	s_and_saveexec_b64 s[8:9], s[6:7]
	s_cbranch_execz .LBB586_313
.LBB586_368:
	v_sub_u32_e32 v10, v56, v9
	v_lshlrev_b32_e32 v10, 2, v10
	ds_write_b32 v10, v57
	s_or_b64 exec, exec, s[8:9]
	s_and_saveexec_b64 s[6:7], s[4:5]
	s_cbranch_execz .LBB586_314
.LBB586_369:
	v_sub_u32_e32 v10, v54, v9
	v_lshlrev_b32_e32 v10, 2, v10
	ds_write_b32 v10, v55
	s_or_b64 exec, exec, s[6:7]
	s_and_saveexec_b64 s[4:5], s[2:3]
	s_cbranch_execnz .LBB586_315
	s_branch .LBB586_316
	.section	.rodata,"a",@progbits
	.p2align	6, 0x0
	.amdhsa_kernel _ZN7rocprim17ROCPRIM_400000_NS6detail17trampoline_kernelINS0_14default_configENS1_29reduce_by_key_config_selectorIiiN6thrust23THRUST_200600_302600_NS4plusIiEEEEZZNS1_33reduce_by_key_impl_wrapped_configILNS1_25lookback_scan_determinismE0ES3_S9_NS6_6detail15normal_iteratorINS6_10device_ptrIiEEEESG_SG_SG_PmS8_22is_equal_div_10_reduceIiEEE10hipError_tPvRmT2_T3_mT4_T5_T6_T7_T8_P12ihipStream_tbENKUlT_T0_E_clISt17integral_constantIbLb0EES11_EEDaSW_SX_EUlSW_E_NS1_11comp_targetILNS1_3genE4ELNS1_11target_archE910ELNS1_3gpuE8ELNS1_3repE0EEENS1_30default_config_static_selectorELNS0_4arch9wavefront6targetE1EEEvT1_
		.amdhsa_group_segment_fixed_size 15360
		.amdhsa_private_segment_fixed_size 0
		.amdhsa_kernarg_size 120
		.amdhsa_user_sgpr_count 6
		.amdhsa_user_sgpr_private_segment_buffer 1
		.amdhsa_user_sgpr_dispatch_ptr 0
		.amdhsa_user_sgpr_queue_ptr 0
		.amdhsa_user_sgpr_kernarg_segment_ptr 1
		.amdhsa_user_sgpr_dispatch_id 0
		.amdhsa_user_sgpr_flat_scratch_init 0
		.amdhsa_user_sgpr_kernarg_preload_length 0
		.amdhsa_user_sgpr_kernarg_preload_offset 0
		.amdhsa_user_sgpr_private_segment_size 0
		.amdhsa_uses_dynamic_stack 0
		.amdhsa_system_sgpr_private_segment_wavefront_offset 0
		.amdhsa_system_sgpr_workgroup_id_x 1
		.amdhsa_system_sgpr_workgroup_id_y 0
		.amdhsa_system_sgpr_workgroup_id_z 0
		.amdhsa_system_sgpr_workgroup_info 0
		.amdhsa_system_vgpr_workitem_id 0
		.amdhsa_next_free_vgpr 106
		.amdhsa_next_free_sgpr 64
		.amdhsa_accum_offset 108
		.amdhsa_reserve_vcc 1
		.amdhsa_reserve_flat_scratch 0
		.amdhsa_float_round_mode_32 0
		.amdhsa_float_round_mode_16_64 0
		.amdhsa_float_denorm_mode_32 3
		.amdhsa_float_denorm_mode_16_64 3
		.amdhsa_dx10_clamp 1
		.amdhsa_ieee_mode 1
		.amdhsa_fp16_overflow 0
		.amdhsa_tg_split 0
		.amdhsa_exception_fp_ieee_invalid_op 0
		.amdhsa_exception_fp_denorm_src 0
		.amdhsa_exception_fp_ieee_div_zero 0
		.amdhsa_exception_fp_ieee_overflow 0
		.amdhsa_exception_fp_ieee_underflow 0
		.amdhsa_exception_fp_ieee_inexact 0
		.amdhsa_exception_int_div_zero 0
	.end_amdhsa_kernel
	.section	.text._ZN7rocprim17ROCPRIM_400000_NS6detail17trampoline_kernelINS0_14default_configENS1_29reduce_by_key_config_selectorIiiN6thrust23THRUST_200600_302600_NS4plusIiEEEEZZNS1_33reduce_by_key_impl_wrapped_configILNS1_25lookback_scan_determinismE0ES3_S9_NS6_6detail15normal_iteratorINS6_10device_ptrIiEEEESG_SG_SG_PmS8_22is_equal_div_10_reduceIiEEE10hipError_tPvRmT2_T3_mT4_T5_T6_T7_T8_P12ihipStream_tbENKUlT_T0_E_clISt17integral_constantIbLb0EES11_EEDaSW_SX_EUlSW_E_NS1_11comp_targetILNS1_3genE4ELNS1_11target_archE910ELNS1_3gpuE8ELNS1_3repE0EEENS1_30default_config_static_selectorELNS0_4arch9wavefront6targetE1EEEvT1_,"axG",@progbits,_ZN7rocprim17ROCPRIM_400000_NS6detail17trampoline_kernelINS0_14default_configENS1_29reduce_by_key_config_selectorIiiN6thrust23THRUST_200600_302600_NS4plusIiEEEEZZNS1_33reduce_by_key_impl_wrapped_configILNS1_25lookback_scan_determinismE0ES3_S9_NS6_6detail15normal_iteratorINS6_10device_ptrIiEEEESG_SG_SG_PmS8_22is_equal_div_10_reduceIiEEE10hipError_tPvRmT2_T3_mT4_T5_T6_T7_T8_P12ihipStream_tbENKUlT_T0_E_clISt17integral_constantIbLb0EES11_EEDaSW_SX_EUlSW_E_NS1_11comp_targetILNS1_3genE4ELNS1_11target_archE910ELNS1_3gpuE8ELNS1_3repE0EEENS1_30default_config_static_selectorELNS0_4arch9wavefront6targetE1EEEvT1_,comdat
.Lfunc_end586:
	.size	_ZN7rocprim17ROCPRIM_400000_NS6detail17trampoline_kernelINS0_14default_configENS1_29reduce_by_key_config_selectorIiiN6thrust23THRUST_200600_302600_NS4plusIiEEEEZZNS1_33reduce_by_key_impl_wrapped_configILNS1_25lookback_scan_determinismE0ES3_S9_NS6_6detail15normal_iteratorINS6_10device_ptrIiEEEESG_SG_SG_PmS8_22is_equal_div_10_reduceIiEEE10hipError_tPvRmT2_T3_mT4_T5_T6_T7_T8_P12ihipStream_tbENKUlT_T0_E_clISt17integral_constantIbLb0EES11_EEDaSW_SX_EUlSW_E_NS1_11comp_targetILNS1_3genE4ELNS1_11target_archE910ELNS1_3gpuE8ELNS1_3repE0EEENS1_30default_config_static_selectorELNS0_4arch9wavefront6targetE1EEEvT1_, .Lfunc_end586-_ZN7rocprim17ROCPRIM_400000_NS6detail17trampoline_kernelINS0_14default_configENS1_29reduce_by_key_config_selectorIiiN6thrust23THRUST_200600_302600_NS4plusIiEEEEZZNS1_33reduce_by_key_impl_wrapped_configILNS1_25lookback_scan_determinismE0ES3_S9_NS6_6detail15normal_iteratorINS6_10device_ptrIiEEEESG_SG_SG_PmS8_22is_equal_div_10_reduceIiEEE10hipError_tPvRmT2_T3_mT4_T5_T6_T7_T8_P12ihipStream_tbENKUlT_T0_E_clISt17integral_constantIbLb0EES11_EEDaSW_SX_EUlSW_E_NS1_11comp_targetILNS1_3genE4ELNS1_11target_archE910ELNS1_3gpuE8ELNS1_3repE0EEENS1_30default_config_static_selectorELNS0_4arch9wavefront6targetE1EEEvT1_
                                        ; -- End function
	.section	.AMDGPU.csdata,"",@progbits
; Kernel info:
; codeLenInByte = 19344
; NumSgprs: 68
; NumVgprs: 106
; NumAgprs: 0
; TotalNumVgprs: 106
; ScratchSize: 0
; MemoryBound: 0
; FloatMode: 240
; IeeeMode: 1
; LDSByteSize: 15360 bytes/workgroup (compile time only)
; SGPRBlocks: 8
; VGPRBlocks: 13
; NumSGPRsForWavesPerEU: 68
; NumVGPRsForWavesPerEU: 106
; AccumOffset: 108
; Occupancy: 4
; WaveLimiterHint : 1
; COMPUTE_PGM_RSRC2:SCRATCH_EN: 0
; COMPUTE_PGM_RSRC2:USER_SGPR: 6
; COMPUTE_PGM_RSRC2:TRAP_HANDLER: 0
; COMPUTE_PGM_RSRC2:TGID_X_EN: 1
; COMPUTE_PGM_RSRC2:TGID_Y_EN: 0
; COMPUTE_PGM_RSRC2:TGID_Z_EN: 0
; COMPUTE_PGM_RSRC2:TIDIG_COMP_CNT: 0
; COMPUTE_PGM_RSRC3_GFX90A:ACCUM_OFFSET: 26
; COMPUTE_PGM_RSRC3_GFX90A:TG_SPLIT: 0
	.section	.text._ZN7rocprim17ROCPRIM_400000_NS6detail17trampoline_kernelINS0_14default_configENS1_29reduce_by_key_config_selectorIiiN6thrust23THRUST_200600_302600_NS4plusIiEEEEZZNS1_33reduce_by_key_impl_wrapped_configILNS1_25lookback_scan_determinismE0ES3_S9_NS6_6detail15normal_iteratorINS6_10device_ptrIiEEEESG_SG_SG_PmS8_22is_equal_div_10_reduceIiEEE10hipError_tPvRmT2_T3_mT4_T5_T6_T7_T8_P12ihipStream_tbENKUlT_T0_E_clISt17integral_constantIbLb0EES11_EEDaSW_SX_EUlSW_E_NS1_11comp_targetILNS1_3genE3ELNS1_11target_archE908ELNS1_3gpuE7ELNS1_3repE0EEENS1_30default_config_static_selectorELNS0_4arch9wavefront6targetE1EEEvT1_,"axG",@progbits,_ZN7rocprim17ROCPRIM_400000_NS6detail17trampoline_kernelINS0_14default_configENS1_29reduce_by_key_config_selectorIiiN6thrust23THRUST_200600_302600_NS4plusIiEEEEZZNS1_33reduce_by_key_impl_wrapped_configILNS1_25lookback_scan_determinismE0ES3_S9_NS6_6detail15normal_iteratorINS6_10device_ptrIiEEEESG_SG_SG_PmS8_22is_equal_div_10_reduceIiEEE10hipError_tPvRmT2_T3_mT4_T5_T6_T7_T8_P12ihipStream_tbENKUlT_T0_E_clISt17integral_constantIbLb0EES11_EEDaSW_SX_EUlSW_E_NS1_11comp_targetILNS1_3genE3ELNS1_11target_archE908ELNS1_3gpuE7ELNS1_3repE0EEENS1_30default_config_static_selectorELNS0_4arch9wavefront6targetE1EEEvT1_,comdat
	.protected	_ZN7rocprim17ROCPRIM_400000_NS6detail17trampoline_kernelINS0_14default_configENS1_29reduce_by_key_config_selectorIiiN6thrust23THRUST_200600_302600_NS4plusIiEEEEZZNS1_33reduce_by_key_impl_wrapped_configILNS1_25lookback_scan_determinismE0ES3_S9_NS6_6detail15normal_iteratorINS6_10device_ptrIiEEEESG_SG_SG_PmS8_22is_equal_div_10_reduceIiEEE10hipError_tPvRmT2_T3_mT4_T5_T6_T7_T8_P12ihipStream_tbENKUlT_T0_E_clISt17integral_constantIbLb0EES11_EEDaSW_SX_EUlSW_E_NS1_11comp_targetILNS1_3genE3ELNS1_11target_archE908ELNS1_3gpuE7ELNS1_3repE0EEENS1_30default_config_static_selectorELNS0_4arch9wavefront6targetE1EEEvT1_ ; -- Begin function _ZN7rocprim17ROCPRIM_400000_NS6detail17trampoline_kernelINS0_14default_configENS1_29reduce_by_key_config_selectorIiiN6thrust23THRUST_200600_302600_NS4plusIiEEEEZZNS1_33reduce_by_key_impl_wrapped_configILNS1_25lookback_scan_determinismE0ES3_S9_NS6_6detail15normal_iteratorINS6_10device_ptrIiEEEESG_SG_SG_PmS8_22is_equal_div_10_reduceIiEEE10hipError_tPvRmT2_T3_mT4_T5_T6_T7_T8_P12ihipStream_tbENKUlT_T0_E_clISt17integral_constantIbLb0EES11_EEDaSW_SX_EUlSW_E_NS1_11comp_targetILNS1_3genE3ELNS1_11target_archE908ELNS1_3gpuE7ELNS1_3repE0EEENS1_30default_config_static_selectorELNS0_4arch9wavefront6targetE1EEEvT1_
	.globl	_ZN7rocprim17ROCPRIM_400000_NS6detail17trampoline_kernelINS0_14default_configENS1_29reduce_by_key_config_selectorIiiN6thrust23THRUST_200600_302600_NS4plusIiEEEEZZNS1_33reduce_by_key_impl_wrapped_configILNS1_25lookback_scan_determinismE0ES3_S9_NS6_6detail15normal_iteratorINS6_10device_ptrIiEEEESG_SG_SG_PmS8_22is_equal_div_10_reduceIiEEE10hipError_tPvRmT2_T3_mT4_T5_T6_T7_T8_P12ihipStream_tbENKUlT_T0_E_clISt17integral_constantIbLb0EES11_EEDaSW_SX_EUlSW_E_NS1_11comp_targetILNS1_3genE3ELNS1_11target_archE908ELNS1_3gpuE7ELNS1_3repE0EEENS1_30default_config_static_selectorELNS0_4arch9wavefront6targetE1EEEvT1_
	.p2align	8
	.type	_ZN7rocprim17ROCPRIM_400000_NS6detail17trampoline_kernelINS0_14default_configENS1_29reduce_by_key_config_selectorIiiN6thrust23THRUST_200600_302600_NS4plusIiEEEEZZNS1_33reduce_by_key_impl_wrapped_configILNS1_25lookback_scan_determinismE0ES3_S9_NS6_6detail15normal_iteratorINS6_10device_ptrIiEEEESG_SG_SG_PmS8_22is_equal_div_10_reduceIiEEE10hipError_tPvRmT2_T3_mT4_T5_T6_T7_T8_P12ihipStream_tbENKUlT_T0_E_clISt17integral_constantIbLb0EES11_EEDaSW_SX_EUlSW_E_NS1_11comp_targetILNS1_3genE3ELNS1_11target_archE908ELNS1_3gpuE7ELNS1_3repE0EEENS1_30default_config_static_selectorELNS0_4arch9wavefront6targetE1EEEvT1_,@function
_ZN7rocprim17ROCPRIM_400000_NS6detail17trampoline_kernelINS0_14default_configENS1_29reduce_by_key_config_selectorIiiN6thrust23THRUST_200600_302600_NS4plusIiEEEEZZNS1_33reduce_by_key_impl_wrapped_configILNS1_25lookback_scan_determinismE0ES3_S9_NS6_6detail15normal_iteratorINS6_10device_ptrIiEEEESG_SG_SG_PmS8_22is_equal_div_10_reduceIiEEE10hipError_tPvRmT2_T3_mT4_T5_T6_T7_T8_P12ihipStream_tbENKUlT_T0_E_clISt17integral_constantIbLb0EES11_EEDaSW_SX_EUlSW_E_NS1_11comp_targetILNS1_3genE3ELNS1_11target_archE908ELNS1_3gpuE7ELNS1_3repE0EEENS1_30default_config_static_selectorELNS0_4arch9wavefront6targetE1EEEvT1_: ; @_ZN7rocprim17ROCPRIM_400000_NS6detail17trampoline_kernelINS0_14default_configENS1_29reduce_by_key_config_selectorIiiN6thrust23THRUST_200600_302600_NS4plusIiEEEEZZNS1_33reduce_by_key_impl_wrapped_configILNS1_25lookback_scan_determinismE0ES3_S9_NS6_6detail15normal_iteratorINS6_10device_ptrIiEEEESG_SG_SG_PmS8_22is_equal_div_10_reduceIiEEE10hipError_tPvRmT2_T3_mT4_T5_T6_T7_T8_P12ihipStream_tbENKUlT_T0_E_clISt17integral_constantIbLb0EES11_EEDaSW_SX_EUlSW_E_NS1_11comp_targetILNS1_3genE3ELNS1_11target_archE908ELNS1_3gpuE7ELNS1_3repE0EEENS1_30default_config_static_selectorELNS0_4arch9wavefront6targetE1EEEvT1_
; %bb.0:
	.section	.rodata,"a",@progbits
	.p2align	6, 0x0
	.amdhsa_kernel _ZN7rocprim17ROCPRIM_400000_NS6detail17trampoline_kernelINS0_14default_configENS1_29reduce_by_key_config_selectorIiiN6thrust23THRUST_200600_302600_NS4plusIiEEEEZZNS1_33reduce_by_key_impl_wrapped_configILNS1_25lookback_scan_determinismE0ES3_S9_NS6_6detail15normal_iteratorINS6_10device_ptrIiEEEESG_SG_SG_PmS8_22is_equal_div_10_reduceIiEEE10hipError_tPvRmT2_T3_mT4_T5_T6_T7_T8_P12ihipStream_tbENKUlT_T0_E_clISt17integral_constantIbLb0EES11_EEDaSW_SX_EUlSW_E_NS1_11comp_targetILNS1_3genE3ELNS1_11target_archE908ELNS1_3gpuE7ELNS1_3repE0EEENS1_30default_config_static_selectorELNS0_4arch9wavefront6targetE1EEEvT1_
		.amdhsa_group_segment_fixed_size 0
		.amdhsa_private_segment_fixed_size 0
		.amdhsa_kernarg_size 120
		.amdhsa_user_sgpr_count 6
		.amdhsa_user_sgpr_private_segment_buffer 1
		.amdhsa_user_sgpr_dispatch_ptr 0
		.amdhsa_user_sgpr_queue_ptr 0
		.amdhsa_user_sgpr_kernarg_segment_ptr 1
		.amdhsa_user_sgpr_dispatch_id 0
		.amdhsa_user_sgpr_flat_scratch_init 0
		.amdhsa_user_sgpr_kernarg_preload_length 0
		.amdhsa_user_sgpr_kernarg_preload_offset 0
		.amdhsa_user_sgpr_private_segment_size 0
		.amdhsa_uses_dynamic_stack 0
		.amdhsa_system_sgpr_private_segment_wavefront_offset 0
		.amdhsa_system_sgpr_workgroup_id_x 1
		.amdhsa_system_sgpr_workgroup_id_y 0
		.amdhsa_system_sgpr_workgroup_id_z 0
		.amdhsa_system_sgpr_workgroup_info 0
		.amdhsa_system_vgpr_workitem_id 0
		.amdhsa_next_free_vgpr 1
		.amdhsa_next_free_sgpr 0
		.amdhsa_accum_offset 4
		.amdhsa_reserve_vcc 0
		.amdhsa_reserve_flat_scratch 0
		.amdhsa_float_round_mode_32 0
		.amdhsa_float_round_mode_16_64 0
		.amdhsa_float_denorm_mode_32 3
		.amdhsa_float_denorm_mode_16_64 3
		.amdhsa_dx10_clamp 1
		.amdhsa_ieee_mode 1
		.amdhsa_fp16_overflow 0
		.amdhsa_tg_split 0
		.amdhsa_exception_fp_ieee_invalid_op 0
		.amdhsa_exception_fp_denorm_src 0
		.amdhsa_exception_fp_ieee_div_zero 0
		.amdhsa_exception_fp_ieee_overflow 0
		.amdhsa_exception_fp_ieee_underflow 0
		.amdhsa_exception_fp_ieee_inexact 0
		.amdhsa_exception_int_div_zero 0
	.end_amdhsa_kernel
	.section	.text._ZN7rocprim17ROCPRIM_400000_NS6detail17trampoline_kernelINS0_14default_configENS1_29reduce_by_key_config_selectorIiiN6thrust23THRUST_200600_302600_NS4plusIiEEEEZZNS1_33reduce_by_key_impl_wrapped_configILNS1_25lookback_scan_determinismE0ES3_S9_NS6_6detail15normal_iteratorINS6_10device_ptrIiEEEESG_SG_SG_PmS8_22is_equal_div_10_reduceIiEEE10hipError_tPvRmT2_T3_mT4_T5_T6_T7_T8_P12ihipStream_tbENKUlT_T0_E_clISt17integral_constantIbLb0EES11_EEDaSW_SX_EUlSW_E_NS1_11comp_targetILNS1_3genE3ELNS1_11target_archE908ELNS1_3gpuE7ELNS1_3repE0EEENS1_30default_config_static_selectorELNS0_4arch9wavefront6targetE1EEEvT1_,"axG",@progbits,_ZN7rocprim17ROCPRIM_400000_NS6detail17trampoline_kernelINS0_14default_configENS1_29reduce_by_key_config_selectorIiiN6thrust23THRUST_200600_302600_NS4plusIiEEEEZZNS1_33reduce_by_key_impl_wrapped_configILNS1_25lookback_scan_determinismE0ES3_S9_NS6_6detail15normal_iteratorINS6_10device_ptrIiEEEESG_SG_SG_PmS8_22is_equal_div_10_reduceIiEEE10hipError_tPvRmT2_T3_mT4_T5_T6_T7_T8_P12ihipStream_tbENKUlT_T0_E_clISt17integral_constantIbLb0EES11_EEDaSW_SX_EUlSW_E_NS1_11comp_targetILNS1_3genE3ELNS1_11target_archE908ELNS1_3gpuE7ELNS1_3repE0EEENS1_30default_config_static_selectorELNS0_4arch9wavefront6targetE1EEEvT1_,comdat
.Lfunc_end587:
	.size	_ZN7rocprim17ROCPRIM_400000_NS6detail17trampoline_kernelINS0_14default_configENS1_29reduce_by_key_config_selectorIiiN6thrust23THRUST_200600_302600_NS4plusIiEEEEZZNS1_33reduce_by_key_impl_wrapped_configILNS1_25lookback_scan_determinismE0ES3_S9_NS6_6detail15normal_iteratorINS6_10device_ptrIiEEEESG_SG_SG_PmS8_22is_equal_div_10_reduceIiEEE10hipError_tPvRmT2_T3_mT4_T5_T6_T7_T8_P12ihipStream_tbENKUlT_T0_E_clISt17integral_constantIbLb0EES11_EEDaSW_SX_EUlSW_E_NS1_11comp_targetILNS1_3genE3ELNS1_11target_archE908ELNS1_3gpuE7ELNS1_3repE0EEENS1_30default_config_static_selectorELNS0_4arch9wavefront6targetE1EEEvT1_, .Lfunc_end587-_ZN7rocprim17ROCPRIM_400000_NS6detail17trampoline_kernelINS0_14default_configENS1_29reduce_by_key_config_selectorIiiN6thrust23THRUST_200600_302600_NS4plusIiEEEEZZNS1_33reduce_by_key_impl_wrapped_configILNS1_25lookback_scan_determinismE0ES3_S9_NS6_6detail15normal_iteratorINS6_10device_ptrIiEEEESG_SG_SG_PmS8_22is_equal_div_10_reduceIiEEE10hipError_tPvRmT2_T3_mT4_T5_T6_T7_T8_P12ihipStream_tbENKUlT_T0_E_clISt17integral_constantIbLb0EES11_EEDaSW_SX_EUlSW_E_NS1_11comp_targetILNS1_3genE3ELNS1_11target_archE908ELNS1_3gpuE7ELNS1_3repE0EEENS1_30default_config_static_selectorELNS0_4arch9wavefront6targetE1EEEvT1_
                                        ; -- End function
	.section	.AMDGPU.csdata,"",@progbits
; Kernel info:
; codeLenInByte = 0
; NumSgprs: 4
; NumVgprs: 0
; NumAgprs: 0
; TotalNumVgprs: 0
; ScratchSize: 0
; MemoryBound: 0
; FloatMode: 240
; IeeeMode: 1
; LDSByteSize: 0 bytes/workgroup (compile time only)
; SGPRBlocks: 0
; VGPRBlocks: 0
; NumSGPRsForWavesPerEU: 4
; NumVGPRsForWavesPerEU: 1
; AccumOffset: 4
; Occupancy: 8
; WaveLimiterHint : 0
; COMPUTE_PGM_RSRC2:SCRATCH_EN: 0
; COMPUTE_PGM_RSRC2:USER_SGPR: 6
; COMPUTE_PGM_RSRC2:TRAP_HANDLER: 0
; COMPUTE_PGM_RSRC2:TGID_X_EN: 1
; COMPUTE_PGM_RSRC2:TGID_Y_EN: 0
; COMPUTE_PGM_RSRC2:TGID_Z_EN: 0
; COMPUTE_PGM_RSRC2:TIDIG_COMP_CNT: 0
; COMPUTE_PGM_RSRC3_GFX90A:ACCUM_OFFSET: 0
; COMPUTE_PGM_RSRC3_GFX90A:TG_SPLIT: 0
	.section	.text._ZN7rocprim17ROCPRIM_400000_NS6detail17trampoline_kernelINS0_14default_configENS1_29reduce_by_key_config_selectorIiiN6thrust23THRUST_200600_302600_NS4plusIiEEEEZZNS1_33reduce_by_key_impl_wrapped_configILNS1_25lookback_scan_determinismE0ES3_S9_NS6_6detail15normal_iteratorINS6_10device_ptrIiEEEESG_SG_SG_PmS8_22is_equal_div_10_reduceIiEEE10hipError_tPvRmT2_T3_mT4_T5_T6_T7_T8_P12ihipStream_tbENKUlT_T0_E_clISt17integral_constantIbLb0EES11_EEDaSW_SX_EUlSW_E_NS1_11comp_targetILNS1_3genE2ELNS1_11target_archE906ELNS1_3gpuE6ELNS1_3repE0EEENS1_30default_config_static_selectorELNS0_4arch9wavefront6targetE1EEEvT1_,"axG",@progbits,_ZN7rocprim17ROCPRIM_400000_NS6detail17trampoline_kernelINS0_14default_configENS1_29reduce_by_key_config_selectorIiiN6thrust23THRUST_200600_302600_NS4plusIiEEEEZZNS1_33reduce_by_key_impl_wrapped_configILNS1_25lookback_scan_determinismE0ES3_S9_NS6_6detail15normal_iteratorINS6_10device_ptrIiEEEESG_SG_SG_PmS8_22is_equal_div_10_reduceIiEEE10hipError_tPvRmT2_T3_mT4_T5_T6_T7_T8_P12ihipStream_tbENKUlT_T0_E_clISt17integral_constantIbLb0EES11_EEDaSW_SX_EUlSW_E_NS1_11comp_targetILNS1_3genE2ELNS1_11target_archE906ELNS1_3gpuE6ELNS1_3repE0EEENS1_30default_config_static_selectorELNS0_4arch9wavefront6targetE1EEEvT1_,comdat
	.protected	_ZN7rocprim17ROCPRIM_400000_NS6detail17trampoline_kernelINS0_14default_configENS1_29reduce_by_key_config_selectorIiiN6thrust23THRUST_200600_302600_NS4plusIiEEEEZZNS1_33reduce_by_key_impl_wrapped_configILNS1_25lookback_scan_determinismE0ES3_S9_NS6_6detail15normal_iteratorINS6_10device_ptrIiEEEESG_SG_SG_PmS8_22is_equal_div_10_reduceIiEEE10hipError_tPvRmT2_T3_mT4_T5_T6_T7_T8_P12ihipStream_tbENKUlT_T0_E_clISt17integral_constantIbLb0EES11_EEDaSW_SX_EUlSW_E_NS1_11comp_targetILNS1_3genE2ELNS1_11target_archE906ELNS1_3gpuE6ELNS1_3repE0EEENS1_30default_config_static_selectorELNS0_4arch9wavefront6targetE1EEEvT1_ ; -- Begin function _ZN7rocprim17ROCPRIM_400000_NS6detail17trampoline_kernelINS0_14default_configENS1_29reduce_by_key_config_selectorIiiN6thrust23THRUST_200600_302600_NS4plusIiEEEEZZNS1_33reduce_by_key_impl_wrapped_configILNS1_25lookback_scan_determinismE0ES3_S9_NS6_6detail15normal_iteratorINS6_10device_ptrIiEEEESG_SG_SG_PmS8_22is_equal_div_10_reduceIiEEE10hipError_tPvRmT2_T3_mT4_T5_T6_T7_T8_P12ihipStream_tbENKUlT_T0_E_clISt17integral_constantIbLb0EES11_EEDaSW_SX_EUlSW_E_NS1_11comp_targetILNS1_3genE2ELNS1_11target_archE906ELNS1_3gpuE6ELNS1_3repE0EEENS1_30default_config_static_selectorELNS0_4arch9wavefront6targetE1EEEvT1_
	.globl	_ZN7rocprim17ROCPRIM_400000_NS6detail17trampoline_kernelINS0_14default_configENS1_29reduce_by_key_config_selectorIiiN6thrust23THRUST_200600_302600_NS4plusIiEEEEZZNS1_33reduce_by_key_impl_wrapped_configILNS1_25lookback_scan_determinismE0ES3_S9_NS6_6detail15normal_iteratorINS6_10device_ptrIiEEEESG_SG_SG_PmS8_22is_equal_div_10_reduceIiEEE10hipError_tPvRmT2_T3_mT4_T5_T6_T7_T8_P12ihipStream_tbENKUlT_T0_E_clISt17integral_constantIbLb0EES11_EEDaSW_SX_EUlSW_E_NS1_11comp_targetILNS1_3genE2ELNS1_11target_archE906ELNS1_3gpuE6ELNS1_3repE0EEENS1_30default_config_static_selectorELNS0_4arch9wavefront6targetE1EEEvT1_
	.p2align	8
	.type	_ZN7rocprim17ROCPRIM_400000_NS6detail17trampoline_kernelINS0_14default_configENS1_29reduce_by_key_config_selectorIiiN6thrust23THRUST_200600_302600_NS4plusIiEEEEZZNS1_33reduce_by_key_impl_wrapped_configILNS1_25lookback_scan_determinismE0ES3_S9_NS6_6detail15normal_iteratorINS6_10device_ptrIiEEEESG_SG_SG_PmS8_22is_equal_div_10_reduceIiEEE10hipError_tPvRmT2_T3_mT4_T5_T6_T7_T8_P12ihipStream_tbENKUlT_T0_E_clISt17integral_constantIbLb0EES11_EEDaSW_SX_EUlSW_E_NS1_11comp_targetILNS1_3genE2ELNS1_11target_archE906ELNS1_3gpuE6ELNS1_3repE0EEENS1_30default_config_static_selectorELNS0_4arch9wavefront6targetE1EEEvT1_,@function
_ZN7rocprim17ROCPRIM_400000_NS6detail17trampoline_kernelINS0_14default_configENS1_29reduce_by_key_config_selectorIiiN6thrust23THRUST_200600_302600_NS4plusIiEEEEZZNS1_33reduce_by_key_impl_wrapped_configILNS1_25lookback_scan_determinismE0ES3_S9_NS6_6detail15normal_iteratorINS6_10device_ptrIiEEEESG_SG_SG_PmS8_22is_equal_div_10_reduceIiEEE10hipError_tPvRmT2_T3_mT4_T5_T6_T7_T8_P12ihipStream_tbENKUlT_T0_E_clISt17integral_constantIbLb0EES11_EEDaSW_SX_EUlSW_E_NS1_11comp_targetILNS1_3genE2ELNS1_11target_archE906ELNS1_3gpuE6ELNS1_3repE0EEENS1_30default_config_static_selectorELNS0_4arch9wavefront6targetE1EEEvT1_: ; @_ZN7rocprim17ROCPRIM_400000_NS6detail17trampoline_kernelINS0_14default_configENS1_29reduce_by_key_config_selectorIiiN6thrust23THRUST_200600_302600_NS4plusIiEEEEZZNS1_33reduce_by_key_impl_wrapped_configILNS1_25lookback_scan_determinismE0ES3_S9_NS6_6detail15normal_iteratorINS6_10device_ptrIiEEEESG_SG_SG_PmS8_22is_equal_div_10_reduceIiEEE10hipError_tPvRmT2_T3_mT4_T5_T6_T7_T8_P12ihipStream_tbENKUlT_T0_E_clISt17integral_constantIbLb0EES11_EEDaSW_SX_EUlSW_E_NS1_11comp_targetILNS1_3genE2ELNS1_11target_archE906ELNS1_3gpuE6ELNS1_3repE0EEENS1_30default_config_static_selectorELNS0_4arch9wavefront6targetE1EEEvT1_
; %bb.0:
	.section	.rodata,"a",@progbits
	.p2align	6, 0x0
	.amdhsa_kernel _ZN7rocprim17ROCPRIM_400000_NS6detail17trampoline_kernelINS0_14default_configENS1_29reduce_by_key_config_selectorIiiN6thrust23THRUST_200600_302600_NS4plusIiEEEEZZNS1_33reduce_by_key_impl_wrapped_configILNS1_25lookback_scan_determinismE0ES3_S9_NS6_6detail15normal_iteratorINS6_10device_ptrIiEEEESG_SG_SG_PmS8_22is_equal_div_10_reduceIiEEE10hipError_tPvRmT2_T3_mT4_T5_T6_T7_T8_P12ihipStream_tbENKUlT_T0_E_clISt17integral_constantIbLb0EES11_EEDaSW_SX_EUlSW_E_NS1_11comp_targetILNS1_3genE2ELNS1_11target_archE906ELNS1_3gpuE6ELNS1_3repE0EEENS1_30default_config_static_selectorELNS0_4arch9wavefront6targetE1EEEvT1_
		.amdhsa_group_segment_fixed_size 0
		.amdhsa_private_segment_fixed_size 0
		.amdhsa_kernarg_size 120
		.amdhsa_user_sgpr_count 6
		.amdhsa_user_sgpr_private_segment_buffer 1
		.amdhsa_user_sgpr_dispatch_ptr 0
		.amdhsa_user_sgpr_queue_ptr 0
		.amdhsa_user_sgpr_kernarg_segment_ptr 1
		.amdhsa_user_sgpr_dispatch_id 0
		.amdhsa_user_sgpr_flat_scratch_init 0
		.amdhsa_user_sgpr_kernarg_preload_length 0
		.amdhsa_user_sgpr_kernarg_preload_offset 0
		.amdhsa_user_sgpr_private_segment_size 0
		.amdhsa_uses_dynamic_stack 0
		.amdhsa_system_sgpr_private_segment_wavefront_offset 0
		.amdhsa_system_sgpr_workgroup_id_x 1
		.amdhsa_system_sgpr_workgroup_id_y 0
		.amdhsa_system_sgpr_workgroup_id_z 0
		.amdhsa_system_sgpr_workgroup_info 0
		.amdhsa_system_vgpr_workitem_id 0
		.amdhsa_next_free_vgpr 1
		.amdhsa_next_free_sgpr 0
		.amdhsa_accum_offset 4
		.amdhsa_reserve_vcc 0
		.amdhsa_reserve_flat_scratch 0
		.amdhsa_float_round_mode_32 0
		.amdhsa_float_round_mode_16_64 0
		.amdhsa_float_denorm_mode_32 3
		.amdhsa_float_denorm_mode_16_64 3
		.amdhsa_dx10_clamp 1
		.amdhsa_ieee_mode 1
		.amdhsa_fp16_overflow 0
		.amdhsa_tg_split 0
		.amdhsa_exception_fp_ieee_invalid_op 0
		.amdhsa_exception_fp_denorm_src 0
		.amdhsa_exception_fp_ieee_div_zero 0
		.amdhsa_exception_fp_ieee_overflow 0
		.amdhsa_exception_fp_ieee_underflow 0
		.amdhsa_exception_fp_ieee_inexact 0
		.amdhsa_exception_int_div_zero 0
	.end_amdhsa_kernel
	.section	.text._ZN7rocprim17ROCPRIM_400000_NS6detail17trampoline_kernelINS0_14default_configENS1_29reduce_by_key_config_selectorIiiN6thrust23THRUST_200600_302600_NS4plusIiEEEEZZNS1_33reduce_by_key_impl_wrapped_configILNS1_25lookback_scan_determinismE0ES3_S9_NS6_6detail15normal_iteratorINS6_10device_ptrIiEEEESG_SG_SG_PmS8_22is_equal_div_10_reduceIiEEE10hipError_tPvRmT2_T3_mT4_T5_T6_T7_T8_P12ihipStream_tbENKUlT_T0_E_clISt17integral_constantIbLb0EES11_EEDaSW_SX_EUlSW_E_NS1_11comp_targetILNS1_3genE2ELNS1_11target_archE906ELNS1_3gpuE6ELNS1_3repE0EEENS1_30default_config_static_selectorELNS0_4arch9wavefront6targetE1EEEvT1_,"axG",@progbits,_ZN7rocprim17ROCPRIM_400000_NS6detail17trampoline_kernelINS0_14default_configENS1_29reduce_by_key_config_selectorIiiN6thrust23THRUST_200600_302600_NS4plusIiEEEEZZNS1_33reduce_by_key_impl_wrapped_configILNS1_25lookback_scan_determinismE0ES3_S9_NS6_6detail15normal_iteratorINS6_10device_ptrIiEEEESG_SG_SG_PmS8_22is_equal_div_10_reduceIiEEE10hipError_tPvRmT2_T3_mT4_T5_T6_T7_T8_P12ihipStream_tbENKUlT_T0_E_clISt17integral_constantIbLb0EES11_EEDaSW_SX_EUlSW_E_NS1_11comp_targetILNS1_3genE2ELNS1_11target_archE906ELNS1_3gpuE6ELNS1_3repE0EEENS1_30default_config_static_selectorELNS0_4arch9wavefront6targetE1EEEvT1_,comdat
.Lfunc_end588:
	.size	_ZN7rocprim17ROCPRIM_400000_NS6detail17trampoline_kernelINS0_14default_configENS1_29reduce_by_key_config_selectorIiiN6thrust23THRUST_200600_302600_NS4plusIiEEEEZZNS1_33reduce_by_key_impl_wrapped_configILNS1_25lookback_scan_determinismE0ES3_S9_NS6_6detail15normal_iteratorINS6_10device_ptrIiEEEESG_SG_SG_PmS8_22is_equal_div_10_reduceIiEEE10hipError_tPvRmT2_T3_mT4_T5_T6_T7_T8_P12ihipStream_tbENKUlT_T0_E_clISt17integral_constantIbLb0EES11_EEDaSW_SX_EUlSW_E_NS1_11comp_targetILNS1_3genE2ELNS1_11target_archE906ELNS1_3gpuE6ELNS1_3repE0EEENS1_30default_config_static_selectorELNS0_4arch9wavefront6targetE1EEEvT1_, .Lfunc_end588-_ZN7rocprim17ROCPRIM_400000_NS6detail17trampoline_kernelINS0_14default_configENS1_29reduce_by_key_config_selectorIiiN6thrust23THRUST_200600_302600_NS4plusIiEEEEZZNS1_33reduce_by_key_impl_wrapped_configILNS1_25lookback_scan_determinismE0ES3_S9_NS6_6detail15normal_iteratorINS6_10device_ptrIiEEEESG_SG_SG_PmS8_22is_equal_div_10_reduceIiEEE10hipError_tPvRmT2_T3_mT4_T5_T6_T7_T8_P12ihipStream_tbENKUlT_T0_E_clISt17integral_constantIbLb0EES11_EEDaSW_SX_EUlSW_E_NS1_11comp_targetILNS1_3genE2ELNS1_11target_archE906ELNS1_3gpuE6ELNS1_3repE0EEENS1_30default_config_static_selectorELNS0_4arch9wavefront6targetE1EEEvT1_
                                        ; -- End function
	.section	.AMDGPU.csdata,"",@progbits
; Kernel info:
; codeLenInByte = 0
; NumSgprs: 4
; NumVgprs: 0
; NumAgprs: 0
; TotalNumVgprs: 0
; ScratchSize: 0
; MemoryBound: 0
; FloatMode: 240
; IeeeMode: 1
; LDSByteSize: 0 bytes/workgroup (compile time only)
; SGPRBlocks: 0
; VGPRBlocks: 0
; NumSGPRsForWavesPerEU: 4
; NumVGPRsForWavesPerEU: 1
; AccumOffset: 4
; Occupancy: 8
; WaveLimiterHint : 0
; COMPUTE_PGM_RSRC2:SCRATCH_EN: 0
; COMPUTE_PGM_RSRC2:USER_SGPR: 6
; COMPUTE_PGM_RSRC2:TRAP_HANDLER: 0
; COMPUTE_PGM_RSRC2:TGID_X_EN: 1
; COMPUTE_PGM_RSRC2:TGID_Y_EN: 0
; COMPUTE_PGM_RSRC2:TGID_Z_EN: 0
; COMPUTE_PGM_RSRC2:TIDIG_COMP_CNT: 0
; COMPUTE_PGM_RSRC3_GFX90A:ACCUM_OFFSET: 0
; COMPUTE_PGM_RSRC3_GFX90A:TG_SPLIT: 0
	.section	.text._ZN7rocprim17ROCPRIM_400000_NS6detail17trampoline_kernelINS0_14default_configENS1_29reduce_by_key_config_selectorIiiN6thrust23THRUST_200600_302600_NS4plusIiEEEEZZNS1_33reduce_by_key_impl_wrapped_configILNS1_25lookback_scan_determinismE0ES3_S9_NS6_6detail15normal_iteratorINS6_10device_ptrIiEEEESG_SG_SG_PmS8_22is_equal_div_10_reduceIiEEE10hipError_tPvRmT2_T3_mT4_T5_T6_T7_T8_P12ihipStream_tbENKUlT_T0_E_clISt17integral_constantIbLb0EES11_EEDaSW_SX_EUlSW_E_NS1_11comp_targetILNS1_3genE10ELNS1_11target_archE1201ELNS1_3gpuE5ELNS1_3repE0EEENS1_30default_config_static_selectorELNS0_4arch9wavefront6targetE1EEEvT1_,"axG",@progbits,_ZN7rocprim17ROCPRIM_400000_NS6detail17trampoline_kernelINS0_14default_configENS1_29reduce_by_key_config_selectorIiiN6thrust23THRUST_200600_302600_NS4plusIiEEEEZZNS1_33reduce_by_key_impl_wrapped_configILNS1_25lookback_scan_determinismE0ES3_S9_NS6_6detail15normal_iteratorINS6_10device_ptrIiEEEESG_SG_SG_PmS8_22is_equal_div_10_reduceIiEEE10hipError_tPvRmT2_T3_mT4_T5_T6_T7_T8_P12ihipStream_tbENKUlT_T0_E_clISt17integral_constantIbLb0EES11_EEDaSW_SX_EUlSW_E_NS1_11comp_targetILNS1_3genE10ELNS1_11target_archE1201ELNS1_3gpuE5ELNS1_3repE0EEENS1_30default_config_static_selectorELNS0_4arch9wavefront6targetE1EEEvT1_,comdat
	.protected	_ZN7rocprim17ROCPRIM_400000_NS6detail17trampoline_kernelINS0_14default_configENS1_29reduce_by_key_config_selectorIiiN6thrust23THRUST_200600_302600_NS4plusIiEEEEZZNS1_33reduce_by_key_impl_wrapped_configILNS1_25lookback_scan_determinismE0ES3_S9_NS6_6detail15normal_iteratorINS6_10device_ptrIiEEEESG_SG_SG_PmS8_22is_equal_div_10_reduceIiEEE10hipError_tPvRmT2_T3_mT4_T5_T6_T7_T8_P12ihipStream_tbENKUlT_T0_E_clISt17integral_constantIbLb0EES11_EEDaSW_SX_EUlSW_E_NS1_11comp_targetILNS1_3genE10ELNS1_11target_archE1201ELNS1_3gpuE5ELNS1_3repE0EEENS1_30default_config_static_selectorELNS0_4arch9wavefront6targetE1EEEvT1_ ; -- Begin function _ZN7rocprim17ROCPRIM_400000_NS6detail17trampoline_kernelINS0_14default_configENS1_29reduce_by_key_config_selectorIiiN6thrust23THRUST_200600_302600_NS4plusIiEEEEZZNS1_33reduce_by_key_impl_wrapped_configILNS1_25lookback_scan_determinismE0ES3_S9_NS6_6detail15normal_iteratorINS6_10device_ptrIiEEEESG_SG_SG_PmS8_22is_equal_div_10_reduceIiEEE10hipError_tPvRmT2_T3_mT4_T5_T6_T7_T8_P12ihipStream_tbENKUlT_T0_E_clISt17integral_constantIbLb0EES11_EEDaSW_SX_EUlSW_E_NS1_11comp_targetILNS1_3genE10ELNS1_11target_archE1201ELNS1_3gpuE5ELNS1_3repE0EEENS1_30default_config_static_selectorELNS0_4arch9wavefront6targetE1EEEvT1_
	.globl	_ZN7rocprim17ROCPRIM_400000_NS6detail17trampoline_kernelINS0_14default_configENS1_29reduce_by_key_config_selectorIiiN6thrust23THRUST_200600_302600_NS4plusIiEEEEZZNS1_33reduce_by_key_impl_wrapped_configILNS1_25lookback_scan_determinismE0ES3_S9_NS6_6detail15normal_iteratorINS6_10device_ptrIiEEEESG_SG_SG_PmS8_22is_equal_div_10_reduceIiEEE10hipError_tPvRmT2_T3_mT4_T5_T6_T7_T8_P12ihipStream_tbENKUlT_T0_E_clISt17integral_constantIbLb0EES11_EEDaSW_SX_EUlSW_E_NS1_11comp_targetILNS1_3genE10ELNS1_11target_archE1201ELNS1_3gpuE5ELNS1_3repE0EEENS1_30default_config_static_selectorELNS0_4arch9wavefront6targetE1EEEvT1_
	.p2align	8
	.type	_ZN7rocprim17ROCPRIM_400000_NS6detail17trampoline_kernelINS0_14default_configENS1_29reduce_by_key_config_selectorIiiN6thrust23THRUST_200600_302600_NS4plusIiEEEEZZNS1_33reduce_by_key_impl_wrapped_configILNS1_25lookback_scan_determinismE0ES3_S9_NS6_6detail15normal_iteratorINS6_10device_ptrIiEEEESG_SG_SG_PmS8_22is_equal_div_10_reduceIiEEE10hipError_tPvRmT2_T3_mT4_T5_T6_T7_T8_P12ihipStream_tbENKUlT_T0_E_clISt17integral_constantIbLb0EES11_EEDaSW_SX_EUlSW_E_NS1_11comp_targetILNS1_3genE10ELNS1_11target_archE1201ELNS1_3gpuE5ELNS1_3repE0EEENS1_30default_config_static_selectorELNS0_4arch9wavefront6targetE1EEEvT1_,@function
_ZN7rocprim17ROCPRIM_400000_NS6detail17trampoline_kernelINS0_14default_configENS1_29reduce_by_key_config_selectorIiiN6thrust23THRUST_200600_302600_NS4plusIiEEEEZZNS1_33reduce_by_key_impl_wrapped_configILNS1_25lookback_scan_determinismE0ES3_S9_NS6_6detail15normal_iteratorINS6_10device_ptrIiEEEESG_SG_SG_PmS8_22is_equal_div_10_reduceIiEEE10hipError_tPvRmT2_T3_mT4_T5_T6_T7_T8_P12ihipStream_tbENKUlT_T0_E_clISt17integral_constantIbLb0EES11_EEDaSW_SX_EUlSW_E_NS1_11comp_targetILNS1_3genE10ELNS1_11target_archE1201ELNS1_3gpuE5ELNS1_3repE0EEENS1_30default_config_static_selectorELNS0_4arch9wavefront6targetE1EEEvT1_: ; @_ZN7rocprim17ROCPRIM_400000_NS6detail17trampoline_kernelINS0_14default_configENS1_29reduce_by_key_config_selectorIiiN6thrust23THRUST_200600_302600_NS4plusIiEEEEZZNS1_33reduce_by_key_impl_wrapped_configILNS1_25lookback_scan_determinismE0ES3_S9_NS6_6detail15normal_iteratorINS6_10device_ptrIiEEEESG_SG_SG_PmS8_22is_equal_div_10_reduceIiEEE10hipError_tPvRmT2_T3_mT4_T5_T6_T7_T8_P12ihipStream_tbENKUlT_T0_E_clISt17integral_constantIbLb0EES11_EEDaSW_SX_EUlSW_E_NS1_11comp_targetILNS1_3genE10ELNS1_11target_archE1201ELNS1_3gpuE5ELNS1_3repE0EEENS1_30default_config_static_selectorELNS0_4arch9wavefront6targetE1EEEvT1_
; %bb.0:
	.section	.rodata,"a",@progbits
	.p2align	6, 0x0
	.amdhsa_kernel _ZN7rocprim17ROCPRIM_400000_NS6detail17trampoline_kernelINS0_14default_configENS1_29reduce_by_key_config_selectorIiiN6thrust23THRUST_200600_302600_NS4plusIiEEEEZZNS1_33reduce_by_key_impl_wrapped_configILNS1_25lookback_scan_determinismE0ES3_S9_NS6_6detail15normal_iteratorINS6_10device_ptrIiEEEESG_SG_SG_PmS8_22is_equal_div_10_reduceIiEEE10hipError_tPvRmT2_T3_mT4_T5_T6_T7_T8_P12ihipStream_tbENKUlT_T0_E_clISt17integral_constantIbLb0EES11_EEDaSW_SX_EUlSW_E_NS1_11comp_targetILNS1_3genE10ELNS1_11target_archE1201ELNS1_3gpuE5ELNS1_3repE0EEENS1_30default_config_static_selectorELNS0_4arch9wavefront6targetE1EEEvT1_
		.amdhsa_group_segment_fixed_size 0
		.amdhsa_private_segment_fixed_size 0
		.amdhsa_kernarg_size 120
		.amdhsa_user_sgpr_count 6
		.amdhsa_user_sgpr_private_segment_buffer 1
		.amdhsa_user_sgpr_dispatch_ptr 0
		.amdhsa_user_sgpr_queue_ptr 0
		.amdhsa_user_sgpr_kernarg_segment_ptr 1
		.amdhsa_user_sgpr_dispatch_id 0
		.amdhsa_user_sgpr_flat_scratch_init 0
		.amdhsa_user_sgpr_kernarg_preload_length 0
		.amdhsa_user_sgpr_kernarg_preload_offset 0
		.amdhsa_user_sgpr_private_segment_size 0
		.amdhsa_uses_dynamic_stack 0
		.amdhsa_system_sgpr_private_segment_wavefront_offset 0
		.amdhsa_system_sgpr_workgroup_id_x 1
		.amdhsa_system_sgpr_workgroup_id_y 0
		.amdhsa_system_sgpr_workgroup_id_z 0
		.amdhsa_system_sgpr_workgroup_info 0
		.amdhsa_system_vgpr_workitem_id 0
		.amdhsa_next_free_vgpr 1
		.amdhsa_next_free_sgpr 0
		.amdhsa_accum_offset 4
		.amdhsa_reserve_vcc 0
		.amdhsa_reserve_flat_scratch 0
		.amdhsa_float_round_mode_32 0
		.amdhsa_float_round_mode_16_64 0
		.amdhsa_float_denorm_mode_32 3
		.amdhsa_float_denorm_mode_16_64 3
		.amdhsa_dx10_clamp 1
		.amdhsa_ieee_mode 1
		.amdhsa_fp16_overflow 0
		.amdhsa_tg_split 0
		.amdhsa_exception_fp_ieee_invalid_op 0
		.amdhsa_exception_fp_denorm_src 0
		.amdhsa_exception_fp_ieee_div_zero 0
		.amdhsa_exception_fp_ieee_overflow 0
		.amdhsa_exception_fp_ieee_underflow 0
		.amdhsa_exception_fp_ieee_inexact 0
		.amdhsa_exception_int_div_zero 0
	.end_amdhsa_kernel
	.section	.text._ZN7rocprim17ROCPRIM_400000_NS6detail17trampoline_kernelINS0_14default_configENS1_29reduce_by_key_config_selectorIiiN6thrust23THRUST_200600_302600_NS4plusIiEEEEZZNS1_33reduce_by_key_impl_wrapped_configILNS1_25lookback_scan_determinismE0ES3_S9_NS6_6detail15normal_iteratorINS6_10device_ptrIiEEEESG_SG_SG_PmS8_22is_equal_div_10_reduceIiEEE10hipError_tPvRmT2_T3_mT4_T5_T6_T7_T8_P12ihipStream_tbENKUlT_T0_E_clISt17integral_constantIbLb0EES11_EEDaSW_SX_EUlSW_E_NS1_11comp_targetILNS1_3genE10ELNS1_11target_archE1201ELNS1_3gpuE5ELNS1_3repE0EEENS1_30default_config_static_selectorELNS0_4arch9wavefront6targetE1EEEvT1_,"axG",@progbits,_ZN7rocprim17ROCPRIM_400000_NS6detail17trampoline_kernelINS0_14default_configENS1_29reduce_by_key_config_selectorIiiN6thrust23THRUST_200600_302600_NS4plusIiEEEEZZNS1_33reduce_by_key_impl_wrapped_configILNS1_25lookback_scan_determinismE0ES3_S9_NS6_6detail15normal_iteratorINS6_10device_ptrIiEEEESG_SG_SG_PmS8_22is_equal_div_10_reduceIiEEE10hipError_tPvRmT2_T3_mT4_T5_T6_T7_T8_P12ihipStream_tbENKUlT_T0_E_clISt17integral_constantIbLb0EES11_EEDaSW_SX_EUlSW_E_NS1_11comp_targetILNS1_3genE10ELNS1_11target_archE1201ELNS1_3gpuE5ELNS1_3repE0EEENS1_30default_config_static_selectorELNS0_4arch9wavefront6targetE1EEEvT1_,comdat
.Lfunc_end589:
	.size	_ZN7rocprim17ROCPRIM_400000_NS6detail17trampoline_kernelINS0_14default_configENS1_29reduce_by_key_config_selectorIiiN6thrust23THRUST_200600_302600_NS4plusIiEEEEZZNS1_33reduce_by_key_impl_wrapped_configILNS1_25lookback_scan_determinismE0ES3_S9_NS6_6detail15normal_iteratorINS6_10device_ptrIiEEEESG_SG_SG_PmS8_22is_equal_div_10_reduceIiEEE10hipError_tPvRmT2_T3_mT4_T5_T6_T7_T8_P12ihipStream_tbENKUlT_T0_E_clISt17integral_constantIbLb0EES11_EEDaSW_SX_EUlSW_E_NS1_11comp_targetILNS1_3genE10ELNS1_11target_archE1201ELNS1_3gpuE5ELNS1_3repE0EEENS1_30default_config_static_selectorELNS0_4arch9wavefront6targetE1EEEvT1_, .Lfunc_end589-_ZN7rocprim17ROCPRIM_400000_NS6detail17trampoline_kernelINS0_14default_configENS1_29reduce_by_key_config_selectorIiiN6thrust23THRUST_200600_302600_NS4plusIiEEEEZZNS1_33reduce_by_key_impl_wrapped_configILNS1_25lookback_scan_determinismE0ES3_S9_NS6_6detail15normal_iteratorINS6_10device_ptrIiEEEESG_SG_SG_PmS8_22is_equal_div_10_reduceIiEEE10hipError_tPvRmT2_T3_mT4_T5_T6_T7_T8_P12ihipStream_tbENKUlT_T0_E_clISt17integral_constantIbLb0EES11_EEDaSW_SX_EUlSW_E_NS1_11comp_targetILNS1_3genE10ELNS1_11target_archE1201ELNS1_3gpuE5ELNS1_3repE0EEENS1_30default_config_static_selectorELNS0_4arch9wavefront6targetE1EEEvT1_
                                        ; -- End function
	.section	.AMDGPU.csdata,"",@progbits
; Kernel info:
; codeLenInByte = 0
; NumSgprs: 4
; NumVgprs: 0
; NumAgprs: 0
; TotalNumVgprs: 0
; ScratchSize: 0
; MemoryBound: 0
; FloatMode: 240
; IeeeMode: 1
; LDSByteSize: 0 bytes/workgroup (compile time only)
; SGPRBlocks: 0
; VGPRBlocks: 0
; NumSGPRsForWavesPerEU: 4
; NumVGPRsForWavesPerEU: 1
; AccumOffset: 4
; Occupancy: 8
; WaveLimiterHint : 0
; COMPUTE_PGM_RSRC2:SCRATCH_EN: 0
; COMPUTE_PGM_RSRC2:USER_SGPR: 6
; COMPUTE_PGM_RSRC2:TRAP_HANDLER: 0
; COMPUTE_PGM_RSRC2:TGID_X_EN: 1
; COMPUTE_PGM_RSRC2:TGID_Y_EN: 0
; COMPUTE_PGM_RSRC2:TGID_Z_EN: 0
; COMPUTE_PGM_RSRC2:TIDIG_COMP_CNT: 0
; COMPUTE_PGM_RSRC3_GFX90A:ACCUM_OFFSET: 0
; COMPUTE_PGM_RSRC3_GFX90A:TG_SPLIT: 0
	.section	.text._ZN7rocprim17ROCPRIM_400000_NS6detail17trampoline_kernelINS0_14default_configENS1_29reduce_by_key_config_selectorIiiN6thrust23THRUST_200600_302600_NS4plusIiEEEEZZNS1_33reduce_by_key_impl_wrapped_configILNS1_25lookback_scan_determinismE0ES3_S9_NS6_6detail15normal_iteratorINS6_10device_ptrIiEEEESG_SG_SG_PmS8_22is_equal_div_10_reduceIiEEE10hipError_tPvRmT2_T3_mT4_T5_T6_T7_T8_P12ihipStream_tbENKUlT_T0_E_clISt17integral_constantIbLb0EES11_EEDaSW_SX_EUlSW_E_NS1_11comp_targetILNS1_3genE10ELNS1_11target_archE1200ELNS1_3gpuE4ELNS1_3repE0EEENS1_30default_config_static_selectorELNS0_4arch9wavefront6targetE1EEEvT1_,"axG",@progbits,_ZN7rocprim17ROCPRIM_400000_NS6detail17trampoline_kernelINS0_14default_configENS1_29reduce_by_key_config_selectorIiiN6thrust23THRUST_200600_302600_NS4plusIiEEEEZZNS1_33reduce_by_key_impl_wrapped_configILNS1_25lookback_scan_determinismE0ES3_S9_NS6_6detail15normal_iteratorINS6_10device_ptrIiEEEESG_SG_SG_PmS8_22is_equal_div_10_reduceIiEEE10hipError_tPvRmT2_T3_mT4_T5_T6_T7_T8_P12ihipStream_tbENKUlT_T0_E_clISt17integral_constantIbLb0EES11_EEDaSW_SX_EUlSW_E_NS1_11comp_targetILNS1_3genE10ELNS1_11target_archE1200ELNS1_3gpuE4ELNS1_3repE0EEENS1_30default_config_static_selectorELNS0_4arch9wavefront6targetE1EEEvT1_,comdat
	.protected	_ZN7rocprim17ROCPRIM_400000_NS6detail17trampoline_kernelINS0_14default_configENS1_29reduce_by_key_config_selectorIiiN6thrust23THRUST_200600_302600_NS4plusIiEEEEZZNS1_33reduce_by_key_impl_wrapped_configILNS1_25lookback_scan_determinismE0ES3_S9_NS6_6detail15normal_iteratorINS6_10device_ptrIiEEEESG_SG_SG_PmS8_22is_equal_div_10_reduceIiEEE10hipError_tPvRmT2_T3_mT4_T5_T6_T7_T8_P12ihipStream_tbENKUlT_T0_E_clISt17integral_constantIbLb0EES11_EEDaSW_SX_EUlSW_E_NS1_11comp_targetILNS1_3genE10ELNS1_11target_archE1200ELNS1_3gpuE4ELNS1_3repE0EEENS1_30default_config_static_selectorELNS0_4arch9wavefront6targetE1EEEvT1_ ; -- Begin function _ZN7rocprim17ROCPRIM_400000_NS6detail17trampoline_kernelINS0_14default_configENS1_29reduce_by_key_config_selectorIiiN6thrust23THRUST_200600_302600_NS4plusIiEEEEZZNS1_33reduce_by_key_impl_wrapped_configILNS1_25lookback_scan_determinismE0ES3_S9_NS6_6detail15normal_iteratorINS6_10device_ptrIiEEEESG_SG_SG_PmS8_22is_equal_div_10_reduceIiEEE10hipError_tPvRmT2_T3_mT4_T5_T6_T7_T8_P12ihipStream_tbENKUlT_T0_E_clISt17integral_constantIbLb0EES11_EEDaSW_SX_EUlSW_E_NS1_11comp_targetILNS1_3genE10ELNS1_11target_archE1200ELNS1_3gpuE4ELNS1_3repE0EEENS1_30default_config_static_selectorELNS0_4arch9wavefront6targetE1EEEvT1_
	.globl	_ZN7rocprim17ROCPRIM_400000_NS6detail17trampoline_kernelINS0_14default_configENS1_29reduce_by_key_config_selectorIiiN6thrust23THRUST_200600_302600_NS4plusIiEEEEZZNS1_33reduce_by_key_impl_wrapped_configILNS1_25lookback_scan_determinismE0ES3_S9_NS6_6detail15normal_iteratorINS6_10device_ptrIiEEEESG_SG_SG_PmS8_22is_equal_div_10_reduceIiEEE10hipError_tPvRmT2_T3_mT4_T5_T6_T7_T8_P12ihipStream_tbENKUlT_T0_E_clISt17integral_constantIbLb0EES11_EEDaSW_SX_EUlSW_E_NS1_11comp_targetILNS1_3genE10ELNS1_11target_archE1200ELNS1_3gpuE4ELNS1_3repE0EEENS1_30default_config_static_selectorELNS0_4arch9wavefront6targetE1EEEvT1_
	.p2align	8
	.type	_ZN7rocprim17ROCPRIM_400000_NS6detail17trampoline_kernelINS0_14default_configENS1_29reduce_by_key_config_selectorIiiN6thrust23THRUST_200600_302600_NS4plusIiEEEEZZNS1_33reduce_by_key_impl_wrapped_configILNS1_25lookback_scan_determinismE0ES3_S9_NS6_6detail15normal_iteratorINS6_10device_ptrIiEEEESG_SG_SG_PmS8_22is_equal_div_10_reduceIiEEE10hipError_tPvRmT2_T3_mT4_T5_T6_T7_T8_P12ihipStream_tbENKUlT_T0_E_clISt17integral_constantIbLb0EES11_EEDaSW_SX_EUlSW_E_NS1_11comp_targetILNS1_3genE10ELNS1_11target_archE1200ELNS1_3gpuE4ELNS1_3repE0EEENS1_30default_config_static_selectorELNS0_4arch9wavefront6targetE1EEEvT1_,@function
_ZN7rocprim17ROCPRIM_400000_NS6detail17trampoline_kernelINS0_14default_configENS1_29reduce_by_key_config_selectorIiiN6thrust23THRUST_200600_302600_NS4plusIiEEEEZZNS1_33reduce_by_key_impl_wrapped_configILNS1_25lookback_scan_determinismE0ES3_S9_NS6_6detail15normal_iteratorINS6_10device_ptrIiEEEESG_SG_SG_PmS8_22is_equal_div_10_reduceIiEEE10hipError_tPvRmT2_T3_mT4_T5_T6_T7_T8_P12ihipStream_tbENKUlT_T0_E_clISt17integral_constantIbLb0EES11_EEDaSW_SX_EUlSW_E_NS1_11comp_targetILNS1_3genE10ELNS1_11target_archE1200ELNS1_3gpuE4ELNS1_3repE0EEENS1_30default_config_static_selectorELNS0_4arch9wavefront6targetE1EEEvT1_: ; @_ZN7rocprim17ROCPRIM_400000_NS6detail17trampoline_kernelINS0_14default_configENS1_29reduce_by_key_config_selectorIiiN6thrust23THRUST_200600_302600_NS4plusIiEEEEZZNS1_33reduce_by_key_impl_wrapped_configILNS1_25lookback_scan_determinismE0ES3_S9_NS6_6detail15normal_iteratorINS6_10device_ptrIiEEEESG_SG_SG_PmS8_22is_equal_div_10_reduceIiEEE10hipError_tPvRmT2_T3_mT4_T5_T6_T7_T8_P12ihipStream_tbENKUlT_T0_E_clISt17integral_constantIbLb0EES11_EEDaSW_SX_EUlSW_E_NS1_11comp_targetILNS1_3genE10ELNS1_11target_archE1200ELNS1_3gpuE4ELNS1_3repE0EEENS1_30default_config_static_selectorELNS0_4arch9wavefront6targetE1EEEvT1_
; %bb.0:
	.section	.rodata,"a",@progbits
	.p2align	6, 0x0
	.amdhsa_kernel _ZN7rocprim17ROCPRIM_400000_NS6detail17trampoline_kernelINS0_14default_configENS1_29reduce_by_key_config_selectorIiiN6thrust23THRUST_200600_302600_NS4plusIiEEEEZZNS1_33reduce_by_key_impl_wrapped_configILNS1_25lookback_scan_determinismE0ES3_S9_NS6_6detail15normal_iteratorINS6_10device_ptrIiEEEESG_SG_SG_PmS8_22is_equal_div_10_reduceIiEEE10hipError_tPvRmT2_T3_mT4_T5_T6_T7_T8_P12ihipStream_tbENKUlT_T0_E_clISt17integral_constantIbLb0EES11_EEDaSW_SX_EUlSW_E_NS1_11comp_targetILNS1_3genE10ELNS1_11target_archE1200ELNS1_3gpuE4ELNS1_3repE0EEENS1_30default_config_static_selectorELNS0_4arch9wavefront6targetE1EEEvT1_
		.amdhsa_group_segment_fixed_size 0
		.amdhsa_private_segment_fixed_size 0
		.amdhsa_kernarg_size 120
		.amdhsa_user_sgpr_count 6
		.amdhsa_user_sgpr_private_segment_buffer 1
		.amdhsa_user_sgpr_dispatch_ptr 0
		.amdhsa_user_sgpr_queue_ptr 0
		.amdhsa_user_sgpr_kernarg_segment_ptr 1
		.amdhsa_user_sgpr_dispatch_id 0
		.amdhsa_user_sgpr_flat_scratch_init 0
		.amdhsa_user_sgpr_kernarg_preload_length 0
		.amdhsa_user_sgpr_kernarg_preload_offset 0
		.amdhsa_user_sgpr_private_segment_size 0
		.amdhsa_uses_dynamic_stack 0
		.amdhsa_system_sgpr_private_segment_wavefront_offset 0
		.amdhsa_system_sgpr_workgroup_id_x 1
		.amdhsa_system_sgpr_workgroup_id_y 0
		.amdhsa_system_sgpr_workgroup_id_z 0
		.amdhsa_system_sgpr_workgroup_info 0
		.amdhsa_system_vgpr_workitem_id 0
		.amdhsa_next_free_vgpr 1
		.amdhsa_next_free_sgpr 0
		.amdhsa_accum_offset 4
		.amdhsa_reserve_vcc 0
		.amdhsa_reserve_flat_scratch 0
		.amdhsa_float_round_mode_32 0
		.amdhsa_float_round_mode_16_64 0
		.amdhsa_float_denorm_mode_32 3
		.amdhsa_float_denorm_mode_16_64 3
		.amdhsa_dx10_clamp 1
		.amdhsa_ieee_mode 1
		.amdhsa_fp16_overflow 0
		.amdhsa_tg_split 0
		.amdhsa_exception_fp_ieee_invalid_op 0
		.amdhsa_exception_fp_denorm_src 0
		.amdhsa_exception_fp_ieee_div_zero 0
		.amdhsa_exception_fp_ieee_overflow 0
		.amdhsa_exception_fp_ieee_underflow 0
		.amdhsa_exception_fp_ieee_inexact 0
		.amdhsa_exception_int_div_zero 0
	.end_amdhsa_kernel
	.section	.text._ZN7rocprim17ROCPRIM_400000_NS6detail17trampoline_kernelINS0_14default_configENS1_29reduce_by_key_config_selectorIiiN6thrust23THRUST_200600_302600_NS4plusIiEEEEZZNS1_33reduce_by_key_impl_wrapped_configILNS1_25lookback_scan_determinismE0ES3_S9_NS6_6detail15normal_iteratorINS6_10device_ptrIiEEEESG_SG_SG_PmS8_22is_equal_div_10_reduceIiEEE10hipError_tPvRmT2_T3_mT4_T5_T6_T7_T8_P12ihipStream_tbENKUlT_T0_E_clISt17integral_constantIbLb0EES11_EEDaSW_SX_EUlSW_E_NS1_11comp_targetILNS1_3genE10ELNS1_11target_archE1200ELNS1_3gpuE4ELNS1_3repE0EEENS1_30default_config_static_selectorELNS0_4arch9wavefront6targetE1EEEvT1_,"axG",@progbits,_ZN7rocprim17ROCPRIM_400000_NS6detail17trampoline_kernelINS0_14default_configENS1_29reduce_by_key_config_selectorIiiN6thrust23THRUST_200600_302600_NS4plusIiEEEEZZNS1_33reduce_by_key_impl_wrapped_configILNS1_25lookback_scan_determinismE0ES3_S9_NS6_6detail15normal_iteratorINS6_10device_ptrIiEEEESG_SG_SG_PmS8_22is_equal_div_10_reduceIiEEE10hipError_tPvRmT2_T3_mT4_T5_T6_T7_T8_P12ihipStream_tbENKUlT_T0_E_clISt17integral_constantIbLb0EES11_EEDaSW_SX_EUlSW_E_NS1_11comp_targetILNS1_3genE10ELNS1_11target_archE1200ELNS1_3gpuE4ELNS1_3repE0EEENS1_30default_config_static_selectorELNS0_4arch9wavefront6targetE1EEEvT1_,comdat
.Lfunc_end590:
	.size	_ZN7rocprim17ROCPRIM_400000_NS6detail17trampoline_kernelINS0_14default_configENS1_29reduce_by_key_config_selectorIiiN6thrust23THRUST_200600_302600_NS4plusIiEEEEZZNS1_33reduce_by_key_impl_wrapped_configILNS1_25lookback_scan_determinismE0ES3_S9_NS6_6detail15normal_iteratorINS6_10device_ptrIiEEEESG_SG_SG_PmS8_22is_equal_div_10_reduceIiEEE10hipError_tPvRmT2_T3_mT4_T5_T6_T7_T8_P12ihipStream_tbENKUlT_T0_E_clISt17integral_constantIbLb0EES11_EEDaSW_SX_EUlSW_E_NS1_11comp_targetILNS1_3genE10ELNS1_11target_archE1200ELNS1_3gpuE4ELNS1_3repE0EEENS1_30default_config_static_selectorELNS0_4arch9wavefront6targetE1EEEvT1_, .Lfunc_end590-_ZN7rocprim17ROCPRIM_400000_NS6detail17trampoline_kernelINS0_14default_configENS1_29reduce_by_key_config_selectorIiiN6thrust23THRUST_200600_302600_NS4plusIiEEEEZZNS1_33reduce_by_key_impl_wrapped_configILNS1_25lookback_scan_determinismE0ES3_S9_NS6_6detail15normal_iteratorINS6_10device_ptrIiEEEESG_SG_SG_PmS8_22is_equal_div_10_reduceIiEEE10hipError_tPvRmT2_T3_mT4_T5_T6_T7_T8_P12ihipStream_tbENKUlT_T0_E_clISt17integral_constantIbLb0EES11_EEDaSW_SX_EUlSW_E_NS1_11comp_targetILNS1_3genE10ELNS1_11target_archE1200ELNS1_3gpuE4ELNS1_3repE0EEENS1_30default_config_static_selectorELNS0_4arch9wavefront6targetE1EEEvT1_
                                        ; -- End function
	.section	.AMDGPU.csdata,"",@progbits
; Kernel info:
; codeLenInByte = 0
; NumSgprs: 4
; NumVgprs: 0
; NumAgprs: 0
; TotalNumVgprs: 0
; ScratchSize: 0
; MemoryBound: 0
; FloatMode: 240
; IeeeMode: 1
; LDSByteSize: 0 bytes/workgroup (compile time only)
; SGPRBlocks: 0
; VGPRBlocks: 0
; NumSGPRsForWavesPerEU: 4
; NumVGPRsForWavesPerEU: 1
; AccumOffset: 4
; Occupancy: 8
; WaveLimiterHint : 0
; COMPUTE_PGM_RSRC2:SCRATCH_EN: 0
; COMPUTE_PGM_RSRC2:USER_SGPR: 6
; COMPUTE_PGM_RSRC2:TRAP_HANDLER: 0
; COMPUTE_PGM_RSRC2:TGID_X_EN: 1
; COMPUTE_PGM_RSRC2:TGID_Y_EN: 0
; COMPUTE_PGM_RSRC2:TGID_Z_EN: 0
; COMPUTE_PGM_RSRC2:TIDIG_COMP_CNT: 0
; COMPUTE_PGM_RSRC3_GFX90A:ACCUM_OFFSET: 0
; COMPUTE_PGM_RSRC3_GFX90A:TG_SPLIT: 0
	.section	.text._ZN7rocprim17ROCPRIM_400000_NS6detail17trampoline_kernelINS0_14default_configENS1_29reduce_by_key_config_selectorIiiN6thrust23THRUST_200600_302600_NS4plusIiEEEEZZNS1_33reduce_by_key_impl_wrapped_configILNS1_25lookback_scan_determinismE0ES3_S9_NS6_6detail15normal_iteratorINS6_10device_ptrIiEEEESG_SG_SG_PmS8_22is_equal_div_10_reduceIiEEE10hipError_tPvRmT2_T3_mT4_T5_T6_T7_T8_P12ihipStream_tbENKUlT_T0_E_clISt17integral_constantIbLb0EES11_EEDaSW_SX_EUlSW_E_NS1_11comp_targetILNS1_3genE9ELNS1_11target_archE1100ELNS1_3gpuE3ELNS1_3repE0EEENS1_30default_config_static_selectorELNS0_4arch9wavefront6targetE1EEEvT1_,"axG",@progbits,_ZN7rocprim17ROCPRIM_400000_NS6detail17trampoline_kernelINS0_14default_configENS1_29reduce_by_key_config_selectorIiiN6thrust23THRUST_200600_302600_NS4plusIiEEEEZZNS1_33reduce_by_key_impl_wrapped_configILNS1_25lookback_scan_determinismE0ES3_S9_NS6_6detail15normal_iteratorINS6_10device_ptrIiEEEESG_SG_SG_PmS8_22is_equal_div_10_reduceIiEEE10hipError_tPvRmT2_T3_mT4_T5_T6_T7_T8_P12ihipStream_tbENKUlT_T0_E_clISt17integral_constantIbLb0EES11_EEDaSW_SX_EUlSW_E_NS1_11comp_targetILNS1_3genE9ELNS1_11target_archE1100ELNS1_3gpuE3ELNS1_3repE0EEENS1_30default_config_static_selectorELNS0_4arch9wavefront6targetE1EEEvT1_,comdat
	.protected	_ZN7rocprim17ROCPRIM_400000_NS6detail17trampoline_kernelINS0_14default_configENS1_29reduce_by_key_config_selectorIiiN6thrust23THRUST_200600_302600_NS4plusIiEEEEZZNS1_33reduce_by_key_impl_wrapped_configILNS1_25lookback_scan_determinismE0ES3_S9_NS6_6detail15normal_iteratorINS6_10device_ptrIiEEEESG_SG_SG_PmS8_22is_equal_div_10_reduceIiEEE10hipError_tPvRmT2_T3_mT4_T5_T6_T7_T8_P12ihipStream_tbENKUlT_T0_E_clISt17integral_constantIbLb0EES11_EEDaSW_SX_EUlSW_E_NS1_11comp_targetILNS1_3genE9ELNS1_11target_archE1100ELNS1_3gpuE3ELNS1_3repE0EEENS1_30default_config_static_selectorELNS0_4arch9wavefront6targetE1EEEvT1_ ; -- Begin function _ZN7rocprim17ROCPRIM_400000_NS6detail17trampoline_kernelINS0_14default_configENS1_29reduce_by_key_config_selectorIiiN6thrust23THRUST_200600_302600_NS4plusIiEEEEZZNS1_33reduce_by_key_impl_wrapped_configILNS1_25lookback_scan_determinismE0ES3_S9_NS6_6detail15normal_iteratorINS6_10device_ptrIiEEEESG_SG_SG_PmS8_22is_equal_div_10_reduceIiEEE10hipError_tPvRmT2_T3_mT4_T5_T6_T7_T8_P12ihipStream_tbENKUlT_T0_E_clISt17integral_constantIbLb0EES11_EEDaSW_SX_EUlSW_E_NS1_11comp_targetILNS1_3genE9ELNS1_11target_archE1100ELNS1_3gpuE3ELNS1_3repE0EEENS1_30default_config_static_selectorELNS0_4arch9wavefront6targetE1EEEvT1_
	.globl	_ZN7rocprim17ROCPRIM_400000_NS6detail17trampoline_kernelINS0_14default_configENS1_29reduce_by_key_config_selectorIiiN6thrust23THRUST_200600_302600_NS4plusIiEEEEZZNS1_33reduce_by_key_impl_wrapped_configILNS1_25lookback_scan_determinismE0ES3_S9_NS6_6detail15normal_iteratorINS6_10device_ptrIiEEEESG_SG_SG_PmS8_22is_equal_div_10_reduceIiEEE10hipError_tPvRmT2_T3_mT4_T5_T6_T7_T8_P12ihipStream_tbENKUlT_T0_E_clISt17integral_constantIbLb0EES11_EEDaSW_SX_EUlSW_E_NS1_11comp_targetILNS1_3genE9ELNS1_11target_archE1100ELNS1_3gpuE3ELNS1_3repE0EEENS1_30default_config_static_selectorELNS0_4arch9wavefront6targetE1EEEvT1_
	.p2align	8
	.type	_ZN7rocprim17ROCPRIM_400000_NS6detail17trampoline_kernelINS0_14default_configENS1_29reduce_by_key_config_selectorIiiN6thrust23THRUST_200600_302600_NS4plusIiEEEEZZNS1_33reduce_by_key_impl_wrapped_configILNS1_25lookback_scan_determinismE0ES3_S9_NS6_6detail15normal_iteratorINS6_10device_ptrIiEEEESG_SG_SG_PmS8_22is_equal_div_10_reduceIiEEE10hipError_tPvRmT2_T3_mT4_T5_T6_T7_T8_P12ihipStream_tbENKUlT_T0_E_clISt17integral_constantIbLb0EES11_EEDaSW_SX_EUlSW_E_NS1_11comp_targetILNS1_3genE9ELNS1_11target_archE1100ELNS1_3gpuE3ELNS1_3repE0EEENS1_30default_config_static_selectorELNS0_4arch9wavefront6targetE1EEEvT1_,@function
_ZN7rocprim17ROCPRIM_400000_NS6detail17trampoline_kernelINS0_14default_configENS1_29reduce_by_key_config_selectorIiiN6thrust23THRUST_200600_302600_NS4plusIiEEEEZZNS1_33reduce_by_key_impl_wrapped_configILNS1_25lookback_scan_determinismE0ES3_S9_NS6_6detail15normal_iteratorINS6_10device_ptrIiEEEESG_SG_SG_PmS8_22is_equal_div_10_reduceIiEEE10hipError_tPvRmT2_T3_mT4_T5_T6_T7_T8_P12ihipStream_tbENKUlT_T0_E_clISt17integral_constantIbLb0EES11_EEDaSW_SX_EUlSW_E_NS1_11comp_targetILNS1_3genE9ELNS1_11target_archE1100ELNS1_3gpuE3ELNS1_3repE0EEENS1_30default_config_static_selectorELNS0_4arch9wavefront6targetE1EEEvT1_: ; @_ZN7rocprim17ROCPRIM_400000_NS6detail17trampoline_kernelINS0_14default_configENS1_29reduce_by_key_config_selectorIiiN6thrust23THRUST_200600_302600_NS4plusIiEEEEZZNS1_33reduce_by_key_impl_wrapped_configILNS1_25lookback_scan_determinismE0ES3_S9_NS6_6detail15normal_iteratorINS6_10device_ptrIiEEEESG_SG_SG_PmS8_22is_equal_div_10_reduceIiEEE10hipError_tPvRmT2_T3_mT4_T5_T6_T7_T8_P12ihipStream_tbENKUlT_T0_E_clISt17integral_constantIbLb0EES11_EEDaSW_SX_EUlSW_E_NS1_11comp_targetILNS1_3genE9ELNS1_11target_archE1100ELNS1_3gpuE3ELNS1_3repE0EEENS1_30default_config_static_selectorELNS0_4arch9wavefront6targetE1EEEvT1_
; %bb.0:
	.section	.rodata,"a",@progbits
	.p2align	6, 0x0
	.amdhsa_kernel _ZN7rocprim17ROCPRIM_400000_NS6detail17trampoline_kernelINS0_14default_configENS1_29reduce_by_key_config_selectorIiiN6thrust23THRUST_200600_302600_NS4plusIiEEEEZZNS1_33reduce_by_key_impl_wrapped_configILNS1_25lookback_scan_determinismE0ES3_S9_NS6_6detail15normal_iteratorINS6_10device_ptrIiEEEESG_SG_SG_PmS8_22is_equal_div_10_reduceIiEEE10hipError_tPvRmT2_T3_mT4_T5_T6_T7_T8_P12ihipStream_tbENKUlT_T0_E_clISt17integral_constantIbLb0EES11_EEDaSW_SX_EUlSW_E_NS1_11comp_targetILNS1_3genE9ELNS1_11target_archE1100ELNS1_3gpuE3ELNS1_3repE0EEENS1_30default_config_static_selectorELNS0_4arch9wavefront6targetE1EEEvT1_
		.amdhsa_group_segment_fixed_size 0
		.amdhsa_private_segment_fixed_size 0
		.amdhsa_kernarg_size 120
		.amdhsa_user_sgpr_count 6
		.amdhsa_user_sgpr_private_segment_buffer 1
		.amdhsa_user_sgpr_dispatch_ptr 0
		.amdhsa_user_sgpr_queue_ptr 0
		.amdhsa_user_sgpr_kernarg_segment_ptr 1
		.amdhsa_user_sgpr_dispatch_id 0
		.amdhsa_user_sgpr_flat_scratch_init 0
		.amdhsa_user_sgpr_kernarg_preload_length 0
		.amdhsa_user_sgpr_kernarg_preload_offset 0
		.amdhsa_user_sgpr_private_segment_size 0
		.amdhsa_uses_dynamic_stack 0
		.amdhsa_system_sgpr_private_segment_wavefront_offset 0
		.amdhsa_system_sgpr_workgroup_id_x 1
		.amdhsa_system_sgpr_workgroup_id_y 0
		.amdhsa_system_sgpr_workgroup_id_z 0
		.amdhsa_system_sgpr_workgroup_info 0
		.amdhsa_system_vgpr_workitem_id 0
		.amdhsa_next_free_vgpr 1
		.amdhsa_next_free_sgpr 0
		.amdhsa_accum_offset 4
		.amdhsa_reserve_vcc 0
		.amdhsa_reserve_flat_scratch 0
		.amdhsa_float_round_mode_32 0
		.amdhsa_float_round_mode_16_64 0
		.amdhsa_float_denorm_mode_32 3
		.amdhsa_float_denorm_mode_16_64 3
		.amdhsa_dx10_clamp 1
		.amdhsa_ieee_mode 1
		.amdhsa_fp16_overflow 0
		.amdhsa_tg_split 0
		.amdhsa_exception_fp_ieee_invalid_op 0
		.amdhsa_exception_fp_denorm_src 0
		.amdhsa_exception_fp_ieee_div_zero 0
		.amdhsa_exception_fp_ieee_overflow 0
		.amdhsa_exception_fp_ieee_underflow 0
		.amdhsa_exception_fp_ieee_inexact 0
		.amdhsa_exception_int_div_zero 0
	.end_amdhsa_kernel
	.section	.text._ZN7rocprim17ROCPRIM_400000_NS6detail17trampoline_kernelINS0_14default_configENS1_29reduce_by_key_config_selectorIiiN6thrust23THRUST_200600_302600_NS4plusIiEEEEZZNS1_33reduce_by_key_impl_wrapped_configILNS1_25lookback_scan_determinismE0ES3_S9_NS6_6detail15normal_iteratorINS6_10device_ptrIiEEEESG_SG_SG_PmS8_22is_equal_div_10_reduceIiEEE10hipError_tPvRmT2_T3_mT4_T5_T6_T7_T8_P12ihipStream_tbENKUlT_T0_E_clISt17integral_constantIbLb0EES11_EEDaSW_SX_EUlSW_E_NS1_11comp_targetILNS1_3genE9ELNS1_11target_archE1100ELNS1_3gpuE3ELNS1_3repE0EEENS1_30default_config_static_selectorELNS0_4arch9wavefront6targetE1EEEvT1_,"axG",@progbits,_ZN7rocprim17ROCPRIM_400000_NS6detail17trampoline_kernelINS0_14default_configENS1_29reduce_by_key_config_selectorIiiN6thrust23THRUST_200600_302600_NS4plusIiEEEEZZNS1_33reduce_by_key_impl_wrapped_configILNS1_25lookback_scan_determinismE0ES3_S9_NS6_6detail15normal_iteratorINS6_10device_ptrIiEEEESG_SG_SG_PmS8_22is_equal_div_10_reduceIiEEE10hipError_tPvRmT2_T3_mT4_T5_T6_T7_T8_P12ihipStream_tbENKUlT_T0_E_clISt17integral_constantIbLb0EES11_EEDaSW_SX_EUlSW_E_NS1_11comp_targetILNS1_3genE9ELNS1_11target_archE1100ELNS1_3gpuE3ELNS1_3repE0EEENS1_30default_config_static_selectorELNS0_4arch9wavefront6targetE1EEEvT1_,comdat
.Lfunc_end591:
	.size	_ZN7rocprim17ROCPRIM_400000_NS6detail17trampoline_kernelINS0_14default_configENS1_29reduce_by_key_config_selectorIiiN6thrust23THRUST_200600_302600_NS4plusIiEEEEZZNS1_33reduce_by_key_impl_wrapped_configILNS1_25lookback_scan_determinismE0ES3_S9_NS6_6detail15normal_iteratorINS6_10device_ptrIiEEEESG_SG_SG_PmS8_22is_equal_div_10_reduceIiEEE10hipError_tPvRmT2_T3_mT4_T5_T6_T7_T8_P12ihipStream_tbENKUlT_T0_E_clISt17integral_constantIbLb0EES11_EEDaSW_SX_EUlSW_E_NS1_11comp_targetILNS1_3genE9ELNS1_11target_archE1100ELNS1_3gpuE3ELNS1_3repE0EEENS1_30default_config_static_selectorELNS0_4arch9wavefront6targetE1EEEvT1_, .Lfunc_end591-_ZN7rocprim17ROCPRIM_400000_NS6detail17trampoline_kernelINS0_14default_configENS1_29reduce_by_key_config_selectorIiiN6thrust23THRUST_200600_302600_NS4plusIiEEEEZZNS1_33reduce_by_key_impl_wrapped_configILNS1_25lookback_scan_determinismE0ES3_S9_NS6_6detail15normal_iteratorINS6_10device_ptrIiEEEESG_SG_SG_PmS8_22is_equal_div_10_reduceIiEEE10hipError_tPvRmT2_T3_mT4_T5_T6_T7_T8_P12ihipStream_tbENKUlT_T0_E_clISt17integral_constantIbLb0EES11_EEDaSW_SX_EUlSW_E_NS1_11comp_targetILNS1_3genE9ELNS1_11target_archE1100ELNS1_3gpuE3ELNS1_3repE0EEENS1_30default_config_static_selectorELNS0_4arch9wavefront6targetE1EEEvT1_
                                        ; -- End function
	.section	.AMDGPU.csdata,"",@progbits
; Kernel info:
; codeLenInByte = 0
; NumSgprs: 4
; NumVgprs: 0
; NumAgprs: 0
; TotalNumVgprs: 0
; ScratchSize: 0
; MemoryBound: 0
; FloatMode: 240
; IeeeMode: 1
; LDSByteSize: 0 bytes/workgroup (compile time only)
; SGPRBlocks: 0
; VGPRBlocks: 0
; NumSGPRsForWavesPerEU: 4
; NumVGPRsForWavesPerEU: 1
; AccumOffset: 4
; Occupancy: 8
; WaveLimiterHint : 0
; COMPUTE_PGM_RSRC2:SCRATCH_EN: 0
; COMPUTE_PGM_RSRC2:USER_SGPR: 6
; COMPUTE_PGM_RSRC2:TRAP_HANDLER: 0
; COMPUTE_PGM_RSRC2:TGID_X_EN: 1
; COMPUTE_PGM_RSRC2:TGID_Y_EN: 0
; COMPUTE_PGM_RSRC2:TGID_Z_EN: 0
; COMPUTE_PGM_RSRC2:TIDIG_COMP_CNT: 0
; COMPUTE_PGM_RSRC3_GFX90A:ACCUM_OFFSET: 0
; COMPUTE_PGM_RSRC3_GFX90A:TG_SPLIT: 0
	.section	.text._ZN7rocprim17ROCPRIM_400000_NS6detail17trampoline_kernelINS0_14default_configENS1_29reduce_by_key_config_selectorIiiN6thrust23THRUST_200600_302600_NS4plusIiEEEEZZNS1_33reduce_by_key_impl_wrapped_configILNS1_25lookback_scan_determinismE0ES3_S9_NS6_6detail15normal_iteratorINS6_10device_ptrIiEEEESG_SG_SG_PmS8_22is_equal_div_10_reduceIiEEE10hipError_tPvRmT2_T3_mT4_T5_T6_T7_T8_P12ihipStream_tbENKUlT_T0_E_clISt17integral_constantIbLb0EES11_EEDaSW_SX_EUlSW_E_NS1_11comp_targetILNS1_3genE8ELNS1_11target_archE1030ELNS1_3gpuE2ELNS1_3repE0EEENS1_30default_config_static_selectorELNS0_4arch9wavefront6targetE1EEEvT1_,"axG",@progbits,_ZN7rocprim17ROCPRIM_400000_NS6detail17trampoline_kernelINS0_14default_configENS1_29reduce_by_key_config_selectorIiiN6thrust23THRUST_200600_302600_NS4plusIiEEEEZZNS1_33reduce_by_key_impl_wrapped_configILNS1_25lookback_scan_determinismE0ES3_S9_NS6_6detail15normal_iteratorINS6_10device_ptrIiEEEESG_SG_SG_PmS8_22is_equal_div_10_reduceIiEEE10hipError_tPvRmT2_T3_mT4_T5_T6_T7_T8_P12ihipStream_tbENKUlT_T0_E_clISt17integral_constantIbLb0EES11_EEDaSW_SX_EUlSW_E_NS1_11comp_targetILNS1_3genE8ELNS1_11target_archE1030ELNS1_3gpuE2ELNS1_3repE0EEENS1_30default_config_static_selectorELNS0_4arch9wavefront6targetE1EEEvT1_,comdat
	.protected	_ZN7rocprim17ROCPRIM_400000_NS6detail17trampoline_kernelINS0_14default_configENS1_29reduce_by_key_config_selectorIiiN6thrust23THRUST_200600_302600_NS4plusIiEEEEZZNS1_33reduce_by_key_impl_wrapped_configILNS1_25lookback_scan_determinismE0ES3_S9_NS6_6detail15normal_iteratorINS6_10device_ptrIiEEEESG_SG_SG_PmS8_22is_equal_div_10_reduceIiEEE10hipError_tPvRmT2_T3_mT4_T5_T6_T7_T8_P12ihipStream_tbENKUlT_T0_E_clISt17integral_constantIbLb0EES11_EEDaSW_SX_EUlSW_E_NS1_11comp_targetILNS1_3genE8ELNS1_11target_archE1030ELNS1_3gpuE2ELNS1_3repE0EEENS1_30default_config_static_selectorELNS0_4arch9wavefront6targetE1EEEvT1_ ; -- Begin function _ZN7rocprim17ROCPRIM_400000_NS6detail17trampoline_kernelINS0_14default_configENS1_29reduce_by_key_config_selectorIiiN6thrust23THRUST_200600_302600_NS4plusIiEEEEZZNS1_33reduce_by_key_impl_wrapped_configILNS1_25lookback_scan_determinismE0ES3_S9_NS6_6detail15normal_iteratorINS6_10device_ptrIiEEEESG_SG_SG_PmS8_22is_equal_div_10_reduceIiEEE10hipError_tPvRmT2_T3_mT4_T5_T6_T7_T8_P12ihipStream_tbENKUlT_T0_E_clISt17integral_constantIbLb0EES11_EEDaSW_SX_EUlSW_E_NS1_11comp_targetILNS1_3genE8ELNS1_11target_archE1030ELNS1_3gpuE2ELNS1_3repE0EEENS1_30default_config_static_selectorELNS0_4arch9wavefront6targetE1EEEvT1_
	.globl	_ZN7rocprim17ROCPRIM_400000_NS6detail17trampoline_kernelINS0_14default_configENS1_29reduce_by_key_config_selectorIiiN6thrust23THRUST_200600_302600_NS4plusIiEEEEZZNS1_33reduce_by_key_impl_wrapped_configILNS1_25lookback_scan_determinismE0ES3_S9_NS6_6detail15normal_iteratorINS6_10device_ptrIiEEEESG_SG_SG_PmS8_22is_equal_div_10_reduceIiEEE10hipError_tPvRmT2_T3_mT4_T5_T6_T7_T8_P12ihipStream_tbENKUlT_T0_E_clISt17integral_constantIbLb0EES11_EEDaSW_SX_EUlSW_E_NS1_11comp_targetILNS1_3genE8ELNS1_11target_archE1030ELNS1_3gpuE2ELNS1_3repE0EEENS1_30default_config_static_selectorELNS0_4arch9wavefront6targetE1EEEvT1_
	.p2align	8
	.type	_ZN7rocprim17ROCPRIM_400000_NS6detail17trampoline_kernelINS0_14default_configENS1_29reduce_by_key_config_selectorIiiN6thrust23THRUST_200600_302600_NS4plusIiEEEEZZNS1_33reduce_by_key_impl_wrapped_configILNS1_25lookback_scan_determinismE0ES3_S9_NS6_6detail15normal_iteratorINS6_10device_ptrIiEEEESG_SG_SG_PmS8_22is_equal_div_10_reduceIiEEE10hipError_tPvRmT2_T3_mT4_T5_T6_T7_T8_P12ihipStream_tbENKUlT_T0_E_clISt17integral_constantIbLb0EES11_EEDaSW_SX_EUlSW_E_NS1_11comp_targetILNS1_3genE8ELNS1_11target_archE1030ELNS1_3gpuE2ELNS1_3repE0EEENS1_30default_config_static_selectorELNS0_4arch9wavefront6targetE1EEEvT1_,@function
_ZN7rocprim17ROCPRIM_400000_NS6detail17trampoline_kernelINS0_14default_configENS1_29reduce_by_key_config_selectorIiiN6thrust23THRUST_200600_302600_NS4plusIiEEEEZZNS1_33reduce_by_key_impl_wrapped_configILNS1_25lookback_scan_determinismE0ES3_S9_NS6_6detail15normal_iteratorINS6_10device_ptrIiEEEESG_SG_SG_PmS8_22is_equal_div_10_reduceIiEEE10hipError_tPvRmT2_T3_mT4_T5_T6_T7_T8_P12ihipStream_tbENKUlT_T0_E_clISt17integral_constantIbLb0EES11_EEDaSW_SX_EUlSW_E_NS1_11comp_targetILNS1_3genE8ELNS1_11target_archE1030ELNS1_3gpuE2ELNS1_3repE0EEENS1_30default_config_static_selectorELNS0_4arch9wavefront6targetE1EEEvT1_: ; @_ZN7rocprim17ROCPRIM_400000_NS6detail17trampoline_kernelINS0_14default_configENS1_29reduce_by_key_config_selectorIiiN6thrust23THRUST_200600_302600_NS4plusIiEEEEZZNS1_33reduce_by_key_impl_wrapped_configILNS1_25lookback_scan_determinismE0ES3_S9_NS6_6detail15normal_iteratorINS6_10device_ptrIiEEEESG_SG_SG_PmS8_22is_equal_div_10_reduceIiEEE10hipError_tPvRmT2_T3_mT4_T5_T6_T7_T8_P12ihipStream_tbENKUlT_T0_E_clISt17integral_constantIbLb0EES11_EEDaSW_SX_EUlSW_E_NS1_11comp_targetILNS1_3genE8ELNS1_11target_archE1030ELNS1_3gpuE2ELNS1_3repE0EEENS1_30default_config_static_selectorELNS0_4arch9wavefront6targetE1EEEvT1_
; %bb.0:
	.section	.rodata,"a",@progbits
	.p2align	6, 0x0
	.amdhsa_kernel _ZN7rocprim17ROCPRIM_400000_NS6detail17trampoline_kernelINS0_14default_configENS1_29reduce_by_key_config_selectorIiiN6thrust23THRUST_200600_302600_NS4plusIiEEEEZZNS1_33reduce_by_key_impl_wrapped_configILNS1_25lookback_scan_determinismE0ES3_S9_NS6_6detail15normal_iteratorINS6_10device_ptrIiEEEESG_SG_SG_PmS8_22is_equal_div_10_reduceIiEEE10hipError_tPvRmT2_T3_mT4_T5_T6_T7_T8_P12ihipStream_tbENKUlT_T0_E_clISt17integral_constantIbLb0EES11_EEDaSW_SX_EUlSW_E_NS1_11comp_targetILNS1_3genE8ELNS1_11target_archE1030ELNS1_3gpuE2ELNS1_3repE0EEENS1_30default_config_static_selectorELNS0_4arch9wavefront6targetE1EEEvT1_
		.amdhsa_group_segment_fixed_size 0
		.amdhsa_private_segment_fixed_size 0
		.amdhsa_kernarg_size 120
		.amdhsa_user_sgpr_count 6
		.amdhsa_user_sgpr_private_segment_buffer 1
		.amdhsa_user_sgpr_dispatch_ptr 0
		.amdhsa_user_sgpr_queue_ptr 0
		.amdhsa_user_sgpr_kernarg_segment_ptr 1
		.amdhsa_user_sgpr_dispatch_id 0
		.amdhsa_user_sgpr_flat_scratch_init 0
		.amdhsa_user_sgpr_kernarg_preload_length 0
		.amdhsa_user_sgpr_kernarg_preload_offset 0
		.amdhsa_user_sgpr_private_segment_size 0
		.amdhsa_uses_dynamic_stack 0
		.amdhsa_system_sgpr_private_segment_wavefront_offset 0
		.amdhsa_system_sgpr_workgroup_id_x 1
		.amdhsa_system_sgpr_workgroup_id_y 0
		.amdhsa_system_sgpr_workgroup_id_z 0
		.amdhsa_system_sgpr_workgroup_info 0
		.amdhsa_system_vgpr_workitem_id 0
		.amdhsa_next_free_vgpr 1
		.amdhsa_next_free_sgpr 0
		.amdhsa_accum_offset 4
		.amdhsa_reserve_vcc 0
		.amdhsa_reserve_flat_scratch 0
		.amdhsa_float_round_mode_32 0
		.amdhsa_float_round_mode_16_64 0
		.amdhsa_float_denorm_mode_32 3
		.amdhsa_float_denorm_mode_16_64 3
		.amdhsa_dx10_clamp 1
		.amdhsa_ieee_mode 1
		.amdhsa_fp16_overflow 0
		.amdhsa_tg_split 0
		.amdhsa_exception_fp_ieee_invalid_op 0
		.amdhsa_exception_fp_denorm_src 0
		.amdhsa_exception_fp_ieee_div_zero 0
		.amdhsa_exception_fp_ieee_overflow 0
		.amdhsa_exception_fp_ieee_underflow 0
		.amdhsa_exception_fp_ieee_inexact 0
		.amdhsa_exception_int_div_zero 0
	.end_amdhsa_kernel
	.section	.text._ZN7rocprim17ROCPRIM_400000_NS6detail17trampoline_kernelINS0_14default_configENS1_29reduce_by_key_config_selectorIiiN6thrust23THRUST_200600_302600_NS4plusIiEEEEZZNS1_33reduce_by_key_impl_wrapped_configILNS1_25lookback_scan_determinismE0ES3_S9_NS6_6detail15normal_iteratorINS6_10device_ptrIiEEEESG_SG_SG_PmS8_22is_equal_div_10_reduceIiEEE10hipError_tPvRmT2_T3_mT4_T5_T6_T7_T8_P12ihipStream_tbENKUlT_T0_E_clISt17integral_constantIbLb0EES11_EEDaSW_SX_EUlSW_E_NS1_11comp_targetILNS1_3genE8ELNS1_11target_archE1030ELNS1_3gpuE2ELNS1_3repE0EEENS1_30default_config_static_selectorELNS0_4arch9wavefront6targetE1EEEvT1_,"axG",@progbits,_ZN7rocprim17ROCPRIM_400000_NS6detail17trampoline_kernelINS0_14default_configENS1_29reduce_by_key_config_selectorIiiN6thrust23THRUST_200600_302600_NS4plusIiEEEEZZNS1_33reduce_by_key_impl_wrapped_configILNS1_25lookback_scan_determinismE0ES3_S9_NS6_6detail15normal_iteratorINS6_10device_ptrIiEEEESG_SG_SG_PmS8_22is_equal_div_10_reduceIiEEE10hipError_tPvRmT2_T3_mT4_T5_T6_T7_T8_P12ihipStream_tbENKUlT_T0_E_clISt17integral_constantIbLb0EES11_EEDaSW_SX_EUlSW_E_NS1_11comp_targetILNS1_3genE8ELNS1_11target_archE1030ELNS1_3gpuE2ELNS1_3repE0EEENS1_30default_config_static_selectorELNS0_4arch9wavefront6targetE1EEEvT1_,comdat
.Lfunc_end592:
	.size	_ZN7rocprim17ROCPRIM_400000_NS6detail17trampoline_kernelINS0_14default_configENS1_29reduce_by_key_config_selectorIiiN6thrust23THRUST_200600_302600_NS4plusIiEEEEZZNS1_33reduce_by_key_impl_wrapped_configILNS1_25lookback_scan_determinismE0ES3_S9_NS6_6detail15normal_iteratorINS6_10device_ptrIiEEEESG_SG_SG_PmS8_22is_equal_div_10_reduceIiEEE10hipError_tPvRmT2_T3_mT4_T5_T6_T7_T8_P12ihipStream_tbENKUlT_T0_E_clISt17integral_constantIbLb0EES11_EEDaSW_SX_EUlSW_E_NS1_11comp_targetILNS1_3genE8ELNS1_11target_archE1030ELNS1_3gpuE2ELNS1_3repE0EEENS1_30default_config_static_selectorELNS0_4arch9wavefront6targetE1EEEvT1_, .Lfunc_end592-_ZN7rocprim17ROCPRIM_400000_NS6detail17trampoline_kernelINS0_14default_configENS1_29reduce_by_key_config_selectorIiiN6thrust23THRUST_200600_302600_NS4plusIiEEEEZZNS1_33reduce_by_key_impl_wrapped_configILNS1_25lookback_scan_determinismE0ES3_S9_NS6_6detail15normal_iteratorINS6_10device_ptrIiEEEESG_SG_SG_PmS8_22is_equal_div_10_reduceIiEEE10hipError_tPvRmT2_T3_mT4_T5_T6_T7_T8_P12ihipStream_tbENKUlT_T0_E_clISt17integral_constantIbLb0EES11_EEDaSW_SX_EUlSW_E_NS1_11comp_targetILNS1_3genE8ELNS1_11target_archE1030ELNS1_3gpuE2ELNS1_3repE0EEENS1_30default_config_static_selectorELNS0_4arch9wavefront6targetE1EEEvT1_
                                        ; -- End function
	.section	.AMDGPU.csdata,"",@progbits
; Kernel info:
; codeLenInByte = 0
; NumSgprs: 4
; NumVgprs: 0
; NumAgprs: 0
; TotalNumVgprs: 0
; ScratchSize: 0
; MemoryBound: 0
; FloatMode: 240
; IeeeMode: 1
; LDSByteSize: 0 bytes/workgroup (compile time only)
; SGPRBlocks: 0
; VGPRBlocks: 0
; NumSGPRsForWavesPerEU: 4
; NumVGPRsForWavesPerEU: 1
; AccumOffset: 4
; Occupancy: 8
; WaveLimiterHint : 0
; COMPUTE_PGM_RSRC2:SCRATCH_EN: 0
; COMPUTE_PGM_RSRC2:USER_SGPR: 6
; COMPUTE_PGM_RSRC2:TRAP_HANDLER: 0
; COMPUTE_PGM_RSRC2:TGID_X_EN: 1
; COMPUTE_PGM_RSRC2:TGID_Y_EN: 0
; COMPUTE_PGM_RSRC2:TGID_Z_EN: 0
; COMPUTE_PGM_RSRC2:TIDIG_COMP_CNT: 0
; COMPUTE_PGM_RSRC3_GFX90A:ACCUM_OFFSET: 0
; COMPUTE_PGM_RSRC3_GFX90A:TG_SPLIT: 0
	.section	.text._ZN7rocprim17ROCPRIM_400000_NS6detail17trampoline_kernelINS0_14default_configENS1_29reduce_by_key_config_selectorIiiN6thrust23THRUST_200600_302600_NS4plusIiEEEEZZNS1_33reduce_by_key_impl_wrapped_configILNS1_25lookback_scan_determinismE0ES3_S9_NS6_6detail15normal_iteratorINS6_10device_ptrIiEEEESG_SG_SG_PmS8_22is_equal_div_10_reduceIiEEE10hipError_tPvRmT2_T3_mT4_T5_T6_T7_T8_P12ihipStream_tbENKUlT_T0_E_clISt17integral_constantIbLb1EES11_EEDaSW_SX_EUlSW_E_NS1_11comp_targetILNS1_3genE0ELNS1_11target_archE4294967295ELNS1_3gpuE0ELNS1_3repE0EEENS1_30default_config_static_selectorELNS0_4arch9wavefront6targetE1EEEvT1_,"axG",@progbits,_ZN7rocprim17ROCPRIM_400000_NS6detail17trampoline_kernelINS0_14default_configENS1_29reduce_by_key_config_selectorIiiN6thrust23THRUST_200600_302600_NS4plusIiEEEEZZNS1_33reduce_by_key_impl_wrapped_configILNS1_25lookback_scan_determinismE0ES3_S9_NS6_6detail15normal_iteratorINS6_10device_ptrIiEEEESG_SG_SG_PmS8_22is_equal_div_10_reduceIiEEE10hipError_tPvRmT2_T3_mT4_T5_T6_T7_T8_P12ihipStream_tbENKUlT_T0_E_clISt17integral_constantIbLb1EES11_EEDaSW_SX_EUlSW_E_NS1_11comp_targetILNS1_3genE0ELNS1_11target_archE4294967295ELNS1_3gpuE0ELNS1_3repE0EEENS1_30default_config_static_selectorELNS0_4arch9wavefront6targetE1EEEvT1_,comdat
	.protected	_ZN7rocprim17ROCPRIM_400000_NS6detail17trampoline_kernelINS0_14default_configENS1_29reduce_by_key_config_selectorIiiN6thrust23THRUST_200600_302600_NS4plusIiEEEEZZNS1_33reduce_by_key_impl_wrapped_configILNS1_25lookback_scan_determinismE0ES3_S9_NS6_6detail15normal_iteratorINS6_10device_ptrIiEEEESG_SG_SG_PmS8_22is_equal_div_10_reduceIiEEE10hipError_tPvRmT2_T3_mT4_T5_T6_T7_T8_P12ihipStream_tbENKUlT_T0_E_clISt17integral_constantIbLb1EES11_EEDaSW_SX_EUlSW_E_NS1_11comp_targetILNS1_3genE0ELNS1_11target_archE4294967295ELNS1_3gpuE0ELNS1_3repE0EEENS1_30default_config_static_selectorELNS0_4arch9wavefront6targetE1EEEvT1_ ; -- Begin function _ZN7rocprim17ROCPRIM_400000_NS6detail17trampoline_kernelINS0_14default_configENS1_29reduce_by_key_config_selectorIiiN6thrust23THRUST_200600_302600_NS4plusIiEEEEZZNS1_33reduce_by_key_impl_wrapped_configILNS1_25lookback_scan_determinismE0ES3_S9_NS6_6detail15normal_iteratorINS6_10device_ptrIiEEEESG_SG_SG_PmS8_22is_equal_div_10_reduceIiEEE10hipError_tPvRmT2_T3_mT4_T5_T6_T7_T8_P12ihipStream_tbENKUlT_T0_E_clISt17integral_constantIbLb1EES11_EEDaSW_SX_EUlSW_E_NS1_11comp_targetILNS1_3genE0ELNS1_11target_archE4294967295ELNS1_3gpuE0ELNS1_3repE0EEENS1_30default_config_static_selectorELNS0_4arch9wavefront6targetE1EEEvT1_
	.globl	_ZN7rocprim17ROCPRIM_400000_NS6detail17trampoline_kernelINS0_14default_configENS1_29reduce_by_key_config_selectorIiiN6thrust23THRUST_200600_302600_NS4plusIiEEEEZZNS1_33reduce_by_key_impl_wrapped_configILNS1_25lookback_scan_determinismE0ES3_S9_NS6_6detail15normal_iteratorINS6_10device_ptrIiEEEESG_SG_SG_PmS8_22is_equal_div_10_reduceIiEEE10hipError_tPvRmT2_T3_mT4_T5_T6_T7_T8_P12ihipStream_tbENKUlT_T0_E_clISt17integral_constantIbLb1EES11_EEDaSW_SX_EUlSW_E_NS1_11comp_targetILNS1_3genE0ELNS1_11target_archE4294967295ELNS1_3gpuE0ELNS1_3repE0EEENS1_30default_config_static_selectorELNS0_4arch9wavefront6targetE1EEEvT1_
	.p2align	8
	.type	_ZN7rocprim17ROCPRIM_400000_NS6detail17trampoline_kernelINS0_14default_configENS1_29reduce_by_key_config_selectorIiiN6thrust23THRUST_200600_302600_NS4plusIiEEEEZZNS1_33reduce_by_key_impl_wrapped_configILNS1_25lookback_scan_determinismE0ES3_S9_NS6_6detail15normal_iteratorINS6_10device_ptrIiEEEESG_SG_SG_PmS8_22is_equal_div_10_reduceIiEEE10hipError_tPvRmT2_T3_mT4_T5_T6_T7_T8_P12ihipStream_tbENKUlT_T0_E_clISt17integral_constantIbLb1EES11_EEDaSW_SX_EUlSW_E_NS1_11comp_targetILNS1_3genE0ELNS1_11target_archE4294967295ELNS1_3gpuE0ELNS1_3repE0EEENS1_30default_config_static_selectorELNS0_4arch9wavefront6targetE1EEEvT1_,@function
_ZN7rocprim17ROCPRIM_400000_NS6detail17trampoline_kernelINS0_14default_configENS1_29reduce_by_key_config_selectorIiiN6thrust23THRUST_200600_302600_NS4plusIiEEEEZZNS1_33reduce_by_key_impl_wrapped_configILNS1_25lookback_scan_determinismE0ES3_S9_NS6_6detail15normal_iteratorINS6_10device_ptrIiEEEESG_SG_SG_PmS8_22is_equal_div_10_reduceIiEEE10hipError_tPvRmT2_T3_mT4_T5_T6_T7_T8_P12ihipStream_tbENKUlT_T0_E_clISt17integral_constantIbLb1EES11_EEDaSW_SX_EUlSW_E_NS1_11comp_targetILNS1_3genE0ELNS1_11target_archE4294967295ELNS1_3gpuE0ELNS1_3repE0EEENS1_30default_config_static_selectorELNS0_4arch9wavefront6targetE1EEEvT1_: ; @_ZN7rocprim17ROCPRIM_400000_NS6detail17trampoline_kernelINS0_14default_configENS1_29reduce_by_key_config_selectorIiiN6thrust23THRUST_200600_302600_NS4plusIiEEEEZZNS1_33reduce_by_key_impl_wrapped_configILNS1_25lookback_scan_determinismE0ES3_S9_NS6_6detail15normal_iteratorINS6_10device_ptrIiEEEESG_SG_SG_PmS8_22is_equal_div_10_reduceIiEEE10hipError_tPvRmT2_T3_mT4_T5_T6_T7_T8_P12ihipStream_tbENKUlT_T0_E_clISt17integral_constantIbLb1EES11_EEDaSW_SX_EUlSW_E_NS1_11comp_targetILNS1_3genE0ELNS1_11target_archE4294967295ELNS1_3gpuE0ELNS1_3repE0EEENS1_30default_config_static_selectorELNS0_4arch9wavefront6targetE1EEEvT1_
; %bb.0:
	.section	.rodata,"a",@progbits
	.p2align	6, 0x0
	.amdhsa_kernel _ZN7rocprim17ROCPRIM_400000_NS6detail17trampoline_kernelINS0_14default_configENS1_29reduce_by_key_config_selectorIiiN6thrust23THRUST_200600_302600_NS4plusIiEEEEZZNS1_33reduce_by_key_impl_wrapped_configILNS1_25lookback_scan_determinismE0ES3_S9_NS6_6detail15normal_iteratorINS6_10device_ptrIiEEEESG_SG_SG_PmS8_22is_equal_div_10_reduceIiEEE10hipError_tPvRmT2_T3_mT4_T5_T6_T7_T8_P12ihipStream_tbENKUlT_T0_E_clISt17integral_constantIbLb1EES11_EEDaSW_SX_EUlSW_E_NS1_11comp_targetILNS1_3genE0ELNS1_11target_archE4294967295ELNS1_3gpuE0ELNS1_3repE0EEENS1_30default_config_static_selectorELNS0_4arch9wavefront6targetE1EEEvT1_
		.amdhsa_group_segment_fixed_size 0
		.amdhsa_private_segment_fixed_size 0
		.amdhsa_kernarg_size 120
		.amdhsa_user_sgpr_count 6
		.amdhsa_user_sgpr_private_segment_buffer 1
		.amdhsa_user_sgpr_dispatch_ptr 0
		.amdhsa_user_sgpr_queue_ptr 0
		.amdhsa_user_sgpr_kernarg_segment_ptr 1
		.amdhsa_user_sgpr_dispatch_id 0
		.amdhsa_user_sgpr_flat_scratch_init 0
		.amdhsa_user_sgpr_kernarg_preload_length 0
		.amdhsa_user_sgpr_kernarg_preload_offset 0
		.amdhsa_user_sgpr_private_segment_size 0
		.amdhsa_uses_dynamic_stack 0
		.amdhsa_system_sgpr_private_segment_wavefront_offset 0
		.amdhsa_system_sgpr_workgroup_id_x 1
		.amdhsa_system_sgpr_workgroup_id_y 0
		.amdhsa_system_sgpr_workgroup_id_z 0
		.amdhsa_system_sgpr_workgroup_info 0
		.amdhsa_system_vgpr_workitem_id 0
		.amdhsa_next_free_vgpr 1
		.amdhsa_next_free_sgpr 0
		.amdhsa_accum_offset 4
		.amdhsa_reserve_vcc 0
		.amdhsa_reserve_flat_scratch 0
		.amdhsa_float_round_mode_32 0
		.amdhsa_float_round_mode_16_64 0
		.amdhsa_float_denorm_mode_32 3
		.amdhsa_float_denorm_mode_16_64 3
		.amdhsa_dx10_clamp 1
		.amdhsa_ieee_mode 1
		.amdhsa_fp16_overflow 0
		.amdhsa_tg_split 0
		.amdhsa_exception_fp_ieee_invalid_op 0
		.amdhsa_exception_fp_denorm_src 0
		.amdhsa_exception_fp_ieee_div_zero 0
		.amdhsa_exception_fp_ieee_overflow 0
		.amdhsa_exception_fp_ieee_underflow 0
		.amdhsa_exception_fp_ieee_inexact 0
		.amdhsa_exception_int_div_zero 0
	.end_amdhsa_kernel
	.section	.text._ZN7rocprim17ROCPRIM_400000_NS6detail17trampoline_kernelINS0_14default_configENS1_29reduce_by_key_config_selectorIiiN6thrust23THRUST_200600_302600_NS4plusIiEEEEZZNS1_33reduce_by_key_impl_wrapped_configILNS1_25lookback_scan_determinismE0ES3_S9_NS6_6detail15normal_iteratorINS6_10device_ptrIiEEEESG_SG_SG_PmS8_22is_equal_div_10_reduceIiEEE10hipError_tPvRmT2_T3_mT4_T5_T6_T7_T8_P12ihipStream_tbENKUlT_T0_E_clISt17integral_constantIbLb1EES11_EEDaSW_SX_EUlSW_E_NS1_11comp_targetILNS1_3genE0ELNS1_11target_archE4294967295ELNS1_3gpuE0ELNS1_3repE0EEENS1_30default_config_static_selectorELNS0_4arch9wavefront6targetE1EEEvT1_,"axG",@progbits,_ZN7rocprim17ROCPRIM_400000_NS6detail17trampoline_kernelINS0_14default_configENS1_29reduce_by_key_config_selectorIiiN6thrust23THRUST_200600_302600_NS4plusIiEEEEZZNS1_33reduce_by_key_impl_wrapped_configILNS1_25lookback_scan_determinismE0ES3_S9_NS6_6detail15normal_iteratorINS6_10device_ptrIiEEEESG_SG_SG_PmS8_22is_equal_div_10_reduceIiEEE10hipError_tPvRmT2_T3_mT4_T5_T6_T7_T8_P12ihipStream_tbENKUlT_T0_E_clISt17integral_constantIbLb1EES11_EEDaSW_SX_EUlSW_E_NS1_11comp_targetILNS1_3genE0ELNS1_11target_archE4294967295ELNS1_3gpuE0ELNS1_3repE0EEENS1_30default_config_static_selectorELNS0_4arch9wavefront6targetE1EEEvT1_,comdat
.Lfunc_end593:
	.size	_ZN7rocprim17ROCPRIM_400000_NS6detail17trampoline_kernelINS0_14default_configENS1_29reduce_by_key_config_selectorIiiN6thrust23THRUST_200600_302600_NS4plusIiEEEEZZNS1_33reduce_by_key_impl_wrapped_configILNS1_25lookback_scan_determinismE0ES3_S9_NS6_6detail15normal_iteratorINS6_10device_ptrIiEEEESG_SG_SG_PmS8_22is_equal_div_10_reduceIiEEE10hipError_tPvRmT2_T3_mT4_T5_T6_T7_T8_P12ihipStream_tbENKUlT_T0_E_clISt17integral_constantIbLb1EES11_EEDaSW_SX_EUlSW_E_NS1_11comp_targetILNS1_3genE0ELNS1_11target_archE4294967295ELNS1_3gpuE0ELNS1_3repE0EEENS1_30default_config_static_selectorELNS0_4arch9wavefront6targetE1EEEvT1_, .Lfunc_end593-_ZN7rocprim17ROCPRIM_400000_NS6detail17trampoline_kernelINS0_14default_configENS1_29reduce_by_key_config_selectorIiiN6thrust23THRUST_200600_302600_NS4plusIiEEEEZZNS1_33reduce_by_key_impl_wrapped_configILNS1_25lookback_scan_determinismE0ES3_S9_NS6_6detail15normal_iteratorINS6_10device_ptrIiEEEESG_SG_SG_PmS8_22is_equal_div_10_reduceIiEEE10hipError_tPvRmT2_T3_mT4_T5_T6_T7_T8_P12ihipStream_tbENKUlT_T0_E_clISt17integral_constantIbLb1EES11_EEDaSW_SX_EUlSW_E_NS1_11comp_targetILNS1_3genE0ELNS1_11target_archE4294967295ELNS1_3gpuE0ELNS1_3repE0EEENS1_30default_config_static_selectorELNS0_4arch9wavefront6targetE1EEEvT1_
                                        ; -- End function
	.section	.AMDGPU.csdata,"",@progbits
; Kernel info:
; codeLenInByte = 0
; NumSgprs: 4
; NumVgprs: 0
; NumAgprs: 0
; TotalNumVgprs: 0
; ScratchSize: 0
; MemoryBound: 0
; FloatMode: 240
; IeeeMode: 1
; LDSByteSize: 0 bytes/workgroup (compile time only)
; SGPRBlocks: 0
; VGPRBlocks: 0
; NumSGPRsForWavesPerEU: 4
; NumVGPRsForWavesPerEU: 1
; AccumOffset: 4
; Occupancy: 8
; WaveLimiterHint : 0
; COMPUTE_PGM_RSRC2:SCRATCH_EN: 0
; COMPUTE_PGM_RSRC2:USER_SGPR: 6
; COMPUTE_PGM_RSRC2:TRAP_HANDLER: 0
; COMPUTE_PGM_RSRC2:TGID_X_EN: 1
; COMPUTE_PGM_RSRC2:TGID_Y_EN: 0
; COMPUTE_PGM_RSRC2:TGID_Z_EN: 0
; COMPUTE_PGM_RSRC2:TIDIG_COMP_CNT: 0
; COMPUTE_PGM_RSRC3_GFX90A:ACCUM_OFFSET: 0
; COMPUTE_PGM_RSRC3_GFX90A:TG_SPLIT: 0
	.section	.text._ZN7rocprim17ROCPRIM_400000_NS6detail17trampoline_kernelINS0_14default_configENS1_29reduce_by_key_config_selectorIiiN6thrust23THRUST_200600_302600_NS4plusIiEEEEZZNS1_33reduce_by_key_impl_wrapped_configILNS1_25lookback_scan_determinismE0ES3_S9_NS6_6detail15normal_iteratorINS6_10device_ptrIiEEEESG_SG_SG_PmS8_22is_equal_div_10_reduceIiEEE10hipError_tPvRmT2_T3_mT4_T5_T6_T7_T8_P12ihipStream_tbENKUlT_T0_E_clISt17integral_constantIbLb1EES11_EEDaSW_SX_EUlSW_E_NS1_11comp_targetILNS1_3genE5ELNS1_11target_archE942ELNS1_3gpuE9ELNS1_3repE0EEENS1_30default_config_static_selectorELNS0_4arch9wavefront6targetE1EEEvT1_,"axG",@progbits,_ZN7rocprim17ROCPRIM_400000_NS6detail17trampoline_kernelINS0_14default_configENS1_29reduce_by_key_config_selectorIiiN6thrust23THRUST_200600_302600_NS4plusIiEEEEZZNS1_33reduce_by_key_impl_wrapped_configILNS1_25lookback_scan_determinismE0ES3_S9_NS6_6detail15normal_iteratorINS6_10device_ptrIiEEEESG_SG_SG_PmS8_22is_equal_div_10_reduceIiEEE10hipError_tPvRmT2_T3_mT4_T5_T6_T7_T8_P12ihipStream_tbENKUlT_T0_E_clISt17integral_constantIbLb1EES11_EEDaSW_SX_EUlSW_E_NS1_11comp_targetILNS1_3genE5ELNS1_11target_archE942ELNS1_3gpuE9ELNS1_3repE0EEENS1_30default_config_static_selectorELNS0_4arch9wavefront6targetE1EEEvT1_,comdat
	.protected	_ZN7rocprim17ROCPRIM_400000_NS6detail17trampoline_kernelINS0_14default_configENS1_29reduce_by_key_config_selectorIiiN6thrust23THRUST_200600_302600_NS4plusIiEEEEZZNS1_33reduce_by_key_impl_wrapped_configILNS1_25lookback_scan_determinismE0ES3_S9_NS6_6detail15normal_iteratorINS6_10device_ptrIiEEEESG_SG_SG_PmS8_22is_equal_div_10_reduceIiEEE10hipError_tPvRmT2_T3_mT4_T5_T6_T7_T8_P12ihipStream_tbENKUlT_T0_E_clISt17integral_constantIbLb1EES11_EEDaSW_SX_EUlSW_E_NS1_11comp_targetILNS1_3genE5ELNS1_11target_archE942ELNS1_3gpuE9ELNS1_3repE0EEENS1_30default_config_static_selectorELNS0_4arch9wavefront6targetE1EEEvT1_ ; -- Begin function _ZN7rocprim17ROCPRIM_400000_NS6detail17trampoline_kernelINS0_14default_configENS1_29reduce_by_key_config_selectorIiiN6thrust23THRUST_200600_302600_NS4plusIiEEEEZZNS1_33reduce_by_key_impl_wrapped_configILNS1_25lookback_scan_determinismE0ES3_S9_NS6_6detail15normal_iteratorINS6_10device_ptrIiEEEESG_SG_SG_PmS8_22is_equal_div_10_reduceIiEEE10hipError_tPvRmT2_T3_mT4_T5_T6_T7_T8_P12ihipStream_tbENKUlT_T0_E_clISt17integral_constantIbLb1EES11_EEDaSW_SX_EUlSW_E_NS1_11comp_targetILNS1_3genE5ELNS1_11target_archE942ELNS1_3gpuE9ELNS1_3repE0EEENS1_30default_config_static_selectorELNS0_4arch9wavefront6targetE1EEEvT1_
	.globl	_ZN7rocprim17ROCPRIM_400000_NS6detail17trampoline_kernelINS0_14default_configENS1_29reduce_by_key_config_selectorIiiN6thrust23THRUST_200600_302600_NS4plusIiEEEEZZNS1_33reduce_by_key_impl_wrapped_configILNS1_25lookback_scan_determinismE0ES3_S9_NS6_6detail15normal_iteratorINS6_10device_ptrIiEEEESG_SG_SG_PmS8_22is_equal_div_10_reduceIiEEE10hipError_tPvRmT2_T3_mT4_T5_T6_T7_T8_P12ihipStream_tbENKUlT_T0_E_clISt17integral_constantIbLb1EES11_EEDaSW_SX_EUlSW_E_NS1_11comp_targetILNS1_3genE5ELNS1_11target_archE942ELNS1_3gpuE9ELNS1_3repE0EEENS1_30default_config_static_selectorELNS0_4arch9wavefront6targetE1EEEvT1_
	.p2align	8
	.type	_ZN7rocprim17ROCPRIM_400000_NS6detail17trampoline_kernelINS0_14default_configENS1_29reduce_by_key_config_selectorIiiN6thrust23THRUST_200600_302600_NS4plusIiEEEEZZNS1_33reduce_by_key_impl_wrapped_configILNS1_25lookback_scan_determinismE0ES3_S9_NS6_6detail15normal_iteratorINS6_10device_ptrIiEEEESG_SG_SG_PmS8_22is_equal_div_10_reduceIiEEE10hipError_tPvRmT2_T3_mT4_T5_T6_T7_T8_P12ihipStream_tbENKUlT_T0_E_clISt17integral_constantIbLb1EES11_EEDaSW_SX_EUlSW_E_NS1_11comp_targetILNS1_3genE5ELNS1_11target_archE942ELNS1_3gpuE9ELNS1_3repE0EEENS1_30default_config_static_selectorELNS0_4arch9wavefront6targetE1EEEvT1_,@function
_ZN7rocprim17ROCPRIM_400000_NS6detail17trampoline_kernelINS0_14default_configENS1_29reduce_by_key_config_selectorIiiN6thrust23THRUST_200600_302600_NS4plusIiEEEEZZNS1_33reduce_by_key_impl_wrapped_configILNS1_25lookback_scan_determinismE0ES3_S9_NS6_6detail15normal_iteratorINS6_10device_ptrIiEEEESG_SG_SG_PmS8_22is_equal_div_10_reduceIiEEE10hipError_tPvRmT2_T3_mT4_T5_T6_T7_T8_P12ihipStream_tbENKUlT_T0_E_clISt17integral_constantIbLb1EES11_EEDaSW_SX_EUlSW_E_NS1_11comp_targetILNS1_3genE5ELNS1_11target_archE942ELNS1_3gpuE9ELNS1_3repE0EEENS1_30default_config_static_selectorELNS0_4arch9wavefront6targetE1EEEvT1_: ; @_ZN7rocprim17ROCPRIM_400000_NS6detail17trampoline_kernelINS0_14default_configENS1_29reduce_by_key_config_selectorIiiN6thrust23THRUST_200600_302600_NS4plusIiEEEEZZNS1_33reduce_by_key_impl_wrapped_configILNS1_25lookback_scan_determinismE0ES3_S9_NS6_6detail15normal_iteratorINS6_10device_ptrIiEEEESG_SG_SG_PmS8_22is_equal_div_10_reduceIiEEE10hipError_tPvRmT2_T3_mT4_T5_T6_T7_T8_P12ihipStream_tbENKUlT_T0_E_clISt17integral_constantIbLb1EES11_EEDaSW_SX_EUlSW_E_NS1_11comp_targetILNS1_3genE5ELNS1_11target_archE942ELNS1_3gpuE9ELNS1_3repE0EEENS1_30default_config_static_selectorELNS0_4arch9wavefront6targetE1EEEvT1_
; %bb.0:
	.section	.rodata,"a",@progbits
	.p2align	6, 0x0
	.amdhsa_kernel _ZN7rocprim17ROCPRIM_400000_NS6detail17trampoline_kernelINS0_14default_configENS1_29reduce_by_key_config_selectorIiiN6thrust23THRUST_200600_302600_NS4plusIiEEEEZZNS1_33reduce_by_key_impl_wrapped_configILNS1_25lookback_scan_determinismE0ES3_S9_NS6_6detail15normal_iteratorINS6_10device_ptrIiEEEESG_SG_SG_PmS8_22is_equal_div_10_reduceIiEEE10hipError_tPvRmT2_T3_mT4_T5_T6_T7_T8_P12ihipStream_tbENKUlT_T0_E_clISt17integral_constantIbLb1EES11_EEDaSW_SX_EUlSW_E_NS1_11comp_targetILNS1_3genE5ELNS1_11target_archE942ELNS1_3gpuE9ELNS1_3repE0EEENS1_30default_config_static_selectorELNS0_4arch9wavefront6targetE1EEEvT1_
		.amdhsa_group_segment_fixed_size 0
		.amdhsa_private_segment_fixed_size 0
		.amdhsa_kernarg_size 120
		.amdhsa_user_sgpr_count 6
		.amdhsa_user_sgpr_private_segment_buffer 1
		.amdhsa_user_sgpr_dispatch_ptr 0
		.amdhsa_user_sgpr_queue_ptr 0
		.amdhsa_user_sgpr_kernarg_segment_ptr 1
		.amdhsa_user_sgpr_dispatch_id 0
		.amdhsa_user_sgpr_flat_scratch_init 0
		.amdhsa_user_sgpr_kernarg_preload_length 0
		.amdhsa_user_sgpr_kernarg_preload_offset 0
		.amdhsa_user_sgpr_private_segment_size 0
		.amdhsa_uses_dynamic_stack 0
		.amdhsa_system_sgpr_private_segment_wavefront_offset 0
		.amdhsa_system_sgpr_workgroup_id_x 1
		.amdhsa_system_sgpr_workgroup_id_y 0
		.amdhsa_system_sgpr_workgroup_id_z 0
		.amdhsa_system_sgpr_workgroup_info 0
		.amdhsa_system_vgpr_workitem_id 0
		.amdhsa_next_free_vgpr 1
		.amdhsa_next_free_sgpr 0
		.amdhsa_accum_offset 4
		.amdhsa_reserve_vcc 0
		.amdhsa_reserve_flat_scratch 0
		.amdhsa_float_round_mode_32 0
		.amdhsa_float_round_mode_16_64 0
		.amdhsa_float_denorm_mode_32 3
		.amdhsa_float_denorm_mode_16_64 3
		.amdhsa_dx10_clamp 1
		.amdhsa_ieee_mode 1
		.amdhsa_fp16_overflow 0
		.amdhsa_tg_split 0
		.amdhsa_exception_fp_ieee_invalid_op 0
		.amdhsa_exception_fp_denorm_src 0
		.amdhsa_exception_fp_ieee_div_zero 0
		.amdhsa_exception_fp_ieee_overflow 0
		.amdhsa_exception_fp_ieee_underflow 0
		.amdhsa_exception_fp_ieee_inexact 0
		.amdhsa_exception_int_div_zero 0
	.end_amdhsa_kernel
	.section	.text._ZN7rocprim17ROCPRIM_400000_NS6detail17trampoline_kernelINS0_14default_configENS1_29reduce_by_key_config_selectorIiiN6thrust23THRUST_200600_302600_NS4plusIiEEEEZZNS1_33reduce_by_key_impl_wrapped_configILNS1_25lookback_scan_determinismE0ES3_S9_NS6_6detail15normal_iteratorINS6_10device_ptrIiEEEESG_SG_SG_PmS8_22is_equal_div_10_reduceIiEEE10hipError_tPvRmT2_T3_mT4_T5_T6_T7_T8_P12ihipStream_tbENKUlT_T0_E_clISt17integral_constantIbLb1EES11_EEDaSW_SX_EUlSW_E_NS1_11comp_targetILNS1_3genE5ELNS1_11target_archE942ELNS1_3gpuE9ELNS1_3repE0EEENS1_30default_config_static_selectorELNS0_4arch9wavefront6targetE1EEEvT1_,"axG",@progbits,_ZN7rocprim17ROCPRIM_400000_NS6detail17trampoline_kernelINS0_14default_configENS1_29reduce_by_key_config_selectorIiiN6thrust23THRUST_200600_302600_NS4plusIiEEEEZZNS1_33reduce_by_key_impl_wrapped_configILNS1_25lookback_scan_determinismE0ES3_S9_NS6_6detail15normal_iteratorINS6_10device_ptrIiEEEESG_SG_SG_PmS8_22is_equal_div_10_reduceIiEEE10hipError_tPvRmT2_T3_mT4_T5_T6_T7_T8_P12ihipStream_tbENKUlT_T0_E_clISt17integral_constantIbLb1EES11_EEDaSW_SX_EUlSW_E_NS1_11comp_targetILNS1_3genE5ELNS1_11target_archE942ELNS1_3gpuE9ELNS1_3repE0EEENS1_30default_config_static_selectorELNS0_4arch9wavefront6targetE1EEEvT1_,comdat
.Lfunc_end594:
	.size	_ZN7rocprim17ROCPRIM_400000_NS6detail17trampoline_kernelINS0_14default_configENS1_29reduce_by_key_config_selectorIiiN6thrust23THRUST_200600_302600_NS4plusIiEEEEZZNS1_33reduce_by_key_impl_wrapped_configILNS1_25lookback_scan_determinismE0ES3_S9_NS6_6detail15normal_iteratorINS6_10device_ptrIiEEEESG_SG_SG_PmS8_22is_equal_div_10_reduceIiEEE10hipError_tPvRmT2_T3_mT4_T5_T6_T7_T8_P12ihipStream_tbENKUlT_T0_E_clISt17integral_constantIbLb1EES11_EEDaSW_SX_EUlSW_E_NS1_11comp_targetILNS1_3genE5ELNS1_11target_archE942ELNS1_3gpuE9ELNS1_3repE0EEENS1_30default_config_static_selectorELNS0_4arch9wavefront6targetE1EEEvT1_, .Lfunc_end594-_ZN7rocprim17ROCPRIM_400000_NS6detail17trampoline_kernelINS0_14default_configENS1_29reduce_by_key_config_selectorIiiN6thrust23THRUST_200600_302600_NS4plusIiEEEEZZNS1_33reduce_by_key_impl_wrapped_configILNS1_25lookback_scan_determinismE0ES3_S9_NS6_6detail15normal_iteratorINS6_10device_ptrIiEEEESG_SG_SG_PmS8_22is_equal_div_10_reduceIiEEE10hipError_tPvRmT2_T3_mT4_T5_T6_T7_T8_P12ihipStream_tbENKUlT_T0_E_clISt17integral_constantIbLb1EES11_EEDaSW_SX_EUlSW_E_NS1_11comp_targetILNS1_3genE5ELNS1_11target_archE942ELNS1_3gpuE9ELNS1_3repE0EEENS1_30default_config_static_selectorELNS0_4arch9wavefront6targetE1EEEvT1_
                                        ; -- End function
	.section	.AMDGPU.csdata,"",@progbits
; Kernel info:
; codeLenInByte = 0
; NumSgprs: 4
; NumVgprs: 0
; NumAgprs: 0
; TotalNumVgprs: 0
; ScratchSize: 0
; MemoryBound: 0
; FloatMode: 240
; IeeeMode: 1
; LDSByteSize: 0 bytes/workgroup (compile time only)
; SGPRBlocks: 0
; VGPRBlocks: 0
; NumSGPRsForWavesPerEU: 4
; NumVGPRsForWavesPerEU: 1
; AccumOffset: 4
; Occupancy: 8
; WaveLimiterHint : 0
; COMPUTE_PGM_RSRC2:SCRATCH_EN: 0
; COMPUTE_PGM_RSRC2:USER_SGPR: 6
; COMPUTE_PGM_RSRC2:TRAP_HANDLER: 0
; COMPUTE_PGM_RSRC2:TGID_X_EN: 1
; COMPUTE_PGM_RSRC2:TGID_Y_EN: 0
; COMPUTE_PGM_RSRC2:TGID_Z_EN: 0
; COMPUTE_PGM_RSRC2:TIDIG_COMP_CNT: 0
; COMPUTE_PGM_RSRC3_GFX90A:ACCUM_OFFSET: 0
; COMPUTE_PGM_RSRC3_GFX90A:TG_SPLIT: 0
	.section	.text._ZN7rocprim17ROCPRIM_400000_NS6detail17trampoline_kernelINS0_14default_configENS1_29reduce_by_key_config_selectorIiiN6thrust23THRUST_200600_302600_NS4plusIiEEEEZZNS1_33reduce_by_key_impl_wrapped_configILNS1_25lookback_scan_determinismE0ES3_S9_NS6_6detail15normal_iteratorINS6_10device_ptrIiEEEESG_SG_SG_PmS8_22is_equal_div_10_reduceIiEEE10hipError_tPvRmT2_T3_mT4_T5_T6_T7_T8_P12ihipStream_tbENKUlT_T0_E_clISt17integral_constantIbLb1EES11_EEDaSW_SX_EUlSW_E_NS1_11comp_targetILNS1_3genE4ELNS1_11target_archE910ELNS1_3gpuE8ELNS1_3repE0EEENS1_30default_config_static_selectorELNS0_4arch9wavefront6targetE1EEEvT1_,"axG",@progbits,_ZN7rocprim17ROCPRIM_400000_NS6detail17trampoline_kernelINS0_14default_configENS1_29reduce_by_key_config_selectorIiiN6thrust23THRUST_200600_302600_NS4plusIiEEEEZZNS1_33reduce_by_key_impl_wrapped_configILNS1_25lookback_scan_determinismE0ES3_S9_NS6_6detail15normal_iteratorINS6_10device_ptrIiEEEESG_SG_SG_PmS8_22is_equal_div_10_reduceIiEEE10hipError_tPvRmT2_T3_mT4_T5_T6_T7_T8_P12ihipStream_tbENKUlT_T0_E_clISt17integral_constantIbLb1EES11_EEDaSW_SX_EUlSW_E_NS1_11comp_targetILNS1_3genE4ELNS1_11target_archE910ELNS1_3gpuE8ELNS1_3repE0EEENS1_30default_config_static_selectorELNS0_4arch9wavefront6targetE1EEEvT1_,comdat
	.protected	_ZN7rocprim17ROCPRIM_400000_NS6detail17trampoline_kernelINS0_14default_configENS1_29reduce_by_key_config_selectorIiiN6thrust23THRUST_200600_302600_NS4plusIiEEEEZZNS1_33reduce_by_key_impl_wrapped_configILNS1_25lookback_scan_determinismE0ES3_S9_NS6_6detail15normal_iteratorINS6_10device_ptrIiEEEESG_SG_SG_PmS8_22is_equal_div_10_reduceIiEEE10hipError_tPvRmT2_T3_mT4_T5_T6_T7_T8_P12ihipStream_tbENKUlT_T0_E_clISt17integral_constantIbLb1EES11_EEDaSW_SX_EUlSW_E_NS1_11comp_targetILNS1_3genE4ELNS1_11target_archE910ELNS1_3gpuE8ELNS1_3repE0EEENS1_30default_config_static_selectorELNS0_4arch9wavefront6targetE1EEEvT1_ ; -- Begin function _ZN7rocprim17ROCPRIM_400000_NS6detail17trampoline_kernelINS0_14default_configENS1_29reduce_by_key_config_selectorIiiN6thrust23THRUST_200600_302600_NS4plusIiEEEEZZNS1_33reduce_by_key_impl_wrapped_configILNS1_25lookback_scan_determinismE0ES3_S9_NS6_6detail15normal_iteratorINS6_10device_ptrIiEEEESG_SG_SG_PmS8_22is_equal_div_10_reduceIiEEE10hipError_tPvRmT2_T3_mT4_T5_T6_T7_T8_P12ihipStream_tbENKUlT_T0_E_clISt17integral_constantIbLb1EES11_EEDaSW_SX_EUlSW_E_NS1_11comp_targetILNS1_3genE4ELNS1_11target_archE910ELNS1_3gpuE8ELNS1_3repE0EEENS1_30default_config_static_selectorELNS0_4arch9wavefront6targetE1EEEvT1_
	.globl	_ZN7rocprim17ROCPRIM_400000_NS6detail17trampoline_kernelINS0_14default_configENS1_29reduce_by_key_config_selectorIiiN6thrust23THRUST_200600_302600_NS4plusIiEEEEZZNS1_33reduce_by_key_impl_wrapped_configILNS1_25lookback_scan_determinismE0ES3_S9_NS6_6detail15normal_iteratorINS6_10device_ptrIiEEEESG_SG_SG_PmS8_22is_equal_div_10_reduceIiEEE10hipError_tPvRmT2_T3_mT4_T5_T6_T7_T8_P12ihipStream_tbENKUlT_T0_E_clISt17integral_constantIbLb1EES11_EEDaSW_SX_EUlSW_E_NS1_11comp_targetILNS1_3genE4ELNS1_11target_archE910ELNS1_3gpuE8ELNS1_3repE0EEENS1_30default_config_static_selectorELNS0_4arch9wavefront6targetE1EEEvT1_
	.p2align	8
	.type	_ZN7rocprim17ROCPRIM_400000_NS6detail17trampoline_kernelINS0_14default_configENS1_29reduce_by_key_config_selectorIiiN6thrust23THRUST_200600_302600_NS4plusIiEEEEZZNS1_33reduce_by_key_impl_wrapped_configILNS1_25lookback_scan_determinismE0ES3_S9_NS6_6detail15normal_iteratorINS6_10device_ptrIiEEEESG_SG_SG_PmS8_22is_equal_div_10_reduceIiEEE10hipError_tPvRmT2_T3_mT4_T5_T6_T7_T8_P12ihipStream_tbENKUlT_T0_E_clISt17integral_constantIbLb1EES11_EEDaSW_SX_EUlSW_E_NS1_11comp_targetILNS1_3genE4ELNS1_11target_archE910ELNS1_3gpuE8ELNS1_3repE0EEENS1_30default_config_static_selectorELNS0_4arch9wavefront6targetE1EEEvT1_,@function
_ZN7rocprim17ROCPRIM_400000_NS6detail17trampoline_kernelINS0_14default_configENS1_29reduce_by_key_config_selectorIiiN6thrust23THRUST_200600_302600_NS4plusIiEEEEZZNS1_33reduce_by_key_impl_wrapped_configILNS1_25lookback_scan_determinismE0ES3_S9_NS6_6detail15normal_iteratorINS6_10device_ptrIiEEEESG_SG_SG_PmS8_22is_equal_div_10_reduceIiEEE10hipError_tPvRmT2_T3_mT4_T5_T6_T7_T8_P12ihipStream_tbENKUlT_T0_E_clISt17integral_constantIbLb1EES11_EEDaSW_SX_EUlSW_E_NS1_11comp_targetILNS1_3genE4ELNS1_11target_archE910ELNS1_3gpuE8ELNS1_3repE0EEENS1_30default_config_static_selectorELNS0_4arch9wavefront6targetE1EEEvT1_: ; @_ZN7rocprim17ROCPRIM_400000_NS6detail17trampoline_kernelINS0_14default_configENS1_29reduce_by_key_config_selectorIiiN6thrust23THRUST_200600_302600_NS4plusIiEEEEZZNS1_33reduce_by_key_impl_wrapped_configILNS1_25lookback_scan_determinismE0ES3_S9_NS6_6detail15normal_iteratorINS6_10device_ptrIiEEEESG_SG_SG_PmS8_22is_equal_div_10_reduceIiEEE10hipError_tPvRmT2_T3_mT4_T5_T6_T7_T8_P12ihipStream_tbENKUlT_T0_E_clISt17integral_constantIbLb1EES11_EEDaSW_SX_EUlSW_E_NS1_11comp_targetILNS1_3genE4ELNS1_11target_archE910ELNS1_3gpuE8ELNS1_3repE0EEENS1_30default_config_static_selectorELNS0_4arch9wavefront6targetE1EEEvT1_
; %bb.0:
	s_load_dwordx8 s[36:43], s[4:5], 0x0
	s_load_dwordx4 s[52:55], s[4:5], 0x20
	s_load_dwordx8 s[44:51], s[4:5], 0x38
	s_load_dwordx2 s[60:61], s[4:5], 0x68
	s_load_dwordx4 s[56:59], s[4:5], 0x58
	v_cmp_ne_u32_e64 s[2:3], 0, v0
	v_cmp_eq_u32_e64 s[0:1], 0, v0
	s_and_saveexec_b64 s[6:7], s[0:1]
	s_cbranch_execz .LBB595_4
; %bb.1:
	s_mov_b64 s[10:11], exec
	v_mbcnt_lo_u32_b32 v1, s10, 0
	v_mbcnt_hi_u32_b32 v1, s11, v1
	v_cmp_eq_u32_e32 vcc, 0, v1
                                        ; implicit-def: $vgpr2
	s_and_saveexec_b64 s[8:9], vcc
	s_cbranch_execz .LBB595_3
; %bb.2:
	s_load_dwordx2 s[4:5], s[4:5], 0x70
	s_bcnt1_i32_b64 s10, s[10:11]
	v_mov_b32_e32 v2, 0
	v_mov_b32_e32 v3, s10
	s_waitcnt lgkmcnt(0)
	global_atomic_add v2, v2, v3, s[4:5] glc
.LBB595_3:
	s_or_b64 exec, exec, s[8:9]
	s_waitcnt vmcnt(0)
	v_readfirstlane_b32 s4, v2
	v_add_u32_e32 v1, s4, v1
	v_mov_b32_e32 v2, 0
	ds_write_b32 v2, v1
.LBB595_4:
	s_or_b64 exec, exec, s[6:7]
	v_mov_b32_e32 v3, 0
	s_waitcnt lgkmcnt(0)
	s_lshl_b64 s[4:5], s[38:39], 2
	s_barrier
	ds_read_b32 v1, v3
	s_add_u32 s6, s36, s4
	s_addc_u32 s7, s37, s5
	s_add_u32 s4, s40, s4
	s_mul_i32 s8, s48, s47
	s_mul_hi_u32 s9, s48, s46
	s_addc_u32 s5, s41, s5
	s_add_i32 s8, s9, s8
	s_mul_i32 s9, s49, s46
	s_add_i32 s8, s8, s9
	s_mul_i32 s9, s48, s46
	s_waitcnt lgkmcnt(0)
	v_readfirstlane_b32 s62, v1
	s_movk_i32 s10, 0xf00
	v_mul_lo_u32 v2, v1, s10
	s_add_u32 s40, s9, s62
	v_lshlrev_b64 v[4:5], 2, v[2:3]
	s_addc_u32 s41, s8, 0
	v_mov_b32_e32 v1, s7
	v_add_co_u32_e32 v2, vcc, s6, v4
	s_add_u32 s6, s50, -1
	v_addc_co_u32_e32 v3, vcc, v1, v5, vcc
	s_addc_u32 s7, s51, -1
	v_mov_b32_e32 v1, s5
	v_add_co_u32_e32 v4, vcc, s4, v4
	s_cmp_eq_u64 s[40:41], s[6:7]
	v_addc_co_u32_e32 v5, vcc, v1, v5, vcc
	s_cselect_b64 s[36:37], -1, 0
	s_cmp_lg_u64 s[40:41], s[6:7]
	s_mov_b64 s[4:5], -1
	s_cselect_b64 s[48:49], -1, 0
	s_mul_i32 s33, s6, 0xfffff100
	s_and_b64 vcc, exec, s[36:37]
	s_barrier
	s_cbranch_vccnz .LBB595_6
; %bb.5:
	v_lshlrev_b32_e32 v30, 2, v0
	v_add_co_u32_e32 v6, vcc, v2, v30
	v_addc_co_u32_e32 v7, vcc, 0, v3, vcc
	v_add_co_u32_e32 v8, vcc, 0x1000, v6
	v_addc_co_u32_e32 v9, vcc, 0, v7, vcc
	flat_load_dword v1, v[6:7]
	flat_load_dword v10, v[6:7] offset:1024
	flat_load_dword v11, v[6:7] offset:2048
	flat_load_dword v12, v[6:7] offset:3072
	flat_load_dword v13, v[8:9]
	flat_load_dword v14, v[8:9] offset:1024
	flat_load_dword v15, v[8:9] offset:2048
	;; [unrolled: 1-line block ×3, first 2 shown]
	v_add_co_u32_e32 v8, vcc, 0x2000, v6
	v_addc_co_u32_e32 v9, vcc, 0, v7, vcc
	v_add_co_u32_e32 v6, vcc, 0x3000, v6
	v_addc_co_u32_e32 v7, vcc, 0, v7, vcc
	flat_load_dword v17, v[8:9]
	flat_load_dword v18, v[8:9] offset:1024
	flat_load_dword v19, v[8:9] offset:2048
	;; [unrolled: 1-line block ×3, first 2 shown]
	flat_load_dword v21, v[6:7]
	flat_load_dword v31, v[6:7] offset:1024
	flat_load_dword v32, v[6:7] offset:2048
	v_add_co_u32_e32 v22, vcc, v4, v30
	s_movk_i32 s4, 0x1000
	v_addc_co_u32_e32 v23, vcc, 0, v5, vcc
	v_add_co_u32_e32 v24, vcc, s4, v22
	s_movk_i32 s5, 0x2000
	v_addc_co_u32_e32 v25, vcc, 0, v23, vcc
	;; [unrolled: 3-line block ×3, first 2 shown]
	v_mad_u32_u24 v6, v0, 56, v30
	v_add_co_u32_e32 v28, vcc, s6, v22
	v_addc_co_u32_e32 v29, vcc, 0, v23, vcc
	s_waitcnt vmcnt(0) lgkmcnt(0)
	ds_write2st64_b32 v30, v1, v10 offset1:4
	ds_write2st64_b32 v30, v11, v12 offset0:8 offset1:12
	ds_write2st64_b32 v30, v13, v14 offset0:16 offset1:20
	;; [unrolled: 1-line block ×6, first 2 shown]
	ds_write_b32 v30, v32 offset:14336
	s_waitcnt lgkmcnt(0)
	s_barrier
	ds_read2_b32 v[20:21], v6 offset1:1
	ds_read2_b32 v[18:19], v6 offset0:2 offset1:3
	ds_read2_b32 v[16:17], v6 offset0:4 offset1:5
	;; [unrolled: 1-line block ×6, first 2 shown]
	ds_read_b32 v1, v6 offset:56
	s_waitcnt lgkmcnt(0)
	s_barrier
	flat_load_dword v7, v[22:23]
	flat_load_dword v31, v[22:23] offset:1024
	flat_load_dword v32, v[22:23] offset:2048
	flat_load_dword v33, v[22:23] offset:3072
	flat_load_dword v34, v[24:25]
	flat_load_dword v35, v[24:25] offset:1024
	flat_load_dword v36, v[24:25] offset:2048
	flat_load_dword v37, v[24:25] offset:3072
	;; [unrolled: 4-line block ×3, first 2 shown]
	flat_load_dword v42, v[28:29]
	flat_load_dword v43, v[28:29] offset:1024
	flat_load_dword v44, v[28:29] offset:2048
	v_mul_u32_u24_e32 v26, 15, v0
	s_waitcnt vmcnt(0) lgkmcnt(0)
	ds_write2st64_b32 v30, v7, v31 offset1:4
	ds_write2st64_b32 v30, v32, v33 offset0:8 offset1:12
	ds_write2st64_b32 v30, v34, v35 offset0:16 offset1:20
	;; [unrolled: 1-line block ×6, first 2 shown]
	ds_write_b32 v30, v44 offset:14336
	s_waitcnt lgkmcnt(0)
	s_barrier
	s_add_i32 s33, s33, s56
	s_cbranch_execz .LBB595_7
	s_branch .LBB595_54
.LBB595_6:
                                        ; implicit-def: $vgpr8_vgpr9
                                        ; implicit-def: $vgpr10_vgpr11
                                        ; implicit-def: $vgpr12_vgpr13
                                        ; implicit-def: $vgpr14_vgpr15
                                        ; implicit-def: $vgpr16_vgpr17
                                        ; implicit-def: $vgpr18_vgpr19
                                        ; implicit-def: $vgpr20_vgpr21
                                        ; implicit-def: $vgpr26
                                        ; implicit-def: $vgpr6
                                        ; implicit-def: $vgpr1
	s_andn2_b64 vcc, exec, s[4:5]
	s_add_i32 s33, s33, s56
	s_cbranch_vccnz .LBB595_54
.LBB595_7:
	v_cmp_gt_u32_e32 vcc, s33, v0
                                        ; implicit-def: $vgpr1
	s_and_saveexec_b64 s[6:7], vcc
	s_cbranch_execz .LBB595_9
; %bb.8:
	v_lshlrev_b32_e32 v1, 2, v0
	v_add_co_u32_e64 v6, s[4:5], v2, v1
	v_addc_co_u32_e64 v7, s[4:5], 0, v3, s[4:5]
	flat_load_dword v1, v[6:7]
.LBB595_9:
	s_or_b64 exec, exec, s[6:7]
	v_or_b32_e32 v6, 0x100, v0
	v_cmp_gt_u32_e64 s[4:5], s33, v6
                                        ; implicit-def: $vgpr6
	s_and_saveexec_b64 s[8:9], s[4:5]
	s_cbranch_execz .LBB595_11
; %bb.10:
	v_lshlrev_b32_e32 v6, 2, v0
	v_add_co_u32_e64 v6, s[6:7], v2, v6
	v_addc_co_u32_e64 v7, s[6:7], 0, v3, s[6:7]
	flat_load_dword v6, v[6:7] offset:1024
.LBB595_11:
	s_or_b64 exec, exec, s[8:9]
	v_or_b32_e32 v7, 0x200, v0
	v_cmp_gt_u32_e64 s[6:7], s33, v7
                                        ; implicit-def: $vgpr8
	s_and_saveexec_b64 s[10:11], s[6:7]
	s_cbranch_execz .LBB595_13
; %bb.12:
	v_lshlrev_b32_e32 v7, 2, v0
	v_add_co_u32_e64 v8, s[8:9], v2, v7
	v_addc_co_u32_e64 v9, s[8:9], 0, v3, s[8:9]
	flat_load_dword v8, v[8:9] offset:2048
.LBB595_13:
	s_or_b64 exec, exec, s[10:11]
	v_or_b32_e32 v7, 0x300, v0
	v_cmp_gt_u32_e64 s[8:9], s33, v7
                                        ; implicit-def: $vgpr9
	s_and_saveexec_b64 s[12:13], s[8:9]
	s_cbranch_execz .LBB595_15
; %bb.14:
	v_lshlrev_b32_e32 v7, 2, v0
	v_add_co_u32_e64 v10, s[10:11], v2, v7
	v_addc_co_u32_e64 v11, s[10:11], 0, v3, s[10:11]
	flat_load_dword v9, v[10:11] offset:3072
.LBB595_15:
	s_or_b64 exec, exec, s[12:13]
	v_or_b32_e32 v7, 0x400, v0
	v_cmp_gt_u32_e64 s[10:11], s33, v7
                                        ; implicit-def: $vgpr10
	s_and_saveexec_b64 s[14:15], s[10:11]
	s_cbranch_execz .LBB595_17
; %bb.16:
	v_lshlrev_b32_e32 v10, 2, v7
	v_add_co_u32_e64 v10, s[12:13], v2, v10
	v_addc_co_u32_e64 v11, s[12:13], 0, v3, s[12:13]
	flat_load_dword v10, v[10:11]
.LBB595_17:
	s_or_b64 exec, exec, s[14:15]
	v_or_b32_e32 v22, 0x500, v0
	v_cmp_gt_u32_e64 s[12:13], s33, v22
                                        ; implicit-def: $vgpr11
	s_and_saveexec_b64 s[16:17], s[12:13]
	s_cbranch_execz .LBB595_19
; %bb.18:
	v_lshlrev_b32_e32 v11, 2, v22
	v_add_co_u32_e64 v12, s[14:15], v2, v11
	v_addc_co_u32_e64 v13, s[14:15], 0, v3, s[14:15]
	flat_load_dword v11, v[12:13]
.LBB595_19:
	s_or_b64 exec, exec, s[16:17]
	v_or_b32_e32 v23, 0x600, v0
	v_cmp_gt_u32_e64 s[14:15], s33, v23
                                        ; implicit-def: $vgpr12
	s_and_saveexec_b64 s[18:19], s[14:15]
	s_cbranch_execz .LBB595_21
; %bb.20:
	v_lshlrev_b32_e32 v12, 2, v23
	v_add_co_u32_e64 v12, s[16:17], v2, v12
	v_addc_co_u32_e64 v13, s[16:17], 0, v3, s[16:17]
	flat_load_dword v12, v[12:13]
.LBB595_21:
	s_or_b64 exec, exec, s[18:19]
	v_or_b32_e32 v24, 0x700, v0
	v_cmp_gt_u32_e64 s[16:17], s33, v24
                                        ; implicit-def: $vgpr13
	s_and_saveexec_b64 s[20:21], s[16:17]
	s_cbranch_execz .LBB595_23
; %bb.22:
	v_lshlrev_b32_e32 v13, 2, v24
	v_add_co_u32_e64 v14, s[18:19], v2, v13
	v_addc_co_u32_e64 v15, s[18:19], 0, v3, s[18:19]
	flat_load_dword v13, v[14:15]
.LBB595_23:
	s_or_b64 exec, exec, s[20:21]
	v_or_b32_e32 v25, 0x800, v0
	v_cmp_gt_u32_e64 s[18:19], s33, v25
                                        ; implicit-def: $vgpr14
	s_and_saveexec_b64 s[22:23], s[18:19]
	s_cbranch_execz .LBB595_25
; %bb.24:
	v_lshlrev_b32_e32 v14, 2, v25
	v_add_co_u32_e64 v14, s[20:21], v2, v14
	v_addc_co_u32_e64 v15, s[20:21], 0, v3, s[20:21]
	flat_load_dword v14, v[14:15]
.LBB595_25:
	s_or_b64 exec, exec, s[22:23]
	v_or_b32_e32 v26, 0x900, v0
	v_cmp_gt_u32_e64 s[20:21], s33, v26
                                        ; implicit-def: $vgpr15
	s_and_saveexec_b64 s[24:25], s[20:21]
	s_cbranch_execz .LBB595_27
; %bb.26:
	v_lshlrev_b32_e32 v15, 2, v26
	v_add_co_u32_e64 v16, s[22:23], v2, v15
	v_addc_co_u32_e64 v17, s[22:23], 0, v3, s[22:23]
	flat_load_dword v15, v[16:17]
.LBB595_27:
	s_or_b64 exec, exec, s[24:25]
	v_or_b32_e32 v27, 0xa00, v0
	v_cmp_gt_u32_e64 s[22:23], s33, v27
                                        ; implicit-def: $vgpr16
	s_and_saveexec_b64 s[26:27], s[22:23]
	s_cbranch_execz .LBB595_29
; %bb.28:
	v_lshlrev_b32_e32 v16, 2, v27
	v_add_co_u32_e64 v16, s[24:25], v2, v16
	v_addc_co_u32_e64 v17, s[24:25], 0, v3, s[24:25]
	flat_load_dword v16, v[16:17]
.LBB595_29:
	s_or_b64 exec, exec, s[26:27]
	v_or_b32_e32 v28, 0xb00, v0
	v_cmp_gt_u32_e64 s[24:25], s33, v28
                                        ; implicit-def: $vgpr17
	s_and_saveexec_b64 s[28:29], s[24:25]
	s_cbranch_execz .LBB595_31
; %bb.30:
	v_lshlrev_b32_e32 v17, 2, v28
	v_add_co_u32_e64 v18, s[26:27], v2, v17
	v_addc_co_u32_e64 v19, s[26:27], 0, v3, s[26:27]
	flat_load_dword v17, v[18:19]
.LBB595_31:
	s_or_b64 exec, exec, s[28:29]
	v_or_b32_e32 v29, 0xc00, v0
	v_cmp_gt_u32_e64 s[26:27], s33, v29
                                        ; implicit-def: $vgpr18
	s_and_saveexec_b64 s[30:31], s[26:27]
	s_cbranch_execz .LBB595_33
; %bb.32:
	v_lshlrev_b32_e32 v18, 2, v29
	v_add_co_u32_e64 v18, s[28:29], v2, v18
	v_addc_co_u32_e64 v19, s[28:29], 0, v3, s[28:29]
	flat_load_dword v18, v[18:19]
.LBB595_33:
	s_or_b64 exec, exec, s[30:31]
	v_or_b32_e32 v30, 0xd00, v0
	v_cmp_gt_u32_e64 s[28:29], s33, v30
                                        ; implicit-def: $vgpr19
	s_and_saveexec_b64 s[34:35], s[28:29]
	s_cbranch_execz .LBB595_35
; %bb.34:
	v_lshlrev_b32_e32 v19, 2, v30
	v_add_co_u32_e64 v20, s[30:31], v2, v19
	v_addc_co_u32_e64 v21, s[30:31], 0, v3, s[30:31]
	flat_load_dword v19, v[20:21]
.LBB595_35:
	s_or_b64 exec, exec, s[34:35]
	v_or_b32_e32 v31, 0xe00, v0
	v_cmp_gt_u32_e64 s[30:31], s33, v31
                                        ; implicit-def: $vgpr20
	s_and_saveexec_b64 s[38:39], s[30:31]
	s_cbranch_execz .LBB595_37
; %bb.36:
	v_lshlrev_b32_e32 v20, 2, v31
	v_add_co_u32_e64 v20, s[34:35], v2, v20
	v_addc_co_u32_e64 v21, s[34:35], 0, v3, s[34:35]
	flat_load_dword v20, v[20:21]
.LBB595_37:
	s_or_b64 exec, exec, s[38:39]
	v_lshlrev_b32_e32 v32, 2, v0
	s_waitcnt vmcnt(0) lgkmcnt(0)
	ds_write2st64_b32 v32, v1, v6 offset1:4
	ds_write2st64_b32 v32, v8, v9 offset0:8 offset1:12
	ds_write2st64_b32 v32, v10, v11 offset0:16 offset1:20
	;; [unrolled: 1-line block ×6, first 2 shown]
	ds_write_b32 v32, v20 offset:14336
	v_mad_u32_u24 v6, v0, 56, v32
	s_waitcnt lgkmcnt(0)
	s_barrier
	ds_read2_b32 v[20:21], v6 offset1:1
	ds_read2_b32 v[18:19], v6 offset0:2 offset1:3
	ds_read2_b32 v[16:17], v6 offset0:4 offset1:5
	;; [unrolled: 1-line block ×6, first 2 shown]
	ds_read_b32 v1, v6 offset:56
	s_waitcnt lgkmcnt(0)
	s_barrier
	s_waitcnt lgkmcnt(0)
                                        ; implicit-def: $vgpr33
	s_and_saveexec_b64 s[34:35], vcc
	s_cbranch_execnz .LBB595_61
; %bb.38:
	s_or_b64 exec, exec, s[34:35]
                                        ; implicit-def: $vgpr34
	s_and_saveexec_b64 s[34:35], s[4:5]
	s_cbranch_execnz .LBB595_62
.LBB595_39:
	s_or_b64 exec, exec, s[34:35]
                                        ; implicit-def: $vgpr35
	s_and_saveexec_b64 s[4:5], s[6:7]
	s_cbranch_execnz .LBB595_63
.LBB595_40:
	s_or_b64 exec, exec, s[4:5]
                                        ; implicit-def: $vgpr36
	s_and_saveexec_b64 s[4:5], s[8:9]
	s_cbranch_execnz .LBB595_64
.LBB595_41:
	s_or_b64 exec, exec, s[4:5]
                                        ; implicit-def: $vgpr37
	s_and_saveexec_b64 s[4:5], s[10:11]
	s_cbranch_execnz .LBB595_65
.LBB595_42:
	s_or_b64 exec, exec, s[4:5]
                                        ; implicit-def: $vgpr7
	s_and_saveexec_b64 s[4:5], s[12:13]
	s_cbranch_execnz .LBB595_66
.LBB595_43:
	s_or_b64 exec, exec, s[4:5]
                                        ; implicit-def: $vgpr22
	s_and_saveexec_b64 s[4:5], s[14:15]
	s_cbranch_execnz .LBB595_67
.LBB595_44:
	s_or_b64 exec, exec, s[4:5]
                                        ; implicit-def: $vgpr23
	s_and_saveexec_b64 s[4:5], s[16:17]
	s_cbranch_execnz .LBB595_68
.LBB595_45:
	s_or_b64 exec, exec, s[4:5]
                                        ; implicit-def: $vgpr24
	s_and_saveexec_b64 s[4:5], s[18:19]
	s_cbranch_execnz .LBB595_69
.LBB595_46:
	s_or_b64 exec, exec, s[4:5]
                                        ; implicit-def: $vgpr25
	s_and_saveexec_b64 s[4:5], s[20:21]
	s_cbranch_execnz .LBB595_70
.LBB595_47:
	s_or_b64 exec, exec, s[4:5]
                                        ; implicit-def: $vgpr38
	s_and_saveexec_b64 s[4:5], s[22:23]
	s_cbranch_execnz .LBB595_71
.LBB595_48:
	s_or_b64 exec, exec, s[4:5]
                                        ; implicit-def: $vgpr27
	s_and_saveexec_b64 s[4:5], s[24:25]
	s_cbranch_execnz .LBB595_72
.LBB595_49:
	s_or_b64 exec, exec, s[4:5]
                                        ; implicit-def: $vgpr28
	s_and_saveexec_b64 s[4:5], s[26:27]
	s_cbranch_execnz .LBB595_73
.LBB595_50:
	s_or_b64 exec, exec, s[4:5]
                                        ; implicit-def: $vgpr29
	s_and_saveexec_b64 s[4:5], s[28:29]
	s_cbranch_execnz .LBB595_74
.LBB595_51:
	s_or_b64 exec, exec, s[4:5]
                                        ; implicit-def: $vgpr30
	s_and_saveexec_b64 s[4:5], s[30:31]
	s_cbranch_execz .LBB595_53
.LBB595_52:
	v_lshlrev_b32_e32 v26, 2, v31
	v_add_co_u32_e32 v4, vcc, v4, v26
	v_addc_co_u32_e32 v5, vcc, 0, v5, vcc
	flat_load_dword v30, v[4:5]
.LBB595_53:
	s_or_b64 exec, exec, s[4:5]
	v_mul_u32_u24_e32 v26, 15, v0
	s_waitcnt vmcnt(0) lgkmcnt(0)
	ds_write2st64_b32 v32, v33, v34 offset1:4
	ds_write2st64_b32 v32, v35, v36 offset0:8 offset1:12
	ds_write2st64_b32 v32, v37, v7 offset0:16 offset1:20
	;; [unrolled: 1-line block ×6, first 2 shown]
	ds_write_b32 v32, v30 offset:14336
	s_waitcnt lgkmcnt(0)
	s_barrier
.LBB595_54:
	v_lshlrev_b32_e32 v4, 2, v26
	ds_read2_b32 v[46:47], v6 offset1:2
	ds_read2_b32 v[42:43], v6 offset0:4 offset1:6
	ds_read2_b32 v[38:39], v6 offset0:8 offset1:10
	;; [unrolled: 1-line block ×6, first 2 shown]
	ds_read_b32 v81, v4 offset:52
	s_cmp_eq_u64 s[40:41], 0
	s_cselect_b64 s[38:39], -1, 0
	s_cmp_lg_u64 s[40:41], 0
	s_mov_b64 s[4:5], 0
	s_cselect_b64 s[10:11], -1, 0
	s_and_b64 vcc, exec, s[48:49]
	s_waitcnt lgkmcnt(0)
	s_barrier
	s_cbranch_vccz .LBB595_60
; %bb.55:
	s_and_b64 vcc, exec, s[10:11]
	s_cbranch_vccz .LBB595_75
; %bb.56:
	v_add_co_u32_e32 v4, vcc, -4, v2
	v_addc_co_u32_e32 v5, vcc, -1, v3, vcc
	flat_load_dword v4, v[4:5]
	v_lshlrev_b32_e32 v5, 2, v0
	ds_write_b32 v5, v1
	s_waitcnt lgkmcnt(0)
	s_barrier
	s_and_saveexec_b64 s[4:5], s[2:3]
	s_cbranch_execz .LBB595_58
; %bb.57:
	s_waitcnt vmcnt(0)
	v_add_u32_e32 v4, -4, v5
	ds_read_b32 v4, v4
.LBB595_58:
	s_or_b64 exec, exec, s[4:5]
	s_mov_b32 s4, 0x66666667
	v_mul_hi_i32 v5, v9, s4
	v_lshrrev_b32_e32 v6, 31, v5
	v_ashrrev_i32_e32 v5, 2, v5
	v_add_u32_e32 v5, v5, v6
	v_mul_hi_i32 v6, v8, s4
	v_lshrrev_b32_e32 v7, 31, v6
	v_ashrrev_i32_e32 v6, 2, v6
	v_add_u32_e32 v6, v6, v7
	;; [unrolled: 4-line block ×15, first 2 shown]
	v_cmp_ne_u32_e32 vcc, v31, v34
	v_cndmask_b32_e64 v35, 0, 1, vcc
	v_cmp_ne_u32_e32 vcc, v31, v33
	v_cndmask_b32_e64 v32, 0, 1, vcc
	;; [unrolled: 2-line block ×12, first 2 shown]
	v_cmp_ne_u32_e32 vcc, v5, v6
	s_waitcnt vmcnt(0) lgkmcnt(0)
	v_mul_hi_i32 v4, v4, s4
	v_cndmask_b32_e64 v23, 0, 1, vcc
	v_cmp_ne_u32_e32 vcc, v5, v7
	v_lshrrev_b32_e32 v5, 31, v4
	v_ashrrev_i32_e32 v4, 2, v4
	v_add_u32_e32 v4, v4, v5
	v_cndmask_b32_e64 v80, 0, 1, vcc
	v_cmp_ne_u32_e64 s[8:9], v4, v34
	s_mov_b64 s[4:5], -1
.LBB595_59:
                                        ; implicit-def: $sgpr12
	s_branch .LBB595_114
.LBB595_60:
                                        ; implicit-def: $sgpr8_sgpr9
                                        ; implicit-def: $vgpr80
                                        ; implicit-def: $vgpr23
                                        ; implicit-def: $vgpr22
                                        ; implicit-def: $vgpr25
                                        ; implicit-def: $vgpr24
                                        ; implicit-def: $vgpr27
                                        ; implicit-def: $vgpr26
                                        ; implicit-def: $vgpr29
                                        ; implicit-def: $vgpr28
                                        ; implicit-def: $vgpr31
                                        ; implicit-def: $vgpr30
                                        ; implicit-def: $vgpr33
                                        ; implicit-def: $vgpr32
                                        ; implicit-def: $vgpr35
                                        ; implicit-def: $sgpr12
	s_cbranch_execnz .LBB595_79
	s_branch .LBB595_114
.LBB595_61:
	v_add_co_u32_e32 v34, vcc, v4, v32
	v_addc_co_u32_e32 v35, vcc, 0, v5, vcc
	flat_load_dword v33, v[34:35]
	s_or_b64 exec, exec, s[34:35]
                                        ; implicit-def: $vgpr34
	s_and_saveexec_b64 s[34:35], s[4:5]
	s_cbranch_execz .LBB595_39
.LBB595_62:
	v_add_co_u32_e32 v34, vcc, v4, v32
	v_addc_co_u32_e32 v35, vcc, 0, v5, vcc
	flat_load_dword v34, v[34:35] offset:1024
	s_or_b64 exec, exec, s[34:35]
                                        ; implicit-def: $vgpr35
	s_and_saveexec_b64 s[4:5], s[6:7]
	s_cbranch_execz .LBB595_40
.LBB595_63:
	v_add_co_u32_e32 v36, vcc, v4, v32
	v_addc_co_u32_e32 v37, vcc, 0, v5, vcc
	flat_load_dword v35, v[36:37] offset:2048
	s_or_b64 exec, exec, s[4:5]
                                        ; implicit-def: $vgpr36
	s_and_saveexec_b64 s[4:5], s[8:9]
	s_cbranch_execz .LBB595_41
.LBB595_64:
	v_add_co_u32_e32 v36, vcc, v4, v32
	v_addc_co_u32_e32 v37, vcc, 0, v5, vcc
	flat_load_dword v36, v[36:37] offset:3072
	s_or_b64 exec, exec, s[4:5]
                                        ; implicit-def: $vgpr37
	s_and_saveexec_b64 s[4:5], s[10:11]
	s_cbranch_execz .LBB595_42
.LBB595_65:
	v_lshlrev_b32_e32 v7, 2, v7
	v_add_co_u32_e32 v38, vcc, v4, v7
	v_addc_co_u32_e32 v39, vcc, 0, v5, vcc
	flat_load_dword v37, v[38:39]
	s_or_b64 exec, exec, s[4:5]
                                        ; implicit-def: $vgpr7
	s_and_saveexec_b64 s[4:5], s[12:13]
	s_cbranch_execz .LBB595_43
.LBB595_66:
	v_lshlrev_b32_e32 v7, 2, v22
	v_add_co_u32_e32 v38, vcc, v4, v7
	v_addc_co_u32_e32 v39, vcc, 0, v5, vcc
	flat_load_dword v7, v[38:39]
	s_or_b64 exec, exec, s[4:5]
                                        ; implicit-def: $vgpr22
	s_and_saveexec_b64 s[4:5], s[14:15]
	s_cbranch_execz .LBB595_44
.LBB595_67:
	v_lshlrev_b32_e32 v22, 2, v23
	v_add_co_u32_e32 v22, vcc, v4, v22
	v_addc_co_u32_e32 v23, vcc, 0, v5, vcc
	flat_load_dword v22, v[22:23]
	s_or_b64 exec, exec, s[4:5]
                                        ; implicit-def: $vgpr23
	s_and_saveexec_b64 s[4:5], s[16:17]
	s_cbranch_execz .LBB595_45
.LBB595_68:
	v_lshlrev_b32_e32 v23, 2, v24
	v_add_co_u32_e32 v38, vcc, v4, v23
	v_addc_co_u32_e32 v39, vcc, 0, v5, vcc
	flat_load_dword v23, v[38:39]
	s_or_b64 exec, exec, s[4:5]
                                        ; implicit-def: $vgpr24
	s_and_saveexec_b64 s[4:5], s[18:19]
	s_cbranch_execz .LBB595_46
.LBB595_69:
	v_lshlrev_b32_e32 v24, 2, v25
	v_add_co_u32_e32 v24, vcc, v4, v24
	v_addc_co_u32_e32 v25, vcc, 0, v5, vcc
	flat_load_dword v24, v[24:25]
	s_or_b64 exec, exec, s[4:5]
                                        ; implicit-def: $vgpr25
	s_and_saveexec_b64 s[4:5], s[20:21]
	s_cbranch_execz .LBB595_47
.LBB595_70:
	v_lshlrev_b32_e32 v25, 2, v26
	v_add_co_u32_e32 v38, vcc, v4, v25
	v_addc_co_u32_e32 v39, vcc, 0, v5, vcc
	flat_load_dword v25, v[38:39]
	s_or_b64 exec, exec, s[4:5]
                                        ; implicit-def: $vgpr38
	s_and_saveexec_b64 s[4:5], s[22:23]
	s_cbranch_execz .LBB595_48
.LBB595_71:
	v_lshlrev_b32_e32 v26, 2, v27
	v_add_co_u32_e32 v26, vcc, v4, v26
	v_addc_co_u32_e32 v27, vcc, 0, v5, vcc
	flat_load_dword v38, v[26:27]
	s_or_b64 exec, exec, s[4:5]
                                        ; implicit-def: $vgpr27
	s_and_saveexec_b64 s[4:5], s[24:25]
	s_cbranch_execz .LBB595_49
.LBB595_72:
	v_lshlrev_b32_e32 v26, 2, v28
	v_add_co_u32_e32 v26, vcc, v4, v26
	v_addc_co_u32_e32 v27, vcc, 0, v5, vcc
	flat_load_dword v27, v[26:27]
	s_or_b64 exec, exec, s[4:5]
                                        ; implicit-def: $vgpr28
	s_and_saveexec_b64 s[4:5], s[26:27]
	s_cbranch_execz .LBB595_50
.LBB595_73:
	v_lshlrev_b32_e32 v26, 2, v29
	v_add_co_u32_e32 v28, vcc, v4, v26
	v_addc_co_u32_e32 v29, vcc, 0, v5, vcc
	flat_load_dword v28, v[28:29]
	s_or_b64 exec, exec, s[4:5]
                                        ; implicit-def: $vgpr29
	s_and_saveexec_b64 s[4:5], s[28:29]
	s_cbranch_execz .LBB595_51
.LBB595_74:
	v_lshlrev_b32_e32 v26, 2, v30
	v_add_co_u32_e32 v40, vcc, v4, v26
	v_addc_co_u32_e32 v41, vcc, 0, v5, vcc
	flat_load_dword v29, v[40:41]
	s_or_b64 exec, exec, s[4:5]
                                        ; implicit-def: $vgpr30
	s_and_saveexec_b64 s[4:5], s[30:31]
	s_cbranch_execnz .LBB595_52
	s_branch .LBB595_53
.LBB595_75:
                                        ; implicit-def: $sgpr8_sgpr9
                                        ; implicit-def: $vgpr80
                                        ; implicit-def: $vgpr23
                                        ; implicit-def: $vgpr22
                                        ; implicit-def: $vgpr25
                                        ; implicit-def: $vgpr24
                                        ; implicit-def: $vgpr27
                                        ; implicit-def: $vgpr26
                                        ; implicit-def: $vgpr29
                                        ; implicit-def: $vgpr28
                                        ; implicit-def: $vgpr31
                                        ; implicit-def: $vgpr30
                                        ; implicit-def: $vgpr33
                                        ; implicit-def: $vgpr32
                                        ; implicit-def: $vgpr35
	s_cbranch_execz .LBB595_59
; %bb.76:
	s_mov_b32 s12, 0x66666667
	v_mul_hi_i32 v5, v9, s12
	v_lshrrev_b32_e32 v6, 31, v5
	v_ashrrev_i32_e32 v5, 2, v5
	v_add_u32_e32 v6, v5, v6
	v_mul_hi_i32 v5, v8, s12
	v_lshrrev_b32_e32 v7, 31, v5
	v_ashrrev_i32_e32 v5, 2, v5
	v_add_u32_e32 v7, v5, v7
	;; [unrolled: 4-line block ×15, first 2 shown]
	v_cmp_ne_u32_e32 vcc, v31, v5
	v_cndmask_b32_e64 v35, 0, 1, vcc
	v_cmp_ne_u32_e32 vcc, v31, v33
	v_cndmask_b32_e64 v32, 0, 1, vcc
	;; [unrolled: 2-line block ×13, first 2 shown]
	v_cmp_ne_u32_e32 vcc, v6, v34
	v_lshlrev_b32_e32 v4, 2, v0
	v_cndmask_b32_e64 v80, 0, 1, vcc
	ds_write_b32 v4, v1
	s_waitcnt lgkmcnt(0)
	s_barrier
	s_waitcnt lgkmcnt(0)
                                        ; implicit-def: $sgpr8_sgpr9
	s_and_saveexec_b64 s[6:7], s[2:3]
	s_xor_b64 s[6:7], exec, s[6:7]
	s_cbranch_execz .LBB595_78
; %bb.77:
	v_add_u32_e32 v4, -4, v4
	ds_read_b32 v4, v4
	s_or_b64 s[4:5], s[4:5], exec
	s_waitcnt lgkmcnt(0)
	v_mul_hi_i32 v4, v4, s12
	v_lshrrev_b32_e32 v6, 31, v4
	v_ashrrev_i32_e32 v4, 2, v4
	v_add_u32_e32 v4, v4, v6
	v_cmp_ne_u32_e32 vcc, v4, v5
	s_and_b64 s[8:9], vcc, exec
.LBB595_78:
	s_or_b64 exec, exec, s[6:7]
	s_mov_b32 s12, 1
	s_branch .LBB595_114
.LBB595_79:
	s_mul_hi_u32 s7, s40, 0xfffff100
	s_mul_i32 s6, s41, 0xfffff100
	s_sub_i32 s7, s7, s40
	s_add_i32 s7, s7, s6
	s_mul_i32 s6, s40, 0xfffff100
	s_add_u32 s6, s6, s56
	s_addc_u32 s7, s7, s57
	s_and_b64 vcc, exec, s[10:11]
	s_cbranch_vccz .LBB595_223
; %bb.80:
	v_add_co_u32_e32 v2, vcc, -4, v2
	v_addc_co_u32_e32 v3, vcc, -1, v3, vcc
	flat_load_dword v4, v[2:3]
	v_mad_u32_u24 v22, v0, 15, 14
	v_mov_b32_e32 v23, 0
	v_lshlrev_b32_e32 v3, 2, v0
	v_mul_u32_u24_e32 v2, 15, v0
	v_cmp_gt_u64_e32 vcc, s[6:7], v[22:23]
	v_mov_b32_e32 v80, 0
	ds_write_b32 v3, v1
	s_and_saveexec_b64 s[4:5], vcc
; %bb.81:
	s_mov_b32 s8, 0x66666667
	v_mul_hi_i32 v5, v9, s8
	v_lshrrev_b32_e32 v6, 31, v5
	v_ashrrev_i32_e32 v5, 2, v5
	v_add_u32_e32 v5, v5, v6
	v_mul_hi_i32 v6, v1, s8
	v_lshrrev_b32_e32 v7, 31, v6
	v_ashrrev_i32_e32 v6, 2, v6
	v_add_u32_e32 v6, v6, v7
	v_cmp_ne_u32_e32 vcc, v5, v6
	v_cndmask_b32_e64 v80, 0, 1, vcc
; %bb.82:
	s_or_b64 exec, exec, s[4:5]
	v_add_u32_e32 v22, 13, v2
	v_cmp_gt_u64_e32 vcc, s[6:7], v[22:23]
	s_and_saveexec_b64 s[4:5], vcc
; %bb.83:
	s_mov_b32 s8, 0x66666667
	v_mul_hi_i32 v5, v8, s8
	v_lshrrev_b32_e32 v6, 31, v5
	v_ashrrev_i32_e32 v5, 2, v5
	v_add_u32_e32 v5, v5, v6
	v_mul_hi_i32 v6, v9, s8
	v_lshrrev_b32_e32 v7, 31, v6
	v_ashrrev_i32_e32 v6, 2, v6
	v_add_u32_e32 v6, v6, v7
	v_cmp_ne_u32_e32 vcc, v5, v6
	v_cndmask_b32_e64 v23, 0, 1, vcc
; %bb.84:
	s_or_b64 exec, exec, s[4:5]
	v_add_u32_e32 v24, 12, v2
	v_mov_b32_e32 v25, 0
	v_cmp_gt_u64_e32 vcc, s[6:7], v[24:25]
	v_mov_b32_e32 v22, 0
	s_and_saveexec_b64 s[4:5], vcc
; %bb.85:
	s_mov_b32 s8, 0x66666667
	v_mul_hi_i32 v5, v11, s8
	v_lshrrev_b32_e32 v6, 31, v5
	v_ashrrev_i32_e32 v5, 2, v5
	v_add_u32_e32 v5, v5, v6
	v_mul_hi_i32 v6, v8, s8
	v_lshrrev_b32_e32 v7, 31, v6
	v_ashrrev_i32_e32 v6, 2, v6
	v_add_u32_e32 v6, v6, v7
	v_cmp_ne_u32_e32 vcc, v5, v6
	v_cndmask_b32_e64 v22, 0, 1, vcc
; %bb.86:
	s_or_b64 exec, exec, s[4:5]
	v_add_u32_e32 v24, 11, v2
	v_cmp_gt_u64_e32 vcc, s[6:7], v[24:25]
	s_and_saveexec_b64 s[4:5], vcc
; %bb.87:
	s_mov_b32 s8, 0x66666667
	v_mul_hi_i32 v5, v10, s8
	v_lshrrev_b32_e32 v6, 31, v5
	v_ashrrev_i32_e32 v5, 2, v5
	v_add_u32_e32 v5, v5, v6
	v_mul_hi_i32 v6, v11, s8
	v_lshrrev_b32_e32 v7, 31, v6
	v_ashrrev_i32_e32 v6, 2, v6
	v_add_u32_e32 v6, v6, v7
	v_cmp_ne_u32_e32 vcc, v5, v6
	v_cndmask_b32_e64 v25, 0, 1, vcc
; %bb.88:
	s_or_b64 exec, exec, s[4:5]
	v_add_u32_e32 v26, 10, v2
	v_mov_b32_e32 v27, 0
	v_cmp_gt_u64_e32 vcc, s[6:7], v[26:27]
	v_mov_b32_e32 v24, 0
	;; [unrolled: 36-line block ×6, first 2 shown]
	s_and_saveexec_b64 s[4:5], vcc
; %bb.105:
	s_mov_b32 s8, 0x66666667
	v_mul_hi_i32 v5, v21, s8
	v_lshrrev_b32_e32 v6, 31, v5
	v_ashrrev_i32_e32 v5, 2, v5
	v_add_u32_e32 v5, v5, v6
	v_mul_hi_i32 v6, v18, s8
	v_lshrrev_b32_e32 v7, 31, v6
	v_ashrrev_i32_e32 v6, 2, v6
	v_add_u32_e32 v6, v6, v7
	v_cmp_ne_u32_e32 vcc, v5, v6
	v_cndmask_b32_e64 v32, 0, 1, vcc
; %bb.106:
	s_or_b64 exec, exec, s[4:5]
	v_add_u32_e32 v34, 1, v2
	v_cmp_gt_u64_e32 vcc, s[6:7], v[34:35]
	s_and_saveexec_b64 s[4:5], vcc
; %bb.107:
	s_mov_b32 s8, 0x66666667
	v_mul_hi_i32 v5, v20, s8
	v_lshrrev_b32_e32 v6, 31, v5
	v_ashrrev_i32_e32 v5, 2, v5
	v_add_u32_e32 v5, v5, v6
	v_mul_hi_i32 v6, v21, s8
	v_lshrrev_b32_e32 v7, 31, v6
	v_ashrrev_i32_e32 v6, 2, v6
	v_add_u32_e32 v6, v6, v7
	v_cmp_ne_u32_e32 vcc, v5, v6
	v_cndmask_b32_e64 v35, 0, 1, vcc
; %bb.108:
	s_or_b64 exec, exec, s[4:5]
	s_waitcnt lgkmcnt(0)
	s_barrier
	s_and_saveexec_b64 s[4:5], s[2:3]
	s_cbranch_execz .LBB595_110
; %bb.109:
	v_add_u32_e32 v3, -4, v3
	s_waitcnt vmcnt(0)
	ds_read_b32 v4, v3
.LBB595_110:
	s_or_b64 exec, exec, s[4:5]
	v_mov_b32_e32 v3, 0
	v_cmp_gt_u64_e32 vcc, s[6:7], v[2:3]
	s_mov_b64 s[10:11], 0
	s_mov_b64 s[8:9], 0
	s_and_saveexec_b64 s[4:5], vcc
	s_cbranch_execz .LBB595_112
; %bb.111:
	s_mov_b32 s8, 0x66666667
	s_waitcnt vmcnt(0) lgkmcnt(0)
	v_mul_hi_i32 v2, v4, s8
	v_lshrrev_b32_e32 v3, 31, v2
	v_ashrrev_i32_e32 v2, 2, v2
	v_add_u32_e32 v2, v2, v3
	v_mul_hi_i32 v3, v20, s8
	v_lshrrev_b32_e32 v4, 31, v3
	v_ashrrev_i32_e32 v3, 2, v3
	v_add_u32_e32 v3, v3, v4
	v_cmp_ne_u32_e32 vcc, v2, v3
	s_and_b64 s[8:9], vcc, exec
.LBB595_112:
	s_or_b64 exec, exec, s[4:5]
	s_mov_b64 s[4:5], -1
	s_and_b64 vcc, exec, s[10:11]
	s_cbranch_vccnz .LBB595_224
.LBB595_113:
                                        ; implicit-def: $sgpr12
.LBB595_114:
	v_mov_b32_e32 v82, s12
	s_and_saveexec_b64 s[2:3], s[4:5]
.LBB595_115:
	v_cndmask_b32_e64 v82, 0, 1, s[8:9]
.LBB595_116:
	s_or_b64 exec, exec, s[2:3]
	s_cmp_eq_u64 s[46:47], 0
	v_add3_u32 v2, v35, v82, v32
	s_cselect_b64 s[34:35], -1, 0
	s_cmp_lg_u32 s62, 0
	v_cmp_eq_u32_e64 s[26:27], 0, v35
	v_cmp_eq_u32_e64 s[24:25], 0, v32
	;; [unrolled: 1-line block ×3, first 2 shown]
	v_add3_u32 v86, v2, v33, v30
	v_cmp_eq_u32_e64 s[20:21], 0, v30
	v_cmp_eq_u32_e64 s[18:19], 0, v31
	;; [unrolled: 1-line block ×10, first 2 shown]
	v_cmp_eq_u32_e32 vcc, 0, v80
	v_mbcnt_lo_u32_b32 v85, -1, 0
	v_lshrrev_b32_e32 v83, 6, v0
	v_or_b32_e32 v84, 63, v0
	s_cbranch_scc0 .LBB595_147
; %bb.117:
	v_cndmask_b32_e64 v2, 0, v46, s[26:27]
	v_add_u32_e32 v2, v2, v48
	v_cndmask_b32_e64 v2, 0, v2, s[24:25]
	v_add_u32_e32 v2, v2, v47
	;; [unrolled: 2-line block ×11, first 2 shown]
	v_cndmask_b32_e64 v2, 0, v2, s[4:5]
	v_add3_u32 v3, v86, v31, v28
	v_add_u32_e32 v2, v2, v36
	v_add3_u32 v3, v3, v29, v26
	v_cndmask_b32_e64 v2, 0, v2, s[2:3]
	v_add3_u32 v3, v3, v27, v24
	v_add_u32_e32 v2, v2, v81
	v_add3_u32 v3, v3, v25, v22
	v_cndmask_b32_e32 v2, 0, v2, vcc
	v_add3_u32 v3, v3, v23, v80
	v_add_u32_e32 v2, v2, v37
	v_mbcnt_hi_u32_b32 v53, -1, v85
	s_waitcnt vmcnt(0) lgkmcnt(0)
	v_and_b32_e32 v4, 15, v53
	v_mov_b32_dpp v6, v2 row_shr:1 row_mask:0xf bank_mask:0xf
	v_cmp_eq_u32_e32 vcc, 0, v3
	v_mov_b32_dpp v5, v3 row_shr:1 row_mask:0xf bank_mask:0xf
	v_cndmask_b32_e32 v6, 0, v6, vcc
	v_cmp_eq_u32_e32 vcc, 0, v4
	v_cndmask_b32_e64 v5, v5, 0, vcc
	v_add_u32_e32 v3, v5, v3
	v_cndmask_b32_e64 v5, v6, 0, vcc
	v_add_u32_e32 v2, v5, v2
	v_cmp_eq_u32_e32 vcc, 0, v3
	v_mov_b32_dpp v5, v3 row_shr:2 row_mask:0xf bank_mask:0xf
	v_cmp_lt_u32_e64 s[28:29], 1, v4
	v_mov_b32_dpp v6, v2 row_shr:2 row_mask:0xf bank_mask:0xf
	v_cndmask_b32_e64 v5, 0, v5, s[28:29]
	s_and_b64 vcc, s[28:29], vcc
	v_cndmask_b32_e32 v6, 0, v6, vcc
	v_add_u32_e32 v3, v3, v5
	v_add_u32_e32 v2, v6, v2
	v_cmp_eq_u32_e32 vcc, 0, v3
	v_mov_b32_dpp v5, v3 row_shr:4 row_mask:0xf bank_mask:0xf
	v_cmp_lt_u32_e64 s[28:29], 3, v4
	v_mov_b32_dpp v6, v2 row_shr:4 row_mask:0xf bank_mask:0xf
	v_cndmask_b32_e64 v5, 0, v5, s[28:29]
	s_and_b64 vcc, s[28:29], vcc
	v_cndmask_b32_e32 v6, 0, v6, vcc
	v_add_u32_e32 v3, v5, v3
	v_add_u32_e32 v2, v2, v6
	v_cmp_eq_u32_e32 vcc, 0, v3
	v_cmp_lt_u32_e64 s[28:29], 7, v4
	v_mov_b32_dpp v5, v3 row_shr:8 row_mask:0xf bank_mask:0xf
	v_mov_b32_dpp v6, v2 row_shr:8 row_mask:0xf bank_mask:0xf
	s_and_b64 vcc, s[28:29], vcc
	v_cndmask_b32_e64 v4, 0, v5, s[28:29]
	v_cndmask_b32_e32 v5, 0, v6, vcc
	v_add_u32_e32 v2, v5, v2
	v_add_u32_e32 v3, v4, v3
	v_bfe_i32 v6, v53, 4, 1
	v_mov_b32_dpp v5, v2 row_bcast:15 row_mask:0xf bank_mask:0xf
	v_mov_b32_dpp v4, v3 row_bcast:15 row_mask:0xf bank_mask:0xf
	v_cmp_eq_u32_e32 vcc, 0, v3
	v_cndmask_b32_e32 v5, 0, v5, vcc
	v_and_b32_e32 v4, v6, v4
	v_add_u32_e32 v3, v4, v3
	v_and_b32_e32 v4, v6, v5
	v_add_u32_e32 v4, v4, v2
	v_mov_b32_dpp v2, v3 row_bcast:31 row_mask:0xf bank_mask:0xf
	v_cmp_eq_u32_e32 vcc, 0, v3
	v_cmp_lt_u32_e64 s[28:29], 31, v53
	v_mov_b32_dpp v5, v4 row_bcast:31 row_mask:0xf bank_mask:0xf
	v_cndmask_b32_e64 v2, 0, v2, s[28:29]
	s_and_b64 vcc, s[28:29], vcc
	v_add_u32_e32 v2, v2, v3
	v_cndmask_b32_e32 v3, 0, v5, vcc
	v_add_u32_e32 v3, v3, v4
	v_cmp_eq_u32_e32 vcc, v84, v0
	v_lshlrev_b32_e32 v4, 3, v83
	s_and_saveexec_b64 s[28:29], vcc
	s_cbranch_execz .LBB595_119
; %bb.118:
	ds_write_b64 v4, v[2:3] offset:2064
.LBB595_119:
	s_or_b64 exec, exec, s[28:29]
	v_cmp_gt_u32_e32 vcc, 4, v0
	s_waitcnt lgkmcnt(0)
	s_barrier
	s_and_saveexec_b64 s[30:31], vcc
	s_cbranch_execz .LBB595_121
; %bb.120:
	v_lshlrev_b32_e32 v5, 3, v0
	ds_read_b64 v[6:7], v5 offset:2064
	v_and_b32_e32 v34, 3, v53
	v_cmp_lt_u32_e64 s[28:29], 1, v34
	s_waitcnt lgkmcnt(0)
	v_mov_b32_dpp v51, v7 row_shr:1 row_mask:0xf bank_mask:0xf
	v_cmp_eq_u32_e32 vcc, 0, v6
	v_mov_b32_dpp v50, v6 row_shr:1 row_mask:0xf bank_mask:0xf
	v_cndmask_b32_e32 v51, 0, v51, vcc
	v_cmp_eq_u32_e32 vcc, 0, v34
	v_cndmask_b32_e64 v50, v50, 0, vcc
	v_add_u32_e32 v6, v50, v6
	v_cndmask_b32_e64 v50, v51, 0, vcc
	v_add_u32_e32 v7, v50, v7
	v_cmp_eq_u32_e32 vcc, 0, v6
	v_mov_b32_dpp v50, v6 row_shr:2 row_mask:0xf bank_mask:0xf
	v_mov_b32_dpp v51, v7 row_shr:2 row_mask:0xf bank_mask:0xf
	v_cndmask_b32_e64 v34, 0, v50, s[28:29]
	s_and_b64 vcc, s[28:29], vcc
	v_add_u32_e32 v6, v34, v6
	v_cndmask_b32_e32 v34, 0, v51, vcc
	v_add_u32_e32 v7, v34, v7
	ds_write_b64 v5, v[6:7] offset:2064
.LBB595_121:
	s_or_b64 exec, exec, s[30:31]
	v_cmp_gt_u32_e32 vcc, 64, v0
	v_cmp_lt_u32_e64 s[28:29], 63, v0
	v_mov_b32_e32 v50, 0
	v_mov_b32_e32 v51, 0
	s_waitcnt lgkmcnt(0)
	s_barrier
	s_and_saveexec_b64 s[30:31], s[28:29]
	s_cbranch_execz .LBB595_123
; %bb.122:
	ds_read_b64 v[50:51], v4 offset:2056
	v_cmp_eq_u32_e64 s[28:29], 0, v2
	s_waitcnt lgkmcnt(0)
	v_add_u32_e32 v4, v50, v2
	v_cndmask_b32_e64 v2, 0, v51, s[28:29]
	v_add_u32_e32 v3, v2, v3
	v_mov_b32_e32 v2, v4
.LBB595_123:
	s_or_b64 exec, exec, s[30:31]
	v_add_u32_e32 v4, -1, v53
	v_and_b32_e32 v5, 64, v53
	v_cmp_lt_i32_e64 s[28:29], v4, v5
	v_cndmask_b32_e64 v4, v4, v53, s[28:29]
	v_lshlrev_b32_e32 v4, 2, v4
	ds_bpermute_b32 v34, v4, v2
	ds_bpermute_b32 v58, v4, v3
	v_cmp_eq_u32_e64 s[28:29], 0, v53
	s_and_saveexec_b64 s[40:41], vcc
	s_cbranch_execz .LBB595_146
; %bb.124:
	v_mov_b32_e32 v7, 0
	ds_read_b64 v[2:3], v7 offset:2088
	s_waitcnt lgkmcnt(0)
	v_readfirstlane_b32 s48, v2
	v_readfirstlane_b32 s49, v3
	s_and_saveexec_b64 s[30:31], s[28:29]
	s_cbranch_execz .LBB595_126
; %bb.125:
	s_add_i32 s46, s62, 64
	s_mov_b32 s47, 0
	s_lshl_b64 s[50:51], s[46:47], 4
	s_add_u32 s50, s44, s50
	s_addc_u32 s51, s45, s51
	s_and_b32 s57, s49, 0xff000000
	s_mov_b32 s56, s47
	s_and_b32 s65, s49, 0xff0000
	s_mov_b32 s64, s47
	s_or_b64 s[56:57], s[64:65], s[56:57]
	s_and_b32 s65, s49, 0xff00
	s_or_b64 s[56:57], s[56:57], s[64:65]
	s_and_b32 s65, s49, 0xff
	s_or_b64 s[46:47], s[56:57], s[64:65]
	v_mov_b32_e32 v4, s48
	v_mov_b32_e32 v5, s47
	;; [unrolled: 1-line block ×3, first 2 shown]
	v_pk_mov_b32 v[2:3], s[50:51], s[50:51] op_sel:[0,1]
	;;#ASMSTART
	global_store_dwordx4 v[2:3], v[4:7] off	
s_waitcnt vmcnt(0)
	;;#ASMEND
.LBB595_126:
	s_or_b64 exec, exec, s[30:31]
	v_xad_u32 v52, v53, -1, s62
	v_add_u32_e32 v6, 64, v52
	v_lshlrev_b64 v[2:3], 4, v[6:7]
	v_mov_b32_e32 v4, s45
	v_add_co_u32_e32 v54, vcc, s44, v2
	v_addc_co_u32_e32 v55, vcc, v4, v3, vcc
	;;#ASMSTART
	global_load_dwordx4 v[2:5], v[54:55] off glc	
s_waitcnt vmcnt(0)
	;;#ASMEND
	v_and_b32_e32 v5, 0xff, v3
	v_and_b32_e32 v6, 0xff00, v3
	;; [unrolled: 1-line block ×3, first 2 shown]
	v_or3_b32 v5, 0, v5, v6
	v_or3_b32 v2, v2, 0, 0
	v_and_b32_e32 v3, 0xff000000, v3
	v_or3_b32 v3, v5, v56, v3
	v_or3_b32 v2, v2, 0, 0
	v_cmp_eq_u16_sdwa s[46:47], v4, v7 src0_sel:BYTE_0 src1_sel:DWORD
	s_and_saveexec_b64 s[30:31], s[46:47]
	s_cbranch_execz .LBB595_132
; %bb.127:
	s_mov_b32 s50, 1
	s_mov_b64 s[46:47], 0
	v_mov_b32_e32 v6, 0
.LBB595_128:                            ; =>This Loop Header: Depth=1
                                        ;     Child Loop BB595_129 Depth 2
	s_max_u32 s51, s50, 1
.LBB595_129:                            ;   Parent Loop BB595_128 Depth=1
                                        ; =>  This Inner Loop Header: Depth=2
	s_add_i32 s51, s51, -1
	s_cmp_eq_u32 s51, 0
	s_sleep 1
	s_cbranch_scc0 .LBB595_129
; %bb.130:                              ;   in Loop: Header=BB595_128 Depth=1
	s_cmp_lt_u32 s50, 32
	s_cselect_b64 s[56:57], -1, 0
	s_cmp_lg_u64 s[56:57], 0
	s_addc_u32 s50, s50, 0
	;;#ASMSTART
	global_load_dwordx4 v[2:5], v[54:55] off glc	
s_waitcnt vmcnt(0)
	;;#ASMEND
	v_cmp_ne_u16_sdwa s[56:57], v4, v6 src0_sel:BYTE_0 src1_sel:DWORD
	s_or_b64 s[46:47], s[56:57], s[46:47]
	s_andn2_b64 exec, exec, s[46:47]
	s_cbranch_execnz .LBB595_128
; %bb.131:
	s_or_b64 exec, exec, s[46:47]
.LBB595_132:
	s_or_b64 exec, exec, s[30:31]
	v_mov_b32_e32 v59, 2
	v_cmp_eq_u16_sdwa s[30:31], v4, v59 src0_sel:BYTE_0 src1_sel:DWORD
	v_lshlrev_b64 v[54:55], v53, -1
	v_and_b32_e32 v5, s31, v55
	v_and_b32_e32 v60, 63, v53
	v_or_b32_e32 v5, 0x80000000, v5
	v_cmp_ne_u32_e32 vcc, 63, v60
	v_and_b32_e32 v6, s30, v54
	v_ffbl_b32_e32 v5, v5
	v_addc_co_u32_e32 v7, vcc, 0, v53, vcc
	v_add_u32_e32 v5, 32, v5
	v_ffbl_b32_e32 v6, v6
	v_lshlrev_b32_e32 v61, 2, v7
	v_min_u32_e32 v5, v6, v5
	ds_bpermute_b32 v6, v61, v3
	v_cmp_eq_u32_e32 vcc, 0, v2
	v_cmp_lt_u32_e64 s[30:31], v60, v5
	ds_bpermute_b32 v7, v61, v2
	s_and_b64 vcc, s[30:31], vcc
	s_waitcnt lgkmcnt(1)
	v_cndmask_b32_e32 v6, 0, v6, vcc
	v_cmp_gt_u32_e32 vcc, 62, v60
	v_add_u32_e32 v3, v6, v3
	v_cndmask_b32_e64 v6, 0, 1, vcc
	v_lshlrev_b32_e32 v6, 1, v6
	v_add_lshl_u32 v62, v6, v53, 2
	s_waitcnt lgkmcnt(0)
	v_cndmask_b32_e64 v7, 0, v7, s[30:31]
	ds_bpermute_b32 v6, v62, v3
	v_add_u32_e32 v2, v7, v2
	ds_bpermute_b32 v7, v62, v2
	v_add_u32_e32 v63, 2, v60
	v_cmp_eq_u32_e32 vcc, 0, v2
	s_waitcnt lgkmcnt(1)
	v_cndmask_b32_e32 v6, 0, v6, vcc
	v_cmp_gt_u32_e32 vcc, v63, v5
	v_cndmask_b32_e64 v6, v6, 0, vcc
	v_add_u32_e32 v3, v6, v3
	s_waitcnt lgkmcnt(0)
	v_cndmask_b32_e64 v6, v7, 0, vcc
	v_cmp_gt_u32_e32 vcc, 60, v60
	v_cndmask_b32_e64 v7, 0, 1, vcc
	v_lshlrev_b32_e32 v7, 2, v7
	v_add_lshl_u32 v64, v7, v53, 2
	ds_bpermute_b32 v7, v64, v3
	v_add_u32_e32 v2, v2, v6
	ds_bpermute_b32 v6, v64, v2
	v_add_u32_e32 v65, 4, v60
	v_cmp_eq_u32_e32 vcc, 0, v2
	s_waitcnt lgkmcnt(1)
	v_cndmask_b32_e32 v7, 0, v7, vcc
	v_cmp_gt_u32_e32 vcc, v65, v5
	v_cndmask_b32_e64 v7, v7, 0, vcc
	s_waitcnt lgkmcnt(0)
	v_cndmask_b32_e64 v6, v6, 0, vcc
	v_cmp_gt_u32_e32 vcc, 56, v60
	v_add_u32_e32 v3, v3, v7
	v_cndmask_b32_e64 v7, 0, 1, vcc
	v_lshlrev_b32_e32 v7, 3, v7
	v_add_lshl_u32 v66, v7, v53, 2
	ds_bpermute_b32 v7, v66, v3
	v_add_u32_e32 v2, v2, v6
	ds_bpermute_b32 v6, v66, v2
	v_add_u32_e32 v67, 8, v60
	v_cmp_eq_u32_e32 vcc, 0, v2
	s_waitcnt lgkmcnt(1)
	v_cndmask_b32_e32 v7, 0, v7, vcc
	v_cmp_gt_u32_e32 vcc, v67, v5
	v_cndmask_b32_e64 v7, v7, 0, vcc
	s_waitcnt lgkmcnt(0)
	v_cndmask_b32_e64 v6, v6, 0, vcc
	v_cmp_gt_u32_e32 vcc, 48, v60
	v_add_u32_e32 v3, v3, v7
	;; [unrolled: 16-line block ×3, first 2 shown]
	v_cndmask_b32_e64 v7, 0, 1, vcc
	v_lshlrev_b32_e32 v7, 5, v7
	v_add_lshl_u32 v70, v7, v53, 2
	ds_bpermute_b32 v7, v70, v3
	v_add_u32_e32 v2, v2, v6
	ds_bpermute_b32 v6, v70, v2
	v_add_u32_e32 v71, 32, v60
	v_cmp_eq_u32_e32 vcc, 0, v2
	s_waitcnt lgkmcnt(1)
	v_cndmask_b32_e32 v7, 0, v7, vcc
	v_cmp_gt_u32_e32 vcc, v71, v5
	v_cndmask_b32_e64 v5, v7, 0, vcc
	v_add_u32_e32 v3, v5, v3
	s_waitcnt lgkmcnt(0)
	v_cndmask_b32_e64 v5, v6, 0, vcc
	v_add_u32_e32 v2, v5, v2
	v_mov_b32_e32 v53, 0
	s_branch .LBB595_134
.LBB595_133:                            ;   in Loop: Header=BB595_134 Depth=1
	s_or_b64 exec, exec, s[30:31]
	v_cmp_eq_u16_sdwa s[30:31], v4, v59 src0_sel:BYTE_0 src1_sel:DWORD
	v_and_b32_e32 v5, s31, v55
	v_or_b32_e32 v5, 0x80000000, v5
	v_and_b32_e32 v56, s30, v54
	v_ffbl_b32_e32 v5, v5
	v_add_u32_e32 v5, 32, v5
	v_ffbl_b32_e32 v56, v56
	v_min_u32_e32 v5, v56, v5
	ds_bpermute_b32 v56, v61, v3
	v_cmp_eq_u32_e32 vcc, 0, v2
	v_cmp_lt_u32_e64 s[30:31], v60, v5
	ds_bpermute_b32 v57, v61, v2
	s_and_b64 vcc, s[30:31], vcc
	s_waitcnt lgkmcnt(1)
	v_cndmask_b32_e32 v56, 0, v56, vcc
	v_add_u32_e32 v3, v56, v3
	ds_bpermute_b32 v56, v62, v3
	s_waitcnt lgkmcnt(1)
	v_cndmask_b32_e64 v57, 0, v57, s[30:31]
	v_add_u32_e32 v2, v57, v2
	v_cmp_eq_u32_e32 vcc, 0, v2
	ds_bpermute_b32 v57, v62, v2
	s_waitcnt lgkmcnt(1)
	v_cndmask_b32_e32 v56, 0, v56, vcc
	v_cmp_gt_u32_e32 vcc, v63, v5
	v_cndmask_b32_e64 v56, v56, 0, vcc
	v_add_u32_e32 v3, v56, v3
	ds_bpermute_b32 v56, v64, v3
	s_waitcnt lgkmcnt(1)
	v_cndmask_b32_e64 v57, v57, 0, vcc
	v_add_u32_e32 v2, v2, v57
	v_cmp_eq_u32_e32 vcc, 0, v2
	ds_bpermute_b32 v57, v64, v2
	s_waitcnt lgkmcnt(1)
	v_cndmask_b32_e32 v56, 0, v56, vcc
	v_cmp_gt_u32_e32 vcc, v65, v5
	v_cndmask_b32_e64 v56, v56, 0, vcc
	v_add_u32_e32 v3, v3, v56
	ds_bpermute_b32 v56, v66, v3
	s_waitcnt lgkmcnt(1)
	v_cndmask_b32_e64 v57, v57, 0, vcc
	v_add_u32_e32 v2, v2, v57
	ds_bpermute_b32 v57, v66, v2
	v_cmp_eq_u32_e32 vcc, 0, v2
	s_waitcnt lgkmcnt(1)
	v_cndmask_b32_e32 v56, 0, v56, vcc
	v_cmp_gt_u32_e32 vcc, v67, v5
	v_cndmask_b32_e64 v56, v56, 0, vcc
	v_add_u32_e32 v3, v3, v56
	ds_bpermute_b32 v56, v68, v3
	s_waitcnt lgkmcnt(1)
	v_cndmask_b32_e64 v57, v57, 0, vcc
	v_add_u32_e32 v2, v2, v57
	ds_bpermute_b32 v57, v68, v2
	v_cmp_eq_u32_e32 vcc, 0, v2
	;; [unrolled: 11-line block ×3, first 2 shown]
	s_waitcnt lgkmcnt(1)
	v_cndmask_b32_e32 v56, 0, v56, vcc
	v_cmp_gt_u32_e32 vcc, v71, v5
	v_cndmask_b32_e64 v5, v56, 0, vcc
	v_add_u32_e32 v3, v5, v3
	s_waitcnt lgkmcnt(0)
	v_cndmask_b32_e64 v5, v57, 0, vcc
	v_cmp_eq_u32_e32 vcc, 0, v6
	v_cndmask_b32_e32 v3, 0, v3, vcc
	v_subrev_u32_e32 v52, 64, v52
	v_add3_u32 v2, v2, v6, v5
	v_add_u32_e32 v3, v3, v7
.LBB595_134:                            ; =>This Loop Header: Depth=1
                                        ;     Child Loop BB595_137 Depth 2
                                        ;       Child Loop BB595_138 Depth 3
	v_cmp_ne_u16_sdwa s[30:31], v4, v59 src0_sel:BYTE_0 src1_sel:DWORD
	v_mov_b32_e32 v7, v3
	v_cndmask_b32_e64 v3, 0, 1, s[30:31]
	;;#ASMSTART
	;;#ASMEND
	v_cmp_ne_u32_e32 vcc, 0, v3
	s_cmp_lg_u64 vcc, exec
	v_mov_b32_e32 v6, v2
	s_cbranch_scc1 .LBB595_141
; %bb.135:                              ;   in Loop: Header=BB595_134 Depth=1
	v_lshlrev_b64 v[2:3], 4, v[52:53]
	v_mov_b32_e32 v4, s45
	v_add_co_u32_e32 v56, vcc, s44, v2
	v_addc_co_u32_e32 v57, vcc, v4, v3, vcc
	;;#ASMSTART
	global_load_dwordx4 v[2:5], v[56:57] off glc	
s_waitcnt vmcnt(0)
	;;#ASMEND
	v_and_b32_e32 v5, 0xff, v3
	v_and_b32_e32 v72, 0xff00, v3
	;; [unrolled: 1-line block ×3, first 2 shown]
	v_or3_b32 v5, 0, v5, v72
	v_or3_b32 v2, v2, 0, 0
	v_and_b32_e32 v3, 0xff000000, v3
	v_or3_b32 v3, v5, v73, v3
	v_or3_b32 v2, v2, 0, 0
	v_cmp_eq_u16_sdwa s[46:47], v4, v53 src0_sel:BYTE_0 src1_sel:DWORD
	s_and_saveexec_b64 s[30:31], s[46:47]
	s_cbranch_execz .LBB595_133
; %bb.136:                              ;   in Loop: Header=BB595_134 Depth=1
	s_mov_b32 s50, 1
	s_mov_b64 s[46:47], 0
.LBB595_137:                            ;   Parent Loop BB595_134 Depth=1
                                        ; =>  This Loop Header: Depth=2
                                        ;       Child Loop BB595_138 Depth 3
	s_max_u32 s51, s50, 1
.LBB595_138:                            ;   Parent Loop BB595_134 Depth=1
                                        ;     Parent Loop BB595_137 Depth=2
                                        ; =>    This Inner Loop Header: Depth=3
	s_add_i32 s51, s51, -1
	s_cmp_eq_u32 s51, 0
	s_sleep 1
	s_cbranch_scc0 .LBB595_138
; %bb.139:                              ;   in Loop: Header=BB595_137 Depth=2
	s_cmp_lt_u32 s50, 32
	s_cselect_b64 s[56:57], -1, 0
	s_cmp_lg_u64 s[56:57], 0
	s_addc_u32 s50, s50, 0
	;;#ASMSTART
	global_load_dwordx4 v[2:5], v[56:57] off glc	
s_waitcnt vmcnt(0)
	;;#ASMEND
	v_cmp_ne_u16_sdwa s[56:57], v4, v53 src0_sel:BYTE_0 src1_sel:DWORD
	s_or_b64 s[46:47], s[56:57], s[46:47]
	s_andn2_b64 exec, exec, s[46:47]
	s_cbranch_execnz .LBB595_137
; %bb.140:                              ;   in Loop: Header=BB595_134 Depth=1
	s_or_b64 exec, exec, s[46:47]
	s_branch .LBB595_133
.LBB595_141:                            ;   in Loop: Header=BB595_134 Depth=1
                                        ; implicit-def: $vgpr3
                                        ; implicit-def: $vgpr2
                                        ; implicit-def: $vgpr4
	s_cbranch_execz .LBB595_134
; %bb.142:
	s_and_saveexec_b64 s[30:31], s[28:29]
	s_cbranch_execz .LBB595_144
; %bb.143:
	s_cmp_eq_u32 s48, 0
	s_cselect_b64 vcc, -1, 0
	s_mov_b32 s47, 0
	v_cndmask_b32_e32 v2, 0, v7, vcc
	s_add_i32 s46, s62, 64
	v_add_u32_e32 v2, s49, v2
	s_lshl_b64 s[46:47], s[46:47], 4
	s_add_u32 s46, s44, s46
	v_and_b32_e32 v3, 0xff000000, v2
	v_and_b32_e32 v4, 0xff0000, v2
	s_addc_u32 s47, s45, s47
	v_or_b32_e32 v3, v4, v3
	v_and_b32_e32 v4, 0xff00, v2
	v_and_b32_e32 v2, 0xff, v2
	v_add_u32_e32 v52, s48, v6
	v_mov_b32_e32 v55, 0
	v_or3_b32 v53, v3, v4, v2
	v_mov_b32_e32 v54, 2
	v_pk_mov_b32 v[2:3], s[46:47], s[46:47] op_sel:[0,1]
	;;#ASMSTART
	global_store_dwordx4 v[2:3], v[52:55] off	
s_waitcnt vmcnt(0)
	;;#ASMEND
	v_mov_b32_e32 v4, s48
	v_mov_b32_e32 v5, s49
	ds_write_b128 v55, v[4:7] offset:2048
.LBB595_144:
	s_or_b64 exec, exec, s[30:31]
	s_and_b64 exec, exec, s[0:1]
	s_cbranch_execz .LBB595_146
; %bb.145:
	v_mov_b32_e32 v2, 0
	ds_write_b64 v2, v[6:7] offset:2088
.LBB595_146:
	s_or_b64 exec, exec, s[40:41]
	v_mov_b32_e32 v4, 0
	s_waitcnt lgkmcnt(0)
	s_barrier
	ds_read_b64 v[2:3], v4 offset:2088
	v_cndmask_b32_e64 v6, v34, v50, s[28:29]
	v_cmp_eq_u32_e32 vcc, 0, v6
	v_cndmask_b32_e64 v5, v58, v51, s[28:29]
	s_waitcnt lgkmcnt(0)
	v_cndmask_b32_e32 v7, 0, v3, vcc
	v_add_u32_e32 v5, v7, v5
	v_cndmask_b32_e64 v79, v5, v3, s[0:1]
	v_cndmask_b32_e64 v3, v6, 0, s[0:1]
	v_cmp_eq_u32_e32 vcc, 0, v82
	v_add_u32_e32 v78, v2, v3
	v_cndmask_b32_e32 v2, 0, v79, vcc
	v_add_u32_e32 v77, v2, v46
	v_cndmask_b32_e64 v2, 0, v77, s[26:27]
	v_add_u32_e32 v75, v2, v48
	v_cndmask_b32_e64 v2, 0, v75, s[24:25]
	;; [unrolled: 2-line block ×8, first 2 shown]
	v_add_u32_e32 v76, v78, v82
	v_add_u32_e32 v61, v2, v38
	v_add_u32_e32 v74, v76, v35
	v_cndmask_b32_e64 v2, 0, v61, s[10:11]
	v_add_u32_e32 v72, v74, v32
	v_add_u32_e32 v59, v2, v40
	v_add_u32_e32 v70, v72, v33
	v_cndmask_b32_e64 v2, 0, v59, s[8:9]
	;; [unrolled: 4-line block ×3, first 2 shown]
	v_add_u32_e32 v64, v66, v28
	v_add_u32_e32 v55, v2, v41
	s_barrier
	ds_read_b128 v[2:5], v4 offset:2048
	v_add_u32_e32 v62, v64, v29
	v_add_u32_e32 v60, v62, v26
	;; [unrolled: 1-line block ×4, first 2 shown]
	v_cndmask_b32_e64 v6, 0, v55, s[4:5]
	v_add_u32_e32 v54, v56, v25
	v_add_u32_e32 v53, v6, v36
	s_waitcnt lgkmcnt(0)
	v_cmp_eq_u32_e32 vcc, 0, v2
	v_add_u32_e32 v52, v54, v22
	v_cndmask_b32_e64 v6, 0, v53, s[2:3]
	v_cndmask_b32_e32 v5, 0, v5, vcc
	v_add_u32_e32 v50, v52, v23
	v_add_u32_e32 v51, v6, v81
	;; [unrolled: 1-line block ×3, first 2 shown]
	s_branch .LBB595_159
.LBB595_147:
                                        ; implicit-def: $vgpr2
                                        ; implicit-def: $vgpr34
                                        ; implicit-def: $vgpr78_vgpr79
                                        ; implicit-def: $vgpr76_vgpr77
                                        ; implicit-def: $vgpr74_vgpr75
                                        ; implicit-def: $vgpr72_vgpr73
                                        ; implicit-def: $vgpr70_vgpr71
                                        ; implicit-def: $vgpr68_vgpr69
                                        ; implicit-def: $vgpr66_vgpr67
                                        ; implicit-def: $vgpr64_vgpr65
                                        ; implicit-def: $vgpr62_vgpr63
                                        ; implicit-def: $vgpr60_vgpr61
                                        ; implicit-def: $vgpr58_vgpr59
                                        ; implicit-def: $vgpr56_vgpr57
                                        ; implicit-def: $vgpr54_vgpr55
                                        ; implicit-def: $vgpr52_vgpr53
                                        ; implicit-def: $vgpr50_vgpr51
	s_cbranch_execz .LBB595_159
; %bb.148:
	s_and_b64 s[2:3], s[34:35], exec
	s_cselect_b32 s3, 0, s61
	s_cselect_b32 s2, 0, s60
	s_cmp_eq_u64 s[2:3], 0
	v_mov_b32_e32 v6, v46
	s_cbranch_scc1 .LBB595_150
; %bb.149:
	v_mov_b32_e32 v2, 0
	global_load_dword v6, v2, s[2:3]
.LBB595_150:
	v_cmp_eq_u32_e64 s[2:3], 0, v35
	v_cndmask_b32_e64 v2, 0, v46, s[2:3]
	v_add_u32_e32 v2, v2, v48
	v_cmp_eq_u32_e64 s[4:5], 0, v32
	v_cndmask_b32_e64 v2, 0, v2, s[4:5]
	v_add_u32_e32 v2, v2, v47
	;; [unrolled: 3-line block ×11, first 2 shown]
	v_cmp_eq_u32_e64 s[24:25], 0, v22
	v_cndmask_b32_e64 v2, 0, v2, s[24:25]
	v_add3_u32 v3, v86, v31, v28
	v_add_u32_e32 v2, v2, v36
	v_cmp_eq_u32_e32 vcc, 0, v23
	v_add3_u32 v3, v3, v29, v26
	v_cndmask_b32_e32 v2, 0, v2, vcc
	v_add3_u32 v3, v3, v27, v24
	v_add_u32_e32 v2, v2, v81
	v_cmp_eq_u32_e64 s[26:27], 0, v80
	v_add3_u32 v3, v3, v25, v22
	v_cndmask_b32_e64 v2, 0, v2, s[26:27]
	v_add3_u32 v3, v3, v23, v80
	v_add_u32_e32 v2, v2, v37
	v_mbcnt_hi_u32_b32 v7, -1, v85
	s_waitcnt vmcnt(0) lgkmcnt(0)
	v_and_b32_e32 v4, 15, v7
	v_mov_b32_dpp v34, v2 row_shr:1 row_mask:0xf bank_mask:0xf
	v_cmp_eq_u32_e64 s[26:27], 0, v3
	v_mov_b32_dpp v5, v3 row_shr:1 row_mask:0xf bank_mask:0xf
	v_cndmask_b32_e64 v34, 0, v34, s[26:27]
	v_cmp_eq_u32_e64 s[26:27], 0, v4
	v_cndmask_b32_e64 v5, v5, 0, s[26:27]
	v_add_u32_e32 v3, v5, v3
	v_cndmask_b32_e64 v5, v34, 0, s[26:27]
	v_add_u32_e32 v2, v5, v2
	v_cmp_eq_u32_e64 s[26:27], 0, v3
	v_mov_b32_dpp v5, v3 row_shr:2 row_mask:0xf bank_mask:0xf
	v_cmp_lt_u32_e64 s[28:29], 1, v4
	v_mov_b32_dpp v34, v2 row_shr:2 row_mask:0xf bank_mask:0xf
	v_cndmask_b32_e64 v5, 0, v5, s[28:29]
	s_and_b64 s[26:27], s[28:29], s[26:27]
	v_cndmask_b32_e64 v34, 0, v34, s[26:27]
	v_add_u32_e32 v3, v3, v5
	v_add_u32_e32 v2, v34, v2
	v_cmp_eq_u32_e64 s[26:27], 0, v3
	v_mov_b32_dpp v5, v3 row_shr:4 row_mask:0xf bank_mask:0xf
	v_cmp_lt_u32_e64 s[28:29], 3, v4
	v_mov_b32_dpp v34, v2 row_shr:4 row_mask:0xf bank_mask:0xf
	v_cndmask_b32_e64 v5, 0, v5, s[28:29]
	s_and_b64 s[26:27], s[28:29], s[26:27]
	v_cndmask_b32_e64 v34, 0, v34, s[26:27]
	v_add_u32_e32 v3, v5, v3
	v_add_u32_e32 v2, v2, v34
	v_cmp_eq_u32_e64 s[26:27], 0, v3
	v_cmp_lt_u32_e64 s[28:29], 7, v4
	v_mov_b32_dpp v5, v3 row_shr:8 row_mask:0xf bank_mask:0xf
	v_mov_b32_dpp v34, v2 row_shr:8 row_mask:0xf bank_mask:0xf
	s_and_b64 s[26:27], s[28:29], s[26:27]
	v_cndmask_b32_e64 v4, 0, v5, s[28:29]
	v_cndmask_b32_e64 v5, 0, v34, s[26:27]
	v_add_u32_e32 v2, v5, v2
	v_add_u32_e32 v3, v4, v3
	v_bfe_i32 v34, v7, 4, 1
	v_mov_b32_dpp v5, v2 row_bcast:15 row_mask:0xf bank_mask:0xf
	v_mov_b32_dpp v4, v3 row_bcast:15 row_mask:0xf bank_mask:0xf
	v_cmp_eq_u32_e64 s[26:27], 0, v3
	v_cndmask_b32_e64 v5, 0, v5, s[26:27]
	v_and_b32_e32 v4, v34, v4
	v_add_u32_e32 v3, v4, v3
	v_and_b32_e32 v4, v34, v5
	v_add_u32_e32 v4, v4, v2
	v_mov_b32_dpp v2, v3 row_bcast:31 row_mask:0xf bank_mask:0xf
	v_cmp_eq_u32_e64 s[26:27], 0, v3
	v_cmp_lt_u32_e64 s[28:29], 31, v7
	v_mov_b32_dpp v5, v4 row_bcast:31 row_mask:0xf bank_mask:0xf
	v_cndmask_b32_e64 v2, 0, v2, s[28:29]
	s_and_b64 s[26:27], s[28:29], s[26:27]
	v_add_u32_e32 v2, v2, v3
	v_cndmask_b32_e64 v3, 0, v5, s[26:27]
	v_add_u32_e32 v3, v3, v4
	v_cmp_eq_u32_e64 s[26:27], v84, v0
	s_and_saveexec_b64 s[28:29], s[26:27]
	s_cbranch_execz .LBB595_152
; %bb.151:
	v_lshlrev_b32_e32 v4, 3, v83
	ds_write_b64 v4, v[2:3] offset:2064
.LBB595_152:
	s_or_b64 exec, exec, s[28:29]
	v_cmp_gt_u32_e64 s[26:27], 4, v0
	s_waitcnt lgkmcnt(0)
	s_barrier
	s_and_saveexec_b64 s[30:31], s[26:27]
	s_cbranch_execz .LBB595_154
; %bb.153:
	v_lshlrev_b32_e32 v34, 3, v0
	ds_read_b64 v[4:5], v34 offset:2064
	v_and_b32_e32 v37, 3, v7
	v_cmp_lt_u32_e64 s[28:29], 1, v37
	s_waitcnt lgkmcnt(0)
	v_mov_b32_dpp v51, v5 row_shr:1 row_mask:0xf bank_mask:0xf
	v_cmp_eq_u32_e64 s[26:27], 0, v4
	v_mov_b32_dpp v50, v4 row_shr:1 row_mask:0xf bank_mask:0xf
	v_cndmask_b32_e64 v51, 0, v51, s[26:27]
	v_cmp_eq_u32_e64 s[26:27], 0, v37
	v_cndmask_b32_e64 v50, v50, 0, s[26:27]
	v_add_u32_e32 v4, v50, v4
	v_cndmask_b32_e64 v50, v51, 0, s[26:27]
	v_add_u32_e32 v5, v50, v5
	v_cmp_eq_u32_e64 s[26:27], 0, v4
	v_mov_b32_dpp v50, v4 row_shr:2 row_mask:0xf bank_mask:0xf
	v_mov_b32_dpp v51, v5 row_shr:2 row_mask:0xf bank_mask:0xf
	v_cndmask_b32_e64 v37, 0, v50, s[28:29]
	s_and_b64 s[26:27], s[28:29], s[26:27]
	v_add_u32_e32 v4, v37, v4
	v_cndmask_b32_e64 v37, 0, v51, s[26:27]
	v_add_u32_e32 v5, v37, v5
	ds_write_b64 v34, v[4:5] offset:2064
.LBB595_154:
	s_or_b64 exec, exec, s[30:31]
	v_cmp_lt_u32_e64 s[26:27], 63, v0
	v_mov_b32_e32 v34, 0
	v_mov_b32_e32 v4, 0
	v_mov_b32_e32 v5, v6
	s_waitcnt lgkmcnt(0)
	s_barrier
	s_and_saveexec_b64 s[28:29], s[26:27]
	s_cbranch_execz .LBB595_156
; %bb.155:
	v_lshlrev_b32_e32 v4, 3, v83
	ds_read_b64 v[4:5], v4 offset:2056
	s_waitcnt lgkmcnt(0)
	v_cmp_eq_u32_e64 s[26:27], 0, v4
	v_cndmask_b32_e64 v37, 0, v6, s[26:27]
	v_add_u32_e32 v5, v37, v5
.LBB595_156:
	s_or_b64 exec, exec, s[28:29]
	v_cmp_eq_u32_e64 s[26:27], 0, v2
	v_add_u32_e32 v37, v4, v2
	v_cndmask_b32_e64 v2, 0, v5, s[26:27]
	v_add_u32_e32 v2, v2, v3
	v_add_u32_e32 v3, -1, v7
	v_and_b32_e32 v50, 64, v7
	v_cmp_lt_i32_e64 s[26:27], v3, v50
	v_cndmask_b32_e64 v3, v3, v7, s[26:27]
	v_lshlrev_b32_e32 v3, 2, v3
	ds_bpermute_b32 v2, v3, v2
	ds_bpermute_b32 v37, v3, v37
	v_cmp_eq_u32_e64 s[26:27], 0, v7
	s_waitcnt lgkmcnt(1)
	v_cndmask_b32_e64 v2, v2, v5, s[26:27]
	s_waitcnt lgkmcnt(0)
	v_cndmask_b32_e64 v3, v37, v4, s[26:27]
	v_cndmask_b32_e64 v79, v2, v6, s[0:1]
	v_cmp_eq_u32_e64 s[26:27], 0, v82
	v_cndmask_b32_e64 v2, 0, v79, s[26:27]
	v_add_u32_e32 v77, v2, v46
	v_cndmask_b32_e64 v2, 0, v77, s[2:3]
	v_add_u32_e32 v75, v2, v48
	;; [unrolled: 2-line block ×8, first 2 shown]
	v_cndmask_b32_e64 v78, v3, 0, s[0:1]
	v_cndmask_b32_e64 v2, 0, v63, s[16:17]
	v_add_u32_e32 v76, v78, v82
	v_add_u32_e32 v61, v2, v38
	v_add_u32_e32 v74, v76, v35
	v_cndmask_b32_e64 v2, 0, v61, s[18:19]
	v_add_u32_e32 v72, v74, v32
	v_add_u32_e32 v59, v2, v40
	v_add_u32_e32 v70, v72, v33
	;; [unrolled: 4-line block ×3, first 2 shown]
	v_cndmask_b32_e64 v2, 0, v57, s[22:23]
	v_add_u32_e32 v64, v66, v28
	v_add_u32_e32 v55, v2, v41
	ds_read_b64 v[2:3], v34 offset:2088
	v_add_u32_e32 v62, v64, v29
	v_add_u32_e32 v60, v62, v26
	;; [unrolled: 1-line block ×3, first 2 shown]
	v_cndmask_b32_e64 v4, 0, v55, s[24:25]
	v_add_u32_e32 v56, v58, v24
	v_add_u32_e32 v53, v4, v36
	;; [unrolled: 1-line block ×3, first 2 shown]
	v_cndmask_b32_e32 v4, 0, v53, vcc
	s_waitcnt lgkmcnt(0)
	v_cmp_eq_u32_e32 vcc, 0, v2
	v_add_u32_e32 v52, v54, v22
	v_add_u32_e32 v51, v4, v81
	v_cndmask_b32_e32 v4, 0, v6, vcc
	v_add_u32_e32 v50, v52, v23
	v_add_u32_e32 v34, v4, v3
	s_and_saveexec_b64 s[2:3], s[0:1]
	s_cbranch_execz .LBB595_158
; %bb.157:
	s_add_u32 s4, s44, 0x400
	v_and_b32_e32 v3, 0xff000000, v34
	v_and_b32_e32 v4, 0xff0000, v34
	s_addc_u32 s5, s45, 0
	v_or_b32_e32 v3, v4, v3
	v_and_b32_e32 v4, 0xff00, v34
	v_and_b32_e32 v6, 0xff, v34
	v_mov_b32_e32 v5, 0
	v_or3_b32 v3, v3, v4, v6
	v_mov_b32_e32 v4, 2
	v_pk_mov_b32 v[6:7], s[4:5], s[4:5] op_sel:[0,1]
	;;#ASMSTART
	global_store_dwordx4 v[6:7], v[2:5] off	
s_waitcnt vmcnt(0)
	;;#ASMEND
.LBB595_158:
	s_or_b64 exec, exec, s[2:3]
	v_mov_b32_e32 v4, 0
.LBB595_159:
	s_and_b64 s[2:3], s[34:35], exec
	s_cselect_b32 s3, 0, s59
	s_cselect_b32 s2, 0, s58
	s_cmp_eq_u64 s[2:3], 0
	v_pk_mov_b32 v[6:7], 0, 0
	s_waitcnt lgkmcnt(0)
	s_barrier
	s_cbranch_scc1 .LBB595_161
; %bb.160:
	v_mov_b32_e32 v3, 0
	global_load_dwordx2 v[6:7], v3, s[2:3]
.LBB595_161:
	s_waitcnt vmcnt(0)
	v_lshlrev_b64 v[36:37], 2, v[6:7]
	v_mov_b32_e32 v3, s43
	v_add_co_u32_e32 v40, vcc, s42, v36
	v_mov_b32_e32 v5, 0
	v_addc_co_u32_e32 v41, vcc, v3, v37, vcc
	v_lshlrev_b64 v[38:39], 2, v[4:5]
	v_add_co_u32_e32 v3, vcc, v40, v38
	v_addc_co_u32_e32 v5, vcc, v41, v39, vcc
	v_cmp_eq_u32_e32 vcc, 0, v82
	v_cndmask_b32_e64 v40, 1, 2, vcc
	v_cmp_eq_u32_e32 vcc, 0, v35
	v_cndmask_b32_e64 v41, 1, 2, vcc
	v_cmp_eq_u32_e32 vcc, 0, v32
	v_and_b32_e32 v40, v41, v40
	v_cndmask_b32_e64 v41, 1, 2, vcc
	v_cmp_eq_u32_e32 vcc, 0, v33
	v_and_b32_e32 v40, v40, v41
	;; [unrolled: 3-line block ×13, first 2 shown]
	v_cndmask_b32_e64 v41, 1, 2, vcc
	s_movk_i32 s34, 0x100
	v_and_b32_e32 v40, v40, v41
	v_cmp_gt_u32_e32 vcc, s34, v2
	v_cmp_ne_u32_e64 s[30:31], 0, v82
	v_cmp_ne_u32_e64 s[28:29], 0, v35
	;; [unrolled: 1-line block ×15, first 2 shown]
	s_mov_b64 s[40:41], -1
	v_cmp_gt_i16_e64 s[34:35], 2, v40
	s_cbranch_vccz .LBB595_168
; %bb.162:
	s_and_saveexec_b64 s[40:41], s[34:35]
	s_cbranch_execz .LBB595_167
; %bb.163:
	v_cmp_ne_u16_e32 vcc, 1, v40
	s_mov_b64 s[42:43], 0
	s_and_saveexec_b64 s[34:35], vcc
	s_xor_b64 s[34:35], exec, s[34:35]
	s_cbranch_execnz .LBB595_257
; %bb.164:
	s_andn2_saveexec_b64 s[34:35], s[34:35]
	s_cbranch_execnz .LBB595_273
.LBB595_165:
	s_or_b64 exec, exec, s[34:35]
	s_and_b64 exec, exec, s[42:43]
	s_cbranch_execz .LBB595_167
.LBB595_166:
	v_sub_u32_e32 v42, v50, v4
	v_mov_b32_e32 v43, 0
	v_lshlrev_b64 v[42:43], 2, v[42:43]
	v_add_co_u32_e32 v42, vcc, v3, v42
	v_addc_co_u32_e32 v43, vcc, v5, v43, vcc
	global_store_dword v[42:43], v1, off
.LBB595_167:
	s_or_b64 exec, exec, s[40:41]
	s_mov_b64 s[40:41], 0
.LBB595_168:
	s_and_b64 vcc, exec, s[40:41]
	s_cbranch_vccz .LBB595_190
; %bb.169:
	v_cmp_gt_i16_e32 vcc, 2, v40
	s_and_saveexec_b64 s[34:35], vcc
	s_cbranch_execz .LBB595_174
; %bb.170:
	v_cmp_ne_u16_e32 vcc, 1, v40
	s_mov_b64 s[42:43], 0
	s_and_saveexec_b64 s[40:41], vcc
	s_xor_b64 s[40:41], exec, s[40:41]
	s_cbranch_execnz .LBB595_274
; %bb.171:
	s_andn2_saveexec_b64 s[2:3], s[40:41]
	s_cbranch_execnz .LBB595_290
.LBB595_172:
	s_or_b64 exec, exec, s[2:3]
	s_and_b64 exec, exec, s[42:43]
	s_cbranch_execz .LBB595_174
.LBB595_173:
	v_sub_u32_e32 v8, v50, v4
	v_lshlrev_b32_e32 v8, 2, v8
	ds_write_b32 v8, v1
.LBB595_174:
	s_or_b64 exec, exec, s[34:35]
	v_cmp_lt_u32_e32 vcc, v0, v2
	s_waitcnt lgkmcnt(0)
	s_barrier
	s_and_saveexec_b64 s[4:5], vcc
	s_cbranch_execz .LBB595_189
; %bb.175:
	v_xad_u32 v1, v0, -1, v2
	s_movk_i32 s2, 0x1700
	v_cmp_gt_u32_e64 s[6:7], s2, v1
	s_movk_i32 s2, 0x16ff
	v_cmp_lt_u32_e32 vcc, s2, v1
	v_mov_b32_e32 v8, v0
	s_and_saveexec_b64 s[8:9], vcc
	s_cbranch_execz .LBB595_186
; %bb.176:
	v_sub_u32_e32 v8, v0, v2
	v_or_b32_e32 v8, 0xff, v8
	v_cmp_ge_u32_e32 vcc, v8, v0
	s_mov_b64 s[2:3], -1
	v_mov_b32_e32 v8, v0
	s_and_saveexec_b64 s[10:11], vcc
	s_cbranch_execz .LBB595_185
; %bb.177:
	v_lshrrev_b32_e32 v12, 8, v1
	v_add_u32_e32 v8, -1, v12
	v_or_b32_e32 v1, 0x100, v0
	v_lshrrev_b32_e32 v9, 1, v8
	v_add_u32_e32 v13, 1, v9
	v_cmp_lt_u32_e32 vcc, 13, v8
	v_mov_b32_e32 v16, 0
	v_pk_mov_b32 v[8:9], v[0:1], v[0:1] op_sel:[0,1]
	s_and_saveexec_b64 s[12:13], vcc
	s_cbranch_execz .LBB595_181
; %bb.178:
	v_and_b32_e32 v14, -8, v13
	v_lshlrev_b32_e32 v15, 2, v0
	s_mov_b32 s16, 0
	s_mov_b64 s[14:15], 0
	v_mov_b32_e32 v11, 0
	v_pk_mov_b32 v[8:9], v[0:1], v[0:1] op_sel:[0,1]
.LBB595_179:                            ; =>This Inner Loop Header: Depth=1
	v_mov_b32_e32 v10, v8
	v_add_u32_e32 v14, -8, v14
	v_lshlrev_b64 v[98:99], 2, v[10:11]
	v_mov_b32_e32 v10, v9
	ds_read2st64_b32 v[18:19], v15 offset1:4
	s_add_i32 s16, s16, 16
	v_cmp_eq_u32_e32 vcc, 0, v14
	v_lshlrev_b64 v[102:103], 2, v[10:11]
	v_add_u32_e32 v10, 0x200, v8
	s_or_b64 s[14:15], vcc, s[14:15]
	v_add_co_u32_e32 v102, vcc, v3, v102
	v_add_u32_e32 v16, 0x200, v9
	v_mov_b32_e32 v17, v11
	ds_read2st64_b32 v[20:21], v15 offset0:8 offset1:12
	ds_read2st64_b32 v[42:43], v15 offset0:16 offset1:20
	v_add_co_u32_e64 v98, s[2:3], v3, v98
	v_addc_co_u32_e32 v103, vcc, v5, v103, vcc
	v_lshlrev_b64 v[104:105], 2, v[10:11]
	v_lshlrev_b64 v[100:101], 2, v[16:17]
	v_addc_co_u32_e64 v99, s[2:3], v5, v99, s[2:3]
	v_add_u32_e32 v10, 0x400, v8
	v_add_co_u32_e32 v104, vcc, v3, v104
	v_add_u32_e32 v40, 0x400, v9
	v_mov_b32_e32 v41, v11
	ds_read2st64_b32 v[46:47], v15 offset0:24 offset1:28
	v_add_co_u32_e64 v100, s[2:3], v3, v100
	v_addc_co_u32_e32 v105, vcc, v5, v105, vcc
	v_lshlrev_b64 v[106:107], 2, v[10:11]
	ds_read2st64_b32 v[84:85], v15 offset0:32 offset1:36
	ds_read2st64_b32 v[88:89], v15 offset0:40 offset1:44
	;; [unrolled: 1-line block ×4, first 2 shown]
	v_lshlrev_b64 v[40:41], 2, v[40:41]
	v_addc_co_u32_e64 v101, s[2:3], v5, v101, s[2:3]
	v_add_u32_e32 v10, 0x600, v8
	s_waitcnt lgkmcnt(7)
	global_store_dword v[98:99], v18, off
	global_store_dword v[102:103], v19, off
	s_waitcnt lgkmcnt(6)
	global_store_dword v[104:105], v20, off
	global_store_dword v[100:101], v21, off
	v_add_co_u32_e32 v18, vcc, v3, v106
	v_add_u32_e32 v44, 0x600, v9
	v_mov_b32_e32 v45, v11
	v_add_co_u32_e64 v40, s[2:3], v3, v40
	v_addc_co_u32_e32 v19, vcc, v5, v107, vcc
	v_lshlrev_b64 v[20:21], 2, v[10:11]
	v_lshlrev_b64 v[44:45], 2, v[44:45]
	v_addc_co_u32_e64 v41, s[2:3], v5, v41, s[2:3]
	v_add_u32_e32 v10, 0x800, v8
	s_waitcnt lgkmcnt(5)
	global_store_dword v[18:19], v42, off
	global_store_dword v[40:41], v43, off
	v_add_co_u32_e32 v18, vcc, v3, v20
	v_add_u32_e32 v48, 0x800, v9
	v_mov_b32_e32 v49, v11
	v_add_co_u32_e64 v44, s[2:3], v3, v44
	v_addc_co_u32_e32 v19, vcc, v5, v21, vcc
	v_lshlrev_b64 v[20:21], 2, v[10:11]
	v_lshlrev_b64 v[48:49], 2, v[48:49]
	v_addc_co_u32_e64 v45, s[2:3], v5, v45, s[2:3]
	v_add_u32_e32 v10, 0xa00, v8
	;; [unrolled: 12-line block ×4, first 2 shown]
	s_waitcnt lgkmcnt(2)
	global_store_dword v[18:19], v88, off
	global_store_dword v[86:87], v89, off
	v_add_co_u32_e32 v18, vcc, v3, v20
	v_add_u32_e32 v94, 0xe00, v9
	v_mov_b32_e32 v95, v11
	v_add_co_u32_e64 v90, s[2:3], v3, v90
	v_addc_co_u32_e32 v19, vcc, v5, v21, vcc
	v_lshlrev_b64 v[20:21], 2, v[10:11]
	v_lshlrev_b64 v[94:95], 2, v[94:95]
	v_addc_co_u32_e64 v91, s[2:3], v5, v91, s[2:3]
	s_waitcnt lgkmcnt(1)
	global_store_dword v[18:19], v92, off
	global_store_dword v[90:91], v93, off
	v_add_co_u32_e32 v18, vcc, v3, v20
	v_add_u32_e32 v15, 0x4000, v15
	v_add_u32_e32 v9, 0x1000, v9
	v_mov_b32_e32 v16, s16
	v_add_co_u32_e64 v94, s[2:3], v3, v94
	v_add_u32_e32 v8, 0x1000, v8
	v_addc_co_u32_e32 v19, vcc, v5, v21, vcc
	v_addc_co_u32_e64 v95, s[2:3], v5, v95, s[2:3]
	s_waitcnt lgkmcnt(0)
	global_store_dword v[18:19], v96, off
	global_store_dword v[94:95], v97, off
	s_andn2_b64 exec, exec, s[14:15]
	s_cbranch_execnz .LBB595_179
; %bb.180:
	s_or_b64 exec, exec, s[14:15]
.LBB595_181:
	s_or_b64 exec, exec, s[12:13]
	v_and_b32_e32 v1, 7, v13
	v_cmp_ne_u32_e32 vcc, 0, v1
	s_and_saveexec_b64 s[12:13], vcc
	s_cbranch_execz .LBB595_184
; %bb.182:
	v_lshlrev_b32_e32 v10, 2, v0
	v_lshl_or_b32 v13, v16, 10, v10
	s_mov_b64 s[14:15], 0
	v_mov_b32_e32 v11, 0
.LBB595_183:                            ; =>This Inner Loop Header: Depth=1
	ds_read2st64_b32 v[14:15], v13 offset1:4
	v_mov_b32_e32 v10, v8
	v_add_u32_e32 v1, -1, v1
	v_lshlrev_b64 v[16:17], 2, v[10:11]
	v_mov_b32_e32 v10, v9
	v_cmp_eq_u32_e32 vcc, 0, v1
	v_add_co_u32_e64 v16, s[2:3], v3, v16
	v_lshlrev_b64 v[18:19], 2, v[10:11]
	v_add_u32_e32 v8, 0x200, v8
	v_add_u32_e32 v13, 0x800, v13
	;; [unrolled: 1-line block ×3, first 2 shown]
	v_addc_co_u32_e64 v17, s[2:3], v5, v17, s[2:3]
	s_or_b64 s[14:15], vcc, s[14:15]
	v_add_co_u32_e32 v18, vcc, v3, v18
	v_addc_co_u32_e32 v19, vcc, v5, v19, vcc
	s_waitcnt lgkmcnt(0)
	global_store_dword v[16:17], v14, off
	global_store_dword v[18:19], v15, off
	s_andn2_b64 exec, exec, s[14:15]
	s_cbranch_execnz .LBB595_183
.LBB595_184:
	s_or_b64 exec, exec, s[12:13]
	v_add_u32_e32 v1, 1, v12
	v_and_b32_e32 v9, 0x1fffffe, v1
	v_cmp_ne_u32_e32 vcc, v1, v9
	v_lshl_or_b32 v8, v9, 8, v0
	s_orn2_b64 s[2:3], vcc, exec
.LBB595_185:
	s_or_b64 exec, exec, s[10:11]
	s_andn2_b64 s[6:7], s[6:7], exec
	s_and_b64 s[2:3], s[2:3], exec
	s_or_b64 s[6:7], s[6:7], s[2:3]
.LBB595_186:
	s_or_b64 exec, exec, s[8:9]
	s_and_b64 exec, exec, s[6:7]
	s_cbranch_execz .LBB595_189
; %bb.187:
	v_lshlrev_b32_e32 v1, 2, v8
	s_mov_b64 s[2:3], 0
	v_mov_b32_e32 v9, 0
.LBB595_188:                            ; =>This Inner Loop Header: Depth=1
	v_lshlrev_b64 v[10:11], 2, v[8:9]
	ds_read_b32 v12, v1
	v_add_co_u32_e32 v10, vcc, v3, v10
	v_add_u32_e32 v8, 0x100, v8
	v_addc_co_u32_e32 v11, vcc, v5, v11, vcc
	v_cmp_ge_u32_e32 vcc, v8, v2
	v_add_u32_e32 v1, 0x400, v1
	s_or_b64 s[2:3], vcc, s[2:3]
	s_waitcnt lgkmcnt(0)
	global_store_dword v[10:11], v12, off
	s_andn2_b64 exec, exec, s[2:3]
	s_cbranch_execnz .LBB595_188
.LBB595_189:
	s_or_b64 exec, exec, s[4:5]
.LBB595_190:
	s_cmpk_lg_i32 s33, 0xf00
	s_cselect_b64 s[2:3], -1, 0
	s_and_b64 s[0:1], s[0:1], s[38:39]
	v_cndmask_b32_e64 v5, v82, 0, s[0:1]
	s_mul_hi_u32 s0, s33, 0x88888889
	s_lshr_b32 s0, s0, 3
	v_mad_i32_i24 v9, v0, -15, s33
	v_cmp_eq_u32_e32 vcc, s0, v0
	v_cmp_ne_u32_e64 s[0:1], 0, v9
	v_cndmask_b32_e64 v10, 1, v5, s[0:1]
	v_cmp_ne_u32_e64 s[0:1], 1, v9
	v_cndmask_b32_e64 v11, 1, v35, s[0:1]
	;; [unrolled: 2-line block ×15, first 2 shown]
	s_and_b64 vcc, vcc, s[36:37]
	v_cndmask_b32_e32 v42, v80, v9, vcc
	v_cndmask_b32_e32 v23, v23, v41, vcc
	;; [unrolled: 1-line block ×15, first 2 shown]
	v_mov_b32_e32 v5, s53
	v_add_co_u32_e32 v9, vcc, s52, v36
	v_addc_co_u32_e32 v12, vcc, v5, v37, vcc
	v_cndmask_b32_e64 v1, 0, 1, s[38:39]
	v_add_co_u32_e32 v5, vcc, v9, v38
	v_addc_co_u32_e32 v12, vcc, v12, v39, vcc
	v_lshlrev_b32_e32 v9, 2, v1
	v_add_co_u32_e32 v9, vcc, v9, v5
	v_addc_co_u32_e32 v14, vcc, 0, v12, vcc
	v_add_co_u32_e32 v13, vcc, -4, v9
	v_addc_co_u32_e32 v14, vcc, -1, v14, vcc
	v_cmp_eq_u32_e32 vcc, 0, v10
	v_cmp_ne_u32_e64 s[28:29], 0, v10
	v_cndmask_b32_e64 v10, 1, 2, vcc
	v_cmp_eq_u32_e32 vcc, 0, v11
	v_cmp_ne_u32_e64 s[26:27], 0, v11
	v_cndmask_b32_e64 v11, 1, 2, vcc
	v_cmp_eq_u32_e32 vcc, 0, v26
	v_and_b32_e32 v10, v11, v10
	v_cndmask_b32_e64 v11, 1, 2, vcc
	v_cmp_eq_u32_e32 vcc, 0, v25
	v_and_b32_e32 v10, v10, v11
	;; [unrolled: 3-line block ×10, first 2 shown]
	v_cndmask_b32_e64 v11, 1, 2, vcc
	v_cmp_eq_u32_e32 vcc, 0, v22
	s_and_b64 s[2:3], s[2:3], s[36:37]
	v_and_b32_e32 v10, v10, v11
	v_cndmask_b32_e64 v11, 1, 2, vcc
	v_cmp_eq_u32_e32 vcc, 0, v23
	v_sub_u32_e32 v3, v2, v1
	v_cndmask_b32_e64 v8, 0, 1, s[2:3]
	v_and_b32_e32 v10, v10, v11
	v_cndmask_b32_e64 v11, 1, 2, vcc
	v_cmp_eq_u32_e32 vcc, 0, v42
	v_add_u32_e32 v3, v3, v8
	v_and_b32_e32 v10, v10, v11
	v_cndmask_b32_e64 v11, 1, 2, vcc
	s_movk_i32 s30, 0x100
	v_and_b32_e32 v10, v10, v11
	v_cmp_gt_u32_e32 vcc, s30, v3
	v_add_u32_e32 v9, v4, v1
	v_cmp_ne_u32_e64 s[24:25], 0, v26
	v_cmp_ne_u32_e64 s[22:23], 0, v25
	;; [unrolled: 1-line block ×13, first 2 shown]
	s_mov_b64 s[34:35], -1
	v_cmp_gt_i16_e64 s[30:31], 2, v10
	s_barrier
	s_cbranch_vccz .LBB595_197
; %bb.191:
	s_and_saveexec_b64 s[34:35], s[30:31]
	s_cbranch_execz .LBB595_196
; %bb.192:
	v_cmp_ne_u16_e32 vcc, 1, v10
	s_mov_b64 s[38:39], 0
	s_and_saveexec_b64 s[30:31], vcc
	s_xor_b64 s[30:31], exec, s[30:31]
	s_cbranch_execnz .LBB595_291
; %bb.193:
	s_andn2_saveexec_b64 s[30:31], s[30:31]
	s_cbranch_execnz .LBB595_307
.LBB595_194:
	s_or_b64 exec, exec, s[30:31]
	s_and_b64 exec, exec, s[38:39]
	s_cbranch_execz .LBB595_196
.LBB595_195:
	v_sub_u32_e32 v16, v50, v9
	v_mov_b32_e32 v17, 0
	v_lshlrev_b64 v[16:17], 2, v[16:17]
	v_add_co_u32_e32 v16, vcc, v13, v16
	v_addc_co_u32_e32 v17, vcc, v14, v17, vcc
	global_store_dword v[16:17], v51, off
.LBB595_196:
	s_or_b64 exec, exec, s[34:35]
	s_mov_b64 s[34:35], 0
.LBB595_197:
	s_and_b64 vcc, exec, s[34:35]
	s_cbranch_vccz .LBB595_219
; %bb.198:
	v_cmp_gt_i16_e32 vcc, 2, v10
	s_and_saveexec_b64 s[30:31], vcc
	s_cbranch_execz .LBB595_203
; %bb.199:
	v_cmp_ne_u16_e32 vcc, 1, v10
	s_mov_b64 s[38:39], 0
	s_and_saveexec_b64 s[34:35], vcc
	s_xor_b64 s[34:35], exec, s[34:35]
	s_cbranch_execnz .LBB595_308
; %bb.200:
	s_andn2_saveexec_b64 s[0:1], s[34:35]
	s_cbranch_execnz .LBB595_324
.LBB595_201:
	s_or_b64 exec, exec, s[0:1]
	s_and_b64 exec, exec, s[38:39]
	s_cbranch_execz .LBB595_203
.LBB595_202:
	v_sub_u32_e32 v9, v50, v9
	v_lshlrev_b32_e32 v9, 2, v9
	ds_write_b32 v9, v51
.LBB595_203:
	s_or_b64 exec, exec, s[30:31]
	v_cmp_lt_u32_e32 vcc, v0, v3
	s_waitcnt lgkmcnt(0)
	s_barrier
	s_and_saveexec_b64 s[2:3], vcc
	s_cbranch_execz .LBB595_218
; %bb.204:
	v_add_u32_e32 v10, v2, v8
	v_xad_u32 v8, v0, -1, v10
	v_sub_u32_e32 v9, v8, v1
	s_movk_i32 s0, 0x1900
	v_cmp_gt_u32_e64 s[4:5], s0, v9
	s_movk_i32 s0, 0x18ff
	v_cmp_lt_u32_e32 vcc, s0, v9
	v_mov_b32_e32 v8, v0
	s_and_saveexec_b64 s[6:7], vcc
	s_cbranch_execz .LBB595_215
; %bb.205:
	v_sub_u32_e32 v8, v0, v10
	v_add_u32_e32 v1, v8, v1
	v_or_b32_e32 v1, 0xff, v1
	v_cmp_ge_u32_e32 vcc, v1, v0
	s_mov_b64 s[0:1], -1
	v_mov_b32_e32 v8, v0
	s_and_saveexec_b64 s[8:9], vcc
	s_cbranch_execz .LBB595_214
; %bb.206:
	v_lshrrev_b32_e32 v15, 8, v9
	v_add_u32_e32 v8, -1, v15
	v_or_b32_e32 v1, 0x100, v0
	v_lshrrev_b32_e32 v9, 1, v8
	v_add_u32_e32 v17, 1, v9
	v_cmp_lt_u32_e32 vcc, 13, v8
	v_mov_b32_e32 v20, 0
	v_lshlrev_b32_e32 v16, 2, v0
	v_pk_mov_b32 v[8:9], v[0:1], v[0:1] op_sel:[0,1]
	s_and_saveexec_b64 s[10:11], vcc
	s_cbranch_execz .LBB595_210
; %bb.207:
	v_and_b32_e32 v18, -8, v17
	s_mov_b32 s14, 0
	s_mov_b64 s[12:13], 0
	v_mov_b32_e32 v11, 0
	v_mov_b32_e32 v19, v16
	v_pk_mov_b32 v[8:9], v[0:1], v[0:1] op_sel:[0,1]
.LBB595_208:                            ; =>This Inner Loop Header: Depth=1
	v_mov_b32_e32 v10, v8
	v_add_u32_e32 v18, -8, v18
	v_lshlrev_b64 v[52:53], 2, v[10:11]
	v_mov_b32_e32 v10, v9
	ds_read2st64_b32 v[22:23], v19 offset1:4
	s_add_i32 s14, s14, 16
	v_cmp_eq_u32_e32 vcc, 0, v18
	v_lshlrev_b64 v[56:57], 2, v[10:11]
	v_add_u32_e32 v10, 0x200, v8
	s_or_b64 s[12:13], vcc, s[12:13]
	v_add_co_u32_e32 v56, vcc, v13, v56
	v_add_u32_e32 v20, 0x200, v9
	v_mov_b32_e32 v21, v11
	ds_read2st64_b32 v[24:25], v19 offset0:8 offset1:12
	ds_read2st64_b32 v[28:29], v19 offset0:16 offset1:20
	v_add_co_u32_e64 v52, s[0:1], v13, v52
	v_addc_co_u32_e32 v57, vcc, v14, v57, vcc
	v_lshlrev_b64 v[58:59], 2, v[10:11]
	v_lshlrev_b64 v[54:55], 2, v[20:21]
	v_addc_co_u32_e64 v53, s[0:1], v14, v53, s[0:1]
	v_add_u32_e32 v10, 0x400, v8
	v_add_co_u32_e32 v58, vcc, v13, v58
	v_add_u32_e32 v26, 0x400, v9
	v_mov_b32_e32 v27, v11
	ds_read2st64_b32 v[32:33], v19 offset0:24 offset1:28
	v_add_co_u32_e64 v54, s[0:1], v13, v54
	v_addc_co_u32_e32 v59, vcc, v14, v59, vcc
	v_lshlrev_b64 v[60:61], 2, v[10:11]
	ds_read2st64_b32 v[38:39], v19 offset0:32 offset1:36
	ds_read2st64_b32 v[42:43], v19 offset0:40 offset1:44
	ds_read2st64_b32 v[46:47], v19 offset0:48 offset1:52
	ds_read2st64_b32 v[50:51], v19 offset0:56 offset1:60
	v_lshlrev_b64 v[26:27], 2, v[26:27]
	v_addc_co_u32_e64 v55, s[0:1], v14, v55, s[0:1]
	v_add_u32_e32 v10, 0x600, v8
	s_waitcnt lgkmcnt(7)
	global_store_dword v[52:53], v22, off
	global_store_dword v[56:57], v23, off
	s_waitcnt lgkmcnt(6)
	global_store_dword v[58:59], v24, off
	global_store_dword v[54:55], v25, off
	v_add_co_u32_e32 v22, vcc, v13, v60
	v_add_u32_e32 v30, 0x600, v9
	v_mov_b32_e32 v31, v11
	v_add_co_u32_e64 v26, s[0:1], v13, v26
	v_addc_co_u32_e32 v23, vcc, v14, v61, vcc
	v_lshlrev_b64 v[24:25], 2, v[10:11]
	v_lshlrev_b64 v[30:31], 2, v[30:31]
	v_addc_co_u32_e64 v27, s[0:1], v14, v27, s[0:1]
	v_add_u32_e32 v10, 0x800, v8
	s_waitcnt lgkmcnt(5)
	global_store_dword v[22:23], v28, off
	global_store_dword v[26:27], v29, off
	v_add_co_u32_e32 v22, vcc, v13, v24
	v_add_u32_e32 v36, 0x800, v9
	v_mov_b32_e32 v37, v11
	v_add_co_u32_e64 v30, s[0:1], v13, v30
	v_addc_co_u32_e32 v23, vcc, v14, v25, vcc
	v_lshlrev_b64 v[24:25], 2, v[10:11]
	v_lshlrev_b64 v[36:37], 2, v[36:37]
	v_addc_co_u32_e64 v31, s[0:1], v14, v31, s[0:1]
	v_add_u32_e32 v10, 0xa00, v8
	s_waitcnt lgkmcnt(4)
	global_store_dword v[22:23], v32, off
	global_store_dword v[30:31], v33, off
	v_add_co_u32_e32 v22, vcc, v13, v24
	v_add_u32_e32 v40, 0xa00, v9
	v_mov_b32_e32 v41, v11
	v_add_co_u32_e64 v36, s[0:1], v13, v36
	v_addc_co_u32_e32 v23, vcc, v14, v25, vcc
	v_lshlrev_b64 v[24:25], 2, v[10:11]
	v_lshlrev_b64 v[40:41], 2, v[40:41]
	v_addc_co_u32_e64 v37, s[0:1], v14, v37, s[0:1]
	v_add_u32_e32 v10, 0xc00, v8
	s_waitcnt lgkmcnt(3)
	global_store_dword v[22:23], v38, off
	global_store_dword v[36:37], v39, off
	v_add_co_u32_e32 v22, vcc, v13, v24
	v_add_u32_e32 v44, 0xc00, v9
	v_mov_b32_e32 v45, v11
	v_add_co_u32_e64 v40, s[0:1], v13, v40
	v_addc_co_u32_e32 v23, vcc, v14, v25, vcc
	v_lshlrev_b64 v[24:25], 2, v[10:11]
	v_lshlrev_b64 v[44:45], 2, v[44:45]
	v_addc_co_u32_e64 v41, s[0:1], v14, v41, s[0:1]
	v_add_u32_e32 v10, 0xe00, v8
	s_waitcnt lgkmcnt(2)
	global_store_dword v[22:23], v42, off
	global_store_dword v[40:41], v43, off
	v_add_co_u32_e32 v22, vcc, v13, v24
	v_add_u32_e32 v48, 0xe00, v9
	v_mov_b32_e32 v49, v11
	v_add_co_u32_e64 v44, s[0:1], v13, v44
	v_addc_co_u32_e32 v23, vcc, v14, v25, vcc
	v_lshlrev_b64 v[24:25], 2, v[10:11]
	v_lshlrev_b64 v[48:49], 2, v[48:49]
	v_addc_co_u32_e64 v45, s[0:1], v14, v45, s[0:1]
	s_waitcnt lgkmcnt(1)
	global_store_dword v[22:23], v46, off
	global_store_dword v[44:45], v47, off
	v_add_co_u32_e32 v22, vcc, v13, v24
	v_add_u32_e32 v19, 0x4000, v19
	v_add_u32_e32 v9, 0x1000, v9
	v_mov_b32_e32 v20, s14
	v_add_co_u32_e64 v48, s[0:1], v13, v48
	v_add_u32_e32 v8, 0x1000, v8
	v_addc_co_u32_e32 v23, vcc, v14, v25, vcc
	v_addc_co_u32_e64 v49, s[0:1], v14, v49, s[0:1]
	s_waitcnt lgkmcnt(0)
	global_store_dword v[22:23], v50, off
	global_store_dword v[48:49], v51, off
	s_andn2_b64 exec, exec, s[12:13]
	s_cbranch_execnz .LBB595_208
; %bb.209:
	s_or_b64 exec, exec, s[12:13]
.LBB595_210:
	s_or_b64 exec, exec, s[10:11]
	v_and_b32_e32 v1, 7, v17
	v_cmp_ne_u32_e32 vcc, 0, v1
	s_and_saveexec_b64 s[10:11], vcc
	s_cbranch_execz .LBB595_213
; %bb.211:
	v_lshl_or_b32 v16, v20, 10, v16
	s_mov_b64 s[12:13], 0
	v_mov_b32_e32 v11, 0
.LBB595_212:                            ; =>This Inner Loop Header: Depth=1
	ds_read2st64_b32 v[18:19], v16 offset1:4
	v_mov_b32_e32 v10, v8
	v_add_u32_e32 v1, -1, v1
	v_lshlrev_b64 v[20:21], 2, v[10:11]
	v_mov_b32_e32 v10, v9
	v_cmp_eq_u32_e32 vcc, 0, v1
	v_add_co_u32_e64 v20, s[0:1], v13, v20
	v_lshlrev_b64 v[22:23], 2, v[10:11]
	v_add_u32_e32 v8, 0x200, v8
	v_add_u32_e32 v16, 0x800, v16
	;; [unrolled: 1-line block ×3, first 2 shown]
	v_addc_co_u32_e64 v21, s[0:1], v14, v21, s[0:1]
	s_or_b64 s[12:13], vcc, s[12:13]
	v_add_co_u32_e32 v22, vcc, v13, v22
	v_addc_co_u32_e32 v23, vcc, v14, v23, vcc
	s_waitcnt lgkmcnt(0)
	global_store_dword v[20:21], v18, off
	global_store_dword v[22:23], v19, off
	s_andn2_b64 exec, exec, s[12:13]
	s_cbranch_execnz .LBB595_212
.LBB595_213:
	s_or_b64 exec, exec, s[10:11]
	v_add_u32_e32 v1, 1, v15
	v_and_b32_e32 v9, 0x1fffffe, v1
	v_cmp_ne_u32_e32 vcc, v1, v9
	v_lshl_or_b32 v8, v9, 8, v0
	s_orn2_b64 s[0:1], vcc, exec
.LBB595_214:
	s_or_b64 exec, exec, s[8:9]
	s_andn2_b64 s[4:5], s[4:5], exec
	s_and_b64 s[0:1], s[0:1], exec
	s_or_b64 s[4:5], s[4:5], s[0:1]
.LBB595_215:
	s_or_b64 exec, exec, s[6:7]
	s_and_b64 exec, exec, s[4:5]
	s_cbranch_execz .LBB595_218
; %bb.216:
	v_lshlrev_b32_e32 v1, 2, v8
	s_mov_b64 s[0:1], 0
	v_mov_b32_e32 v9, 0
.LBB595_217:                            ; =>This Inner Loop Header: Depth=1
	v_lshlrev_b64 v[10:11], 2, v[8:9]
	ds_read_b32 v15, v1
	v_add_co_u32_e32 v10, vcc, v13, v10
	v_add_u32_e32 v8, 0x100, v8
	v_addc_co_u32_e32 v11, vcc, v14, v11, vcc
	v_cmp_ge_u32_e32 vcc, v8, v3
	v_add_u32_e32 v1, 0x400, v1
	s_or_b64 s[0:1], vcc, s[0:1]
	s_waitcnt lgkmcnt(0)
	global_store_dword v[10:11], v15, off
	s_andn2_b64 exec, exec, s[0:1]
	s_cbranch_execnz .LBB595_217
.LBB595_218:
	s_or_b64 exec, exec, s[2:3]
.LBB595_219:
	s_movk_i32 s0, 0xff
	v_cmp_eq_u32_e32 vcc, s0, v0
	s_and_b64 s[0:1], vcc, s[36:37]
	s_and_saveexec_b64 s[2:3], s[0:1]
	s_cbranch_execz .LBB595_222
; %bb.220:
	v_add_co_u32_e32 v0, vcc, v2, v4
	v_addc_co_u32_e64 v1, s[0:1], 0, 0, vcc
	v_add_co_u32_e32 v0, vcc, v0, v6
	v_mov_b32_e32 v3, 0
	v_addc_co_u32_e32 v1, vcc, v1, v7, vcc
	s_cmpk_lg_i32 s33, 0xf00
	global_store_dwordx2 v3, v[0:1], s[54:55]
	s_cbranch_scc1 .LBB595_222
; %bb.221:
	v_lshlrev_b64 v[0:1], 2, v[2:3]
	v_add_co_u32_e32 v0, vcc, v5, v0
	v_addc_co_u32_e32 v1, vcc, v12, v1, vcc
	global_store_dword v[0:1], v34, off offset:-4
.LBB595_222:
	s_endpgm
.LBB595_223:
                                        ; implicit-def: $sgpr8_sgpr9
                                        ; implicit-def: $vgpr80
                                        ; implicit-def: $vgpr23
                                        ; implicit-def: $vgpr22
                                        ; implicit-def: $vgpr25
                                        ; implicit-def: $vgpr24
                                        ; implicit-def: $vgpr27
                                        ; implicit-def: $vgpr26
                                        ; implicit-def: $vgpr29
                                        ; implicit-def: $vgpr28
                                        ; implicit-def: $vgpr31
                                        ; implicit-def: $vgpr30
                                        ; implicit-def: $vgpr33
                                        ; implicit-def: $vgpr32
                                        ; implicit-def: $vgpr35
	s_cbranch_execz .LBB595_113
.LBB595_224:
	v_mad_u32_u24 v22, v0, 15, 14
	v_mov_b32_e32 v23, 0
	s_waitcnt vmcnt(0) lgkmcnt(0)
	v_lshlrev_b32_e32 v4, 2, v0
	v_mul_u32_u24_e32 v2, 15, v0
	v_cmp_gt_u64_e32 vcc, s[6:7], v[22:23]
	v_mov_b32_e32 v80, 0
	ds_write_b32 v4, v1
	s_and_saveexec_b64 s[8:9], vcc
; %bb.225:
	s_mov_b32 s10, 0x66666667
	v_mul_hi_i32 v3, v9, s10
	v_lshrrev_b32_e32 v5, 31, v3
	v_ashrrev_i32_e32 v3, 2, v3
	v_add_u32_e32 v3, v3, v5
	v_mul_hi_i32 v5, v1, s10
	v_lshrrev_b32_e32 v6, 31, v5
	v_ashrrev_i32_e32 v5, 2, v5
	v_add_u32_e32 v5, v5, v6
	v_cmp_ne_u32_e32 vcc, v3, v5
	v_cndmask_b32_e64 v80, 0, 1, vcc
; %bb.226:
	s_or_b64 exec, exec, s[8:9]
	v_add_u32_e32 v22, 13, v2
	v_cmp_gt_u64_e32 vcc, s[6:7], v[22:23]
	s_and_saveexec_b64 s[8:9], vcc
; %bb.227:
	s_mov_b32 s10, 0x66666667
	v_mul_hi_i32 v3, v8, s10
	v_lshrrev_b32_e32 v5, 31, v3
	v_ashrrev_i32_e32 v3, 2, v3
	v_add_u32_e32 v3, v3, v5
	v_mul_hi_i32 v5, v9, s10
	v_lshrrev_b32_e32 v6, 31, v5
	v_ashrrev_i32_e32 v5, 2, v5
	v_add_u32_e32 v5, v5, v6
	v_cmp_ne_u32_e32 vcc, v3, v5
	v_cndmask_b32_e64 v23, 0, 1, vcc
; %bb.228:
	s_or_b64 exec, exec, s[8:9]
	v_add_u32_e32 v24, 12, v2
	v_mov_b32_e32 v25, 0
	v_cmp_gt_u64_e32 vcc, s[6:7], v[24:25]
	v_mov_b32_e32 v22, 0
	s_and_saveexec_b64 s[8:9], vcc
; %bb.229:
	s_mov_b32 s10, 0x66666667
	v_mul_hi_i32 v3, v11, s10
	v_lshrrev_b32_e32 v5, 31, v3
	v_ashrrev_i32_e32 v3, 2, v3
	v_add_u32_e32 v3, v3, v5
	v_mul_hi_i32 v5, v8, s10
	v_lshrrev_b32_e32 v6, 31, v5
	v_ashrrev_i32_e32 v5, 2, v5
	v_add_u32_e32 v5, v5, v6
	v_cmp_ne_u32_e32 vcc, v3, v5
	v_cndmask_b32_e64 v22, 0, 1, vcc
; %bb.230:
	s_or_b64 exec, exec, s[8:9]
	v_add_u32_e32 v24, 11, v2
	v_cmp_gt_u64_e32 vcc, s[6:7], v[24:25]
	s_and_saveexec_b64 s[8:9], vcc
; %bb.231:
	s_mov_b32 s10, 0x66666667
	v_mul_hi_i32 v3, v10, s10
	v_lshrrev_b32_e32 v5, 31, v3
	v_ashrrev_i32_e32 v3, 2, v3
	v_add_u32_e32 v3, v3, v5
	v_mul_hi_i32 v5, v11, s10
	v_lshrrev_b32_e32 v6, 31, v5
	v_ashrrev_i32_e32 v5, 2, v5
	v_add_u32_e32 v5, v5, v6
	v_cmp_ne_u32_e32 vcc, v3, v5
	v_cndmask_b32_e64 v25, 0, 1, vcc
; %bb.232:
	s_or_b64 exec, exec, s[8:9]
	v_add_u32_e32 v26, 10, v2
	v_mov_b32_e32 v27, 0
	v_cmp_gt_u64_e32 vcc, s[6:7], v[26:27]
	v_mov_b32_e32 v24, 0
	;; [unrolled: 36-line block ×6, first 2 shown]
	s_and_saveexec_b64 s[8:9], vcc
; %bb.249:
	s_mov_b32 s10, 0x66666667
	v_mul_hi_i32 v3, v21, s10
	v_lshrrev_b32_e32 v5, 31, v3
	v_ashrrev_i32_e32 v3, 2, v3
	v_add_u32_e32 v3, v3, v5
	v_mul_hi_i32 v5, v18, s10
	v_lshrrev_b32_e32 v6, 31, v5
	v_ashrrev_i32_e32 v5, 2, v5
	v_add_u32_e32 v5, v5, v6
	v_cmp_ne_u32_e32 vcc, v3, v5
	v_cndmask_b32_e64 v32, 0, 1, vcc
; %bb.250:
	s_or_b64 exec, exec, s[8:9]
	v_add_u32_e32 v34, 1, v2
	v_cmp_gt_u64_e32 vcc, s[6:7], v[34:35]
	s_and_saveexec_b64 s[8:9], vcc
; %bb.251:
	s_mov_b32 s10, 0x66666667
	v_mul_hi_i32 v3, v20, s10
	v_lshrrev_b32_e32 v5, 31, v3
	v_ashrrev_i32_e32 v3, 2, v3
	v_add_u32_e32 v3, v3, v5
	v_mul_hi_i32 v5, v21, s10
	v_lshrrev_b32_e32 v6, 31, v5
	v_ashrrev_i32_e32 v5, 2, v5
	v_add_u32_e32 v5, v5, v6
	v_cmp_ne_u32_e32 vcc, v3, v5
	v_cndmask_b32_e64 v35, 0, 1, vcc
; %bb.252:
	s_or_b64 exec, exec, s[8:9]
	s_waitcnt lgkmcnt(0)
	s_barrier
	s_waitcnt lgkmcnt(0)
                                        ; implicit-def: $sgpr8_sgpr9
	s_and_saveexec_b64 s[10:11], s[2:3]
	s_cbranch_execz .LBB595_256
; %bb.253:
	v_mov_b32_e32 v3, 0
	v_cmp_gt_u64_e32 vcc, s[6:7], v[2:3]
	s_mov_b64 s[6:7], 0
	s_and_saveexec_b64 s[2:3], vcc
	s_cbranch_execz .LBB595_255
; %bb.254:
	v_add_u32_e32 v2, -4, v4
	ds_read_b32 v2, v2
	s_mov_b32 s6, 0x66666667
	v_mul_hi_i32 v3, v20, s6
	v_lshrrev_b32_e32 v4, 31, v3
	v_ashrrev_i32_e32 v3, 2, v3
	s_waitcnt lgkmcnt(0)
	v_mul_hi_i32 v2, v2, s6
	v_lshrrev_b32_e32 v5, 31, v2
	v_ashrrev_i32_e32 v2, 2, v2
	v_add_u32_e32 v2, v2, v5
	v_add_u32_e32 v3, v3, v4
	v_cmp_ne_u32_e32 vcc, v2, v3
	s_and_b64 s[6:7], vcc, exec
.LBB595_255:
	s_or_b64 exec, exec, s[2:3]
	s_and_b64 s[8:9], s[6:7], exec
	s_or_b64 s[4:5], s[4:5], exec
.LBB595_256:
	s_or_b64 exec, exec, s[10:11]
	s_mov_b32 s12, 1
	v_mov_b32_e32 v82, s12
	s_and_saveexec_b64 s[2:3], s[4:5]
	s_cbranch_execnz .LBB595_115
	s_branch .LBB595_116
.LBB595_257:
	s_and_saveexec_b64 s[42:43], s[30:31]
	s_cbranch_execnz .LBB595_325
; %bb.258:
	s_or_b64 exec, exec, s[42:43]
	s_and_saveexec_b64 s[42:43], s[28:29]
	s_cbranch_execnz .LBB595_326
.LBB595_259:
	s_or_b64 exec, exec, s[42:43]
	s_and_saveexec_b64 s[42:43], s[26:27]
	s_cbranch_execnz .LBB595_327
.LBB595_260:
	s_or_b64 exec, exec, s[42:43]
	s_and_saveexec_b64 s[42:43], s[24:25]
	s_cbranch_execnz .LBB595_328
.LBB595_261:
	s_or_b64 exec, exec, s[42:43]
	s_and_saveexec_b64 s[42:43], s[22:23]
	s_cbranch_execnz .LBB595_329
.LBB595_262:
	s_or_b64 exec, exec, s[42:43]
	s_and_saveexec_b64 s[42:43], s[20:21]
	s_cbranch_execnz .LBB595_330
.LBB595_263:
	s_or_b64 exec, exec, s[42:43]
	s_and_saveexec_b64 s[42:43], s[18:19]
	s_cbranch_execnz .LBB595_331
.LBB595_264:
	s_or_b64 exec, exec, s[42:43]
	s_and_saveexec_b64 s[42:43], s[16:17]
	s_cbranch_execnz .LBB595_332
.LBB595_265:
	s_or_b64 exec, exec, s[42:43]
	s_and_saveexec_b64 s[42:43], s[14:15]
	s_cbranch_execnz .LBB595_333
.LBB595_266:
	s_or_b64 exec, exec, s[42:43]
	s_and_saveexec_b64 s[42:43], s[12:13]
	s_cbranch_execnz .LBB595_334
.LBB595_267:
	s_or_b64 exec, exec, s[42:43]
	s_and_saveexec_b64 s[42:43], s[10:11]
	s_cbranch_execnz .LBB595_335
.LBB595_268:
	s_or_b64 exec, exec, s[42:43]
	s_and_saveexec_b64 s[42:43], s[8:9]
	s_cbranch_execnz .LBB595_336
.LBB595_269:
	s_or_b64 exec, exec, s[42:43]
	s_and_saveexec_b64 s[42:43], s[6:7]
	s_cbranch_execnz .LBB595_337
.LBB595_270:
	s_or_b64 exec, exec, s[42:43]
	s_and_saveexec_b64 s[42:43], s[4:5]
	s_cbranch_execz .LBB595_272
.LBB595_271:
	v_sub_u32_e32 v42, v52, v4
	v_mov_b32_e32 v43, 0
	v_lshlrev_b64 v[42:43], 2, v[42:43]
	v_add_co_u32_e32 v42, vcc, v3, v42
	v_addc_co_u32_e32 v43, vcc, v5, v43, vcc
	global_store_dword v[42:43], v9, off
.LBB595_272:
	s_or_b64 exec, exec, s[42:43]
	s_and_b64 s[42:43], s[2:3], exec
	s_andn2_saveexec_b64 s[34:35], s[34:35]
	s_cbranch_execz .LBB595_165
.LBB595_273:
	v_sub_u32_e32 v42, v78, v4
	v_mov_b32_e32 v43, 0
	v_lshlrev_b64 v[44:45], 2, v[42:43]
	v_add_co_u32_e32 v44, vcc, v3, v44
	v_addc_co_u32_e32 v45, vcc, v5, v45, vcc
	v_sub_u32_e32 v42, v76, v4
	global_store_dword v[44:45], v20, off
	v_lshlrev_b64 v[44:45], 2, v[42:43]
	v_add_co_u32_e32 v44, vcc, v3, v44
	v_addc_co_u32_e32 v45, vcc, v5, v45, vcc
	v_sub_u32_e32 v42, v74, v4
	global_store_dword v[44:45], v21, off
	v_lshlrev_b64 v[44:45], 2, v[42:43]
	v_add_co_u32_e32 v44, vcc, v3, v44
	v_addc_co_u32_e32 v45, vcc, v5, v45, vcc
	v_sub_u32_e32 v42, v72, v4
	global_store_dword v[44:45], v18, off
	v_lshlrev_b64 v[44:45], 2, v[42:43]
	v_add_co_u32_e32 v44, vcc, v3, v44
	v_addc_co_u32_e32 v45, vcc, v5, v45, vcc
	v_sub_u32_e32 v42, v70, v4
	global_store_dword v[44:45], v19, off
	v_lshlrev_b64 v[44:45], 2, v[42:43]
	v_add_co_u32_e32 v44, vcc, v3, v44
	v_addc_co_u32_e32 v45, vcc, v5, v45, vcc
	v_sub_u32_e32 v42, v68, v4
	global_store_dword v[44:45], v16, off
	v_lshlrev_b64 v[44:45], 2, v[42:43]
	v_add_co_u32_e32 v44, vcc, v3, v44
	v_addc_co_u32_e32 v45, vcc, v5, v45, vcc
	v_sub_u32_e32 v42, v66, v4
	global_store_dword v[44:45], v17, off
	v_lshlrev_b64 v[44:45], 2, v[42:43]
	v_add_co_u32_e32 v44, vcc, v3, v44
	v_addc_co_u32_e32 v45, vcc, v5, v45, vcc
	v_sub_u32_e32 v42, v64, v4
	global_store_dword v[44:45], v14, off
	v_lshlrev_b64 v[44:45], 2, v[42:43]
	v_add_co_u32_e32 v44, vcc, v3, v44
	v_addc_co_u32_e32 v45, vcc, v5, v45, vcc
	v_sub_u32_e32 v42, v62, v4
	global_store_dword v[44:45], v15, off
	v_lshlrev_b64 v[44:45], 2, v[42:43]
	v_add_co_u32_e32 v44, vcc, v3, v44
	v_addc_co_u32_e32 v45, vcc, v5, v45, vcc
	v_sub_u32_e32 v42, v60, v4
	global_store_dword v[44:45], v12, off
	v_lshlrev_b64 v[44:45], 2, v[42:43]
	v_add_co_u32_e32 v44, vcc, v3, v44
	v_addc_co_u32_e32 v45, vcc, v5, v45, vcc
	v_sub_u32_e32 v42, v58, v4
	global_store_dword v[44:45], v13, off
	v_lshlrev_b64 v[44:45], 2, v[42:43]
	v_add_co_u32_e32 v44, vcc, v3, v44
	v_addc_co_u32_e32 v45, vcc, v5, v45, vcc
	v_sub_u32_e32 v42, v56, v4
	global_store_dword v[44:45], v10, off
	v_lshlrev_b64 v[44:45], 2, v[42:43]
	v_add_co_u32_e32 v44, vcc, v3, v44
	v_addc_co_u32_e32 v45, vcc, v5, v45, vcc
	v_sub_u32_e32 v42, v54, v4
	global_store_dword v[44:45], v11, off
	v_lshlrev_b64 v[44:45], 2, v[42:43]
	v_add_co_u32_e32 v44, vcc, v3, v44
	v_sub_u32_e32 v42, v52, v4
	v_addc_co_u32_e32 v45, vcc, v5, v45, vcc
	v_lshlrev_b64 v[42:43], 2, v[42:43]
	v_add_co_u32_e32 v42, vcc, v3, v42
	v_addc_co_u32_e32 v43, vcc, v5, v43, vcc
	s_or_b64 s[42:43], s[42:43], exec
	global_store_dword v[44:45], v8, off
	global_store_dword v[42:43], v9, off
	s_or_b64 exec, exec, s[34:35]
	s_and_b64 exec, exec, s[42:43]
	s_cbranch_execnz .LBB595_166
	s_branch .LBB595_167
.LBB595_274:
	s_and_saveexec_b64 s[42:43], s[30:31]
	s_cbranch_execnz .LBB595_338
; %bb.275:
	s_or_b64 exec, exec, s[42:43]
	s_and_saveexec_b64 s[30:31], s[28:29]
	s_cbranch_execnz .LBB595_339
.LBB595_276:
	s_or_b64 exec, exec, s[30:31]
	s_and_saveexec_b64 s[28:29], s[26:27]
	s_cbranch_execnz .LBB595_340
.LBB595_277:
	s_or_b64 exec, exec, s[28:29]
	s_and_saveexec_b64 s[26:27], s[24:25]
	s_cbranch_execnz .LBB595_341
.LBB595_278:
	s_or_b64 exec, exec, s[26:27]
	s_and_saveexec_b64 s[24:25], s[22:23]
	s_cbranch_execnz .LBB595_342
.LBB595_279:
	s_or_b64 exec, exec, s[24:25]
	s_and_saveexec_b64 s[22:23], s[20:21]
	s_cbranch_execnz .LBB595_343
.LBB595_280:
	s_or_b64 exec, exec, s[22:23]
	s_and_saveexec_b64 s[20:21], s[18:19]
	s_cbranch_execnz .LBB595_344
.LBB595_281:
	s_or_b64 exec, exec, s[20:21]
	s_and_saveexec_b64 s[18:19], s[16:17]
	s_cbranch_execnz .LBB595_345
.LBB595_282:
	s_or_b64 exec, exec, s[18:19]
	s_and_saveexec_b64 s[16:17], s[14:15]
	s_cbranch_execnz .LBB595_346
.LBB595_283:
	s_or_b64 exec, exec, s[16:17]
	s_and_saveexec_b64 s[14:15], s[12:13]
	s_cbranch_execnz .LBB595_347
.LBB595_284:
	s_or_b64 exec, exec, s[14:15]
	s_and_saveexec_b64 s[12:13], s[10:11]
	s_cbranch_execnz .LBB595_348
.LBB595_285:
	s_or_b64 exec, exec, s[12:13]
	s_and_saveexec_b64 s[10:11], s[8:9]
	s_cbranch_execnz .LBB595_349
.LBB595_286:
	s_or_b64 exec, exec, s[10:11]
	s_and_saveexec_b64 s[8:9], s[6:7]
	s_cbranch_execnz .LBB595_350
.LBB595_287:
	s_or_b64 exec, exec, s[8:9]
	s_and_saveexec_b64 s[6:7], s[4:5]
	s_cbranch_execz .LBB595_289
.LBB595_288:
	v_sub_u32_e32 v8, v52, v4
	v_lshlrev_b32_e32 v8, 2, v8
	ds_write_b32 v8, v9
.LBB595_289:
	s_or_b64 exec, exec, s[6:7]
	s_and_b64 s[42:43], s[2:3], exec
                                        ; implicit-def: $vgpr20_vgpr21
                                        ; implicit-def: $vgpr18_vgpr19
                                        ; implicit-def: $vgpr16_vgpr17
                                        ; implicit-def: $vgpr14_vgpr15
                                        ; implicit-def: $vgpr12_vgpr13
                                        ; implicit-def: $vgpr10_vgpr11
                                        ; implicit-def: $vgpr8_vgpr9
	s_andn2_saveexec_b64 s[2:3], s[40:41]
	s_cbranch_execz .LBB595_172
.LBB595_290:
	v_sub_u32_e32 v40, v78, v4
	v_lshlrev_b32_e32 v40, 2, v40
	ds_write_b32 v40, v20
	v_sub_u32_e32 v20, v76, v4
	v_lshlrev_b32_e32 v20, 2, v20
	ds_write_b32 v20, v21
	;; [unrolled: 3-line block ×13, first 2 shown]
	v_sub_u32_e32 v8, v52, v4
	v_lshlrev_b32_e32 v8, 2, v8
	s_or_b64 s[42:43], s[42:43], exec
	ds_write_b32 v8, v9
	s_or_b64 exec, exec, s[2:3]
	s_and_b64 exec, exec, s[42:43]
	s_cbranch_execnz .LBB595_173
	s_branch .LBB595_174
.LBB595_291:
	s_and_saveexec_b64 s[38:39], s[28:29]
	s_cbranch_execnz .LBB595_351
; %bb.292:
	s_or_b64 exec, exec, s[38:39]
	s_and_saveexec_b64 s[38:39], s[26:27]
	s_cbranch_execnz .LBB595_352
.LBB595_293:
	s_or_b64 exec, exec, s[38:39]
	s_and_saveexec_b64 s[38:39], s[24:25]
	s_cbranch_execnz .LBB595_353
.LBB595_294:
	s_or_b64 exec, exec, s[38:39]
	s_and_saveexec_b64 s[38:39], s[22:23]
	s_cbranch_execnz .LBB595_354
.LBB595_295:
	s_or_b64 exec, exec, s[38:39]
	s_and_saveexec_b64 s[38:39], s[20:21]
	s_cbranch_execnz .LBB595_355
.LBB595_296:
	s_or_b64 exec, exec, s[38:39]
	s_and_saveexec_b64 s[38:39], s[18:19]
	s_cbranch_execnz .LBB595_356
.LBB595_297:
	s_or_b64 exec, exec, s[38:39]
	s_and_saveexec_b64 s[38:39], s[16:17]
	s_cbranch_execnz .LBB595_357
.LBB595_298:
	s_or_b64 exec, exec, s[38:39]
	s_and_saveexec_b64 s[38:39], s[14:15]
	s_cbranch_execnz .LBB595_358
.LBB595_299:
	s_or_b64 exec, exec, s[38:39]
	s_and_saveexec_b64 s[38:39], s[12:13]
	s_cbranch_execnz .LBB595_359
.LBB595_300:
	s_or_b64 exec, exec, s[38:39]
	s_and_saveexec_b64 s[38:39], s[10:11]
	s_cbranch_execnz .LBB595_360
.LBB595_301:
	s_or_b64 exec, exec, s[38:39]
	s_and_saveexec_b64 s[38:39], s[8:9]
	s_cbranch_execnz .LBB595_361
.LBB595_302:
	s_or_b64 exec, exec, s[38:39]
	s_and_saveexec_b64 s[38:39], s[6:7]
	s_cbranch_execnz .LBB595_362
.LBB595_303:
	s_or_b64 exec, exec, s[38:39]
	s_and_saveexec_b64 s[38:39], s[4:5]
	s_cbranch_execnz .LBB595_363
.LBB595_304:
	s_or_b64 exec, exec, s[38:39]
	s_and_saveexec_b64 s[38:39], s[2:3]
	s_cbranch_execz .LBB595_306
.LBB595_305:
	v_sub_u32_e32 v16, v52, v9
	v_mov_b32_e32 v17, 0
	v_lshlrev_b64 v[16:17], 2, v[16:17]
	v_add_co_u32_e32 v16, vcc, v13, v16
	v_addc_co_u32_e32 v17, vcc, v14, v17, vcc
	global_store_dword v[16:17], v53, off
.LBB595_306:
	s_or_b64 exec, exec, s[38:39]
	s_and_b64 s[38:39], s[0:1], exec
	s_andn2_saveexec_b64 s[30:31], s[30:31]
	s_cbranch_execz .LBB595_194
.LBB595_307:
	v_sub_u32_e32 v16, v78, v9
	v_mov_b32_e32 v17, 0
	v_lshlrev_b64 v[18:19], 2, v[16:17]
	v_add_co_u32_e32 v18, vcc, v13, v18
	v_addc_co_u32_e32 v19, vcc, v14, v19, vcc
	v_sub_u32_e32 v16, v76, v9
	global_store_dword v[18:19], v79, off
	v_lshlrev_b64 v[18:19], 2, v[16:17]
	v_add_co_u32_e32 v18, vcc, v13, v18
	v_addc_co_u32_e32 v19, vcc, v14, v19, vcc
	v_sub_u32_e32 v16, v74, v9
	global_store_dword v[18:19], v77, off
	;; [unrolled: 5-line block ×12, first 2 shown]
	v_lshlrev_b64 v[18:19], 2, v[16:17]
	v_add_co_u32_e32 v18, vcc, v13, v18
	v_sub_u32_e32 v16, v52, v9
	v_addc_co_u32_e32 v19, vcc, v14, v19, vcc
	v_lshlrev_b64 v[16:17], 2, v[16:17]
	v_add_co_u32_e32 v16, vcc, v13, v16
	v_addc_co_u32_e32 v17, vcc, v14, v17, vcc
	s_or_b64 s[38:39], s[38:39], exec
	global_store_dword v[18:19], v55, off
	global_store_dword v[16:17], v53, off
	s_or_b64 exec, exec, s[30:31]
	s_and_b64 exec, exec, s[38:39]
	s_cbranch_execnz .LBB595_195
	s_branch .LBB595_196
.LBB595_308:
	s_and_saveexec_b64 s[38:39], s[28:29]
	s_cbranch_execnz .LBB595_364
; %bb.309:
	s_or_b64 exec, exec, s[38:39]
	s_and_saveexec_b64 s[28:29], s[26:27]
	s_cbranch_execnz .LBB595_365
.LBB595_310:
	s_or_b64 exec, exec, s[28:29]
	s_and_saveexec_b64 s[26:27], s[24:25]
	s_cbranch_execnz .LBB595_366
.LBB595_311:
	s_or_b64 exec, exec, s[26:27]
	s_and_saveexec_b64 s[24:25], s[22:23]
	s_cbranch_execnz .LBB595_367
.LBB595_312:
	s_or_b64 exec, exec, s[24:25]
	s_and_saveexec_b64 s[22:23], s[20:21]
	s_cbranch_execnz .LBB595_368
.LBB595_313:
	s_or_b64 exec, exec, s[22:23]
	s_and_saveexec_b64 s[20:21], s[18:19]
	s_cbranch_execnz .LBB595_369
.LBB595_314:
	s_or_b64 exec, exec, s[20:21]
	s_and_saveexec_b64 s[18:19], s[16:17]
	s_cbranch_execnz .LBB595_370
.LBB595_315:
	s_or_b64 exec, exec, s[18:19]
	s_and_saveexec_b64 s[16:17], s[14:15]
	s_cbranch_execnz .LBB595_371
.LBB595_316:
	s_or_b64 exec, exec, s[16:17]
	s_and_saveexec_b64 s[14:15], s[12:13]
	s_cbranch_execnz .LBB595_372
.LBB595_317:
	s_or_b64 exec, exec, s[14:15]
	s_and_saveexec_b64 s[12:13], s[10:11]
	s_cbranch_execnz .LBB595_373
.LBB595_318:
	s_or_b64 exec, exec, s[12:13]
	s_and_saveexec_b64 s[10:11], s[8:9]
	s_cbranch_execnz .LBB595_374
.LBB595_319:
	s_or_b64 exec, exec, s[10:11]
	s_and_saveexec_b64 s[8:9], s[6:7]
	s_cbranch_execnz .LBB595_375
.LBB595_320:
	s_or_b64 exec, exec, s[8:9]
	s_and_saveexec_b64 s[6:7], s[4:5]
	s_cbranch_execnz .LBB595_376
.LBB595_321:
	s_or_b64 exec, exec, s[6:7]
	s_and_saveexec_b64 s[4:5], s[2:3]
	s_cbranch_execz .LBB595_323
.LBB595_322:
	v_sub_u32_e32 v10, v52, v9
	v_lshlrev_b32_e32 v10, 2, v10
	ds_write_b32 v10, v53
.LBB595_323:
	s_or_b64 exec, exec, s[4:5]
	s_and_b64 s[38:39], s[0:1], exec
                                        ; implicit-def: $vgpr78_vgpr79
                                        ; implicit-def: $vgpr76_vgpr77
                                        ; implicit-def: $vgpr74_vgpr75
                                        ; implicit-def: $vgpr72_vgpr73
                                        ; implicit-def: $vgpr70_vgpr71
                                        ; implicit-def: $vgpr68_vgpr69
                                        ; implicit-def: $vgpr66_vgpr67
                                        ; implicit-def: $vgpr64_vgpr65
                                        ; implicit-def: $vgpr62_vgpr63
                                        ; implicit-def: $vgpr60_vgpr61
                                        ; implicit-def: $vgpr58_vgpr59
                                        ; implicit-def: $vgpr56_vgpr57
                                        ; implicit-def: $vgpr54_vgpr55
                                        ; implicit-def: $vgpr52_vgpr53
	s_andn2_saveexec_b64 s[0:1], s[34:35]
	s_cbranch_execz .LBB595_201
.LBB595_324:
	v_sub_u32_e32 v10, v78, v9
	v_lshlrev_b32_e32 v10, 2, v10
	ds_write_b32 v10, v79
	v_sub_u32_e32 v10, v76, v9
	v_lshlrev_b32_e32 v10, 2, v10
	ds_write_b32 v10, v77
	;; [unrolled: 3-line block ×13, first 2 shown]
	v_sub_u32_e32 v10, v52, v9
	v_lshlrev_b32_e32 v10, 2, v10
	s_or_b64 s[38:39], s[38:39], exec
	ds_write_b32 v10, v53
	s_or_b64 exec, exec, s[0:1]
	s_and_b64 exec, exec, s[38:39]
	s_cbranch_execnz .LBB595_202
	s_branch .LBB595_203
.LBB595_325:
	v_sub_u32_e32 v42, v78, v4
	v_mov_b32_e32 v43, 0
	v_lshlrev_b64 v[42:43], 2, v[42:43]
	v_add_co_u32_e32 v42, vcc, v3, v42
	v_addc_co_u32_e32 v43, vcc, v5, v43, vcc
	global_store_dword v[42:43], v20, off
	s_or_b64 exec, exec, s[42:43]
	s_and_saveexec_b64 s[42:43], s[28:29]
	s_cbranch_execz .LBB595_259
.LBB595_326:
	v_sub_u32_e32 v42, v76, v4
	v_mov_b32_e32 v43, 0
	v_lshlrev_b64 v[42:43], 2, v[42:43]
	v_add_co_u32_e32 v42, vcc, v3, v42
	v_addc_co_u32_e32 v43, vcc, v5, v43, vcc
	global_store_dword v[42:43], v21, off
	s_or_b64 exec, exec, s[42:43]
	s_and_saveexec_b64 s[42:43], s[26:27]
	s_cbranch_execz .LBB595_260
.LBB595_327:
	v_sub_u32_e32 v42, v74, v4
	v_mov_b32_e32 v43, 0
	v_lshlrev_b64 v[42:43], 2, v[42:43]
	v_add_co_u32_e32 v42, vcc, v3, v42
	v_addc_co_u32_e32 v43, vcc, v5, v43, vcc
	global_store_dword v[42:43], v18, off
	s_or_b64 exec, exec, s[42:43]
	s_and_saveexec_b64 s[42:43], s[24:25]
	s_cbranch_execz .LBB595_261
.LBB595_328:
	v_sub_u32_e32 v42, v72, v4
	v_mov_b32_e32 v43, 0
	v_lshlrev_b64 v[42:43], 2, v[42:43]
	v_add_co_u32_e32 v42, vcc, v3, v42
	v_addc_co_u32_e32 v43, vcc, v5, v43, vcc
	global_store_dword v[42:43], v19, off
	s_or_b64 exec, exec, s[42:43]
	s_and_saveexec_b64 s[42:43], s[22:23]
	s_cbranch_execz .LBB595_262
.LBB595_329:
	v_sub_u32_e32 v42, v70, v4
	v_mov_b32_e32 v43, 0
	v_lshlrev_b64 v[42:43], 2, v[42:43]
	v_add_co_u32_e32 v42, vcc, v3, v42
	v_addc_co_u32_e32 v43, vcc, v5, v43, vcc
	global_store_dword v[42:43], v16, off
	s_or_b64 exec, exec, s[42:43]
	s_and_saveexec_b64 s[42:43], s[20:21]
	s_cbranch_execz .LBB595_263
.LBB595_330:
	v_sub_u32_e32 v42, v68, v4
	v_mov_b32_e32 v43, 0
	v_lshlrev_b64 v[42:43], 2, v[42:43]
	v_add_co_u32_e32 v42, vcc, v3, v42
	v_addc_co_u32_e32 v43, vcc, v5, v43, vcc
	global_store_dword v[42:43], v17, off
	s_or_b64 exec, exec, s[42:43]
	s_and_saveexec_b64 s[42:43], s[18:19]
	s_cbranch_execz .LBB595_264
.LBB595_331:
	v_sub_u32_e32 v42, v66, v4
	v_mov_b32_e32 v43, 0
	v_lshlrev_b64 v[42:43], 2, v[42:43]
	v_add_co_u32_e32 v42, vcc, v3, v42
	v_addc_co_u32_e32 v43, vcc, v5, v43, vcc
	global_store_dword v[42:43], v14, off
	s_or_b64 exec, exec, s[42:43]
	s_and_saveexec_b64 s[42:43], s[16:17]
	s_cbranch_execz .LBB595_265
.LBB595_332:
	v_sub_u32_e32 v42, v64, v4
	v_mov_b32_e32 v43, 0
	v_lshlrev_b64 v[42:43], 2, v[42:43]
	v_add_co_u32_e32 v42, vcc, v3, v42
	v_addc_co_u32_e32 v43, vcc, v5, v43, vcc
	global_store_dword v[42:43], v15, off
	s_or_b64 exec, exec, s[42:43]
	s_and_saveexec_b64 s[42:43], s[14:15]
	s_cbranch_execz .LBB595_266
.LBB595_333:
	v_sub_u32_e32 v42, v62, v4
	v_mov_b32_e32 v43, 0
	v_lshlrev_b64 v[42:43], 2, v[42:43]
	v_add_co_u32_e32 v42, vcc, v3, v42
	v_addc_co_u32_e32 v43, vcc, v5, v43, vcc
	global_store_dword v[42:43], v12, off
	s_or_b64 exec, exec, s[42:43]
	s_and_saveexec_b64 s[42:43], s[12:13]
	s_cbranch_execz .LBB595_267
.LBB595_334:
	v_sub_u32_e32 v42, v60, v4
	v_mov_b32_e32 v43, 0
	v_lshlrev_b64 v[42:43], 2, v[42:43]
	v_add_co_u32_e32 v42, vcc, v3, v42
	v_addc_co_u32_e32 v43, vcc, v5, v43, vcc
	global_store_dword v[42:43], v13, off
	s_or_b64 exec, exec, s[42:43]
	s_and_saveexec_b64 s[42:43], s[10:11]
	s_cbranch_execz .LBB595_268
.LBB595_335:
	v_sub_u32_e32 v42, v58, v4
	v_mov_b32_e32 v43, 0
	v_lshlrev_b64 v[42:43], 2, v[42:43]
	v_add_co_u32_e32 v42, vcc, v3, v42
	v_addc_co_u32_e32 v43, vcc, v5, v43, vcc
	global_store_dword v[42:43], v10, off
	s_or_b64 exec, exec, s[42:43]
	s_and_saveexec_b64 s[42:43], s[8:9]
	s_cbranch_execz .LBB595_269
.LBB595_336:
	v_sub_u32_e32 v42, v56, v4
	v_mov_b32_e32 v43, 0
	v_lshlrev_b64 v[42:43], 2, v[42:43]
	v_add_co_u32_e32 v42, vcc, v3, v42
	v_addc_co_u32_e32 v43, vcc, v5, v43, vcc
	global_store_dword v[42:43], v11, off
	s_or_b64 exec, exec, s[42:43]
	s_and_saveexec_b64 s[42:43], s[6:7]
	s_cbranch_execz .LBB595_270
.LBB595_337:
	v_sub_u32_e32 v42, v54, v4
	v_mov_b32_e32 v43, 0
	v_lshlrev_b64 v[42:43], 2, v[42:43]
	v_add_co_u32_e32 v42, vcc, v3, v42
	v_addc_co_u32_e32 v43, vcc, v5, v43, vcc
	global_store_dword v[42:43], v8, off
	s_or_b64 exec, exec, s[42:43]
	s_and_saveexec_b64 s[42:43], s[4:5]
	s_cbranch_execnz .LBB595_271
	s_branch .LBB595_272
.LBB595_338:
	v_sub_u32_e32 v40, v78, v4
	v_lshlrev_b32_e32 v40, 2, v40
	ds_write_b32 v40, v20
	s_or_b64 exec, exec, s[42:43]
	s_and_saveexec_b64 s[30:31], s[28:29]
	s_cbranch_execz .LBB595_276
.LBB595_339:
	v_sub_u32_e32 v20, v76, v4
	v_lshlrev_b32_e32 v20, 2, v20
	ds_write_b32 v20, v21
	s_or_b64 exec, exec, s[30:31]
	s_and_saveexec_b64 s[28:29], s[26:27]
	s_cbranch_execz .LBB595_277
.LBB595_340:
	v_sub_u32_e32 v20, v74, v4
	v_lshlrev_b32_e32 v20, 2, v20
	ds_write_b32 v20, v18
	s_or_b64 exec, exec, s[28:29]
	s_and_saveexec_b64 s[26:27], s[24:25]
	s_cbranch_execz .LBB595_278
.LBB595_341:
	v_sub_u32_e32 v18, v72, v4
	v_lshlrev_b32_e32 v18, 2, v18
	ds_write_b32 v18, v19
	s_or_b64 exec, exec, s[26:27]
	s_and_saveexec_b64 s[24:25], s[22:23]
	s_cbranch_execz .LBB595_279
.LBB595_342:
	v_sub_u32_e32 v18, v70, v4
	v_lshlrev_b32_e32 v18, 2, v18
	ds_write_b32 v18, v16
	s_or_b64 exec, exec, s[24:25]
	s_and_saveexec_b64 s[22:23], s[20:21]
	s_cbranch_execz .LBB595_280
.LBB595_343:
	v_sub_u32_e32 v16, v68, v4
	v_lshlrev_b32_e32 v16, 2, v16
	ds_write_b32 v16, v17
	s_or_b64 exec, exec, s[22:23]
	s_and_saveexec_b64 s[20:21], s[18:19]
	s_cbranch_execz .LBB595_281
.LBB595_344:
	v_sub_u32_e32 v16, v66, v4
	v_lshlrev_b32_e32 v16, 2, v16
	ds_write_b32 v16, v14
	s_or_b64 exec, exec, s[20:21]
	s_and_saveexec_b64 s[18:19], s[16:17]
	s_cbranch_execz .LBB595_282
.LBB595_345:
	v_sub_u32_e32 v14, v64, v4
	v_lshlrev_b32_e32 v14, 2, v14
	ds_write_b32 v14, v15
	s_or_b64 exec, exec, s[18:19]
	s_and_saveexec_b64 s[16:17], s[14:15]
	s_cbranch_execz .LBB595_283
.LBB595_346:
	v_sub_u32_e32 v14, v62, v4
	v_lshlrev_b32_e32 v14, 2, v14
	ds_write_b32 v14, v12
	s_or_b64 exec, exec, s[16:17]
	s_and_saveexec_b64 s[14:15], s[12:13]
	s_cbranch_execz .LBB595_284
.LBB595_347:
	v_sub_u32_e32 v12, v60, v4
	v_lshlrev_b32_e32 v12, 2, v12
	ds_write_b32 v12, v13
	s_or_b64 exec, exec, s[14:15]
	s_and_saveexec_b64 s[12:13], s[10:11]
	s_cbranch_execz .LBB595_285
.LBB595_348:
	v_sub_u32_e32 v12, v58, v4
	v_lshlrev_b32_e32 v12, 2, v12
	ds_write_b32 v12, v10
	s_or_b64 exec, exec, s[12:13]
	s_and_saveexec_b64 s[10:11], s[8:9]
	s_cbranch_execz .LBB595_286
.LBB595_349:
	v_sub_u32_e32 v10, v56, v4
	v_lshlrev_b32_e32 v10, 2, v10
	ds_write_b32 v10, v11
	s_or_b64 exec, exec, s[10:11]
	s_and_saveexec_b64 s[8:9], s[6:7]
	s_cbranch_execz .LBB595_287
.LBB595_350:
	v_sub_u32_e32 v10, v54, v4
	v_lshlrev_b32_e32 v10, 2, v10
	ds_write_b32 v10, v8
	s_or_b64 exec, exec, s[8:9]
	s_and_saveexec_b64 s[6:7], s[4:5]
	s_cbranch_execnz .LBB595_288
	s_branch .LBB595_289
.LBB595_351:
	v_sub_u32_e32 v16, v78, v9
	v_mov_b32_e32 v17, 0
	v_lshlrev_b64 v[16:17], 2, v[16:17]
	v_add_co_u32_e32 v16, vcc, v13, v16
	v_addc_co_u32_e32 v17, vcc, v14, v17, vcc
	global_store_dword v[16:17], v79, off
	s_or_b64 exec, exec, s[38:39]
	s_and_saveexec_b64 s[38:39], s[26:27]
	s_cbranch_execz .LBB595_293
.LBB595_352:
	v_sub_u32_e32 v16, v76, v9
	v_mov_b32_e32 v17, 0
	v_lshlrev_b64 v[16:17], 2, v[16:17]
	v_add_co_u32_e32 v16, vcc, v13, v16
	v_addc_co_u32_e32 v17, vcc, v14, v17, vcc
	global_store_dword v[16:17], v77, off
	s_or_b64 exec, exec, s[38:39]
	s_and_saveexec_b64 s[38:39], s[24:25]
	s_cbranch_execz .LBB595_294
.LBB595_353:
	v_sub_u32_e32 v16, v74, v9
	v_mov_b32_e32 v17, 0
	v_lshlrev_b64 v[16:17], 2, v[16:17]
	v_add_co_u32_e32 v16, vcc, v13, v16
	v_addc_co_u32_e32 v17, vcc, v14, v17, vcc
	global_store_dword v[16:17], v75, off
	s_or_b64 exec, exec, s[38:39]
	s_and_saveexec_b64 s[38:39], s[22:23]
	s_cbranch_execz .LBB595_295
.LBB595_354:
	v_sub_u32_e32 v16, v72, v9
	v_mov_b32_e32 v17, 0
	v_lshlrev_b64 v[16:17], 2, v[16:17]
	v_add_co_u32_e32 v16, vcc, v13, v16
	v_addc_co_u32_e32 v17, vcc, v14, v17, vcc
	global_store_dword v[16:17], v73, off
	s_or_b64 exec, exec, s[38:39]
	s_and_saveexec_b64 s[38:39], s[20:21]
	s_cbranch_execz .LBB595_296
.LBB595_355:
	v_sub_u32_e32 v16, v70, v9
	v_mov_b32_e32 v17, 0
	v_lshlrev_b64 v[16:17], 2, v[16:17]
	v_add_co_u32_e32 v16, vcc, v13, v16
	v_addc_co_u32_e32 v17, vcc, v14, v17, vcc
	global_store_dword v[16:17], v71, off
	s_or_b64 exec, exec, s[38:39]
	s_and_saveexec_b64 s[38:39], s[18:19]
	s_cbranch_execz .LBB595_297
.LBB595_356:
	v_sub_u32_e32 v16, v68, v9
	v_mov_b32_e32 v17, 0
	v_lshlrev_b64 v[16:17], 2, v[16:17]
	v_add_co_u32_e32 v16, vcc, v13, v16
	v_addc_co_u32_e32 v17, vcc, v14, v17, vcc
	global_store_dword v[16:17], v69, off
	s_or_b64 exec, exec, s[38:39]
	s_and_saveexec_b64 s[38:39], s[16:17]
	s_cbranch_execz .LBB595_298
.LBB595_357:
	v_sub_u32_e32 v16, v66, v9
	v_mov_b32_e32 v17, 0
	v_lshlrev_b64 v[16:17], 2, v[16:17]
	v_add_co_u32_e32 v16, vcc, v13, v16
	v_addc_co_u32_e32 v17, vcc, v14, v17, vcc
	global_store_dword v[16:17], v67, off
	s_or_b64 exec, exec, s[38:39]
	s_and_saveexec_b64 s[38:39], s[14:15]
	s_cbranch_execz .LBB595_299
.LBB595_358:
	v_sub_u32_e32 v16, v64, v9
	v_mov_b32_e32 v17, 0
	v_lshlrev_b64 v[16:17], 2, v[16:17]
	v_add_co_u32_e32 v16, vcc, v13, v16
	v_addc_co_u32_e32 v17, vcc, v14, v17, vcc
	global_store_dword v[16:17], v65, off
	s_or_b64 exec, exec, s[38:39]
	s_and_saveexec_b64 s[38:39], s[12:13]
	s_cbranch_execz .LBB595_300
.LBB595_359:
	v_sub_u32_e32 v16, v62, v9
	v_mov_b32_e32 v17, 0
	v_lshlrev_b64 v[16:17], 2, v[16:17]
	v_add_co_u32_e32 v16, vcc, v13, v16
	v_addc_co_u32_e32 v17, vcc, v14, v17, vcc
	global_store_dword v[16:17], v63, off
	s_or_b64 exec, exec, s[38:39]
	s_and_saveexec_b64 s[38:39], s[10:11]
	s_cbranch_execz .LBB595_301
.LBB595_360:
	v_sub_u32_e32 v16, v60, v9
	v_mov_b32_e32 v17, 0
	v_lshlrev_b64 v[16:17], 2, v[16:17]
	v_add_co_u32_e32 v16, vcc, v13, v16
	v_addc_co_u32_e32 v17, vcc, v14, v17, vcc
	global_store_dword v[16:17], v61, off
	s_or_b64 exec, exec, s[38:39]
	s_and_saveexec_b64 s[38:39], s[8:9]
	s_cbranch_execz .LBB595_302
.LBB595_361:
	v_sub_u32_e32 v16, v58, v9
	v_mov_b32_e32 v17, 0
	v_lshlrev_b64 v[16:17], 2, v[16:17]
	v_add_co_u32_e32 v16, vcc, v13, v16
	v_addc_co_u32_e32 v17, vcc, v14, v17, vcc
	global_store_dword v[16:17], v59, off
	s_or_b64 exec, exec, s[38:39]
	s_and_saveexec_b64 s[38:39], s[6:7]
	s_cbranch_execz .LBB595_303
.LBB595_362:
	v_sub_u32_e32 v16, v56, v9
	v_mov_b32_e32 v17, 0
	v_lshlrev_b64 v[16:17], 2, v[16:17]
	v_add_co_u32_e32 v16, vcc, v13, v16
	v_addc_co_u32_e32 v17, vcc, v14, v17, vcc
	global_store_dword v[16:17], v57, off
	s_or_b64 exec, exec, s[38:39]
	s_and_saveexec_b64 s[38:39], s[4:5]
	s_cbranch_execz .LBB595_304
.LBB595_363:
	v_sub_u32_e32 v16, v54, v9
	v_mov_b32_e32 v17, 0
	v_lshlrev_b64 v[16:17], 2, v[16:17]
	v_add_co_u32_e32 v16, vcc, v13, v16
	v_addc_co_u32_e32 v17, vcc, v14, v17, vcc
	global_store_dword v[16:17], v55, off
	s_or_b64 exec, exec, s[38:39]
	s_and_saveexec_b64 s[38:39], s[2:3]
	s_cbranch_execnz .LBB595_305
	s_branch .LBB595_306
.LBB595_364:
	v_sub_u32_e32 v10, v78, v9
	v_lshlrev_b32_e32 v10, 2, v10
	ds_write_b32 v10, v79
	s_or_b64 exec, exec, s[38:39]
	s_and_saveexec_b64 s[28:29], s[26:27]
	s_cbranch_execz .LBB595_310
.LBB595_365:
	v_sub_u32_e32 v10, v76, v9
	v_lshlrev_b32_e32 v10, 2, v10
	ds_write_b32 v10, v77
	s_or_b64 exec, exec, s[28:29]
	s_and_saveexec_b64 s[26:27], s[24:25]
	s_cbranch_execz .LBB595_311
.LBB595_366:
	v_sub_u32_e32 v10, v74, v9
	v_lshlrev_b32_e32 v10, 2, v10
	ds_write_b32 v10, v75
	s_or_b64 exec, exec, s[26:27]
	s_and_saveexec_b64 s[24:25], s[22:23]
	s_cbranch_execz .LBB595_312
.LBB595_367:
	v_sub_u32_e32 v10, v72, v9
	v_lshlrev_b32_e32 v10, 2, v10
	ds_write_b32 v10, v73
	s_or_b64 exec, exec, s[24:25]
	s_and_saveexec_b64 s[22:23], s[20:21]
	s_cbranch_execz .LBB595_313
.LBB595_368:
	v_sub_u32_e32 v10, v70, v9
	v_lshlrev_b32_e32 v10, 2, v10
	ds_write_b32 v10, v71
	s_or_b64 exec, exec, s[22:23]
	s_and_saveexec_b64 s[20:21], s[18:19]
	s_cbranch_execz .LBB595_314
.LBB595_369:
	v_sub_u32_e32 v10, v68, v9
	v_lshlrev_b32_e32 v10, 2, v10
	ds_write_b32 v10, v69
	s_or_b64 exec, exec, s[20:21]
	s_and_saveexec_b64 s[18:19], s[16:17]
	s_cbranch_execz .LBB595_315
.LBB595_370:
	v_sub_u32_e32 v10, v66, v9
	v_lshlrev_b32_e32 v10, 2, v10
	ds_write_b32 v10, v67
	s_or_b64 exec, exec, s[18:19]
	s_and_saveexec_b64 s[16:17], s[14:15]
	s_cbranch_execz .LBB595_316
.LBB595_371:
	v_sub_u32_e32 v10, v64, v9
	v_lshlrev_b32_e32 v10, 2, v10
	ds_write_b32 v10, v65
	s_or_b64 exec, exec, s[16:17]
	s_and_saveexec_b64 s[14:15], s[12:13]
	s_cbranch_execz .LBB595_317
.LBB595_372:
	v_sub_u32_e32 v10, v62, v9
	v_lshlrev_b32_e32 v10, 2, v10
	ds_write_b32 v10, v63
	s_or_b64 exec, exec, s[14:15]
	s_and_saveexec_b64 s[12:13], s[10:11]
	s_cbranch_execz .LBB595_318
.LBB595_373:
	v_sub_u32_e32 v10, v60, v9
	v_lshlrev_b32_e32 v10, 2, v10
	ds_write_b32 v10, v61
	s_or_b64 exec, exec, s[12:13]
	s_and_saveexec_b64 s[10:11], s[8:9]
	s_cbranch_execz .LBB595_319
.LBB595_374:
	v_sub_u32_e32 v10, v58, v9
	v_lshlrev_b32_e32 v10, 2, v10
	ds_write_b32 v10, v59
	s_or_b64 exec, exec, s[10:11]
	s_and_saveexec_b64 s[8:9], s[6:7]
	s_cbranch_execz .LBB595_320
.LBB595_375:
	v_sub_u32_e32 v10, v56, v9
	v_lshlrev_b32_e32 v10, 2, v10
	ds_write_b32 v10, v57
	s_or_b64 exec, exec, s[8:9]
	s_and_saveexec_b64 s[6:7], s[4:5]
	s_cbranch_execz .LBB595_321
.LBB595_376:
	v_sub_u32_e32 v10, v54, v9
	v_lshlrev_b32_e32 v10, 2, v10
	ds_write_b32 v10, v55
	s_or_b64 exec, exec, s[6:7]
	s_and_saveexec_b64 s[4:5], s[2:3]
	s_cbranch_execnz .LBB595_322
	s_branch .LBB595_323
	.section	.rodata,"a",@progbits
	.p2align	6, 0x0
	.amdhsa_kernel _ZN7rocprim17ROCPRIM_400000_NS6detail17trampoline_kernelINS0_14default_configENS1_29reduce_by_key_config_selectorIiiN6thrust23THRUST_200600_302600_NS4plusIiEEEEZZNS1_33reduce_by_key_impl_wrapped_configILNS1_25lookback_scan_determinismE0ES3_S9_NS6_6detail15normal_iteratorINS6_10device_ptrIiEEEESG_SG_SG_PmS8_22is_equal_div_10_reduceIiEEE10hipError_tPvRmT2_T3_mT4_T5_T6_T7_T8_P12ihipStream_tbENKUlT_T0_E_clISt17integral_constantIbLb1EES11_EEDaSW_SX_EUlSW_E_NS1_11comp_targetILNS1_3genE4ELNS1_11target_archE910ELNS1_3gpuE8ELNS1_3repE0EEENS1_30default_config_static_selectorELNS0_4arch9wavefront6targetE1EEEvT1_
		.amdhsa_group_segment_fixed_size 15360
		.amdhsa_private_segment_fixed_size 0
		.amdhsa_kernarg_size 120
		.amdhsa_user_sgpr_count 6
		.amdhsa_user_sgpr_private_segment_buffer 1
		.amdhsa_user_sgpr_dispatch_ptr 0
		.amdhsa_user_sgpr_queue_ptr 0
		.amdhsa_user_sgpr_kernarg_segment_ptr 1
		.amdhsa_user_sgpr_dispatch_id 0
		.amdhsa_user_sgpr_flat_scratch_init 0
		.amdhsa_user_sgpr_kernarg_preload_length 0
		.amdhsa_user_sgpr_kernarg_preload_offset 0
		.amdhsa_user_sgpr_private_segment_size 0
		.amdhsa_uses_dynamic_stack 0
		.amdhsa_system_sgpr_private_segment_wavefront_offset 0
		.amdhsa_system_sgpr_workgroup_id_x 1
		.amdhsa_system_sgpr_workgroup_id_y 0
		.amdhsa_system_sgpr_workgroup_id_z 0
		.amdhsa_system_sgpr_workgroup_info 0
		.amdhsa_system_vgpr_workitem_id 0
		.amdhsa_next_free_vgpr 108
		.amdhsa_next_free_sgpr 66
		.amdhsa_accum_offset 108
		.amdhsa_reserve_vcc 1
		.amdhsa_reserve_flat_scratch 0
		.amdhsa_float_round_mode_32 0
		.amdhsa_float_round_mode_16_64 0
		.amdhsa_float_denorm_mode_32 3
		.amdhsa_float_denorm_mode_16_64 3
		.amdhsa_dx10_clamp 1
		.amdhsa_ieee_mode 1
		.amdhsa_fp16_overflow 0
		.amdhsa_tg_split 0
		.amdhsa_exception_fp_ieee_invalid_op 0
		.amdhsa_exception_fp_denorm_src 0
		.amdhsa_exception_fp_ieee_div_zero 0
		.amdhsa_exception_fp_ieee_overflow 0
		.amdhsa_exception_fp_ieee_underflow 0
		.amdhsa_exception_fp_ieee_inexact 0
		.amdhsa_exception_int_div_zero 0
	.end_amdhsa_kernel
	.section	.text._ZN7rocprim17ROCPRIM_400000_NS6detail17trampoline_kernelINS0_14default_configENS1_29reduce_by_key_config_selectorIiiN6thrust23THRUST_200600_302600_NS4plusIiEEEEZZNS1_33reduce_by_key_impl_wrapped_configILNS1_25lookback_scan_determinismE0ES3_S9_NS6_6detail15normal_iteratorINS6_10device_ptrIiEEEESG_SG_SG_PmS8_22is_equal_div_10_reduceIiEEE10hipError_tPvRmT2_T3_mT4_T5_T6_T7_T8_P12ihipStream_tbENKUlT_T0_E_clISt17integral_constantIbLb1EES11_EEDaSW_SX_EUlSW_E_NS1_11comp_targetILNS1_3genE4ELNS1_11target_archE910ELNS1_3gpuE8ELNS1_3repE0EEENS1_30default_config_static_selectorELNS0_4arch9wavefront6targetE1EEEvT1_,"axG",@progbits,_ZN7rocprim17ROCPRIM_400000_NS6detail17trampoline_kernelINS0_14default_configENS1_29reduce_by_key_config_selectorIiiN6thrust23THRUST_200600_302600_NS4plusIiEEEEZZNS1_33reduce_by_key_impl_wrapped_configILNS1_25lookback_scan_determinismE0ES3_S9_NS6_6detail15normal_iteratorINS6_10device_ptrIiEEEESG_SG_SG_PmS8_22is_equal_div_10_reduceIiEEE10hipError_tPvRmT2_T3_mT4_T5_T6_T7_T8_P12ihipStream_tbENKUlT_T0_E_clISt17integral_constantIbLb1EES11_EEDaSW_SX_EUlSW_E_NS1_11comp_targetILNS1_3genE4ELNS1_11target_archE910ELNS1_3gpuE8ELNS1_3repE0EEENS1_30default_config_static_selectorELNS0_4arch9wavefront6targetE1EEEvT1_,comdat
.Lfunc_end595:
	.size	_ZN7rocprim17ROCPRIM_400000_NS6detail17trampoline_kernelINS0_14default_configENS1_29reduce_by_key_config_selectorIiiN6thrust23THRUST_200600_302600_NS4plusIiEEEEZZNS1_33reduce_by_key_impl_wrapped_configILNS1_25lookback_scan_determinismE0ES3_S9_NS6_6detail15normal_iteratorINS6_10device_ptrIiEEEESG_SG_SG_PmS8_22is_equal_div_10_reduceIiEEE10hipError_tPvRmT2_T3_mT4_T5_T6_T7_T8_P12ihipStream_tbENKUlT_T0_E_clISt17integral_constantIbLb1EES11_EEDaSW_SX_EUlSW_E_NS1_11comp_targetILNS1_3genE4ELNS1_11target_archE910ELNS1_3gpuE8ELNS1_3repE0EEENS1_30default_config_static_selectorELNS0_4arch9wavefront6targetE1EEEvT1_, .Lfunc_end595-_ZN7rocprim17ROCPRIM_400000_NS6detail17trampoline_kernelINS0_14default_configENS1_29reduce_by_key_config_selectorIiiN6thrust23THRUST_200600_302600_NS4plusIiEEEEZZNS1_33reduce_by_key_impl_wrapped_configILNS1_25lookback_scan_determinismE0ES3_S9_NS6_6detail15normal_iteratorINS6_10device_ptrIiEEEESG_SG_SG_PmS8_22is_equal_div_10_reduceIiEEE10hipError_tPvRmT2_T3_mT4_T5_T6_T7_T8_P12ihipStream_tbENKUlT_T0_E_clISt17integral_constantIbLb1EES11_EEDaSW_SX_EUlSW_E_NS1_11comp_targetILNS1_3genE4ELNS1_11target_archE910ELNS1_3gpuE8ELNS1_3repE0EEENS1_30default_config_static_selectorELNS0_4arch9wavefront6targetE1EEEvT1_
                                        ; -- End function
	.section	.AMDGPU.csdata,"",@progbits
; Kernel info:
; codeLenInByte = 19340
; NumSgprs: 70
; NumVgprs: 108
; NumAgprs: 0
; TotalNumVgprs: 108
; ScratchSize: 0
; MemoryBound: 0
; FloatMode: 240
; IeeeMode: 1
; LDSByteSize: 15360 bytes/workgroup (compile time only)
; SGPRBlocks: 8
; VGPRBlocks: 13
; NumSGPRsForWavesPerEU: 70
; NumVGPRsForWavesPerEU: 108
; AccumOffset: 108
; Occupancy: 4
; WaveLimiterHint : 1
; COMPUTE_PGM_RSRC2:SCRATCH_EN: 0
; COMPUTE_PGM_RSRC2:USER_SGPR: 6
; COMPUTE_PGM_RSRC2:TRAP_HANDLER: 0
; COMPUTE_PGM_RSRC2:TGID_X_EN: 1
; COMPUTE_PGM_RSRC2:TGID_Y_EN: 0
; COMPUTE_PGM_RSRC2:TGID_Z_EN: 0
; COMPUTE_PGM_RSRC2:TIDIG_COMP_CNT: 0
; COMPUTE_PGM_RSRC3_GFX90A:ACCUM_OFFSET: 26
; COMPUTE_PGM_RSRC3_GFX90A:TG_SPLIT: 0
	.section	.text._ZN7rocprim17ROCPRIM_400000_NS6detail17trampoline_kernelINS0_14default_configENS1_29reduce_by_key_config_selectorIiiN6thrust23THRUST_200600_302600_NS4plusIiEEEEZZNS1_33reduce_by_key_impl_wrapped_configILNS1_25lookback_scan_determinismE0ES3_S9_NS6_6detail15normal_iteratorINS6_10device_ptrIiEEEESG_SG_SG_PmS8_22is_equal_div_10_reduceIiEEE10hipError_tPvRmT2_T3_mT4_T5_T6_T7_T8_P12ihipStream_tbENKUlT_T0_E_clISt17integral_constantIbLb1EES11_EEDaSW_SX_EUlSW_E_NS1_11comp_targetILNS1_3genE3ELNS1_11target_archE908ELNS1_3gpuE7ELNS1_3repE0EEENS1_30default_config_static_selectorELNS0_4arch9wavefront6targetE1EEEvT1_,"axG",@progbits,_ZN7rocprim17ROCPRIM_400000_NS6detail17trampoline_kernelINS0_14default_configENS1_29reduce_by_key_config_selectorIiiN6thrust23THRUST_200600_302600_NS4plusIiEEEEZZNS1_33reduce_by_key_impl_wrapped_configILNS1_25lookback_scan_determinismE0ES3_S9_NS6_6detail15normal_iteratorINS6_10device_ptrIiEEEESG_SG_SG_PmS8_22is_equal_div_10_reduceIiEEE10hipError_tPvRmT2_T3_mT4_T5_T6_T7_T8_P12ihipStream_tbENKUlT_T0_E_clISt17integral_constantIbLb1EES11_EEDaSW_SX_EUlSW_E_NS1_11comp_targetILNS1_3genE3ELNS1_11target_archE908ELNS1_3gpuE7ELNS1_3repE0EEENS1_30default_config_static_selectorELNS0_4arch9wavefront6targetE1EEEvT1_,comdat
	.protected	_ZN7rocprim17ROCPRIM_400000_NS6detail17trampoline_kernelINS0_14default_configENS1_29reduce_by_key_config_selectorIiiN6thrust23THRUST_200600_302600_NS4plusIiEEEEZZNS1_33reduce_by_key_impl_wrapped_configILNS1_25lookback_scan_determinismE0ES3_S9_NS6_6detail15normal_iteratorINS6_10device_ptrIiEEEESG_SG_SG_PmS8_22is_equal_div_10_reduceIiEEE10hipError_tPvRmT2_T3_mT4_T5_T6_T7_T8_P12ihipStream_tbENKUlT_T0_E_clISt17integral_constantIbLb1EES11_EEDaSW_SX_EUlSW_E_NS1_11comp_targetILNS1_3genE3ELNS1_11target_archE908ELNS1_3gpuE7ELNS1_3repE0EEENS1_30default_config_static_selectorELNS0_4arch9wavefront6targetE1EEEvT1_ ; -- Begin function _ZN7rocprim17ROCPRIM_400000_NS6detail17trampoline_kernelINS0_14default_configENS1_29reduce_by_key_config_selectorIiiN6thrust23THRUST_200600_302600_NS4plusIiEEEEZZNS1_33reduce_by_key_impl_wrapped_configILNS1_25lookback_scan_determinismE0ES3_S9_NS6_6detail15normal_iteratorINS6_10device_ptrIiEEEESG_SG_SG_PmS8_22is_equal_div_10_reduceIiEEE10hipError_tPvRmT2_T3_mT4_T5_T6_T7_T8_P12ihipStream_tbENKUlT_T0_E_clISt17integral_constantIbLb1EES11_EEDaSW_SX_EUlSW_E_NS1_11comp_targetILNS1_3genE3ELNS1_11target_archE908ELNS1_3gpuE7ELNS1_3repE0EEENS1_30default_config_static_selectorELNS0_4arch9wavefront6targetE1EEEvT1_
	.globl	_ZN7rocprim17ROCPRIM_400000_NS6detail17trampoline_kernelINS0_14default_configENS1_29reduce_by_key_config_selectorIiiN6thrust23THRUST_200600_302600_NS4plusIiEEEEZZNS1_33reduce_by_key_impl_wrapped_configILNS1_25lookback_scan_determinismE0ES3_S9_NS6_6detail15normal_iteratorINS6_10device_ptrIiEEEESG_SG_SG_PmS8_22is_equal_div_10_reduceIiEEE10hipError_tPvRmT2_T3_mT4_T5_T6_T7_T8_P12ihipStream_tbENKUlT_T0_E_clISt17integral_constantIbLb1EES11_EEDaSW_SX_EUlSW_E_NS1_11comp_targetILNS1_3genE3ELNS1_11target_archE908ELNS1_3gpuE7ELNS1_3repE0EEENS1_30default_config_static_selectorELNS0_4arch9wavefront6targetE1EEEvT1_
	.p2align	8
	.type	_ZN7rocprim17ROCPRIM_400000_NS6detail17trampoline_kernelINS0_14default_configENS1_29reduce_by_key_config_selectorIiiN6thrust23THRUST_200600_302600_NS4plusIiEEEEZZNS1_33reduce_by_key_impl_wrapped_configILNS1_25lookback_scan_determinismE0ES3_S9_NS6_6detail15normal_iteratorINS6_10device_ptrIiEEEESG_SG_SG_PmS8_22is_equal_div_10_reduceIiEEE10hipError_tPvRmT2_T3_mT4_T5_T6_T7_T8_P12ihipStream_tbENKUlT_T0_E_clISt17integral_constantIbLb1EES11_EEDaSW_SX_EUlSW_E_NS1_11comp_targetILNS1_3genE3ELNS1_11target_archE908ELNS1_3gpuE7ELNS1_3repE0EEENS1_30default_config_static_selectorELNS0_4arch9wavefront6targetE1EEEvT1_,@function
_ZN7rocprim17ROCPRIM_400000_NS6detail17trampoline_kernelINS0_14default_configENS1_29reduce_by_key_config_selectorIiiN6thrust23THRUST_200600_302600_NS4plusIiEEEEZZNS1_33reduce_by_key_impl_wrapped_configILNS1_25lookback_scan_determinismE0ES3_S9_NS6_6detail15normal_iteratorINS6_10device_ptrIiEEEESG_SG_SG_PmS8_22is_equal_div_10_reduceIiEEE10hipError_tPvRmT2_T3_mT4_T5_T6_T7_T8_P12ihipStream_tbENKUlT_T0_E_clISt17integral_constantIbLb1EES11_EEDaSW_SX_EUlSW_E_NS1_11comp_targetILNS1_3genE3ELNS1_11target_archE908ELNS1_3gpuE7ELNS1_3repE0EEENS1_30default_config_static_selectorELNS0_4arch9wavefront6targetE1EEEvT1_: ; @_ZN7rocprim17ROCPRIM_400000_NS6detail17trampoline_kernelINS0_14default_configENS1_29reduce_by_key_config_selectorIiiN6thrust23THRUST_200600_302600_NS4plusIiEEEEZZNS1_33reduce_by_key_impl_wrapped_configILNS1_25lookback_scan_determinismE0ES3_S9_NS6_6detail15normal_iteratorINS6_10device_ptrIiEEEESG_SG_SG_PmS8_22is_equal_div_10_reduceIiEEE10hipError_tPvRmT2_T3_mT4_T5_T6_T7_T8_P12ihipStream_tbENKUlT_T0_E_clISt17integral_constantIbLb1EES11_EEDaSW_SX_EUlSW_E_NS1_11comp_targetILNS1_3genE3ELNS1_11target_archE908ELNS1_3gpuE7ELNS1_3repE0EEENS1_30default_config_static_selectorELNS0_4arch9wavefront6targetE1EEEvT1_
; %bb.0:
	.section	.rodata,"a",@progbits
	.p2align	6, 0x0
	.amdhsa_kernel _ZN7rocprim17ROCPRIM_400000_NS6detail17trampoline_kernelINS0_14default_configENS1_29reduce_by_key_config_selectorIiiN6thrust23THRUST_200600_302600_NS4plusIiEEEEZZNS1_33reduce_by_key_impl_wrapped_configILNS1_25lookback_scan_determinismE0ES3_S9_NS6_6detail15normal_iteratorINS6_10device_ptrIiEEEESG_SG_SG_PmS8_22is_equal_div_10_reduceIiEEE10hipError_tPvRmT2_T3_mT4_T5_T6_T7_T8_P12ihipStream_tbENKUlT_T0_E_clISt17integral_constantIbLb1EES11_EEDaSW_SX_EUlSW_E_NS1_11comp_targetILNS1_3genE3ELNS1_11target_archE908ELNS1_3gpuE7ELNS1_3repE0EEENS1_30default_config_static_selectorELNS0_4arch9wavefront6targetE1EEEvT1_
		.amdhsa_group_segment_fixed_size 0
		.amdhsa_private_segment_fixed_size 0
		.amdhsa_kernarg_size 120
		.amdhsa_user_sgpr_count 6
		.amdhsa_user_sgpr_private_segment_buffer 1
		.amdhsa_user_sgpr_dispatch_ptr 0
		.amdhsa_user_sgpr_queue_ptr 0
		.amdhsa_user_sgpr_kernarg_segment_ptr 1
		.amdhsa_user_sgpr_dispatch_id 0
		.amdhsa_user_sgpr_flat_scratch_init 0
		.amdhsa_user_sgpr_kernarg_preload_length 0
		.amdhsa_user_sgpr_kernarg_preload_offset 0
		.amdhsa_user_sgpr_private_segment_size 0
		.amdhsa_uses_dynamic_stack 0
		.amdhsa_system_sgpr_private_segment_wavefront_offset 0
		.amdhsa_system_sgpr_workgroup_id_x 1
		.amdhsa_system_sgpr_workgroup_id_y 0
		.amdhsa_system_sgpr_workgroup_id_z 0
		.amdhsa_system_sgpr_workgroup_info 0
		.amdhsa_system_vgpr_workitem_id 0
		.amdhsa_next_free_vgpr 1
		.amdhsa_next_free_sgpr 0
		.amdhsa_accum_offset 4
		.amdhsa_reserve_vcc 0
		.amdhsa_reserve_flat_scratch 0
		.amdhsa_float_round_mode_32 0
		.amdhsa_float_round_mode_16_64 0
		.amdhsa_float_denorm_mode_32 3
		.amdhsa_float_denorm_mode_16_64 3
		.amdhsa_dx10_clamp 1
		.amdhsa_ieee_mode 1
		.amdhsa_fp16_overflow 0
		.amdhsa_tg_split 0
		.amdhsa_exception_fp_ieee_invalid_op 0
		.amdhsa_exception_fp_denorm_src 0
		.amdhsa_exception_fp_ieee_div_zero 0
		.amdhsa_exception_fp_ieee_overflow 0
		.amdhsa_exception_fp_ieee_underflow 0
		.amdhsa_exception_fp_ieee_inexact 0
		.amdhsa_exception_int_div_zero 0
	.end_amdhsa_kernel
	.section	.text._ZN7rocprim17ROCPRIM_400000_NS6detail17trampoline_kernelINS0_14default_configENS1_29reduce_by_key_config_selectorIiiN6thrust23THRUST_200600_302600_NS4plusIiEEEEZZNS1_33reduce_by_key_impl_wrapped_configILNS1_25lookback_scan_determinismE0ES3_S9_NS6_6detail15normal_iteratorINS6_10device_ptrIiEEEESG_SG_SG_PmS8_22is_equal_div_10_reduceIiEEE10hipError_tPvRmT2_T3_mT4_T5_T6_T7_T8_P12ihipStream_tbENKUlT_T0_E_clISt17integral_constantIbLb1EES11_EEDaSW_SX_EUlSW_E_NS1_11comp_targetILNS1_3genE3ELNS1_11target_archE908ELNS1_3gpuE7ELNS1_3repE0EEENS1_30default_config_static_selectorELNS0_4arch9wavefront6targetE1EEEvT1_,"axG",@progbits,_ZN7rocprim17ROCPRIM_400000_NS6detail17trampoline_kernelINS0_14default_configENS1_29reduce_by_key_config_selectorIiiN6thrust23THRUST_200600_302600_NS4plusIiEEEEZZNS1_33reduce_by_key_impl_wrapped_configILNS1_25lookback_scan_determinismE0ES3_S9_NS6_6detail15normal_iteratorINS6_10device_ptrIiEEEESG_SG_SG_PmS8_22is_equal_div_10_reduceIiEEE10hipError_tPvRmT2_T3_mT4_T5_T6_T7_T8_P12ihipStream_tbENKUlT_T0_E_clISt17integral_constantIbLb1EES11_EEDaSW_SX_EUlSW_E_NS1_11comp_targetILNS1_3genE3ELNS1_11target_archE908ELNS1_3gpuE7ELNS1_3repE0EEENS1_30default_config_static_selectorELNS0_4arch9wavefront6targetE1EEEvT1_,comdat
.Lfunc_end596:
	.size	_ZN7rocprim17ROCPRIM_400000_NS6detail17trampoline_kernelINS0_14default_configENS1_29reduce_by_key_config_selectorIiiN6thrust23THRUST_200600_302600_NS4plusIiEEEEZZNS1_33reduce_by_key_impl_wrapped_configILNS1_25lookback_scan_determinismE0ES3_S9_NS6_6detail15normal_iteratorINS6_10device_ptrIiEEEESG_SG_SG_PmS8_22is_equal_div_10_reduceIiEEE10hipError_tPvRmT2_T3_mT4_T5_T6_T7_T8_P12ihipStream_tbENKUlT_T0_E_clISt17integral_constantIbLb1EES11_EEDaSW_SX_EUlSW_E_NS1_11comp_targetILNS1_3genE3ELNS1_11target_archE908ELNS1_3gpuE7ELNS1_3repE0EEENS1_30default_config_static_selectorELNS0_4arch9wavefront6targetE1EEEvT1_, .Lfunc_end596-_ZN7rocprim17ROCPRIM_400000_NS6detail17trampoline_kernelINS0_14default_configENS1_29reduce_by_key_config_selectorIiiN6thrust23THRUST_200600_302600_NS4plusIiEEEEZZNS1_33reduce_by_key_impl_wrapped_configILNS1_25lookback_scan_determinismE0ES3_S9_NS6_6detail15normal_iteratorINS6_10device_ptrIiEEEESG_SG_SG_PmS8_22is_equal_div_10_reduceIiEEE10hipError_tPvRmT2_T3_mT4_T5_T6_T7_T8_P12ihipStream_tbENKUlT_T0_E_clISt17integral_constantIbLb1EES11_EEDaSW_SX_EUlSW_E_NS1_11comp_targetILNS1_3genE3ELNS1_11target_archE908ELNS1_3gpuE7ELNS1_3repE0EEENS1_30default_config_static_selectorELNS0_4arch9wavefront6targetE1EEEvT1_
                                        ; -- End function
	.section	.AMDGPU.csdata,"",@progbits
; Kernel info:
; codeLenInByte = 0
; NumSgprs: 4
; NumVgprs: 0
; NumAgprs: 0
; TotalNumVgprs: 0
; ScratchSize: 0
; MemoryBound: 0
; FloatMode: 240
; IeeeMode: 1
; LDSByteSize: 0 bytes/workgroup (compile time only)
; SGPRBlocks: 0
; VGPRBlocks: 0
; NumSGPRsForWavesPerEU: 4
; NumVGPRsForWavesPerEU: 1
; AccumOffset: 4
; Occupancy: 8
; WaveLimiterHint : 0
; COMPUTE_PGM_RSRC2:SCRATCH_EN: 0
; COMPUTE_PGM_RSRC2:USER_SGPR: 6
; COMPUTE_PGM_RSRC2:TRAP_HANDLER: 0
; COMPUTE_PGM_RSRC2:TGID_X_EN: 1
; COMPUTE_PGM_RSRC2:TGID_Y_EN: 0
; COMPUTE_PGM_RSRC2:TGID_Z_EN: 0
; COMPUTE_PGM_RSRC2:TIDIG_COMP_CNT: 0
; COMPUTE_PGM_RSRC3_GFX90A:ACCUM_OFFSET: 0
; COMPUTE_PGM_RSRC3_GFX90A:TG_SPLIT: 0
	.section	.text._ZN7rocprim17ROCPRIM_400000_NS6detail17trampoline_kernelINS0_14default_configENS1_29reduce_by_key_config_selectorIiiN6thrust23THRUST_200600_302600_NS4plusIiEEEEZZNS1_33reduce_by_key_impl_wrapped_configILNS1_25lookback_scan_determinismE0ES3_S9_NS6_6detail15normal_iteratorINS6_10device_ptrIiEEEESG_SG_SG_PmS8_22is_equal_div_10_reduceIiEEE10hipError_tPvRmT2_T3_mT4_T5_T6_T7_T8_P12ihipStream_tbENKUlT_T0_E_clISt17integral_constantIbLb1EES11_EEDaSW_SX_EUlSW_E_NS1_11comp_targetILNS1_3genE2ELNS1_11target_archE906ELNS1_3gpuE6ELNS1_3repE0EEENS1_30default_config_static_selectorELNS0_4arch9wavefront6targetE1EEEvT1_,"axG",@progbits,_ZN7rocprim17ROCPRIM_400000_NS6detail17trampoline_kernelINS0_14default_configENS1_29reduce_by_key_config_selectorIiiN6thrust23THRUST_200600_302600_NS4plusIiEEEEZZNS1_33reduce_by_key_impl_wrapped_configILNS1_25lookback_scan_determinismE0ES3_S9_NS6_6detail15normal_iteratorINS6_10device_ptrIiEEEESG_SG_SG_PmS8_22is_equal_div_10_reduceIiEEE10hipError_tPvRmT2_T3_mT4_T5_T6_T7_T8_P12ihipStream_tbENKUlT_T0_E_clISt17integral_constantIbLb1EES11_EEDaSW_SX_EUlSW_E_NS1_11comp_targetILNS1_3genE2ELNS1_11target_archE906ELNS1_3gpuE6ELNS1_3repE0EEENS1_30default_config_static_selectorELNS0_4arch9wavefront6targetE1EEEvT1_,comdat
	.protected	_ZN7rocprim17ROCPRIM_400000_NS6detail17trampoline_kernelINS0_14default_configENS1_29reduce_by_key_config_selectorIiiN6thrust23THRUST_200600_302600_NS4plusIiEEEEZZNS1_33reduce_by_key_impl_wrapped_configILNS1_25lookback_scan_determinismE0ES3_S9_NS6_6detail15normal_iteratorINS6_10device_ptrIiEEEESG_SG_SG_PmS8_22is_equal_div_10_reduceIiEEE10hipError_tPvRmT2_T3_mT4_T5_T6_T7_T8_P12ihipStream_tbENKUlT_T0_E_clISt17integral_constantIbLb1EES11_EEDaSW_SX_EUlSW_E_NS1_11comp_targetILNS1_3genE2ELNS1_11target_archE906ELNS1_3gpuE6ELNS1_3repE0EEENS1_30default_config_static_selectorELNS0_4arch9wavefront6targetE1EEEvT1_ ; -- Begin function _ZN7rocprim17ROCPRIM_400000_NS6detail17trampoline_kernelINS0_14default_configENS1_29reduce_by_key_config_selectorIiiN6thrust23THRUST_200600_302600_NS4plusIiEEEEZZNS1_33reduce_by_key_impl_wrapped_configILNS1_25lookback_scan_determinismE0ES3_S9_NS6_6detail15normal_iteratorINS6_10device_ptrIiEEEESG_SG_SG_PmS8_22is_equal_div_10_reduceIiEEE10hipError_tPvRmT2_T3_mT4_T5_T6_T7_T8_P12ihipStream_tbENKUlT_T0_E_clISt17integral_constantIbLb1EES11_EEDaSW_SX_EUlSW_E_NS1_11comp_targetILNS1_3genE2ELNS1_11target_archE906ELNS1_3gpuE6ELNS1_3repE0EEENS1_30default_config_static_selectorELNS0_4arch9wavefront6targetE1EEEvT1_
	.globl	_ZN7rocprim17ROCPRIM_400000_NS6detail17trampoline_kernelINS0_14default_configENS1_29reduce_by_key_config_selectorIiiN6thrust23THRUST_200600_302600_NS4plusIiEEEEZZNS1_33reduce_by_key_impl_wrapped_configILNS1_25lookback_scan_determinismE0ES3_S9_NS6_6detail15normal_iteratorINS6_10device_ptrIiEEEESG_SG_SG_PmS8_22is_equal_div_10_reduceIiEEE10hipError_tPvRmT2_T3_mT4_T5_T6_T7_T8_P12ihipStream_tbENKUlT_T0_E_clISt17integral_constantIbLb1EES11_EEDaSW_SX_EUlSW_E_NS1_11comp_targetILNS1_3genE2ELNS1_11target_archE906ELNS1_3gpuE6ELNS1_3repE0EEENS1_30default_config_static_selectorELNS0_4arch9wavefront6targetE1EEEvT1_
	.p2align	8
	.type	_ZN7rocprim17ROCPRIM_400000_NS6detail17trampoline_kernelINS0_14default_configENS1_29reduce_by_key_config_selectorIiiN6thrust23THRUST_200600_302600_NS4plusIiEEEEZZNS1_33reduce_by_key_impl_wrapped_configILNS1_25lookback_scan_determinismE0ES3_S9_NS6_6detail15normal_iteratorINS6_10device_ptrIiEEEESG_SG_SG_PmS8_22is_equal_div_10_reduceIiEEE10hipError_tPvRmT2_T3_mT4_T5_T6_T7_T8_P12ihipStream_tbENKUlT_T0_E_clISt17integral_constantIbLb1EES11_EEDaSW_SX_EUlSW_E_NS1_11comp_targetILNS1_3genE2ELNS1_11target_archE906ELNS1_3gpuE6ELNS1_3repE0EEENS1_30default_config_static_selectorELNS0_4arch9wavefront6targetE1EEEvT1_,@function
_ZN7rocprim17ROCPRIM_400000_NS6detail17trampoline_kernelINS0_14default_configENS1_29reduce_by_key_config_selectorIiiN6thrust23THRUST_200600_302600_NS4plusIiEEEEZZNS1_33reduce_by_key_impl_wrapped_configILNS1_25lookback_scan_determinismE0ES3_S9_NS6_6detail15normal_iteratorINS6_10device_ptrIiEEEESG_SG_SG_PmS8_22is_equal_div_10_reduceIiEEE10hipError_tPvRmT2_T3_mT4_T5_T6_T7_T8_P12ihipStream_tbENKUlT_T0_E_clISt17integral_constantIbLb1EES11_EEDaSW_SX_EUlSW_E_NS1_11comp_targetILNS1_3genE2ELNS1_11target_archE906ELNS1_3gpuE6ELNS1_3repE0EEENS1_30default_config_static_selectorELNS0_4arch9wavefront6targetE1EEEvT1_: ; @_ZN7rocprim17ROCPRIM_400000_NS6detail17trampoline_kernelINS0_14default_configENS1_29reduce_by_key_config_selectorIiiN6thrust23THRUST_200600_302600_NS4plusIiEEEEZZNS1_33reduce_by_key_impl_wrapped_configILNS1_25lookback_scan_determinismE0ES3_S9_NS6_6detail15normal_iteratorINS6_10device_ptrIiEEEESG_SG_SG_PmS8_22is_equal_div_10_reduceIiEEE10hipError_tPvRmT2_T3_mT4_T5_T6_T7_T8_P12ihipStream_tbENKUlT_T0_E_clISt17integral_constantIbLb1EES11_EEDaSW_SX_EUlSW_E_NS1_11comp_targetILNS1_3genE2ELNS1_11target_archE906ELNS1_3gpuE6ELNS1_3repE0EEENS1_30default_config_static_selectorELNS0_4arch9wavefront6targetE1EEEvT1_
; %bb.0:
	.section	.rodata,"a",@progbits
	.p2align	6, 0x0
	.amdhsa_kernel _ZN7rocprim17ROCPRIM_400000_NS6detail17trampoline_kernelINS0_14default_configENS1_29reduce_by_key_config_selectorIiiN6thrust23THRUST_200600_302600_NS4plusIiEEEEZZNS1_33reduce_by_key_impl_wrapped_configILNS1_25lookback_scan_determinismE0ES3_S9_NS6_6detail15normal_iteratorINS6_10device_ptrIiEEEESG_SG_SG_PmS8_22is_equal_div_10_reduceIiEEE10hipError_tPvRmT2_T3_mT4_T5_T6_T7_T8_P12ihipStream_tbENKUlT_T0_E_clISt17integral_constantIbLb1EES11_EEDaSW_SX_EUlSW_E_NS1_11comp_targetILNS1_3genE2ELNS1_11target_archE906ELNS1_3gpuE6ELNS1_3repE0EEENS1_30default_config_static_selectorELNS0_4arch9wavefront6targetE1EEEvT1_
		.amdhsa_group_segment_fixed_size 0
		.amdhsa_private_segment_fixed_size 0
		.amdhsa_kernarg_size 120
		.amdhsa_user_sgpr_count 6
		.amdhsa_user_sgpr_private_segment_buffer 1
		.amdhsa_user_sgpr_dispatch_ptr 0
		.amdhsa_user_sgpr_queue_ptr 0
		.amdhsa_user_sgpr_kernarg_segment_ptr 1
		.amdhsa_user_sgpr_dispatch_id 0
		.amdhsa_user_sgpr_flat_scratch_init 0
		.amdhsa_user_sgpr_kernarg_preload_length 0
		.amdhsa_user_sgpr_kernarg_preload_offset 0
		.amdhsa_user_sgpr_private_segment_size 0
		.amdhsa_uses_dynamic_stack 0
		.amdhsa_system_sgpr_private_segment_wavefront_offset 0
		.amdhsa_system_sgpr_workgroup_id_x 1
		.amdhsa_system_sgpr_workgroup_id_y 0
		.amdhsa_system_sgpr_workgroup_id_z 0
		.amdhsa_system_sgpr_workgroup_info 0
		.amdhsa_system_vgpr_workitem_id 0
		.amdhsa_next_free_vgpr 1
		.amdhsa_next_free_sgpr 0
		.amdhsa_accum_offset 4
		.amdhsa_reserve_vcc 0
		.amdhsa_reserve_flat_scratch 0
		.amdhsa_float_round_mode_32 0
		.amdhsa_float_round_mode_16_64 0
		.amdhsa_float_denorm_mode_32 3
		.amdhsa_float_denorm_mode_16_64 3
		.amdhsa_dx10_clamp 1
		.amdhsa_ieee_mode 1
		.amdhsa_fp16_overflow 0
		.amdhsa_tg_split 0
		.amdhsa_exception_fp_ieee_invalid_op 0
		.amdhsa_exception_fp_denorm_src 0
		.amdhsa_exception_fp_ieee_div_zero 0
		.amdhsa_exception_fp_ieee_overflow 0
		.amdhsa_exception_fp_ieee_underflow 0
		.amdhsa_exception_fp_ieee_inexact 0
		.amdhsa_exception_int_div_zero 0
	.end_amdhsa_kernel
	.section	.text._ZN7rocprim17ROCPRIM_400000_NS6detail17trampoline_kernelINS0_14default_configENS1_29reduce_by_key_config_selectorIiiN6thrust23THRUST_200600_302600_NS4plusIiEEEEZZNS1_33reduce_by_key_impl_wrapped_configILNS1_25lookback_scan_determinismE0ES3_S9_NS6_6detail15normal_iteratorINS6_10device_ptrIiEEEESG_SG_SG_PmS8_22is_equal_div_10_reduceIiEEE10hipError_tPvRmT2_T3_mT4_T5_T6_T7_T8_P12ihipStream_tbENKUlT_T0_E_clISt17integral_constantIbLb1EES11_EEDaSW_SX_EUlSW_E_NS1_11comp_targetILNS1_3genE2ELNS1_11target_archE906ELNS1_3gpuE6ELNS1_3repE0EEENS1_30default_config_static_selectorELNS0_4arch9wavefront6targetE1EEEvT1_,"axG",@progbits,_ZN7rocprim17ROCPRIM_400000_NS6detail17trampoline_kernelINS0_14default_configENS1_29reduce_by_key_config_selectorIiiN6thrust23THRUST_200600_302600_NS4plusIiEEEEZZNS1_33reduce_by_key_impl_wrapped_configILNS1_25lookback_scan_determinismE0ES3_S9_NS6_6detail15normal_iteratorINS6_10device_ptrIiEEEESG_SG_SG_PmS8_22is_equal_div_10_reduceIiEEE10hipError_tPvRmT2_T3_mT4_T5_T6_T7_T8_P12ihipStream_tbENKUlT_T0_E_clISt17integral_constantIbLb1EES11_EEDaSW_SX_EUlSW_E_NS1_11comp_targetILNS1_3genE2ELNS1_11target_archE906ELNS1_3gpuE6ELNS1_3repE0EEENS1_30default_config_static_selectorELNS0_4arch9wavefront6targetE1EEEvT1_,comdat
.Lfunc_end597:
	.size	_ZN7rocprim17ROCPRIM_400000_NS6detail17trampoline_kernelINS0_14default_configENS1_29reduce_by_key_config_selectorIiiN6thrust23THRUST_200600_302600_NS4plusIiEEEEZZNS1_33reduce_by_key_impl_wrapped_configILNS1_25lookback_scan_determinismE0ES3_S9_NS6_6detail15normal_iteratorINS6_10device_ptrIiEEEESG_SG_SG_PmS8_22is_equal_div_10_reduceIiEEE10hipError_tPvRmT2_T3_mT4_T5_T6_T7_T8_P12ihipStream_tbENKUlT_T0_E_clISt17integral_constantIbLb1EES11_EEDaSW_SX_EUlSW_E_NS1_11comp_targetILNS1_3genE2ELNS1_11target_archE906ELNS1_3gpuE6ELNS1_3repE0EEENS1_30default_config_static_selectorELNS0_4arch9wavefront6targetE1EEEvT1_, .Lfunc_end597-_ZN7rocprim17ROCPRIM_400000_NS6detail17trampoline_kernelINS0_14default_configENS1_29reduce_by_key_config_selectorIiiN6thrust23THRUST_200600_302600_NS4plusIiEEEEZZNS1_33reduce_by_key_impl_wrapped_configILNS1_25lookback_scan_determinismE0ES3_S9_NS6_6detail15normal_iteratorINS6_10device_ptrIiEEEESG_SG_SG_PmS8_22is_equal_div_10_reduceIiEEE10hipError_tPvRmT2_T3_mT4_T5_T6_T7_T8_P12ihipStream_tbENKUlT_T0_E_clISt17integral_constantIbLb1EES11_EEDaSW_SX_EUlSW_E_NS1_11comp_targetILNS1_3genE2ELNS1_11target_archE906ELNS1_3gpuE6ELNS1_3repE0EEENS1_30default_config_static_selectorELNS0_4arch9wavefront6targetE1EEEvT1_
                                        ; -- End function
	.section	.AMDGPU.csdata,"",@progbits
; Kernel info:
; codeLenInByte = 0
; NumSgprs: 4
; NumVgprs: 0
; NumAgprs: 0
; TotalNumVgprs: 0
; ScratchSize: 0
; MemoryBound: 0
; FloatMode: 240
; IeeeMode: 1
; LDSByteSize: 0 bytes/workgroup (compile time only)
; SGPRBlocks: 0
; VGPRBlocks: 0
; NumSGPRsForWavesPerEU: 4
; NumVGPRsForWavesPerEU: 1
; AccumOffset: 4
; Occupancy: 8
; WaveLimiterHint : 0
; COMPUTE_PGM_RSRC2:SCRATCH_EN: 0
; COMPUTE_PGM_RSRC2:USER_SGPR: 6
; COMPUTE_PGM_RSRC2:TRAP_HANDLER: 0
; COMPUTE_PGM_RSRC2:TGID_X_EN: 1
; COMPUTE_PGM_RSRC2:TGID_Y_EN: 0
; COMPUTE_PGM_RSRC2:TGID_Z_EN: 0
; COMPUTE_PGM_RSRC2:TIDIG_COMP_CNT: 0
; COMPUTE_PGM_RSRC3_GFX90A:ACCUM_OFFSET: 0
; COMPUTE_PGM_RSRC3_GFX90A:TG_SPLIT: 0
	.section	.text._ZN7rocprim17ROCPRIM_400000_NS6detail17trampoline_kernelINS0_14default_configENS1_29reduce_by_key_config_selectorIiiN6thrust23THRUST_200600_302600_NS4plusIiEEEEZZNS1_33reduce_by_key_impl_wrapped_configILNS1_25lookback_scan_determinismE0ES3_S9_NS6_6detail15normal_iteratorINS6_10device_ptrIiEEEESG_SG_SG_PmS8_22is_equal_div_10_reduceIiEEE10hipError_tPvRmT2_T3_mT4_T5_T6_T7_T8_P12ihipStream_tbENKUlT_T0_E_clISt17integral_constantIbLb1EES11_EEDaSW_SX_EUlSW_E_NS1_11comp_targetILNS1_3genE10ELNS1_11target_archE1201ELNS1_3gpuE5ELNS1_3repE0EEENS1_30default_config_static_selectorELNS0_4arch9wavefront6targetE1EEEvT1_,"axG",@progbits,_ZN7rocprim17ROCPRIM_400000_NS6detail17trampoline_kernelINS0_14default_configENS1_29reduce_by_key_config_selectorIiiN6thrust23THRUST_200600_302600_NS4plusIiEEEEZZNS1_33reduce_by_key_impl_wrapped_configILNS1_25lookback_scan_determinismE0ES3_S9_NS6_6detail15normal_iteratorINS6_10device_ptrIiEEEESG_SG_SG_PmS8_22is_equal_div_10_reduceIiEEE10hipError_tPvRmT2_T3_mT4_T5_T6_T7_T8_P12ihipStream_tbENKUlT_T0_E_clISt17integral_constantIbLb1EES11_EEDaSW_SX_EUlSW_E_NS1_11comp_targetILNS1_3genE10ELNS1_11target_archE1201ELNS1_3gpuE5ELNS1_3repE0EEENS1_30default_config_static_selectorELNS0_4arch9wavefront6targetE1EEEvT1_,comdat
	.protected	_ZN7rocprim17ROCPRIM_400000_NS6detail17trampoline_kernelINS0_14default_configENS1_29reduce_by_key_config_selectorIiiN6thrust23THRUST_200600_302600_NS4plusIiEEEEZZNS1_33reduce_by_key_impl_wrapped_configILNS1_25lookback_scan_determinismE0ES3_S9_NS6_6detail15normal_iteratorINS6_10device_ptrIiEEEESG_SG_SG_PmS8_22is_equal_div_10_reduceIiEEE10hipError_tPvRmT2_T3_mT4_T5_T6_T7_T8_P12ihipStream_tbENKUlT_T0_E_clISt17integral_constantIbLb1EES11_EEDaSW_SX_EUlSW_E_NS1_11comp_targetILNS1_3genE10ELNS1_11target_archE1201ELNS1_3gpuE5ELNS1_3repE0EEENS1_30default_config_static_selectorELNS0_4arch9wavefront6targetE1EEEvT1_ ; -- Begin function _ZN7rocprim17ROCPRIM_400000_NS6detail17trampoline_kernelINS0_14default_configENS1_29reduce_by_key_config_selectorIiiN6thrust23THRUST_200600_302600_NS4plusIiEEEEZZNS1_33reduce_by_key_impl_wrapped_configILNS1_25lookback_scan_determinismE0ES3_S9_NS6_6detail15normal_iteratorINS6_10device_ptrIiEEEESG_SG_SG_PmS8_22is_equal_div_10_reduceIiEEE10hipError_tPvRmT2_T3_mT4_T5_T6_T7_T8_P12ihipStream_tbENKUlT_T0_E_clISt17integral_constantIbLb1EES11_EEDaSW_SX_EUlSW_E_NS1_11comp_targetILNS1_3genE10ELNS1_11target_archE1201ELNS1_3gpuE5ELNS1_3repE0EEENS1_30default_config_static_selectorELNS0_4arch9wavefront6targetE1EEEvT1_
	.globl	_ZN7rocprim17ROCPRIM_400000_NS6detail17trampoline_kernelINS0_14default_configENS1_29reduce_by_key_config_selectorIiiN6thrust23THRUST_200600_302600_NS4plusIiEEEEZZNS1_33reduce_by_key_impl_wrapped_configILNS1_25lookback_scan_determinismE0ES3_S9_NS6_6detail15normal_iteratorINS6_10device_ptrIiEEEESG_SG_SG_PmS8_22is_equal_div_10_reduceIiEEE10hipError_tPvRmT2_T3_mT4_T5_T6_T7_T8_P12ihipStream_tbENKUlT_T0_E_clISt17integral_constantIbLb1EES11_EEDaSW_SX_EUlSW_E_NS1_11comp_targetILNS1_3genE10ELNS1_11target_archE1201ELNS1_3gpuE5ELNS1_3repE0EEENS1_30default_config_static_selectorELNS0_4arch9wavefront6targetE1EEEvT1_
	.p2align	8
	.type	_ZN7rocprim17ROCPRIM_400000_NS6detail17trampoline_kernelINS0_14default_configENS1_29reduce_by_key_config_selectorIiiN6thrust23THRUST_200600_302600_NS4plusIiEEEEZZNS1_33reduce_by_key_impl_wrapped_configILNS1_25lookback_scan_determinismE0ES3_S9_NS6_6detail15normal_iteratorINS6_10device_ptrIiEEEESG_SG_SG_PmS8_22is_equal_div_10_reduceIiEEE10hipError_tPvRmT2_T3_mT4_T5_T6_T7_T8_P12ihipStream_tbENKUlT_T0_E_clISt17integral_constantIbLb1EES11_EEDaSW_SX_EUlSW_E_NS1_11comp_targetILNS1_3genE10ELNS1_11target_archE1201ELNS1_3gpuE5ELNS1_3repE0EEENS1_30default_config_static_selectorELNS0_4arch9wavefront6targetE1EEEvT1_,@function
_ZN7rocprim17ROCPRIM_400000_NS6detail17trampoline_kernelINS0_14default_configENS1_29reduce_by_key_config_selectorIiiN6thrust23THRUST_200600_302600_NS4plusIiEEEEZZNS1_33reduce_by_key_impl_wrapped_configILNS1_25lookback_scan_determinismE0ES3_S9_NS6_6detail15normal_iteratorINS6_10device_ptrIiEEEESG_SG_SG_PmS8_22is_equal_div_10_reduceIiEEE10hipError_tPvRmT2_T3_mT4_T5_T6_T7_T8_P12ihipStream_tbENKUlT_T0_E_clISt17integral_constantIbLb1EES11_EEDaSW_SX_EUlSW_E_NS1_11comp_targetILNS1_3genE10ELNS1_11target_archE1201ELNS1_3gpuE5ELNS1_3repE0EEENS1_30default_config_static_selectorELNS0_4arch9wavefront6targetE1EEEvT1_: ; @_ZN7rocprim17ROCPRIM_400000_NS6detail17trampoline_kernelINS0_14default_configENS1_29reduce_by_key_config_selectorIiiN6thrust23THRUST_200600_302600_NS4plusIiEEEEZZNS1_33reduce_by_key_impl_wrapped_configILNS1_25lookback_scan_determinismE0ES3_S9_NS6_6detail15normal_iteratorINS6_10device_ptrIiEEEESG_SG_SG_PmS8_22is_equal_div_10_reduceIiEEE10hipError_tPvRmT2_T3_mT4_T5_T6_T7_T8_P12ihipStream_tbENKUlT_T0_E_clISt17integral_constantIbLb1EES11_EEDaSW_SX_EUlSW_E_NS1_11comp_targetILNS1_3genE10ELNS1_11target_archE1201ELNS1_3gpuE5ELNS1_3repE0EEENS1_30default_config_static_selectorELNS0_4arch9wavefront6targetE1EEEvT1_
; %bb.0:
	.section	.rodata,"a",@progbits
	.p2align	6, 0x0
	.amdhsa_kernel _ZN7rocprim17ROCPRIM_400000_NS6detail17trampoline_kernelINS0_14default_configENS1_29reduce_by_key_config_selectorIiiN6thrust23THRUST_200600_302600_NS4plusIiEEEEZZNS1_33reduce_by_key_impl_wrapped_configILNS1_25lookback_scan_determinismE0ES3_S9_NS6_6detail15normal_iteratorINS6_10device_ptrIiEEEESG_SG_SG_PmS8_22is_equal_div_10_reduceIiEEE10hipError_tPvRmT2_T3_mT4_T5_T6_T7_T8_P12ihipStream_tbENKUlT_T0_E_clISt17integral_constantIbLb1EES11_EEDaSW_SX_EUlSW_E_NS1_11comp_targetILNS1_3genE10ELNS1_11target_archE1201ELNS1_3gpuE5ELNS1_3repE0EEENS1_30default_config_static_selectorELNS0_4arch9wavefront6targetE1EEEvT1_
		.amdhsa_group_segment_fixed_size 0
		.amdhsa_private_segment_fixed_size 0
		.amdhsa_kernarg_size 120
		.amdhsa_user_sgpr_count 6
		.amdhsa_user_sgpr_private_segment_buffer 1
		.amdhsa_user_sgpr_dispatch_ptr 0
		.amdhsa_user_sgpr_queue_ptr 0
		.amdhsa_user_sgpr_kernarg_segment_ptr 1
		.amdhsa_user_sgpr_dispatch_id 0
		.amdhsa_user_sgpr_flat_scratch_init 0
		.amdhsa_user_sgpr_kernarg_preload_length 0
		.amdhsa_user_sgpr_kernarg_preload_offset 0
		.amdhsa_user_sgpr_private_segment_size 0
		.amdhsa_uses_dynamic_stack 0
		.amdhsa_system_sgpr_private_segment_wavefront_offset 0
		.amdhsa_system_sgpr_workgroup_id_x 1
		.amdhsa_system_sgpr_workgroup_id_y 0
		.amdhsa_system_sgpr_workgroup_id_z 0
		.amdhsa_system_sgpr_workgroup_info 0
		.amdhsa_system_vgpr_workitem_id 0
		.amdhsa_next_free_vgpr 1
		.amdhsa_next_free_sgpr 0
		.amdhsa_accum_offset 4
		.amdhsa_reserve_vcc 0
		.amdhsa_reserve_flat_scratch 0
		.amdhsa_float_round_mode_32 0
		.amdhsa_float_round_mode_16_64 0
		.amdhsa_float_denorm_mode_32 3
		.amdhsa_float_denorm_mode_16_64 3
		.amdhsa_dx10_clamp 1
		.amdhsa_ieee_mode 1
		.amdhsa_fp16_overflow 0
		.amdhsa_tg_split 0
		.amdhsa_exception_fp_ieee_invalid_op 0
		.amdhsa_exception_fp_denorm_src 0
		.amdhsa_exception_fp_ieee_div_zero 0
		.amdhsa_exception_fp_ieee_overflow 0
		.amdhsa_exception_fp_ieee_underflow 0
		.amdhsa_exception_fp_ieee_inexact 0
		.amdhsa_exception_int_div_zero 0
	.end_amdhsa_kernel
	.section	.text._ZN7rocprim17ROCPRIM_400000_NS6detail17trampoline_kernelINS0_14default_configENS1_29reduce_by_key_config_selectorIiiN6thrust23THRUST_200600_302600_NS4plusIiEEEEZZNS1_33reduce_by_key_impl_wrapped_configILNS1_25lookback_scan_determinismE0ES3_S9_NS6_6detail15normal_iteratorINS6_10device_ptrIiEEEESG_SG_SG_PmS8_22is_equal_div_10_reduceIiEEE10hipError_tPvRmT2_T3_mT4_T5_T6_T7_T8_P12ihipStream_tbENKUlT_T0_E_clISt17integral_constantIbLb1EES11_EEDaSW_SX_EUlSW_E_NS1_11comp_targetILNS1_3genE10ELNS1_11target_archE1201ELNS1_3gpuE5ELNS1_3repE0EEENS1_30default_config_static_selectorELNS0_4arch9wavefront6targetE1EEEvT1_,"axG",@progbits,_ZN7rocprim17ROCPRIM_400000_NS6detail17trampoline_kernelINS0_14default_configENS1_29reduce_by_key_config_selectorIiiN6thrust23THRUST_200600_302600_NS4plusIiEEEEZZNS1_33reduce_by_key_impl_wrapped_configILNS1_25lookback_scan_determinismE0ES3_S9_NS6_6detail15normal_iteratorINS6_10device_ptrIiEEEESG_SG_SG_PmS8_22is_equal_div_10_reduceIiEEE10hipError_tPvRmT2_T3_mT4_T5_T6_T7_T8_P12ihipStream_tbENKUlT_T0_E_clISt17integral_constantIbLb1EES11_EEDaSW_SX_EUlSW_E_NS1_11comp_targetILNS1_3genE10ELNS1_11target_archE1201ELNS1_3gpuE5ELNS1_3repE0EEENS1_30default_config_static_selectorELNS0_4arch9wavefront6targetE1EEEvT1_,comdat
.Lfunc_end598:
	.size	_ZN7rocprim17ROCPRIM_400000_NS6detail17trampoline_kernelINS0_14default_configENS1_29reduce_by_key_config_selectorIiiN6thrust23THRUST_200600_302600_NS4plusIiEEEEZZNS1_33reduce_by_key_impl_wrapped_configILNS1_25lookback_scan_determinismE0ES3_S9_NS6_6detail15normal_iteratorINS6_10device_ptrIiEEEESG_SG_SG_PmS8_22is_equal_div_10_reduceIiEEE10hipError_tPvRmT2_T3_mT4_T5_T6_T7_T8_P12ihipStream_tbENKUlT_T0_E_clISt17integral_constantIbLb1EES11_EEDaSW_SX_EUlSW_E_NS1_11comp_targetILNS1_3genE10ELNS1_11target_archE1201ELNS1_3gpuE5ELNS1_3repE0EEENS1_30default_config_static_selectorELNS0_4arch9wavefront6targetE1EEEvT1_, .Lfunc_end598-_ZN7rocprim17ROCPRIM_400000_NS6detail17trampoline_kernelINS0_14default_configENS1_29reduce_by_key_config_selectorIiiN6thrust23THRUST_200600_302600_NS4plusIiEEEEZZNS1_33reduce_by_key_impl_wrapped_configILNS1_25lookback_scan_determinismE0ES3_S9_NS6_6detail15normal_iteratorINS6_10device_ptrIiEEEESG_SG_SG_PmS8_22is_equal_div_10_reduceIiEEE10hipError_tPvRmT2_T3_mT4_T5_T6_T7_T8_P12ihipStream_tbENKUlT_T0_E_clISt17integral_constantIbLb1EES11_EEDaSW_SX_EUlSW_E_NS1_11comp_targetILNS1_3genE10ELNS1_11target_archE1201ELNS1_3gpuE5ELNS1_3repE0EEENS1_30default_config_static_selectorELNS0_4arch9wavefront6targetE1EEEvT1_
                                        ; -- End function
	.section	.AMDGPU.csdata,"",@progbits
; Kernel info:
; codeLenInByte = 0
; NumSgprs: 4
; NumVgprs: 0
; NumAgprs: 0
; TotalNumVgprs: 0
; ScratchSize: 0
; MemoryBound: 0
; FloatMode: 240
; IeeeMode: 1
; LDSByteSize: 0 bytes/workgroup (compile time only)
; SGPRBlocks: 0
; VGPRBlocks: 0
; NumSGPRsForWavesPerEU: 4
; NumVGPRsForWavesPerEU: 1
; AccumOffset: 4
; Occupancy: 8
; WaveLimiterHint : 0
; COMPUTE_PGM_RSRC2:SCRATCH_EN: 0
; COMPUTE_PGM_RSRC2:USER_SGPR: 6
; COMPUTE_PGM_RSRC2:TRAP_HANDLER: 0
; COMPUTE_PGM_RSRC2:TGID_X_EN: 1
; COMPUTE_PGM_RSRC2:TGID_Y_EN: 0
; COMPUTE_PGM_RSRC2:TGID_Z_EN: 0
; COMPUTE_PGM_RSRC2:TIDIG_COMP_CNT: 0
; COMPUTE_PGM_RSRC3_GFX90A:ACCUM_OFFSET: 0
; COMPUTE_PGM_RSRC3_GFX90A:TG_SPLIT: 0
	.section	.text._ZN7rocprim17ROCPRIM_400000_NS6detail17trampoline_kernelINS0_14default_configENS1_29reduce_by_key_config_selectorIiiN6thrust23THRUST_200600_302600_NS4plusIiEEEEZZNS1_33reduce_by_key_impl_wrapped_configILNS1_25lookback_scan_determinismE0ES3_S9_NS6_6detail15normal_iteratorINS6_10device_ptrIiEEEESG_SG_SG_PmS8_22is_equal_div_10_reduceIiEEE10hipError_tPvRmT2_T3_mT4_T5_T6_T7_T8_P12ihipStream_tbENKUlT_T0_E_clISt17integral_constantIbLb1EES11_EEDaSW_SX_EUlSW_E_NS1_11comp_targetILNS1_3genE10ELNS1_11target_archE1200ELNS1_3gpuE4ELNS1_3repE0EEENS1_30default_config_static_selectorELNS0_4arch9wavefront6targetE1EEEvT1_,"axG",@progbits,_ZN7rocprim17ROCPRIM_400000_NS6detail17trampoline_kernelINS0_14default_configENS1_29reduce_by_key_config_selectorIiiN6thrust23THRUST_200600_302600_NS4plusIiEEEEZZNS1_33reduce_by_key_impl_wrapped_configILNS1_25lookback_scan_determinismE0ES3_S9_NS6_6detail15normal_iteratorINS6_10device_ptrIiEEEESG_SG_SG_PmS8_22is_equal_div_10_reduceIiEEE10hipError_tPvRmT2_T3_mT4_T5_T6_T7_T8_P12ihipStream_tbENKUlT_T0_E_clISt17integral_constantIbLb1EES11_EEDaSW_SX_EUlSW_E_NS1_11comp_targetILNS1_3genE10ELNS1_11target_archE1200ELNS1_3gpuE4ELNS1_3repE0EEENS1_30default_config_static_selectorELNS0_4arch9wavefront6targetE1EEEvT1_,comdat
	.protected	_ZN7rocprim17ROCPRIM_400000_NS6detail17trampoline_kernelINS0_14default_configENS1_29reduce_by_key_config_selectorIiiN6thrust23THRUST_200600_302600_NS4plusIiEEEEZZNS1_33reduce_by_key_impl_wrapped_configILNS1_25lookback_scan_determinismE0ES3_S9_NS6_6detail15normal_iteratorINS6_10device_ptrIiEEEESG_SG_SG_PmS8_22is_equal_div_10_reduceIiEEE10hipError_tPvRmT2_T3_mT4_T5_T6_T7_T8_P12ihipStream_tbENKUlT_T0_E_clISt17integral_constantIbLb1EES11_EEDaSW_SX_EUlSW_E_NS1_11comp_targetILNS1_3genE10ELNS1_11target_archE1200ELNS1_3gpuE4ELNS1_3repE0EEENS1_30default_config_static_selectorELNS0_4arch9wavefront6targetE1EEEvT1_ ; -- Begin function _ZN7rocprim17ROCPRIM_400000_NS6detail17trampoline_kernelINS0_14default_configENS1_29reduce_by_key_config_selectorIiiN6thrust23THRUST_200600_302600_NS4plusIiEEEEZZNS1_33reduce_by_key_impl_wrapped_configILNS1_25lookback_scan_determinismE0ES3_S9_NS6_6detail15normal_iteratorINS6_10device_ptrIiEEEESG_SG_SG_PmS8_22is_equal_div_10_reduceIiEEE10hipError_tPvRmT2_T3_mT4_T5_T6_T7_T8_P12ihipStream_tbENKUlT_T0_E_clISt17integral_constantIbLb1EES11_EEDaSW_SX_EUlSW_E_NS1_11comp_targetILNS1_3genE10ELNS1_11target_archE1200ELNS1_3gpuE4ELNS1_3repE0EEENS1_30default_config_static_selectorELNS0_4arch9wavefront6targetE1EEEvT1_
	.globl	_ZN7rocprim17ROCPRIM_400000_NS6detail17trampoline_kernelINS0_14default_configENS1_29reduce_by_key_config_selectorIiiN6thrust23THRUST_200600_302600_NS4plusIiEEEEZZNS1_33reduce_by_key_impl_wrapped_configILNS1_25lookback_scan_determinismE0ES3_S9_NS6_6detail15normal_iteratorINS6_10device_ptrIiEEEESG_SG_SG_PmS8_22is_equal_div_10_reduceIiEEE10hipError_tPvRmT2_T3_mT4_T5_T6_T7_T8_P12ihipStream_tbENKUlT_T0_E_clISt17integral_constantIbLb1EES11_EEDaSW_SX_EUlSW_E_NS1_11comp_targetILNS1_3genE10ELNS1_11target_archE1200ELNS1_3gpuE4ELNS1_3repE0EEENS1_30default_config_static_selectorELNS0_4arch9wavefront6targetE1EEEvT1_
	.p2align	8
	.type	_ZN7rocprim17ROCPRIM_400000_NS6detail17trampoline_kernelINS0_14default_configENS1_29reduce_by_key_config_selectorIiiN6thrust23THRUST_200600_302600_NS4plusIiEEEEZZNS1_33reduce_by_key_impl_wrapped_configILNS1_25lookback_scan_determinismE0ES3_S9_NS6_6detail15normal_iteratorINS6_10device_ptrIiEEEESG_SG_SG_PmS8_22is_equal_div_10_reduceIiEEE10hipError_tPvRmT2_T3_mT4_T5_T6_T7_T8_P12ihipStream_tbENKUlT_T0_E_clISt17integral_constantIbLb1EES11_EEDaSW_SX_EUlSW_E_NS1_11comp_targetILNS1_3genE10ELNS1_11target_archE1200ELNS1_3gpuE4ELNS1_3repE0EEENS1_30default_config_static_selectorELNS0_4arch9wavefront6targetE1EEEvT1_,@function
_ZN7rocprim17ROCPRIM_400000_NS6detail17trampoline_kernelINS0_14default_configENS1_29reduce_by_key_config_selectorIiiN6thrust23THRUST_200600_302600_NS4plusIiEEEEZZNS1_33reduce_by_key_impl_wrapped_configILNS1_25lookback_scan_determinismE0ES3_S9_NS6_6detail15normal_iteratorINS6_10device_ptrIiEEEESG_SG_SG_PmS8_22is_equal_div_10_reduceIiEEE10hipError_tPvRmT2_T3_mT4_T5_T6_T7_T8_P12ihipStream_tbENKUlT_T0_E_clISt17integral_constantIbLb1EES11_EEDaSW_SX_EUlSW_E_NS1_11comp_targetILNS1_3genE10ELNS1_11target_archE1200ELNS1_3gpuE4ELNS1_3repE0EEENS1_30default_config_static_selectorELNS0_4arch9wavefront6targetE1EEEvT1_: ; @_ZN7rocprim17ROCPRIM_400000_NS6detail17trampoline_kernelINS0_14default_configENS1_29reduce_by_key_config_selectorIiiN6thrust23THRUST_200600_302600_NS4plusIiEEEEZZNS1_33reduce_by_key_impl_wrapped_configILNS1_25lookback_scan_determinismE0ES3_S9_NS6_6detail15normal_iteratorINS6_10device_ptrIiEEEESG_SG_SG_PmS8_22is_equal_div_10_reduceIiEEE10hipError_tPvRmT2_T3_mT4_T5_T6_T7_T8_P12ihipStream_tbENKUlT_T0_E_clISt17integral_constantIbLb1EES11_EEDaSW_SX_EUlSW_E_NS1_11comp_targetILNS1_3genE10ELNS1_11target_archE1200ELNS1_3gpuE4ELNS1_3repE0EEENS1_30default_config_static_selectorELNS0_4arch9wavefront6targetE1EEEvT1_
; %bb.0:
	.section	.rodata,"a",@progbits
	.p2align	6, 0x0
	.amdhsa_kernel _ZN7rocprim17ROCPRIM_400000_NS6detail17trampoline_kernelINS0_14default_configENS1_29reduce_by_key_config_selectorIiiN6thrust23THRUST_200600_302600_NS4plusIiEEEEZZNS1_33reduce_by_key_impl_wrapped_configILNS1_25lookback_scan_determinismE0ES3_S9_NS6_6detail15normal_iteratorINS6_10device_ptrIiEEEESG_SG_SG_PmS8_22is_equal_div_10_reduceIiEEE10hipError_tPvRmT2_T3_mT4_T5_T6_T7_T8_P12ihipStream_tbENKUlT_T0_E_clISt17integral_constantIbLb1EES11_EEDaSW_SX_EUlSW_E_NS1_11comp_targetILNS1_3genE10ELNS1_11target_archE1200ELNS1_3gpuE4ELNS1_3repE0EEENS1_30default_config_static_selectorELNS0_4arch9wavefront6targetE1EEEvT1_
		.amdhsa_group_segment_fixed_size 0
		.amdhsa_private_segment_fixed_size 0
		.amdhsa_kernarg_size 120
		.amdhsa_user_sgpr_count 6
		.amdhsa_user_sgpr_private_segment_buffer 1
		.amdhsa_user_sgpr_dispatch_ptr 0
		.amdhsa_user_sgpr_queue_ptr 0
		.amdhsa_user_sgpr_kernarg_segment_ptr 1
		.amdhsa_user_sgpr_dispatch_id 0
		.amdhsa_user_sgpr_flat_scratch_init 0
		.amdhsa_user_sgpr_kernarg_preload_length 0
		.amdhsa_user_sgpr_kernarg_preload_offset 0
		.amdhsa_user_sgpr_private_segment_size 0
		.amdhsa_uses_dynamic_stack 0
		.amdhsa_system_sgpr_private_segment_wavefront_offset 0
		.amdhsa_system_sgpr_workgroup_id_x 1
		.amdhsa_system_sgpr_workgroup_id_y 0
		.amdhsa_system_sgpr_workgroup_id_z 0
		.amdhsa_system_sgpr_workgroup_info 0
		.amdhsa_system_vgpr_workitem_id 0
		.amdhsa_next_free_vgpr 1
		.amdhsa_next_free_sgpr 0
		.amdhsa_accum_offset 4
		.amdhsa_reserve_vcc 0
		.amdhsa_reserve_flat_scratch 0
		.amdhsa_float_round_mode_32 0
		.amdhsa_float_round_mode_16_64 0
		.amdhsa_float_denorm_mode_32 3
		.amdhsa_float_denorm_mode_16_64 3
		.amdhsa_dx10_clamp 1
		.amdhsa_ieee_mode 1
		.amdhsa_fp16_overflow 0
		.amdhsa_tg_split 0
		.amdhsa_exception_fp_ieee_invalid_op 0
		.amdhsa_exception_fp_denorm_src 0
		.amdhsa_exception_fp_ieee_div_zero 0
		.amdhsa_exception_fp_ieee_overflow 0
		.amdhsa_exception_fp_ieee_underflow 0
		.amdhsa_exception_fp_ieee_inexact 0
		.amdhsa_exception_int_div_zero 0
	.end_amdhsa_kernel
	.section	.text._ZN7rocprim17ROCPRIM_400000_NS6detail17trampoline_kernelINS0_14default_configENS1_29reduce_by_key_config_selectorIiiN6thrust23THRUST_200600_302600_NS4plusIiEEEEZZNS1_33reduce_by_key_impl_wrapped_configILNS1_25lookback_scan_determinismE0ES3_S9_NS6_6detail15normal_iteratorINS6_10device_ptrIiEEEESG_SG_SG_PmS8_22is_equal_div_10_reduceIiEEE10hipError_tPvRmT2_T3_mT4_T5_T6_T7_T8_P12ihipStream_tbENKUlT_T0_E_clISt17integral_constantIbLb1EES11_EEDaSW_SX_EUlSW_E_NS1_11comp_targetILNS1_3genE10ELNS1_11target_archE1200ELNS1_3gpuE4ELNS1_3repE0EEENS1_30default_config_static_selectorELNS0_4arch9wavefront6targetE1EEEvT1_,"axG",@progbits,_ZN7rocprim17ROCPRIM_400000_NS6detail17trampoline_kernelINS0_14default_configENS1_29reduce_by_key_config_selectorIiiN6thrust23THRUST_200600_302600_NS4plusIiEEEEZZNS1_33reduce_by_key_impl_wrapped_configILNS1_25lookback_scan_determinismE0ES3_S9_NS6_6detail15normal_iteratorINS6_10device_ptrIiEEEESG_SG_SG_PmS8_22is_equal_div_10_reduceIiEEE10hipError_tPvRmT2_T3_mT4_T5_T6_T7_T8_P12ihipStream_tbENKUlT_T0_E_clISt17integral_constantIbLb1EES11_EEDaSW_SX_EUlSW_E_NS1_11comp_targetILNS1_3genE10ELNS1_11target_archE1200ELNS1_3gpuE4ELNS1_3repE0EEENS1_30default_config_static_selectorELNS0_4arch9wavefront6targetE1EEEvT1_,comdat
.Lfunc_end599:
	.size	_ZN7rocprim17ROCPRIM_400000_NS6detail17trampoline_kernelINS0_14default_configENS1_29reduce_by_key_config_selectorIiiN6thrust23THRUST_200600_302600_NS4plusIiEEEEZZNS1_33reduce_by_key_impl_wrapped_configILNS1_25lookback_scan_determinismE0ES3_S9_NS6_6detail15normal_iteratorINS6_10device_ptrIiEEEESG_SG_SG_PmS8_22is_equal_div_10_reduceIiEEE10hipError_tPvRmT2_T3_mT4_T5_T6_T7_T8_P12ihipStream_tbENKUlT_T0_E_clISt17integral_constantIbLb1EES11_EEDaSW_SX_EUlSW_E_NS1_11comp_targetILNS1_3genE10ELNS1_11target_archE1200ELNS1_3gpuE4ELNS1_3repE0EEENS1_30default_config_static_selectorELNS0_4arch9wavefront6targetE1EEEvT1_, .Lfunc_end599-_ZN7rocprim17ROCPRIM_400000_NS6detail17trampoline_kernelINS0_14default_configENS1_29reduce_by_key_config_selectorIiiN6thrust23THRUST_200600_302600_NS4plusIiEEEEZZNS1_33reduce_by_key_impl_wrapped_configILNS1_25lookback_scan_determinismE0ES3_S9_NS6_6detail15normal_iteratorINS6_10device_ptrIiEEEESG_SG_SG_PmS8_22is_equal_div_10_reduceIiEEE10hipError_tPvRmT2_T3_mT4_T5_T6_T7_T8_P12ihipStream_tbENKUlT_T0_E_clISt17integral_constantIbLb1EES11_EEDaSW_SX_EUlSW_E_NS1_11comp_targetILNS1_3genE10ELNS1_11target_archE1200ELNS1_3gpuE4ELNS1_3repE0EEENS1_30default_config_static_selectorELNS0_4arch9wavefront6targetE1EEEvT1_
                                        ; -- End function
	.section	.AMDGPU.csdata,"",@progbits
; Kernel info:
; codeLenInByte = 0
; NumSgprs: 4
; NumVgprs: 0
; NumAgprs: 0
; TotalNumVgprs: 0
; ScratchSize: 0
; MemoryBound: 0
; FloatMode: 240
; IeeeMode: 1
; LDSByteSize: 0 bytes/workgroup (compile time only)
; SGPRBlocks: 0
; VGPRBlocks: 0
; NumSGPRsForWavesPerEU: 4
; NumVGPRsForWavesPerEU: 1
; AccumOffset: 4
; Occupancy: 8
; WaveLimiterHint : 0
; COMPUTE_PGM_RSRC2:SCRATCH_EN: 0
; COMPUTE_PGM_RSRC2:USER_SGPR: 6
; COMPUTE_PGM_RSRC2:TRAP_HANDLER: 0
; COMPUTE_PGM_RSRC2:TGID_X_EN: 1
; COMPUTE_PGM_RSRC2:TGID_Y_EN: 0
; COMPUTE_PGM_RSRC2:TGID_Z_EN: 0
; COMPUTE_PGM_RSRC2:TIDIG_COMP_CNT: 0
; COMPUTE_PGM_RSRC3_GFX90A:ACCUM_OFFSET: 0
; COMPUTE_PGM_RSRC3_GFX90A:TG_SPLIT: 0
	.section	.text._ZN7rocprim17ROCPRIM_400000_NS6detail17trampoline_kernelINS0_14default_configENS1_29reduce_by_key_config_selectorIiiN6thrust23THRUST_200600_302600_NS4plusIiEEEEZZNS1_33reduce_by_key_impl_wrapped_configILNS1_25lookback_scan_determinismE0ES3_S9_NS6_6detail15normal_iteratorINS6_10device_ptrIiEEEESG_SG_SG_PmS8_22is_equal_div_10_reduceIiEEE10hipError_tPvRmT2_T3_mT4_T5_T6_T7_T8_P12ihipStream_tbENKUlT_T0_E_clISt17integral_constantIbLb1EES11_EEDaSW_SX_EUlSW_E_NS1_11comp_targetILNS1_3genE9ELNS1_11target_archE1100ELNS1_3gpuE3ELNS1_3repE0EEENS1_30default_config_static_selectorELNS0_4arch9wavefront6targetE1EEEvT1_,"axG",@progbits,_ZN7rocprim17ROCPRIM_400000_NS6detail17trampoline_kernelINS0_14default_configENS1_29reduce_by_key_config_selectorIiiN6thrust23THRUST_200600_302600_NS4plusIiEEEEZZNS1_33reduce_by_key_impl_wrapped_configILNS1_25lookback_scan_determinismE0ES3_S9_NS6_6detail15normal_iteratorINS6_10device_ptrIiEEEESG_SG_SG_PmS8_22is_equal_div_10_reduceIiEEE10hipError_tPvRmT2_T3_mT4_T5_T6_T7_T8_P12ihipStream_tbENKUlT_T0_E_clISt17integral_constantIbLb1EES11_EEDaSW_SX_EUlSW_E_NS1_11comp_targetILNS1_3genE9ELNS1_11target_archE1100ELNS1_3gpuE3ELNS1_3repE0EEENS1_30default_config_static_selectorELNS0_4arch9wavefront6targetE1EEEvT1_,comdat
	.protected	_ZN7rocprim17ROCPRIM_400000_NS6detail17trampoline_kernelINS0_14default_configENS1_29reduce_by_key_config_selectorIiiN6thrust23THRUST_200600_302600_NS4plusIiEEEEZZNS1_33reduce_by_key_impl_wrapped_configILNS1_25lookback_scan_determinismE0ES3_S9_NS6_6detail15normal_iteratorINS6_10device_ptrIiEEEESG_SG_SG_PmS8_22is_equal_div_10_reduceIiEEE10hipError_tPvRmT2_T3_mT4_T5_T6_T7_T8_P12ihipStream_tbENKUlT_T0_E_clISt17integral_constantIbLb1EES11_EEDaSW_SX_EUlSW_E_NS1_11comp_targetILNS1_3genE9ELNS1_11target_archE1100ELNS1_3gpuE3ELNS1_3repE0EEENS1_30default_config_static_selectorELNS0_4arch9wavefront6targetE1EEEvT1_ ; -- Begin function _ZN7rocprim17ROCPRIM_400000_NS6detail17trampoline_kernelINS0_14default_configENS1_29reduce_by_key_config_selectorIiiN6thrust23THRUST_200600_302600_NS4plusIiEEEEZZNS1_33reduce_by_key_impl_wrapped_configILNS1_25lookback_scan_determinismE0ES3_S9_NS6_6detail15normal_iteratorINS6_10device_ptrIiEEEESG_SG_SG_PmS8_22is_equal_div_10_reduceIiEEE10hipError_tPvRmT2_T3_mT4_T5_T6_T7_T8_P12ihipStream_tbENKUlT_T0_E_clISt17integral_constantIbLb1EES11_EEDaSW_SX_EUlSW_E_NS1_11comp_targetILNS1_3genE9ELNS1_11target_archE1100ELNS1_3gpuE3ELNS1_3repE0EEENS1_30default_config_static_selectorELNS0_4arch9wavefront6targetE1EEEvT1_
	.globl	_ZN7rocprim17ROCPRIM_400000_NS6detail17trampoline_kernelINS0_14default_configENS1_29reduce_by_key_config_selectorIiiN6thrust23THRUST_200600_302600_NS4plusIiEEEEZZNS1_33reduce_by_key_impl_wrapped_configILNS1_25lookback_scan_determinismE0ES3_S9_NS6_6detail15normal_iteratorINS6_10device_ptrIiEEEESG_SG_SG_PmS8_22is_equal_div_10_reduceIiEEE10hipError_tPvRmT2_T3_mT4_T5_T6_T7_T8_P12ihipStream_tbENKUlT_T0_E_clISt17integral_constantIbLb1EES11_EEDaSW_SX_EUlSW_E_NS1_11comp_targetILNS1_3genE9ELNS1_11target_archE1100ELNS1_3gpuE3ELNS1_3repE0EEENS1_30default_config_static_selectorELNS0_4arch9wavefront6targetE1EEEvT1_
	.p2align	8
	.type	_ZN7rocprim17ROCPRIM_400000_NS6detail17trampoline_kernelINS0_14default_configENS1_29reduce_by_key_config_selectorIiiN6thrust23THRUST_200600_302600_NS4plusIiEEEEZZNS1_33reduce_by_key_impl_wrapped_configILNS1_25lookback_scan_determinismE0ES3_S9_NS6_6detail15normal_iteratorINS6_10device_ptrIiEEEESG_SG_SG_PmS8_22is_equal_div_10_reduceIiEEE10hipError_tPvRmT2_T3_mT4_T5_T6_T7_T8_P12ihipStream_tbENKUlT_T0_E_clISt17integral_constantIbLb1EES11_EEDaSW_SX_EUlSW_E_NS1_11comp_targetILNS1_3genE9ELNS1_11target_archE1100ELNS1_3gpuE3ELNS1_3repE0EEENS1_30default_config_static_selectorELNS0_4arch9wavefront6targetE1EEEvT1_,@function
_ZN7rocprim17ROCPRIM_400000_NS6detail17trampoline_kernelINS0_14default_configENS1_29reduce_by_key_config_selectorIiiN6thrust23THRUST_200600_302600_NS4plusIiEEEEZZNS1_33reduce_by_key_impl_wrapped_configILNS1_25lookback_scan_determinismE0ES3_S9_NS6_6detail15normal_iteratorINS6_10device_ptrIiEEEESG_SG_SG_PmS8_22is_equal_div_10_reduceIiEEE10hipError_tPvRmT2_T3_mT4_T5_T6_T7_T8_P12ihipStream_tbENKUlT_T0_E_clISt17integral_constantIbLb1EES11_EEDaSW_SX_EUlSW_E_NS1_11comp_targetILNS1_3genE9ELNS1_11target_archE1100ELNS1_3gpuE3ELNS1_3repE0EEENS1_30default_config_static_selectorELNS0_4arch9wavefront6targetE1EEEvT1_: ; @_ZN7rocprim17ROCPRIM_400000_NS6detail17trampoline_kernelINS0_14default_configENS1_29reduce_by_key_config_selectorIiiN6thrust23THRUST_200600_302600_NS4plusIiEEEEZZNS1_33reduce_by_key_impl_wrapped_configILNS1_25lookback_scan_determinismE0ES3_S9_NS6_6detail15normal_iteratorINS6_10device_ptrIiEEEESG_SG_SG_PmS8_22is_equal_div_10_reduceIiEEE10hipError_tPvRmT2_T3_mT4_T5_T6_T7_T8_P12ihipStream_tbENKUlT_T0_E_clISt17integral_constantIbLb1EES11_EEDaSW_SX_EUlSW_E_NS1_11comp_targetILNS1_3genE9ELNS1_11target_archE1100ELNS1_3gpuE3ELNS1_3repE0EEENS1_30default_config_static_selectorELNS0_4arch9wavefront6targetE1EEEvT1_
; %bb.0:
	.section	.rodata,"a",@progbits
	.p2align	6, 0x0
	.amdhsa_kernel _ZN7rocprim17ROCPRIM_400000_NS6detail17trampoline_kernelINS0_14default_configENS1_29reduce_by_key_config_selectorIiiN6thrust23THRUST_200600_302600_NS4plusIiEEEEZZNS1_33reduce_by_key_impl_wrapped_configILNS1_25lookback_scan_determinismE0ES3_S9_NS6_6detail15normal_iteratorINS6_10device_ptrIiEEEESG_SG_SG_PmS8_22is_equal_div_10_reduceIiEEE10hipError_tPvRmT2_T3_mT4_T5_T6_T7_T8_P12ihipStream_tbENKUlT_T0_E_clISt17integral_constantIbLb1EES11_EEDaSW_SX_EUlSW_E_NS1_11comp_targetILNS1_3genE9ELNS1_11target_archE1100ELNS1_3gpuE3ELNS1_3repE0EEENS1_30default_config_static_selectorELNS0_4arch9wavefront6targetE1EEEvT1_
		.amdhsa_group_segment_fixed_size 0
		.amdhsa_private_segment_fixed_size 0
		.amdhsa_kernarg_size 120
		.amdhsa_user_sgpr_count 6
		.amdhsa_user_sgpr_private_segment_buffer 1
		.amdhsa_user_sgpr_dispatch_ptr 0
		.amdhsa_user_sgpr_queue_ptr 0
		.amdhsa_user_sgpr_kernarg_segment_ptr 1
		.amdhsa_user_sgpr_dispatch_id 0
		.amdhsa_user_sgpr_flat_scratch_init 0
		.amdhsa_user_sgpr_kernarg_preload_length 0
		.amdhsa_user_sgpr_kernarg_preload_offset 0
		.amdhsa_user_sgpr_private_segment_size 0
		.amdhsa_uses_dynamic_stack 0
		.amdhsa_system_sgpr_private_segment_wavefront_offset 0
		.amdhsa_system_sgpr_workgroup_id_x 1
		.amdhsa_system_sgpr_workgroup_id_y 0
		.amdhsa_system_sgpr_workgroup_id_z 0
		.amdhsa_system_sgpr_workgroup_info 0
		.amdhsa_system_vgpr_workitem_id 0
		.amdhsa_next_free_vgpr 1
		.amdhsa_next_free_sgpr 0
		.amdhsa_accum_offset 4
		.amdhsa_reserve_vcc 0
		.amdhsa_reserve_flat_scratch 0
		.amdhsa_float_round_mode_32 0
		.amdhsa_float_round_mode_16_64 0
		.amdhsa_float_denorm_mode_32 3
		.amdhsa_float_denorm_mode_16_64 3
		.amdhsa_dx10_clamp 1
		.amdhsa_ieee_mode 1
		.amdhsa_fp16_overflow 0
		.amdhsa_tg_split 0
		.amdhsa_exception_fp_ieee_invalid_op 0
		.amdhsa_exception_fp_denorm_src 0
		.amdhsa_exception_fp_ieee_div_zero 0
		.amdhsa_exception_fp_ieee_overflow 0
		.amdhsa_exception_fp_ieee_underflow 0
		.amdhsa_exception_fp_ieee_inexact 0
		.amdhsa_exception_int_div_zero 0
	.end_amdhsa_kernel
	.section	.text._ZN7rocprim17ROCPRIM_400000_NS6detail17trampoline_kernelINS0_14default_configENS1_29reduce_by_key_config_selectorIiiN6thrust23THRUST_200600_302600_NS4plusIiEEEEZZNS1_33reduce_by_key_impl_wrapped_configILNS1_25lookback_scan_determinismE0ES3_S9_NS6_6detail15normal_iteratorINS6_10device_ptrIiEEEESG_SG_SG_PmS8_22is_equal_div_10_reduceIiEEE10hipError_tPvRmT2_T3_mT4_T5_T6_T7_T8_P12ihipStream_tbENKUlT_T0_E_clISt17integral_constantIbLb1EES11_EEDaSW_SX_EUlSW_E_NS1_11comp_targetILNS1_3genE9ELNS1_11target_archE1100ELNS1_3gpuE3ELNS1_3repE0EEENS1_30default_config_static_selectorELNS0_4arch9wavefront6targetE1EEEvT1_,"axG",@progbits,_ZN7rocprim17ROCPRIM_400000_NS6detail17trampoline_kernelINS0_14default_configENS1_29reduce_by_key_config_selectorIiiN6thrust23THRUST_200600_302600_NS4plusIiEEEEZZNS1_33reduce_by_key_impl_wrapped_configILNS1_25lookback_scan_determinismE0ES3_S9_NS6_6detail15normal_iteratorINS6_10device_ptrIiEEEESG_SG_SG_PmS8_22is_equal_div_10_reduceIiEEE10hipError_tPvRmT2_T3_mT4_T5_T6_T7_T8_P12ihipStream_tbENKUlT_T0_E_clISt17integral_constantIbLb1EES11_EEDaSW_SX_EUlSW_E_NS1_11comp_targetILNS1_3genE9ELNS1_11target_archE1100ELNS1_3gpuE3ELNS1_3repE0EEENS1_30default_config_static_selectorELNS0_4arch9wavefront6targetE1EEEvT1_,comdat
.Lfunc_end600:
	.size	_ZN7rocprim17ROCPRIM_400000_NS6detail17trampoline_kernelINS0_14default_configENS1_29reduce_by_key_config_selectorIiiN6thrust23THRUST_200600_302600_NS4plusIiEEEEZZNS1_33reduce_by_key_impl_wrapped_configILNS1_25lookback_scan_determinismE0ES3_S9_NS6_6detail15normal_iteratorINS6_10device_ptrIiEEEESG_SG_SG_PmS8_22is_equal_div_10_reduceIiEEE10hipError_tPvRmT2_T3_mT4_T5_T6_T7_T8_P12ihipStream_tbENKUlT_T0_E_clISt17integral_constantIbLb1EES11_EEDaSW_SX_EUlSW_E_NS1_11comp_targetILNS1_3genE9ELNS1_11target_archE1100ELNS1_3gpuE3ELNS1_3repE0EEENS1_30default_config_static_selectorELNS0_4arch9wavefront6targetE1EEEvT1_, .Lfunc_end600-_ZN7rocprim17ROCPRIM_400000_NS6detail17trampoline_kernelINS0_14default_configENS1_29reduce_by_key_config_selectorIiiN6thrust23THRUST_200600_302600_NS4plusIiEEEEZZNS1_33reduce_by_key_impl_wrapped_configILNS1_25lookback_scan_determinismE0ES3_S9_NS6_6detail15normal_iteratorINS6_10device_ptrIiEEEESG_SG_SG_PmS8_22is_equal_div_10_reduceIiEEE10hipError_tPvRmT2_T3_mT4_T5_T6_T7_T8_P12ihipStream_tbENKUlT_T0_E_clISt17integral_constantIbLb1EES11_EEDaSW_SX_EUlSW_E_NS1_11comp_targetILNS1_3genE9ELNS1_11target_archE1100ELNS1_3gpuE3ELNS1_3repE0EEENS1_30default_config_static_selectorELNS0_4arch9wavefront6targetE1EEEvT1_
                                        ; -- End function
	.section	.AMDGPU.csdata,"",@progbits
; Kernel info:
; codeLenInByte = 0
; NumSgprs: 4
; NumVgprs: 0
; NumAgprs: 0
; TotalNumVgprs: 0
; ScratchSize: 0
; MemoryBound: 0
; FloatMode: 240
; IeeeMode: 1
; LDSByteSize: 0 bytes/workgroup (compile time only)
; SGPRBlocks: 0
; VGPRBlocks: 0
; NumSGPRsForWavesPerEU: 4
; NumVGPRsForWavesPerEU: 1
; AccumOffset: 4
; Occupancy: 8
; WaveLimiterHint : 0
; COMPUTE_PGM_RSRC2:SCRATCH_EN: 0
; COMPUTE_PGM_RSRC2:USER_SGPR: 6
; COMPUTE_PGM_RSRC2:TRAP_HANDLER: 0
; COMPUTE_PGM_RSRC2:TGID_X_EN: 1
; COMPUTE_PGM_RSRC2:TGID_Y_EN: 0
; COMPUTE_PGM_RSRC2:TGID_Z_EN: 0
; COMPUTE_PGM_RSRC2:TIDIG_COMP_CNT: 0
; COMPUTE_PGM_RSRC3_GFX90A:ACCUM_OFFSET: 0
; COMPUTE_PGM_RSRC3_GFX90A:TG_SPLIT: 0
	.section	.text._ZN7rocprim17ROCPRIM_400000_NS6detail17trampoline_kernelINS0_14default_configENS1_29reduce_by_key_config_selectorIiiN6thrust23THRUST_200600_302600_NS4plusIiEEEEZZNS1_33reduce_by_key_impl_wrapped_configILNS1_25lookback_scan_determinismE0ES3_S9_NS6_6detail15normal_iteratorINS6_10device_ptrIiEEEESG_SG_SG_PmS8_22is_equal_div_10_reduceIiEEE10hipError_tPvRmT2_T3_mT4_T5_T6_T7_T8_P12ihipStream_tbENKUlT_T0_E_clISt17integral_constantIbLb1EES11_EEDaSW_SX_EUlSW_E_NS1_11comp_targetILNS1_3genE8ELNS1_11target_archE1030ELNS1_3gpuE2ELNS1_3repE0EEENS1_30default_config_static_selectorELNS0_4arch9wavefront6targetE1EEEvT1_,"axG",@progbits,_ZN7rocprim17ROCPRIM_400000_NS6detail17trampoline_kernelINS0_14default_configENS1_29reduce_by_key_config_selectorIiiN6thrust23THRUST_200600_302600_NS4plusIiEEEEZZNS1_33reduce_by_key_impl_wrapped_configILNS1_25lookback_scan_determinismE0ES3_S9_NS6_6detail15normal_iteratorINS6_10device_ptrIiEEEESG_SG_SG_PmS8_22is_equal_div_10_reduceIiEEE10hipError_tPvRmT2_T3_mT4_T5_T6_T7_T8_P12ihipStream_tbENKUlT_T0_E_clISt17integral_constantIbLb1EES11_EEDaSW_SX_EUlSW_E_NS1_11comp_targetILNS1_3genE8ELNS1_11target_archE1030ELNS1_3gpuE2ELNS1_3repE0EEENS1_30default_config_static_selectorELNS0_4arch9wavefront6targetE1EEEvT1_,comdat
	.protected	_ZN7rocprim17ROCPRIM_400000_NS6detail17trampoline_kernelINS0_14default_configENS1_29reduce_by_key_config_selectorIiiN6thrust23THRUST_200600_302600_NS4plusIiEEEEZZNS1_33reduce_by_key_impl_wrapped_configILNS1_25lookback_scan_determinismE0ES3_S9_NS6_6detail15normal_iteratorINS6_10device_ptrIiEEEESG_SG_SG_PmS8_22is_equal_div_10_reduceIiEEE10hipError_tPvRmT2_T3_mT4_T5_T6_T7_T8_P12ihipStream_tbENKUlT_T0_E_clISt17integral_constantIbLb1EES11_EEDaSW_SX_EUlSW_E_NS1_11comp_targetILNS1_3genE8ELNS1_11target_archE1030ELNS1_3gpuE2ELNS1_3repE0EEENS1_30default_config_static_selectorELNS0_4arch9wavefront6targetE1EEEvT1_ ; -- Begin function _ZN7rocprim17ROCPRIM_400000_NS6detail17trampoline_kernelINS0_14default_configENS1_29reduce_by_key_config_selectorIiiN6thrust23THRUST_200600_302600_NS4plusIiEEEEZZNS1_33reduce_by_key_impl_wrapped_configILNS1_25lookback_scan_determinismE0ES3_S9_NS6_6detail15normal_iteratorINS6_10device_ptrIiEEEESG_SG_SG_PmS8_22is_equal_div_10_reduceIiEEE10hipError_tPvRmT2_T3_mT4_T5_T6_T7_T8_P12ihipStream_tbENKUlT_T0_E_clISt17integral_constantIbLb1EES11_EEDaSW_SX_EUlSW_E_NS1_11comp_targetILNS1_3genE8ELNS1_11target_archE1030ELNS1_3gpuE2ELNS1_3repE0EEENS1_30default_config_static_selectorELNS0_4arch9wavefront6targetE1EEEvT1_
	.globl	_ZN7rocprim17ROCPRIM_400000_NS6detail17trampoline_kernelINS0_14default_configENS1_29reduce_by_key_config_selectorIiiN6thrust23THRUST_200600_302600_NS4plusIiEEEEZZNS1_33reduce_by_key_impl_wrapped_configILNS1_25lookback_scan_determinismE0ES3_S9_NS6_6detail15normal_iteratorINS6_10device_ptrIiEEEESG_SG_SG_PmS8_22is_equal_div_10_reduceIiEEE10hipError_tPvRmT2_T3_mT4_T5_T6_T7_T8_P12ihipStream_tbENKUlT_T0_E_clISt17integral_constantIbLb1EES11_EEDaSW_SX_EUlSW_E_NS1_11comp_targetILNS1_3genE8ELNS1_11target_archE1030ELNS1_3gpuE2ELNS1_3repE0EEENS1_30default_config_static_selectorELNS0_4arch9wavefront6targetE1EEEvT1_
	.p2align	8
	.type	_ZN7rocprim17ROCPRIM_400000_NS6detail17trampoline_kernelINS0_14default_configENS1_29reduce_by_key_config_selectorIiiN6thrust23THRUST_200600_302600_NS4plusIiEEEEZZNS1_33reduce_by_key_impl_wrapped_configILNS1_25lookback_scan_determinismE0ES3_S9_NS6_6detail15normal_iteratorINS6_10device_ptrIiEEEESG_SG_SG_PmS8_22is_equal_div_10_reduceIiEEE10hipError_tPvRmT2_T3_mT4_T5_T6_T7_T8_P12ihipStream_tbENKUlT_T0_E_clISt17integral_constantIbLb1EES11_EEDaSW_SX_EUlSW_E_NS1_11comp_targetILNS1_3genE8ELNS1_11target_archE1030ELNS1_3gpuE2ELNS1_3repE0EEENS1_30default_config_static_selectorELNS0_4arch9wavefront6targetE1EEEvT1_,@function
_ZN7rocprim17ROCPRIM_400000_NS6detail17trampoline_kernelINS0_14default_configENS1_29reduce_by_key_config_selectorIiiN6thrust23THRUST_200600_302600_NS4plusIiEEEEZZNS1_33reduce_by_key_impl_wrapped_configILNS1_25lookback_scan_determinismE0ES3_S9_NS6_6detail15normal_iteratorINS6_10device_ptrIiEEEESG_SG_SG_PmS8_22is_equal_div_10_reduceIiEEE10hipError_tPvRmT2_T3_mT4_T5_T6_T7_T8_P12ihipStream_tbENKUlT_T0_E_clISt17integral_constantIbLb1EES11_EEDaSW_SX_EUlSW_E_NS1_11comp_targetILNS1_3genE8ELNS1_11target_archE1030ELNS1_3gpuE2ELNS1_3repE0EEENS1_30default_config_static_selectorELNS0_4arch9wavefront6targetE1EEEvT1_: ; @_ZN7rocprim17ROCPRIM_400000_NS6detail17trampoline_kernelINS0_14default_configENS1_29reduce_by_key_config_selectorIiiN6thrust23THRUST_200600_302600_NS4plusIiEEEEZZNS1_33reduce_by_key_impl_wrapped_configILNS1_25lookback_scan_determinismE0ES3_S9_NS6_6detail15normal_iteratorINS6_10device_ptrIiEEEESG_SG_SG_PmS8_22is_equal_div_10_reduceIiEEE10hipError_tPvRmT2_T3_mT4_T5_T6_T7_T8_P12ihipStream_tbENKUlT_T0_E_clISt17integral_constantIbLb1EES11_EEDaSW_SX_EUlSW_E_NS1_11comp_targetILNS1_3genE8ELNS1_11target_archE1030ELNS1_3gpuE2ELNS1_3repE0EEENS1_30default_config_static_selectorELNS0_4arch9wavefront6targetE1EEEvT1_
; %bb.0:
	.section	.rodata,"a",@progbits
	.p2align	6, 0x0
	.amdhsa_kernel _ZN7rocprim17ROCPRIM_400000_NS6detail17trampoline_kernelINS0_14default_configENS1_29reduce_by_key_config_selectorIiiN6thrust23THRUST_200600_302600_NS4plusIiEEEEZZNS1_33reduce_by_key_impl_wrapped_configILNS1_25lookback_scan_determinismE0ES3_S9_NS6_6detail15normal_iteratorINS6_10device_ptrIiEEEESG_SG_SG_PmS8_22is_equal_div_10_reduceIiEEE10hipError_tPvRmT2_T3_mT4_T5_T6_T7_T8_P12ihipStream_tbENKUlT_T0_E_clISt17integral_constantIbLb1EES11_EEDaSW_SX_EUlSW_E_NS1_11comp_targetILNS1_3genE8ELNS1_11target_archE1030ELNS1_3gpuE2ELNS1_3repE0EEENS1_30default_config_static_selectorELNS0_4arch9wavefront6targetE1EEEvT1_
		.amdhsa_group_segment_fixed_size 0
		.amdhsa_private_segment_fixed_size 0
		.amdhsa_kernarg_size 120
		.amdhsa_user_sgpr_count 6
		.amdhsa_user_sgpr_private_segment_buffer 1
		.amdhsa_user_sgpr_dispatch_ptr 0
		.amdhsa_user_sgpr_queue_ptr 0
		.amdhsa_user_sgpr_kernarg_segment_ptr 1
		.amdhsa_user_sgpr_dispatch_id 0
		.amdhsa_user_sgpr_flat_scratch_init 0
		.amdhsa_user_sgpr_kernarg_preload_length 0
		.amdhsa_user_sgpr_kernarg_preload_offset 0
		.amdhsa_user_sgpr_private_segment_size 0
		.amdhsa_uses_dynamic_stack 0
		.amdhsa_system_sgpr_private_segment_wavefront_offset 0
		.amdhsa_system_sgpr_workgroup_id_x 1
		.amdhsa_system_sgpr_workgroup_id_y 0
		.amdhsa_system_sgpr_workgroup_id_z 0
		.amdhsa_system_sgpr_workgroup_info 0
		.amdhsa_system_vgpr_workitem_id 0
		.amdhsa_next_free_vgpr 1
		.amdhsa_next_free_sgpr 0
		.amdhsa_accum_offset 4
		.amdhsa_reserve_vcc 0
		.amdhsa_reserve_flat_scratch 0
		.amdhsa_float_round_mode_32 0
		.amdhsa_float_round_mode_16_64 0
		.amdhsa_float_denorm_mode_32 3
		.amdhsa_float_denorm_mode_16_64 3
		.amdhsa_dx10_clamp 1
		.amdhsa_ieee_mode 1
		.amdhsa_fp16_overflow 0
		.amdhsa_tg_split 0
		.amdhsa_exception_fp_ieee_invalid_op 0
		.amdhsa_exception_fp_denorm_src 0
		.amdhsa_exception_fp_ieee_div_zero 0
		.amdhsa_exception_fp_ieee_overflow 0
		.amdhsa_exception_fp_ieee_underflow 0
		.amdhsa_exception_fp_ieee_inexact 0
		.amdhsa_exception_int_div_zero 0
	.end_amdhsa_kernel
	.section	.text._ZN7rocprim17ROCPRIM_400000_NS6detail17trampoline_kernelINS0_14default_configENS1_29reduce_by_key_config_selectorIiiN6thrust23THRUST_200600_302600_NS4plusIiEEEEZZNS1_33reduce_by_key_impl_wrapped_configILNS1_25lookback_scan_determinismE0ES3_S9_NS6_6detail15normal_iteratorINS6_10device_ptrIiEEEESG_SG_SG_PmS8_22is_equal_div_10_reduceIiEEE10hipError_tPvRmT2_T3_mT4_T5_T6_T7_T8_P12ihipStream_tbENKUlT_T0_E_clISt17integral_constantIbLb1EES11_EEDaSW_SX_EUlSW_E_NS1_11comp_targetILNS1_3genE8ELNS1_11target_archE1030ELNS1_3gpuE2ELNS1_3repE0EEENS1_30default_config_static_selectorELNS0_4arch9wavefront6targetE1EEEvT1_,"axG",@progbits,_ZN7rocprim17ROCPRIM_400000_NS6detail17trampoline_kernelINS0_14default_configENS1_29reduce_by_key_config_selectorIiiN6thrust23THRUST_200600_302600_NS4plusIiEEEEZZNS1_33reduce_by_key_impl_wrapped_configILNS1_25lookback_scan_determinismE0ES3_S9_NS6_6detail15normal_iteratorINS6_10device_ptrIiEEEESG_SG_SG_PmS8_22is_equal_div_10_reduceIiEEE10hipError_tPvRmT2_T3_mT4_T5_T6_T7_T8_P12ihipStream_tbENKUlT_T0_E_clISt17integral_constantIbLb1EES11_EEDaSW_SX_EUlSW_E_NS1_11comp_targetILNS1_3genE8ELNS1_11target_archE1030ELNS1_3gpuE2ELNS1_3repE0EEENS1_30default_config_static_selectorELNS0_4arch9wavefront6targetE1EEEvT1_,comdat
.Lfunc_end601:
	.size	_ZN7rocprim17ROCPRIM_400000_NS6detail17trampoline_kernelINS0_14default_configENS1_29reduce_by_key_config_selectorIiiN6thrust23THRUST_200600_302600_NS4plusIiEEEEZZNS1_33reduce_by_key_impl_wrapped_configILNS1_25lookback_scan_determinismE0ES3_S9_NS6_6detail15normal_iteratorINS6_10device_ptrIiEEEESG_SG_SG_PmS8_22is_equal_div_10_reduceIiEEE10hipError_tPvRmT2_T3_mT4_T5_T6_T7_T8_P12ihipStream_tbENKUlT_T0_E_clISt17integral_constantIbLb1EES11_EEDaSW_SX_EUlSW_E_NS1_11comp_targetILNS1_3genE8ELNS1_11target_archE1030ELNS1_3gpuE2ELNS1_3repE0EEENS1_30default_config_static_selectorELNS0_4arch9wavefront6targetE1EEEvT1_, .Lfunc_end601-_ZN7rocprim17ROCPRIM_400000_NS6detail17trampoline_kernelINS0_14default_configENS1_29reduce_by_key_config_selectorIiiN6thrust23THRUST_200600_302600_NS4plusIiEEEEZZNS1_33reduce_by_key_impl_wrapped_configILNS1_25lookback_scan_determinismE0ES3_S9_NS6_6detail15normal_iteratorINS6_10device_ptrIiEEEESG_SG_SG_PmS8_22is_equal_div_10_reduceIiEEE10hipError_tPvRmT2_T3_mT4_T5_T6_T7_T8_P12ihipStream_tbENKUlT_T0_E_clISt17integral_constantIbLb1EES11_EEDaSW_SX_EUlSW_E_NS1_11comp_targetILNS1_3genE8ELNS1_11target_archE1030ELNS1_3gpuE2ELNS1_3repE0EEENS1_30default_config_static_selectorELNS0_4arch9wavefront6targetE1EEEvT1_
                                        ; -- End function
	.section	.AMDGPU.csdata,"",@progbits
; Kernel info:
; codeLenInByte = 0
; NumSgprs: 4
; NumVgprs: 0
; NumAgprs: 0
; TotalNumVgprs: 0
; ScratchSize: 0
; MemoryBound: 0
; FloatMode: 240
; IeeeMode: 1
; LDSByteSize: 0 bytes/workgroup (compile time only)
; SGPRBlocks: 0
; VGPRBlocks: 0
; NumSGPRsForWavesPerEU: 4
; NumVGPRsForWavesPerEU: 1
; AccumOffset: 4
; Occupancy: 8
; WaveLimiterHint : 0
; COMPUTE_PGM_RSRC2:SCRATCH_EN: 0
; COMPUTE_PGM_RSRC2:USER_SGPR: 6
; COMPUTE_PGM_RSRC2:TRAP_HANDLER: 0
; COMPUTE_PGM_RSRC2:TGID_X_EN: 1
; COMPUTE_PGM_RSRC2:TGID_Y_EN: 0
; COMPUTE_PGM_RSRC2:TGID_Z_EN: 0
; COMPUTE_PGM_RSRC2:TIDIG_COMP_CNT: 0
; COMPUTE_PGM_RSRC3_GFX90A:ACCUM_OFFSET: 0
; COMPUTE_PGM_RSRC3_GFX90A:TG_SPLIT: 0
	.section	.text._ZN7rocprim17ROCPRIM_400000_NS6detail17trampoline_kernelINS0_14default_configENS1_29reduce_by_key_config_selectorIiiN6thrust23THRUST_200600_302600_NS4plusIiEEEEZZNS1_33reduce_by_key_impl_wrapped_configILNS1_25lookback_scan_determinismE0ES3_S9_NS6_6detail15normal_iteratorINS6_10device_ptrIiEEEESG_SG_SG_PmS8_22is_equal_div_10_reduceIiEEE10hipError_tPvRmT2_T3_mT4_T5_T6_T7_T8_P12ihipStream_tbENKUlT_T0_E_clISt17integral_constantIbLb1EES10_IbLb0EEEEDaSW_SX_EUlSW_E_NS1_11comp_targetILNS1_3genE0ELNS1_11target_archE4294967295ELNS1_3gpuE0ELNS1_3repE0EEENS1_30default_config_static_selectorELNS0_4arch9wavefront6targetE1EEEvT1_,"axG",@progbits,_ZN7rocprim17ROCPRIM_400000_NS6detail17trampoline_kernelINS0_14default_configENS1_29reduce_by_key_config_selectorIiiN6thrust23THRUST_200600_302600_NS4plusIiEEEEZZNS1_33reduce_by_key_impl_wrapped_configILNS1_25lookback_scan_determinismE0ES3_S9_NS6_6detail15normal_iteratorINS6_10device_ptrIiEEEESG_SG_SG_PmS8_22is_equal_div_10_reduceIiEEE10hipError_tPvRmT2_T3_mT4_T5_T6_T7_T8_P12ihipStream_tbENKUlT_T0_E_clISt17integral_constantIbLb1EES10_IbLb0EEEEDaSW_SX_EUlSW_E_NS1_11comp_targetILNS1_3genE0ELNS1_11target_archE4294967295ELNS1_3gpuE0ELNS1_3repE0EEENS1_30default_config_static_selectorELNS0_4arch9wavefront6targetE1EEEvT1_,comdat
	.protected	_ZN7rocprim17ROCPRIM_400000_NS6detail17trampoline_kernelINS0_14default_configENS1_29reduce_by_key_config_selectorIiiN6thrust23THRUST_200600_302600_NS4plusIiEEEEZZNS1_33reduce_by_key_impl_wrapped_configILNS1_25lookback_scan_determinismE0ES3_S9_NS6_6detail15normal_iteratorINS6_10device_ptrIiEEEESG_SG_SG_PmS8_22is_equal_div_10_reduceIiEEE10hipError_tPvRmT2_T3_mT4_T5_T6_T7_T8_P12ihipStream_tbENKUlT_T0_E_clISt17integral_constantIbLb1EES10_IbLb0EEEEDaSW_SX_EUlSW_E_NS1_11comp_targetILNS1_3genE0ELNS1_11target_archE4294967295ELNS1_3gpuE0ELNS1_3repE0EEENS1_30default_config_static_selectorELNS0_4arch9wavefront6targetE1EEEvT1_ ; -- Begin function _ZN7rocprim17ROCPRIM_400000_NS6detail17trampoline_kernelINS0_14default_configENS1_29reduce_by_key_config_selectorIiiN6thrust23THRUST_200600_302600_NS4plusIiEEEEZZNS1_33reduce_by_key_impl_wrapped_configILNS1_25lookback_scan_determinismE0ES3_S9_NS6_6detail15normal_iteratorINS6_10device_ptrIiEEEESG_SG_SG_PmS8_22is_equal_div_10_reduceIiEEE10hipError_tPvRmT2_T3_mT4_T5_T6_T7_T8_P12ihipStream_tbENKUlT_T0_E_clISt17integral_constantIbLb1EES10_IbLb0EEEEDaSW_SX_EUlSW_E_NS1_11comp_targetILNS1_3genE0ELNS1_11target_archE4294967295ELNS1_3gpuE0ELNS1_3repE0EEENS1_30default_config_static_selectorELNS0_4arch9wavefront6targetE1EEEvT1_
	.globl	_ZN7rocprim17ROCPRIM_400000_NS6detail17trampoline_kernelINS0_14default_configENS1_29reduce_by_key_config_selectorIiiN6thrust23THRUST_200600_302600_NS4plusIiEEEEZZNS1_33reduce_by_key_impl_wrapped_configILNS1_25lookback_scan_determinismE0ES3_S9_NS6_6detail15normal_iteratorINS6_10device_ptrIiEEEESG_SG_SG_PmS8_22is_equal_div_10_reduceIiEEE10hipError_tPvRmT2_T3_mT4_T5_T6_T7_T8_P12ihipStream_tbENKUlT_T0_E_clISt17integral_constantIbLb1EES10_IbLb0EEEEDaSW_SX_EUlSW_E_NS1_11comp_targetILNS1_3genE0ELNS1_11target_archE4294967295ELNS1_3gpuE0ELNS1_3repE0EEENS1_30default_config_static_selectorELNS0_4arch9wavefront6targetE1EEEvT1_
	.p2align	8
	.type	_ZN7rocprim17ROCPRIM_400000_NS6detail17trampoline_kernelINS0_14default_configENS1_29reduce_by_key_config_selectorIiiN6thrust23THRUST_200600_302600_NS4plusIiEEEEZZNS1_33reduce_by_key_impl_wrapped_configILNS1_25lookback_scan_determinismE0ES3_S9_NS6_6detail15normal_iteratorINS6_10device_ptrIiEEEESG_SG_SG_PmS8_22is_equal_div_10_reduceIiEEE10hipError_tPvRmT2_T3_mT4_T5_T6_T7_T8_P12ihipStream_tbENKUlT_T0_E_clISt17integral_constantIbLb1EES10_IbLb0EEEEDaSW_SX_EUlSW_E_NS1_11comp_targetILNS1_3genE0ELNS1_11target_archE4294967295ELNS1_3gpuE0ELNS1_3repE0EEENS1_30default_config_static_selectorELNS0_4arch9wavefront6targetE1EEEvT1_,@function
_ZN7rocprim17ROCPRIM_400000_NS6detail17trampoline_kernelINS0_14default_configENS1_29reduce_by_key_config_selectorIiiN6thrust23THRUST_200600_302600_NS4plusIiEEEEZZNS1_33reduce_by_key_impl_wrapped_configILNS1_25lookback_scan_determinismE0ES3_S9_NS6_6detail15normal_iteratorINS6_10device_ptrIiEEEESG_SG_SG_PmS8_22is_equal_div_10_reduceIiEEE10hipError_tPvRmT2_T3_mT4_T5_T6_T7_T8_P12ihipStream_tbENKUlT_T0_E_clISt17integral_constantIbLb1EES10_IbLb0EEEEDaSW_SX_EUlSW_E_NS1_11comp_targetILNS1_3genE0ELNS1_11target_archE4294967295ELNS1_3gpuE0ELNS1_3repE0EEENS1_30default_config_static_selectorELNS0_4arch9wavefront6targetE1EEEvT1_: ; @_ZN7rocprim17ROCPRIM_400000_NS6detail17trampoline_kernelINS0_14default_configENS1_29reduce_by_key_config_selectorIiiN6thrust23THRUST_200600_302600_NS4plusIiEEEEZZNS1_33reduce_by_key_impl_wrapped_configILNS1_25lookback_scan_determinismE0ES3_S9_NS6_6detail15normal_iteratorINS6_10device_ptrIiEEEESG_SG_SG_PmS8_22is_equal_div_10_reduceIiEEE10hipError_tPvRmT2_T3_mT4_T5_T6_T7_T8_P12ihipStream_tbENKUlT_T0_E_clISt17integral_constantIbLb1EES10_IbLb0EEEEDaSW_SX_EUlSW_E_NS1_11comp_targetILNS1_3genE0ELNS1_11target_archE4294967295ELNS1_3gpuE0ELNS1_3repE0EEENS1_30default_config_static_selectorELNS0_4arch9wavefront6targetE1EEEvT1_
; %bb.0:
	.section	.rodata,"a",@progbits
	.p2align	6, 0x0
	.amdhsa_kernel _ZN7rocprim17ROCPRIM_400000_NS6detail17trampoline_kernelINS0_14default_configENS1_29reduce_by_key_config_selectorIiiN6thrust23THRUST_200600_302600_NS4plusIiEEEEZZNS1_33reduce_by_key_impl_wrapped_configILNS1_25lookback_scan_determinismE0ES3_S9_NS6_6detail15normal_iteratorINS6_10device_ptrIiEEEESG_SG_SG_PmS8_22is_equal_div_10_reduceIiEEE10hipError_tPvRmT2_T3_mT4_T5_T6_T7_T8_P12ihipStream_tbENKUlT_T0_E_clISt17integral_constantIbLb1EES10_IbLb0EEEEDaSW_SX_EUlSW_E_NS1_11comp_targetILNS1_3genE0ELNS1_11target_archE4294967295ELNS1_3gpuE0ELNS1_3repE0EEENS1_30default_config_static_selectorELNS0_4arch9wavefront6targetE1EEEvT1_
		.amdhsa_group_segment_fixed_size 0
		.amdhsa_private_segment_fixed_size 0
		.amdhsa_kernarg_size 120
		.amdhsa_user_sgpr_count 6
		.amdhsa_user_sgpr_private_segment_buffer 1
		.amdhsa_user_sgpr_dispatch_ptr 0
		.amdhsa_user_sgpr_queue_ptr 0
		.amdhsa_user_sgpr_kernarg_segment_ptr 1
		.amdhsa_user_sgpr_dispatch_id 0
		.amdhsa_user_sgpr_flat_scratch_init 0
		.amdhsa_user_sgpr_kernarg_preload_length 0
		.amdhsa_user_sgpr_kernarg_preload_offset 0
		.amdhsa_user_sgpr_private_segment_size 0
		.amdhsa_uses_dynamic_stack 0
		.amdhsa_system_sgpr_private_segment_wavefront_offset 0
		.amdhsa_system_sgpr_workgroup_id_x 1
		.amdhsa_system_sgpr_workgroup_id_y 0
		.amdhsa_system_sgpr_workgroup_id_z 0
		.amdhsa_system_sgpr_workgroup_info 0
		.amdhsa_system_vgpr_workitem_id 0
		.amdhsa_next_free_vgpr 1
		.amdhsa_next_free_sgpr 0
		.amdhsa_accum_offset 4
		.amdhsa_reserve_vcc 0
		.amdhsa_reserve_flat_scratch 0
		.amdhsa_float_round_mode_32 0
		.amdhsa_float_round_mode_16_64 0
		.amdhsa_float_denorm_mode_32 3
		.amdhsa_float_denorm_mode_16_64 3
		.amdhsa_dx10_clamp 1
		.amdhsa_ieee_mode 1
		.amdhsa_fp16_overflow 0
		.amdhsa_tg_split 0
		.amdhsa_exception_fp_ieee_invalid_op 0
		.amdhsa_exception_fp_denorm_src 0
		.amdhsa_exception_fp_ieee_div_zero 0
		.amdhsa_exception_fp_ieee_overflow 0
		.amdhsa_exception_fp_ieee_underflow 0
		.amdhsa_exception_fp_ieee_inexact 0
		.amdhsa_exception_int_div_zero 0
	.end_amdhsa_kernel
	.section	.text._ZN7rocprim17ROCPRIM_400000_NS6detail17trampoline_kernelINS0_14default_configENS1_29reduce_by_key_config_selectorIiiN6thrust23THRUST_200600_302600_NS4plusIiEEEEZZNS1_33reduce_by_key_impl_wrapped_configILNS1_25lookback_scan_determinismE0ES3_S9_NS6_6detail15normal_iteratorINS6_10device_ptrIiEEEESG_SG_SG_PmS8_22is_equal_div_10_reduceIiEEE10hipError_tPvRmT2_T3_mT4_T5_T6_T7_T8_P12ihipStream_tbENKUlT_T0_E_clISt17integral_constantIbLb1EES10_IbLb0EEEEDaSW_SX_EUlSW_E_NS1_11comp_targetILNS1_3genE0ELNS1_11target_archE4294967295ELNS1_3gpuE0ELNS1_3repE0EEENS1_30default_config_static_selectorELNS0_4arch9wavefront6targetE1EEEvT1_,"axG",@progbits,_ZN7rocprim17ROCPRIM_400000_NS6detail17trampoline_kernelINS0_14default_configENS1_29reduce_by_key_config_selectorIiiN6thrust23THRUST_200600_302600_NS4plusIiEEEEZZNS1_33reduce_by_key_impl_wrapped_configILNS1_25lookback_scan_determinismE0ES3_S9_NS6_6detail15normal_iteratorINS6_10device_ptrIiEEEESG_SG_SG_PmS8_22is_equal_div_10_reduceIiEEE10hipError_tPvRmT2_T3_mT4_T5_T6_T7_T8_P12ihipStream_tbENKUlT_T0_E_clISt17integral_constantIbLb1EES10_IbLb0EEEEDaSW_SX_EUlSW_E_NS1_11comp_targetILNS1_3genE0ELNS1_11target_archE4294967295ELNS1_3gpuE0ELNS1_3repE0EEENS1_30default_config_static_selectorELNS0_4arch9wavefront6targetE1EEEvT1_,comdat
.Lfunc_end602:
	.size	_ZN7rocprim17ROCPRIM_400000_NS6detail17trampoline_kernelINS0_14default_configENS1_29reduce_by_key_config_selectorIiiN6thrust23THRUST_200600_302600_NS4plusIiEEEEZZNS1_33reduce_by_key_impl_wrapped_configILNS1_25lookback_scan_determinismE0ES3_S9_NS6_6detail15normal_iteratorINS6_10device_ptrIiEEEESG_SG_SG_PmS8_22is_equal_div_10_reduceIiEEE10hipError_tPvRmT2_T3_mT4_T5_T6_T7_T8_P12ihipStream_tbENKUlT_T0_E_clISt17integral_constantIbLb1EES10_IbLb0EEEEDaSW_SX_EUlSW_E_NS1_11comp_targetILNS1_3genE0ELNS1_11target_archE4294967295ELNS1_3gpuE0ELNS1_3repE0EEENS1_30default_config_static_selectorELNS0_4arch9wavefront6targetE1EEEvT1_, .Lfunc_end602-_ZN7rocprim17ROCPRIM_400000_NS6detail17trampoline_kernelINS0_14default_configENS1_29reduce_by_key_config_selectorIiiN6thrust23THRUST_200600_302600_NS4plusIiEEEEZZNS1_33reduce_by_key_impl_wrapped_configILNS1_25lookback_scan_determinismE0ES3_S9_NS6_6detail15normal_iteratorINS6_10device_ptrIiEEEESG_SG_SG_PmS8_22is_equal_div_10_reduceIiEEE10hipError_tPvRmT2_T3_mT4_T5_T6_T7_T8_P12ihipStream_tbENKUlT_T0_E_clISt17integral_constantIbLb1EES10_IbLb0EEEEDaSW_SX_EUlSW_E_NS1_11comp_targetILNS1_3genE0ELNS1_11target_archE4294967295ELNS1_3gpuE0ELNS1_3repE0EEENS1_30default_config_static_selectorELNS0_4arch9wavefront6targetE1EEEvT1_
                                        ; -- End function
	.section	.AMDGPU.csdata,"",@progbits
; Kernel info:
; codeLenInByte = 0
; NumSgprs: 4
; NumVgprs: 0
; NumAgprs: 0
; TotalNumVgprs: 0
; ScratchSize: 0
; MemoryBound: 0
; FloatMode: 240
; IeeeMode: 1
; LDSByteSize: 0 bytes/workgroup (compile time only)
; SGPRBlocks: 0
; VGPRBlocks: 0
; NumSGPRsForWavesPerEU: 4
; NumVGPRsForWavesPerEU: 1
; AccumOffset: 4
; Occupancy: 8
; WaveLimiterHint : 0
; COMPUTE_PGM_RSRC2:SCRATCH_EN: 0
; COMPUTE_PGM_RSRC2:USER_SGPR: 6
; COMPUTE_PGM_RSRC2:TRAP_HANDLER: 0
; COMPUTE_PGM_RSRC2:TGID_X_EN: 1
; COMPUTE_PGM_RSRC2:TGID_Y_EN: 0
; COMPUTE_PGM_RSRC2:TGID_Z_EN: 0
; COMPUTE_PGM_RSRC2:TIDIG_COMP_CNT: 0
; COMPUTE_PGM_RSRC3_GFX90A:ACCUM_OFFSET: 0
; COMPUTE_PGM_RSRC3_GFX90A:TG_SPLIT: 0
	.section	.text._ZN7rocprim17ROCPRIM_400000_NS6detail17trampoline_kernelINS0_14default_configENS1_29reduce_by_key_config_selectorIiiN6thrust23THRUST_200600_302600_NS4plusIiEEEEZZNS1_33reduce_by_key_impl_wrapped_configILNS1_25lookback_scan_determinismE0ES3_S9_NS6_6detail15normal_iteratorINS6_10device_ptrIiEEEESG_SG_SG_PmS8_22is_equal_div_10_reduceIiEEE10hipError_tPvRmT2_T3_mT4_T5_T6_T7_T8_P12ihipStream_tbENKUlT_T0_E_clISt17integral_constantIbLb1EES10_IbLb0EEEEDaSW_SX_EUlSW_E_NS1_11comp_targetILNS1_3genE5ELNS1_11target_archE942ELNS1_3gpuE9ELNS1_3repE0EEENS1_30default_config_static_selectorELNS0_4arch9wavefront6targetE1EEEvT1_,"axG",@progbits,_ZN7rocprim17ROCPRIM_400000_NS6detail17trampoline_kernelINS0_14default_configENS1_29reduce_by_key_config_selectorIiiN6thrust23THRUST_200600_302600_NS4plusIiEEEEZZNS1_33reduce_by_key_impl_wrapped_configILNS1_25lookback_scan_determinismE0ES3_S9_NS6_6detail15normal_iteratorINS6_10device_ptrIiEEEESG_SG_SG_PmS8_22is_equal_div_10_reduceIiEEE10hipError_tPvRmT2_T3_mT4_T5_T6_T7_T8_P12ihipStream_tbENKUlT_T0_E_clISt17integral_constantIbLb1EES10_IbLb0EEEEDaSW_SX_EUlSW_E_NS1_11comp_targetILNS1_3genE5ELNS1_11target_archE942ELNS1_3gpuE9ELNS1_3repE0EEENS1_30default_config_static_selectorELNS0_4arch9wavefront6targetE1EEEvT1_,comdat
	.protected	_ZN7rocprim17ROCPRIM_400000_NS6detail17trampoline_kernelINS0_14default_configENS1_29reduce_by_key_config_selectorIiiN6thrust23THRUST_200600_302600_NS4plusIiEEEEZZNS1_33reduce_by_key_impl_wrapped_configILNS1_25lookback_scan_determinismE0ES3_S9_NS6_6detail15normal_iteratorINS6_10device_ptrIiEEEESG_SG_SG_PmS8_22is_equal_div_10_reduceIiEEE10hipError_tPvRmT2_T3_mT4_T5_T6_T7_T8_P12ihipStream_tbENKUlT_T0_E_clISt17integral_constantIbLb1EES10_IbLb0EEEEDaSW_SX_EUlSW_E_NS1_11comp_targetILNS1_3genE5ELNS1_11target_archE942ELNS1_3gpuE9ELNS1_3repE0EEENS1_30default_config_static_selectorELNS0_4arch9wavefront6targetE1EEEvT1_ ; -- Begin function _ZN7rocprim17ROCPRIM_400000_NS6detail17trampoline_kernelINS0_14default_configENS1_29reduce_by_key_config_selectorIiiN6thrust23THRUST_200600_302600_NS4plusIiEEEEZZNS1_33reduce_by_key_impl_wrapped_configILNS1_25lookback_scan_determinismE0ES3_S9_NS6_6detail15normal_iteratorINS6_10device_ptrIiEEEESG_SG_SG_PmS8_22is_equal_div_10_reduceIiEEE10hipError_tPvRmT2_T3_mT4_T5_T6_T7_T8_P12ihipStream_tbENKUlT_T0_E_clISt17integral_constantIbLb1EES10_IbLb0EEEEDaSW_SX_EUlSW_E_NS1_11comp_targetILNS1_3genE5ELNS1_11target_archE942ELNS1_3gpuE9ELNS1_3repE0EEENS1_30default_config_static_selectorELNS0_4arch9wavefront6targetE1EEEvT1_
	.globl	_ZN7rocprim17ROCPRIM_400000_NS6detail17trampoline_kernelINS0_14default_configENS1_29reduce_by_key_config_selectorIiiN6thrust23THRUST_200600_302600_NS4plusIiEEEEZZNS1_33reduce_by_key_impl_wrapped_configILNS1_25lookback_scan_determinismE0ES3_S9_NS6_6detail15normal_iteratorINS6_10device_ptrIiEEEESG_SG_SG_PmS8_22is_equal_div_10_reduceIiEEE10hipError_tPvRmT2_T3_mT4_T5_T6_T7_T8_P12ihipStream_tbENKUlT_T0_E_clISt17integral_constantIbLb1EES10_IbLb0EEEEDaSW_SX_EUlSW_E_NS1_11comp_targetILNS1_3genE5ELNS1_11target_archE942ELNS1_3gpuE9ELNS1_3repE0EEENS1_30default_config_static_selectorELNS0_4arch9wavefront6targetE1EEEvT1_
	.p2align	8
	.type	_ZN7rocprim17ROCPRIM_400000_NS6detail17trampoline_kernelINS0_14default_configENS1_29reduce_by_key_config_selectorIiiN6thrust23THRUST_200600_302600_NS4plusIiEEEEZZNS1_33reduce_by_key_impl_wrapped_configILNS1_25lookback_scan_determinismE0ES3_S9_NS6_6detail15normal_iteratorINS6_10device_ptrIiEEEESG_SG_SG_PmS8_22is_equal_div_10_reduceIiEEE10hipError_tPvRmT2_T3_mT4_T5_T6_T7_T8_P12ihipStream_tbENKUlT_T0_E_clISt17integral_constantIbLb1EES10_IbLb0EEEEDaSW_SX_EUlSW_E_NS1_11comp_targetILNS1_3genE5ELNS1_11target_archE942ELNS1_3gpuE9ELNS1_3repE0EEENS1_30default_config_static_selectorELNS0_4arch9wavefront6targetE1EEEvT1_,@function
_ZN7rocprim17ROCPRIM_400000_NS6detail17trampoline_kernelINS0_14default_configENS1_29reduce_by_key_config_selectorIiiN6thrust23THRUST_200600_302600_NS4plusIiEEEEZZNS1_33reduce_by_key_impl_wrapped_configILNS1_25lookback_scan_determinismE0ES3_S9_NS6_6detail15normal_iteratorINS6_10device_ptrIiEEEESG_SG_SG_PmS8_22is_equal_div_10_reduceIiEEE10hipError_tPvRmT2_T3_mT4_T5_T6_T7_T8_P12ihipStream_tbENKUlT_T0_E_clISt17integral_constantIbLb1EES10_IbLb0EEEEDaSW_SX_EUlSW_E_NS1_11comp_targetILNS1_3genE5ELNS1_11target_archE942ELNS1_3gpuE9ELNS1_3repE0EEENS1_30default_config_static_selectorELNS0_4arch9wavefront6targetE1EEEvT1_: ; @_ZN7rocprim17ROCPRIM_400000_NS6detail17trampoline_kernelINS0_14default_configENS1_29reduce_by_key_config_selectorIiiN6thrust23THRUST_200600_302600_NS4plusIiEEEEZZNS1_33reduce_by_key_impl_wrapped_configILNS1_25lookback_scan_determinismE0ES3_S9_NS6_6detail15normal_iteratorINS6_10device_ptrIiEEEESG_SG_SG_PmS8_22is_equal_div_10_reduceIiEEE10hipError_tPvRmT2_T3_mT4_T5_T6_T7_T8_P12ihipStream_tbENKUlT_T0_E_clISt17integral_constantIbLb1EES10_IbLb0EEEEDaSW_SX_EUlSW_E_NS1_11comp_targetILNS1_3genE5ELNS1_11target_archE942ELNS1_3gpuE9ELNS1_3repE0EEENS1_30default_config_static_selectorELNS0_4arch9wavefront6targetE1EEEvT1_
; %bb.0:
	.section	.rodata,"a",@progbits
	.p2align	6, 0x0
	.amdhsa_kernel _ZN7rocprim17ROCPRIM_400000_NS6detail17trampoline_kernelINS0_14default_configENS1_29reduce_by_key_config_selectorIiiN6thrust23THRUST_200600_302600_NS4plusIiEEEEZZNS1_33reduce_by_key_impl_wrapped_configILNS1_25lookback_scan_determinismE0ES3_S9_NS6_6detail15normal_iteratorINS6_10device_ptrIiEEEESG_SG_SG_PmS8_22is_equal_div_10_reduceIiEEE10hipError_tPvRmT2_T3_mT4_T5_T6_T7_T8_P12ihipStream_tbENKUlT_T0_E_clISt17integral_constantIbLb1EES10_IbLb0EEEEDaSW_SX_EUlSW_E_NS1_11comp_targetILNS1_3genE5ELNS1_11target_archE942ELNS1_3gpuE9ELNS1_3repE0EEENS1_30default_config_static_selectorELNS0_4arch9wavefront6targetE1EEEvT1_
		.amdhsa_group_segment_fixed_size 0
		.amdhsa_private_segment_fixed_size 0
		.amdhsa_kernarg_size 120
		.amdhsa_user_sgpr_count 6
		.amdhsa_user_sgpr_private_segment_buffer 1
		.amdhsa_user_sgpr_dispatch_ptr 0
		.amdhsa_user_sgpr_queue_ptr 0
		.amdhsa_user_sgpr_kernarg_segment_ptr 1
		.amdhsa_user_sgpr_dispatch_id 0
		.amdhsa_user_sgpr_flat_scratch_init 0
		.amdhsa_user_sgpr_kernarg_preload_length 0
		.amdhsa_user_sgpr_kernarg_preload_offset 0
		.amdhsa_user_sgpr_private_segment_size 0
		.amdhsa_uses_dynamic_stack 0
		.amdhsa_system_sgpr_private_segment_wavefront_offset 0
		.amdhsa_system_sgpr_workgroup_id_x 1
		.amdhsa_system_sgpr_workgroup_id_y 0
		.amdhsa_system_sgpr_workgroup_id_z 0
		.amdhsa_system_sgpr_workgroup_info 0
		.amdhsa_system_vgpr_workitem_id 0
		.amdhsa_next_free_vgpr 1
		.amdhsa_next_free_sgpr 0
		.amdhsa_accum_offset 4
		.amdhsa_reserve_vcc 0
		.amdhsa_reserve_flat_scratch 0
		.amdhsa_float_round_mode_32 0
		.amdhsa_float_round_mode_16_64 0
		.amdhsa_float_denorm_mode_32 3
		.amdhsa_float_denorm_mode_16_64 3
		.amdhsa_dx10_clamp 1
		.amdhsa_ieee_mode 1
		.amdhsa_fp16_overflow 0
		.amdhsa_tg_split 0
		.amdhsa_exception_fp_ieee_invalid_op 0
		.amdhsa_exception_fp_denorm_src 0
		.amdhsa_exception_fp_ieee_div_zero 0
		.amdhsa_exception_fp_ieee_overflow 0
		.amdhsa_exception_fp_ieee_underflow 0
		.amdhsa_exception_fp_ieee_inexact 0
		.amdhsa_exception_int_div_zero 0
	.end_amdhsa_kernel
	.section	.text._ZN7rocprim17ROCPRIM_400000_NS6detail17trampoline_kernelINS0_14default_configENS1_29reduce_by_key_config_selectorIiiN6thrust23THRUST_200600_302600_NS4plusIiEEEEZZNS1_33reduce_by_key_impl_wrapped_configILNS1_25lookback_scan_determinismE0ES3_S9_NS6_6detail15normal_iteratorINS6_10device_ptrIiEEEESG_SG_SG_PmS8_22is_equal_div_10_reduceIiEEE10hipError_tPvRmT2_T3_mT4_T5_T6_T7_T8_P12ihipStream_tbENKUlT_T0_E_clISt17integral_constantIbLb1EES10_IbLb0EEEEDaSW_SX_EUlSW_E_NS1_11comp_targetILNS1_3genE5ELNS1_11target_archE942ELNS1_3gpuE9ELNS1_3repE0EEENS1_30default_config_static_selectorELNS0_4arch9wavefront6targetE1EEEvT1_,"axG",@progbits,_ZN7rocprim17ROCPRIM_400000_NS6detail17trampoline_kernelINS0_14default_configENS1_29reduce_by_key_config_selectorIiiN6thrust23THRUST_200600_302600_NS4plusIiEEEEZZNS1_33reduce_by_key_impl_wrapped_configILNS1_25lookback_scan_determinismE0ES3_S9_NS6_6detail15normal_iteratorINS6_10device_ptrIiEEEESG_SG_SG_PmS8_22is_equal_div_10_reduceIiEEE10hipError_tPvRmT2_T3_mT4_T5_T6_T7_T8_P12ihipStream_tbENKUlT_T0_E_clISt17integral_constantIbLb1EES10_IbLb0EEEEDaSW_SX_EUlSW_E_NS1_11comp_targetILNS1_3genE5ELNS1_11target_archE942ELNS1_3gpuE9ELNS1_3repE0EEENS1_30default_config_static_selectorELNS0_4arch9wavefront6targetE1EEEvT1_,comdat
.Lfunc_end603:
	.size	_ZN7rocprim17ROCPRIM_400000_NS6detail17trampoline_kernelINS0_14default_configENS1_29reduce_by_key_config_selectorIiiN6thrust23THRUST_200600_302600_NS4plusIiEEEEZZNS1_33reduce_by_key_impl_wrapped_configILNS1_25lookback_scan_determinismE0ES3_S9_NS6_6detail15normal_iteratorINS6_10device_ptrIiEEEESG_SG_SG_PmS8_22is_equal_div_10_reduceIiEEE10hipError_tPvRmT2_T3_mT4_T5_T6_T7_T8_P12ihipStream_tbENKUlT_T0_E_clISt17integral_constantIbLb1EES10_IbLb0EEEEDaSW_SX_EUlSW_E_NS1_11comp_targetILNS1_3genE5ELNS1_11target_archE942ELNS1_3gpuE9ELNS1_3repE0EEENS1_30default_config_static_selectorELNS0_4arch9wavefront6targetE1EEEvT1_, .Lfunc_end603-_ZN7rocprim17ROCPRIM_400000_NS6detail17trampoline_kernelINS0_14default_configENS1_29reduce_by_key_config_selectorIiiN6thrust23THRUST_200600_302600_NS4plusIiEEEEZZNS1_33reduce_by_key_impl_wrapped_configILNS1_25lookback_scan_determinismE0ES3_S9_NS6_6detail15normal_iteratorINS6_10device_ptrIiEEEESG_SG_SG_PmS8_22is_equal_div_10_reduceIiEEE10hipError_tPvRmT2_T3_mT4_T5_T6_T7_T8_P12ihipStream_tbENKUlT_T0_E_clISt17integral_constantIbLb1EES10_IbLb0EEEEDaSW_SX_EUlSW_E_NS1_11comp_targetILNS1_3genE5ELNS1_11target_archE942ELNS1_3gpuE9ELNS1_3repE0EEENS1_30default_config_static_selectorELNS0_4arch9wavefront6targetE1EEEvT1_
                                        ; -- End function
	.section	.AMDGPU.csdata,"",@progbits
; Kernel info:
; codeLenInByte = 0
; NumSgprs: 4
; NumVgprs: 0
; NumAgprs: 0
; TotalNumVgprs: 0
; ScratchSize: 0
; MemoryBound: 0
; FloatMode: 240
; IeeeMode: 1
; LDSByteSize: 0 bytes/workgroup (compile time only)
; SGPRBlocks: 0
; VGPRBlocks: 0
; NumSGPRsForWavesPerEU: 4
; NumVGPRsForWavesPerEU: 1
; AccumOffset: 4
; Occupancy: 8
; WaveLimiterHint : 0
; COMPUTE_PGM_RSRC2:SCRATCH_EN: 0
; COMPUTE_PGM_RSRC2:USER_SGPR: 6
; COMPUTE_PGM_RSRC2:TRAP_HANDLER: 0
; COMPUTE_PGM_RSRC2:TGID_X_EN: 1
; COMPUTE_PGM_RSRC2:TGID_Y_EN: 0
; COMPUTE_PGM_RSRC2:TGID_Z_EN: 0
; COMPUTE_PGM_RSRC2:TIDIG_COMP_CNT: 0
; COMPUTE_PGM_RSRC3_GFX90A:ACCUM_OFFSET: 0
; COMPUTE_PGM_RSRC3_GFX90A:TG_SPLIT: 0
	.section	.text._ZN7rocprim17ROCPRIM_400000_NS6detail17trampoline_kernelINS0_14default_configENS1_29reduce_by_key_config_selectorIiiN6thrust23THRUST_200600_302600_NS4plusIiEEEEZZNS1_33reduce_by_key_impl_wrapped_configILNS1_25lookback_scan_determinismE0ES3_S9_NS6_6detail15normal_iteratorINS6_10device_ptrIiEEEESG_SG_SG_PmS8_22is_equal_div_10_reduceIiEEE10hipError_tPvRmT2_T3_mT4_T5_T6_T7_T8_P12ihipStream_tbENKUlT_T0_E_clISt17integral_constantIbLb1EES10_IbLb0EEEEDaSW_SX_EUlSW_E_NS1_11comp_targetILNS1_3genE4ELNS1_11target_archE910ELNS1_3gpuE8ELNS1_3repE0EEENS1_30default_config_static_selectorELNS0_4arch9wavefront6targetE1EEEvT1_,"axG",@progbits,_ZN7rocprim17ROCPRIM_400000_NS6detail17trampoline_kernelINS0_14default_configENS1_29reduce_by_key_config_selectorIiiN6thrust23THRUST_200600_302600_NS4plusIiEEEEZZNS1_33reduce_by_key_impl_wrapped_configILNS1_25lookback_scan_determinismE0ES3_S9_NS6_6detail15normal_iteratorINS6_10device_ptrIiEEEESG_SG_SG_PmS8_22is_equal_div_10_reduceIiEEE10hipError_tPvRmT2_T3_mT4_T5_T6_T7_T8_P12ihipStream_tbENKUlT_T0_E_clISt17integral_constantIbLb1EES10_IbLb0EEEEDaSW_SX_EUlSW_E_NS1_11comp_targetILNS1_3genE4ELNS1_11target_archE910ELNS1_3gpuE8ELNS1_3repE0EEENS1_30default_config_static_selectorELNS0_4arch9wavefront6targetE1EEEvT1_,comdat
	.protected	_ZN7rocprim17ROCPRIM_400000_NS6detail17trampoline_kernelINS0_14default_configENS1_29reduce_by_key_config_selectorIiiN6thrust23THRUST_200600_302600_NS4plusIiEEEEZZNS1_33reduce_by_key_impl_wrapped_configILNS1_25lookback_scan_determinismE0ES3_S9_NS6_6detail15normal_iteratorINS6_10device_ptrIiEEEESG_SG_SG_PmS8_22is_equal_div_10_reduceIiEEE10hipError_tPvRmT2_T3_mT4_T5_T6_T7_T8_P12ihipStream_tbENKUlT_T0_E_clISt17integral_constantIbLb1EES10_IbLb0EEEEDaSW_SX_EUlSW_E_NS1_11comp_targetILNS1_3genE4ELNS1_11target_archE910ELNS1_3gpuE8ELNS1_3repE0EEENS1_30default_config_static_selectorELNS0_4arch9wavefront6targetE1EEEvT1_ ; -- Begin function _ZN7rocprim17ROCPRIM_400000_NS6detail17trampoline_kernelINS0_14default_configENS1_29reduce_by_key_config_selectorIiiN6thrust23THRUST_200600_302600_NS4plusIiEEEEZZNS1_33reduce_by_key_impl_wrapped_configILNS1_25lookback_scan_determinismE0ES3_S9_NS6_6detail15normal_iteratorINS6_10device_ptrIiEEEESG_SG_SG_PmS8_22is_equal_div_10_reduceIiEEE10hipError_tPvRmT2_T3_mT4_T5_T6_T7_T8_P12ihipStream_tbENKUlT_T0_E_clISt17integral_constantIbLb1EES10_IbLb0EEEEDaSW_SX_EUlSW_E_NS1_11comp_targetILNS1_3genE4ELNS1_11target_archE910ELNS1_3gpuE8ELNS1_3repE0EEENS1_30default_config_static_selectorELNS0_4arch9wavefront6targetE1EEEvT1_
	.globl	_ZN7rocprim17ROCPRIM_400000_NS6detail17trampoline_kernelINS0_14default_configENS1_29reduce_by_key_config_selectorIiiN6thrust23THRUST_200600_302600_NS4plusIiEEEEZZNS1_33reduce_by_key_impl_wrapped_configILNS1_25lookback_scan_determinismE0ES3_S9_NS6_6detail15normal_iteratorINS6_10device_ptrIiEEEESG_SG_SG_PmS8_22is_equal_div_10_reduceIiEEE10hipError_tPvRmT2_T3_mT4_T5_T6_T7_T8_P12ihipStream_tbENKUlT_T0_E_clISt17integral_constantIbLb1EES10_IbLb0EEEEDaSW_SX_EUlSW_E_NS1_11comp_targetILNS1_3genE4ELNS1_11target_archE910ELNS1_3gpuE8ELNS1_3repE0EEENS1_30default_config_static_selectorELNS0_4arch9wavefront6targetE1EEEvT1_
	.p2align	8
	.type	_ZN7rocprim17ROCPRIM_400000_NS6detail17trampoline_kernelINS0_14default_configENS1_29reduce_by_key_config_selectorIiiN6thrust23THRUST_200600_302600_NS4plusIiEEEEZZNS1_33reduce_by_key_impl_wrapped_configILNS1_25lookback_scan_determinismE0ES3_S9_NS6_6detail15normal_iteratorINS6_10device_ptrIiEEEESG_SG_SG_PmS8_22is_equal_div_10_reduceIiEEE10hipError_tPvRmT2_T3_mT4_T5_T6_T7_T8_P12ihipStream_tbENKUlT_T0_E_clISt17integral_constantIbLb1EES10_IbLb0EEEEDaSW_SX_EUlSW_E_NS1_11comp_targetILNS1_3genE4ELNS1_11target_archE910ELNS1_3gpuE8ELNS1_3repE0EEENS1_30default_config_static_selectorELNS0_4arch9wavefront6targetE1EEEvT1_,@function
_ZN7rocprim17ROCPRIM_400000_NS6detail17trampoline_kernelINS0_14default_configENS1_29reduce_by_key_config_selectorIiiN6thrust23THRUST_200600_302600_NS4plusIiEEEEZZNS1_33reduce_by_key_impl_wrapped_configILNS1_25lookback_scan_determinismE0ES3_S9_NS6_6detail15normal_iteratorINS6_10device_ptrIiEEEESG_SG_SG_PmS8_22is_equal_div_10_reduceIiEEE10hipError_tPvRmT2_T3_mT4_T5_T6_T7_T8_P12ihipStream_tbENKUlT_T0_E_clISt17integral_constantIbLb1EES10_IbLb0EEEEDaSW_SX_EUlSW_E_NS1_11comp_targetILNS1_3genE4ELNS1_11target_archE910ELNS1_3gpuE8ELNS1_3repE0EEENS1_30default_config_static_selectorELNS0_4arch9wavefront6targetE1EEEvT1_: ; @_ZN7rocprim17ROCPRIM_400000_NS6detail17trampoline_kernelINS0_14default_configENS1_29reduce_by_key_config_selectorIiiN6thrust23THRUST_200600_302600_NS4plusIiEEEEZZNS1_33reduce_by_key_impl_wrapped_configILNS1_25lookback_scan_determinismE0ES3_S9_NS6_6detail15normal_iteratorINS6_10device_ptrIiEEEESG_SG_SG_PmS8_22is_equal_div_10_reduceIiEEE10hipError_tPvRmT2_T3_mT4_T5_T6_T7_T8_P12ihipStream_tbENKUlT_T0_E_clISt17integral_constantIbLb1EES10_IbLb0EEEEDaSW_SX_EUlSW_E_NS1_11comp_targetILNS1_3genE4ELNS1_11target_archE910ELNS1_3gpuE8ELNS1_3repE0EEENS1_30default_config_static_selectorELNS0_4arch9wavefront6targetE1EEEvT1_
; %bb.0:
	s_load_dwordx8 s[36:43], s[4:5], 0x0
	s_load_dwordx4 s[52:55], s[4:5], 0x20
	s_load_dwordx8 s[44:51], s[4:5], 0x38
	s_load_dwordx2 s[60:61], s[4:5], 0x68
	s_load_dwordx4 s[56:59], s[4:5], 0x58
	s_waitcnt lgkmcnt(0)
	s_lshl_b64 s[0:1], s[38:39], 2
	s_add_u32 s2, s36, s0
	s_addc_u32 s3, s37, s1
	s_add_u32 s4, s40, s0
	s_addc_u32 s5, s41, s1
	s_mul_i32 s0, s48, s47
	s_mul_hi_u32 s1, s48, s46
	s_add_i32 s0, s1, s0
	s_mul_i32 s1, s49, s46
	s_add_i32 s8, s0, s1
	s_mul_i32 s0, s6, 0xf00
	s_mov_b32 s1, 0
	s_lshl_b64 s[0:1], s[0:1], 2
	s_add_u32 s7, s2, s0
	s_mul_i32 s9, s48, s46
	s_addc_u32 s48, s3, s1
	s_add_u32 s49, s4, s0
	s_addc_u32 s62, s5, s1
	s_add_u32 s38, s9, s6
	s_addc_u32 s39, s8, 0
	s_add_u32 s2, s50, -1
	s_addc_u32 s3, s51, -1
	s_cmp_eq_u64 s[38:39], s[2:3]
	s_cselect_b64 s[34:35], -1, 0
	s_cmp_lg_u64 s[38:39], s[2:3]
	s_mov_b64 s[0:1], -1
	s_cselect_b64 s[40:41], -1, 0
	s_mul_i32 s33, s2, 0xfffff100
	s_and_b64 vcc, exec, s[34:35]
	s_cbranch_vccnz .LBB604_2
; %bb.1:
	v_lshlrev_b32_e32 v26, 2, v0
	v_mov_b32_e32 v1, s48
	v_add_co_u32_e32 v2, vcc, s7, v26
	v_addc_co_u32_e32 v3, vcc, 0, v1, vcc
	v_add_co_u32_e32 v4, vcc, 0x1000, v2
	v_addc_co_u32_e32 v5, vcc, 0, v3, vcc
	flat_load_dword v1, v[2:3]
	flat_load_dword v8, v[2:3] offset:1024
	flat_load_dword v9, v[2:3] offset:2048
	flat_load_dword v10, v[2:3] offset:3072
	flat_load_dword v11, v[4:5]
	flat_load_dword v12, v[4:5] offset:1024
	flat_load_dword v13, v[4:5] offset:2048
	;; [unrolled: 1-line block ×3, first 2 shown]
	v_add_co_u32_e32 v4, vcc, 0x2000, v2
	v_addc_co_u32_e32 v5, vcc, 0, v3, vcc
	v_add_co_u32_e32 v2, vcc, 0x3000, v2
	v_addc_co_u32_e32 v3, vcc, 0, v3, vcc
	flat_load_dword v15, v[4:5]
	flat_load_dword v16, v[4:5] offset:1024
	flat_load_dword v17, v[4:5] offset:2048
	;; [unrolled: 1-line block ×3, first 2 shown]
	flat_load_dword v19, v[2:3]
	flat_load_dword v20, v[2:3] offset:1024
	flat_load_dword v21, v[2:3] offset:2048
	v_mov_b32_e32 v3, s62
	v_add_co_u32_e32 v4, vcc, s49, v26
	s_movk_i32 s0, 0x1000
	v_addc_co_u32_e32 v5, vcc, 0, v3, vcc
	v_add_co_u32_e32 v6, vcc, s0, v4
	s_movk_i32 s1, 0x2000
	v_addc_co_u32_e32 v7, vcc, 0, v5, vcc
	;; [unrolled: 3-line block ×3, first 2 shown]
	v_mad_u32_u24 v2, v0, 56, v26
	v_add_co_u32_e32 v24, vcc, s2, v4
	v_addc_co_u32_e32 v25, vcc, 0, v5, vcc
	s_waitcnt vmcnt(0) lgkmcnt(0)
	ds_write2st64_b32 v26, v1, v8 offset1:4
	ds_write2st64_b32 v26, v9, v10 offset0:8 offset1:12
	ds_write2st64_b32 v26, v11, v12 offset0:16 offset1:20
	;; [unrolled: 1-line block ×6, first 2 shown]
	ds_write_b32 v26, v21 offset:14336
	s_waitcnt lgkmcnt(0)
	s_barrier
	ds_read2_b32 v[20:21], v2 offset1:1
	ds_read2_b32 v[18:19], v2 offset0:2 offset1:3
	ds_read2_b32 v[16:17], v2 offset0:4 offset1:5
	;; [unrolled: 1-line block ×6, first 2 shown]
	ds_read_b32 v1, v2 offset:56
	s_waitcnt lgkmcnt(0)
	s_barrier
	flat_load_dword v3, v[4:5]
	flat_load_dword v27, v[4:5] offset:1024
	flat_load_dword v28, v[4:5] offset:2048
	flat_load_dword v29, v[4:5] offset:3072
	flat_load_dword v30, v[6:7]
	flat_load_dword v31, v[6:7] offset:1024
	flat_load_dword v32, v[6:7] offset:2048
	flat_load_dword v33, v[6:7] offset:3072
	;; [unrolled: 4-line block ×3, first 2 shown]
	flat_load_dword v38, v[24:25]
	flat_load_dword v39, v[24:25] offset:1024
	flat_load_dword v40, v[24:25] offset:2048
	v_mul_u32_u24_e32 v22, 15, v0
	s_waitcnt vmcnt(0) lgkmcnt(0)
	ds_write2st64_b32 v26, v3, v27 offset1:4
	ds_write2st64_b32 v26, v28, v29 offset0:8 offset1:12
	ds_write2st64_b32 v26, v30, v31 offset0:16 offset1:20
	;; [unrolled: 1-line block ×6, first 2 shown]
	ds_write_b32 v26, v40 offset:14336
	s_waitcnt lgkmcnt(0)
	s_barrier
	s_add_i32 s33, s33, s56
	s_cbranch_execz .LBB604_3
	s_branch .LBB604_50
.LBB604_2:
                                        ; implicit-def: $vgpr8_vgpr9
                                        ; implicit-def: $vgpr10_vgpr11
                                        ; implicit-def: $vgpr12_vgpr13
                                        ; implicit-def: $vgpr14_vgpr15
                                        ; implicit-def: $vgpr16_vgpr17
                                        ; implicit-def: $vgpr18_vgpr19
                                        ; implicit-def: $vgpr20_vgpr21
                                        ; implicit-def: $vgpr22
                                        ; implicit-def: $vgpr2
                                        ; implicit-def: $vgpr1
	s_andn2_b64 vcc, exec, s[0:1]
	s_add_i32 s33, s33, s56
	s_cbranch_vccnz .LBB604_50
.LBB604_3:
	v_cmp_gt_u32_e32 vcc, s33, v0
                                        ; implicit-def: $vgpr1
	s_and_saveexec_b64 s[2:3], vcc
	s_cbranch_execz .LBB604_5
; %bb.4:
	v_lshlrev_b32_e32 v1, 2, v0
	v_mov_b32_e32 v3, s48
	v_add_co_u32_e64 v2, s[0:1], s7, v1
	v_addc_co_u32_e64 v3, s[0:1], 0, v3, s[0:1]
	flat_load_dword v1, v[2:3]
.LBB604_5:
	s_or_b64 exec, exec, s[2:3]
	v_or_b32_e32 v2, 0x100, v0
	v_cmp_gt_u32_e64 s[0:1], s33, v2
                                        ; implicit-def: $vgpr2
	s_and_saveexec_b64 s[4:5], s[0:1]
	s_cbranch_execz .LBB604_7
; %bb.6:
	v_lshlrev_b32_e32 v2, 2, v0
	v_mov_b32_e32 v3, s48
	v_add_co_u32_e64 v2, s[2:3], s7, v2
	v_addc_co_u32_e64 v3, s[2:3], 0, v3, s[2:3]
	flat_load_dword v2, v[2:3] offset:1024
.LBB604_7:
	s_or_b64 exec, exec, s[4:5]
	v_or_b32_e32 v3, 0x200, v0
	v_cmp_gt_u32_e64 s[2:3], s33, v3
                                        ; implicit-def: $vgpr8
	s_and_saveexec_b64 s[8:9], s[2:3]
	s_cbranch_execz .LBB604_9
; %bb.8:
	v_lshlrev_b32_e32 v3, 2, v0
	v_mov_b32_e32 v5, s48
	v_add_co_u32_e64 v4, s[4:5], s7, v3
	v_addc_co_u32_e64 v5, s[4:5], 0, v5, s[4:5]
	flat_load_dword v8, v[4:5] offset:2048
.LBB604_9:
	s_or_b64 exec, exec, s[8:9]
	v_or_b32_e32 v3, 0x300, v0
	v_cmp_gt_u32_e64 s[4:5], s33, v3
                                        ; implicit-def: $vgpr9
	s_and_saveexec_b64 s[10:11], s[4:5]
	s_cbranch_execz .LBB604_11
; %bb.10:
	v_lshlrev_b32_e32 v3, 2, v0
	v_mov_b32_e32 v5, s48
	v_add_co_u32_e64 v4, s[8:9], s7, v3
	v_addc_co_u32_e64 v5, s[8:9], 0, v5, s[8:9]
	flat_load_dword v9, v[4:5] offset:3072
.LBB604_11:
	s_or_b64 exec, exec, s[10:11]
	v_or_b32_e32 v3, 0x400, v0
	v_cmp_gt_u32_e64 s[28:29], s33, v3
                                        ; implicit-def: $vgpr10
	s_and_saveexec_b64 s[10:11], s[28:29]
	s_cbranch_execz .LBB604_13
; %bb.12:
	v_lshlrev_b32_e32 v4, 2, v3
	v_mov_b32_e32 v5, s48
	v_add_co_u32_e64 v4, s[8:9], s7, v4
	v_addc_co_u32_e64 v5, s[8:9], 0, v5, s[8:9]
	flat_load_dword v10, v[4:5]
.LBB604_13:
	s_or_b64 exec, exec, s[10:11]
	v_or_b32_e32 v4, 0x500, v0
	v_cmp_gt_u32_e64 s[8:9], s33, v4
                                        ; implicit-def: $vgpr11
	s_and_saveexec_b64 s[12:13], s[8:9]
	s_cbranch_execz .LBB604_15
; %bb.14:
	v_lshlrev_b32_e32 v5, 2, v4
	v_mov_b32_e32 v7, s48
	v_add_co_u32_e64 v6, s[10:11], s7, v5
	v_addc_co_u32_e64 v7, s[10:11], 0, v7, s[10:11]
	flat_load_dword v11, v[6:7]
.LBB604_15:
	s_or_b64 exec, exec, s[12:13]
	v_or_b32_e32 v5, 0x600, v0
	v_cmp_gt_u32_e64 s[10:11], s33, v5
                                        ; implicit-def: $vgpr12
	s_and_saveexec_b64 s[14:15], s[10:11]
	s_cbranch_execz .LBB604_17
; %bb.16:
	v_lshlrev_b32_e32 v6, 2, v5
	v_mov_b32_e32 v7, s48
	v_add_co_u32_e64 v6, s[12:13], s7, v6
	v_addc_co_u32_e64 v7, s[12:13], 0, v7, s[12:13]
	flat_load_dword v12, v[6:7]
.LBB604_17:
	s_or_b64 exec, exec, s[14:15]
	v_or_b32_e32 v6, 0x700, v0
	v_cmp_gt_u32_e64 s[12:13], s33, v6
                                        ; implicit-def: $vgpr13
	s_and_saveexec_b64 s[16:17], s[12:13]
	s_cbranch_execz .LBB604_19
; %bb.18:
	v_lshlrev_b32_e32 v7, 2, v6
	v_mov_b32_e32 v13, s48
	v_add_co_u32_e64 v14, s[14:15], s7, v7
	v_addc_co_u32_e64 v15, s[14:15], 0, v13, s[14:15]
	flat_load_dword v13, v[14:15]
.LBB604_19:
	s_or_b64 exec, exec, s[16:17]
	v_or_b32_e32 v7, 0x800, v0
	v_cmp_gt_u32_e64 s[14:15], s33, v7
                                        ; implicit-def: $vgpr14
	s_and_saveexec_b64 s[18:19], s[14:15]
	s_cbranch_execz .LBB604_21
; %bb.20:
	v_lshlrev_b32_e32 v14, 2, v7
	v_mov_b32_e32 v15, s48
	v_add_co_u32_e64 v14, s[16:17], s7, v14
	v_addc_co_u32_e64 v15, s[16:17], 0, v15, s[16:17]
	flat_load_dword v14, v[14:15]
.LBB604_21:
	s_or_b64 exec, exec, s[18:19]
	v_or_b32_e32 v22, 0x900, v0
	v_cmp_gt_u32_e64 s[16:17], s33, v22
                                        ; implicit-def: $vgpr15
	s_and_saveexec_b64 s[20:21], s[16:17]
	s_cbranch_execz .LBB604_23
; %bb.22:
	v_lshlrev_b32_e32 v15, 2, v22
	v_mov_b32_e32 v17, s48
	v_add_co_u32_e64 v16, s[18:19], s7, v15
	v_addc_co_u32_e64 v17, s[18:19], 0, v17, s[18:19]
	flat_load_dword v15, v[16:17]
.LBB604_23:
	s_or_b64 exec, exec, s[20:21]
	v_or_b32_e32 v23, 0xa00, v0
	v_cmp_gt_u32_e64 s[18:19], s33, v23
                                        ; implicit-def: $vgpr16
	s_and_saveexec_b64 s[22:23], s[18:19]
	s_cbranch_execz .LBB604_25
; %bb.24:
	v_lshlrev_b32_e32 v16, 2, v23
	v_mov_b32_e32 v17, s48
	v_add_co_u32_e64 v16, s[20:21], s7, v16
	v_addc_co_u32_e64 v17, s[20:21], 0, v17, s[20:21]
	flat_load_dword v16, v[16:17]
.LBB604_25:
	s_or_b64 exec, exec, s[22:23]
	v_or_b32_e32 v24, 0xb00, v0
	v_cmp_gt_u32_e64 s[20:21], s33, v24
                                        ; implicit-def: $vgpr17
	s_and_saveexec_b64 s[24:25], s[20:21]
	s_cbranch_execz .LBB604_27
; %bb.26:
	v_lshlrev_b32_e32 v17, 2, v24
	v_mov_b32_e32 v19, s48
	v_add_co_u32_e64 v18, s[22:23], s7, v17
	v_addc_co_u32_e64 v19, s[22:23], 0, v19, s[22:23]
	flat_load_dword v17, v[18:19]
.LBB604_27:
	s_or_b64 exec, exec, s[24:25]
	v_or_b32_e32 v25, 0xc00, v0
	v_cmp_gt_u32_e64 s[22:23], s33, v25
                                        ; implicit-def: $vgpr18
	s_and_saveexec_b64 s[26:27], s[22:23]
	s_cbranch_execz .LBB604_29
; %bb.28:
	v_lshlrev_b32_e32 v18, 2, v25
	v_mov_b32_e32 v19, s48
	v_add_co_u32_e64 v18, s[24:25], s7, v18
	v_addc_co_u32_e64 v19, s[24:25], 0, v19, s[24:25]
	flat_load_dword v18, v[18:19]
.LBB604_29:
	s_or_b64 exec, exec, s[26:27]
	v_or_b32_e32 v26, 0xd00, v0
	v_cmp_gt_u32_e64 s[24:25], s33, v26
                                        ; implicit-def: $vgpr19
	s_and_saveexec_b64 s[30:31], s[24:25]
	s_cbranch_execz .LBB604_31
; %bb.30:
	v_lshlrev_b32_e32 v19, 2, v26
	v_mov_b32_e32 v21, s48
	v_add_co_u32_e64 v20, s[26:27], s7, v19
	v_addc_co_u32_e64 v21, s[26:27], 0, v21, s[26:27]
	flat_load_dword v19, v[20:21]
.LBB604_31:
	s_or_b64 exec, exec, s[30:31]
	v_or_b32_e32 v27, 0xe00, v0
	v_cmp_gt_u32_e64 s[26:27], s33, v27
                                        ; implicit-def: $vgpr20
	s_and_saveexec_b64 s[36:37], s[26:27]
	s_cbranch_execz .LBB604_33
; %bb.32:
	v_lshlrev_b32_e32 v20, 2, v27
	v_mov_b32_e32 v21, s48
	v_add_co_u32_e64 v20, s[30:31], s7, v20
	v_addc_co_u32_e64 v21, s[30:31], 0, v21, s[30:31]
	flat_load_dword v20, v[20:21]
.LBB604_33:
	s_or_b64 exec, exec, s[36:37]
	v_lshlrev_b32_e32 v28, 2, v0
	s_waitcnt vmcnt(0) lgkmcnt(0)
	ds_write2st64_b32 v28, v1, v2 offset1:4
	ds_write2st64_b32 v28, v8, v9 offset0:8 offset1:12
	ds_write2st64_b32 v28, v10, v11 offset0:16 offset1:20
	;; [unrolled: 1-line block ×6, first 2 shown]
	ds_write_b32 v28, v20 offset:14336
	v_mad_u32_u24 v2, v0, 56, v28
	s_waitcnt lgkmcnt(0)
	s_barrier
	ds_read2_b32 v[20:21], v2 offset1:1
	ds_read2_b32 v[18:19], v2 offset0:2 offset1:3
	ds_read2_b32 v[16:17], v2 offset0:4 offset1:5
	ds_read2_b32 v[14:15], v2 offset0:6 offset1:7
	ds_read2_b32 v[12:13], v2 offset0:8 offset1:9
	ds_read2_b32 v[10:11], v2 offset0:10 offset1:11
	ds_read2_b32 v[8:9], v2 offset0:12 offset1:13
	ds_read_b32 v1, v2 offset:56
	s_waitcnt lgkmcnt(0)
	s_barrier
	s_waitcnt lgkmcnt(0)
                                        ; implicit-def: $vgpr29
	s_and_saveexec_b64 s[30:31], vcc
	s_cbranch_execnz .LBB604_57
; %bb.34:
	s_or_b64 exec, exec, s[30:31]
                                        ; implicit-def: $vgpr30
	s_and_saveexec_b64 s[30:31], s[0:1]
	s_cbranch_execnz .LBB604_58
.LBB604_35:
	s_or_b64 exec, exec, s[30:31]
                                        ; implicit-def: $vgpr31
	s_and_saveexec_b64 s[0:1], s[2:3]
	s_cbranch_execnz .LBB604_59
.LBB604_36:
	s_or_b64 exec, exec, s[0:1]
                                        ; implicit-def: $vgpr32
	s_and_saveexec_b64 s[0:1], s[4:5]
	s_cbranch_execnz .LBB604_60
.LBB604_37:
	s_or_b64 exec, exec, s[0:1]
                                        ; implicit-def: $vgpr33
	s_and_saveexec_b64 s[0:1], s[28:29]
	s_cbranch_execnz .LBB604_61
.LBB604_38:
	s_or_b64 exec, exec, s[0:1]
                                        ; implicit-def: $vgpr3
	s_and_saveexec_b64 s[0:1], s[8:9]
	s_cbranch_execnz .LBB604_62
.LBB604_39:
	s_or_b64 exec, exec, s[0:1]
                                        ; implicit-def: $vgpr4
	s_and_saveexec_b64 s[0:1], s[10:11]
	s_cbranch_execnz .LBB604_63
.LBB604_40:
	s_or_b64 exec, exec, s[0:1]
                                        ; implicit-def: $vgpr5
	s_and_saveexec_b64 s[0:1], s[12:13]
	s_cbranch_execnz .LBB604_64
.LBB604_41:
	s_or_b64 exec, exec, s[0:1]
                                        ; implicit-def: $vgpr6
	s_and_saveexec_b64 s[0:1], s[14:15]
	s_cbranch_execnz .LBB604_65
.LBB604_42:
	s_or_b64 exec, exec, s[0:1]
                                        ; implicit-def: $vgpr7
	s_and_saveexec_b64 s[0:1], s[16:17]
	s_cbranch_execnz .LBB604_66
.LBB604_43:
	s_or_b64 exec, exec, s[0:1]
                                        ; implicit-def: $vgpr34
	s_and_saveexec_b64 s[0:1], s[18:19]
	s_cbranch_execnz .LBB604_67
.LBB604_44:
	s_or_b64 exec, exec, s[0:1]
                                        ; implicit-def: $vgpr23
	s_and_saveexec_b64 s[0:1], s[20:21]
	s_cbranch_execnz .LBB604_68
.LBB604_45:
	s_or_b64 exec, exec, s[0:1]
                                        ; implicit-def: $vgpr24
	s_and_saveexec_b64 s[0:1], s[22:23]
	s_cbranch_execnz .LBB604_69
.LBB604_46:
	s_or_b64 exec, exec, s[0:1]
                                        ; implicit-def: $vgpr25
	s_and_saveexec_b64 s[0:1], s[24:25]
	s_cbranch_execnz .LBB604_70
.LBB604_47:
	s_or_b64 exec, exec, s[0:1]
                                        ; implicit-def: $vgpr26
	s_and_saveexec_b64 s[0:1], s[26:27]
	s_cbranch_execz .LBB604_49
.LBB604_48:
	v_lshlrev_b32_e32 v22, 2, v27
	v_mov_b32_e32 v27, s62
	v_add_co_u32_e32 v26, vcc, s49, v22
	v_addc_co_u32_e32 v27, vcc, 0, v27, vcc
	flat_load_dword v26, v[26:27]
.LBB604_49:
	s_or_b64 exec, exec, s[0:1]
	v_mul_u32_u24_e32 v22, 15, v0
	s_waitcnt vmcnt(0) lgkmcnt(0)
	ds_write2st64_b32 v28, v29, v30 offset1:4
	ds_write2st64_b32 v28, v31, v32 offset0:8 offset1:12
	ds_write2st64_b32 v28, v33, v3 offset0:16 offset1:20
	;; [unrolled: 1-line block ×6, first 2 shown]
	ds_write_b32 v28, v26 offset:14336
	s_waitcnt lgkmcnt(0)
	s_barrier
.LBB604_50:
	v_lshlrev_b32_e32 v3, 2, v22
	ds_read2_b32 v[46:47], v2 offset1:2
	ds_read2_b32 v[42:43], v2 offset0:4 offset1:6
	ds_read2_b32 v[38:39], v2 offset0:8 offset1:10
	;; [unrolled: 1-line block ×6, first 2 shown]
	ds_read_b32 v81, v3 offset:52
	s_cmp_eq_u64 s[38:39], 0
	s_cselect_b64 s[36:37], -1, 0
	s_cmp_lg_u64 s[38:39], 0
	s_mov_b64 s[0:1], 0
	s_cselect_b64 s[8:9], -1, 0
	s_and_b64 vcc, exec, s[40:41]
	s_waitcnt lgkmcnt(0)
	s_barrier
	s_cbranch_vccz .LBB604_56
; %bb.51:
	s_and_b64 vcc, exec, s[8:9]
	s_cbranch_vccz .LBB604_71
; %bb.52:
	v_mov_b32_e32 v3, s48
	v_add_co_u32_e64 v2, vcc, -4, s7
	v_addc_co_u32_e32 v3, vcc, -1, v3, vcc
	flat_load_dword v2, v[2:3]
	v_lshlrev_b32_e32 v3, 2, v0
	v_cmp_ne_u32_e32 vcc, 0, v0
	ds_write_b32 v3, v1
	s_waitcnt lgkmcnt(0)
	s_barrier
	s_and_saveexec_b64 s[0:1], vcc
	s_cbranch_execz .LBB604_54
; %bb.53:
	s_waitcnt vmcnt(0)
	v_add_u32_e32 v2, -4, v3
	ds_read_b32 v2, v2
.LBB604_54:
	s_or_b64 exec, exec, s[0:1]
	s_mov_b32 s0, 0x66666667
	v_mul_hi_i32 v3, v9, s0
	v_lshrrev_b32_e32 v4, 31, v3
	v_ashrrev_i32_e32 v3, 2, v3
	v_add_u32_e32 v3, v3, v4
	v_mul_hi_i32 v4, v8, s0
	v_lshrrev_b32_e32 v5, 31, v4
	v_ashrrev_i32_e32 v4, 2, v4
	v_add_u32_e32 v4, v4, v5
	;; [unrolled: 4-line block ×15, first 2 shown]
	v_cmp_ne_u32_e32 vcc, v29, v34
	v_cndmask_b32_e64 v35, 0, 1, vcc
	v_cmp_ne_u32_e32 vcc, v29, v30
	v_cndmask_b32_e64 v32, 0, 1, vcc
	;; [unrolled: 2-line block ×12, first 2 shown]
	v_cmp_ne_u32_e32 vcc, v3, v4
	s_waitcnt vmcnt(0) lgkmcnt(0)
	v_mul_hi_i32 v2, v2, s0
	v_cndmask_b32_e64 v23, 0, 1, vcc
	v_cmp_ne_u32_e32 vcc, v3, v5
	v_lshrrev_b32_e32 v3, 31, v2
	v_ashrrev_i32_e32 v2, 2, v2
	v_add_u32_e32 v2, v2, v3
	v_cndmask_b32_e64 v80, 0, 1, vcc
	v_cmp_ne_u32_e64 s[4:5], v2, v34
	s_mov_b64 s[0:1], -1
.LBB604_55:
                                        ; implicit-def: $sgpr10
	s_branch .LBB604_110
.LBB604_56:
                                        ; implicit-def: $sgpr4_sgpr5
                                        ; implicit-def: $vgpr80
                                        ; implicit-def: $vgpr23
                                        ; implicit-def: $vgpr22
                                        ; implicit-def: $vgpr25
                                        ; implicit-def: $vgpr24
                                        ; implicit-def: $vgpr27
                                        ; implicit-def: $vgpr26
                                        ; implicit-def: $vgpr29
                                        ; implicit-def: $vgpr28
                                        ; implicit-def: $vgpr31
                                        ; implicit-def: $vgpr30
                                        ; implicit-def: $vgpr33
                                        ; implicit-def: $vgpr32
                                        ; implicit-def: $vgpr35
                                        ; implicit-def: $sgpr10
	s_cbranch_execnz .LBB604_75
	s_branch .LBB604_110
.LBB604_57:
	v_mov_b32_e32 v29, s62
	v_add_co_u32_e32 v30, vcc, s49, v28
	v_addc_co_u32_e32 v31, vcc, 0, v29, vcc
	flat_load_dword v29, v[30:31]
	s_or_b64 exec, exec, s[30:31]
                                        ; implicit-def: $vgpr30
	s_and_saveexec_b64 s[30:31], s[0:1]
	s_cbranch_execz .LBB604_35
.LBB604_58:
	v_mov_b32_e32 v31, s62
	v_add_co_u32_e32 v30, vcc, s49, v28
	v_addc_co_u32_e32 v31, vcc, 0, v31, vcc
	flat_load_dword v30, v[30:31] offset:1024
	s_or_b64 exec, exec, s[30:31]
                                        ; implicit-def: $vgpr31
	s_and_saveexec_b64 s[0:1], s[2:3]
	s_cbranch_execz .LBB604_36
.LBB604_59:
	v_mov_b32_e32 v31, s62
	v_add_co_u32_e32 v32, vcc, s49, v28
	v_addc_co_u32_e32 v33, vcc, 0, v31, vcc
	flat_load_dword v31, v[32:33] offset:2048
	s_or_b64 exec, exec, s[0:1]
                                        ; implicit-def: $vgpr32
	s_and_saveexec_b64 s[0:1], s[4:5]
	s_cbranch_execz .LBB604_37
.LBB604_60:
	v_mov_b32_e32 v33, s62
	v_add_co_u32_e32 v32, vcc, s49, v28
	v_addc_co_u32_e32 v33, vcc, 0, v33, vcc
	flat_load_dword v32, v[32:33] offset:3072
	s_or_b64 exec, exec, s[0:1]
                                        ; implicit-def: $vgpr33
	s_and_saveexec_b64 s[0:1], s[28:29]
	s_cbranch_execz .LBB604_38
.LBB604_61:
	v_lshlrev_b32_e32 v3, 2, v3
	v_mov_b32_e32 v33, s62
	v_add_co_u32_e32 v34, vcc, s49, v3
	v_addc_co_u32_e32 v35, vcc, 0, v33, vcc
	flat_load_dword v33, v[34:35]
	s_or_b64 exec, exec, s[0:1]
                                        ; implicit-def: $vgpr3
	s_and_saveexec_b64 s[0:1], s[8:9]
	s_cbranch_execz .LBB604_39
.LBB604_62:
	v_lshlrev_b32_e32 v3, 2, v4
	v_mov_b32_e32 v4, s62
	v_add_co_u32_e32 v34, vcc, s49, v3
	v_addc_co_u32_e32 v35, vcc, 0, v4, vcc
	flat_load_dword v3, v[34:35]
	s_or_b64 exec, exec, s[0:1]
                                        ; implicit-def: $vgpr4
	s_and_saveexec_b64 s[0:1], s[10:11]
	s_cbranch_execz .LBB604_40
.LBB604_63:
	v_lshlrev_b32_e32 v4, 2, v5
	v_mov_b32_e32 v5, s62
	v_add_co_u32_e32 v4, vcc, s49, v4
	v_addc_co_u32_e32 v5, vcc, 0, v5, vcc
	flat_load_dword v4, v[4:5]
	s_or_b64 exec, exec, s[0:1]
                                        ; implicit-def: $vgpr5
	s_and_saveexec_b64 s[0:1], s[12:13]
	s_cbranch_execz .LBB604_41
.LBB604_64:
	v_lshlrev_b32_e32 v5, 2, v6
	v_mov_b32_e32 v6, s62
	v_add_co_u32_e32 v34, vcc, s49, v5
	v_addc_co_u32_e32 v35, vcc, 0, v6, vcc
	flat_load_dword v5, v[34:35]
	s_or_b64 exec, exec, s[0:1]
                                        ; implicit-def: $vgpr6
	s_and_saveexec_b64 s[0:1], s[14:15]
	s_cbranch_execz .LBB604_42
.LBB604_65:
	v_lshlrev_b32_e32 v6, 2, v7
	v_mov_b32_e32 v7, s62
	v_add_co_u32_e32 v6, vcc, s49, v6
	v_addc_co_u32_e32 v7, vcc, 0, v7, vcc
	flat_load_dword v6, v[6:7]
	s_or_b64 exec, exec, s[0:1]
                                        ; implicit-def: $vgpr7
	s_and_saveexec_b64 s[0:1], s[16:17]
	s_cbranch_execz .LBB604_43
.LBB604_66:
	v_lshlrev_b32_e32 v7, 2, v22
	v_mov_b32_e32 v22, s62
	v_add_co_u32_e32 v34, vcc, s49, v7
	v_addc_co_u32_e32 v35, vcc, 0, v22, vcc
	flat_load_dword v7, v[34:35]
	s_or_b64 exec, exec, s[0:1]
                                        ; implicit-def: $vgpr34
	s_and_saveexec_b64 s[0:1], s[18:19]
	s_cbranch_execz .LBB604_44
.LBB604_67:
	v_lshlrev_b32_e32 v22, 2, v23
	v_mov_b32_e32 v23, s62
	v_add_co_u32_e32 v22, vcc, s49, v22
	v_addc_co_u32_e32 v23, vcc, 0, v23, vcc
	flat_load_dword v34, v[22:23]
	s_or_b64 exec, exec, s[0:1]
                                        ; implicit-def: $vgpr23
	s_and_saveexec_b64 s[0:1], s[20:21]
	s_cbranch_execz .LBB604_45
.LBB604_68:
	v_lshlrev_b32_e32 v22, 2, v24
	v_mov_b32_e32 v23, s62
	v_add_co_u32_e32 v22, vcc, s49, v22
	v_addc_co_u32_e32 v23, vcc, 0, v23, vcc
	flat_load_dword v23, v[22:23]
	s_or_b64 exec, exec, s[0:1]
                                        ; implicit-def: $vgpr24
	s_and_saveexec_b64 s[0:1], s[22:23]
	s_cbranch_execz .LBB604_46
.LBB604_69:
	v_lshlrev_b32_e32 v22, 2, v25
	v_mov_b32_e32 v25, s62
	v_add_co_u32_e32 v24, vcc, s49, v22
	v_addc_co_u32_e32 v25, vcc, 0, v25, vcc
	flat_load_dword v24, v[24:25]
	s_or_b64 exec, exec, s[0:1]
                                        ; implicit-def: $vgpr25
	s_and_saveexec_b64 s[0:1], s[24:25]
	s_cbranch_execz .LBB604_47
.LBB604_70:
	v_lshlrev_b32_e32 v22, 2, v26
	v_mov_b32_e32 v25, s62
	v_add_co_u32_e32 v36, vcc, s49, v22
	v_addc_co_u32_e32 v37, vcc, 0, v25, vcc
	flat_load_dword v25, v[36:37]
	s_or_b64 exec, exec, s[0:1]
                                        ; implicit-def: $vgpr26
	s_and_saveexec_b64 s[0:1], s[26:27]
	s_cbranch_execnz .LBB604_48
	s_branch .LBB604_49
.LBB604_71:
                                        ; implicit-def: $sgpr4_sgpr5
                                        ; implicit-def: $vgpr80
                                        ; implicit-def: $vgpr23
                                        ; implicit-def: $vgpr22
                                        ; implicit-def: $vgpr25
                                        ; implicit-def: $vgpr24
                                        ; implicit-def: $vgpr27
                                        ; implicit-def: $vgpr26
                                        ; implicit-def: $vgpr29
                                        ; implicit-def: $vgpr28
                                        ; implicit-def: $vgpr31
                                        ; implicit-def: $vgpr30
                                        ; implicit-def: $vgpr33
                                        ; implicit-def: $vgpr32
                                        ; implicit-def: $vgpr35
	s_cbranch_execz .LBB604_55
; %bb.72:
	s_mov_b32 s10, 0x66666667
	v_mul_hi_i32 v3, v9, s10
	v_lshrrev_b32_e32 v4, 31, v3
	v_ashrrev_i32_e32 v3, 2, v3
	v_add_u32_e32 v4, v3, v4
	v_mul_hi_i32 v3, v8, s10
	v_lshrrev_b32_e32 v5, 31, v3
	v_ashrrev_i32_e32 v3, 2, v3
	v_add_u32_e32 v5, v3, v5
	;; [unrolled: 4-line block ×15, first 2 shown]
	v_cmp_ne_u32_e32 vcc, v30, v3
	v_cndmask_b32_e64 v35, 0, 1, vcc
	v_cmp_ne_u32_e32 vcc, v30, v31
	v_cndmask_b32_e64 v32, 0, 1, vcc
	;; [unrolled: 2-line block ×13, first 2 shown]
	v_cmp_ne_u32_e32 vcc, v4, v6
	v_lshlrev_b32_e32 v2, 2, v0
	v_cndmask_b32_e64 v80, 0, 1, vcc
	v_cmp_ne_u32_e32 vcc, 0, v0
	ds_write_b32 v2, v1
	s_waitcnt lgkmcnt(0)
	s_barrier
	s_waitcnt lgkmcnt(0)
                                        ; implicit-def: $sgpr4_sgpr5
	s_and_saveexec_b64 s[2:3], vcc
	s_xor_b64 s[2:3], exec, s[2:3]
	s_cbranch_execz .LBB604_74
; %bb.73:
	v_add_u32_e32 v2, -4, v2
	ds_read_b32 v2, v2
	s_or_b64 s[0:1], s[0:1], exec
	s_waitcnt lgkmcnt(0)
	v_mul_hi_i32 v2, v2, s10
	v_lshrrev_b32_e32 v4, 31, v2
	v_ashrrev_i32_e32 v2, 2, v2
	v_add_u32_e32 v2, v2, v4
	v_cmp_ne_u32_e32 vcc, v2, v3
	s_and_b64 s[4:5], vcc, exec
.LBB604_74:
	s_or_b64 exec, exec, s[2:3]
	s_mov_b32 s10, 1
	s_branch .LBB604_110
.LBB604_75:
	s_mul_hi_u32 s3, s38, 0xfffff100
	s_mul_i32 s2, s39, 0xfffff100
	s_sub_i32 s3, s3, s38
	s_add_i32 s3, s3, s2
	s_mul_i32 s2, s38, 0xfffff100
	s_add_u32 s2, s2, s56
	s_addc_u32 s3, s3, s57
	s_and_b64 vcc, exec, s[8:9]
	s_cbranch_vccz .LBB604_219
; %bb.76:
	v_mov_b32_e32 v3, s48
	v_add_co_u32_e64 v2, vcc, -4, s7
	v_addc_co_u32_e32 v3, vcc, -1, v3, vcc
	flat_load_dword v4, v[2:3]
	v_mad_u32_u24 v22, v0, 15, 14
	v_mov_b32_e32 v23, 0
	v_lshlrev_b32_e32 v3, 2, v0
	v_mul_u32_u24_e32 v2, 15, v0
	v_cmp_gt_u64_e32 vcc, s[2:3], v[22:23]
	v_mov_b32_e32 v80, 0
	ds_write_b32 v3, v1
	s_and_saveexec_b64 s[0:1], vcc
; %bb.77:
	s_mov_b32 s4, 0x66666667
	v_mul_hi_i32 v5, v9, s4
	v_lshrrev_b32_e32 v6, 31, v5
	v_ashrrev_i32_e32 v5, 2, v5
	v_add_u32_e32 v5, v5, v6
	v_mul_hi_i32 v6, v1, s4
	v_lshrrev_b32_e32 v7, 31, v6
	v_ashrrev_i32_e32 v6, 2, v6
	v_add_u32_e32 v6, v6, v7
	v_cmp_ne_u32_e32 vcc, v5, v6
	v_cndmask_b32_e64 v80, 0, 1, vcc
; %bb.78:
	s_or_b64 exec, exec, s[0:1]
	v_add_u32_e32 v22, 13, v2
	v_cmp_gt_u64_e32 vcc, s[2:3], v[22:23]
	s_and_saveexec_b64 s[0:1], vcc
; %bb.79:
	s_mov_b32 s4, 0x66666667
	v_mul_hi_i32 v5, v8, s4
	v_lshrrev_b32_e32 v6, 31, v5
	v_ashrrev_i32_e32 v5, 2, v5
	v_add_u32_e32 v5, v5, v6
	v_mul_hi_i32 v6, v9, s4
	v_lshrrev_b32_e32 v7, 31, v6
	v_ashrrev_i32_e32 v6, 2, v6
	v_add_u32_e32 v6, v6, v7
	v_cmp_ne_u32_e32 vcc, v5, v6
	v_cndmask_b32_e64 v23, 0, 1, vcc
; %bb.80:
	s_or_b64 exec, exec, s[0:1]
	v_add_u32_e32 v24, 12, v2
	v_mov_b32_e32 v25, 0
	v_cmp_gt_u64_e32 vcc, s[2:3], v[24:25]
	v_mov_b32_e32 v22, 0
	s_and_saveexec_b64 s[0:1], vcc
; %bb.81:
	s_mov_b32 s4, 0x66666667
	v_mul_hi_i32 v5, v11, s4
	v_lshrrev_b32_e32 v6, 31, v5
	v_ashrrev_i32_e32 v5, 2, v5
	v_add_u32_e32 v5, v5, v6
	v_mul_hi_i32 v6, v8, s4
	v_lshrrev_b32_e32 v7, 31, v6
	v_ashrrev_i32_e32 v6, 2, v6
	v_add_u32_e32 v6, v6, v7
	v_cmp_ne_u32_e32 vcc, v5, v6
	v_cndmask_b32_e64 v22, 0, 1, vcc
; %bb.82:
	s_or_b64 exec, exec, s[0:1]
	v_add_u32_e32 v24, 11, v2
	v_cmp_gt_u64_e32 vcc, s[2:3], v[24:25]
	s_and_saveexec_b64 s[0:1], vcc
; %bb.83:
	s_mov_b32 s4, 0x66666667
	v_mul_hi_i32 v5, v10, s4
	v_lshrrev_b32_e32 v6, 31, v5
	v_ashrrev_i32_e32 v5, 2, v5
	v_add_u32_e32 v5, v5, v6
	v_mul_hi_i32 v6, v11, s4
	v_lshrrev_b32_e32 v7, 31, v6
	v_ashrrev_i32_e32 v6, 2, v6
	v_add_u32_e32 v6, v6, v7
	v_cmp_ne_u32_e32 vcc, v5, v6
	v_cndmask_b32_e64 v25, 0, 1, vcc
; %bb.84:
	s_or_b64 exec, exec, s[0:1]
	v_add_u32_e32 v26, 10, v2
	v_mov_b32_e32 v27, 0
	v_cmp_gt_u64_e32 vcc, s[2:3], v[26:27]
	v_mov_b32_e32 v24, 0
	;; [unrolled: 36-line block ×6, first 2 shown]
	s_and_saveexec_b64 s[0:1], vcc
; %bb.101:
	s_mov_b32 s4, 0x66666667
	v_mul_hi_i32 v5, v21, s4
	v_lshrrev_b32_e32 v6, 31, v5
	v_ashrrev_i32_e32 v5, 2, v5
	v_add_u32_e32 v5, v5, v6
	v_mul_hi_i32 v6, v18, s4
	v_lshrrev_b32_e32 v7, 31, v6
	v_ashrrev_i32_e32 v6, 2, v6
	v_add_u32_e32 v6, v6, v7
	v_cmp_ne_u32_e32 vcc, v5, v6
	v_cndmask_b32_e64 v32, 0, 1, vcc
; %bb.102:
	s_or_b64 exec, exec, s[0:1]
	v_add_u32_e32 v34, 1, v2
	v_cmp_gt_u64_e32 vcc, s[2:3], v[34:35]
	s_and_saveexec_b64 s[0:1], vcc
; %bb.103:
	s_mov_b32 s4, 0x66666667
	v_mul_hi_i32 v5, v20, s4
	v_lshrrev_b32_e32 v6, 31, v5
	v_ashrrev_i32_e32 v5, 2, v5
	v_add_u32_e32 v5, v5, v6
	v_mul_hi_i32 v6, v21, s4
	v_lshrrev_b32_e32 v7, 31, v6
	v_ashrrev_i32_e32 v6, 2, v6
	v_add_u32_e32 v6, v6, v7
	v_cmp_ne_u32_e32 vcc, v5, v6
	v_cndmask_b32_e64 v35, 0, 1, vcc
; %bb.104:
	s_or_b64 exec, exec, s[0:1]
	v_cmp_ne_u32_e32 vcc, 0, v0
	s_waitcnt lgkmcnt(0)
	s_barrier
	s_and_saveexec_b64 s[0:1], vcc
	s_cbranch_execz .LBB604_106
; %bb.105:
	v_add_u32_e32 v3, -4, v3
	s_waitcnt vmcnt(0)
	ds_read_b32 v4, v3
.LBB604_106:
	s_or_b64 exec, exec, s[0:1]
	v_mov_b32_e32 v3, 0
	v_cmp_gt_u64_e32 vcc, s[2:3], v[2:3]
	s_mov_b64 s[8:9], 0
	s_mov_b64 s[4:5], 0
	s_and_saveexec_b64 s[0:1], vcc
	s_cbranch_execz .LBB604_108
; %bb.107:
	s_mov_b32 s4, 0x66666667
	s_waitcnt vmcnt(0) lgkmcnt(0)
	v_mul_hi_i32 v2, v4, s4
	v_lshrrev_b32_e32 v3, 31, v2
	v_ashrrev_i32_e32 v2, 2, v2
	v_add_u32_e32 v2, v2, v3
	v_mul_hi_i32 v3, v20, s4
	v_lshrrev_b32_e32 v4, 31, v3
	v_ashrrev_i32_e32 v3, 2, v3
	v_add_u32_e32 v3, v3, v4
	v_cmp_ne_u32_e32 vcc, v2, v3
	s_and_b64 s[4:5], vcc, exec
.LBB604_108:
	s_or_b64 exec, exec, s[0:1]
	s_mov_b64 s[0:1], -1
	s_and_b64 vcc, exec, s[8:9]
	s_cbranch_vccnz .LBB604_220
.LBB604_109:
                                        ; implicit-def: $sgpr10
.LBB604_110:
	v_mov_b32_e32 v82, s10
	s_and_saveexec_b64 s[2:3], s[0:1]
.LBB604_111:
	v_cndmask_b32_e64 v82, 0, 1, s[4:5]
.LBB604_112:
	s_or_b64 exec, exec, s[2:3]
	s_cmp_eq_u64 s[46:47], 0
	v_add3_u32 v2, v35, v82, v32
	s_cselect_b64 s[38:39], -1, 0
	s_cmp_lg_u32 s6, 0
	v_cmp_eq_u32_e64 s[24:25], 0, v35
	v_cmp_eq_u32_e64 s[22:23], 0, v32
	;; [unrolled: 1-line block ×3, first 2 shown]
	v_add3_u32 v86, v2, v33, v30
	v_cmp_eq_u32_e64 s[18:19], 0, v30
	v_cmp_eq_u32_e64 s[16:17], 0, v31
	;; [unrolled: 1-line block ×10, first 2 shown]
	v_cmp_eq_u32_e32 vcc, 0, v80
	v_mbcnt_lo_u32_b32 v85, -1, 0
	v_lshrrev_b32_e32 v83, 6, v0
	v_or_b32_e32 v84, 63, v0
	s_cbranch_scc0 .LBB604_143
; %bb.113:
	v_cndmask_b32_e64 v2, 0, v46, s[24:25]
	v_add_u32_e32 v2, v2, v48
	v_cndmask_b32_e64 v2, 0, v2, s[22:23]
	v_add_u32_e32 v2, v2, v47
	;; [unrolled: 2-line block ×11, first 2 shown]
	v_cndmask_b32_e64 v2, 0, v2, s[2:3]
	v_add3_u32 v3, v86, v31, v28
	v_add_u32_e32 v2, v2, v36
	v_add3_u32 v3, v3, v29, v26
	v_cndmask_b32_e64 v2, 0, v2, s[0:1]
	v_add3_u32 v3, v3, v27, v24
	v_add_u32_e32 v2, v2, v81
	v_add3_u32 v3, v3, v25, v22
	v_cndmask_b32_e32 v2, 0, v2, vcc
	v_add3_u32 v3, v3, v23, v80
	v_add_u32_e32 v2, v2, v37
	v_mbcnt_hi_u32_b32 v53, -1, v85
	s_waitcnt vmcnt(0) lgkmcnt(0)
	v_and_b32_e32 v4, 15, v53
	v_mov_b32_dpp v6, v2 row_shr:1 row_mask:0xf bank_mask:0xf
	v_cmp_eq_u32_e32 vcc, 0, v3
	v_mov_b32_dpp v5, v3 row_shr:1 row_mask:0xf bank_mask:0xf
	v_cndmask_b32_e32 v6, 0, v6, vcc
	v_cmp_eq_u32_e32 vcc, 0, v4
	v_cndmask_b32_e64 v5, v5, 0, vcc
	v_add_u32_e32 v3, v5, v3
	v_cndmask_b32_e64 v5, v6, 0, vcc
	v_add_u32_e32 v2, v5, v2
	v_cmp_eq_u32_e32 vcc, 0, v3
	v_mov_b32_dpp v5, v3 row_shr:2 row_mask:0xf bank_mask:0xf
	v_cmp_lt_u32_e64 s[26:27], 1, v4
	v_mov_b32_dpp v6, v2 row_shr:2 row_mask:0xf bank_mask:0xf
	v_cndmask_b32_e64 v5, 0, v5, s[26:27]
	s_and_b64 vcc, s[26:27], vcc
	v_cndmask_b32_e32 v6, 0, v6, vcc
	v_add_u32_e32 v3, v3, v5
	v_add_u32_e32 v2, v6, v2
	v_cmp_eq_u32_e32 vcc, 0, v3
	v_mov_b32_dpp v5, v3 row_shr:4 row_mask:0xf bank_mask:0xf
	v_cmp_lt_u32_e64 s[26:27], 3, v4
	v_mov_b32_dpp v6, v2 row_shr:4 row_mask:0xf bank_mask:0xf
	v_cndmask_b32_e64 v5, 0, v5, s[26:27]
	s_and_b64 vcc, s[26:27], vcc
	v_cndmask_b32_e32 v6, 0, v6, vcc
	v_add_u32_e32 v3, v5, v3
	v_add_u32_e32 v2, v2, v6
	v_cmp_eq_u32_e32 vcc, 0, v3
	v_cmp_lt_u32_e64 s[26:27], 7, v4
	v_mov_b32_dpp v5, v3 row_shr:8 row_mask:0xf bank_mask:0xf
	v_mov_b32_dpp v6, v2 row_shr:8 row_mask:0xf bank_mask:0xf
	s_and_b64 vcc, s[26:27], vcc
	v_cndmask_b32_e64 v4, 0, v5, s[26:27]
	v_cndmask_b32_e32 v5, 0, v6, vcc
	v_add_u32_e32 v2, v5, v2
	v_add_u32_e32 v3, v4, v3
	v_bfe_i32 v6, v53, 4, 1
	v_mov_b32_dpp v5, v2 row_bcast:15 row_mask:0xf bank_mask:0xf
	v_mov_b32_dpp v4, v3 row_bcast:15 row_mask:0xf bank_mask:0xf
	v_cmp_eq_u32_e32 vcc, 0, v3
	v_cndmask_b32_e32 v5, 0, v5, vcc
	v_and_b32_e32 v4, v6, v4
	v_add_u32_e32 v3, v4, v3
	v_and_b32_e32 v4, v6, v5
	v_add_u32_e32 v4, v4, v2
	v_mov_b32_dpp v2, v3 row_bcast:31 row_mask:0xf bank_mask:0xf
	v_cmp_eq_u32_e32 vcc, 0, v3
	v_cmp_lt_u32_e64 s[26:27], 31, v53
	v_mov_b32_dpp v5, v4 row_bcast:31 row_mask:0xf bank_mask:0xf
	v_cndmask_b32_e64 v2, 0, v2, s[26:27]
	s_and_b64 vcc, s[26:27], vcc
	v_add_u32_e32 v2, v2, v3
	v_cndmask_b32_e32 v3, 0, v5, vcc
	v_add_u32_e32 v3, v3, v4
	v_cmp_eq_u32_e32 vcc, v84, v0
	v_lshlrev_b32_e32 v4, 3, v83
	s_and_saveexec_b64 s[26:27], vcc
	s_cbranch_execz .LBB604_115
; %bb.114:
	ds_write_b64 v4, v[2:3] offset:2064
.LBB604_115:
	s_or_b64 exec, exec, s[26:27]
	v_cmp_gt_u32_e32 vcc, 4, v0
	s_waitcnt lgkmcnt(0)
	s_barrier
	s_and_saveexec_b64 s[30:31], vcc
	s_cbranch_execz .LBB604_117
; %bb.116:
	v_lshlrev_b32_e32 v5, 3, v0
	ds_read_b64 v[6:7], v5 offset:2064
	v_and_b32_e32 v34, 3, v53
	v_cmp_lt_u32_e64 s[26:27], 1, v34
	s_waitcnt lgkmcnt(0)
	v_mov_b32_dpp v51, v7 row_shr:1 row_mask:0xf bank_mask:0xf
	v_cmp_eq_u32_e32 vcc, 0, v6
	v_mov_b32_dpp v50, v6 row_shr:1 row_mask:0xf bank_mask:0xf
	v_cndmask_b32_e32 v51, 0, v51, vcc
	v_cmp_eq_u32_e32 vcc, 0, v34
	v_cndmask_b32_e64 v50, v50, 0, vcc
	v_add_u32_e32 v6, v50, v6
	v_cndmask_b32_e64 v50, v51, 0, vcc
	v_add_u32_e32 v7, v50, v7
	v_cmp_eq_u32_e32 vcc, 0, v6
	v_mov_b32_dpp v50, v6 row_shr:2 row_mask:0xf bank_mask:0xf
	v_mov_b32_dpp v51, v7 row_shr:2 row_mask:0xf bank_mask:0xf
	v_cndmask_b32_e64 v34, 0, v50, s[26:27]
	s_and_b64 vcc, s[26:27], vcc
	v_add_u32_e32 v6, v34, v6
	v_cndmask_b32_e32 v34, 0, v51, vcc
	v_add_u32_e32 v7, v34, v7
	ds_write_b64 v5, v[6:7] offset:2064
.LBB604_117:
	s_or_b64 exec, exec, s[30:31]
	v_cmp_gt_u32_e32 vcc, 64, v0
	v_cmp_lt_u32_e64 s[26:27], 63, v0
	v_mov_b32_e32 v50, 0
	v_mov_b32_e32 v51, 0
	s_waitcnt lgkmcnt(0)
	s_barrier
	s_and_saveexec_b64 s[30:31], s[26:27]
	s_cbranch_execz .LBB604_119
; %bb.118:
	ds_read_b64 v[50:51], v4 offset:2056
	v_cmp_eq_u32_e64 s[26:27], 0, v2
	s_waitcnt lgkmcnt(0)
	v_add_u32_e32 v4, v50, v2
	v_cndmask_b32_e64 v2, 0, v51, s[26:27]
	v_add_u32_e32 v3, v2, v3
	v_mov_b32_e32 v2, v4
.LBB604_119:
	s_or_b64 exec, exec, s[30:31]
	v_add_u32_e32 v4, -1, v53
	v_and_b32_e32 v5, 64, v53
	v_cmp_lt_i32_e64 s[26:27], v4, v5
	v_cndmask_b32_e64 v4, v4, v53, s[26:27]
	v_lshlrev_b32_e32 v4, 2, v4
	ds_bpermute_b32 v34, v4, v2
	ds_bpermute_b32 v58, v4, v3
	v_cmp_eq_u32_e64 s[26:27], 0, v53
	s_and_saveexec_b64 s[40:41], vcc
	s_cbranch_execz .LBB604_142
; %bb.120:
	v_mov_b32_e32 v7, 0
	ds_read_b64 v[2:3], v7 offset:2088
	s_waitcnt lgkmcnt(0)
	v_readfirstlane_b32 s7, v2
	v_readfirstlane_b32 s48, v3
	s_and_saveexec_b64 s[30:31], s[26:27]
	s_cbranch_execz .LBB604_122
; %bb.121:
	s_add_i32 s46, s6, 64
	s_mov_b32 s47, 0
	s_lshl_b64 s[50:51], s[46:47], 4
	s_add_u32 s50, s44, s50
	s_addc_u32 s51, s45, s51
	s_and_b32 s57, s48, 0xff000000
	s_mov_b32 s56, s47
	s_and_b32 s63, s48, 0xff0000
	s_mov_b32 s62, s47
	s_or_b64 s[56:57], s[62:63], s[56:57]
	s_and_b32 s63, s48, 0xff00
	s_or_b64 s[56:57], s[56:57], s[62:63]
	s_and_b32 s63, s48, 0xff
	s_or_b64 s[46:47], s[56:57], s[62:63]
	v_mov_b32_e32 v4, s7
	v_mov_b32_e32 v5, s47
	;; [unrolled: 1-line block ×3, first 2 shown]
	v_pk_mov_b32 v[2:3], s[50:51], s[50:51] op_sel:[0,1]
	;;#ASMSTART
	global_store_dwordx4 v[2:3], v[4:7] off	
s_waitcnt vmcnt(0)
	;;#ASMEND
.LBB604_122:
	s_or_b64 exec, exec, s[30:31]
	v_xad_u32 v52, v53, -1, s6
	v_add_u32_e32 v6, 64, v52
	v_lshlrev_b64 v[2:3], 4, v[6:7]
	v_mov_b32_e32 v4, s45
	v_add_co_u32_e32 v54, vcc, s44, v2
	v_addc_co_u32_e32 v55, vcc, v4, v3, vcc
	;;#ASMSTART
	global_load_dwordx4 v[2:5], v[54:55] off glc	
s_waitcnt vmcnt(0)
	;;#ASMEND
	v_and_b32_e32 v5, 0xff, v3
	v_and_b32_e32 v6, 0xff00, v3
	;; [unrolled: 1-line block ×3, first 2 shown]
	v_or3_b32 v5, 0, v5, v6
	v_or3_b32 v2, v2, 0, 0
	v_and_b32_e32 v3, 0xff000000, v3
	v_or3_b32 v3, v5, v56, v3
	v_or3_b32 v2, v2, 0, 0
	v_cmp_eq_u16_sdwa s[46:47], v4, v7 src0_sel:BYTE_0 src1_sel:DWORD
	s_and_saveexec_b64 s[30:31], s[46:47]
	s_cbranch_execz .LBB604_128
; %bb.123:
	s_mov_b32 s49, 1
	s_mov_b64 s[46:47], 0
	v_mov_b32_e32 v6, 0
.LBB604_124:                            ; =>This Loop Header: Depth=1
                                        ;     Child Loop BB604_125 Depth 2
	s_max_u32 s50, s49, 1
.LBB604_125:                            ;   Parent Loop BB604_124 Depth=1
                                        ; =>  This Inner Loop Header: Depth=2
	s_add_i32 s50, s50, -1
	s_cmp_eq_u32 s50, 0
	s_sleep 1
	s_cbranch_scc0 .LBB604_125
; %bb.126:                              ;   in Loop: Header=BB604_124 Depth=1
	s_cmp_lt_u32 s49, 32
	s_cselect_b64 s[50:51], -1, 0
	s_cmp_lg_u64 s[50:51], 0
	s_addc_u32 s49, s49, 0
	;;#ASMSTART
	global_load_dwordx4 v[2:5], v[54:55] off glc	
s_waitcnt vmcnt(0)
	;;#ASMEND
	v_cmp_ne_u16_sdwa s[50:51], v4, v6 src0_sel:BYTE_0 src1_sel:DWORD
	s_or_b64 s[46:47], s[50:51], s[46:47]
	s_andn2_b64 exec, exec, s[46:47]
	s_cbranch_execnz .LBB604_124
; %bb.127:
	s_or_b64 exec, exec, s[46:47]
.LBB604_128:
	s_or_b64 exec, exec, s[30:31]
	v_mov_b32_e32 v59, 2
	v_cmp_eq_u16_sdwa s[30:31], v4, v59 src0_sel:BYTE_0 src1_sel:DWORD
	v_lshlrev_b64 v[54:55], v53, -1
	v_and_b32_e32 v5, s31, v55
	v_and_b32_e32 v60, 63, v53
	v_or_b32_e32 v5, 0x80000000, v5
	v_cmp_ne_u32_e32 vcc, 63, v60
	v_and_b32_e32 v6, s30, v54
	v_ffbl_b32_e32 v5, v5
	v_addc_co_u32_e32 v7, vcc, 0, v53, vcc
	v_add_u32_e32 v5, 32, v5
	v_ffbl_b32_e32 v6, v6
	v_lshlrev_b32_e32 v61, 2, v7
	v_min_u32_e32 v5, v6, v5
	ds_bpermute_b32 v6, v61, v3
	v_cmp_eq_u32_e32 vcc, 0, v2
	v_cmp_lt_u32_e64 s[30:31], v60, v5
	ds_bpermute_b32 v7, v61, v2
	s_and_b64 vcc, s[30:31], vcc
	s_waitcnt lgkmcnt(1)
	v_cndmask_b32_e32 v6, 0, v6, vcc
	v_cmp_gt_u32_e32 vcc, 62, v60
	v_add_u32_e32 v3, v6, v3
	v_cndmask_b32_e64 v6, 0, 1, vcc
	v_lshlrev_b32_e32 v6, 1, v6
	v_add_lshl_u32 v62, v6, v53, 2
	s_waitcnt lgkmcnt(0)
	v_cndmask_b32_e64 v7, 0, v7, s[30:31]
	ds_bpermute_b32 v6, v62, v3
	v_add_u32_e32 v2, v7, v2
	ds_bpermute_b32 v7, v62, v2
	v_add_u32_e32 v63, 2, v60
	v_cmp_eq_u32_e32 vcc, 0, v2
	s_waitcnt lgkmcnt(1)
	v_cndmask_b32_e32 v6, 0, v6, vcc
	v_cmp_gt_u32_e32 vcc, v63, v5
	v_cndmask_b32_e64 v6, v6, 0, vcc
	v_add_u32_e32 v3, v6, v3
	s_waitcnt lgkmcnt(0)
	v_cndmask_b32_e64 v6, v7, 0, vcc
	v_cmp_gt_u32_e32 vcc, 60, v60
	v_cndmask_b32_e64 v7, 0, 1, vcc
	v_lshlrev_b32_e32 v7, 2, v7
	v_add_lshl_u32 v64, v7, v53, 2
	ds_bpermute_b32 v7, v64, v3
	v_add_u32_e32 v2, v2, v6
	ds_bpermute_b32 v6, v64, v2
	v_add_u32_e32 v65, 4, v60
	v_cmp_eq_u32_e32 vcc, 0, v2
	s_waitcnt lgkmcnt(1)
	v_cndmask_b32_e32 v7, 0, v7, vcc
	v_cmp_gt_u32_e32 vcc, v65, v5
	v_cndmask_b32_e64 v7, v7, 0, vcc
	s_waitcnt lgkmcnt(0)
	v_cndmask_b32_e64 v6, v6, 0, vcc
	v_cmp_gt_u32_e32 vcc, 56, v60
	v_add_u32_e32 v3, v3, v7
	v_cndmask_b32_e64 v7, 0, 1, vcc
	v_lshlrev_b32_e32 v7, 3, v7
	v_add_lshl_u32 v66, v7, v53, 2
	ds_bpermute_b32 v7, v66, v3
	v_add_u32_e32 v2, v2, v6
	ds_bpermute_b32 v6, v66, v2
	v_add_u32_e32 v67, 8, v60
	v_cmp_eq_u32_e32 vcc, 0, v2
	s_waitcnt lgkmcnt(1)
	v_cndmask_b32_e32 v7, 0, v7, vcc
	v_cmp_gt_u32_e32 vcc, v67, v5
	v_cndmask_b32_e64 v7, v7, 0, vcc
	s_waitcnt lgkmcnt(0)
	v_cndmask_b32_e64 v6, v6, 0, vcc
	v_cmp_gt_u32_e32 vcc, 48, v60
	v_add_u32_e32 v3, v3, v7
	;; [unrolled: 16-line block ×3, first 2 shown]
	v_cndmask_b32_e64 v7, 0, 1, vcc
	v_lshlrev_b32_e32 v7, 5, v7
	v_add_lshl_u32 v70, v7, v53, 2
	ds_bpermute_b32 v7, v70, v3
	v_add_u32_e32 v2, v2, v6
	ds_bpermute_b32 v6, v70, v2
	v_add_u32_e32 v71, 32, v60
	v_cmp_eq_u32_e32 vcc, 0, v2
	s_waitcnt lgkmcnt(1)
	v_cndmask_b32_e32 v7, 0, v7, vcc
	v_cmp_gt_u32_e32 vcc, v71, v5
	v_cndmask_b32_e64 v5, v7, 0, vcc
	v_add_u32_e32 v3, v5, v3
	s_waitcnt lgkmcnt(0)
	v_cndmask_b32_e64 v5, v6, 0, vcc
	v_add_u32_e32 v2, v5, v2
	v_mov_b32_e32 v53, 0
	s_branch .LBB604_130
.LBB604_129:                            ;   in Loop: Header=BB604_130 Depth=1
	s_or_b64 exec, exec, s[30:31]
	v_cmp_eq_u16_sdwa s[30:31], v4, v59 src0_sel:BYTE_0 src1_sel:DWORD
	v_and_b32_e32 v5, s31, v55
	v_or_b32_e32 v5, 0x80000000, v5
	v_and_b32_e32 v56, s30, v54
	v_ffbl_b32_e32 v5, v5
	v_add_u32_e32 v5, 32, v5
	v_ffbl_b32_e32 v56, v56
	v_min_u32_e32 v5, v56, v5
	ds_bpermute_b32 v56, v61, v3
	v_cmp_eq_u32_e32 vcc, 0, v2
	v_cmp_lt_u32_e64 s[30:31], v60, v5
	ds_bpermute_b32 v57, v61, v2
	s_and_b64 vcc, s[30:31], vcc
	s_waitcnt lgkmcnt(1)
	v_cndmask_b32_e32 v56, 0, v56, vcc
	v_add_u32_e32 v3, v56, v3
	ds_bpermute_b32 v56, v62, v3
	s_waitcnt lgkmcnt(1)
	v_cndmask_b32_e64 v57, 0, v57, s[30:31]
	v_add_u32_e32 v2, v57, v2
	v_cmp_eq_u32_e32 vcc, 0, v2
	ds_bpermute_b32 v57, v62, v2
	s_waitcnt lgkmcnt(1)
	v_cndmask_b32_e32 v56, 0, v56, vcc
	v_cmp_gt_u32_e32 vcc, v63, v5
	v_cndmask_b32_e64 v56, v56, 0, vcc
	v_add_u32_e32 v3, v56, v3
	ds_bpermute_b32 v56, v64, v3
	s_waitcnt lgkmcnt(1)
	v_cndmask_b32_e64 v57, v57, 0, vcc
	v_add_u32_e32 v2, v2, v57
	v_cmp_eq_u32_e32 vcc, 0, v2
	ds_bpermute_b32 v57, v64, v2
	s_waitcnt lgkmcnt(1)
	v_cndmask_b32_e32 v56, 0, v56, vcc
	v_cmp_gt_u32_e32 vcc, v65, v5
	v_cndmask_b32_e64 v56, v56, 0, vcc
	v_add_u32_e32 v3, v3, v56
	ds_bpermute_b32 v56, v66, v3
	s_waitcnt lgkmcnt(1)
	v_cndmask_b32_e64 v57, v57, 0, vcc
	v_add_u32_e32 v2, v2, v57
	ds_bpermute_b32 v57, v66, v2
	v_cmp_eq_u32_e32 vcc, 0, v2
	s_waitcnt lgkmcnt(1)
	v_cndmask_b32_e32 v56, 0, v56, vcc
	v_cmp_gt_u32_e32 vcc, v67, v5
	v_cndmask_b32_e64 v56, v56, 0, vcc
	v_add_u32_e32 v3, v3, v56
	ds_bpermute_b32 v56, v68, v3
	s_waitcnt lgkmcnt(1)
	v_cndmask_b32_e64 v57, v57, 0, vcc
	v_add_u32_e32 v2, v2, v57
	ds_bpermute_b32 v57, v68, v2
	v_cmp_eq_u32_e32 vcc, 0, v2
	;; [unrolled: 11-line block ×3, first 2 shown]
	s_waitcnt lgkmcnt(1)
	v_cndmask_b32_e32 v56, 0, v56, vcc
	v_cmp_gt_u32_e32 vcc, v71, v5
	v_cndmask_b32_e64 v5, v56, 0, vcc
	v_add_u32_e32 v3, v5, v3
	s_waitcnt lgkmcnt(0)
	v_cndmask_b32_e64 v5, v57, 0, vcc
	v_cmp_eq_u32_e32 vcc, 0, v6
	v_cndmask_b32_e32 v3, 0, v3, vcc
	v_subrev_u32_e32 v52, 64, v52
	v_add3_u32 v2, v2, v6, v5
	v_add_u32_e32 v3, v3, v7
.LBB604_130:                            ; =>This Loop Header: Depth=1
                                        ;     Child Loop BB604_133 Depth 2
                                        ;       Child Loop BB604_134 Depth 3
	v_cmp_ne_u16_sdwa s[30:31], v4, v59 src0_sel:BYTE_0 src1_sel:DWORD
	v_mov_b32_e32 v7, v3
	v_cndmask_b32_e64 v3, 0, 1, s[30:31]
	;;#ASMSTART
	;;#ASMEND
	v_cmp_ne_u32_e32 vcc, 0, v3
	s_cmp_lg_u64 vcc, exec
	v_mov_b32_e32 v6, v2
	s_cbranch_scc1 .LBB604_137
; %bb.131:                              ;   in Loop: Header=BB604_130 Depth=1
	v_lshlrev_b64 v[2:3], 4, v[52:53]
	v_mov_b32_e32 v4, s45
	v_add_co_u32_e32 v56, vcc, s44, v2
	v_addc_co_u32_e32 v57, vcc, v4, v3, vcc
	;;#ASMSTART
	global_load_dwordx4 v[2:5], v[56:57] off glc	
s_waitcnt vmcnt(0)
	;;#ASMEND
	v_and_b32_e32 v5, 0xff, v3
	v_and_b32_e32 v72, 0xff00, v3
	;; [unrolled: 1-line block ×3, first 2 shown]
	v_or3_b32 v5, 0, v5, v72
	v_or3_b32 v2, v2, 0, 0
	v_and_b32_e32 v3, 0xff000000, v3
	v_or3_b32 v3, v5, v73, v3
	v_or3_b32 v2, v2, 0, 0
	v_cmp_eq_u16_sdwa s[46:47], v4, v53 src0_sel:BYTE_0 src1_sel:DWORD
	s_and_saveexec_b64 s[30:31], s[46:47]
	s_cbranch_execz .LBB604_129
; %bb.132:                              ;   in Loop: Header=BB604_130 Depth=1
	s_mov_b32 s49, 1
	s_mov_b64 s[46:47], 0
.LBB604_133:                            ;   Parent Loop BB604_130 Depth=1
                                        ; =>  This Loop Header: Depth=2
                                        ;       Child Loop BB604_134 Depth 3
	s_max_u32 s50, s49, 1
.LBB604_134:                            ;   Parent Loop BB604_130 Depth=1
                                        ;     Parent Loop BB604_133 Depth=2
                                        ; =>    This Inner Loop Header: Depth=3
	s_add_i32 s50, s50, -1
	s_cmp_eq_u32 s50, 0
	s_sleep 1
	s_cbranch_scc0 .LBB604_134
; %bb.135:                              ;   in Loop: Header=BB604_133 Depth=2
	s_cmp_lt_u32 s49, 32
	s_cselect_b64 s[50:51], -1, 0
	s_cmp_lg_u64 s[50:51], 0
	s_addc_u32 s49, s49, 0
	;;#ASMSTART
	global_load_dwordx4 v[2:5], v[56:57] off glc	
s_waitcnt vmcnt(0)
	;;#ASMEND
	v_cmp_ne_u16_sdwa s[50:51], v4, v53 src0_sel:BYTE_0 src1_sel:DWORD
	s_or_b64 s[46:47], s[50:51], s[46:47]
	s_andn2_b64 exec, exec, s[46:47]
	s_cbranch_execnz .LBB604_133
; %bb.136:                              ;   in Loop: Header=BB604_130 Depth=1
	s_or_b64 exec, exec, s[46:47]
	s_branch .LBB604_129
.LBB604_137:                            ;   in Loop: Header=BB604_130 Depth=1
                                        ; implicit-def: $vgpr3
                                        ; implicit-def: $vgpr2
                                        ; implicit-def: $vgpr4
	s_cbranch_execz .LBB604_130
; %bb.138:
	s_and_saveexec_b64 s[30:31], s[26:27]
	s_cbranch_execz .LBB604_140
; %bb.139:
	s_cmp_eq_u32 s7, 0
	s_cselect_b64 vcc, -1, 0
	s_mov_b32 s47, 0
	v_cndmask_b32_e32 v2, 0, v7, vcc
	s_add_i32 s46, s6, 64
	v_add_u32_e32 v2, s48, v2
	s_lshl_b64 s[46:47], s[46:47], 4
	s_add_u32 s46, s44, s46
	v_and_b32_e32 v3, 0xff000000, v2
	v_and_b32_e32 v4, 0xff0000, v2
	s_addc_u32 s47, s45, s47
	v_or_b32_e32 v3, v4, v3
	v_and_b32_e32 v4, 0xff00, v2
	v_and_b32_e32 v2, 0xff, v2
	v_add_u32_e32 v52, s7, v6
	v_mov_b32_e32 v55, 0
	v_or3_b32 v53, v3, v4, v2
	v_mov_b32_e32 v54, 2
	v_pk_mov_b32 v[2:3], s[46:47], s[46:47] op_sel:[0,1]
	;;#ASMSTART
	global_store_dwordx4 v[2:3], v[52:55] off	
s_waitcnt vmcnt(0)
	;;#ASMEND
	v_mov_b32_e32 v4, s7
	v_mov_b32_e32 v5, s48
	ds_write_b128 v55, v[4:7] offset:2048
.LBB604_140:
	s_or_b64 exec, exec, s[30:31]
	v_cmp_eq_u32_e32 vcc, 0, v0
	s_and_b64 exec, exec, vcc
	s_cbranch_execz .LBB604_142
; %bb.141:
	v_mov_b32_e32 v2, 0
	ds_write_b64 v2, v[6:7] offset:2088
.LBB604_142:
	s_or_b64 exec, exec, s[40:41]
	v_mov_b32_e32 v4, 0
	s_waitcnt lgkmcnt(0)
	s_barrier
	ds_read_b64 v[2:3], v4 offset:2088
	v_cndmask_b32_e64 v6, v34, v50, s[26:27]
	v_cmp_eq_u32_e32 vcc, 0, v6
	v_cndmask_b32_e64 v5, v58, v51, s[26:27]
	s_waitcnt lgkmcnt(0)
	v_cndmask_b32_e32 v7, 0, v3, vcc
	v_add_u32_e32 v5, v7, v5
	v_cmp_eq_u32_e32 vcc, 0, v0
	v_cndmask_b32_e32 v79, v5, v3, vcc
	v_cndmask_b32_e64 v3, v6, 0, vcc
	v_cmp_eq_u32_e32 vcc, 0, v82
	v_add_u32_e32 v78, v2, v3
	v_cndmask_b32_e32 v2, 0, v79, vcc
	v_add_u32_e32 v77, v2, v46
	v_cndmask_b32_e64 v2, 0, v77, s[24:25]
	v_add_u32_e32 v75, v2, v48
	v_cndmask_b32_e64 v2, 0, v75, s[22:23]
	;; [unrolled: 2-line block ×8, first 2 shown]
	v_add_u32_e32 v76, v78, v82
	v_add_u32_e32 v61, v2, v38
	v_add_u32_e32 v74, v76, v35
	v_cndmask_b32_e64 v2, 0, v61, s[8:9]
	v_add_u32_e32 v72, v74, v32
	v_add_u32_e32 v59, v2, v40
	v_add_u32_e32 v70, v72, v33
	v_cndmask_b32_e64 v2, 0, v59, s[28:29]
	;; [unrolled: 4-line block ×3, first 2 shown]
	v_add_u32_e32 v64, v66, v28
	v_add_u32_e32 v55, v2, v41
	s_barrier
	ds_read_b128 v[2:5], v4 offset:2048
	v_add_u32_e32 v62, v64, v29
	v_add_u32_e32 v60, v62, v26
	;; [unrolled: 1-line block ×4, first 2 shown]
	v_cndmask_b32_e64 v6, 0, v55, s[2:3]
	v_add_u32_e32 v54, v56, v25
	v_add_u32_e32 v53, v6, v36
	s_waitcnt lgkmcnt(0)
	v_cmp_eq_u32_e32 vcc, 0, v2
	v_add_u32_e32 v52, v54, v22
	v_cndmask_b32_e64 v6, 0, v53, s[0:1]
	v_cndmask_b32_e32 v5, 0, v5, vcc
	v_add_u32_e32 v50, v52, v23
	v_add_u32_e32 v51, v6, v81
	;; [unrolled: 1-line block ×3, first 2 shown]
	s_branch .LBB604_155
.LBB604_143:
                                        ; implicit-def: $vgpr2
                                        ; implicit-def: $vgpr34
                                        ; implicit-def: $vgpr78_vgpr79
                                        ; implicit-def: $vgpr76_vgpr77
                                        ; implicit-def: $vgpr74_vgpr75
                                        ; implicit-def: $vgpr72_vgpr73
                                        ; implicit-def: $vgpr70_vgpr71
                                        ; implicit-def: $vgpr68_vgpr69
                                        ; implicit-def: $vgpr66_vgpr67
                                        ; implicit-def: $vgpr64_vgpr65
                                        ; implicit-def: $vgpr62_vgpr63
                                        ; implicit-def: $vgpr60_vgpr61
                                        ; implicit-def: $vgpr58_vgpr59
                                        ; implicit-def: $vgpr56_vgpr57
                                        ; implicit-def: $vgpr54_vgpr55
                                        ; implicit-def: $vgpr52_vgpr53
                                        ; implicit-def: $vgpr50_vgpr51
	s_cbranch_execz .LBB604_155
; %bb.144:
	s_and_b64 s[0:1], s[38:39], exec
	s_cselect_b32 s1, 0, s61
	s_cselect_b32 s0, 0, s60
	s_cmp_eq_u64 s[0:1], 0
	v_mov_b32_e32 v6, v46
	s_cbranch_scc1 .LBB604_146
; %bb.145:
	v_mov_b32_e32 v2, 0
	global_load_dword v6, v2, s[0:1]
.LBB604_146:
	v_cmp_eq_u32_e64 s[0:1], 0, v35
	v_cndmask_b32_e64 v2, 0, v46, s[0:1]
	v_add_u32_e32 v2, v2, v48
	v_cmp_eq_u32_e64 s[2:3], 0, v32
	v_cndmask_b32_e64 v2, 0, v2, s[2:3]
	v_add_u32_e32 v2, v2, v47
	;; [unrolled: 3-line block ×11, first 2 shown]
	v_cmp_eq_u32_e64 s[22:23], 0, v22
	v_cndmask_b32_e64 v2, 0, v2, s[22:23]
	v_add3_u32 v3, v86, v31, v28
	v_add_u32_e32 v2, v2, v36
	v_cmp_eq_u32_e32 vcc, 0, v23
	v_add3_u32 v3, v3, v29, v26
	v_cndmask_b32_e32 v2, 0, v2, vcc
	v_add3_u32 v3, v3, v27, v24
	v_add_u32_e32 v2, v2, v81
	v_cmp_eq_u32_e64 s[24:25], 0, v80
	v_add3_u32 v3, v3, v25, v22
	v_cndmask_b32_e64 v2, 0, v2, s[24:25]
	v_add3_u32 v3, v3, v23, v80
	v_add_u32_e32 v2, v2, v37
	v_mbcnt_hi_u32_b32 v7, -1, v85
	s_waitcnt vmcnt(0) lgkmcnt(0)
	v_and_b32_e32 v4, 15, v7
	v_mov_b32_dpp v34, v2 row_shr:1 row_mask:0xf bank_mask:0xf
	v_cmp_eq_u32_e64 s[24:25], 0, v3
	v_mov_b32_dpp v5, v3 row_shr:1 row_mask:0xf bank_mask:0xf
	v_cndmask_b32_e64 v34, 0, v34, s[24:25]
	v_cmp_eq_u32_e64 s[24:25], 0, v4
	v_cndmask_b32_e64 v5, v5, 0, s[24:25]
	v_add_u32_e32 v3, v5, v3
	v_cndmask_b32_e64 v5, v34, 0, s[24:25]
	v_add_u32_e32 v2, v5, v2
	v_cmp_eq_u32_e64 s[24:25], 0, v3
	v_mov_b32_dpp v5, v3 row_shr:2 row_mask:0xf bank_mask:0xf
	v_cmp_lt_u32_e64 s[26:27], 1, v4
	v_mov_b32_dpp v34, v2 row_shr:2 row_mask:0xf bank_mask:0xf
	v_cndmask_b32_e64 v5, 0, v5, s[26:27]
	s_and_b64 s[24:25], s[26:27], s[24:25]
	v_cndmask_b32_e64 v34, 0, v34, s[24:25]
	v_add_u32_e32 v3, v3, v5
	v_add_u32_e32 v2, v34, v2
	v_cmp_eq_u32_e64 s[24:25], 0, v3
	v_mov_b32_dpp v5, v3 row_shr:4 row_mask:0xf bank_mask:0xf
	v_cmp_lt_u32_e64 s[26:27], 3, v4
	v_mov_b32_dpp v34, v2 row_shr:4 row_mask:0xf bank_mask:0xf
	v_cndmask_b32_e64 v5, 0, v5, s[26:27]
	s_and_b64 s[24:25], s[26:27], s[24:25]
	v_cndmask_b32_e64 v34, 0, v34, s[24:25]
	v_add_u32_e32 v3, v5, v3
	v_add_u32_e32 v2, v2, v34
	v_cmp_eq_u32_e64 s[24:25], 0, v3
	v_cmp_lt_u32_e64 s[26:27], 7, v4
	v_mov_b32_dpp v5, v3 row_shr:8 row_mask:0xf bank_mask:0xf
	v_mov_b32_dpp v34, v2 row_shr:8 row_mask:0xf bank_mask:0xf
	s_and_b64 s[24:25], s[26:27], s[24:25]
	v_cndmask_b32_e64 v4, 0, v5, s[26:27]
	v_cndmask_b32_e64 v5, 0, v34, s[24:25]
	v_add_u32_e32 v2, v5, v2
	v_add_u32_e32 v3, v4, v3
	v_bfe_i32 v34, v7, 4, 1
	v_mov_b32_dpp v5, v2 row_bcast:15 row_mask:0xf bank_mask:0xf
	v_mov_b32_dpp v4, v3 row_bcast:15 row_mask:0xf bank_mask:0xf
	v_cmp_eq_u32_e64 s[24:25], 0, v3
	v_cndmask_b32_e64 v5, 0, v5, s[24:25]
	v_and_b32_e32 v4, v34, v4
	v_add_u32_e32 v3, v4, v3
	v_and_b32_e32 v4, v34, v5
	v_add_u32_e32 v4, v4, v2
	v_mov_b32_dpp v2, v3 row_bcast:31 row_mask:0xf bank_mask:0xf
	v_cmp_eq_u32_e64 s[24:25], 0, v3
	v_cmp_lt_u32_e64 s[26:27], 31, v7
	v_mov_b32_dpp v5, v4 row_bcast:31 row_mask:0xf bank_mask:0xf
	v_cndmask_b32_e64 v2, 0, v2, s[26:27]
	s_and_b64 s[24:25], s[26:27], s[24:25]
	v_add_u32_e32 v2, v2, v3
	v_cndmask_b32_e64 v3, 0, v5, s[24:25]
	v_add_u32_e32 v3, v3, v4
	v_cmp_eq_u32_e64 s[24:25], v84, v0
	s_and_saveexec_b64 s[26:27], s[24:25]
	s_cbranch_execz .LBB604_148
; %bb.147:
	v_lshlrev_b32_e32 v4, 3, v83
	ds_write_b64 v4, v[2:3] offset:2064
.LBB604_148:
	s_or_b64 exec, exec, s[26:27]
	v_cmp_gt_u32_e64 s[24:25], 4, v0
	s_waitcnt lgkmcnt(0)
	s_barrier
	s_and_saveexec_b64 s[28:29], s[24:25]
	s_cbranch_execz .LBB604_150
; %bb.149:
	v_lshlrev_b32_e32 v34, 3, v0
	ds_read_b64 v[4:5], v34 offset:2064
	v_and_b32_e32 v37, 3, v7
	v_cmp_lt_u32_e64 s[26:27], 1, v37
	s_waitcnt lgkmcnt(0)
	v_mov_b32_dpp v51, v5 row_shr:1 row_mask:0xf bank_mask:0xf
	v_cmp_eq_u32_e64 s[24:25], 0, v4
	v_mov_b32_dpp v50, v4 row_shr:1 row_mask:0xf bank_mask:0xf
	v_cndmask_b32_e64 v51, 0, v51, s[24:25]
	v_cmp_eq_u32_e64 s[24:25], 0, v37
	v_cndmask_b32_e64 v50, v50, 0, s[24:25]
	v_add_u32_e32 v4, v50, v4
	v_cndmask_b32_e64 v50, v51, 0, s[24:25]
	v_add_u32_e32 v5, v50, v5
	v_cmp_eq_u32_e64 s[24:25], 0, v4
	v_mov_b32_dpp v50, v4 row_shr:2 row_mask:0xf bank_mask:0xf
	v_mov_b32_dpp v51, v5 row_shr:2 row_mask:0xf bank_mask:0xf
	v_cndmask_b32_e64 v37, 0, v50, s[26:27]
	s_and_b64 s[24:25], s[26:27], s[24:25]
	v_add_u32_e32 v4, v37, v4
	v_cndmask_b32_e64 v37, 0, v51, s[24:25]
	v_add_u32_e32 v5, v37, v5
	ds_write_b64 v34, v[4:5] offset:2064
.LBB604_150:
	s_or_b64 exec, exec, s[28:29]
	v_cmp_lt_u32_e64 s[24:25], 63, v0
	v_mov_b32_e32 v34, 0
	v_mov_b32_e32 v4, 0
	;; [unrolled: 1-line block ×3, first 2 shown]
	s_waitcnt lgkmcnt(0)
	s_barrier
	s_and_saveexec_b64 s[26:27], s[24:25]
	s_cbranch_execz .LBB604_152
; %bb.151:
	v_lshlrev_b32_e32 v4, 3, v83
	ds_read_b64 v[4:5], v4 offset:2056
	s_waitcnt lgkmcnt(0)
	v_cmp_eq_u32_e64 s[24:25], 0, v4
	v_cndmask_b32_e64 v37, 0, v6, s[24:25]
	v_add_u32_e32 v5, v37, v5
.LBB604_152:
	s_or_b64 exec, exec, s[26:27]
	v_cmp_eq_u32_e64 s[24:25], 0, v2
	v_add_u32_e32 v37, v4, v2
	v_cndmask_b32_e64 v2, 0, v5, s[24:25]
	v_add_u32_e32 v2, v2, v3
	v_add_u32_e32 v3, -1, v7
	v_and_b32_e32 v50, 64, v7
	v_cmp_lt_i32_e64 s[24:25], v3, v50
	v_cndmask_b32_e64 v3, v3, v7, s[24:25]
	v_lshlrev_b32_e32 v3, 2, v3
	ds_bpermute_b32 v37, v3, v37
	ds_bpermute_b32 v2, v3, v2
	v_cmp_eq_u32_e64 s[24:25], 0, v7
	v_cmp_eq_u32_e64 s[26:27], 0, v82
	s_waitcnt lgkmcnt(1)
	v_cndmask_b32_e64 v3, v37, v4, s[24:25]
	s_waitcnt lgkmcnt(0)
	v_cndmask_b32_e64 v2, v2, v5, s[24:25]
	v_cmp_eq_u32_e64 s[24:25], 0, v0
	v_cndmask_b32_e64 v79, v2, v6, s[24:25]
	v_cndmask_b32_e64 v2, 0, v79, s[26:27]
	v_add_u32_e32 v77, v2, v46
	v_cndmask_b32_e64 v2, 0, v77, s[0:1]
	v_add_u32_e32 v75, v2, v48
	;; [unrolled: 2-line block ×8, first 2 shown]
	v_cndmask_b32_e64 v78, v3, 0, s[24:25]
	v_cndmask_b32_e64 v2, 0, v63, s[14:15]
	v_add_u32_e32 v76, v78, v82
	v_add_u32_e32 v61, v2, v38
	v_add_u32_e32 v74, v76, v35
	v_cndmask_b32_e64 v2, 0, v61, s[16:17]
	v_add_u32_e32 v72, v74, v32
	v_add_u32_e32 v59, v2, v40
	v_add_u32_e32 v70, v72, v33
	;; [unrolled: 4-line block ×3, first 2 shown]
	v_cndmask_b32_e64 v2, 0, v57, s[20:21]
	v_add_u32_e32 v64, v66, v28
	v_add_u32_e32 v55, v2, v41
	ds_read_b64 v[2:3], v34 offset:2088
	v_add_u32_e32 v62, v64, v29
	v_add_u32_e32 v60, v62, v26
	;; [unrolled: 1-line block ×3, first 2 shown]
	v_cndmask_b32_e64 v4, 0, v55, s[22:23]
	v_add_u32_e32 v56, v58, v24
	v_add_u32_e32 v53, v4, v36
	;; [unrolled: 1-line block ×3, first 2 shown]
	v_cndmask_b32_e32 v4, 0, v53, vcc
	s_waitcnt lgkmcnt(0)
	v_cmp_eq_u32_e32 vcc, 0, v2
	v_add_u32_e32 v52, v54, v22
	v_add_u32_e32 v51, v4, v81
	v_cndmask_b32_e32 v4, 0, v6, vcc
	v_add_u32_e32 v50, v52, v23
	v_add_u32_e32 v34, v4, v3
	s_and_saveexec_b64 s[0:1], s[24:25]
	s_cbranch_execz .LBB604_154
; %bb.153:
	s_add_u32 s2, s44, 0x400
	v_and_b32_e32 v3, 0xff000000, v34
	v_and_b32_e32 v4, 0xff0000, v34
	s_addc_u32 s3, s45, 0
	v_or_b32_e32 v3, v4, v3
	v_and_b32_e32 v4, 0xff00, v34
	v_and_b32_e32 v6, 0xff, v34
	v_mov_b32_e32 v5, 0
	v_or3_b32 v3, v3, v4, v6
	v_mov_b32_e32 v4, 2
	v_pk_mov_b32 v[6:7], s[2:3], s[2:3] op_sel:[0,1]
	;;#ASMSTART
	global_store_dwordx4 v[6:7], v[2:5] off	
s_waitcnt vmcnt(0)
	;;#ASMEND
.LBB604_154:
	s_or_b64 exec, exec, s[0:1]
	v_mov_b32_e32 v4, 0
.LBB604_155:
	s_and_b64 s[0:1], s[38:39], exec
	s_cselect_b32 s1, 0, s59
	s_cselect_b32 s0, 0, s58
	s_cmp_eq_u64 s[0:1], 0
	v_pk_mov_b32 v[6:7], 0, 0
	s_waitcnt lgkmcnt(0)
	s_barrier
	s_cbranch_scc1 .LBB604_157
; %bb.156:
	v_mov_b32_e32 v3, 0
	global_load_dwordx2 v[6:7], v3, s[0:1]
.LBB604_157:
	s_waitcnt vmcnt(0)
	v_lshlrev_b64 v[36:37], 2, v[6:7]
	v_mov_b32_e32 v3, s43
	v_add_co_u32_e32 v40, vcc, s42, v36
	v_mov_b32_e32 v5, 0
	v_addc_co_u32_e32 v41, vcc, v3, v37, vcc
	v_lshlrev_b64 v[38:39], 2, v[4:5]
	v_add_co_u32_e32 v3, vcc, v40, v38
	v_addc_co_u32_e32 v5, vcc, v41, v39, vcc
	v_cmp_eq_u32_e32 vcc, 0, v82
	v_cndmask_b32_e64 v40, 1, 2, vcc
	v_cmp_eq_u32_e32 vcc, 0, v35
	v_cndmask_b32_e64 v41, 1, 2, vcc
	v_cmp_eq_u32_e32 vcc, 0, v32
	v_and_b32_e32 v40, v41, v40
	v_cndmask_b32_e64 v41, 1, 2, vcc
	v_cmp_eq_u32_e32 vcc, 0, v33
	v_and_b32_e32 v40, v40, v41
	;; [unrolled: 3-line block ×13, first 2 shown]
	v_cndmask_b32_e64 v41, 1, 2, vcc
	s_movk_i32 s30, 0x100
	v_and_b32_e32 v40, v40, v41
	v_cmp_gt_u32_e32 vcc, s30, v2
	v_cmp_ne_u32_e64 s[28:29], 0, v82
	v_cmp_ne_u32_e64 s[26:27], 0, v35
	;; [unrolled: 1-line block ×15, first 2 shown]
	s_mov_b64 s[38:39], -1
	v_cmp_gt_i16_e64 s[30:31], 2, v40
	s_cbranch_vccz .LBB604_164
; %bb.158:
	s_and_saveexec_b64 s[38:39], s[30:31]
	s_cbranch_execz .LBB604_163
; %bb.159:
	v_cmp_ne_u16_e32 vcc, 1, v40
	s_mov_b64 s[40:41], 0
	s_and_saveexec_b64 s[30:31], vcc
	s_xor_b64 s[30:31], exec, s[30:31]
	s_cbranch_execnz .LBB604_253
; %bb.160:
	s_andn2_saveexec_b64 s[30:31], s[30:31]
	s_cbranch_execnz .LBB604_269
.LBB604_161:
	s_or_b64 exec, exec, s[30:31]
	s_and_b64 exec, exec, s[40:41]
	s_cbranch_execz .LBB604_163
.LBB604_162:
	v_sub_u32_e32 v42, v50, v4
	v_mov_b32_e32 v43, 0
	v_lshlrev_b64 v[42:43], 2, v[42:43]
	v_add_co_u32_e32 v42, vcc, v3, v42
	v_addc_co_u32_e32 v43, vcc, v5, v43, vcc
	global_store_dword v[42:43], v1, off
.LBB604_163:
	s_or_b64 exec, exec, s[38:39]
	s_mov_b64 s[38:39], 0
.LBB604_164:
	s_and_b64 vcc, exec, s[38:39]
	s_cbranch_vccz .LBB604_186
; %bb.165:
	v_cmp_gt_i16_e32 vcc, 2, v40
	s_and_saveexec_b64 s[30:31], vcc
	s_cbranch_execz .LBB604_170
; %bb.166:
	v_cmp_ne_u16_e32 vcc, 1, v40
	s_mov_b64 s[40:41], 0
	s_and_saveexec_b64 s[38:39], vcc
	s_xor_b64 s[38:39], exec, s[38:39]
	s_cbranch_execnz .LBB604_270
; %bb.167:
	s_andn2_saveexec_b64 s[0:1], s[38:39]
	s_cbranch_execnz .LBB604_286
.LBB604_168:
	s_or_b64 exec, exec, s[0:1]
	s_and_b64 exec, exec, s[40:41]
	s_cbranch_execz .LBB604_170
.LBB604_169:
	v_sub_u32_e32 v8, v50, v4
	v_lshlrev_b32_e32 v8, 2, v8
	ds_write_b32 v8, v1
.LBB604_170:
	s_or_b64 exec, exec, s[30:31]
	v_cmp_lt_u32_e32 vcc, v0, v2
	s_waitcnt lgkmcnt(0)
	s_barrier
	s_and_saveexec_b64 s[2:3], vcc
	s_cbranch_execz .LBB604_185
; %bb.171:
	v_xad_u32 v1, v0, -1, v2
	s_movk_i32 s0, 0x1700
	v_cmp_gt_u32_e64 s[4:5], s0, v1
	s_movk_i32 s0, 0x16ff
	v_cmp_lt_u32_e32 vcc, s0, v1
	v_mov_b32_e32 v8, v0
	s_and_saveexec_b64 s[6:7], vcc
	s_cbranch_execz .LBB604_182
; %bb.172:
	v_sub_u32_e32 v8, v0, v2
	v_or_b32_e32 v8, 0xff, v8
	v_cmp_ge_u32_e32 vcc, v8, v0
	s_mov_b64 s[0:1], -1
	v_mov_b32_e32 v8, v0
	s_and_saveexec_b64 s[8:9], vcc
	s_cbranch_execz .LBB604_181
; %bb.173:
	v_lshrrev_b32_e32 v12, 8, v1
	v_add_u32_e32 v8, -1, v12
	v_or_b32_e32 v1, 0x100, v0
	v_lshrrev_b32_e32 v9, 1, v8
	v_add_u32_e32 v13, 1, v9
	v_cmp_lt_u32_e32 vcc, 13, v8
	v_mov_b32_e32 v16, 0
	v_pk_mov_b32 v[8:9], v[0:1], v[0:1] op_sel:[0,1]
	s_and_saveexec_b64 s[10:11], vcc
	s_cbranch_execz .LBB604_177
; %bb.174:
	v_and_b32_e32 v14, -8, v13
	v_lshlrev_b32_e32 v15, 2, v0
	s_mov_b32 s14, 0
	s_mov_b64 s[12:13], 0
	v_mov_b32_e32 v11, 0
	v_pk_mov_b32 v[8:9], v[0:1], v[0:1] op_sel:[0,1]
.LBB604_175:                            ; =>This Inner Loop Header: Depth=1
	v_mov_b32_e32 v10, v8
	v_add_u32_e32 v14, -8, v14
	v_lshlrev_b64 v[98:99], 2, v[10:11]
	v_mov_b32_e32 v10, v9
	ds_read2st64_b32 v[18:19], v15 offset1:4
	s_add_i32 s14, s14, 16
	v_cmp_eq_u32_e32 vcc, 0, v14
	v_lshlrev_b64 v[102:103], 2, v[10:11]
	v_add_u32_e32 v10, 0x200, v8
	s_or_b64 s[12:13], vcc, s[12:13]
	v_add_co_u32_e32 v102, vcc, v3, v102
	v_add_u32_e32 v16, 0x200, v9
	v_mov_b32_e32 v17, v11
	ds_read2st64_b32 v[20:21], v15 offset0:8 offset1:12
	ds_read2st64_b32 v[42:43], v15 offset0:16 offset1:20
	v_add_co_u32_e64 v98, s[0:1], v3, v98
	v_addc_co_u32_e32 v103, vcc, v5, v103, vcc
	v_lshlrev_b64 v[104:105], 2, v[10:11]
	v_lshlrev_b64 v[100:101], 2, v[16:17]
	v_addc_co_u32_e64 v99, s[0:1], v5, v99, s[0:1]
	v_add_u32_e32 v10, 0x400, v8
	v_add_co_u32_e32 v104, vcc, v3, v104
	v_add_u32_e32 v40, 0x400, v9
	v_mov_b32_e32 v41, v11
	ds_read2st64_b32 v[46:47], v15 offset0:24 offset1:28
	v_add_co_u32_e64 v100, s[0:1], v3, v100
	v_addc_co_u32_e32 v105, vcc, v5, v105, vcc
	v_lshlrev_b64 v[106:107], 2, v[10:11]
	ds_read2st64_b32 v[84:85], v15 offset0:32 offset1:36
	ds_read2st64_b32 v[88:89], v15 offset0:40 offset1:44
	;; [unrolled: 1-line block ×4, first 2 shown]
	v_lshlrev_b64 v[40:41], 2, v[40:41]
	v_addc_co_u32_e64 v101, s[0:1], v5, v101, s[0:1]
	v_add_u32_e32 v10, 0x600, v8
	s_waitcnt lgkmcnt(7)
	global_store_dword v[98:99], v18, off
	global_store_dword v[102:103], v19, off
	s_waitcnt lgkmcnt(6)
	global_store_dword v[104:105], v20, off
	global_store_dword v[100:101], v21, off
	v_add_co_u32_e32 v18, vcc, v3, v106
	v_add_u32_e32 v44, 0x600, v9
	v_mov_b32_e32 v45, v11
	v_add_co_u32_e64 v40, s[0:1], v3, v40
	v_addc_co_u32_e32 v19, vcc, v5, v107, vcc
	v_lshlrev_b64 v[20:21], 2, v[10:11]
	v_lshlrev_b64 v[44:45], 2, v[44:45]
	v_addc_co_u32_e64 v41, s[0:1], v5, v41, s[0:1]
	v_add_u32_e32 v10, 0x800, v8
	s_waitcnt lgkmcnt(5)
	global_store_dword v[18:19], v42, off
	global_store_dword v[40:41], v43, off
	v_add_co_u32_e32 v18, vcc, v3, v20
	v_add_u32_e32 v48, 0x800, v9
	v_mov_b32_e32 v49, v11
	v_add_co_u32_e64 v44, s[0:1], v3, v44
	v_addc_co_u32_e32 v19, vcc, v5, v21, vcc
	v_lshlrev_b64 v[20:21], 2, v[10:11]
	v_lshlrev_b64 v[48:49], 2, v[48:49]
	v_addc_co_u32_e64 v45, s[0:1], v5, v45, s[0:1]
	v_add_u32_e32 v10, 0xa00, v8
	;; [unrolled: 12-line block ×4, first 2 shown]
	s_waitcnt lgkmcnt(2)
	global_store_dword v[18:19], v88, off
	global_store_dword v[86:87], v89, off
	v_add_co_u32_e32 v18, vcc, v3, v20
	v_add_u32_e32 v94, 0xe00, v9
	v_mov_b32_e32 v95, v11
	v_add_co_u32_e64 v90, s[0:1], v3, v90
	v_addc_co_u32_e32 v19, vcc, v5, v21, vcc
	v_lshlrev_b64 v[20:21], 2, v[10:11]
	v_lshlrev_b64 v[94:95], 2, v[94:95]
	v_addc_co_u32_e64 v91, s[0:1], v5, v91, s[0:1]
	s_waitcnt lgkmcnt(1)
	global_store_dword v[18:19], v92, off
	global_store_dword v[90:91], v93, off
	v_add_co_u32_e32 v18, vcc, v3, v20
	v_add_u32_e32 v15, 0x4000, v15
	v_add_u32_e32 v9, 0x1000, v9
	v_mov_b32_e32 v16, s14
	v_add_co_u32_e64 v94, s[0:1], v3, v94
	v_add_u32_e32 v8, 0x1000, v8
	v_addc_co_u32_e32 v19, vcc, v5, v21, vcc
	v_addc_co_u32_e64 v95, s[0:1], v5, v95, s[0:1]
	s_waitcnt lgkmcnt(0)
	global_store_dword v[18:19], v96, off
	global_store_dword v[94:95], v97, off
	s_andn2_b64 exec, exec, s[12:13]
	s_cbranch_execnz .LBB604_175
; %bb.176:
	s_or_b64 exec, exec, s[12:13]
.LBB604_177:
	s_or_b64 exec, exec, s[10:11]
	v_and_b32_e32 v1, 7, v13
	v_cmp_ne_u32_e32 vcc, 0, v1
	s_and_saveexec_b64 s[10:11], vcc
	s_cbranch_execz .LBB604_180
; %bb.178:
	v_lshlrev_b32_e32 v10, 2, v0
	v_lshl_or_b32 v13, v16, 10, v10
	s_mov_b64 s[12:13], 0
	v_mov_b32_e32 v11, 0
.LBB604_179:                            ; =>This Inner Loop Header: Depth=1
	ds_read2st64_b32 v[14:15], v13 offset1:4
	v_mov_b32_e32 v10, v8
	v_add_u32_e32 v1, -1, v1
	v_lshlrev_b64 v[16:17], 2, v[10:11]
	v_mov_b32_e32 v10, v9
	v_cmp_eq_u32_e32 vcc, 0, v1
	v_add_co_u32_e64 v16, s[0:1], v3, v16
	v_lshlrev_b64 v[18:19], 2, v[10:11]
	v_add_u32_e32 v8, 0x200, v8
	v_add_u32_e32 v13, 0x800, v13
	;; [unrolled: 1-line block ×3, first 2 shown]
	v_addc_co_u32_e64 v17, s[0:1], v5, v17, s[0:1]
	s_or_b64 s[12:13], vcc, s[12:13]
	v_add_co_u32_e32 v18, vcc, v3, v18
	v_addc_co_u32_e32 v19, vcc, v5, v19, vcc
	s_waitcnt lgkmcnt(0)
	global_store_dword v[16:17], v14, off
	global_store_dword v[18:19], v15, off
	s_andn2_b64 exec, exec, s[12:13]
	s_cbranch_execnz .LBB604_179
.LBB604_180:
	s_or_b64 exec, exec, s[10:11]
	v_add_u32_e32 v1, 1, v12
	v_and_b32_e32 v9, 0x1fffffe, v1
	v_cmp_ne_u32_e32 vcc, v1, v9
	v_lshl_or_b32 v8, v9, 8, v0
	s_orn2_b64 s[0:1], vcc, exec
.LBB604_181:
	s_or_b64 exec, exec, s[8:9]
	s_andn2_b64 s[4:5], s[4:5], exec
	s_and_b64 s[0:1], s[0:1], exec
	s_or_b64 s[4:5], s[4:5], s[0:1]
.LBB604_182:
	s_or_b64 exec, exec, s[6:7]
	s_and_b64 exec, exec, s[4:5]
	s_cbranch_execz .LBB604_185
; %bb.183:
	v_lshlrev_b32_e32 v1, 2, v8
	s_mov_b64 s[0:1], 0
	v_mov_b32_e32 v9, 0
.LBB604_184:                            ; =>This Inner Loop Header: Depth=1
	v_lshlrev_b64 v[10:11], 2, v[8:9]
	ds_read_b32 v12, v1
	v_add_co_u32_e32 v10, vcc, v3, v10
	v_add_u32_e32 v8, 0x100, v8
	v_addc_co_u32_e32 v11, vcc, v5, v11, vcc
	v_cmp_ge_u32_e32 vcc, v8, v2
	v_add_u32_e32 v1, 0x400, v1
	s_or_b64 s[0:1], vcc, s[0:1]
	s_waitcnt lgkmcnt(0)
	global_store_dword v[10:11], v12, off
	s_andn2_b64 exec, exec, s[0:1]
	s_cbranch_execnz .LBB604_184
.LBB604_185:
	s_or_b64 exec, exec, s[2:3]
.LBB604_186:
	s_cmpk_lg_i32 s33, 0xf00
	s_cselect_b64 s[0:1], -1, 0
	s_and_b64 s[0:1], s[34:35], s[0:1]
	v_cmp_eq_u32_e32 vcc, 0, v0
	v_cndmask_b32_e64 v8, 0, 1, s[0:1]
	s_and_b64 s[0:1], vcc, s[36:37]
	v_cndmask_b32_e64 v5, v82, 0, s[0:1]
	s_mul_hi_u32 s0, s33, 0x88888889
	s_lshr_b32 s0, s0, 3
	v_mad_i32_i24 v9, v0, -15, s33
	v_cmp_eq_u32_e32 vcc, s0, v0
	v_cmp_ne_u32_e64 s[0:1], 0, v9
	v_cndmask_b32_e64 v10, 1, v5, s[0:1]
	v_cmp_ne_u32_e64 s[0:1], 1, v9
	v_cndmask_b32_e64 v11, 1, v35, s[0:1]
	;; [unrolled: 2-line block ×15, first 2 shown]
	s_and_b64 vcc, s[34:35], vcc
	v_cndmask_b32_e32 v42, v80, v9, vcc
	v_cndmask_b32_e32 v23, v23, v41, vcc
	;; [unrolled: 1-line block ×15, first 2 shown]
	v_mov_b32_e32 v5, s53
	v_add_co_u32_e32 v9, vcc, s52, v36
	v_addc_co_u32_e32 v12, vcc, v5, v37, vcc
	v_cndmask_b32_e64 v1, 0, 1, s[36:37]
	v_add_co_u32_e32 v5, vcc, v9, v38
	v_addc_co_u32_e32 v12, vcc, v12, v39, vcc
	v_lshlrev_b32_e32 v9, 2, v1
	v_add_co_u32_e32 v9, vcc, v9, v5
	v_addc_co_u32_e32 v14, vcc, 0, v12, vcc
	v_add_co_u32_e32 v13, vcc, -4, v9
	v_addc_co_u32_e32 v14, vcc, -1, v14, vcc
	v_cmp_eq_u32_e32 vcc, 0, v10
	v_cmp_ne_u32_e64 s[28:29], 0, v10
	v_cndmask_b32_e64 v10, 1, 2, vcc
	v_cmp_eq_u32_e32 vcc, 0, v11
	v_cmp_ne_u32_e64 s[26:27], 0, v11
	v_cndmask_b32_e64 v11, 1, 2, vcc
	v_cmp_eq_u32_e32 vcc, 0, v26
	v_and_b32_e32 v10, v11, v10
	v_cndmask_b32_e64 v11, 1, 2, vcc
	v_cmp_eq_u32_e32 vcc, 0, v25
	v_and_b32_e32 v10, v10, v11
	v_cndmask_b32_e64 v11, 1, 2, vcc
	v_cmp_eq_u32_e32 vcc, 0, v24
	v_and_b32_e32 v10, v10, v11
	v_cndmask_b32_e64 v11, 1, 2, vcc
	v_cmp_eq_u32_e32 vcc, 0, v15
	v_and_b32_e32 v10, v10, v11
	v_cndmask_b32_e64 v11, 1, 2, vcc
	v_cmp_eq_u32_e32 vcc, 0, v16
	v_and_b32_e32 v10, v10, v11
	v_cndmask_b32_e64 v11, 1, 2, vcc
	v_cmp_eq_u32_e32 vcc, 0, v17
	v_and_b32_e32 v10, v10, v11
	v_cndmask_b32_e64 v11, 1, 2, vcc
	v_cmp_eq_u32_e32 vcc, 0, v18
	v_and_b32_e32 v10, v10, v11
	v_cndmask_b32_e64 v11, 1, 2, vcc
	v_cmp_eq_u32_e32 vcc, 0, v19
	v_and_b32_e32 v10, v10, v11
	v_cndmask_b32_e64 v11, 1, 2, vcc
	v_cmp_eq_u32_e32 vcc, 0, v20
	v_and_b32_e32 v10, v10, v11
	v_cndmask_b32_e64 v11, 1, 2, vcc
	v_cmp_eq_u32_e32 vcc, 0, v21
	v_and_b32_e32 v10, v10, v11
	v_cndmask_b32_e64 v11, 1, 2, vcc
	v_cmp_eq_u32_e32 vcc, 0, v22
	v_and_b32_e32 v10, v10, v11
	v_cndmask_b32_e64 v11, 1, 2, vcc
	v_cmp_eq_u32_e32 vcc, 0, v23
	v_sub_u32_e32 v3, v2, v1
	v_and_b32_e32 v10, v10, v11
	v_cndmask_b32_e64 v11, 1, 2, vcc
	v_cmp_eq_u32_e32 vcc, 0, v42
	v_add_u32_e32 v3, v3, v8
	v_and_b32_e32 v10, v10, v11
	v_cndmask_b32_e64 v11, 1, 2, vcc
	s_movk_i32 s30, 0x100
	v_and_b32_e32 v10, v10, v11
	v_cmp_gt_u32_e32 vcc, s30, v3
	v_add_u32_e32 v9, v4, v1
	v_cmp_ne_u32_e64 s[24:25], 0, v26
	v_cmp_ne_u32_e64 s[22:23], 0, v25
	;; [unrolled: 1-line block ×13, first 2 shown]
	s_mov_b64 s[36:37], -1
	v_cmp_gt_i16_e64 s[30:31], 2, v10
	s_barrier
	s_cbranch_vccz .LBB604_193
; %bb.187:
	s_and_saveexec_b64 s[36:37], s[30:31]
	s_cbranch_execz .LBB604_192
; %bb.188:
	v_cmp_ne_u16_e32 vcc, 1, v10
	s_mov_b64 s[38:39], 0
	s_and_saveexec_b64 s[30:31], vcc
	s_xor_b64 s[30:31], exec, s[30:31]
	s_cbranch_execnz .LBB604_287
; %bb.189:
	s_andn2_saveexec_b64 s[30:31], s[30:31]
	s_cbranch_execnz .LBB604_303
.LBB604_190:
	s_or_b64 exec, exec, s[30:31]
	s_and_b64 exec, exec, s[38:39]
	s_cbranch_execz .LBB604_192
.LBB604_191:
	v_sub_u32_e32 v16, v50, v9
	v_mov_b32_e32 v17, 0
	v_lshlrev_b64 v[16:17], 2, v[16:17]
	v_add_co_u32_e32 v16, vcc, v13, v16
	v_addc_co_u32_e32 v17, vcc, v14, v17, vcc
	global_store_dword v[16:17], v51, off
.LBB604_192:
	s_or_b64 exec, exec, s[36:37]
	s_mov_b64 s[36:37], 0
.LBB604_193:
	s_and_b64 vcc, exec, s[36:37]
	s_cbranch_vccz .LBB604_215
; %bb.194:
	v_cmp_gt_i16_e32 vcc, 2, v10
	s_and_saveexec_b64 s[30:31], vcc
	s_cbranch_execz .LBB604_199
; %bb.195:
	v_cmp_ne_u16_e32 vcc, 1, v10
	s_mov_b64 s[38:39], 0
	s_and_saveexec_b64 s[36:37], vcc
	s_xor_b64 s[36:37], exec, s[36:37]
	s_cbranch_execnz .LBB604_304
; %bb.196:
	s_andn2_saveexec_b64 s[0:1], s[36:37]
	s_cbranch_execnz .LBB604_320
.LBB604_197:
	s_or_b64 exec, exec, s[0:1]
	s_and_b64 exec, exec, s[38:39]
	s_cbranch_execz .LBB604_199
.LBB604_198:
	v_sub_u32_e32 v9, v50, v9
	v_lshlrev_b32_e32 v9, 2, v9
	ds_write_b32 v9, v51
.LBB604_199:
	s_or_b64 exec, exec, s[30:31]
	v_cmp_lt_u32_e32 vcc, v0, v3
	s_waitcnt lgkmcnt(0)
	s_barrier
	s_and_saveexec_b64 s[2:3], vcc
	s_cbranch_execz .LBB604_214
; %bb.200:
	v_add_u32_e32 v10, v2, v8
	v_xad_u32 v8, v0, -1, v10
	v_sub_u32_e32 v9, v8, v1
	s_movk_i32 s0, 0x1900
	v_cmp_gt_u32_e64 s[4:5], s0, v9
	s_movk_i32 s0, 0x18ff
	v_cmp_lt_u32_e32 vcc, s0, v9
	v_mov_b32_e32 v8, v0
	s_and_saveexec_b64 s[6:7], vcc
	s_cbranch_execz .LBB604_211
; %bb.201:
	v_sub_u32_e32 v8, v0, v10
	v_add_u32_e32 v1, v8, v1
	v_or_b32_e32 v1, 0xff, v1
	v_cmp_ge_u32_e32 vcc, v1, v0
	s_mov_b64 s[0:1], -1
	v_mov_b32_e32 v8, v0
	s_and_saveexec_b64 s[8:9], vcc
	s_cbranch_execz .LBB604_210
; %bb.202:
	v_lshrrev_b32_e32 v15, 8, v9
	v_add_u32_e32 v8, -1, v15
	v_or_b32_e32 v1, 0x100, v0
	v_lshrrev_b32_e32 v9, 1, v8
	v_add_u32_e32 v17, 1, v9
	v_cmp_lt_u32_e32 vcc, 13, v8
	v_mov_b32_e32 v20, 0
	v_lshlrev_b32_e32 v16, 2, v0
	v_pk_mov_b32 v[8:9], v[0:1], v[0:1] op_sel:[0,1]
	s_and_saveexec_b64 s[10:11], vcc
	s_cbranch_execz .LBB604_206
; %bb.203:
	v_and_b32_e32 v18, -8, v17
	s_mov_b32 s14, 0
	s_mov_b64 s[12:13], 0
	v_mov_b32_e32 v11, 0
	v_mov_b32_e32 v19, v16
	v_pk_mov_b32 v[8:9], v[0:1], v[0:1] op_sel:[0,1]
.LBB604_204:                            ; =>This Inner Loop Header: Depth=1
	v_mov_b32_e32 v10, v8
	v_add_u32_e32 v18, -8, v18
	v_lshlrev_b64 v[52:53], 2, v[10:11]
	v_mov_b32_e32 v10, v9
	ds_read2st64_b32 v[22:23], v19 offset1:4
	s_add_i32 s14, s14, 16
	v_cmp_eq_u32_e32 vcc, 0, v18
	v_lshlrev_b64 v[56:57], 2, v[10:11]
	v_add_u32_e32 v10, 0x200, v8
	s_or_b64 s[12:13], vcc, s[12:13]
	v_add_co_u32_e32 v56, vcc, v13, v56
	v_add_u32_e32 v20, 0x200, v9
	v_mov_b32_e32 v21, v11
	ds_read2st64_b32 v[24:25], v19 offset0:8 offset1:12
	ds_read2st64_b32 v[28:29], v19 offset0:16 offset1:20
	v_add_co_u32_e64 v52, s[0:1], v13, v52
	v_addc_co_u32_e32 v57, vcc, v14, v57, vcc
	v_lshlrev_b64 v[58:59], 2, v[10:11]
	v_lshlrev_b64 v[54:55], 2, v[20:21]
	v_addc_co_u32_e64 v53, s[0:1], v14, v53, s[0:1]
	v_add_u32_e32 v10, 0x400, v8
	v_add_co_u32_e32 v58, vcc, v13, v58
	v_add_u32_e32 v26, 0x400, v9
	v_mov_b32_e32 v27, v11
	ds_read2st64_b32 v[32:33], v19 offset0:24 offset1:28
	v_add_co_u32_e64 v54, s[0:1], v13, v54
	v_addc_co_u32_e32 v59, vcc, v14, v59, vcc
	v_lshlrev_b64 v[60:61], 2, v[10:11]
	ds_read2st64_b32 v[38:39], v19 offset0:32 offset1:36
	ds_read2st64_b32 v[42:43], v19 offset0:40 offset1:44
	;; [unrolled: 1-line block ×4, first 2 shown]
	v_lshlrev_b64 v[26:27], 2, v[26:27]
	v_addc_co_u32_e64 v55, s[0:1], v14, v55, s[0:1]
	v_add_u32_e32 v10, 0x600, v8
	s_waitcnt lgkmcnt(7)
	global_store_dword v[52:53], v22, off
	global_store_dword v[56:57], v23, off
	s_waitcnt lgkmcnt(6)
	global_store_dword v[58:59], v24, off
	global_store_dword v[54:55], v25, off
	v_add_co_u32_e32 v22, vcc, v13, v60
	v_add_u32_e32 v30, 0x600, v9
	v_mov_b32_e32 v31, v11
	v_add_co_u32_e64 v26, s[0:1], v13, v26
	v_addc_co_u32_e32 v23, vcc, v14, v61, vcc
	v_lshlrev_b64 v[24:25], 2, v[10:11]
	v_lshlrev_b64 v[30:31], 2, v[30:31]
	v_addc_co_u32_e64 v27, s[0:1], v14, v27, s[0:1]
	v_add_u32_e32 v10, 0x800, v8
	s_waitcnt lgkmcnt(5)
	global_store_dword v[22:23], v28, off
	global_store_dword v[26:27], v29, off
	v_add_co_u32_e32 v22, vcc, v13, v24
	v_add_u32_e32 v36, 0x800, v9
	v_mov_b32_e32 v37, v11
	v_add_co_u32_e64 v30, s[0:1], v13, v30
	v_addc_co_u32_e32 v23, vcc, v14, v25, vcc
	v_lshlrev_b64 v[24:25], 2, v[10:11]
	v_lshlrev_b64 v[36:37], 2, v[36:37]
	v_addc_co_u32_e64 v31, s[0:1], v14, v31, s[0:1]
	v_add_u32_e32 v10, 0xa00, v8
	;; [unrolled: 12-line block ×4, first 2 shown]
	s_waitcnt lgkmcnt(2)
	global_store_dword v[22:23], v42, off
	global_store_dword v[40:41], v43, off
	v_add_co_u32_e32 v22, vcc, v13, v24
	v_add_u32_e32 v48, 0xe00, v9
	v_mov_b32_e32 v49, v11
	v_add_co_u32_e64 v44, s[0:1], v13, v44
	v_addc_co_u32_e32 v23, vcc, v14, v25, vcc
	v_lshlrev_b64 v[24:25], 2, v[10:11]
	v_lshlrev_b64 v[48:49], 2, v[48:49]
	v_addc_co_u32_e64 v45, s[0:1], v14, v45, s[0:1]
	s_waitcnt lgkmcnt(1)
	global_store_dword v[22:23], v46, off
	global_store_dword v[44:45], v47, off
	v_add_co_u32_e32 v22, vcc, v13, v24
	v_add_u32_e32 v19, 0x4000, v19
	v_add_u32_e32 v9, 0x1000, v9
	v_mov_b32_e32 v20, s14
	v_add_co_u32_e64 v48, s[0:1], v13, v48
	v_add_u32_e32 v8, 0x1000, v8
	v_addc_co_u32_e32 v23, vcc, v14, v25, vcc
	v_addc_co_u32_e64 v49, s[0:1], v14, v49, s[0:1]
	s_waitcnt lgkmcnt(0)
	global_store_dword v[22:23], v50, off
	global_store_dword v[48:49], v51, off
	s_andn2_b64 exec, exec, s[12:13]
	s_cbranch_execnz .LBB604_204
; %bb.205:
	s_or_b64 exec, exec, s[12:13]
.LBB604_206:
	s_or_b64 exec, exec, s[10:11]
	v_and_b32_e32 v1, 7, v17
	v_cmp_ne_u32_e32 vcc, 0, v1
	s_and_saveexec_b64 s[10:11], vcc
	s_cbranch_execz .LBB604_209
; %bb.207:
	v_lshl_or_b32 v16, v20, 10, v16
	s_mov_b64 s[12:13], 0
	v_mov_b32_e32 v11, 0
.LBB604_208:                            ; =>This Inner Loop Header: Depth=1
	ds_read2st64_b32 v[18:19], v16 offset1:4
	v_mov_b32_e32 v10, v8
	v_add_u32_e32 v1, -1, v1
	v_lshlrev_b64 v[20:21], 2, v[10:11]
	v_mov_b32_e32 v10, v9
	v_cmp_eq_u32_e32 vcc, 0, v1
	v_add_co_u32_e64 v20, s[0:1], v13, v20
	v_lshlrev_b64 v[22:23], 2, v[10:11]
	v_add_u32_e32 v8, 0x200, v8
	v_add_u32_e32 v16, 0x800, v16
	;; [unrolled: 1-line block ×3, first 2 shown]
	v_addc_co_u32_e64 v21, s[0:1], v14, v21, s[0:1]
	s_or_b64 s[12:13], vcc, s[12:13]
	v_add_co_u32_e32 v22, vcc, v13, v22
	v_addc_co_u32_e32 v23, vcc, v14, v23, vcc
	s_waitcnt lgkmcnt(0)
	global_store_dword v[20:21], v18, off
	global_store_dword v[22:23], v19, off
	s_andn2_b64 exec, exec, s[12:13]
	s_cbranch_execnz .LBB604_208
.LBB604_209:
	s_or_b64 exec, exec, s[10:11]
	v_add_u32_e32 v1, 1, v15
	v_and_b32_e32 v9, 0x1fffffe, v1
	v_cmp_ne_u32_e32 vcc, v1, v9
	v_lshl_or_b32 v8, v9, 8, v0
	s_orn2_b64 s[0:1], vcc, exec
.LBB604_210:
	s_or_b64 exec, exec, s[8:9]
	s_andn2_b64 s[4:5], s[4:5], exec
	s_and_b64 s[0:1], s[0:1], exec
	s_or_b64 s[4:5], s[4:5], s[0:1]
.LBB604_211:
	s_or_b64 exec, exec, s[6:7]
	s_and_b64 exec, exec, s[4:5]
	s_cbranch_execz .LBB604_214
; %bb.212:
	v_lshlrev_b32_e32 v1, 2, v8
	s_mov_b64 s[0:1], 0
	v_mov_b32_e32 v9, 0
.LBB604_213:                            ; =>This Inner Loop Header: Depth=1
	v_lshlrev_b64 v[10:11], 2, v[8:9]
	ds_read_b32 v15, v1
	v_add_co_u32_e32 v10, vcc, v13, v10
	v_add_u32_e32 v8, 0x100, v8
	v_addc_co_u32_e32 v11, vcc, v14, v11, vcc
	v_cmp_ge_u32_e32 vcc, v8, v3
	v_add_u32_e32 v1, 0x400, v1
	s_or_b64 s[0:1], vcc, s[0:1]
	s_waitcnt lgkmcnt(0)
	global_store_dword v[10:11], v15, off
	s_andn2_b64 exec, exec, s[0:1]
	s_cbranch_execnz .LBB604_213
.LBB604_214:
	s_or_b64 exec, exec, s[2:3]
.LBB604_215:
	s_movk_i32 s0, 0xff
	v_cmp_eq_u32_e32 vcc, s0, v0
	s_and_b64 s[0:1], vcc, s[34:35]
	s_and_saveexec_b64 s[2:3], s[0:1]
	s_cbranch_execz .LBB604_218
; %bb.216:
	v_add_co_u32_e32 v0, vcc, v2, v4
	v_addc_co_u32_e64 v1, s[0:1], 0, 0, vcc
	v_add_co_u32_e32 v0, vcc, v0, v6
	v_mov_b32_e32 v3, 0
	v_addc_co_u32_e32 v1, vcc, v1, v7, vcc
	s_cmpk_lg_i32 s33, 0xf00
	global_store_dwordx2 v3, v[0:1], s[54:55]
	s_cbranch_scc1 .LBB604_218
; %bb.217:
	v_lshlrev_b64 v[0:1], 2, v[2:3]
	v_add_co_u32_e32 v0, vcc, v5, v0
	v_addc_co_u32_e32 v1, vcc, v12, v1, vcc
	global_store_dword v[0:1], v34, off offset:-4
.LBB604_218:
	s_endpgm
.LBB604_219:
                                        ; implicit-def: $sgpr4_sgpr5
                                        ; implicit-def: $vgpr80
                                        ; implicit-def: $vgpr23
                                        ; implicit-def: $vgpr22
                                        ; implicit-def: $vgpr25
                                        ; implicit-def: $vgpr24
                                        ; implicit-def: $vgpr27
                                        ; implicit-def: $vgpr26
                                        ; implicit-def: $vgpr29
                                        ; implicit-def: $vgpr28
                                        ; implicit-def: $vgpr31
                                        ; implicit-def: $vgpr30
                                        ; implicit-def: $vgpr33
                                        ; implicit-def: $vgpr32
                                        ; implicit-def: $vgpr35
	s_cbranch_execz .LBB604_109
.LBB604_220:
	v_mad_u32_u24 v22, v0, 15, 14
	v_mov_b32_e32 v23, 0
	s_waitcnt vmcnt(0) lgkmcnt(0)
	v_lshlrev_b32_e32 v4, 2, v0
	v_mul_u32_u24_e32 v2, 15, v0
	v_cmp_gt_u64_e32 vcc, s[2:3], v[22:23]
	v_mov_b32_e32 v80, 0
	ds_write_b32 v4, v1
	s_and_saveexec_b64 s[4:5], vcc
; %bb.221:
	s_mov_b32 s7, 0x66666667
	v_mul_hi_i32 v3, v9, s7
	v_lshrrev_b32_e32 v5, 31, v3
	v_ashrrev_i32_e32 v3, 2, v3
	v_add_u32_e32 v3, v3, v5
	v_mul_hi_i32 v5, v1, s7
	v_lshrrev_b32_e32 v6, 31, v5
	v_ashrrev_i32_e32 v5, 2, v5
	v_add_u32_e32 v5, v5, v6
	v_cmp_ne_u32_e32 vcc, v3, v5
	v_cndmask_b32_e64 v80, 0, 1, vcc
; %bb.222:
	s_or_b64 exec, exec, s[4:5]
	v_add_u32_e32 v22, 13, v2
	v_cmp_gt_u64_e32 vcc, s[2:3], v[22:23]
	s_and_saveexec_b64 s[4:5], vcc
; %bb.223:
	s_mov_b32 s7, 0x66666667
	v_mul_hi_i32 v3, v8, s7
	v_lshrrev_b32_e32 v5, 31, v3
	v_ashrrev_i32_e32 v3, 2, v3
	v_add_u32_e32 v3, v3, v5
	v_mul_hi_i32 v5, v9, s7
	v_lshrrev_b32_e32 v6, 31, v5
	v_ashrrev_i32_e32 v5, 2, v5
	v_add_u32_e32 v5, v5, v6
	v_cmp_ne_u32_e32 vcc, v3, v5
	v_cndmask_b32_e64 v23, 0, 1, vcc
; %bb.224:
	s_or_b64 exec, exec, s[4:5]
	v_add_u32_e32 v24, 12, v2
	v_mov_b32_e32 v25, 0
	v_cmp_gt_u64_e32 vcc, s[2:3], v[24:25]
	v_mov_b32_e32 v22, 0
	s_and_saveexec_b64 s[4:5], vcc
; %bb.225:
	s_mov_b32 s7, 0x66666667
	v_mul_hi_i32 v3, v11, s7
	v_lshrrev_b32_e32 v5, 31, v3
	v_ashrrev_i32_e32 v3, 2, v3
	v_add_u32_e32 v3, v3, v5
	v_mul_hi_i32 v5, v8, s7
	v_lshrrev_b32_e32 v6, 31, v5
	v_ashrrev_i32_e32 v5, 2, v5
	v_add_u32_e32 v5, v5, v6
	v_cmp_ne_u32_e32 vcc, v3, v5
	v_cndmask_b32_e64 v22, 0, 1, vcc
; %bb.226:
	s_or_b64 exec, exec, s[4:5]
	v_add_u32_e32 v24, 11, v2
	v_cmp_gt_u64_e32 vcc, s[2:3], v[24:25]
	s_and_saveexec_b64 s[4:5], vcc
; %bb.227:
	s_mov_b32 s7, 0x66666667
	v_mul_hi_i32 v3, v10, s7
	v_lshrrev_b32_e32 v5, 31, v3
	v_ashrrev_i32_e32 v3, 2, v3
	v_add_u32_e32 v3, v3, v5
	v_mul_hi_i32 v5, v11, s7
	v_lshrrev_b32_e32 v6, 31, v5
	v_ashrrev_i32_e32 v5, 2, v5
	v_add_u32_e32 v5, v5, v6
	v_cmp_ne_u32_e32 vcc, v3, v5
	v_cndmask_b32_e64 v25, 0, 1, vcc
; %bb.228:
	s_or_b64 exec, exec, s[4:5]
	v_add_u32_e32 v26, 10, v2
	v_mov_b32_e32 v27, 0
	v_cmp_gt_u64_e32 vcc, s[2:3], v[26:27]
	v_mov_b32_e32 v24, 0
	;; [unrolled: 36-line block ×6, first 2 shown]
	s_and_saveexec_b64 s[4:5], vcc
; %bb.245:
	s_mov_b32 s7, 0x66666667
	v_mul_hi_i32 v3, v21, s7
	v_lshrrev_b32_e32 v5, 31, v3
	v_ashrrev_i32_e32 v3, 2, v3
	v_add_u32_e32 v3, v3, v5
	v_mul_hi_i32 v5, v18, s7
	v_lshrrev_b32_e32 v6, 31, v5
	v_ashrrev_i32_e32 v5, 2, v5
	v_add_u32_e32 v5, v5, v6
	v_cmp_ne_u32_e32 vcc, v3, v5
	v_cndmask_b32_e64 v32, 0, 1, vcc
; %bb.246:
	s_or_b64 exec, exec, s[4:5]
	v_add_u32_e32 v34, 1, v2
	v_cmp_gt_u64_e32 vcc, s[2:3], v[34:35]
	s_and_saveexec_b64 s[4:5], vcc
; %bb.247:
	s_mov_b32 s7, 0x66666667
	v_mul_hi_i32 v3, v20, s7
	v_lshrrev_b32_e32 v5, 31, v3
	v_ashrrev_i32_e32 v3, 2, v3
	v_add_u32_e32 v3, v3, v5
	v_mul_hi_i32 v5, v21, s7
	v_lshrrev_b32_e32 v6, 31, v5
	v_ashrrev_i32_e32 v5, 2, v5
	v_add_u32_e32 v5, v5, v6
	v_cmp_ne_u32_e32 vcc, v3, v5
	v_cndmask_b32_e64 v35, 0, 1, vcc
; %bb.248:
	s_or_b64 exec, exec, s[4:5]
	v_cmp_ne_u32_e32 vcc, 0, v0
	s_waitcnt lgkmcnt(0)
	s_barrier
	s_waitcnt lgkmcnt(0)
                                        ; implicit-def: $sgpr4_sgpr5
	s_and_saveexec_b64 s[8:9], vcc
	s_cbranch_execz .LBB604_252
; %bb.249:
	v_mov_b32_e32 v3, 0
	v_cmp_gt_u64_e32 vcc, s[2:3], v[2:3]
	s_mov_b64 s[4:5], 0
	s_and_saveexec_b64 s[2:3], vcc
	s_cbranch_execz .LBB604_251
; %bb.250:
	v_add_u32_e32 v2, -4, v4
	ds_read_b32 v2, v2
	s_mov_b32 s4, 0x66666667
	v_mul_hi_i32 v3, v20, s4
	v_lshrrev_b32_e32 v4, 31, v3
	v_ashrrev_i32_e32 v3, 2, v3
	s_waitcnt lgkmcnt(0)
	v_mul_hi_i32 v2, v2, s4
	v_lshrrev_b32_e32 v5, 31, v2
	v_ashrrev_i32_e32 v2, 2, v2
	v_add_u32_e32 v2, v2, v5
	v_add_u32_e32 v3, v3, v4
	v_cmp_ne_u32_e32 vcc, v2, v3
	s_and_b64 s[4:5], vcc, exec
.LBB604_251:
	s_or_b64 exec, exec, s[2:3]
	s_and_b64 s[4:5], s[4:5], exec
	s_or_b64 s[0:1], s[0:1], exec
.LBB604_252:
	s_or_b64 exec, exec, s[8:9]
	s_mov_b32 s10, 1
	v_mov_b32_e32 v82, s10
	s_and_saveexec_b64 s[2:3], s[0:1]
	s_cbranch_execnz .LBB604_111
	s_branch .LBB604_112
.LBB604_253:
	s_and_saveexec_b64 s[40:41], s[28:29]
	s_cbranch_execnz .LBB604_321
; %bb.254:
	s_or_b64 exec, exec, s[40:41]
	s_and_saveexec_b64 s[40:41], s[26:27]
	s_cbranch_execnz .LBB604_322
.LBB604_255:
	s_or_b64 exec, exec, s[40:41]
	s_and_saveexec_b64 s[40:41], s[24:25]
	s_cbranch_execnz .LBB604_323
.LBB604_256:
	s_or_b64 exec, exec, s[40:41]
	s_and_saveexec_b64 s[40:41], s[22:23]
	s_cbranch_execnz .LBB604_324
.LBB604_257:
	s_or_b64 exec, exec, s[40:41]
	s_and_saveexec_b64 s[40:41], s[20:21]
	s_cbranch_execnz .LBB604_325
.LBB604_258:
	s_or_b64 exec, exec, s[40:41]
	s_and_saveexec_b64 s[40:41], s[18:19]
	s_cbranch_execnz .LBB604_326
.LBB604_259:
	s_or_b64 exec, exec, s[40:41]
	s_and_saveexec_b64 s[40:41], s[16:17]
	s_cbranch_execnz .LBB604_327
.LBB604_260:
	s_or_b64 exec, exec, s[40:41]
	s_and_saveexec_b64 s[40:41], s[14:15]
	s_cbranch_execnz .LBB604_328
.LBB604_261:
	s_or_b64 exec, exec, s[40:41]
	s_and_saveexec_b64 s[40:41], s[12:13]
	s_cbranch_execnz .LBB604_329
.LBB604_262:
	s_or_b64 exec, exec, s[40:41]
	s_and_saveexec_b64 s[40:41], s[10:11]
	s_cbranch_execnz .LBB604_330
.LBB604_263:
	s_or_b64 exec, exec, s[40:41]
	s_and_saveexec_b64 s[40:41], s[8:9]
	s_cbranch_execnz .LBB604_331
.LBB604_264:
	s_or_b64 exec, exec, s[40:41]
	s_and_saveexec_b64 s[40:41], s[6:7]
	s_cbranch_execnz .LBB604_332
.LBB604_265:
	s_or_b64 exec, exec, s[40:41]
	s_and_saveexec_b64 s[40:41], s[4:5]
	s_cbranch_execnz .LBB604_333
.LBB604_266:
	s_or_b64 exec, exec, s[40:41]
	s_and_saveexec_b64 s[40:41], s[2:3]
	s_cbranch_execz .LBB604_268
.LBB604_267:
	v_sub_u32_e32 v42, v52, v4
	v_mov_b32_e32 v43, 0
	v_lshlrev_b64 v[42:43], 2, v[42:43]
	v_add_co_u32_e32 v42, vcc, v3, v42
	v_addc_co_u32_e32 v43, vcc, v5, v43, vcc
	global_store_dword v[42:43], v9, off
.LBB604_268:
	s_or_b64 exec, exec, s[40:41]
	s_and_b64 s[40:41], s[0:1], exec
	s_andn2_saveexec_b64 s[30:31], s[30:31]
	s_cbranch_execz .LBB604_161
.LBB604_269:
	v_sub_u32_e32 v42, v78, v4
	v_mov_b32_e32 v43, 0
	v_lshlrev_b64 v[44:45], 2, v[42:43]
	v_add_co_u32_e32 v44, vcc, v3, v44
	v_addc_co_u32_e32 v45, vcc, v5, v45, vcc
	v_sub_u32_e32 v42, v76, v4
	global_store_dword v[44:45], v20, off
	v_lshlrev_b64 v[44:45], 2, v[42:43]
	v_add_co_u32_e32 v44, vcc, v3, v44
	v_addc_co_u32_e32 v45, vcc, v5, v45, vcc
	v_sub_u32_e32 v42, v74, v4
	global_store_dword v[44:45], v21, off
	;; [unrolled: 5-line block ×12, first 2 shown]
	v_lshlrev_b64 v[44:45], 2, v[42:43]
	v_add_co_u32_e32 v44, vcc, v3, v44
	v_sub_u32_e32 v42, v52, v4
	v_addc_co_u32_e32 v45, vcc, v5, v45, vcc
	v_lshlrev_b64 v[42:43], 2, v[42:43]
	v_add_co_u32_e32 v42, vcc, v3, v42
	v_addc_co_u32_e32 v43, vcc, v5, v43, vcc
	s_or_b64 s[40:41], s[40:41], exec
	global_store_dword v[44:45], v8, off
	global_store_dword v[42:43], v9, off
	s_or_b64 exec, exec, s[30:31]
	s_and_b64 exec, exec, s[40:41]
	s_cbranch_execnz .LBB604_162
	s_branch .LBB604_163
.LBB604_270:
	s_and_saveexec_b64 s[40:41], s[28:29]
	s_cbranch_execnz .LBB604_334
; %bb.271:
	s_or_b64 exec, exec, s[40:41]
	s_and_saveexec_b64 s[28:29], s[26:27]
	s_cbranch_execnz .LBB604_335
.LBB604_272:
	s_or_b64 exec, exec, s[28:29]
	s_and_saveexec_b64 s[26:27], s[24:25]
	s_cbranch_execnz .LBB604_336
.LBB604_273:
	s_or_b64 exec, exec, s[26:27]
	s_and_saveexec_b64 s[24:25], s[22:23]
	s_cbranch_execnz .LBB604_337
.LBB604_274:
	s_or_b64 exec, exec, s[24:25]
	s_and_saveexec_b64 s[22:23], s[20:21]
	s_cbranch_execnz .LBB604_338
.LBB604_275:
	s_or_b64 exec, exec, s[22:23]
	s_and_saveexec_b64 s[20:21], s[18:19]
	s_cbranch_execnz .LBB604_339
.LBB604_276:
	s_or_b64 exec, exec, s[20:21]
	s_and_saveexec_b64 s[18:19], s[16:17]
	s_cbranch_execnz .LBB604_340
.LBB604_277:
	s_or_b64 exec, exec, s[18:19]
	s_and_saveexec_b64 s[16:17], s[14:15]
	s_cbranch_execnz .LBB604_341
.LBB604_278:
	s_or_b64 exec, exec, s[16:17]
	s_and_saveexec_b64 s[14:15], s[12:13]
	s_cbranch_execnz .LBB604_342
.LBB604_279:
	s_or_b64 exec, exec, s[14:15]
	s_and_saveexec_b64 s[12:13], s[10:11]
	s_cbranch_execnz .LBB604_343
.LBB604_280:
	s_or_b64 exec, exec, s[12:13]
	s_and_saveexec_b64 s[10:11], s[8:9]
	s_cbranch_execnz .LBB604_344
.LBB604_281:
	s_or_b64 exec, exec, s[10:11]
	s_and_saveexec_b64 s[8:9], s[6:7]
	s_cbranch_execnz .LBB604_345
.LBB604_282:
	s_or_b64 exec, exec, s[8:9]
	s_and_saveexec_b64 s[6:7], s[4:5]
	s_cbranch_execnz .LBB604_346
.LBB604_283:
	s_or_b64 exec, exec, s[6:7]
	s_and_saveexec_b64 s[4:5], s[2:3]
	s_cbranch_execz .LBB604_285
.LBB604_284:
	v_sub_u32_e32 v8, v52, v4
	v_lshlrev_b32_e32 v8, 2, v8
	ds_write_b32 v8, v9
.LBB604_285:
	s_or_b64 exec, exec, s[4:5]
	s_and_b64 s[40:41], s[0:1], exec
                                        ; implicit-def: $vgpr20_vgpr21
                                        ; implicit-def: $vgpr18_vgpr19
                                        ; implicit-def: $vgpr16_vgpr17
                                        ; implicit-def: $vgpr14_vgpr15
                                        ; implicit-def: $vgpr12_vgpr13
                                        ; implicit-def: $vgpr10_vgpr11
                                        ; implicit-def: $vgpr8_vgpr9
	s_andn2_saveexec_b64 s[0:1], s[38:39]
	s_cbranch_execz .LBB604_168
.LBB604_286:
	v_sub_u32_e32 v40, v78, v4
	v_lshlrev_b32_e32 v40, 2, v40
	ds_write_b32 v40, v20
	v_sub_u32_e32 v20, v76, v4
	v_lshlrev_b32_e32 v20, 2, v20
	ds_write_b32 v20, v21
	;; [unrolled: 3-line block ×13, first 2 shown]
	v_sub_u32_e32 v8, v52, v4
	v_lshlrev_b32_e32 v8, 2, v8
	s_or_b64 s[40:41], s[40:41], exec
	ds_write_b32 v8, v9
	s_or_b64 exec, exec, s[0:1]
	s_and_b64 exec, exec, s[40:41]
	s_cbranch_execnz .LBB604_169
	s_branch .LBB604_170
.LBB604_287:
	s_and_saveexec_b64 s[38:39], s[28:29]
	s_cbranch_execnz .LBB604_347
; %bb.288:
	s_or_b64 exec, exec, s[38:39]
	s_and_saveexec_b64 s[38:39], s[26:27]
	s_cbranch_execnz .LBB604_348
.LBB604_289:
	s_or_b64 exec, exec, s[38:39]
	s_and_saveexec_b64 s[38:39], s[24:25]
	s_cbranch_execnz .LBB604_349
.LBB604_290:
	s_or_b64 exec, exec, s[38:39]
	s_and_saveexec_b64 s[38:39], s[22:23]
	s_cbranch_execnz .LBB604_350
.LBB604_291:
	s_or_b64 exec, exec, s[38:39]
	s_and_saveexec_b64 s[38:39], s[20:21]
	s_cbranch_execnz .LBB604_351
.LBB604_292:
	s_or_b64 exec, exec, s[38:39]
	s_and_saveexec_b64 s[38:39], s[18:19]
	s_cbranch_execnz .LBB604_352
.LBB604_293:
	s_or_b64 exec, exec, s[38:39]
	s_and_saveexec_b64 s[38:39], s[16:17]
	s_cbranch_execnz .LBB604_353
.LBB604_294:
	s_or_b64 exec, exec, s[38:39]
	s_and_saveexec_b64 s[38:39], s[14:15]
	s_cbranch_execnz .LBB604_354
.LBB604_295:
	s_or_b64 exec, exec, s[38:39]
	s_and_saveexec_b64 s[38:39], s[12:13]
	s_cbranch_execnz .LBB604_355
.LBB604_296:
	s_or_b64 exec, exec, s[38:39]
	s_and_saveexec_b64 s[38:39], s[10:11]
	s_cbranch_execnz .LBB604_356
.LBB604_297:
	s_or_b64 exec, exec, s[38:39]
	s_and_saveexec_b64 s[38:39], s[8:9]
	s_cbranch_execnz .LBB604_357
.LBB604_298:
	s_or_b64 exec, exec, s[38:39]
	s_and_saveexec_b64 s[38:39], s[6:7]
	s_cbranch_execnz .LBB604_358
.LBB604_299:
	s_or_b64 exec, exec, s[38:39]
	s_and_saveexec_b64 s[38:39], s[4:5]
	s_cbranch_execnz .LBB604_359
.LBB604_300:
	s_or_b64 exec, exec, s[38:39]
	s_and_saveexec_b64 s[38:39], s[2:3]
	s_cbranch_execz .LBB604_302
.LBB604_301:
	v_sub_u32_e32 v16, v52, v9
	v_mov_b32_e32 v17, 0
	v_lshlrev_b64 v[16:17], 2, v[16:17]
	v_add_co_u32_e32 v16, vcc, v13, v16
	v_addc_co_u32_e32 v17, vcc, v14, v17, vcc
	global_store_dword v[16:17], v53, off
.LBB604_302:
	s_or_b64 exec, exec, s[38:39]
	s_and_b64 s[38:39], s[0:1], exec
	s_andn2_saveexec_b64 s[30:31], s[30:31]
	s_cbranch_execz .LBB604_190
.LBB604_303:
	v_sub_u32_e32 v16, v78, v9
	v_mov_b32_e32 v17, 0
	v_lshlrev_b64 v[18:19], 2, v[16:17]
	v_add_co_u32_e32 v18, vcc, v13, v18
	v_addc_co_u32_e32 v19, vcc, v14, v19, vcc
	v_sub_u32_e32 v16, v76, v9
	global_store_dword v[18:19], v79, off
	v_lshlrev_b64 v[18:19], 2, v[16:17]
	v_add_co_u32_e32 v18, vcc, v13, v18
	v_addc_co_u32_e32 v19, vcc, v14, v19, vcc
	v_sub_u32_e32 v16, v74, v9
	global_store_dword v[18:19], v77, off
	;; [unrolled: 5-line block ×12, first 2 shown]
	v_lshlrev_b64 v[18:19], 2, v[16:17]
	v_add_co_u32_e32 v18, vcc, v13, v18
	v_sub_u32_e32 v16, v52, v9
	v_addc_co_u32_e32 v19, vcc, v14, v19, vcc
	v_lshlrev_b64 v[16:17], 2, v[16:17]
	v_add_co_u32_e32 v16, vcc, v13, v16
	v_addc_co_u32_e32 v17, vcc, v14, v17, vcc
	s_or_b64 s[38:39], s[38:39], exec
	global_store_dword v[18:19], v55, off
	global_store_dword v[16:17], v53, off
	s_or_b64 exec, exec, s[30:31]
	s_and_b64 exec, exec, s[38:39]
	s_cbranch_execnz .LBB604_191
	s_branch .LBB604_192
.LBB604_304:
	s_and_saveexec_b64 s[38:39], s[28:29]
	s_cbranch_execnz .LBB604_360
; %bb.305:
	s_or_b64 exec, exec, s[38:39]
	s_and_saveexec_b64 s[28:29], s[26:27]
	s_cbranch_execnz .LBB604_361
.LBB604_306:
	s_or_b64 exec, exec, s[28:29]
	s_and_saveexec_b64 s[26:27], s[24:25]
	s_cbranch_execnz .LBB604_362
.LBB604_307:
	s_or_b64 exec, exec, s[26:27]
	s_and_saveexec_b64 s[24:25], s[22:23]
	s_cbranch_execnz .LBB604_363
.LBB604_308:
	s_or_b64 exec, exec, s[24:25]
	s_and_saveexec_b64 s[22:23], s[20:21]
	s_cbranch_execnz .LBB604_364
.LBB604_309:
	s_or_b64 exec, exec, s[22:23]
	s_and_saveexec_b64 s[20:21], s[18:19]
	s_cbranch_execnz .LBB604_365
.LBB604_310:
	s_or_b64 exec, exec, s[20:21]
	s_and_saveexec_b64 s[18:19], s[16:17]
	s_cbranch_execnz .LBB604_366
.LBB604_311:
	s_or_b64 exec, exec, s[18:19]
	s_and_saveexec_b64 s[16:17], s[14:15]
	s_cbranch_execnz .LBB604_367
.LBB604_312:
	s_or_b64 exec, exec, s[16:17]
	s_and_saveexec_b64 s[14:15], s[12:13]
	s_cbranch_execnz .LBB604_368
.LBB604_313:
	s_or_b64 exec, exec, s[14:15]
	s_and_saveexec_b64 s[12:13], s[10:11]
	s_cbranch_execnz .LBB604_369
.LBB604_314:
	s_or_b64 exec, exec, s[12:13]
	s_and_saveexec_b64 s[10:11], s[8:9]
	s_cbranch_execnz .LBB604_370
.LBB604_315:
	s_or_b64 exec, exec, s[10:11]
	s_and_saveexec_b64 s[8:9], s[6:7]
	s_cbranch_execnz .LBB604_371
.LBB604_316:
	s_or_b64 exec, exec, s[8:9]
	s_and_saveexec_b64 s[6:7], s[4:5]
	s_cbranch_execnz .LBB604_372
.LBB604_317:
	s_or_b64 exec, exec, s[6:7]
	s_and_saveexec_b64 s[4:5], s[2:3]
	s_cbranch_execz .LBB604_319
.LBB604_318:
	v_sub_u32_e32 v10, v52, v9
	v_lshlrev_b32_e32 v10, 2, v10
	ds_write_b32 v10, v53
.LBB604_319:
	s_or_b64 exec, exec, s[4:5]
	s_and_b64 s[38:39], s[0:1], exec
                                        ; implicit-def: $vgpr78_vgpr79
                                        ; implicit-def: $vgpr76_vgpr77
                                        ; implicit-def: $vgpr74_vgpr75
                                        ; implicit-def: $vgpr72_vgpr73
                                        ; implicit-def: $vgpr70_vgpr71
                                        ; implicit-def: $vgpr68_vgpr69
                                        ; implicit-def: $vgpr66_vgpr67
                                        ; implicit-def: $vgpr64_vgpr65
                                        ; implicit-def: $vgpr62_vgpr63
                                        ; implicit-def: $vgpr60_vgpr61
                                        ; implicit-def: $vgpr58_vgpr59
                                        ; implicit-def: $vgpr56_vgpr57
                                        ; implicit-def: $vgpr54_vgpr55
                                        ; implicit-def: $vgpr52_vgpr53
	s_andn2_saveexec_b64 s[0:1], s[36:37]
	s_cbranch_execz .LBB604_197
.LBB604_320:
	v_sub_u32_e32 v10, v78, v9
	v_lshlrev_b32_e32 v10, 2, v10
	ds_write_b32 v10, v79
	v_sub_u32_e32 v10, v76, v9
	v_lshlrev_b32_e32 v10, 2, v10
	ds_write_b32 v10, v77
	;; [unrolled: 3-line block ×13, first 2 shown]
	v_sub_u32_e32 v10, v52, v9
	v_lshlrev_b32_e32 v10, 2, v10
	s_or_b64 s[38:39], s[38:39], exec
	ds_write_b32 v10, v53
	s_or_b64 exec, exec, s[0:1]
	s_and_b64 exec, exec, s[38:39]
	s_cbranch_execnz .LBB604_198
	s_branch .LBB604_199
.LBB604_321:
	v_sub_u32_e32 v42, v78, v4
	v_mov_b32_e32 v43, 0
	v_lshlrev_b64 v[42:43], 2, v[42:43]
	v_add_co_u32_e32 v42, vcc, v3, v42
	v_addc_co_u32_e32 v43, vcc, v5, v43, vcc
	global_store_dword v[42:43], v20, off
	s_or_b64 exec, exec, s[40:41]
	s_and_saveexec_b64 s[40:41], s[26:27]
	s_cbranch_execz .LBB604_255
.LBB604_322:
	v_sub_u32_e32 v42, v76, v4
	v_mov_b32_e32 v43, 0
	v_lshlrev_b64 v[42:43], 2, v[42:43]
	v_add_co_u32_e32 v42, vcc, v3, v42
	v_addc_co_u32_e32 v43, vcc, v5, v43, vcc
	global_store_dword v[42:43], v21, off
	s_or_b64 exec, exec, s[40:41]
	s_and_saveexec_b64 s[40:41], s[24:25]
	s_cbranch_execz .LBB604_256
.LBB604_323:
	v_sub_u32_e32 v42, v74, v4
	v_mov_b32_e32 v43, 0
	v_lshlrev_b64 v[42:43], 2, v[42:43]
	v_add_co_u32_e32 v42, vcc, v3, v42
	v_addc_co_u32_e32 v43, vcc, v5, v43, vcc
	global_store_dword v[42:43], v18, off
	s_or_b64 exec, exec, s[40:41]
	s_and_saveexec_b64 s[40:41], s[22:23]
	s_cbranch_execz .LBB604_257
.LBB604_324:
	v_sub_u32_e32 v42, v72, v4
	v_mov_b32_e32 v43, 0
	v_lshlrev_b64 v[42:43], 2, v[42:43]
	v_add_co_u32_e32 v42, vcc, v3, v42
	v_addc_co_u32_e32 v43, vcc, v5, v43, vcc
	global_store_dword v[42:43], v19, off
	s_or_b64 exec, exec, s[40:41]
	s_and_saveexec_b64 s[40:41], s[20:21]
	s_cbranch_execz .LBB604_258
.LBB604_325:
	v_sub_u32_e32 v42, v70, v4
	v_mov_b32_e32 v43, 0
	v_lshlrev_b64 v[42:43], 2, v[42:43]
	v_add_co_u32_e32 v42, vcc, v3, v42
	v_addc_co_u32_e32 v43, vcc, v5, v43, vcc
	global_store_dword v[42:43], v16, off
	s_or_b64 exec, exec, s[40:41]
	s_and_saveexec_b64 s[40:41], s[18:19]
	s_cbranch_execz .LBB604_259
.LBB604_326:
	v_sub_u32_e32 v42, v68, v4
	v_mov_b32_e32 v43, 0
	v_lshlrev_b64 v[42:43], 2, v[42:43]
	v_add_co_u32_e32 v42, vcc, v3, v42
	v_addc_co_u32_e32 v43, vcc, v5, v43, vcc
	global_store_dword v[42:43], v17, off
	s_or_b64 exec, exec, s[40:41]
	s_and_saveexec_b64 s[40:41], s[16:17]
	s_cbranch_execz .LBB604_260
.LBB604_327:
	v_sub_u32_e32 v42, v66, v4
	v_mov_b32_e32 v43, 0
	v_lshlrev_b64 v[42:43], 2, v[42:43]
	v_add_co_u32_e32 v42, vcc, v3, v42
	v_addc_co_u32_e32 v43, vcc, v5, v43, vcc
	global_store_dword v[42:43], v14, off
	s_or_b64 exec, exec, s[40:41]
	s_and_saveexec_b64 s[40:41], s[14:15]
	s_cbranch_execz .LBB604_261
.LBB604_328:
	v_sub_u32_e32 v42, v64, v4
	v_mov_b32_e32 v43, 0
	v_lshlrev_b64 v[42:43], 2, v[42:43]
	v_add_co_u32_e32 v42, vcc, v3, v42
	v_addc_co_u32_e32 v43, vcc, v5, v43, vcc
	global_store_dword v[42:43], v15, off
	s_or_b64 exec, exec, s[40:41]
	s_and_saveexec_b64 s[40:41], s[12:13]
	s_cbranch_execz .LBB604_262
.LBB604_329:
	v_sub_u32_e32 v42, v62, v4
	v_mov_b32_e32 v43, 0
	v_lshlrev_b64 v[42:43], 2, v[42:43]
	v_add_co_u32_e32 v42, vcc, v3, v42
	v_addc_co_u32_e32 v43, vcc, v5, v43, vcc
	global_store_dword v[42:43], v12, off
	s_or_b64 exec, exec, s[40:41]
	s_and_saveexec_b64 s[40:41], s[10:11]
	s_cbranch_execz .LBB604_263
.LBB604_330:
	v_sub_u32_e32 v42, v60, v4
	v_mov_b32_e32 v43, 0
	v_lshlrev_b64 v[42:43], 2, v[42:43]
	v_add_co_u32_e32 v42, vcc, v3, v42
	v_addc_co_u32_e32 v43, vcc, v5, v43, vcc
	global_store_dword v[42:43], v13, off
	s_or_b64 exec, exec, s[40:41]
	s_and_saveexec_b64 s[40:41], s[8:9]
	s_cbranch_execz .LBB604_264
.LBB604_331:
	v_sub_u32_e32 v42, v58, v4
	v_mov_b32_e32 v43, 0
	v_lshlrev_b64 v[42:43], 2, v[42:43]
	v_add_co_u32_e32 v42, vcc, v3, v42
	v_addc_co_u32_e32 v43, vcc, v5, v43, vcc
	global_store_dword v[42:43], v10, off
	s_or_b64 exec, exec, s[40:41]
	s_and_saveexec_b64 s[40:41], s[6:7]
	s_cbranch_execz .LBB604_265
.LBB604_332:
	v_sub_u32_e32 v42, v56, v4
	v_mov_b32_e32 v43, 0
	v_lshlrev_b64 v[42:43], 2, v[42:43]
	v_add_co_u32_e32 v42, vcc, v3, v42
	v_addc_co_u32_e32 v43, vcc, v5, v43, vcc
	global_store_dword v[42:43], v11, off
	s_or_b64 exec, exec, s[40:41]
	s_and_saveexec_b64 s[40:41], s[4:5]
	s_cbranch_execz .LBB604_266
.LBB604_333:
	v_sub_u32_e32 v42, v54, v4
	v_mov_b32_e32 v43, 0
	v_lshlrev_b64 v[42:43], 2, v[42:43]
	v_add_co_u32_e32 v42, vcc, v3, v42
	v_addc_co_u32_e32 v43, vcc, v5, v43, vcc
	global_store_dword v[42:43], v8, off
	s_or_b64 exec, exec, s[40:41]
	s_and_saveexec_b64 s[40:41], s[2:3]
	s_cbranch_execnz .LBB604_267
	s_branch .LBB604_268
.LBB604_334:
	v_sub_u32_e32 v40, v78, v4
	v_lshlrev_b32_e32 v40, 2, v40
	ds_write_b32 v40, v20
	s_or_b64 exec, exec, s[40:41]
	s_and_saveexec_b64 s[28:29], s[26:27]
	s_cbranch_execz .LBB604_272
.LBB604_335:
	v_sub_u32_e32 v20, v76, v4
	v_lshlrev_b32_e32 v20, 2, v20
	ds_write_b32 v20, v21
	s_or_b64 exec, exec, s[28:29]
	s_and_saveexec_b64 s[26:27], s[24:25]
	s_cbranch_execz .LBB604_273
.LBB604_336:
	v_sub_u32_e32 v20, v74, v4
	v_lshlrev_b32_e32 v20, 2, v20
	ds_write_b32 v20, v18
	s_or_b64 exec, exec, s[26:27]
	s_and_saveexec_b64 s[24:25], s[22:23]
	s_cbranch_execz .LBB604_274
.LBB604_337:
	v_sub_u32_e32 v18, v72, v4
	v_lshlrev_b32_e32 v18, 2, v18
	ds_write_b32 v18, v19
	s_or_b64 exec, exec, s[24:25]
	s_and_saveexec_b64 s[22:23], s[20:21]
	s_cbranch_execz .LBB604_275
.LBB604_338:
	v_sub_u32_e32 v18, v70, v4
	v_lshlrev_b32_e32 v18, 2, v18
	ds_write_b32 v18, v16
	s_or_b64 exec, exec, s[22:23]
	s_and_saveexec_b64 s[20:21], s[18:19]
	s_cbranch_execz .LBB604_276
.LBB604_339:
	v_sub_u32_e32 v16, v68, v4
	v_lshlrev_b32_e32 v16, 2, v16
	ds_write_b32 v16, v17
	s_or_b64 exec, exec, s[20:21]
	s_and_saveexec_b64 s[18:19], s[16:17]
	s_cbranch_execz .LBB604_277
.LBB604_340:
	v_sub_u32_e32 v16, v66, v4
	v_lshlrev_b32_e32 v16, 2, v16
	ds_write_b32 v16, v14
	s_or_b64 exec, exec, s[18:19]
	s_and_saveexec_b64 s[16:17], s[14:15]
	s_cbranch_execz .LBB604_278
.LBB604_341:
	v_sub_u32_e32 v14, v64, v4
	v_lshlrev_b32_e32 v14, 2, v14
	ds_write_b32 v14, v15
	s_or_b64 exec, exec, s[16:17]
	s_and_saveexec_b64 s[14:15], s[12:13]
	s_cbranch_execz .LBB604_279
.LBB604_342:
	v_sub_u32_e32 v14, v62, v4
	v_lshlrev_b32_e32 v14, 2, v14
	ds_write_b32 v14, v12
	s_or_b64 exec, exec, s[14:15]
	s_and_saveexec_b64 s[12:13], s[10:11]
	s_cbranch_execz .LBB604_280
.LBB604_343:
	v_sub_u32_e32 v12, v60, v4
	v_lshlrev_b32_e32 v12, 2, v12
	ds_write_b32 v12, v13
	s_or_b64 exec, exec, s[12:13]
	s_and_saveexec_b64 s[10:11], s[8:9]
	s_cbranch_execz .LBB604_281
.LBB604_344:
	v_sub_u32_e32 v12, v58, v4
	v_lshlrev_b32_e32 v12, 2, v12
	ds_write_b32 v12, v10
	s_or_b64 exec, exec, s[10:11]
	s_and_saveexec_b64 s[8:9], s[6:7]
	s_cbranch_execz .LBB604_282
.LBB604_345:
	v_sub_u32_e32 v10, v56, v4
	v_lshlrev_b32_e32 v10, 2, v10
	ds_write_b32 v10, v11
	s_or_b64 exec, exec, s[8:9]
	s_and_saveexec_b64 s[6:7], s[4:5]
	s_cbranch_execz .LBB604_283
.LBB604_346:
	v_sub_u32_e32 v10, v54, v4
	v_lshlrev_b32_e32 v10, 2, v10
	ds_write_b32 v10, v8
	s_or_b64 exec, exec, s[6:7]
	s_and_saveexec_b64 s[4:5], s[2:3]
	s_cbranch_execnz .LBB604_284
	s_branch .LBB604_285
.LBB604_347:
	v_sub_u32_e32 v16, v78, v9
	v_mov_b32_e32 v17, 0
	v_lshlrev_b64 v[16:17], 2, v[16:17]
	v_add_co_u32_e32 v16, vcc, v13, v16
	v_addc_co_u32_e32 v17, vcc, v14, v17, vcc
	global_store_dword v[16:17], v79, off
	s_or_b64 exec, exec, s[38:39]
	s_and_saveexec_b64 s[38:39], s[26:27]
	s_cbranch_execz .LBB604_289
.LBB604_348:
	v_sub_u32_e32 v16, v76, v9
	v_mov_b32_e32 v17, 0
	v_lshlrev_b64 v[16:17], 2, v[16:17]
	v_add_co_u32_e32 v16, vcc, v13, v16
	v_addc_co_u32_e32 v17, vcc, v14, v17, vcc
	global_store_dword v[16:17], v77, off
	s_or_b64 exec, exec, s[38:39]
	s_and_saveexec_b64 s[38:39], s[24:25]
	s_cbranch_execz .LBB604_290
.LBB604_349:
	v_sub_u32_e32 v16, v74, v9
	v_mov_b32_e32 v17, 0
	v_lshlrev_b64 v[16:17], 2, v[16:17]
	v_add_co_u32_e32 v16, vcc, v13, v16
	v_addc_co_u32_e32 v17, vcc, v14, v17, vcc
	global_store_dword v[16:17], v75, off
	s_or_b64 exec, exec, s[38:39]
	s_and_saveexec_b64 s[38:39], s[22:23]
	s_cbranch_execz .LBB604_291
.LBB604_350:
	v_sub_u32_e32 v16, v72, v9
	v_mov_b32_e32 v17, 0
	v_lshlrev_b64 v[16:17], 2, v[16:17]
	v_add_co_u32_e32 v16, vcc, v13, v16
	v_addc_co_u32_e32 v17, vcc, v14, v17, vcc
	global_store_dword v[16:17], v73, off
	s_or_b64 exec, exec, s[38:39]
	s_and_saveexec_b64 s[38:39], s[20:21]
	s_cbranch_execz .LBB604_292
.LBB604_351:
	v_sub_u32_e32 v16, v70, v9
	v_mov_b32_e32 v17, 0
	v_lshlrev_b64 v[16:17], 2, v[16:17]
	v_add_co_u32_e32 v16, vcc, v13, v16
	v_addc_co_u32_e32 v17, vcc, v14, v17, vcc
	global_store_dword v[16:17], v71, off
	s_or_b64 exec, exec, s[38:39]
	s_and_saveexec_b64 s[38:39], s[18:19]
	s_cbranch_execz .LBB604_293
.LBB604_352:
	v_sub_u32_e32 v16, v68, v9
	v_mov_b32_e32 v17, 0
	v_lshlrev_b64 v[16:17], 2, v[16:17]
	v_add_co_u32_e32 v16, vcc, v13, v16
	v_addc_co_u32_e32 v17, vcc, v14, v17, vcc
	global_store_dword v[16:17], v69, off
	s_or_b64 exec, exec, s[38:39]
	s_and_saveexec_b64 s[38:39], s[16:17]
	s_cbranch_execz .LBB604_294
.LBB604_353:
	v_sub_u32_e32 v16, v66, v9
	v_mov_b32_e32 v17, 0
	v_lshlrev_b64 v[16:17], 2, v[16:17]
	v_add_co_u32_e32 v16, vcc, v13, v16
	v_addc_co_u32_e32 v17, vcc, v14, v17, vcc
	global_store_dword v[16:17], v67, off
	s_or_b64 exec, exec, s[38:39]
	s_and_saveexec_b64 s[38:39], s[14:15]
	s_cbranch_execz .LBB604_295
.LBB604_354:
	v_sub_u32_e32 v16, v64, v9
	v_mov_b32_e32 v17, 0
	v_lshlrev_b64 v[16:17], 2, v[16:17]
	v_add_co_u32_e32 v16, vcc, v13, v16
	v_addc_co_u32_e32 v17, vcc, v14, v17, vcc
	global_store_dword v[16:17], v65, off
	s_or_b64 exec, exec, s[38:39]
	s_and_saveexec_b64 s[38:39], s[12:13]
	s_cbranch_execz .LBB604_296
.LBB604_355:
	v_sub_u32_e32 v16, v62, v9
	v_mov_b32_e32 v17, 0
	v_lshlrev_b64 v[16:17], 2, v[16:17]
	v_add_co_u32_e32 v16, vcc, v13, v16
	v_addc_co_u32_e32 v17, vcc, v14, v17, vcc
	global_store_dword v[16:17], v63, off
	s_or_b64 exec, exec, s[38:39]
	s_and_saveexec_b64 s[38:39], s[10:11]
	s_cbranch_execz .LBB604_297
.LBB604_356:
	v_sub_u32_e32 v16, v60, v9
	v_mov_b32_e32 v17, 0
	v_lshlrev_b64 v[16:17], 2, v[16:17]
	v_add_co_u32_e32 v16, vcc, v13, v16
	v_addc_co_u32_e32 v17, vcc, v14, v17, vcc
	global_store_dword v[16:17], v61, off
	s_or_b64 exec, exec, s[38:39]
	s_and_saveexec_b64 s[38:39], s[8:9]
	s_cbranch_execz .LBB604_298
.LBB604_357:
	v_sub_u32_e32 v16, v58, v9
	v_mov_b32_e32 v17, 0
	v_lshlrev_b64 v[16:17], 2, v[16:17]
	v_add_co_u32_e32 v16, vcc, v13, v16
	v_addc_co_u32_e32 v17, vcc, v14, v17, vcc
	global_store_dword v[16:17], v59, off
	s_or_b64 exec, exec, s[38:39]
	s_and_saveexec_b64 s[38:39], s[6:7]
	s_cbranch_execz .LBB604_299
.LBB604_358:
	v_sub_u32_e32 v16, v56, v9
	v_mov_b32_e32 v17, 0
	v_lshlrev_b64 v[16:17], 2, v[16:17]
	v_add_co_u32_e32 v16, vcc, v13, v16
	v_addc_co_u32_e32 v17, vcc, v14, v17, vcc
	global_store_dword v[16:17], v57, off
	s_or_b64 exec, exec, s[38:39]
	s_and_saveexec_b64 s[38:39], s[4:5]
	s_cbranch_execz .LBB604_300
.LBB604_359:
	v_sub_u32_e32 v16, v54, v9
	v_mov_b32_e32 v17, 0
	v_lshlrev_b64 v[16:17], 2, v[16:17]
	v_add_co_u32_e32 v16, vcc, v13, v16
	v_addc_co_u32_e32 v17, vcc, v14, v17, vcc
	global_store_dword v[16:17], v55, off
	s_or_b64 exec, exec, s[38:39]
	s_and_saveexec_b64 s[38:39], s[2:3]
	s_cbranch_execnz .LBB604_301
	s_branch .LBB604_302
.LBB604_360:
	v_sub_u32_e32 v10, v78, v9
	v_lshlrev_b32_e32 v10, 2, v10
	ds_write_b32 v10, v79
	s_or_b64 exec, exec, s[38:39]
	s_and_saveexec_b64 s[28:29], s[26:27]
	s_cbranch_execz .LBB604_306
.LBB604_361:
	v_sub_u32_e32 v10, v76, v9
	v_lshlrev_b32_e32 v10, 2, v10
	ds_write_b32 v10, v77
	s_or_b64 exec, exec, s[28:29]
	s_and_saveexec_b64 s[26:27], s[24:25]
	s_cbranch_execz .LBB604_307
.LBB604_362:
	v_sub_u32_e32 v10, v74, v9
	v_lshlrev_b32_e32 v10, 2, v10
	ds_write_b32 v10, v75
	s_or_b64 exec, exec, s[26:27]
	s_and_saveexec_b64 s[24:25], s[22:23]
	s_cbranch_execz .LBB604_308
.LBB604_363:
	v_sub_u32_e32 v10, v72, v9
	v_lshlrev_b32_e32 v10, 2, v10
	ds_write_b32 v10, v73
	s_or_b64 exec, exec, s[24:25]
	s_and_saveexec_b64 s[22:23], s[20:21]
	s_cbranch_execz .LBB604_309
.LBB604_364:
	v_sub_u32_e32 v10, v70, v9
	v_lshlrev_b32_e32 v10, 2, v10
	ds_write_b32 v10, v71
	s_or_b64 exec, exec, s[22:23]
	s_and_saveexec_b64 s[20:21], s[18:19]
	s_cbranch_execz .LBB604_310
.LBB604_365:
	v_sub_u32_e32 v10, v68, v9
	v_lshlrev_b32_e32 v10, 2, v10
	ds_write_b32 v10, v69
	s_or_b64 exec, exec, s[20:21]
	s_and_saveexec_b64 s[18:19], s[16:17]
	s_cbranch_execz .LBB604_311
.LBB604_366:
	v_sub_u32_e32 v10, v66, v9
	v_lshlrev_b32_e32 v10, 2, v10
	ds_write_b32 v10, v67
	s_or_b64 exec, exec, s[18:19]
	s_and_saveexec_b64 s[16:17], s[14:15]
	s_cbranch_execz .LBB604_312
.LBB604_367:
	v_sub_u32_e32 v10, v64, v9
	v_lshlrev_b32_e32 v10, 2, v10
	ds_write_b32 v10, v65
	s_or_b64 exec, exec, s[16:17]
	s_and_saveexec_b64 s[14:15], s[12:13]
	s_cbranch_execz .LBB604_313
.LBB604_368:
	v_sub_u32_e32 v10, v62, v9
	v_lshlrev_b32_e32 v10, 2, v10
	ds_write_b32 v10, v63
	s_or_b64 exec, exec, s[14:15]
	s_and_saveexec_b64 s[12:13], s[10:11]
	s_cbranch_execz .LBB604_314
.LBB604_369:
	v_sub_u32_e32 v10, v60, v9
	v_lshlrev_b32_e32 v10, 2, v10
	ds_write_b32 v10, v61
	s_or_b64 exec, exec, s[12:13]
	s_and_saveexec_b64 s[10:11], s[8:9]
	s_cbranch_execz .LBB604_315
.LBB604_370:
	v_sub_u32_e32 v10, v58, v9
	v_lshlrev_b32_e32 v10, 2, v10
	ds_write_b32 v10, v59
	s_or_b64 exec, exec, s[10:11]
	s_and_saveexec_b64 s[8:9], s[6:7]
	s_cbranch_execz .LBB604_316
.LBB604_371:
	v_sub_u32_e32 v10, v56, v9
	v_lshlrev_b32_e32 v10, 2, v10
	ds_write_b32 v10, v57
	s_or_b64 exec, exec, s[8:9]
	s_and_saveexec_b64 s[6:7], s[4:5]
	s_cbranch_execz .LBB604_317
.LBB604_372:
	v_sub_u32_e32 v10, v54, v9
	v_lshlrev_b32_e32 v10, 2, v10
	ds_write_b32 v10, v55
	s_or_b64 exec, exec, s[6:7]
	s_and_saveexec_b64 s[4:5], s[2:3]
	s_cbranch_execnz .LBB604_318
	s_branch .LBB604_319
	.section	.rodata,"a",@progbits
	.p2align	6, 0x0
	.amdhsa_kernel _ZN7rocprim17ROCPRIM_400000_NS6detail17trampoline_kernelINS0_14default_configENS1_29reduce_by_key_config_selectorIiiN6thrust23THRUST_200600_302600_NS4plusIiEEEEZZNS1_33reduce_by_key_impl_wrapped_configILNS1_25lookback_scan_determinismE0ES3_S9_NS6_6detail15normal_iteratorINS6_10device_ptrIiEEEESG_SG_SG_PmS8_22is_equal_div_10_reduceIiEEE10hipError_tPvRmT2_T3_mT4_T5_T6_T7_T8_P12ihipStream_tbENKUlT_T0_E_clISt17integral_constantIbLb1EES10_IbLb0EEEEDaSW_SX_EUlSW_E_NS1_11comp_targetILNS1_3genE4ELNS1_11target_archE910ELNS1_3gpuE8ELNS1_3repE0EEENS1_30default_config_static_selectorELNS0_4arch9wavefront6targetE1EEEvT1_
		.amdhsa_group_segment_fixed_size 15360
		.amdhsa_private_segment_fixed_size 0
		.amdhsa_kernarg_size 120
		.amdhsa_user_sgpr_count 6
		.amdhsa_user_sgpr_private_segment_buffer 1
		.amdhsa_user_sgpr_dispatch_ptr 0
		.amdhsa_user_sgpr_queue_ptr 0
		.amdhsa_user_sgpr_kernarg_segment_ptr 1
		.amdhsa_user_sgpr_dispatch_id 0
		.amdhsa_user_sgpr_flat_scratch_init 0
		.amdhsa_user_sgpr_kernarg_preload_length 0
		.amdhsa_user_sgpr_kernarg_preload_offset 0
		.amdhsa_user_sgpr_private_segment_size 0
		.amdhsa_uses_dynamic_stack 0
		.amdhsa_system_sgpr_private_segment_wavefront_offset 0
		.amdhsa_system_sgpr_workgroup_id_x 1
		.amdhsa_system_sgpr_workgroup_id_y 0
		.amdhsa_system_sgpr_workgroup_id_z 0
		.amdhsa_system_sgpr_workgroup_info 0
		.amdhsa_system_vgpr_workitem_id 0
		.amdhsa_next_free_vgpr 108
		.amdhsa_next_free_sgpr 64
		.amdhsa_accum_offset 108
		.amdhsa_reserve_vcc 1
		.amdhsa_reserve_flat_scratch 0
		.amdhsa_float_round_mode_32 0
		.amdhsa_float_round_mode_16_64 0
		.amdhsa_float_denorm_mode_32 3
		.amdhsa_float_denorm_mode_16_64 3
		.amdhsa_dx10_clamp 1
		.amdhsa_ieee_mode 1
		.amdhsa_fp16_overflow 0
		.amdhsa_tg_split 0
		.amdhsa_exception_fp_ieee_invalid_op 0
		.amdhsa_exception_fp_denorm_src 0
		.amdhsa_exception_fp_ieee_div_zero 0
		.amdhsa_exception_fp_ieee_overflow 0
		.amdhsa_exception_fp_ieee_underflow 0
		.amdhsa_exception_fp_ieee_inexact 0
		.amdhsa_exception_int_div_zero 0
	.end_amdhsa_kernel
	.section	.text._ZN7rocprim17ROCPRIM_400000_NS6detail17trampoline_kernelINS0_14default_configENS1_29reduce_by_key_config_selectorIiiN6thrust23THRUST_200600_302600_NS4plusIiEEEEZZNS1_33reduce_by_key_impl_wrapped_configILNS1_25lookback_scan_determinismE0ES3_S9_NS6_6detail15normal_iteratorINS6_10device_ptrIiEEEESG_SG_SG_PmS8_22is_equal_div_10_reduceIiEEE10hipError_tPvRmT2_T3_mT4_T5_T6_T7_T8_P12ihipStream_tbENKUlT_T0_E_clISt17integral_constantIbLb1EES10_IbLb0EEEEDaSW_SX_EUlSW_E_NS1_11comp_targetILNS1_3genE4ELNS1_11target_archE910ELNS1_3gpuE8ELNS1_3repE0EEENS1_30default_config_static_selectorELNS0_4arch9wavefront6targetE1EEEvT1_,"axG",@progbits,_ZN7rocprim17ROCPRIM_400000_NS6detail17trampoline_kernelINS0_14default_configENS1_29reduce_by_key_config_selectorIiiN6thrust23THRUST_200600_302600_NS4plusIiEEEEZZNS1_33reduce_by_key_impl_wrapped_configILNS1_25lookback_scan_determinismE0ES3_S9_NS6_6detail15normal_iteratorINS6_10device_ptrIiEEEESG_SG_SG_PmS8_22is_equal_div_10_reduceIiEEE10hipError_tPvRmT2_T3_mT4_T5_T6_T7_T8_P12ihipStream_tbENKUlT_T0_E_clISt17integral_constantIbLb1EES10_IbLb0EEEEDaSW_SX_EUlSW_E_NS1_11comp_targetILNS1_3genE4ELNS1_11target_archE910ELNS1_3gpuE8ELNS1_3repE0EEENS1_30default_config_static_selectorELNS0_4arch9wavefront6targetE1EEEvT1_,comdat
.Lfunc_end604:
	.size	_ZN7rocprim17ROCPRIM_400000_NS6detail17trampoline_kernelINS0_14default_configENS1_29reduce_by_key_config_selectorIiiN6thrust23THRUST_200600_302600_NS4plusIiEEEEZZNS1_33reduce_by_key_impl_wrapped_configILNS1_25lookback_scan_determinismE0ES3_S9_NS6_6detail15normal_iteratorINS6_10device_ptrIiEEEESG_SG_SG_PmS8_22is_equal_div_10_reduceIiEEE10hipError_tPvRmT2_T3_mT4_T5_T6_T7_T8_P12ihipStream_tbENKUlT_T0_E_clISt17integral_constantIbLb1EES10_IbLb0EEEEDaSW_SX_EUlSW_E_NS1_11comp_targetILNS1_3genE4ELNS1_11target_archE910ELNS1_3gpuE8ELNS1_3repE0EEENS1_30default_config_static_selectorELNS0_4arch9wavefront6targetE1EEEvT1_, .Lfunc_end604-_ZN7rocprim17ROCPRIM_400000_NS6detail17trampoline_kernelINS0_14default_configENS1_29reduce_by_key_config_selectorIiiN6thrust23THRUST_200600_302600_NS4plusIiEEEEZZNS1_33reduce_by_key_impl_wrapped_configILNS1_25lookback_scan_determinismE0ES3_S9_NS6_6detail15normal_iteratorINS6_10device_ptrIiEEEESG_SG_SG_PmS8_22is_equal_div_10_reduceIiEEE10hipError_tPvRmT2_T3_mT4_T5_T6_T7_T8_P12ihipStream_tbENKUlT_T0_E_clISt17integral_constantIbLb1EES10_IbLb0EEEEDaSW_SX_EUlSW_E_NS1_11comp_targetILNS1_3genE4ELNS1_11target_archE910ELNS1_3gpuE8ELNS1_3repE0EEENS1_30default_config_static_selectorELNS0_4arch9wavefront6targetE1EEEvT1_
                                        ; -- End function
	.section	.AMDGPU.csdata,"",@progbits
; Kernel info:
; codeLenInByte = 19356
; NumSgprs: 68
; NumVgprs: 108
; NumAgprs: 0
; TotalNumVgprs: 108
; ScratchSize: 0
; MemoryBound: 0
; FloatMode: 240
; IeeeMode: 1
; LDSByteSize: 15360 bytes/workgroup (compile time only)
; SGPRBlocks: 8
; VGPRBlocks: 13
; NumSGPRsForWavesPerEU: 68
; NumVGPRsForWavesPerEU: 108
; AccumOffset: 108
; Occupancy: 4
; WaveLimiterHint : 1
; COMPUTE_PGM_RSRC2:SCRATCH_EN: 0
; COMPUTE_PGM_RSRC2:USER_SGPR: 6
; COMPUTE_PGM_RSRC2:TRAP_HANDLER: 0
; COMPUTE_PGM_RSRC2:TGID_X_EN: 1
; COMPUTE_PGM_RSRC2:TGID_Y_EN: 0
; COMPUTE_PGM_RSRC2:TGID_Z_EN: 0
; COMPUTE_PGM_RSRC2:TIDIG_COMP_CNT: 0
; COMPUTE_PGM_RSRC3_GFX90A:ACCUM_OFFSET: 26
; COMPUTE_PGM_RSRC3_GFX90A:TG_SPLIT: 0
	.section	.text._ZN7rocprim17ROCPRIM_400000_NS6detail17trampoline_kernelINS0_14default_configENS1_29reduce_by_key_config_selectorIiiN6thrust23THRUST_200600_302600_NS4plusIiEEEEZZNS1_33reduce_by_key_impl_wrapped_configILNS1_25lookback_scan_determinismE0ES3_S9_NS6_6detail15normal_iteratorINS6_10device_ptrIiEEEESG_SG_SG_PmS8_22is_equal_div_10_reduceIiEEE10hipError_tPvRmT2_T3_mT4_T5_T6_T7_T8_P12ihipStream_tbENKUlT_T0_E_clISt17integral_constantIbLb1EES10_IbLb0EEEEDaSW_SX_EUlSW_E_NS1_11comp_targetILNS1_3genE3ELNS1_11target_archE908ELNS1_3gpuE7ELNS1_3repE0EEENS1_30default_config_static_selectorELNS0_4arch9wavefront6targetE1EEEvT1_,"axG",@progbits,_ZN7rocprim17ROCPRIM_400000_NS6detail17trampoline_kernelINS0_14default_configENS1_29reduce_by_key_config_selectorIiiN6thrust23THRUST_200600_302600_NS4plusIiEEEEZZNS1_33reduce_by_key_impl_wrapped_configILNS1_25lookback_scan_determinismE0ES3_S9_NS6_6detail15normal_iteratorINS6_10device_ptrIiEEEESG_SG_SG_PmS8_22is_equal_div_10_reduceIiEEE10hipError_tPvRmT2_T3_mT4_T5_T6_T7_T8_P12ihipStream_tbENKUlT_T0_E_clISt17integral_constantIbLb1EES10_IbLb0EEEEDaSW_SX_EUlSW_E_NS1_11comp_targetILNS1_3genE3ELNS1_11target_archE908ELNS1_3gpuE7ELNS1_3repE0EEENS1_30default_config_static_selectorELNS0_4arch9wavefront6targetE1EEEvT1_,comdat
	.protected	_ZN7rocprim17ROCPRIM_400000_NS6detail17trampoline_kernelINS0_14default_configENS1_29reduce_by_key_config_selectorIiiN6thrust23THRUST_200600_302600_NS4plusIiEEEEZZNS1_33reduce_by_key_impl_wrapped_configILNS1_25lookback_scan_determinismE0ES3_S9_NS6_6detail15normal_iteratorINS6_10device_ptrIiEEEESG_SG_SG_PmS8_22is_equal_div_10_reduceIiEEE10hipError_tPvRmT2_T3_mT4_T5_T6_T7_T8_P12ihipStream_tbENKUlT_T0_E_clISt17integral_constantIbLb1EES10_IbLb0EEEEDaSW_SX_EUlSW_E_NS1_11comp_targetILNS1_3genE3ELNS1_11target_archE908ELNS1_3gpuE7ELNS1_3repE0EEENS1_30default_config_static_selectorELNS0_4arch9wavefront6targetE1EEEvT1_ ; -- Begin function _ZN7rocprim17ROCPRIM_400000_NS6detail17trampoline_kernelINS0_14default_configENS1_29reduce_by_key_config_selectorIiiN6thrust23THRUST_200600_302600_NS4plusIiEEEEZZNS1_33reduce_by_key_impl_wrapped_configILNS1_25lookback_scan_determinismE0ES3_S9_NS6_6detail15normal_iteratorINS6_10device_ptrIiEEEESG_SG_SG_PmS8_22is_equal_div_10_reduceIiEEE10hipError_tPvRmT2_T3_mT4_T5_T6_T7_T8_P12ihipStream_tbENKUlT_T0_E_clISt17integral_constantIbLb1EES10_IbLb0EEEEDaSW_SX_EUlSW_E_NS1_11comp_targetILNS1_3genE3ELNS1_11target_archE908ELNS1_3gpuE7ELNS1_3repE0EEENS1_30default_config_static_selectorELNS0_4arch9wavefront6targetE1EEEvT1_
	.globl	_ZN7rocprim17ROCPRIM_400000_NS6detail17trampoline_kernelINS0_14default_configENS1_29reduce_by_key_config_selectorIiiN6thrust23THRUST_200600_302600_NS4plusIiEEEEZZNS1_33reduce_by_key_impl_wrapped_configILNS1_25lookback_scan_determinismE0ES3_S9_NS6_6detail15normal_iteratorINS6_10device_ptrIiEEEESG_SG_SG_PmS8_22is_equal_div_10_reduceIiEEE10hipError_tPvRmT2_T3_mT4_T5_T6_T7_T8_P12ihipStream_tbENKUlT_T0_E_clISt17integral_constantIbLb1EES10_IbLb0EEEEDaSW_SX_EUlSW_E_NS1_11comp_targetILNS1_3genE3ELNS1_11target_archE908ELNS1_3gpuE7ELNS1_3repE0EEENS1_30default_config_static_selectorELNS0_4arch9wavefront6targetE1EEEvT1_
	.p2align	8
	.type	_ZN7rocprim17ROCPRIM_400000_NS6detail17trampoline_kernelINS0_14default_configENS1_29reduce_by_key_config_selectorIiiN6thrust23THRUST_200600_302600_NS4plusIiEEEEZZNS1_33reduce_by_key_impl_wrapped_configILNS1_25lookback_scan_determinismE0ES3_S9_NS6_6detail15normal_iteratorINS6_10device_ptrIiEEEESG_SG_SG_PmS8_22is_equal_div_10_reduceIiEEE10hipError_tPvRmT2_T3_mT4_T5_T6_T7_T8_P12ihipStream_tbENKUlT_T0_E_clISt17integral_constantIbLb1EES10_IbLb0EEEEDaSW_SX_EUlSW_E_NS1_11comp_targetILNS1_3genE3ELNS1_11target_archE908ELNS1_3gpuE7ELNS1_3repE0EEENS1_30default_config_static_selectorELNS0_4arch9wavefront6targetE1EEEvT1_,@function
_ZN7rocprim17ROCPRIM_400000_NS6detail17trampoline_kernelINS0_14default_configENS1_29reduce_by_key_config_selectorIiiN6thrust23THRUST_200600_302600_NS4plusIiEEEEZZNS1_33reduce_by_key_impl_wrapped_configILNS1_25lookback_scan_determinismE0ES3_S9_NS6_6detail15normal_iteratorINS6_10device_ptrIiEEEESG_SG_SG_PmS8_22is_equal_div_10_reduceIiEEE10hipError_tPvRmT2_T3_mT4_T5_T6_T7_T8_P12ihipStream_tbENKUlT_T0_E_clISt17integral_constantIbLb1EES10_IbLb0EEEEDaSW_SX_EUlSW_E_NS1_11comp_targetILNS1_3genE3ELNS1_11target_archE908ELNS1_3gpuE7ELNS1_3repE0EEENS1_30default_config_static_selectorELNS0_4arch9wavefront6targetE1EEEvT1_: ; @_ZN7rocprim17ROCPRIM_400000_NS6detail17trampoline_kernelINS0_14default_configENS1_29reduce_by_key_config_selectorIiiN6thrust23THRUST_200600_302600_NS4plusIiEEEEZZNS1_33reduce_by_key_impl_wrapped_configILNS1_25lookback_scan_determinismE0ES3_S9_NS6_6detail15normal_iteratorINS6_10device_ptrIiEEEESG_SG_SG_PmS8_22is_equal_div_10_reduceIiEEE10hipError_tPvRmT2_T3_mT4_T5_T6_T7_T8_P12ihipStream_tbENKUlT_T0_E_clISt17integral_constantIbLb1EES10_IbLb0EEEEDaSW_SX_EUlSW_E_NS1_11comp_targetILNS1_3genE3ELNS1_11target_archE908ELNS1_3gpuE7ELNS1_3repE0EEENS1_30default_config_static_selectorELNS0_4arch9wavefront6targetE1EEEvT1_
; %bb.0:
	.section	.rodata,"a",@progbits
	.p2align	6, 0x0
	.amdhsa_kernel _ZN7rocprim17ROCPRIM_400000_NS6detail17trampoline_kernelINS0_14default_configENS1_29reduce_by_key_config_selectorIiiN6thrust23THRUST_200600_302600_NS4plusIiEEEEZZNS1_33reduce_by_key_impl_wrapped_configILNS1_25lookback_scan_determinismE0ES3_S9_NS6_6detail15normal_iteratorINS6_10device_ptrIiEEEESG_SG_SG_PmS8_22is_equal_div_10_reduceIiEEE10hipError_tPvRmT2_T3_mT4_T5_T6_T7_T8_P12ihipStream_tbENKUlT_T0_E_clISt17integral_constantIbLb1EES10_IbLb0EEEEDaSW_SX_EUlSW_E_NS1_11comp_targetILNS1_3genE3ELNS1_11target_archE908ELNS1_3gpuE7ELNS1_3repE0EEENS1_30default_config_static_selectorELNS0_4arch9wavefront6targetE1EEEvT1_
		.amdhsa_group_segment_fixed_size 0
		.amdhsa_private_segment_fixed_size 0
		.amdhsa_kernarg_size 120
		.amdhsa_user_sgpr_count 6
		.amdhsa_user_sgpr_private_segment_buffer 1
		.amdhsa_user_sgpr_dispatch_ptr 0
		.amdhsa_user_sgpr_queue_ptr 0
		.amdhsa_user_sgpr_kernarg_segment_ptr 1
		.amdhsa_user_sgpr_dispatch_id 0
		.amdhsa_user_sgpr_flat_scratch_init 0
		.amdhsa_user_sgpr_kernarg_preload_length 0
		.amdhsa_user_sgpr_kernarg_preload_offset 0
		.amdhsa_user_sgpr_private_segment_size 0
		.amdhsa_uses_dynamic_stack 0
		.amdhsa_system_sgpr_private_segment_wavefront_offset 0
		.amdhsa_system_sgpr_workgroup_id_x 1
		.amdhsa_system_sgpr_workgroup_id_y 0
		.amdhsa_system_sgpr_workgroup_id_z 0
		.amdhsa_system_sgpr_workgroup_info 0
		.amdhsa_system_vgpr_workitem_id 0
		.amdhsa_next_free_vgpr 1
		.amdhsa_next_free_sgpr 0
		.amdhsa_accum_offset 4
		.amdhsa_reserve_vcc 0
		.amdhsa_reserve_flat_scratch 0
		.amdhsa_float_round_mode_32 0
		.amdhsa_float_round_mode_16_64 0
		.amdhsa_float_denorm_mode_32 3
		.amdhsa_float_denorm_mode_16_64 3
		.amdhsa_dx10_clamp 1
		.amdhsa_ieee_mode 1
		.amdhsa_fp16_overflow 0
		.amdhsa_tg_split 0
		.amdhsa_exception_fp_ieee_invalid_op 0
		.amdhsa_exception_fp_denorm_src 0
		.amdhsa_exception_fp_ieee_div_zero 0
		.amdhsa_exception_fp_ieee_overflow 0
		.amdhsa_exception_fp_ieee_underflow 0
		.amdhsa_exception_fp_ieee_inexact 0
		.amdhsa_exception_int_div_zero 0
	.end_amdhsa_kernel
	.section	.text._ZN7rocprim17ROCPRIM_400000_NS6detail17trampoline_kernelINS0_14default_configENS1_29reduce_by_key_config_selectorIiiN6thrust23THRUST_200600_302600_NS4plusIiEEEEZZNS1_33reduce_by_key_impl_wrapped_configILNS1_25lookback_scan_determinismE0ES3_S9_NS6_6detail15normal_iteratorINS6_10device_ptrIiEEEESG_SG_SG_PmS8_22is_equal_div_10_reduceIiEEE10hipError_tPvRmT2_T3_mT4_T5_T6_T7_T8_P12ihipStream_tbENKUlT_T0_E_clISt17integral_constantIbLb1EES10_IbLb0EEEEDaSW_SX_EUlSW_E_NS1_11comp_targetILNS1_3genE3ELNS1_11target_archE908ELNS1_3gpuE7ELNS1_3repE0EEENS1_30default_config_static_selectorELNS0_4arch9wavefront6targetE1EEEvT1_,"axG",@progbits,_ZN7rocprim17ROCPRIM_400000_NS6detail17trampoline_kernelINS0_14default_configENS1_29reduce_by_key_config_selectorIiiN6thrust23THRUST_200600_302600_NS4plusIiEEEEZZNS1_33reduce_by_key_impl_wrapped_configILNS1_25lookback_scan_determinismE0ES3_S9_NS6_6detail15normal_iteratorINS6_10device_ptrIiEEEESG_SG_SG_PmS8_22is_equal_div_10_reduceIiEEE10hipError_tPvRmT2_T3_mT4_T5_T6_T7_T8_P12ihipStream_tbENKUlT_T0_E_clISt17integral_constantIbLb1EES10_IbLb0EEEEDaSW_SX_EUlSW_E_NS1_11comp_targetILNS1_3genE3ELNS1_11target_archE908ELNS1_3gpuE7ELNS1_3repE0EEENS1_30default_config_static_selectorELNS0_4arch9wavefront6targetE1EEEvT1_,comdat
.Lfunc_end605:
	.size	_ZN7rocprim17ROCPRIM_400000_NS6detail17trampoline_kernelINS0_14default_configENS1_29reduce_by_key_config_selectorIiiN6thrust23THRUST_200600_302600_NS4plusIiEEEEZZNS1_33reduce_by_key_impl_wrapped_configILNS1_25lookback_scan_determinismE0ES3_S9_NS6_6detail15normal_iteratorINS6_10device_ptrIiEEEESG_SG_SG_PmS8_22is_equal_div_10_reduceIiEEE10hipError_tPvRmT2_T3_mT4_T5_T6_T7_T8_P12ihipStream_tbENKUlT_T0_E_clISt17integral_constantIbLb1EES10_IbLb0EEEEDaSW_SX_EUlSW_E_NS1_11comp_targetILNS1_3genE3ELNS1_11target_archE908ELNS1_3gpuE7ELNS1_3repE0EEENS1_30default_config_static_selectorELNS0_4arch9wavefront6targetE1EEEvT1_, .Lfunc_end605-_ZN7rocprim17ROCPRIM_400000_NS6detail17trampoline_kernelINS0_14default_configENS1_29reduce_by_key_config_selectorIiiN6thrust23THRUST_200600_302600_NS4plusIiEEEEZZNS1_33reduce_by_key_impl_wrapped_configILNS1_25lookback_scan_determinismE0ES3_S9_NS6_6detail15normal_iteratorINS6_10device_ptrIiEEEESG_SG_SG_PmS8_22is_equal_div_10_reduceIiEEE10hipError_tPvRmT2_T3_mT4_T5_T6_T7_T8_P12ihipStream_tbENKUlT_T0_E_clISt17integral_constantIbLb1EES10_IbLb0EEEEDaSW_SX_EUlSW_E_NS1_11comp_targetILNS1_3genE3ELNS1_11target_archE908ELNS1_3gpuE7ELNS1_3repE0EEENS1_30default_config_static_selectorELNS0_4arch9wavefront6targetE1EEEvT1_
                                        ; -- End function
	.section	.AMDGPU.csdata,"",@progbits
; Kernel info:
; codeLenInByte = 0
; NumSgprs: 4
; NumVgprs: 0
; NumAgprs: 0
; TotalNumVgprs: 0
; ScratchSize: 0
; MemoryBound: 0
; FloatMode: 240
; IeeeMode: 1
; LDSByteSize: 0 bytes/workgroup (compile time only)
; SGPRBlocks: 0
; VGPRBlocks: 0
; NumSGPRsForWavesPerEU: 4
; NumVGPRsForWavesPerEU: 1
; AccumOffset: 4
; Occupancy: 8
; WaveLimiterHint : 0
; COMPUTE_PGM_RSRC2:SCRATCH_EN: 0
; COMPUTE_PGM_RSRC2:USER_SGPR: 6
; COMPUTE_PGM_RSRC2:TRAP_HANDLER: 0
; COMPUTE_PGM_RSRC2:TGID_X_EN: 1
; COMPUTE_PGM_RSRC2:TGID_Y_EN: 0
; COMPUTE_PGM_RSRC2:TGID_Z_EN: 0
; COMPUTE_PGM_RSRC2:TIDIG_COMP_CNT: 0
; COMPUTE_PGM_RSRC3_GFX90A:ACCUM_OFFSET: 0
; COMPUTE_PGM_RSRC3_GFX90A:TG_SPLIT: 0
	.section	.text._ZN7rocprim17ROCPRIM_400000_NS6detail17trampoline_kernelINS0_14default_configENS1_29reduce_by_key_config_selectorIiiN6thrust23THRUST_200600_302600_NS4plusIiEEEEZZNS1_33reduce_by_key_impl_wrapped_configILNS1_25lookback_scan_determinismE0ES3_S9_NS6_6detail15normal_iteratorINS6_10device_ptrIiEEEESG_SG_SG_PmS8_22is_equal_div_10_reduceIiEEE10hipError_tPvRmT2_T3_mT4_T5_T6_T7_T8_P12ihipStream_tbENKUlT_T0_E_clISt17integral_constantIbLb1EES10_IbLb0EEEEDaSW_SX_EUlSW_E_NS1_11comp_targetILNS1_3genE2ELNS1_11target_archE906ELNS1_3gpuE6ELNS1_3repE0EEENS1_30default_config_static_selectorELNS0_4arch9wavefront6targetE1EEEvT1_,"axG",@progbits,_ZN7rocprim17ROCPRIM_400000_NS6detail17trampoline_kernelINS0_14default_configENS1_29reduce_by_key_config_selectorIiiN6thrust23THRUST_200600_302600_NS4plusIiEEEEZZNS1_33reduce_by_key_impl_wrapped_configILNS1_25lookback_scan_determinismE0ES3_S9_NS6_6detail15normal_iteratorINS6_10device_ptrIiEEEESG_SG_SG_PmS8_22is_equal_div_10_reduceIiEEE10hipError_tPvRmT2_T3_mT4_T5_T6_T7_T8_P12ihipStream_tbENKUlT_T0_E_clISt17integral_constantIbLb1EES10_IbLb0EEEEDaSW_SX_EUlSW_E_NS1_11comp_targetILNS1_3genE2ELNS1_11target_archE906ELNS1_3gpuE6ELNS1_3repE0EEENS1_30default_config_static_selectorELNS0_4arch9wavefront6targetE1EEEvT1_,comdat
	.protected	_ZN7rocprim17ROCPRIM_400000_NS6detail17trampoline_kernelINS0_14default_configENS1_29reduce_by_key_config_selectorIiiN6thrust23THRUST_200600_302600_NS4plusIiEEEEZZNS1_33reduce_by_key_impl_wrapped_configILNS1_25lookback_scan_determinismE0ES3_S9_NS6_6detail15normal_iteratorINS6_10device_ptrIiEEEESG_SG_SG_PmS8_22is_equal_div_10_reduceIiEEE10hipError_tPvRmT2_T3_mT4_T5_T6_T7_T8_P12ihipStream_tbENKUlT_T0_E_clISt17integral_constantIbLb1EES10_IbLb0EEEEDaSW_SX_EUlSW_E_NS1_11comp_targetILNS1_3genE2ELNS1_11target_archE906ELNS1_3gpuE6ELNS1_3repE0EEENS1_30default_config_static_selectorELNS0_4arch9wavefront6targetE1EEEvT1_ ; -- Begin function _ZN7rocprim17ROCPRIM_400000_NS6detail17trampoline_kernelINS0_14default_configENS1_29reduce_by_key_config_selectorIiiN6thrust23THRUST_200600_302600_NS4plusIiEEEEZZNS1_33reduce_by_key_impl_wrapped_configILNS1_25lookback_scan_determinismE0ES3_S9_NS6_6detail15normal_iteratorINS6_10device_ptrIiEEEESG_SG_SG_PmS8_22is_equal_div_10_reduceIiEEE10hipError_tPvRmT2_T3_mT4_T5_T6_T7_T8_P12ihipStream_tbENKUlT_T0_E_clISt17integral_constantIbLb1EES10_IbLb0EEEEDaSW_SX_EUlSW_E_NS1_11comp_targetILNS1_3genE2ELNS1_11target_archE906ELNS1_3gpuE6ELNS1_3repE0EEENS1_30default_config_static_selectorELNS0_4arch9wavefront6targetE1EEEvT1_
	.globl	_ZN7rocprim17ROCPRIM_400000_NS6detail17trampoline_kernelINS0_14default_configENS1_29reduce_by_key_config_selectorIiiN6thrust23THRUST_200600_302600_NS4plusIiEEEEZZNS1_33reduce_by_key_impl_wrapped_configILNS1_25lookback_scan_determinismE0ES3_S9_NS6_6detail15normal_iteratorINS6_10device_ptrIiEEEESG_SG_SG_PmS8_22is_equal_div_10_reduceIiEEE10hipError_tPvRmT2_T3_mT4_T5_T6_T7_T8_P12ihipStream_tbENKUlT_T0_E_clISt17integral_constantIbLb1EES10_IbLb0EEEEDaSW_SX_EUlSW_E_NS1_11comp_targetILNS1_3genE2ELNS1_11target_archE906ELNS1_3gpuE6ELNS1_3repE0EEENS1_30default_config_static_selectorELNS0_4arch9wavefront6targetE1EEEvT1_
	.p2align	8
	.type	_ZN7rocprim17ROCPRIM_400000_NS6detail17trampoline_kernelINS0_14default_configENS1_29reduce_by_key_config_selectorIiiN6thrust23THRUST_200600_302600_NS4plusIiEEEEZZNS1_33reduce_by_key_impl_wrapped_configILNS1_25lookback_scan_determinismE0ES3_S9_NS6_6detail15normal_iteratorINS6_10device_ptrIiEEEESG_SG_SG_PmS8_22is_equal_div_10_reduceIiEEE10hipError_tPvRmT2_T3_mT4_T5_T6_T7_T8_P12ihipStream_tbENKUlT_T0_E_clISt17integral_constantIbLb1EES10_IbLb0EEEEDaSW_SX_EUlSW_E_NS1_11comp_targetILNS1_3genE2ELNS1_11target_archE906ELNS1_3gpuE6ELNS1_3repE0EEENS1_30default_config_static_selectorELNS0_4arch9wavefront6targetE1EEEvT1_,@function
_ZN7rocprim17ROCPRIM_400000_NS6detail17trampoline_kernelINS0_14default_configENS1_29reduce_by_key_config_selectorIiiN6thrust23THRUST_200600_302600_NS4plusIiEEEEZZNS1_33reduce_by_key_impl_wrapped_configILNS1_25lookback_scan_determinismE0ES3_S9_NS6_6detail15normal_iteratorINS6_10device_ptrIiEEEESG_SG_SG_PmS8_22is_equal_div_10_reduceIiEEE10hipError_tPvRmT2_T3_mT4_T5_T6_T7_T8_P12ihipStream_tbENKUlT_T0_E_clISt17integral_constantIbLb1EES10_IbLb0EEEEDaSW_SX_EUlSW_E_NS1_11comp_targetILNS1_3genE2ELNS1_11target_archE906ELNS1_3gpuE6ELNS1_3repE0EEENS1_30default_config_static_selectorELNS0_4arch9wavefront6targetE1EEEvT1_: ; @_ZN7rocprim17ROCPRIM_400000_NS6detail17trampoline_kernelINS0_14default_configENS1_29reduce_by_key_config_selectorIiiN6thrust23THRUST_200600_302600_NS4plusIiEEEEZZNS1_33reduce_by_key_impl_wrapped_configILNS1_25lookback_scan_determinismE0ES3_S9_NS6_6detail15normal_iteratorINS6_10device_ptrIiEEEESG_SG_SG_PmS8_22is_equal_div_10_reduceIiEEE10hipError_tPvRmT2_T3_mT4_T5_T6_T7_T8_P12ihipStream_tbENKUlT_T0_E_clISt17integral_constantIbLb1EES10_IbLb0EEEEDaSW_SX_EUlSW_E_NS1_11comp_targetILNS1_3genE2ELNS1_11target_archE906ELNS1_3gpuE6ELNS1_3repE0EEENS1_30default_config_static_selectorELNS0_4arch9wavefront6targetE1EEEvT1_
; %bb.0:
	.section	.rodata,"a",@progbits
	.p2align	6, 0x0
	.amdhsa_kernel _ZN7rocprim17ROCPRIM_400000_NS6detail17trampoline_kernelINS0_14default_configENS1_29reduce_by_key_config_selectorIiiN6thrust23THRUST_200600_302600_NS4plusIiEEEEZZNS1_33reduce_by_key_impl_wrapped_configILNS1_25lookback_scan_determinismE0ES3_S9_NS6_6detail15normal_iteratorINS6_10device_ptrIiEEEESG_SG_SG_PmS8_22is_equal_div_10_reduceIiEEE10hipError_tPvRmT2_T3_mT4_T5_T6_T7_T8_P12ihipStream_tbENKUlT_T0_E_clISt17integral_constantIbLb1EES10_IbLb0EEEEDaSW_SX_EUlSW_E_NS1_11comp_targetILNS1_3genE2ELNS1_11target_archE906ELNS1_3gpuE6ELNS1_3repE0EEENS1_30default_config_static_selectorELNS0_4arch9wavefront6targetE1EEEvT1_
		.amdhsa_group_segment_fixed_size 0
		.amdhsa_private_segment_fixed_size 0
		.amdhsa_kernarg_size 120
		.amdhsa_user_sgpr_count 6
		.amdhsa_user_sgpr_private_segment_buffer 1
		.amdhsa_user_sgpr_dispatch_ptr 0
		.amdhsa_user_sgpr_queue_ptr 0
		.amdhsa_user_sgpr_kernarg_segment_ptr 1
		.amdhsa_user_sgpr_dispatch_id 0
		.amdhsa_user_sgpr_flat_scratch_init 0
		.amdhsa_user_sgpr_kernarg_preload_length 0
		.amdhsa_user_sgpr_kernarg_preload_offset 0
		.amdhsa_user_sgpr_private_segment_size 0
		.amdhsa_uses_dynamic_stack 0
		.amdhsa_system_sgpr_private_segment_wavefront_offset 0
		.amdhsa_system_sgpr_workgroup_id_x 1
		.amdhsa_system_sgpr_workgroup_id_y 0
		.amdhsa_system_sgpr_workgroup_id_z 0
		.amdhsa_system_sgpr_workgroup_info 0
		.amdhsa_system_vgpr_workitem_id 0
		.amdhsa_next_free_vgpr 1
		.amdhsa_next_free_sgpr 0
		.amdhsa_accum_offset 4
		.amdhsa_reserve_vcc 0
		.amdhsa_reserve_flat_scratch 0
		.amdhsa_float_round_mode_32 0
		.amdhsa_float_round_mode_16_64 0
		.amdhsa_float_denorm_mode_32 3
		.amdhsa_float_denorm_mode_16_64 3
		.amdhsa_dx10_clamp 1
		.amdhsa_ieee_mode 1
		.amdhsa_fp16_overflow 0
		.amdhsa_tg_split 0
		.amdhsa_exception_fp_ieee_invalid_op 0
		.amdhsa_exception_fp_denorm_src 0
		.amdhsa_exception_fp_ieee_div_zero 0
		.amdhsa_exception_fp_ieee_overflow 0
		.amdhsa_exception_fp_ieee_underflow 0
		.amdhsa_exception_fp_ieee_inexact 0
		.amdhsa_exception_int_div_zero 0
	.end_amdhsa_kernel
	.section	.text._ZN7rocprim17ROCPRIM_400000_NS6detail17trampoline_kernelINS0_14default_configENS1_29reduce_by_key_config_selectorIiiN6thrust23THRUST_200600_302600_NS4plusIiEEEEZZNS1_33reduce_by_key_impl_wrapped_configILNS1_25lookback_scan_determinismE0ES3_S9_NS6_6detail15normal_iteratorINS6_10device_ptrIiEEEESG_SG_SG_PmS8_22is_equal_div_10_reduceIiEEE10hipError_tPvRmT2_T3_mT4_T5_T6_T7_T8_P12ihipStream_tbENKUlT_T0_E_clISt17integral_constantIbLb1EES10_IbLb0EEEEDaSW_SX_EUlSW_E_NS1_11comp_targetILNS1_3genE2ELNS1_11target_archE906ELNS1_3gpuE6ELNS1_3repE0EEENS1_30default_config_static_selectorELNS0_4arch9wavefront6targetE1EEEvT1_,"axG",@progbits,_ZN7rocprim17ROCPRIM_400000_NS6detail17trampoline_kernelINS0_14default_configENS1_29reduce_by_key_config_selectorIiiN6thrust23THRUST_200600_302600_NS4plusIiEEEEZZNS1_33reduce_by_key_impl_wrapped_configILNS1_25lookback_scan_determinismE0ES3_S9_NS6_6detail15normal_iteratorINS6_10device_ptrIiEEEESG_SG_SG_PmS8_22is_equal_div_10_reduceIiEEE10hipError_tPvRmT2_T3_mT4_T5_T6_T7_T8_P12ihipStream_tbENKUlT_T0_E_clISt17integral_constantIbLb1EES10_IbLb0EEEEDaSW_SX_EUlSW_E_NS1_11comp_targetILNS1_3genE2ELNS1_11target_archE906ELNS1_3gpuE6ELNS1_3repE0EEENS1_30default_config_static_selectorELNS0_4arch9wavefront6targetE1EEEvT1_,comdat
.Lfunc_end606:
	.size	_ZN7rocprim17ROCPRIM_400000_NS6detail17trampoline_kernelINS0_14default_configENS1_29reduce_by_key_config_selectorIiiN6thrust23THRUST_200600_302600_NS4plusIiEEEEZZNS1_33reduce_by_key_impl_wrapped_configILNS1_25lookback_scan_determinismE0ES3_S9_NS6_6detail15normal_iteratorINS6_10device_ptrIiEEEESG_SG_SG_PmS8_22is_equal_div_10_reduceIiEEE10hipError_tPvRmT2_T3_mT4_T5_T6_T7_T8_P12ihipStream_tbENKUlT_T0_E_clISt17integral_constantIbLb1EES10_IbLb0EEEEDaSW_SX_EUlSW_E_NS1_11comp_targetILNS1_3genE2ELNS1_11target_archE906ELNS1_3gpuE6ELNS1_3repE0EEENS1_30default_config_static_selectorELNS0_4arch9wavefront6targetE1EEEvT1_, .Lfunc_end606-_ZN7rocprim17ROCPRIM_400000_NS6detail17trampoline_kernelINS0_14default_configENS1_29reduce_by_key_config_selectorIiiN6thrust23THRUST_200600_302600_NS4plusIiEEEEZZNS1_33reduce_by_key_impl_wrapped_configILNS1_25lookback_scan_determinismE0ES3_S9_NS6_6detail15normal_iteratorINS6_10device_ptrIiEEEESG_SG_SG_PmS8_22is_equal_div_10_reduceIiEEE10hipError_tPvRmT2_T3_mT4_T5_T6_T7_T8_P12ihipStream_tbENKUlT_T0_E_clISt17integral_constantIbLb1EES10_IbLb0EEEEDaSW_SX_EUlSW_E_NS1_11comp_targetILNS1_3genE2ELNS1_11target_archE906ELNS1_3gpuE6ELNS1_3repE0EEENS1_30default_config_static_selectorELNS0_4arch9wavefront6targetE1EEEvT1_
                                        ; -- End function
	.section	.AMDGPU.csdata,"",@progbits
; Kernel info:
; codeLenInByte = 0
; NumSgprs: 4
; NumVgprs: 0
; NumAgprs: 0
; TotalNumVgprs: 0
; ScratchSize: 0
; MemoryBound: 0
; FloatMode: 240
; IeeeMode: 1
; LDSByteSize: 0 bytes/workgroup (compile time only)
; SGPRBlocks: 0
; VGPRBlocks: 0
; NumSGPRsForWavesPerEU: 4
; NumVGPRsForWavesPerEU: 1
; AccumOffset: 4
; Occupancy: 8
; WaveLimiterHint : 0
; COMPUTE_PGM_RSRC2:SCRATCH_EN: 0
; COMPUTE_PGM_RSRC2:USER_SGPR: 6
; COMPUTE_PGM_RSRC2:TRAP_HANDLER: 0
; COMPUTE_PGM_RSRC2:TGID_X_EN: 1
; COMPUTE_PGM_RSRC2:TGID_Y_EN: 0
; COMPUTE_PGM_RSRC2:TGID_Z_EN: 0
; COMPUTE_PGM_RSRC2:TIDIG_COMP_CNT: 0
; COMPUTE_PGM_RSRC3_GFX90A:ACCUM_OFFSET: 0
; COMPUTE_PGM_RSRC3_GFX90A:TG_SPLIT: 0
	.section	.text._ZN7rocprim17ROCPRIM_400000_NS6detail17trampoline_kernelINS0_14default_configENS1_29reduce_by_key_config_selectorIiiN6thrust23THRUST_200600_302600_NS4plusIiEEEEZZNS1_33reduce_by_key_impl_wrapped_configILNS1_25lookback_scan_determinismE0ES3_S9_NS6_6detail15normal_iteratorINS6_10device_ptrIiEEEESG_SG_SG_PmS8_22is_equal_div_10_reduceIiEEE10hipError_tPvRmT2_T3_mT4_T5_T6_T7_T8_P12ihipStream_tbENKUlT_T0_E_clISt17integral_constantIbLb1EES10_IbLb0EEEEDaSW_SX_EUlSW_E_NS1_11comp_targetILNS1_3genE10ELNS1_11target_archE1201ELNS1_3gpuE5ELNS1_3repE0EEENS1_30default_config_static_selectorELNS0_4arch9wavefront6targetE1EEEvT1_,"axG",@progbits,_ZN7rocprim17ROCPRIM_400000_NS6detail17trampoline_kernelINS0_14default_configENS1_29reduce_by_key_config_selectorIiiN6thrust23THRUST_200600_302600_NS4plusIiEEEEZZNS1_33reduce_by_key_impl_wrapped_configILNS1_25lookback_scan_determinismE0ES3_S9_NS6_6detail15normal_iteratorINS6_10device_ptrIiEEEESG_SG_SG_PmS8_22is_equal_div_10_reduceIiEEE10hipError_tPvRmT2_T3_mT4_T5_T6_T7_T8_P12ihipStream_tbENKUlT_T0_E_clISt17integral_constantIbLb1EES10_IbLb0EEEEDaSW_SX_EUlSW_E_NS1_11comp_targetILNS1_3genE10ELNS1_11target_archE1201ELNS1_3gpuE5ELNS1_3repE0EEENS1_30default_config_static_selectorELNS0_4arch9wavefront6targetE1EEEvT1_,comdat
	.protected	_ZN7rocprim17ROCPRIM_400000_NS6detail17trampoline_kernelINS0_14default_configENS1_29reduce_by_key_config_selectorIiiN6thrust23THRUST_200600_302600_NS4plusIiEEEEZZNS1_33reduce_by_key_impl_wrapped_configILNS1_25lookback_scan_determinismE0ES3_S9_NS6_6detail15normal_iteratorINS6_10device_ptrIiEEEESG_SG_SG_PmS8_22is_equal_div_10_reduceIiEEE10hipError_tPvRmT2_T3_mT4_T5_T6_T7_T8_P12ihipStream_tbENKUlT_T0_E_clISt17integral_constantIbLb1EES10_IbLb0EEEEDaSW_SX_EUlSW_E_NS1_11comp_targetILNS1_3genE10ELNS1_11target_archE1201ELNS1_3gpuE5ELNS1_3repE0EEENS1_30default_config_static_selectorELNS0_4arch9wavefront6targetE1EEEvT1_ ; -- Begin function _ZN7rocprim17ROCPRIM_400000_NS6detail17trampoline_kernelINS0_14default_configENS1_29reduce_by_key_config_selectorIiiN6thrust23THRUST_200600_302600_NS4plusIiEEEEZZNS1_33reduce_by_key_impl_wrapped_configILNS1_25lookback_scan_determinismE0ES3_S9_NS6_6detail15normal_iteratorINS6_10device_ptrIiEEEESG_SG_SG_PmS8_22is_equal_div_10_reduceIiEEE10hipError_tPvRmT2_T3_mT4_T5_T6_T7_T8_P12ihipStream_tbENKUlT_T0_E_clISt17integral_constantIbLb1EES10_IbLb0EEEEDaSW_SX_EUlSW_E_NS1_11comp_targetILNS1_3genE10ELNS1_11target_archE1201ELNS1_3gpuE5ELNS1_3repE0EEENS1_30default_config_static_selectorELNS0_4arch9wavefront6targetE1EEEvT1_
	.globl	_ZN7rocprim17ROCPRIM_400000_NS6detail17trampoline_kernelINS0_14default_configENS1_29reduce_by_key_config_selectorIiiN6thrust23THRUST_200600_302600_NS4plusIiEEEEZZNS1_33reduce_by_key_impl_wrapped_configILNS1_25lookback_scan_determinismE0ES3_S9_NS6_6detail15normal_iteratorINS6_10device_ptrIiEEEESG_SG_SG_PmS8_22is_equal_div_10_reduceIiEEE10hipError_tPvRmT2_T3_mT4_T5_T6_T7_T8_P12ihipStream_tbENKUlT_T0_E_clISt17integral_constantIbLb1EES10_IbLb0EEEEDaSW_SX_EUlSW_E_NS1_11comp_targetILNS1_3genE10ELNS1_11target_archE1201ELNS1_3gpuE5ELNS1_3repE0EEENS1_30default_config_static_selectorELNS0_4arch9wavefront6targetE1EEEvT1_
	.p2align	8
	.type	_ZN7rocprim17ROCPRIM_400000_NS6detail17trampoline_kernelINS0_14default_configENS1_29reduce_by_key_config_selectorIiiN6thrust23THRUST_200600_302600_NS4plusIiEEEEZZNS1_33reduce_by_key_impl_wrapped_configILNS1_25lookback_scan_determinismE0ES3_S9_NS6_6detail15normal_iteratorINS6_10device_ptrIiEEEESG_SG_SG_PmS8_22is_equal_div_10_reduceIiEEE10hipError_tPvRmT2_T3_mT4_T5_T6_T7_T8_P12ihipStream_tbENKUlT_T0_E_clISt17integral_constantIbLb1EES10_IbLb0EEEEDaSW_SX_EUlSW_E_NS1_11comp_targetILNS1_3genE10ELNS1_11target_archE1201ELNS1_3gpuE5ELNS1_3repE0EEENS1_30default_config_static_selectorELNS0_4arch9wavefront6targetE1EEEvT1_,@function
_ZN7rocprim17ROCPRIM_400000_NS6detail17trampoline_kernelINS0_14default_configENS1_29reduce_by_key_config_selectorIiiN6thrust23THRUST_200600_302600_NS4plusIiEEEEZZNS1_33reduce_by_key_impl_wrapped_configILNS1_25lookback_scan_determinismE0ES3_S9_NS6_6detail15normal_iteratorINS6_10device_ptrIiEEEESG_SG_SG_PmS8_22is_equal_div_10_reduceIiEEE10hipError_tPvRmT2_T3_mT4_T5_T6_T7_T8_P12ihipStream_tbENKUlT_T0_E_clISt17integral_constantIbLb1EES10_IbLb0EEEEDaSW_SX_EUlSW_E_NS1_11comp_targetILNS1_3genE10ELNS1_11target_archE1201ELNS1_3gpuE5ELNS1_3repE0EEENS1_30default_config_static_selectorELNS0_4arch9wavefront6targetE1EEEvT1_: ; @_ZN7rocprim17ROCPRIM_400000_NS6detail17trampoline_kernelINS0_14default_configENS1_29reduce_by_key_config_selectorIiiN6thrust23THRUST_200600_302600_NS4plusIiEEEEZZNS1_33reduce_by_key_impl_wrapped_configILNS1_25lookback_scan_determinismE0ES3_S9_NS6_6detail15normal_iteratorINS6_10device_ptrIiEEEESG_SG_SG_PmS8_22is_equal_div_10_reduceIiEEE10hipError_tPvRmT2_T3_mT4_T5_T6_T7_T8_P12ihipStream_tbENKUlT_T0_E_clISt17integral_constantIbLb1EES10_IbLb0EEEEDaSW_SX_EUlSW_E_NS1_11comp_targetILNS1_3genE10ELNS1_11target_archE1201ELNS1_3gpuE5ELNS1_3repE0EEENS1_30default_config_static_selectorELNS0_4arch9wavefront6targetE1EEEvT1_
; %bb.0:
	.section	.rodata,"a",@progbits
	.p2align	6, 0x0
	.amdhsa_kernel _ZN7rocprim17ROCPRIM_400000_NS6detail17trampoline_kernelINS0_14default_configENS1_29reduce_by_key_config_selectorIiiN6thrust23THRUST_200600_302600_NS4plusIiEEEEZZNS1_33reduce_by_key_impl_wrapped_configILNS1_25lookback_scan_determinismE0ES3_S9_NS6_6detail15normal_iteratorINS6_10device_ptrIiEEEESG_SG_SG_PmS8_22is_equal_div_10_reduceIiEEE10hipError_tPvRmT2_T3_mT4_T5_T6_T7_T8_P12ihipStream_tbENKUlT_T0_E_clISt17integral_constantIbLb1EES10_IbLb0EEEEDaSW_SX_EUlSW_E_NS1_11comp_targetILNS1_3genE10ELNS1_11target_archE1201ELNS1_3gpuE5ELNS1_3repE0EEENS1_30default_config_static_selectorELNS0_4arch9wavefront6targetE1EEEvT1_
		.amdhsa_group_segment_fixed_size 0
		.amdhsa_private_segment_fixed_size 0
		.amdhsa_kernarg_size 120
		.amdhsa_user_sgpr_count 6
		.amdhsa_user_sgpr_private_segment_buffer 1
		.amdhsa_user_sgpr_dispatch_ptr 0
		.amdhsa_user_sgpr_queue_ptr 0
		.amdhsa_user_sgpr_kernarg_segment_ptr 1
		.amdhsa_user_sgpr_dispatch_id 0
		.amdhsa_user_sgpr_flat_scratch_init 0
		.amdhsa_user_sgpr_kernarg_preload_length 0
		.amdhsa_user_sgpr_kernarg_preload_offset 0
		.amdhsa_user_sgpr_private_segment_size 0
		.amdhsa_uses_dynamic_stack 0
		.amdhsa_system_sgpr_private_segment_wavefront_offset 0
		.amdhsa_system_sgpr_workgroup_id_x 1
		.amdhsa_system_sgpr_workgroup_id_y 0
		.amdhsa_system_sgpr_workgroup_id_z 0
		.amdhsa_system_sgpr_workgroup_info 0
		.amdhsa_system_vgpr_workitem_id 0
		.amdhsa_next_free_vgpr 1
		.amdhsa_next_free_sgpr 0
		.amdhsa_accum_offset 4
		.amdhsa_reserve_vcc 0
		.amdhsa_reserve_flat_scratch 0
		.amdhsa_float_round_mode_32 0
		.amdhsa_float_round_mode_16_64 0
		.amdhsa_float_denorm_mode_32 3
		.amdhsa_float_denorm_mode_16_64 3
		.amdhsa_dx10_clamp 1
		.amdhsa_ieee_mode 1
		.amdhsa_fp16_overflow 0
		.amdhsa_tg_split 0
		.amdhsa_exception_fp_ieee_invalid_op 0
		.amdhsa_exception_fp_denorm_src 0
		.amdhsa_exception_fp_ieee_div_zero 0
		.amdhsa_exception_fp_ieee_overflow 0
		.amdhsa_exception_fp_ieee_underflow 0
		.amdhsa_exception_fp_ieee_inexact 0
		.amdhsa_exception_int_div_zero 0
	.end_amdhsa_kernel
	.section	.text._ZN7rocprim17ROCPRIM_400000_NS6detail17trampoline_kernelINS0_14default_configENS1_29reduce_by_key_config_selectorIiiN6thrust23THRUST_200600_302600_NS4plusIiEEEEZZNS1_33reduce_by_key_impl_wrapped_configILNS1_25lookback_scan_determinismE0ES3_S9_NS6_6detail15normal_iteratorINS6_10device_ptrIiEEEESG_SG_SG_PmS8_22is_equal_div_10_reduceIiEEE10hipError_tPvRmT2_T3_mT4_T5_T6_T7_T8_P12ihipStream_tbENKUlT_T0_E_clISt17integral_constantIbLb1EES10_IbLb0EEEEDaSW_SX_EUlSW_E_NS1_11comp_targetILNS1_3genE10ELNS1_11target_archE1201ELNS1_3gpuE5ELNS1_3repE0EEENS1_30default_config_static_selectorELNS0_4arch9wavefront6targetE1EEEvT1_,"axG",@progbits,_ZN7rocprim17ROCPRIM_400000_NS6detail17trampoline_kernelINS0_14default_configENS1_29reduce_by_key_config_selectorIiiN6thrust23THRUST_200600_302600_NS4plusIiEEEEZZNS1_33reduce_by_key_impl_wrapped_configILNS1_25lookback_scan_determinismE0ES3_S9_NS6_6detail15normal_iteratorINS6_10device_ptrIiEEEESG_SG_SG_PmS8_22is_equal_div_10_reduceIiEEE10hipError_tPvRmT2_T3_mT4_T5_T6_T7_T8_P12ihipStream_tbENKUlT_T0_E_clISt17integral_constantIbLb1EES10_IbLb0EEEEDaSW_SX_EUlSW_E_NS1_11comp_targetILNS1_3genE10ELNS1_11target_archE1201ELNS1_3gpuE5ELNS1_3repE0EEENS1_30default_config_static_selectorELNS0_4arch9wavefront6targetE1EEEvT1_,comdat
.Lfunc_end607:
	.size	_ZN7rocprim17ROCPRIM_400000_NS6detail17trampoline_kernelINS0_14default_configENS1_29reduce_by_key_config_selectorIiiN6thrust23THRUST_200600_302600_NS4plusIiEEEEZZNS1_33reduce_by_key_impl_wrapped_configILNS1_25lookback_scan_determinismE0ES3_S9_NS6_6detail15normal_iteratorINS6_10device_ptrIiEEEESG_SG_SG_PmS8_22is_equal_div_10_reduceIiEEE10hipError_tPvRmT2_T3_mT4_T5_T6_T7_T8_P12ihipStream_tbENKUlT_T0_E_clISt17integral_constantIbLb1EES10_IbLb0EEEEDaSW_SX_EUlSW_E_NS1_11comp_targetILNS1_3genE10ELNS1_11target_archE1201ELNS1_3gpuE5ELNS1_3repE0EEENS1_30default_config_static_selectorELNS0_4arch9wavefront6targetE1EEEvT1_, .Lfunc_end607-_ZN7rocprim17ROCPRIM_400000_NS6detail17trampoline_kernelINS0_14default_configENS1_29reduce_by_key_config_selectorIiiN6thrust23THRUST_200600_302600_NS4plusIiEEEEZZNS1_33reduce_by_key_impl_wrapped_configILNS1_25lookback_scan_determinismE0ES3_S9_NS6_6detail15normal_iteratorINS6_10device_ptrIiEEEESG_SG_SG_PmS8_22is_equal_div_10_reduceIiEEE10hipError_tPvRmT2_T3_mT4_T5_T6_T7_T8_P12ihipStream_tbENKUlT_T0_E_clISt17integral_constantIbLb1EES10_IbLb0EEEEDaSW_SX_EUlSW_E_NS1_11comp_targetILNS1_3genE10ELNS1_11target_archE1201ELNS1_3gpuE5ELNS1_3repE0EEENS1_30default_config_static_selectorELNS0_4arch9wavefront6targetE1EEEvT1_
                                        ; -- End function
	.section	.AMDGPU.csdata,"",@progbits
; Kernel info:
; codeLenInByte = 0
; NumSgprs: 4
; NumVgprs: 0
; NumAgprs: 0
; TotalNumVgprs: 0
; ScratchSize: 0
; MemoryBound: 0
; FloatMode: 240
; IeeeMode: 1
; LDSByteSize: 0 bytes/workgroup (compile time only)
; SGPRBlocks: 0
; VGPRBlocks: 0
; NumSGPRsForWavesPerEU: 4
; NumVGPRsForWavesPerEU: 1
; AccumOffset: 4
; Occupancy: 8
; WaveLimiterHint : 0
; COMPUTE_PGM_RSRC2:SCRATCH_EN: 0
; COMPUTE_PGM_RSRC2:USER_SGPR: 6
; COMPUTE_PGM_RSRC2:TRAP_HANDLER: 0
; COMPUTE_PGM_RSRC2:TGID_X_EN: 1
; COMPUTE_PGM_RSRC2:TGID_Y_EN: 0
; COMPUTE_PGM_RSRC2:TGID_Z_EN: 0
; COMPUTE_PGM_RSRC2:TIDIG_COMP_CNT: 0
; COMPUTE_PGM_RSRC3_GFX90A:ACCUM_OFFSET: 0
; COMPUTE_PGM_RSRC3_GFX90A:TG_SPLIT: 0
	.section	.text._ZN7rocprim17ROCPRIM_400000_NS6detail17trampoline_kernelINS0_14default_configENS1_29reduce_by_key_config_selectorIiiN6thrust23THRUST_200600_302600_NS4plusIiEEEEZZNS1_33reduce_by_key_impl_wrapped_configILNS1_25lookback_scan_determinismE0ES3_S9_NS6_6detail15normal_iteratorINS6_10device_ptrIiEEEESG_SG_SG_PmS8_22is_equal_div_10_reduceIiEEE10hipError_tPvRmT2_T3_mT4_T5_T6_T7_T8_P12ihipStream_tbENKUlT_T0_E_clISt17integral_constantIbLb1EES10_IbLb0EEEEDaSW_SX_EUlSW_E_NS1_11comp_targetILNS1_3genE10ELNS1_11target_archE1200ELNS1_3gpuE4ELNS1_3repE0EEENS1_30default_config_static_selectorELNS0_4arch9wavefront6targetE1EEEvT1_,"axG",@progbits,_ZN7rocprim17ROCPRIM_400000_NS6detail17trampoline_kernelINS0_14default_configENS1_29reduce_by_key_config_selectorIiiN6thrust23THRUST_200600_302600_NS4plusIiEEEEZZNS1_33reduce_by_key_impl_wrapped_configILNS1_25lookback_scan_determinismE0ES3_S9_NS6_6detail15normal_iteratorINS6_10device_ptrIiEEEESG_SG_SG_PmS8_22is_equal_div_10_reduceIiEEE10hipError_tPvRmT2_T3_mT4_T5_T6_T7_T8_P12ihipStream_tbENKUlT_T0_E_clISt17integral_constantIbLb1EES10_IbLb0EEEEDaSW_SX_EUlSW_E_NS1_11comp_targetILNS1_3genE10ELNS1_11target_archE1200ELNS1_3gpuE4ELNS1_3repE0EEENS1_30default_config_static_selectorELNS0_4arch9wavefront6targetE1EEEvT1_,comdat
	.protected	_ZN7rocprim17ROCPRIM_400000_NS6detail17trampoline_kernelINS0_14default_configENS1_29reduce_by_key_config_selectorIiiN6thrust23THRUST_200600_302600_NS4plusIiEEEEZZNS1_33reduce_by_key_impl_wrapped_configILNS1_25lookback_scan_determinismE0ES3_S9_NS6_6detail15normal_iteratorINS6_10device_ptrIiEEEESG_SG_SG_PmS8_22is_equal_div_10_reduceIiEEE10hipError_tPvRmT2_T3_mT4_T5_T6_T7_T8_P12ihipStream_tbENKUlT_T0_E_clISt17integral_constantIbLb1EES10_IbLb0EEEEDaSW_SX_EUlSW_E_NS1_11comp_targetILNS1_3genE10ELNS1_11target_archE1200ELNS1_3gpuE4ELNS1_3repE0EEENS1_30default_config_static_selectorELNS0_4arch9wavefront6targetE1EEEvT1_ ; -- Begin function _ZN7rocprim17ROCPRIM_400000_NS6detail17trampoline_kernelINS0_14default_configENS1_29reduce_by_key_config_selectorIiiN6thrust23THRUST_200600_302600_NS4plusIiEEEEZZNS1_33reduce_by_key_impl_wrapped_configILNS1_25lookback_scan_determinismE0ES3_S9_NS6_6detail15normal_iteratorINS6_10device_ptrIiEEEESG_SG_SG_PmS8_22is_equal_div_10_reduceIiEEE10hipError_tPvRmT2_T3_mT4_T5_T6_T7_T8_P12ihipStream_tbENKUlT_T0_E_clISt17integral_constantIbLb1EES10_IbLb0EEEEDaSW_SX_EUlSW_E_NS1_11comp_targetILNS1_3genE10ELNS1_11target_archE1200ELNS1_3gpuE4ELNS1_3repE0EEENS1_30default_config_static_selectorELNS0_4arch9wavefront6targetE1EEEvT1_
	.globl	_ZN7rocprim17ROCPRIM_400000_NS6detail17trampoline_kernelINS0_14default_configENS1_29reduce_by_key_config_selectorIiiN6thrust23THRUST_200600_302600_NS4plusIiEEEEZZNS1_33reduce_by_key_impl_wrapped_configILNS1_25lookback_scan_determinismE0ES3_S9_NS6_6detail15normal_iteratorINS6_10device_ptrIiEEEESG_SG_SG_PmS8_22is_equal_div_10_reduceIiEEE10hipError_tPvRmT2_T3_mT4_T5_T6_T7_T8_P12ihipStream_tbENKUlT_T0_E_clISt17integral_constantIbLb1EES10_IbLb0EEEEDaSW_SX_EUlSW_E_NS1_11comp_targetILNS1_3genE10ELNS1_11target_archE1200ELNS1_3gpuE4ELNS1_3repE0EEENS1_30default_config_static_selectorELNS0_4arch9wavefront6targetE1EEEvT1_
	.p2align	8
	.type	_ZN7rocprim17ROCPRIM_400000_NS6detail17trampoline_kernelINS0_14default_configENS1_29reduce_by_key_config_selectorIiiN6thrust23THRUST_200600_302600_NS4plusIiEEEEZZNS1_33reduce_by_key_impl_wrapped_configILNS1_25lookback_scan_determinismE0ES3_S9_NS6_6detail15normal_iteratorINS6_10device_ptrIiEEEESG_SG_SG_PmS8_22is_equal_div_10_reduceIiEEE10hipError_tPvRmT2_T3_mT4_T5_T6_T7_T8_P12ihipStream_tbENKUlT_T0_E_clISt17integral_constantIbLb1EES10_IbLb0EEEEDaSW_SX_EUlSW_E_NS1_11comp_targetILNS1_3genE10ELNS1_11target_archE1200ELNS1_3gpuE4ELNS1_3repE0EEENS1_30default_config_static_selectorELNS0_4arch9wavefront6targetE1EEEvT1_,@function
_ZN7rocprim17ROCPRIM_400000_NS6detail17trampoline_kernelINS0_14default_configENS1_29reduce_by_key_config_selectorIiiN6thrust23THRUST_200600_302600_NS4plusIiEEEEZZNS1_33reduce_by_key_impl_wrapped_configILNS1_25lookback_scan_determinismE0ES3_S9_NS6_6detail15normal_iteratorINS6_10device_ptrIiEEEESG_SG_SG_PmS8_22is_equal_div_10_reduceIiEEE10hipError_tPvRmT2_T3_mT4_T5_T6_T7_T8_P12ihipStream_tbENKUlT_T0_E_clISt17integral_constantIbLb1EES10_IbLb0EEEEDaSW_SX_EUlSW_E_NS1_11comp_targetILNS1_3genE10ELNS1_11target_archE1200ELNS1_3gpuE4ELNS1_3repE0EEENS1_30default_config_static_selectorELNS0_4arch9wavefront6targetE1EEEvT1_: ; @_ZN7rocprim17ROCPRIM_400000_NS6detail17trampoline_kernelINS0_14default_configENS1_29reduce_by_key_config_selectorIiiN6thrust23THRUST_200600_302600_NS4plusIiEEEEZZNS1_33reduce_by_key_impl_wrapped_configILNS1_25lookback_scan_determinismE0ES3_S9_NS6_6detail15normal_iteratorINS6_10device_ptrIiEEEESG_SG_SG_PmS8_22is_equal_div_10_reduceIiEEE10hipError_tPvRmT2_T3_mT4_T5_T6_T7_T8_P12ihipStream_tbENKUlT_T0_E_clISt17integral_constantIbLb1EES10_IbLb0EEEEDaSW_SX_EUlSW_E_NS1_11comp_targetILNS1_3genE10ELNS1_11target_archE1200ELNS1_3gpuE4ELNS1_3repE0EEENS1_30default_config_static_selectorELNS0_4arch9wavefront6targetE1EEEvT1_
; %bb.0:
	.section	.rodata,"a",@progbits
	.p2align	6, 0x0
	.amdhsa_kernel _ZN7rocprim17ROCPRIM_400000_NS6detail17trampoline_kernelINS0_14default_configENS1_29reduce_by_key_config_selectorIiiN6thrust23THRUST_200600_302600_NS4plusIiEEEEZZNS1_33reduce_by_key_impl_wrapped_configILNS1_25lookback_scan_determinismE0ES3_S9_NS6_6detail15normal_iteratorINS6_10device_ptrIiEEEESG_SG_SG_PmS8_22is_equal_div_10_reduceIiEEE10hipError_tPvRmT2_T3_mT4_T5_T6_T7_T8_P12ihipStream_tbENKUlT_T0_E_clISt17integral_constantIbLb1EES10_IbLb0EEEEDaSW_SX_EUlSW_E_NS1_11comp_targetILNS1_3genE10ELNS1_11target_archE1200ELNS1_3gpuE4ELNS1_3repE0EEENS1_30default_config_static_selectorELNS0_4arch9wavefront6targetE1EEEvT1_
		.amdhsa_group_segment_fixed_size 0
		.amdhsa_private_segment_fixed_size 0
		.amdhsa_kernarg_size 120
		.amdhsa_user_sgpr_count 6
		.amdhsa_user_sgpr_private_segment_buffer 1
		.amdhsa_user_sgpr_dispatch_ptr 0
		.amdhsa_user_sgpr_queue_ptr 0
		.amdhsa_user_sgpr_kernarg_segment_ptr 1
		.amdhsa_user_sgpr_dispatch_id 0
		.amdhsa_user_sgpr_flat_scratch_init 0
		.amdhsa_user_sgpr_kernarg_preload_length 0
		.amdhsa_user_sgpr_kernarg_preload_offset 0
		.amdhsa_user_sgpr_private_segment_size 0
		.amdhsa_uses_dynamic_stack 0
		.amdhsa_system_sgpr_private_segment_wavefront_offset 0
		.amdhsa_system_sgpr_workgroup_id_x 1
		.amdhsa_system_sgpr_workgroup_id_y 0
		.amdhsa_system_sgpr_workgroup_id_z 0
		.amdhsa_system_sgpr_workgroup_info 0
		.amdhsa_system_vgpr_workitem_id 0
		.amdhsa_next_free_vgpr 1
		.amdhsa_next_free_sgpr 0
		.amdhsa_accum_offset 4
		.amdhsa_reserve_vcc 0
		.amdhsa_reserve_flat_scratch 0
		.amdhsa_float_round_mode_32 0
		.amdhsa_float_round_mode_16_64 0
		.amdhsa_float_denorm_mode_32 3
		.amdhsa_float_denorm_mode_16_64 3
		.amdhsa_dx10_clamp 1
		.amdhsa_ieee_mode 1
		.amdhsa_fp16_overflow 0
		.amdhsa_tg_split 0
		.amdhsa_exception_fp_ieee_invalid_op 0
		.amdhsa_exception_fp_denorm_src 0
		.amdhsa_exception_fp_ieee_div_zero 0
		.amdhsa_exception_fp_ieee_overflow 0
		.amdhsa_exception_fp_ieee_underflow 0
		.amdhsa_exception_fp_ieee_inexact 0
		.amdhsa_exception_int_div_zero 0
	.end_amdhsa_kernel
	.section	.text._ZN7rocprim17ROCPRIM_400000_NS6detail17trampoline_kernelINS0_14default_configENS1_29reduce_by_key_config_selectorIiiN6thrust23THRUST_200600_302600_NS4plusIiEEEEZZNS1_33reduce_by_key_impl_wrapped_configILNS1_25lookback_scan_determinismE0ES3_S9_NS6_6detail15normal_iteratorINS6_10device_ptrIiEEEESG_SG_SG_PmS8_22is_equal_div_10_reduceIiEEE10hipError_tPvRmT2_T3_mT4_T5_T6_T7_T8_P12ihipStream_tbENKUlT_T0_E_clISt17integral_constantIbLb1EES10_IbLb0EEEEDaSW_SX_EUlSW_E_NS1_11comp_targetILNS1_3genE10ELNS1_11target_archE1200ELNS1_3gpuE4ELNS1_3repE0EEENS1_30default_config_static_selectorELNS0_4arch9wavefront6targetE1EEEvT1_,"axG",@progbits,_ZN7rocprim17ROCPRIM_400000_NS6detail17trampoline_kernelINS0_14default_configENS1_29reduce_by_key_config_selectorIiiN6thrust23THRUST_200600_302600_NS4plusIiEEEEZZNS1_33reduce_by_key_impl_wrapped_configILNS1_25lookback_scan_determinismE0ES3_S9_NS6_6detail15normal_iteratorINS6_10device_ptrIiEEEESG_SG_SG_PmS8_22is_equal_div_10_reduceIiEEE10hipError_tPvRmT2_T3_mT4_T5_T6_T7_T8_P12ihipStream_tbENKUlT_T0_E_clISt17integral_constantIbLb1EES10_IbLb0EEEEDaSW_SX_EUlSW_E_NS1_11comp_targetILNS1_3genE10ELNS1_11target_archE1200ELNS1_3gpuE4ELNS1_3repE0EEENS1_30default_config_static_selectorELNS0_4arch9wavefront6targetE1EEEvT1_,comdat
.Lfunc_end608:
	.size	_ZN7rocprim17ROCPRIM_400000_NS6detail17trampoline_kernelINS0_14default_configENS1_29reduce_by_key_config_selectorIiiN6thrust23THRUST_200600_302600_NS4plusIiEEEEZZNS1_33reduce_by_key_impl_wrapped_configILNS1_25lookback_scan_determinismE0ES3_S9_NS6_6detail15normal_iteratorINS6_10device_ptrIiEEEESG_SG_SG_PmS8_22is_equal_div_10_reduceIiEEE10hipError_tPvRmT2_T3_mT4_T5_T6_T7_T8_P12ihipStream_tbENKUlT_T0_E_clISt17integral_constantIbLb1EES10_IbLb0EEEEDaSW_SX_EUlSW_E_NS1_11comp_targetILNS1_3genE10ELNS1_11target_archE1200ELNS1_3gpuE4ELNS1_3repE0EEENS1_30default_config_static_selectorELNS0_4arch9wavefront6targetE1EEEvT1_, .Lfunc_end608-_ZN7rocprim17ROCPRIM_400000_NS6detail17trampoline_kernelINS0_14default_configENS1_29reduce_by_key_config_selectorIiiN6thrust23THRUST_200600_302600_NS4plusIiEEEEZZNS1_33reduce_by_key_impl_wrapped_configILNS1_25lookback_scan_determinismE0ES3_S9_NS6_6detail15normal_iteratorINS6_10device_ptrIiEEEESG_SG_SG_PmS8_22is_equal_div_10_reduceIiEEE10hipError_tPvRmT2_T3_mT4_T5_T6_T7_T8_P12ihipStream_tbENKUlT_T0_E_clISt17integral_constantIbLb1EES10_IbLb0EEEEDaSW_SX_EUlSW_E_NS1_11comp_targetILNS1_3genE10ELNS1_11target_archE1200ELNS1_3gpuE4ELNS1_3repE0EEENS1_30default_config_static_selectorELNS0_4arch9wavefront6targetE1EEEvT1_
                                        ; -- End function
	.section	.AMDGPU.csdata,"",@progbits
; Kernel info:
; codeLenInByte = 0
; NumSgprs: 4
; NumVgprs: 0
; NumAgprs: 0
; TotalNumVgprs: 0
; ScratchSize: 0
; MemoryBound: 0
; FloatMode: 240
; IeeeMode: 1
; LDSByteSize: 0 bytes/workgroup (compile time only)
; SGPRBlocks: 0
; VGPRBlocks: 0
; NumSGPRsForWavesPerEU: 4
; NumVGPRsForWavesPerEU: 1
; AccumOffset: 4
; Occupancy: 8
; WaveLimiterHint : 0
; COMPUTE_PGM_RSRC2:SCRATCH_EN: 0
; COMPUTE_PGM_RSRC2:USER_SGPR: 6
; COMPUTE_PGM_RSRC2:TRAP_HANDLER: 0
; COMPUTE_PGM_RSRC2:TGID_X_EN: 1
; COMPUTE_PGM_RSRC2:TGID_Y_EN: 0
; COMPUTE_PGM_RSRC2:TGID_Z_EN: 0
; COMPUTE_PGM_RSRC2:TIDIG_COMP_CNT: 0
; COMPUTE_PGM_RSRC3_GFX90A:ACCUM_OFFSET: 0
; COMPUTE_PGM_RSRC3_GFX90A:TG_SPLIT: 0
	.section	.text._ZN7rocprim17ROCPRIM_400000_NS6detail17trampoline_kernelINS0_14default_configENS1_29reduce_by_key_config_selectorIiiN6thrust23THRUST_200600_302600_NS4plusIiEEEEZZNS1_33reduce_by_key_impl_wrapped_configILNS1_25lookback_scan_determinismE0ES3_S9_NS6_6detail15normal_iteratorINS6_10device_ptrIiEEEESG_SG_SG_PmS8_22is_equal_div_10_reduceIiEEE10hipError_tPvRmT2_T3_mT4_T5_T6_T7_T8_P12ihipStream_tbENKUlT_T0_E_clISt17integral_constantIbLb1EES10_IbLb0EEEEDaSW_SX_EUlSW_E_NS1_11comp_targetILNS1_3genE9ELNS1_11target_archE1100ELNS1_3gpuE3ELNS1_3repE0EEENS1_30default_config_static_selectorELNS0_4arch9wavefront6targetE1EEEvT1_,"axG",@progbits,_ZN7rocprim17ROCPRIM_400000_NS6detail17trampoline_kernelINS0_14default_configENS1_29reduce_by_key_config_selectorIiiN6thrust23THRUST_200600_302600_NS4plusIiEEEEZZNS1_33reduce_by_key_impl_wrapped_configILNS1_25lookback_scan_determinismE0ES3_S9_NS6_6detail15normal_iteratorINS6_10device_ptrIiEEEESG_SG_SG_PmS8_22is_equal_div_10_reduceIiEEE10hipError_tPvRmT2_T3_mT4_T5_T6_T7_T8_P12ihipStream_tbENKUlT_T0_E_clISt17integral_constantIbLb1EES10_IbLb0EEEEDaSW_SX_EUlSW_E_NS1_11comp_targetILNS1_3genE9ELNS1_11target_archE1100ELNS1_3gpuE3ELNS1_3repE0EEENS1_30default_config_static_selectorELNS0_4arch9wavefront6targetE1EEEvT1_,comdat
	.protected	_ZN7rocprim17ROCPRIM_400000_NS6detail17trampoline_kernelINS0_14default_configENS1_29reduce_by_key_config_selectorIiiN6thrust23THRUST_200600_302600_NS4plusIiEEEEZZNS1_33reduce_by_key_impl_wrapped_configILNS1_25lookback_scan_determinismE0ES3_S9_NS6_6detail15normal_iteratorINS6_10device_ptrIiEEEESG_SG_SG_PmS8_22is_equal_div_10_reduceIiEEE10hipError_tPvRmT2_T3_mT4_T5_T6_T7_T8_P12ihipStream_tbENKUlT_T0_E_clISt17integral_constantIbLb1EES10_IbLb0EEEEDaSW_SX_EUlSW_E_NS1_11comp_targetILNS1_3genE9ELNS1_11target_archE1100ELNS1_3gpuE3ELNS1_3repE0EEENS1_30default_config_static_selectorELNS0_4arch9wavefront6targetE1EEEvT1_ ; -- Begin function _ZN7rocprim17ROCPRIM_400000_NS6detail17trampoline_kernelINS0_14default_configENS1_29reduce_by_key_config_selectorIiiN6thrust23THRUST_200600_302600_NS4plusIiEEEEZZNS1_33reduce_by_key_impl_wrapped_configILNS1_25lookback_scan_determinismE0ES3_S9_NS6_6detail15normal_iteratorINS6_10device_ptrIiEEEESG_SG_SG_PmS8_22is_equal_div_10_reduceIiEEE10hipError_tPvRmT2_T3_mT4_T5_T6_T7_T8_P12ihipStream_tbENKUlT_T0_E_clISt17integral_constantIbLb1EES10_IbLb0EEEEDaSW_SX_EUlSW_E_NS1_11comp_targetILNS1_3genE9ELNS1_11target_archE1100ELNS1_3gpuE3ELNS1_3repE0EEENS1_30default_config_static_selectorELNS0_4arch9wavefront6targetE1EEEvT1_
	.globl	_ZN7rocprim17ROCPRIM_400000_NS6detail17trampoline_kernelINS0_14default_configENS1_29reduce_by_key_config_selectorIiiN6thrust23THRUST_200600_302600_NS4plusIiEEEEZZNS1_33reduce_by_key_impl_wrapped_configILNS1_25lookback_scan_determinismE0ES3_S9_NS6_6detail15normal_iteratorINS6_10device_ptrIiEEEESG_SG_SG_PmS8_22is_equal_div_10_reduceIiEEE10hipError_tPvRmT2_T3_mT4_T5_T6_T7_T8_P12ihipStream_tbENKUlT_T0_E_clISt17integral_constantIbLb1EES10_IbLb0EEEEDaSW_SX_EUlSW_E_NS1_11comp_targetILNS1_3genE9ELNS1_11target_archE1100ELNS1_3gpuE3ELNS1_3repE0EEENS1_30default_config_static_selectorELNS0_4arch9wavefront6targetE1EEEvT1_
	.p2align	8
	.type	_ZN7rocprim17ROCPRIM_400000_NS6detail17trampoline_kernelINS0_14default_configENS1_29reduce_by_key_config_selectorIiiN6thrust23THRUST_200600_302600_NS4plusIiEEEEZZNS1_33reduce_by_key_impl_wrapped_configILNS1_25lookback_scan_determinismE0ES3_S9_NS6_6detail15normal_iteratorINS6_10device_ptrIiEEEESG_SG_SG_PmS8_22is_equal_div_10_reduceIiEEE10hipError_tPvRmT2_T3_mT4_T5_T6_T7_T8_P12ihipStream_tbENKUlT_T0_E_clISt17integral_constantIbLb1EES10_IbLb0EEEEDaSW_SX_EUlSW_E_NS1_11comp_targetILNS1_3genE9ELNS1_11target_archE1100ELNS1_3gpuE3ELNS1_3repE0EEENS1_30default_config_static_selectorELNS0_4arch9wavefront6targetE1EEEvT1_,@function
_ZN7rocprim17ROCPRIM_400000_NS6detail17trampoline_kernelINS0_14default_configENS1_29reduce_by_key_config_selectorIiiN6thrust23THRUST_200600_302600_NS4plusIiEEEEZZNS1_33reduce_by_key_impl_wrapped_configILNS1_25lookback_scan_determinismE0ES3_S9_NS6_6detail15normal_iteratorINS6_10device_ptrIiEEEESG_SG_SG_PmS8_22is_equal_div_10_reduceIiEEE10hipError_tPvRmT2_T3_mT4_T5_T6_T7_T8_P12ihipStream_tbENKUlT_T0_E_clISt17integral_constantIbLb1EES10_IbLb0EEEEDaSW_SX_EUlSW_E_NS1_11comp_targetILNS1_3genE9ELNS1_11target_archE1100ELNS1_3gpuE3ELNS1_3repE0EEENS1_30default_config_static_selectorELNS0_4arch9wavefront6targetE1EEEvT1_: ; @_ZN7rocprim17ROCPRIM_400000_NS6detail17trampoline_kernelINS0_14default_configENS1_29reduce_by_key_config_selectorIiiN6thrust23THRUST_200600_302600_NS4plusIiEEEEZZNS1_33reduce_by_key_impl_wrapped_configILNS1_25lookback_scan_determinismE0ES3_S9_NS6_6detail15normal_iteratorINS6_10device_ptrIiEEEESG_SG_SG_PmS8_22is_equal_div_10_reduceIiEEE10hipError_tPvRmT2_T3_mT4_T5_T6_T7_T8_P12ihipStream_tbENKUlT_T0_E_clISt17integral_constantIbLb1EES10_IbLb0EEEEDaSW_SX_EUlSW_E_NS1_11comp_targetILNS1_3genE9ELNS1_11target_archE1100ELNS1_3gpuE3ELNS1_3repE0EEENS1_30default_config_static_selectorELNS0_4arch9wavefront6targetE1EEEvT1_
; %bb.0:
	.section	.rodata,"a",@progbits
	.p2align	6, 0x0
	.amdhsa_kernel _ZN7rocprim17ROCPRIM_400000_NS6detail17trampoline_kernelINS0_14default_configENS1_29reduce_by_key_config_selectorIiiN6thrust23THRUST_200600_302600_NS4plusIiEEEEZZNS1_33reduce_by_key_impl_wrapped_configILNS1_25lookback_scan_determinismE0ES3_S9_NS6_6detail15normal_iteratorINS6_10device_ptrIiEEEESG_SG_SG_PmS8_22is_equal_div_10_reduceIiEEE10hipError_tPvRmT2_T3_mT4_T5_T6_T7_T8_P12ihipStream_tbENKUlT_T0_E_clISt17integral_constantIbLb1EES10_IbLb0EEEEDaSW_SX_EUlSW_E_NS1_11comp_targetILNS1_3genE9ELNS1_11target_archE1100ELNS1_3gpuE3ELNS1_3repE0EEENS1_30default_config_static_selectorELNS0_4arch9wavefront6targetE1EEEvT1_
		.amdhsa_group_segment_fixed_size 0
		.amdhsa_private_segment_fixed_size 0
		.amdhsa_kernarg_size 120
		.amdhsa_user_sgpr_count 6
		.amdhsa_user_sgpr_private_segment_buffer 1
		.amdhsa_user_sgpr_dispatch_ptr 0
		.amdhsa_user_sgpr_queue_ptr 0
		.amdhsa_user_sgpr_kernarg_segment_ptr 1
		.amdhsa_user_sgpr_dispatch_id 0
		.amdhsa_user_sgpr_flat_scratch_init 0
		.amdhsa_user_sgpr_kernarg_preload_length 0
		.amdhsa_user_sgpr_kernarg_preload_offset 0
		.amdhsa_user_sgpr_private_segment_size 0
		.amdhsa_uses_dynamic_stack 0
		.amdhsa_system_sgpr_private_segment_wavefront_offset 0
		.amdhsa_system_sgpr_workgroup_id_x 1
		.amdhsa_system_sgpr_workgroup_id_y 0
		.amdhsa_system_sgpr_workgroup_id_z 0
		.amdhsa_system_sgpr_workgroup_info 0
		.amdhsa_system_vgpr_workitem_id 0
		.amdhsa_next_free_vgpr 1
		.amdhsa_next_free_sgpr 0
		.amdhsa_accum_offset 4
		.amdhsa_reserve_vcc 0
		.amdhsa_reserve_flat_scratch 0
		.amdhsa_float_round_mode_32 0
		.amdhsa_float_round_mode_16_64 0
		.amdhsa_float_denorm_mode_32 3
		.amdhsa_float_denorm_mode_16_64 3
		.amdhsa_dx10_clamp 1
		.amdhsa_ieee_mode 1
		.amdhsa_fp16_overflow 0
		.amdhsa_tg_split 0
		.amdhsa_exception_fp_ieee_invalid_op 0
		.amdhsa_exception_fp_denorm_src 0
		.amdhsa_exception_fp_ieee_div_zero 0
		.amdhsa_exception_fp_ieee_overflow 0
		.amdhsa_exception_fp_ieee_underflow 0
		.amdhsa_exception_fp_ieee_inexact 0
		.amdhsa_exception_int_div_zero 0
	.end_amdhsa_kernel
	.section	.text._ZN7rocprim17ROCPRIM_400000_NS6detail17trampoline_kernelINS0_14default_configENS1_29reduce_by_key_config_selectorIiiN6thrust23THRUST_200600_302600_NS4plusIiEEEEZZNS1_33reduce_by_key_impl_wrapped_configILNS1_25lookback_scan_determinismE0ES3_S9_NS6_6detail15normal_iteratorINS6_10device_ptrIiEEEESG_SG_SG_PmS8_22is_equal_div_10_reduceIiEEE10hipError_tPvRmT2_T3_mT4_T5_T6_T7_T8_P12ihipStream_tbENKUlT_T0_E_clISt17integral_constantIbLb1EES10_IbLb0EEEEDaSW_SX_EUlSW_E_NS1_11comp_targetILNS1_3genE9ELNS1_11target_archE1100ELNS1_3gpuE3ELNS1_3repE0EEENS1_30default_config_static_selectorELNS0_4arch9wavefront6targetE1EEEvT1_,"axG",@progbits,_ZN7rocprim17ROCPRIM_400000_NS6detail17trampoline_kernelINS0_14default_configENS1_29reduce_by_key_config_selectorIiiN6thrust23THRUST_200600_302600_NS4plusIiEEEEZZNS1_33reduce_by_key_impl_wrapped_configILNS1_25lookback_scan_determinismE0ES3_S9_NS6_6detail15normal_iteratorINS6_10device_ptrIiEEEESG_SG_SG_PmS8_22is_equal_div_10_reduceIiEEE10hipError_tPvRmT2_T3_mT4_T5_T6_T7_T8_P12ihipStream_tbENKUlT_T0_E_clISt17integral_constantIbLb1EES10_IbLb0EEEEDaSW_SX_EUlSW_E_NS1_11comp_targetILNS1_3genE9ELNS1_11target_archE1100ELNS1_3gpuE3ELNS1_3repE0EEENS1_30default_config_static_selectorELNS0_4arch9wavefront6targetE1EEEvT1_,comdat
.Lfunc_end609:
	.size	_ZN7rocprim17ROCPRIM_400000_NS6detail17trampoline_kernelINS0_14default_configENS1_29reduce_by_key_config_selectorIiiN6thrust23THRUST_200600_302600_NS4plusIiEEEEZZNS1_33reduce_by_key_impl_wrapped_configILNS1_25lookback_scan_determinismE0ES3_S9_NS6_6detail15normal_iteratorINS6_10device_ptrIiEEEESG_SG_SG_PmS8_22is_equal_div_10_reduceIiEEE10hipError_tPvRmT2_T3_mT4_T5_T6_T7_T8_P12ihipStream_tbENKUlT_T0_E_clISt17integral_constantIbLb1EES10_IbLb0EEEEDaSW_SX_EUlSW_E_NS1_11comp_targetILNS1_3genE9ELNS1_11target_archE1100ELNS1_3gpuE3ELNS1_3repE0EEENS1_30default_config_static_selectorELNS0_4arch9wavefront6targetE1EEEvT1_, .Lfunc_end609-_ZN7rocprim17ROCPRIM_400000_NS6detail17trampoline_kernelINS0_14default_configENS1_29reduce_by_key_config_selectorIiiN6thrust23THRUST_200600_302600_NS4plusIiEEEEZZNS1_33reduce_by_key_impl_wrapped_configILNS1_25lookback_scan_determinismE0ES3_S9_NS6_6detail15normal_iteratorINS6_10device_ptrIiEEEESG_SG_SG_PmS8_22is_equal_div_10_reduceIiEEE10hipError_tPvRmT2_T3_mT4_T5_T6_T7_T8_P12ihipStream_tbENKUlT_T0_E_clISt17integral_constantIbLb1EES10_IbLb0EEEEDaSW_SX_EUlSW_E_NS1_11comp_targetILNS1_3genE9ELNS1_11target_archE1100ELNS1_3gpuE3ELNS1_3repE0EEENS1_30default_config_static_selectorELNS0_4arch9wavefront6targetE1EEEvT1_
                                        ; -- End function
	.section	.AMDGPU.csdata,"",@progbits
; Kernel info:
; codeLenInByte = 0
; NumSgprs: 4
; NumVgprs: 0
; NumAgprs: 0
; TotalNumVgprs: 0
; ScratchSize: 0
; MemoryBound: 0
; FloatMode: 240
; IeeeMode: 1
; LDSByteSize: 0 bytes/workgroup (compile time only)
; SGPRBlocks: 0
; VGPRBlocks: 0
; NumSGPRsForWavesPerEU: 4
; NumVGPRsForWavesPerEU: 1
; AccumOffset: 4
; Occupancy: 8
; WaveLimiterHint : 0
; COMPUTE_PGM_RSRC2:SCRATCH_EN: 0
; COMPUTE_PGM_RSRC2:USER_SGPR: 6
; COMPUTE_PGM_RSRC2:TRAP_HANDLER: 0
; COMPUTE_PGM_RSRC2:TGID_X_EN: 1
; COMPUTE_PGM_RSRC2:TGID_Y_EN: 0
; COMPUTE_PGM_RSRC2:TGID_Z_EN: 0
; COMPUTE_PGM_RSRC2:TIDIG_COMP_CNT: 0
; COMPUTE_PGM_RSRC3_GFX90A:ACCUM_OFFSET: 0
; COMPUTE_PGM_RSRC3_GFX90A:TG_SPLIT: 0
	.section	.text._ZN7rocprim17ROCPRIM_400000_NS6detail17trampoline_kernelINS0_14default_configENS1_29reduce_by_key_config_selectorIiiN6thrust23THRUST_200600_302600_NS4plusIiEEEEZZNS1_33reduce_by_key_impl_wrapped_configILNS1_25lookback_scan_determinismE0ES3_S9_NS6_6detail15normal_iteratorINS6_10device_ptrIiEEEESG_SG_SG_PmS8_22is_equal_div_10_reduceIiEEE10hipError_tPvRmT2_T3_mT4_T5_T6_T7_T8_P12ihipStream_tbENKUlT_T0_E_clISt17integral_constantIbLb1EES10_IbLb0EEEEDaSW_SX_EUlSW_E_NS1_11comp_targetILNS1_3genE8ELNS1_11target_archE1030ELNS1_3gpuE2ELNS1_3repE0EEENS1_30default_config_static_selectorELNS0_4arch9wavefront6targetE1EEEvT1_,"axG",@progbits,_ZN7rocprim17ROCPRIM_400000_NS6detail17trampoline_kernelINS0_14default_configENS1_29reduce_by_key_config_selectorIiiN6thrust23THRUST_200600_302600_NS4plusIiEEEEZZNS1_33reduce_by_key_impl_wrapped_configILNS1_25lookback_scan_determinismE0ES3_S9_NS6_6detail15normal_iteratorINS6_10device_ptrIiEEEESG_SG_SG_PmS8_22is_equal_div_10_reduceIiEEE10hipError_tPvRmT2_T3_mT4_T5_T6_T7_T8_P12ihipStream_tbENKUlT_T0_E_clISt17integral_constantIbLb1EES10_IbLb0EEEEDaSW_SX_EUlSW_E_NS1_11comp_targetILNS1_3genE8ELNS1_11target_archE1030ELNS1_3gpuE2ELNS1_3repE0EEENS1_30default_config_static_selectorELNS0_4arch9wavefront6targetE1EEEvT1_,comdat
	.protected	_ZN7rocprim17ROCPRIM_400000_NS6detail17trampoline_kernelINS0_14default_configENS1_29reduce_by_key_config_selectorIiiN6thrust23THRUST_200600_302600_NS4plusIiEEEEZZNS1_33reduce_by_key_impl_wrapped_configILNS1_25lookback_scan_determinismE0ES3_S9_NS6_6detail15normal_iteratorINS6_10device_ptrIiEEEESG_SG_SG_PmS8_22is_equal_div_10_reduceIiEEE10hipError_tPvRmT2_T3_mT4_T5_T6_T7_T8_P12ihipStream_tbENKUlT_T0_E_clISt17integral_constantIbLb1EES10_IbLb0EEEEDaSW_SX_EUlSW_E_NS1_11comp_targetILNS1_3genE8ELNS1_11target_archE1030ELNS1_3gpuE2ELNS1_3repE0EEENS1_30default_config_static_selectorELNS0_4arch9wavefront6targetE1EEEvT1_ ; -- Begin function _ZN7rocprim17ROCPRIM_400000_NS6detail17trampoline_kernelINS0_14default_configENS1_29reduce_by_key_config_selectorIiiN6thrust23THRUST_200600_302600_NS4plusIiEEEEZZNS1_33reduce_by_key_impl_wrapped_configILNS1_25lookback_scan_determinismE0ES3_S9_NS6_6detail15normal_iteratorINS6_10device_ptrIiEEEESG_SG_SG_PmS8_22is_equal_div_10_reduceIiEEE10hipError_tPvRmT2_T3_mT4_T5_T6_T7_T8_P12ihipStream_tbENKUlT_T0_E_clISt17integral_constantIbLb1EES10_IbLb0EEEEDaSW_SX_EUlSW_E_NS1_11comp_targetILNS1_3genE8ELNS1_11target_archE1030ELNS1_3gpuE2ELNS1_3repE0EEENS1_30default_config_static_selectorELNS0_4arch9wavefront6targetE1EEEvT1_
	.globl	_ZN7rocprim17ROCPRIM_400000_NS6detail17trampoline_kernelINS0_14default_configENS1_29reduce_by_key_config_selectorIiiN6thrust23THRUST_200600_302600_NS4plusIiEEEEZZNS1_33reduce_by_key_impl_wrapped_configILNS1_25lookback_scan_determinismE0ES3_S9_NS6_6detail15normal_iteratorINS6_10device_ptrIiEEEESG_SG_SG_PmS8_22is_equal_div_10_reduceIiEEE10hipError_tPvRmT2_T3_mT4_T5_T6_T7_T8_P12ihipStream_tbENKUlT_T0_E_clISt17integral_constantIbLb1EES10_IbLb0EEEEDaSW_SX_EUlSW_E_NS1_11comp_targetILNS1_3genE8ELNS1_11target_archE1030ELNS1_3gpuE2ELNS1_3repE0EEENS1_30default_config_static_selectorELNS0_4arch9wavefront6targetE1EEEvT1_
	.p2align	8
	.type	_ZN7rocprim17ROCPRIM_400000_NS6detail17trampoline_kernelINS0_14default_configENS1_29reduce_by_key_config_selectorIiiN6thrust23THRUST_200600_302600_NS4plusIiEEEEZZNS1_33reduce_by_key_impl_wrapped_configILNS1_25lookback_scan_determinismE0ES3_S9_NS6_6detail15normal_iteratorINS6_10device_ptrIiEEEESG_SG_SG_PmS8_22is_equal_div_10_reduceIiEEE10hipError_tPvRmT2_T3_mT4_T5_T6_T7_T8_P12ihipStream_tbENKUlT_T0_E_clISt17integral_constantIbLb1EES10_IbLb0EEEEDaSW_SX_EUlSW_E_NS1_11comp_targetILNS1_3genE8ELNS1_11target_archE1030ELNS1_3gpuE2ELNS1_3repE0EEENS1_30default_config_static_selectorELNS0_4arch9wavefront6targetE1EEEvT1_,@function
_ZN7rocprim17ROCPRIM_400000_NS6detail17trampoline_kernelINS0_14default_configENS1_29reduce_by_key_config_selectorIiiN6thrust23THRUST_200600_302600_NS4plusIiEEEEZZNS1_33reduce_by_key_impl_wrapped_configILNS1_25lookback_scan_determinismE0ES3_S9_NS6_6detail15normal_iteratorINS6_10device_ptrIiEEEESG_SG_SG_PmS8_22is_equal_div_10_reduceIiEEE10hipError_tPvRmT2_T3_mT4_T5_T6_T7_T8_P12ihipStream_tbENKUlT_T0_E_clISt17integral_constantIbLb1EES10_IbLb0EEEEDaSW_SX_EUlSW_E_NS1_11comp_targetILNS1_3genE8ELNS1_11target_archE1030ELNS1_3gpuE2ELNS1_3repE0EEENS1_30default_config_static_selectorELNS0_4arch9wavefront6targetE1EEEvT1_: ; @_ZN7rocprim17ROCPRIM_400000_NS6detail17trampoline_kernelINS0_14default_configENS1_29reduce_by_key_config_selectorIiiN6thrust23THRUST_200600_302600_NS4plusIiEEEEZZNS1_33reduce_by_key_impl_wrapped_configILNS1_25lookback_scan_determinismE0ES3_S9_NS6_6detail15normal_iteratorINS6_10device_ptrIiEEEESG_SG_SG_PmS8_22is_equal_div_10_reduceIiEEE10hipError_tPvRmT2_T3_mT4_T5_T6_T7_T8_P12ihipStream_tbENKUlT_T0_E_clISt17integral_constantIbLb1EES10_IbLb0EEEEDaSW_SX_EUlSW_E_NS1_11comp_targetILNS1_3genE8ELNS1_11target_archE1030ELNS1_3gpuE2ELNS1_3repE0EEENS1_30default_config_static_selectorELNS0_4arch9wavefront6targetE1EEEvT1_
; %bb.0:
	.section	.rodata,"a",@progbits
	.p2align	6, 0x0
	.amdhsa_kernel _ZN7rocprim17ROCPRIM_400000_NS6detail17trampoline_kernelINS0_14default_configENS1_29reduce_by_key_config_selectorIiiN6thrust23THRUST_200600_302600_NS4plusIiEEEEZZNS1_33reduce_by_key_impl_wrapped_configILNS1_25lookback_scan_determinismE0ES3_S9_NS6_6detail15normal_iteratorINS6_10device_ptrIiEEEESG_SG_SG_PmS8_22is_equal_div_10_reduceIiEEE10hipError_tPvRmT2_T3_mT4_T5_T6_T7_T8_P12ihipStream_tbENKUlT_T0_E_clISt17integral_constantIbLb1EES10_IbLb0EEEEDaSW_SX_EUlSW_E_NS1_11comp_targetILNS1_3genE8ELNS1_11target_archE1030ELNS1_3gpuE2ELNS1_3repE0EEENS1_30default_config_static_selectorELNS0_4arch9wavefront6targetE1EEEvT1_
		.amdhsa_group_segment_fixed_size 0
		.amdhsa_private_segment_fixed_size 0
		.amdhsa_kernarg_size 120
		.amdhsa_user_sgpr_count 6
		.amdhsa_user_sgpr_private_segment_buffer 1
		.amdhsa_user_sgpr_dispatch_ptr 0
		.amdhsa_user_sgpr_queue_ptr 0
		.amdhsa_user_sgpr_kernarg_segment_ptr 1
		.amdhsa_user_sgpr_dispatch_id 0
		.amdhsa_user_sgpr_flat_scratch_init 0
		.amdhsa_user_sgpr_kernarg_preload_length 0
		.amdhsa_user_sgpr_kernarg_preload_offset 0
		.amdhsa_user_sgpr_private_segment_size 0
		.amdhsa_uses_dynamic_stack 0
		.amdhsa_system_sgpr_private_segment_wavefront_offset 0
		.amdhsa_system_sgpr_workgroup_id_x 1
		.amdhsa_system_sgpr_workgroup_id_y 0
		.amdhsa_system_sgpr_workgroup_id_z 0
		.amdhsa_system_sgpr_workgroup_info 0
		.amdhsa_system_vgpr_workitem_id 0
		.amdhsa_next_free_vgpr 1
		.amdhsa_next_free_sgpr 0
		.amdhsa_accum_offset 4
		.amdhsa_reserve_vcc 0
		.amdhsa_reserve_flat_scratch 0
		.amdhsa_float_round_mode_32 0
		.amdhsa_float_round_mode_16_64 0
		.amdhsa_float_denorm_mode_32 3
		.amdhsa_float_denorm_mode_16_64 3
		.amdhsa_dx10_clamp 1
		.amdhsa_ieee_mode 1
		.amdhsa_fp16_overflow 0
		.amdhsa_tg_split 0
		.amdhsa_exception_fp_ieee_invalid_op 0
		.amdhsa_exception_fp_denorm_src 0
		.amdhsa_exception_fp_ieee_div_zero 0
		.amdhsa_exception_fp_ieee_overflow 0
		.amdhsa_exception_fp_ieee_underflow 0
		.amdhsa_exception_fp_ieee_inexact 0
		.amdhsa_exception_int_div_zero 0
	.end_amdhsa_kernel
	.section	.text._ZN7rocprim17ROCPRIM_400000_NS6detail17trampoline_kernelINS0_14default_configENS1_29reduce_by_key_config_selectorIiiN6thrust23THRUST_200600_302600_NS4plusIiEEEEZZNS1_33reduce_by_key_impl_wrapped_configILNS1_25lookback_scan_determinismE0ES3_S9_NS6_6detail15normal_iteratorINS6_10device_ptrIiEEEESG_SG_SG_PmS8_22is_equal_div_10_reduceIiEEE10hipError_tPvRmT2_T3_mT4_T5_T6_T7_T8_P12ihipStream_tbENKUlT_T0_E_clISt17integral_constantIbLb1EES10_IbLb0EEEEDaSW_SX_EUlSW_E_NS1_11comp_targetILNS1_3genE8ELNS1_11target_archE1030ELNS1_3gpuE2ELNS1_3repE0EEENS1_30default_config_static_selectorELNS0_4arch9wavefront6targetE1EEEvT1_,"axG",@progbits,_ZN7rocprim17ROCPRIM_400000_NS6detail17trampoline_kernelINS0_14default_configENS1_29reduce_by_key_config_selectorIiiN6thrust23THRUST_200600_302600_NS4plusIiEEEEZZNS1_33reduce_by_key_impl_wrapped_configILNS1_25lookback_scan_determinismE0ES3_S9_NS6_6detail15normal_iteratorINS6_10device_ptrIiEEEESG_SG_SG_PmS8_22is_equal_div_10_reduceIiEEE10hipError_tPvRmT2_T3_mT4_T5_T6_T7_T8_P12ihipStream_tbENKUlT_T0_E_clISt17integral_constantIbLb1EES10_IbLb0EEEEDaSW_SX_EUlSW_E_NS1_11comp_targetILNS1_3genE8ELNS1_11target_archE1030ELNS1_3gpuE2ELNS1_3repE0EEENS1_30default_config_static_selectorELNS0_4arch9wavefront6targetE1EEEvT1_,comdat
.Lfunc_end610:
	.size	_ZN7rocprim17ROCPRIM_400000_NS6detail17trampoline_kernelINS0_14default_configENS1_29reduce_by_key_config_selectorIiiN6thrust23THRUST_200600_302600_NS4plusIiEEEEZZNS1_33reduce_by_key_impl_wrapped_configILNS1_25lookback_scan_determinismE0ES3_S9_NS6_6detail15normal_iteratorINS6_10device_ptrIiEEEESG_SG_SG_PmS8_22is_equal_div_10_reduceIiEEE10hipError_tPvRmT2_T3_mT4_T5_T6_T7_T8_P12ihipStream_tbENKUlT_T0_E_clISt17integral_constantIbLb1EES10_IbLb0EEEEDaSW_SX_EUlSW_E_NS1_11comp_targetILNS1_3genE8ELNS1_11target_archE1030ELNS1_3gpuE2ELNS1_3repE0EEENS1_30default_config_static_selectorELNS0_4arch9wavefront6targetE1EEEvT1_, .Lfunc_end610-_ZN7rocprim17ROCPRIM_400000_NS6detail17trampoline_kernelINS0_14default_configENS1_29reduce_by_key_config_selectorIiiN6thrust23THRUST_200600_302600_NS4plusIiEEEEZZNS1_33reduce_by_key_impl_wrapped_configILNS1_25lookback_scan_determinismE0ES3_S9_NS6_6detail15normal_iteratorINS6_10device_ptrIiEEEESG_SG_SG_PmS8_22is_equal_div_10_reduceIiEEE10hipError_tPvRmT2_T3_mT4_T5_T6_T7_T8_P12ihipStream_tbENKUlT_T0_E_clISt17integral_constantIbLb1EES10_IbLb0EEEEDaSW_SX_EUlSW_E_NS1_11comp_targetILNS1_3genE8ELNS1_11target_archE1030ELNS1_3gpuE2ELNS1_3repE0EEENS1_30default_config_static_selectorELNS0_4arch9wavefront6targetE1EEEvT1_
                                        ; -- End function
	.section	.AMDGPU.csdata,"",@progbits
; Kernel info:
; codeLenInByte = 0
; NumSgprs: 4
; NumVgprs: 0
; NumAgprs: 0
; TotalNumVgprs: 0
; ScratchSize: 0
; MemoryBound: 0
; FloatMode: 240
; IeeeMode: 1
; LDSByteSize: 0 bytes/workgroup (compile time only)
; SGPRBlocks: 0
; VGPRBlocks: 0
; NumSGPRsForWavesPerEU: 4
; NumVGPRsForWavesPerEU: 1
; AccumOffset: 4
; Occupancy: 8
; WaveLimiterHint : 0
; COMPUTE_PGM_RSRC2:SCRATCH_EN: 0
; COMPUTE_PGM_RSRC2:USER_SGPR: 6
; COMPUTE_PGM_RSRC2:TRAP_HANDLER: 0
; COMPUTE_PGM_RSRC2:TGID_X_EN: 1
; COMPUTE_PGM_RSRC2:TGID_Y_EN: 0
; COMPUTE_PGM_RSRC2:TGID_Z_EN: 0
; COMPUTE_PGM_RSRC2:TIDIG_COMP_CNT: 0
; COMPUTE_PGM_RSRC3_GFX90A:ACCUM_OFFSET: 0
; COMPUTE_PGM_RSRC3_GFX90A:TG_SPLIT: 0
	.section	.text._ZN7rocprim17ROCPRIM_400000_NS6detail17trampoline_kernelINS0_14default_configENS1_29reduce_by_key_config_selectorIiiN6thrust23THRUST_200600_302600_NS4plusIiEEEEZZNS1_33reduce_by_key_impl_wrapped_configILNS1_25lookback_scan_determinismE0ES3_S9_NS6_6detail15normal_iteratorINS6_10device_ptrIiEEEESG_SG_SG_PmS8_22is_equal_div_10_reduceIiEEE10hipError_tPvRmT2_T3_mT4_T5_T6_T7_T8_P12ihipStream_tbENKUlT_T0_E_clISt17integral_constantIbLb0EES10_IbLb1EEEEDaSW_SX_EUlSW_E_NS1_11comp_targetILNS1_3genE0ELNS1_11target_archE4294967295ELNS1_3gpuE0ELNS1_3repE0EEENS1_30default_config_static_selectorELNS0_4arch9wavefront6targetE1EEEvT1_,"axG",@progbits,_ZN7rocprim17ROCPRIM_400000_NS6detail17trampoline_kernelINS0_14default_configENS1_29reduce_by_key_config_selectorIiiN6thrust23THRUST_200600_302600_NS4plusIiEEEEZZNS1_33reduce_by_key_impl_wrapped_configILNS1_25lookback_scan_determinismE0ES3_S9_NS6_6detail15normal_iteratorINS6_10device_ptrIiEEEESG_SG_SG_PmS8_22is_equal_div_10_reduceIiEEE10hipError_tPvRmT2_T3_mT4_T5_T6_T7_T8_P12ihipStream_tbENKUlT_T0_E_clISt17integral_constantIbLb0EES10_IbLb1EEEEDaSW_SX_EUlSW_E_NS1_11comp_targetILNS1_3genE0ELNS1_11target_archE4294967295ELNS1_3gpuE0ELNS1_3repE0EEENS1_30default_config_static_selectorELNS0_4arch9wavefront6targetE1EEEvT1_,comdat
	.protected	_ZN7rocprim17ROCPRIM_400000_NS6detail17trampoline_kernelINS0_14default_configENS1_29reduce_by_key_config_selectorIiiN6thrust23THRUST_200600_302600_NS4plusIiEEEEZZNS1_33reduce_by_key_impl_wrapped_configILNS1_25lookback_scan_determinismE0ES3_S9_NS6_6detail15normal_iteratorINS6_10device_ptrIiEEEESG_SG_SG_PmS8_22is_equal_div_10_reduceIiEEE10hipError_tPvRmT2_T3_mT4_T5_T6_T7_T8_P12ihipStream_tbENKUlT_T0_E_clISt17integral_constantIbLb0EES10_IbLb1EEEEDaSW_SX_EUlSW_E_NS1_11comp_targetILNS1_3genE0ELNS1_11target_archE4294967295ELNS1_3gpuE0ELNS1_3repE0EEENS1_30default_config_static_selectorELNS0_4arch9wavefront6targetE1EEEvT1_ ; -- Begin function _ZN7rocprim17ROCPRIM_400000_NS6detail17trampoline_kernelINS0_14default_configENS1_29reduce_by_key_config_selectorIiiN6thrust23THRUST_200600_302600_NS4plusIiEEEEZZNS1_33reduce_by_key_impl_wrapped_configILNS1_25lookback_scan_determinismE0ES3_S9_NS6_6detail15normal_iteratorINS6_10device_ptrIiEEEESG_SG_SG_PmS8_22is_equal_div_10_reduceIiEEE10hipError_tPvRmT2_T3_mT4_T5_T6_T7_T8_P12ihipStream_tbENKUlT_T0_E_clISt17integral_constantIbLb0EES10_IbLb1EEEEDaSW_SX_EUlSW_E_NS1_11comp_targetILNS1_3genE0ELNS1_11target_archE4294967295ELNS1_3gpuE0ELNS1_3repE0EEENS1_30default_config_static_selectorELNS0_4arch9wavefront6targetE1EEEvT1_
	.globl	_ZN7rocprim17ROCPRIM_400000_NS6detail17trampoline_kernelINS0_14default_configENS1_29reduce_by_key_config_selectorIiiN6thrust23THRUST_200600_302600_NS4plusIiEEEEZZNS1_33reduce_by_key_impl_wrapped_configILNS1_25lookback_scan_determinismE0ES3_S9_NS6_6detail15normal_iteratorINS6_10device_ptrIiEEEESG_SG_SG_PmS8_22is_equal_div_10_reduceIiEEE10hipError_tPvRmT2_T3_mT4_T5_T6_T7_T8_P12ihipStream_tbENKUlT_T0_E_clISt17integral_constantIbLb0EES10_IbLb1EEEEDaSW_SX_EUlSW_E_NS1_11comp_targetILNS1_3genE0ELNS1_11target_archE4294967295ELNS1_3gpuE0ELNS1_3repE0EEENS1_30default_config_static_selectorELNS0_4arch9wavefront6targetE1EEEvT1_
	.p2align	8
	.type	_ZN7rocprim17ROCPRIM_400000_NS6detail17trampoline_kernelINS0_14default_configENS1_29reduce_by_key_config_selectorIiiN6thrust23THRUST_200600_302600_NS4plusIiEEEEZZNS1_33reduce_by_key_impl_wrapped_configILNS1_25lookback_scan_determinismE0ES3_S9_NS6_6detail15normal_iteratorINS6_10device_ptrIiEEEESG_SG_SG_PmS8_22is_equal_div_10_reduceIiEEE10hipError_tPvRmT2_T3_mT4_T5_T6_T7_T8_P12ihipStream_tbENKUlT_T0_E_clISt17integral_constantIbLb0EES10_IbLb1EEEEDaSW_SX_EUlSW_E_NS1_11comp_targetILNS1_3genE0ELNS1_11target_archE4294967295ELNS1_3gpuE0ELNS1_3repE0EEENS1_30default_config_static_selectorELNS0_4arch9wavefront6targetE1EEEvT1_,@function
_ZN7rocprim17ROCPRIM_400000_NS6detail17trampoline_kernelINS0_14default_configENS1_29reduce_by_key_config_selectorIiiN6thrust23THRUST_200600_302600_NS4plusIiEEEEZZNS1_33reduce_by_key_impl_wrapped_configILNS1_25lookback_scan_determinismE0ES3_S9_NS6_6detail15normal_iteratorINS6_10device_ptrIiEEEESG_SG_SG_PmS8_22is_equal_div_10_reduceIiEEE10hipError_tPvRmT2_T3_mT4_T5_T6_T7_T8_P12ihipStream_tbENKUlT_T0_E_clISt17integral_constantIbLb0EES10_IbLb1EEEEDaSW_SX_EUlSW_E_NS1_11comp_targetILNS1_3genE0ELNS1_11target_archE4294967295ELNS1_3gpuE0ELNS1_3repE0EEENS1_30default_config_static_selectorELNS0_4arch9wavefront6targetE1EEEvT1_: ; @_ZN7rocprim17ROCPRIM_400000_NS6detail17trampoline_kernelINS0_14default_configENS1_29reduce_by_key_config_selectorIiiN6thrust23THRUST_200600_302600_NS4plusIiEEEEZZNS1_33reduce_by_key_impl_wrapped_configILNS1_25lookback_scan_determinismE0ES3_S9_NS6_6detail15normal_iteratorINS6_10device_ptrIiEEEESG_SG_SG_PmS8_22is_equal_div_10_reduceIiEEE10hipError_tPvRmT2_T3_mT4_T5_T6_T7_T8_P12ihipStream_tbENKUlT_T0_E_clISt17integral_constantIbLb0EES10_IbLb1EEEEDaSW_SX_EUlSW_E_NS1_11comp_targetILNS1_3genE0ELNS1_11target_archE4294967295ELNS1_3gpuE0ELNS1_3repE0EEENS1_30default_config_static_selectorELNS0_4arch9wavefront6targetE1EEEvT1_
; %bb.0:
	.section	.rodata,"a",@progbits
	.p2align	6, 0x0
	.amdhsa_kernel _ZN7rocprim17ROCPRIM_400000_NS6detail17trampoline_kernelINS0_14default_configENS1_29reduce_by_key_config_selectorIiiN6thrust23THRUST_200600_302600_NS4plusIiEEEEZZNS1_33reduce_by_key_impl_wrapped_configILNS1_25lookback_scan_determinismE0ES3_S9_NS6_6detail15normal_iteratorINS6_10device_ptrIiEEEESG_SG_SG_PmS8_22is_equal_div_10_reduceIiEEE10hipError_tPvRmT2_T3_mT4_T5_T6_T7_T8_P12ihipStream_tbENKUlT_T0_E_clISt17integral_constantIbLb0EES10_IbLb1EEEEDaSW_SX_EUlSW_E_NS1_11comp_targetILNS1_3genE0ELNS1_11target_archE4294967295ELNS1_3gpuE0ELNS1_3repE0EEENS1_30default_config_static_selectorELNS0_4arch9wavefront6targetE1EEEvT1_
		.amdhsa_group_segment_fixed_size 0
		.amdhsa_private_segment_fixed_size 0
		.amdhsa_kernarg_size 120
		.amdhsa_user_sgpr_count 6
		.amdhsa_user_sgpr_private_segment_buffer 1
		.amdhsa_user_sgpr_dispatch_ptr 0
		.amdhsa_user_sgpr_queue_ptr 0
		.amdhsa_user_sgpr_kernarg_segment_ptr 1
		.amdhsa_user_sgpr_dispatch_id 0
		.amdhsa_user_sgpr_flat_scratch_init 0
		.amdhsa_user_sgpr_kernarg_preload_length 0
		.amdhsa_user_sgpr_kernarg_preload_offset 0
		.amdhsa_user_sgpr_private_segment_size 0
		.amdhsa_uses_dynamic_stack 0
		.amdhsa_system_sgpr_private_segment_wavefront_offset 0
		.amdhsa_system_sgpr_workgroup_id_x 1
		.amdhsa_system_sgpr_workgroup_id_y 0
		.amdhsa_system_sgpr_workgroup_id_z 0
		.amdhsa_system_sgpr_workgroup_info 0
		.amdhsa_system_vgpr_workitem_id 0
		.amdhsa_next_free_vgpr 1
		.amdhsa_next_free_sgpr 0
		.amdhsa_accum_offset 4
		.amdhsa_reserve_vcc 0
		.amdhsa_reserve_flat_scratch 0
		.amdhsa_float_round_mode_32 0
		.amdhsa_float_round_mode_16_64 0
		.amdhsa_float_denorm_mode_32 3
		.amdhsa_float_denorm_mode_16_64 3
		.amdhsa_dx10_clamp 1
		.amdhsa_ieee_mode 1
		.amdhsa_fp16_overflow 0
		.amdhsa_tg_split 0
		.amdhsa_exception_fp_ieee_invalid_op 0
		.amdhsa_exception_fp_denorm_src 0
		.amdhsa_exception_fp_ieee_div_zero 0
		.amdhsa_exception_fp_ieee_overflow 0
		.amdhsa_exception_fp_ieee_underflow 0
		.amdhsa_exception_fp_ieee_inexact 0
		.amdhsa_exception_int_div_zero 0
	.end_amdhsa_kernel
	.section	.text._ZN7rocprim17ROCPRIM_400000_NS6detail17trampoline_kernelINS0_14default_configENS1_29reduce_by_key_config_selectorIiiN6thrust23THRUST_200600_302600_NS4plusIiEEEEZZNS1_33reduce_by_key_impl_wrapped_configILNS1_25lookback_scan_determinismE0ES3_S9_NS6_6detail15normal_iteratorINS6_10device_ptrIiEEEESG_SG_SG_PmS8_22is_equal_div_10_reduceIiEEE10hipError_tPvRmT2_T3_mT4_T5_T6_T7_T8_P12ihipStream_tbENKUlT_T0_E_clISt17integral_constantIbLb0EES10_IbLb1EEEEDaSW_SX_EUlSW_E_NS1_11comp_targetILNS1_3genE0ELNS1_11target_archE4294967295ELNS1_3gpuE0ELNS1_3repE0EEENS1_30default_config_static_selectorELNS0_4arch9wavefront6targetE1EEEvT1_,"axG",@progbits,_ZN7rocprim17ROCPRIM_400000_NS6detail17trampoline_kernelINS0_14default_configENS1_29reduce_by_key_config_selectorIiiN6thrust23THRUST_200600_302600_NS4plusIiEEEEZZNS1_33reduce_by_key_impl_wrapped_configILNS1_25lookback_scan_determinismE0ES3_S9_NS6_6detail15normal_iteratorINS6_10device_ptrIiEEEESG_SG_SG_PmS8_22is_equal_div_10_reduceIiEEE10hipError_tPvRmT2_T3_mT4_T5_T6_T7_T8_P12ihipStream_tbENKUlT_T0_E_clISt17integral_constantIbLb0EES10_IbLb1EEEEDaSW_SX_EUlSW_E_NS1_11comp_targetILNS1_3genE0ELNS1_11target_archE4294967295ELNS1_3gpuE0ELNS1_3repE0EEENS1_30default_config_static_selectorELNS0_4arch9wavefront6targetE1EEEvT1_,comdat
.Lfunc_end611:
	.size	_ZN7rocprim17ROCPRIM_400000_NS6detail17trampoline_kernelINS0_14default_configENS1_29reduce_by_key_config_selectorIiiN6thrust23THRUST_200600_302600_NS4plusIiEEEEZZNS1_33reduce_by_key_impl_wrapped_configILNS1_25lookback_scan_determinismE0ES3_S9_NS6_6detail15normal_iteratorINS6_10device_ptrIiEEEESG_SG_SG_PmS8_22is_equal_div_10_reduceIiEEE10hipError_tPvRmT2_T3_mT4_T5_T6_T7_T8_P12ihipStream_tbENKUlT_T0_E_clISt17integral_constantIbLb0EES10_IbLb1EEEEDaSW_SX_EUlSW_E_NS1_11comp_targetILNS1_3genE0ELNS1_11target_archE4294967295ELNS1_3gpuE0ELNS1_3repE0EEENS1_30default_config_static_selectorELNS0_4arch9wavefront6targetE1EEEvT1_, .Lfunc_end611-_ZN7rocprim17ROCPRIM_400000_NS6detail17trampoline_kernelINS0_14default_configENS1_29reduce_by_key_config_selectorIiiN6thrust23THRUST_200600_302600_NS4plusIiEEEEZZNS1_33reduce_by_key_impl_wrapped_configILNS1_25lookback_scan_determinismE0ES3_S9_NS6_6detail15normal_iteratorINS6_10device_ptrIiEEEESG_SG_SG_PmS8_22is_equal_div_10_reduceIiEEE10hipError_tPvRmT2_T3_mT4_T5_T6_T7_T8_P12ihipStream_tbENKUlT_T0_E_clISt17integral_constantIbLb0EES10_IbLb1EEEEDaSW_SX_EUlSW_E_NS1_11comp_targetILNS1_3genE0ELNS1_11target_archE4294967295ELNS1_3gpuE0ELNS1_3repE0EEENS1_30default_config_static_selectorELNS0_4arch9wavefront6targetE1EEEvT1_
                                        ; -- End function
	.section	.AMDGPU.csdata,"",@progbits
; Kernel info:
; codeLenInByte = 0
; NumSgprs: 4
; NumVgprs: 0
; NumAgprs: 0
; TotalNumVgprs: 0
; ScratchSize: 0
; MemoryBound: 0
; FloatMode: 240
; IeeeMode: 1
; LDSByteSize: 0 bytes/workgroup (compile time only)
; SGPRBlocks: 0
; VGPRBlocks: 0
; NumSGPRsForWavesPerEU: 4
; NumVGPRsForWavesPerEU: 1
; AccumOffset: 4
; Occupancy: 8
; WaveLimiterHint : 0
; COMPUTE_PGM_RSRC2:SCRATCH_EN: 0
; COMPUTE_PGM_RSRC2:USER_SGPR: 6
; COMPUTE_PGM_RSRC2:TRAP_HANDLER: 0
; COMPUTE_PGM_RSRC2:TGID_X_EN: 1
; COMPUTE_PGM_RSRC2:TGID_Y_EN: 0
; COMPUTE_PGM_RSRC2:TGID_Z_EN: 0
; COMPUTE_PGM_RSRC2:TIDIG_COMP_CNT: 0
; COMPUTE_PGM_RSRC3_GFX90A:ACCUM_OFFSET: 0
; COMPUTE_PGM_RSRC3_GFX90A:TG_SPLIT: 0
	.section	.text._ZN7rocprim17ROCPRIM_400000_NS6detail17trampoline_kernelINS0_14default_configENS1_29reduce_by_key_config_selectorIiiN6thrust23THRUST_200600_302600_NS4plusIiEEEEZZNS1_33reduce_by_key_impl_wrapped_configILNS1_25lookback_scan_determinismE0ES3_S9_NS6_6detail15normal_iteratorINS6_10device_ptrIiEEEESG_SG_SG_PmS8_22is_equal_div_10_reduceIiEEE10hipError_tPvRmT2_T3_mT4_T5_T6_T7_T8_P12ihipStream_tbENKUlT_T0_E_clISt17integral_constantIbLb0EES10_IbLb1EEEEDaSW_SX_EUlSW_E_NS1_11comp_targetILNS1_3genE5ELNS1_11target_archE942ELNS1_3gpuE9ELNS1_3repE0EEENS1_30default_config_static_selectorELNS0_4arch9wavefront6targetE1EEEvT1_,"axG",@progbits,_ZN7rocprim17ROCPRIM_400000_NS6detail17trampoline_kernelINS0_14default_configENS1_29reduce_by_key_config_selectorIiiN6thrust23THRUST_200600_302600_NS4plusIiEEEEZZNS1_33reduce_by_key_impl_wrapped_configILNS1_25lookback_scan_determinismE0ES3_S9_NS6_6detail15normal_iteratorINS6_10device_ptrIiEEEESG_SG_SG_PmS8_22is_equal_div_10_reduceIiEEE10hipError_tPvRmT2_T3_mT4_T5_T6_T7_T8_P12ihipStream_tbENKUlT_T0_E_clISt17integral_constantIbLb0EES10_IbLb1EEEEDaSW_SX_EUlSW_E_NS1_11comp_targetILNS1_3genE5ELNS1_11target_archE942ELNS1_3gpuE9ELNS1_3repE0EEENS1_30default_config_static_selectorELNS0_4arch9wavefront6targetE1EEEvT1_,comdat
	.protected	_ZN7rocprim17ROCPRIM_400000_NS6detail17trampoline_kernelINS0_14default_configENS1_29reduce_by_key_config_selectorIiiN6thrust23THRUST_200600_302600_NS4plusIiEEEEZZNS1_33reduce_by_key_impl_wrapped_configILNS1_25lookback_scan_determinismE0ES3_S9_NS6_6detail15normal_iteratorINS6_10device_ptrIiEEEESG_SG_SG_PmS8_22is_equal_div_10_reduceIiEEE10hipError_tPvRmT2_T3_mT4_T5_T6_T7_T8_P12ihipStream_tbENKUlT_T0_E_clISt17integral_constantIbLb0EES10_IbLb1EEEEDaSW_SX_EUlSW_E_NS1_11comp_targetILNS1_3genE5ELNS1_11target_archE942ELNS1_3gpuE9ELNS1_3repE0EEENS1_30default_config_static_selectorELNS0_4arch9wavefront6targetE1EEEvT1_ ; -- Begin function _ZN7rocprim17ROCPRIM_400000_NS6detail17trampoline_kernelINS0_14default_configENS1_29reduce_by_key_config_selectorIiiN6thrust23THRUST_200600_302600_NS4plusIiEEEEZZNS1_33reduce_by_key_impl_wrapped_configILNS1_25lookback_scan_determinismE0ES3_S9_NS6_6detail15normal_iteratorINS6_10device_ptrIiEEEESG_SG_SG_PmS8_22is_equal_div_10_reduceIiEEE10hipError_tPvRmT2_T3_mT4_T5_T6_T7_T8_P12ihipStream_tbENKUlT_T0_E_clISt17integral_constantIbLb0EES10_IbLb1EEEEDaSW_SX_EUlSW_E_NS1_11comp_targetILNS1_3genE5ELNS1_11target_archE942ELNS1_3gpuE9ELNS1_3repE0EEENS1_30default_config_static_selectorELNS0_4arch9wavefront6targetE1EEEvT1_
	.globl	_ZN7rocprim17ROCPRIM_400000_NS6detail17trampoline_kernelINS0_14default_configENS1_29reduce_by_key_config_selectorIiiN6thrust23THRUST_200600_302600_NS4plusIiEEEEZZNS1_33reduce_by_key_impl_wrapped_configILNS1_25lookback_scan_determinismE0ES3_S9_NS6_6detail15normal_iteratorINS6_10device_ptrIiEEEESG_SG_SG_PmS8_22is_equal_div_10_reduceIiEEE10hipError_tPvRmT2_T3_mT4_T5_T6_T7_T8_P12ihipStream_tbENKUlT_T0_E_clISt17integral_constantIbLb0EES10_IbLb1EEEEDaSW_SX_EUlSW_E_NS1_11comp_targetILNS1_3genE5ELNS1_11target_archE942ELNS1_3gpuE9ELNS1_3repE0EEENS1_30default_config_static_selectorELNS0_4arch9wavefront6targetE1EEEvT1_
	.p2align	8
	.type	_ZN7rocprim17ROCPRIM_400000_NS6detail17trampoline_kernelINS0_14default_configENS1_29reduce_by_key_config_selectorIiiN6thrust23THRUST_200600_302600_NS4plusIiEEEEZZNS1_33reduce_by_key_impl_wrapped_configILNS1_25lookback_scan_determinismE0ES3_S9_NS6_6detail15normal_iteratorINS6_10device_ptrIiEEEESG_SG_SG_PmS8_22is_equal_div_10_reduceIiEEE10hipError_tPvRmT2_T3_mT4_T5_T6_T7_T8_P12ihipStream_tbENKUlT_T0_E_clISt17integral_constantIbLb0EES10_IbLb1EEEEDaSW_SX_EUlSW_E_NS1_11comp_targetILNS1_3genE5ELNS1_11target_archE942ELNS1_3gpuE9ELNS1_3repE0EEENS1_30default_config_static_selectorELNS0_4arch9wavefront6targetE1EEEvT1_,@function
_ZN7rocprim17ROCPRIM_400000_NS6detail17trampoline_kernelINS0_14default_configENS1_29reduce_by_key_config_selectorIiiN6thrust23THRUST_200600_302600_NS4plusIiEEEEZZNS1_33reduce_by_key_impl_wrapped_configILNS1_25lookback_scan_determinismE0ES3_S9_NS6_6detail15normal_iteratorINS6_10device_ptrIiEEEESG_SG_SG_PmS8_22is_equal_div_10_reduceIiEEE10hipError_tPvRmT2_T3_mT4_T5_T6_T7_T8_P12ihipStream_tbENKUlT_T0_E_clISt17integral_constantIbLb0EES10_IbLb1EEEEDaSW_SX_EUlSW_E_NS1_11comp_targetILNS1_3genE5ELNS1_11target_archE942ELNS1_3gpuE9ELNS1_3repE0EEENS1_30default_config_static_selectorELNS0_4arch9wavefront6targetE1EEEvT1_: ; @_ZN7rocprim17ROCPRIM_400000_NS6detail17trampoline_kernelINS0_14default_configENS1_29reduce_by_key_config_selectorIiiN6thrust23THRUST_200600_302600_NS4plusIiEEEEZZNS1_33reduce_by_key_impl_wrapped_configILNS1_25lookback_scan_determinismE0ES3_S9_NS6_6detail15normal_iteratorINS6_10device_ptrIiEEEESG_SG_SG_PmS8_22is_equal_div_10_reduceIiEEE10hipError_tPvRmT2_T3_mT4_T5_T6_T7_T8_P12ihipStream_tbENKUlT_T0_E_clISt17integral_constantIbLb0EES10_IbLb1EEEEDaSW_SX_EUlSW_E_NS1_11comp_targetILNS1_3genE5ELNS1_11target_archE942ELNS1_3gpuE9ELNS1_3repE0EEENS1_30default_config_static_selectorELNS0_4arch9wavefront6targetE1EEEvT1_
; %bb.0:
	.section	.rodata,"a",@progbits
	.p2align	6, 0x0
	.amdhsa_kernel _ZN7rocprim17ROCPRIM_400000_NS6detail17trampoline_kernelINS0_14default_configENS1_29reduce_by_key_config_selectorIiiN6thrust23THRUST_200600_302600_NS4plusIiEEEEZZNS1_33reduce_by_key_impl_wrapped_configILNS1_25lookback_scan_determinismE0ES3_S9_NS6_6detail15normal_iteratorINS6_10device_ptrIiEEEESG_SG_SG_PmS8_22is_equal_div_10_reduceIiEEE10hipError_tPvRmT2_T3_mT4_T5_T6_T7_T8_P12ihipStream_tbENKUlT_T0_E_clISt17integral_constantIbLb0EES10_IbLb1EEEEDaSW_SX_EUlSW_E_NS1_11comp_targetILNS1_3genE5ELNS1_11target_archE942ELNS1_3gpuE9ELNS1_3repE0EEENS1_30default_config_static_selectorELNS0_4arch9wavefront6targetE1EEEvT1_
		.amdhsa_group_segment_fixed_size 0
		.amdhsa_private_segment_fixed_size 0
		.amdhsa_kernarg_size 120
		.amdhsa_user_sgpr_count 6
		.amdhsa_user_sgpr_private_segment_buffer 1
		.amdhsa_user_sgpr_dispatch_ptr 0
		.amdhsa_user_sgpr_queue_ptr 0
		.amdhsa_user_sgpr_kernarg_segment_ptr 1
		.amdhsa_user_sgpr_dispatch_id 0
		.amdhsa_user_sgpr_flat_scratch_init 0
		.amdhsa_user_sgpr_kernarg_preload_length 0
		.amdhsa_user_sgpr_kernarg_preload_offset 0
		.amdhsa_user_sgpr_private_segment_size 0
		.amdhsa_uses_dynamic_stack 0
		.amdhsa_system_sgpr_private_segment_wavefront_offset 0
		.amdhsa_system_sgpr_workgroup_id_x 1
		.amdhsa_system_sgpr_workgroup_id_y 0
		.amdhsa_system_sgpr_workgroup_id_z 0
		.amdhsa_system_sgpr_workgroup_info 0
		.amdhsa_system_vgpr_workitem_id 0
		.amdhsa_next_free_vgpr 1
		.amdhsa_next_free_sgpr 0
		.amdhsa_accum_offset 4
		.amdhsa_reserve_vcc 0
		.amdhsa_reserve_flat_scratch 0
		.amdhsa_float_round_mode_32 0
		.amdhsa_float_round_mode_16_64 0
		.amdhsa_float_denorm_mode_32 3
		.amdhsa_float_denorm_mode_16_64 3
		.amdhsa_dx10_clamp 1
		.amdhsa_ieee_mode 1
		.amdhsa_fp16_overflow 0
		.amdhsa_tg_split 0
		.amdhsa_exception_fp_ieee_invalid_op 0
		.amdhsa_exception_fp_denorm_src 0
		.amdhsa_exception_fp_ieee_div_zero 0
		.amdhsa_exception_fp_ieee_overflow 0
		.amdhsa_exception_fp_ieee_underflow 0
		.amdhsa_exception_fp_ieee_inexact 0
		.amdhsa_exception_int_div_zero 0
	.end_amdhsa_kernel
	.section	.text._ZN7rocprim17ROCPRIM_400000_NS6detail17trampoline_kernelINS0_14default_configENS1_29reduce_by_key_config_selectorIiiN6thrust23THRUST_200600_302600_NS4plusIiEEEEZZNS1_33reduce_by_key_impl_wrapped_configILNS1_25lookback_scan_determinismE0ES3_S9_NS6_6detail15normal_iteratorINS6_10device_ptrIiEEEESG_SG_SG_PmS8_22is_equal_div_10_reduceIiEEE10hipError_tPvRmT2_T3_mT4_T5_T6_T7_T8_P12ihipStream_tbENKUlT_T0_E_clISt17integral_constantIbLb0EES10_IbLb1EEEEDaSW_SX_EUlSW_E_NS1_11comp_targetILNS1_3genE5ELNS1_11target_archE942ELNS1_3gpuE9ELNS1_3repE0EEENS1_30default_config_static_selectorELNS0_4arch9wavefront6targetE1EEEvT1_,"axG",@progbits,_ZN7rocprim17ROCPRIM_400000_NS6detail17trampoline_kernelINS0_14default_configENS1_29reduce_by_key_config_selectorIiiN6thrust23THRUST_200600_302600_NS4plusIiEEEEZZNS1_33reduce_by_key_impl_wrapped_configILNS1_25lookback_scan_determinismE0ES3_S9_NS6_6detail15normal_iteratorINS6_10device_ptrIiEEEESG_SG_SG_PmS8_22is_equal_div_10_reduceIiEEE10hipError_tPvRmT2_T3_mT4_T5_T6_T7_T8_P12ihipStream_tbENKUlT_T0_E_clISt17integral_constantIbLb0EES10_IbLb1EEEEDaSW_SX_EUlSW_E_NS1_11comp_targetILNS1_3genE5ELNS1_11target_archE942ELNS1_3gpuE9ELNS1_3repE0EEENS1_30default_config_static_selectorELNS0_4arch9wavefront6targetE1EEEvT1_,comdat
.Lfunc_end612:
	.size	_ZN7rocprim17ROCPRIM_400000_NS6detail17trampoline_kernelINS0_14default_configENS1_29reduce_by_key_config_selectorIiiN6thrust23THRUST_200600_302600_NS4plusIiEEEEZZNS1_33reduce_by_key_impl_wrapped_configILNS1_25lookback_scan_determinismE0ES3_S9_NS6_6detail15normal_iteratorINS6_10device_ptrIiEEEESG_SG_SG_PmS8_22is_equal_div_10_reduceIiEEE10hipError_tPvRmT2_T3_mT4_T5_T6_T7_T8_P12ihipStream_tbENKUlT_T0_E_clISt17integral_constantIbLb0EES10_IbLb1EEEEDaSW_SX_EUlSW_E_NS1_11comp_targetILNS1_3genE5ELNS1_11target_archE942ELNS1_3gpuE9ELNS1_3repE0EEENS1_30default_config_static_selectorELNS0_4arch9wavefront6targetE1EEEvT1_, .Lfunc_end612-_ZN7rocprim17ROCPRIM_400000_NS6detail17trampoline_kernelINS0_14default_configENS1_29reduce_by_key_config_selectorIiiN6thrust23THRUST_200600_302600_NS4plusIiEEEEZZNS1_33reduce_by_key_impl_wrapped_configILNS1_25lookback_scan_determinismE0ES3_S9_NS6_6detail15normal_iteratorINS6_10device_ptrIiEEEESG_SG_SG_PmS8_22is_equal_div_10_reduceIiEEE10hipError_tPvRmT2_T3_mT4_T5_T6_T7_T8_P12ihipStream_tbENKUlT_T0_E_clISt17integral_constantIbLb0EES10_IbLb1EEEEDaSW_SX_EUlSW_E_NS1_11comp_targetILNS1_3genE5ELNS1_11target_archE942ELNS1_3gpuE9ELNS1_3repE0EEENS1_30default_config_static_selectorELNS0_4arch9wavefront6targetE1EEEvT1_
                                        ; -- End function
	.section	.AMDGPU.csdata,"",@progbits
; Kernel info:
; codeLenInByte = 0
; NumSgprs: 4
; NumVgprs: 0
; NumAgprs: 0
; TotalNumVgprs: 0
; ScratchSize: 0
; MemoryBound: 0
; FloatMode: 240
; IeeeMode: 1
; LDSByteSize: 0 bytes/workgroup (compile time only)
; SGPRBlocks: 0
; VGPRBlocks: 0
; NumSGPRsForWavesPerEU: 4
; NumVGPRsForWavesPerEU: 1
; AccumOffset: 4
; Occupancy: 8
; WaveLimiterHint : 0
; COMPUTE_PGM_RSRC2:SCRATCH_EN: 0
; COMPUTE_PGM_RSRC2:USER_SGPR: 6
; COMPUTE_PGM_RSRC2:TRAP_HANDLER: 0
; COMPUTE_PGM_RSRC2:TGID_X_EN: 1
; COMPUTE_PGM_RSRC2:TGID_Y_EN: 0
; COMPUTE_PGM_RSRC2:TGID_Z_EN: 0
; COMPUTE_PGM_RSRC2:TIDIG_COMP_CNT: 0
; COMPUTE_PGM_RSRC3_GFX90A:ACCUM_OFFSET: 0
; COMPUTE_PGM_RSRC3_GFX90A:TG_SPLIT: 0
	.section	.text._ZN7rocprim17ROCPRIM_400000_NS6detail17trampoline_kernelINS0_14default_configENS1_29reduce_by_key_config_selectorIiiN6thrust23THRUST_200600_302600_NS4plusIiEEEEZZNS1_33reduce_by_key_impl_wrapped_configILNS1_25lookback_scan_determinismE0ES3_S9_NS6_6detail15normal_iteratorINS6_10device_ptrIiEEEESG_SG_SG_PmS8_22is_equal_div_10_reduceIiEEE10hipError_tPvRmT2_T3_mT4_T5_T6_T7_T8_P12ihipStream_tbENKUlT_T0_E_clISt17integral_constantIbLb0EES10_IbLb1EEEEDaSW_SX_EUlSW_E_NS1_11comp_targetILNS1_3genE4ELNS1_11target_archE910ELNS1_3gpuE8ELNS1_3repE0EEENS1_30default_config_static_selectorELNS0_4arch9wavefront6targetE1EEEvT1_,"axG",@progbits,_ZN7rocprim17ROCPRIM_400000_NS6detail17trampoline_kernelINS0_14default_configENS1_29reduce_by_key_config_selectorIiiN6thrust23THRUST_200600_302600_NS4plusIiEEEEZZNS1_33reduce_by_key_impl_wrapped_configILNS1_25lookback_scan_determinismE0ES3_S9_NS6_6detail15normal_iteratorINS6_10device_ptrIiEEEESG_SG_SG_PmS8_22is_equal_div_10_reduceIiEEE10hipError_tPvRmT2_T3_mT4_T5_T6_T7_T8_P12ihipStream_tbENKUlT_T0_E_clISt17integral_constantIbLb0EES10_IbLb1EEEEDaSW_SX_EUlSW_E_NS1_11comp_targetILNS1_3genE4ELNS1_11target_archE910ELNS1_3gpuE8ELNS1_3repE0EEENS1_30default_config_static_selectorELNS0_4arch9wavefront6targetE1EEEvT1_,comdat
	.protected	_ZN7rocprim17ROCPRIM_400000_NS6detail17trampoline_kernelINS0_14default_configENS1_29reduce_by_key_config_selectorIiiN6thrust23THRUST_200600_302600_NS4plusIiEEEEZZNS1_33reduce_by_key_impl_wrapped_configILNS1_25lookback_scan_determinismE0ES3_S9_NS6_6detail15normal_iteratorINS6_10device_ptrIiEEEESG_SG_SG_PmS8_22is_equal_div_10_reduceIiEEE10hipError_tPvRmT2_T3_mT4_T5_T6_T7_T8_P12ihipStream_tbENKUlT_T0_E_clISt17integral_constantIbLb0EES10_IbLb1EEEEDaSW_SX_EUlSW_E_NS1_11comp_targetILNS1_3genE4ELNS1_11target_archE910ELNS1_3gpuE8ELNS1_3repE0EEENS1_30default_config_static_selectorELNS0_4arch9wavefront6targetE1EEEvT1_ ; -- Begin function _ZN7rocprim17ROCPRIM_400000_NS6detail17trampoline_kernelINS0_14default_configENS1_29reduce_by_key_config_selectorIiiN6thrust23THRUST_200600_302600_NS4plusIiEEEEZZNS1_33reduce_by_key_impl_wrapped_configILNS1_25lookback_scan_determinismE0ES3_S9_NS6_6detail15normal_iteratorINS6_10device_ptrIiEEEESG_SG_SG_PmS8_22is_equal_div_10_reduceIiEEE10hipError_tPvRmT2_T3_mT4_T5_T6_T7_T8_P12ihipStream_tbENKUlT_T0_E_clISt17integral_constantIbLb0EES10_IbLb1EEEEDaSW_SX_EUlSW_E_NS1_11comp_targetILNS1_3genE4ELNS1_11target_archE910ELNS1_3gpuE8ELNS1_3repE0EEENS1_30default_config_static_selectorELNS0_4arch9wavefront6targetE1EEEvT1_
	.globl	_ZN7rocprim17ROCPRIM_400000_NS6detail17trampoline_kernelINS0_14default_configENS1_29reduce_by_key_config_selectorIiiN6thrust23THRUST_200600_302600_NS4plusIiEEEEZZNS1_33reduce_by_key_impl_wrapped_configILNS1_25lookback_scan_determinismE0ES3_S9_NS6_6detail15normal_iteratorINS6_10device_ptrIiEEEESG_SG_SG_PmS8_22is_equal_div_10_reduceIiEEE10hipError_tPvRmT2_T3_mT4_T5_T6_T7_T8_P12ihipStream_tbENKUlT_T0_E_clISt17integral_constantIbLb0EES10_IbLb1EEEEDaSW_SX_EUlSW_E_NS1_11comp_targetILNS1_3genE4ELNS1_11target_archE910ELNS1_3gpuE8ELNS1_3repE0EEENS1_30default_config_static_selectorELNS0_4arch9wavefront6targetE1EEEvT1_
	.p2align	8
	.type	_ZN7rocprim17ROCPRIM_400000_NS6detail17trampoline_kernelINS0_14default_configENS1_29reduce_by_key_config_selectorIiiN6thrust23THRUST_200600_302600_NS4plusIiEEEEZZNS1_33reduce_by_key_impl_wrapped_configILNS1_25lookback_scan_determinismE0ES3_S9_NS6_6detail15normal_iteratorINS6_10device_ptrIiEEEESG_SG_SG_PmS8_22is_equal_div_10_reduceIiEEE10hipError_tPvRmT2_T3_mT4_T5_T6_T7_T8_P12ihipStream_tbENKUlT_T0_E_clISt17integral_constantIbLb0EES10_IbLb1EEEEDaSW_SX_EUlSW_E_NS1_11comp_targetILNS1_3genE4ELNS1_11target_archE910ELNS1_3gpuE8ELNS1_3repE0EEENS1_30default_config_static_selectorELNS0_4arch9wavefront6targetE1EEEvT1_,@function
_ZN7rocprim17ROCPRIM_400000_NS6detail17trampoline_kernelINS0_14default_configENS1_29reduce_by_key_config_selectorIiiN6thrust23THRUST_200600_302600_NS4plusIiEEEEZZNS1_33reduce_by_key_impl_wrapped_configILNS1_25lookback_scan_determinismE0ES3_S9_NS6_6detail15normal_iteratorINS6_10device_ptrIiEEEESG_SG_SG_PmS8_22is_equal_div_10_reduceIiEEE10hipError_tPvRmT2_T3_mT4_T5_T6_T7_T8_P12ihipStream_tbENKUlT_T0_E_clISt17integral_constantIbLb0EES10_IbLb1EEEEDaSW_SX_EUlSW_E_NS1_11comp_targetILNS1_3genE4ELNS1_11target_archE910ELNS1_3gpuE8ELNS1_3repE0EEENS1_30default_config_static_selectorELNS0_4arch9wavefront6targetE1EEEvT1_: ; @_ZN7rocprim17ROCPRIM_400000_NS6detail17trampoline_kernelINS0_14default_configENS1_29reduce_by_key_config_selectorIiiN6thrust23THRUST_200600_302600_NS4plusIiEEEEZZNS1_33reduce_by_key_impl_wrapped_configILNS1_25lookback_scan_determinismE0ES3_S9_NS6_6detail15normal_iteratorINS6_10device_ptrIiEEEESG_SG_SG_PmS8_22is_equal_div_10_reduceIiEEE10hipError_tPvRmT2_T3_mT4_T5_T6_T7_T8_P12ihipStream_tbENKUlT_T0_E_clISt17integral_constantIbLb0EES10_IbLb1EEEEDaSW_SX_EUlSW_E_NS1_11comp_targetILNS1_3genE4ELNS1_11target_archE910ELNS1_3gpuE8ELNS1_3repE0EEENS1_30default_config_static_selectorELNS0_4arch9wavefront6targetE1EEEvT1_
; %bb.0:
	s_load_dwordx8 s[36:43], s[4:5], 0x0
	s_load_dwordx4 s[52:55], s[4:5], 0x20
	s_load_dwordx8 s[44:51], s[4:5], 0x38
	s_load_dwordx2 s[60:61], s[4:5], 0x68
	s_load_dwordx4 s[56:59], s[4:5], 0x58
	v_cmp_ne_u32_e64 s[2:3], 0, v0
	v_cmp_eq_u32_e64 s[0:1], 0, v0
	s_and_saveexec_b64 s[6:7], s[0:1]
	s_cbranch_execz .LBB613_4
; %bb.1:
	s_mov_b64 s[10:11], exec
	v_mbcnt_lo_u32_b32 v1, s10, 0
	v_mbcnt_hi_u32_b32 v1, s11, v1
	v_cmp_eq_u32_e32 vcc, 0, v1
                                        ; implicit-def: $vgpr2
	s_and_saveexec_b64 s[8:9], vcc
	s_cbranch_execz .LBB613_3
; %bb.2:
	s_load_dwordx2 s[4:5], s[4:5], 0x70
	s_bcnt1_i32_b64 s10, s[10:11]
	v_mov_b32_e32 v2, 0
	v_mov_b32_e32 v3, s10
	s_waitcnt lgkmcnt(0)
	global_atomic_add v2, v2, v3, s[4:5] glc
.LBB613_3:
	s_or_b64 exec, exec, s[8:9]
	s_waitcnt vmcnt(0)
	v_readfirstlane_b32 s4, v2
	v_add_u32_e32 v1, s4, v1
	v_mov_b32_e32 v2, 0
	ds_write_b32 v2, v1
.LBB613_4:
	s_or_b64 exec, exec, s[6:7]
	v_mov_b32_e32 v3, 0
	s_waitcnt lgkmcnt(0)
	s_lshl_b64 s[4:5], s[38:39], 2
	s_barrier
	ds_read_b32 v1, v3
	s_add_u32 s6, s36, s4
	s_addc_u32 s7, s37, s5
	s_add_u32 s4, s40, s4
	s_mul_i32 s8, s48, s47
	s_mul_hi_u32 s9, s48, s46
	s_addc_u32 s5, s41, s5
	s_add_i32 s8, s9, s8
	s_mul_i32 s9, s49, s46
	s_add_i32 s8, s8, s9
	s_mul_i32 s9, s48, s46
	s_waitcnt lgkmcnt(0)
	v_readfirstlane_b32 s62, v1
	s_movk_i32 s10, 0xf00
	v_mul_lo_u32 v2, v1, s10
	s_add_u32 s40, s9, s62
	v_lshlrev_b64 v[6:7], 2, v[2:3]
	s_addc_u32 s41, s8, 0
	v_mov_b32_e32 v1, s7
	v_add_co_u32_e32 v3, vcc, s6, v6
	s_add_u32 s6, s50, -1
	v_addc_co_u32_e32 v4, vcc, v1, v7, vcc
	s_addc_u32 s7, s51, -1
	v_mov_b32_e32 v1, s5
	v_add_co_u32_e32 v5, vcc, s4, v6
	s_cmp_eq_u64 s[40:41], s[6:7]
	v_addc_co_u32_e32 v6, vcc, v1, v7, vcc
	s_cselect_b64 s[36:37], -1, 0
	s_cmp_lg_u64 s[40:41], s[6:7]
	s_mov_b64 s[4:5], -1
	s_cselect_b64 s[48:49], -1, 0
	s_mul_i32 s33, s6, 0xfffff100
	s_and_b64 vcc, exec, s[36:37]
	v_mul_u32_u24_e32 v2, 15, v0
	s_barrier
	s_cbranch_vccnz .LBB613_6
; %bb.5:
	v_lshlrev_b32_e32 v30, 2, v0
	v_add_co_u32_e32 v8, vcc, v3, v30
	v_addc_co_u32_e32 v9, vcc, 0, v4, vcc
	v_add_co_u32_e32 v10, vcc, 0x1000, v8
	v_addc_co_u32_e32 v11, vcc, 0, v9, vcc
	flat_load_dword v1, v[8:9]
	flat_load_dword v12, v[8:9] offset:1024
	flat_load_dword v13, v[8:9] offset:2048
	;; [unrolled: 1-line block ×3, first 2 shown]
	flat_load_dword v15, v[10:11]
	flat_load_dword v16, v[10:11] offset:1024
	flat_load_dword v17, v[10:11] offset:2048
	;; [unrolled: 1-line block ×3, first 2 shown]
	v_add_co_u32_e32 v10, vcc, 0x2000, v8
	v_addc_co_u32_e32 v11, vcc, 0, v9, vcc
	v_add_co_u32_e32 v8, vcc, 0x3000, v8
	v_addc_co_u32_e32 v9, vcc, 0, v9, vcc
	flat_load_dword v19, v[10:11]
	flat_load_dword v20, v[10:11] offset:1024
	flat_load_dword v21, v[10:11] offset:2048
	;; [unrolled: 1-line block ×3, first 2 shown]
	flat_load_dword v32, v[8:9]
	flat_load_dword v33, v[8:9] offset:1024
	flat_load_dword v34, v[8:9] offset:2048
	v_add_co_u32_e32 v22, vcc, v5, v30
	s_movk_i32 s4, 0x1000
	v_addc_co_u32_e32 v23, vcc, 0, v6, vcc
	v_add_co_u32_e32 v24, vcc, s4, v22
	s_movk_i32 s5, 0x2000
	v_addc_co_u32_e32 v25, vcc, 0, v23, vcc
	;; [unrolled: 3-line block ×3, first 2 shown]
	v_mad_u32_u24 v7, v0, 56, v30
	v_add_co_u32_e32 v28, vcc, s6, v22
	v_addc_co_u32_e32 v29, vcc, 0, v23, vcc
	s_waitcnt vmcnt(0) lgkmcnt(0)
	ds_write2st64_b32 v30, v1, v12 offset1:4
	ds_write2st64_b32 v30, v13, v14 offset0:8 offset1:12
	ds_write2st64_b32 v30, v15, v16 offset0:16 offset1:20
	;; [unrolled: 1-line block ×6, first 2 shown]
	ds_write_b32 v30, v34 offset:14336
	s_waitcnt lgkmcnt(0)
	s_barrier
	ds_read2_b32 v[20:21], v7 offset1:1
	ds_read2_b32 v[18:19], v7 offset0:2 offset1:3
	ds_read2_b32 v[16:17], v7 offset0:4 offset1:5
	;; [unrolled: 1-line block ×6, first 2 shown]
	ds_read_b32 v1, v7 offset:56
	s_waitcnt lgkmcnt(0)
	s_barrier
	flat_load_dword v31, v[22:23]
	flat_load_dword v32, v[22:23] offset:1024
	flat_load_dword v33, v[22:23] offset:2048
	flat_load_dword v34, v[22:23] offset:3072
	flat_load_dword v35, v[24:25]
	flat_load_dword v36, v[24:25] offset:1024
	flat_load_dword v37, v[24:25] offset:2048
	flat_load_dword v38, v[24:25] offset:3072
	;; [unrolled: 4-line block ×3, first 2 shown]
	flat_load_dword v43, v[28:29]
	flat_load_dword v44, v[28:29] offset:1024
	flat_load_dword v45, v[28:29] offset:2048
	v_mul_u32_u24_e32 v22, 15, v0
	s_waitcnt vmcnt(0) lgkmcnt(0)
	ds_write2st64_b32 v30, v31, v32 offset1:4
	ds_write2st64_b32 v30, v33, v34 offset0:8 offset1:12
	ds_write2st64_b32 v30, v35, v36 offset0:16 offset1:20
	;; [unrolled: 1-line block ×6, first 2 shown]
	ds_write_b32 v30, v45 offset:14336
	s_waitcnt lgkmcnt(0)
	s_barrier
	s_add_i32 s33, s33, s56
	s_cbranch_execz .LBB613_7
	s_branch .LBB613_54
.LBB613_6:
                                        ; implicit-def: $vgpr8_vgpr9
                                        ; implicit-def: $vgpr10_vgpr11
                                        ; implicit-def: $vgpr12_vgpr13
                                        ; implicit-def: $vgpr14_vgpr15
                                        ; implicit-def: $vgpr16_vgpr17
                                        ; implicit-def: $vgpr18_vgpr19
                                        ; implicit-def: $vgpr20_vgpr21
                                        ; implicit-def: $vgpr22
                                        ; implicit-def: $vgpr7
                                        ; implicit-def: $vgpr1
	s_andn2_b64 vcc, exec, s[4:5]
	s_add_i32 s33, s33, s56
	s_cbranch_vccnz .LBB613_54
.LBB613_7:
	v_cmp_gt_u32_e32 vcc, s33, v0
                                        ; implicit-def: $vgpr1
	s_and_saveexec_b64 s[6:7], vcc
	s_cbranch_execz .LBB613_9
; %bb.8:
	v_lshlrev_b32_e32 v1, 2, v0
	v_add_co_u32_e64 v8, s[4:5], v3, v1
	v_addc_co_u32_e64 v9, s[4:5], 0, v4, s[4:5]
	flat_load_dword v1, v[8:9]
.LBB613_9:
	s_or_b64 exec, exec, s[6:7]
	v_or_b32_e32 v7, 0x100, v0
	v_cmp_gt_u32_e64 s[4:5], s33, v7
                                        ; implicit-def: $vgpr7
	s_and_saveexec_b64 s[8:9], s[4:5]
	s_cbranch_execz .LBB613_11
; %bb.10:
	v_lshlrev_b32_e32 v7, 2, v0
	v_add_co_u32_e64 v8, s[6:7], v3, v7
	v_addc_co_u32_e64 v9, s[6:7], 0, v4, s[6:7]
	flat_load_dword v7, v[8:9] offset:1024
.LBB613_11:
	s_or_b64 exec, exec, s[8:9]
	v_or_b32_e32 v8, 0x200, v0
	v_cmp_gt_u32_e64 s[6:7], s33, v8
                                        ; implicit-def: $vgpr8
	s_and_saveexec_b64 s[10:11], s[6:7]
	s_cbranch_execz .LBB613_13
; %bb.12:
	v_lshlrev_b32_e32 v8, 2, v0
	v_add_co_u32_e64 v8, s[8:9], v3, v8
	v_addc_co_u32_e64 v9, s[8:9], 0, v4, s[8:9]
	flat_load_dword v8, v[8:9] offset:2048
.LBB613_13:
	s_or_b64 exec, exec, s[10:11]
	v_or_b32_e32 v9, 0x300, v0
	v_cmp_gt_u32_e64 s[8:9], s33, v9
                                        ; implicit-def: $vgpr9
	s_and_saveexec_b64 s[12:13], s[8:9]
	s_cbranch_execz .LBB613_15
; %bb.14:
	v_lshlrev_b32_e32 v9, 2, v0
	v_add_co_u32_e64 v10, s[10:11], v3, v9
	v_addc_co_u32_e64 v11, s[10:11], 0, v4, s[10:11]
	flat_load_dword v9, v[10:11] offset:3072
.LBB613_15:
	s_or_b64 exec, exec, s[12:13]
	v_or_b32_e32 v10, 0x400, v0
	v_cmp_gt_u32_e64 s[10:11], s33, v10
	v_lshlrev_b32_e32 v22, 2, v10
                                        ; implicit-def: $vgpr10
	s_and_saveexec_b64 s[14:15], s[10:11]
	s_cbranch_execz .LBB613_17
; %bb.16:
	v_add_co_u32_e64 v10, s[12:13], v3, v22
	v_addc_co_u32_e64 v11, s[12:13], 0, v4, s[12:13]
	flat_load_dword v10, v[10:11]
.LBB613_17:
	s_or_b64 exec, exec, s[14:15]
	v_or_b32_e32 v11, 0x500, v0
	v_cmp_gt_u32_e64 s[12:13], s33, v11
	v_lshlrev_b32_e32 v23, 2, v11
                                        ; implicit-def: $vgpr11
	s_and_saveexec_b64 s[16:17], s[12:13]
	s_cbranch_execz .LBB613_19
; %bb.18:
	v_add_co_u32_e64 v12, s[14:15], v3, v23
	v_addc_co_u32_e64 v13, s[14:15], 0, v4, s[14:15]
	flat_load_dword v11, v[12:13]
.LBB613_19:
	s_or_b64 exec, exec, s[16:17]
	v_or_b32_e32 v12, 0x600, v0
	v_cmp_gt_u32_e64 s[14:15], s33, v12
	v_lshlrev_b32_e32 v24, 2, v12
                                        ; implicit-def: $vgpr12
	s_and_saveexec_b64 s[18:19], s[14:15]
	s_cbranch_execz .LBB613_21
; %bb.20:
	v_add_co_u32_e64 v12, s[16:17], v3, v24
	v_addc_co_u32_e64 v13, s[16:17], 0, v4, s[16:17]
	flat_load_dword v12, v[12:13]
.LBB613_21:
	s_or_b64 exec, exec, s[18:19]
	v_or_b32_e32 v13, 0x700, v0
	v_cmp_gt_u32_e64 s[16:17], s33, v13
	v_lshlrev_b32_e32 v25, 2, v13
                                        ; implicit-def: $vgpr13
	s_and_saveexec_b64 s[20:21], s[16:17]
	s_cbranch_execz .LBB613_23
; %bb.22:
	v_add_co_u32_e64 v14, s[18:19], v3, v25
	v_addc_co_u32_e64 v15, s[18:19], 0, v4, s[18:19]
	flat_load_dword v13, v[14:15]
.LBB613_23:
	s_or_b64 exec, exec, s[20:21]
	v_or_b32_e32 v14, 0x800, v0
	v_cmp_gt_u32_e64 s[18:19], s33, v14
	v_lshlrev_b32_e32 v26, 2, v14
                                        ; implicit-def: $vgpr14
	s_and_saveexec_b64 s[22:23], s[18:19]
	s_cbranch_execz .LBB613_25
; %bb.24:
	v_add_co_u32_e64 v14, s[20:21], v3, v26
	v_addc_co_u32_e64 v15, s[20:21], 0, v4, s[20:21]
	flat_load_dword v14, v[14:15]
.LBB613_25:
	s_or_b64 exec, exec, s[22:23]
	v_or_b32_e32 v15, 0x900, v0
	v_cmp_gt_u32_e64 s[20:21], s33, v15
	v_lshlrev_b32_e32 v27, 2, v15
                                        ; implicit-def: $vgpr15
	s_and_saveexec_b64 s[24:25], s[20:21]
	s_cbranch_execz .LBB613_27
; %bb.26:
	v_add_co_u32_e64 v16, s[22:23], v3, v27
	v_addc_co_u32_e64 v17, s[22:23], 0, v4, s[22:23]
	flat_load_dword v15, v[16:17]
.LBB613_27:
	s_or_b64 exec, exec, s[24:25]
	v_or_b32_e32 v16, 0xa00, v0
	v_cmp_gt_u32_e64 s[22:23], s33, v16
	v_lshlrev_b32_e32 v28, 2, v16
                                        ; implicit-def: $vgpr16
	s_and_saveexec_b64 s[26:27], s[22:23]
	s_cbranch_execz .LBB613_29
; %bb.28:
	v_add_co_u32_e64 v16, s[24:25], v3, v28
	v_addc_co_u32_e64 v17, s[24:25], 0, v4, s[24:25]
	flat_load_dword v16, v[16:17]
.LBB613_29:
	s_or_b64 exec, exec, s[26:27]
	v_or_b32_e32 v17, 0xb00, v0
	v_cmp_gt_u32_e64 s[24:25], s33, v17
	v_lshlrev_b32_e32 v29, 2, v17
                                        ; implicit-def: $vgpr17
	s_and_saveexec_b64 s[28:29], s[24:25]
	s_cbranch_execz .LBB613_31
; %bb.30:
	v_add_co_u32_e64 v18, s[26:27], v3, v29
	v_addc_co_u32_e64 v19, s[26:27], 0, v4, s[26:27]
	flat_load_dword v17, v[18:19]
.LBB613_31:
	s_or_b64 exec, exec, s[28:29]
	v_or_b32_e32 v18, 0xc00, v0
	v_cmp_gt_u32_e64 s[26:27], s33, v18
	v_lshlrev_b32_e32 v30, 2, v18
                                        ; implicit-def: $vgpr18
	s_and_saveexec_b64 s[30:31], s[26:27]
	s_cbranch_execz .LBB613_33
; %bb.32:
	v_add_co_u32_e64 v18, s[28:29], v3, v30
	v_addc_co_u32_e64 v19, s[28:29], 0, v4, s[28:29]
	flat_load_dword v18, v[18:19]
.LBB613_33:
	s_or_b64 exec, exec, s[30:31]
	v_or_b32_e32 v19, 0xd00, v0
	v_cmp_gt_u32_e64 s[28:29], s33, v19
	v_lshlrev_b32_e32 v31, 2, v19
                                        ; implicit-def: $vgpr19
	s_and_saveexec_b64 s[34:35], s[28:29]
	s_cbranch_execz .LBB613_35
; %bb.34:
	v_add_co_u32_e64 v20, s[30:31], v3, v31
	v_addc_co_u32_e64 v21, s[30:31], 0, v4, s[30:31]
	flat_load_dword v19, v[20:21]
.LBB613_35:
	s_or_b64 exec, exec, s[34:35]
	v_or_b32_e32 v20, 0xe00, v0
	v_cmp_gt_u32_e64 s[30:31], s33, v20
	v_lshlrev_b32_e32 v32, 2, v20
                                        ; implicit-def: $vgpr20
	s_and_saveexec_b64 s[38:39], s[30:31]
	s_cbranch_execz .LBB613_37
; %bb.36:
	v_add_co_u32_e64 v20, s[34:35], v3, v32
	v_addc_co_u32_e64 v21, s[34:35], 0, v4, s[34:35]
	flat_load_dword v20, v[20:21]
.LBB613_37:
	s_or_b64 exec, exec, s[38:39]
	v_lshlrev_b32_e32 v33, 2, v0
	s_waitcnt vmcnt(0) lgkmcnt(0)
	ds_write2st64_b32 v33, v1, v7 offset1:4
	ds_write2st64_b32 v33, v8, v9 offset0:8 offset1:12
	ds_write2st64_b32 v33, v10, v11 offset0:16 offset1:20
	;; [unrolled: 1-line block ×6, first 2 shown]
	ds_write_b32 v33, v20 offset:14336
	v_mad_u32_u24 v7, v0, 56, v33
	s_waitcnt lgkmcnt(0)
	s_barrier
	ds_read2_b32 v[20:21], v7 offset1:1
	ds_read2_b32 v[18:19], v7 offset0:2 offset1:3
	ds_read2_b32 v[16:17], v7 offset0:4 offset1:5
	;; [unrolled: 1-line block ×6, first 2 shown]
	ds_read_b32 v1, v7 offset:56
	s_waitcnt lgkmcnt(0)
	s_barrier
	s_waitcnt lgkmcnt(0)
                                        ; implicit-def: $vgpr34
	s_and_saveexec_b64 s[34:35], vcc
	s_cbranch_execnz .LBB613_61
; %bb.38:
	s_or_b64 exec, exec, s[34:35]
                                        ; implicit-def: $vgpr35
	s_and_saveexec_b64 s[34:35], s[4:5]
	s_cbranch_execnz .LBB613_62
.LBB613_39:
	s_or_b64 exec, exec, s[34:35]
                                        ; implicit-def: $vgpr36
	s_and_saveexec_b64 s[4:5], s[6:7]
	s_cbranch_execnz .LBB613_63
.LBB613_40:
	s_or_b64 exec, exec, s[4:5]
                                        ; implicit-def: $vgpr37
	s_and_saveexec_b64 s[4:5], s[8:9]
	s_cbranch_execnz .LBB613_64
.LBB613_41:
	s_or_b64 exec, exec, s[4:5]
                                        ; implicit-def: $vgpr38
	s_and_saveexec_b64 s[4:5], s[10:11]
	s_cbranch_execnz .LBB613_65
.LBB613_42:
	s_or_b64 exec, exec, s[4:5]
                                        ; implicit-def: $vgpr22
	s_and_saveexec_b64 s[4:5], s[12:13]
	s_cbranch_execnz .LBB613_66
.LBB613_43:
	s_or_b64 exec, exec, s[4:5]
                                        ; implicit-def: $vgpr23
	s_and_saveexec_b64 s[4:5], s[14:15]
	s_cbranch_execnz .LBB613_67
.LBB613_44:
	s_or_b64 exec, exec, s[4:5]
                                        ; implicit-def: $vgpr24
	s_and_saveexec_b64 s[4:5], s[16:17]
	s_cbranch_execnz .LBB613_68
.LBB613_45:
	s_or_b64 exec, exec, s[4:5]
                                        ; implicit-def: $vgpr25
	s_and_saveexec_b64 s[4:5], s[18:19]
	s_cbranch_execnz .LBB613_69
.LBB613_46:
	s_or_b64 exec, exec, s[4:5]
                                        ; implicit-def: $vgpr26
	s_and_saveexec_b64 s[4:5], s[20:21]
	s_cbranch_execnz .LBB613_70
.LBB613_47:
	s_or_b64 exec, exec, s[4:5]
                                        ; implicit-def: $vgpr27
	s_and_saveexec_b64 s[4:5], s[22:23]
	s_cbranch_execnz .LBB613_71
.LBB613_48:
	s_or_b64 exec, exec, s[4:5]
                                        ; implicit-def: $vgpr28
	s_and_saveexec_b64 s[4:5], s[24:25]
	s_cbranch_execnz .LBB613_72
.LBB613_49:
	s_or_b64 exec, exec, s[4:5]
                                        ; implicit-def: $vgpr29
	s_and_saveexec_b64 s[4:5], s[26:27]
	s_cbranch_execnz .LBB613_73
.LBB613_50:
	s_or_b64 exec, exec, s[4:5]
                                        ; implicit-def: $vgpr30
	s_and_saveexec_b64 s[4:5], s[28:29]
	s_cbranch_execnz .LBB613_74
.LBB613_51:
	s_or_b64 exec, exec, s[4:5]
                                        ; implicit-def: $vgpr31
	s_and_saveexec_b64 s[4:5], s[30:31]
	s_cbranch_execz .LBB613_53
.LBB613_52:
	v_add_co_u32_e32 v40, vcc, v5, v32
	v_addc_co_u32_e32 v41, vcc, 0, v6, vcc
	flat_load_dword v31, v[40:41]
.LBB613_53:
	s_or_b64 exec, exec, s[4:5]
	s_waitcnt vmcnt(0) lgkmcnt(0)
	ds_write2st64_b32 v33, v34, v35 offset1:4
	ds_write2st64_b32 v33, v36, v37 offset0:8 offset1:12
	ds_write2st64_b32 v33, v38, v22 offset0:16 offset1:20
	;; [unrolled: 1-line block ×6, first 2 shown]
	ds_write_b32 v33, v31 offset:14336
	v_mov_b32_e32 v22, v2
	s_waitcnt lgkmcnt(0)
	s_barrier
.LBB613_54:
	v_lshlrev_b32_e32 v5, 2, v22
	ds_read2_b32 v[46:47], v7 offset1:2
	ds_read2_b32 v[42:43], v7 offset0:4 offset1:6
	ds_read2_b32 v[38:39], v7 offset0:8 offset1:10
	ds_read2_b32 v[36:37], v7 offset0:12 offset1:14
	ds_read2_b32 v[48:49], v5 offset0:1 offset1:3
	ds_read2_b32 v[44:45], v5 offset0:5 offset1:7
	ds_read2_b32 v[40:41], v5 offset0:9 offset1:11
	ds_read_b32 v82, v5 offset:52
	s_cmp_eq_u64 s[40:41], 0
	s_cselect_b64 s[38:39], -1, 0
	s_cmp_lg_u64 s[40:41], 0
	s_mov_b64 s[4:5], 0
	s_cselect_b64 s[10:11], -1, 0
	s_and_b64 vcc, exec, s[48:49]
	s_waitcnt lgkmcnt(0)
	s_barrier
	s_cbranch_vccz .LBB613_60
; %bb.55:
	s_and_b64 vcc, exec, s[10:11]
	s_cbranch_vccz .LBB613_75
; %bb.56:
	v_add_co_u32_e32 v6, vcc, -4, v3
	v_addc_co_u32_e32 v7, vcc, -1, v4, vcc
	flat_load_dword v6, v[6:7]
	v_lshlrev_b32_e32 v5, 2, v0
	ds_write_b32 v5, v1
	s_waitcnt lgkmcnt(0)
	s_barrier
	s_and_saveexec_b64 s[4:5], s[2:3]
	s_cbranch_execz .LBB613_58
; %bb.57:
	v_add_u32_e32 v5, -4, v5
	s_waitcnt vmcnt(0)
	ds_read_b32 v6, v5
.LBB613_58:
	s_or_b64 exec, exec, s[4:5]
	s_mov_b32 s4, 0x66666667
	v_mul_hi_i32 v5, v9, s4
	v_lshrrev_b32_e32 v7, 31, v5
	v_ashrrev_i32_e32 v5, 2, v5
	v_add_u32_e32 v7, v5, v7
	v_mul_hi_i32 v5, v8, s4
	v_lshrrev_b32_e32 v22, 31, v5
	v_ashrrev_i32_e32 v5, 2, v5
	v_add_u32_e32 v5, v5, v22
	;; [unrolled: 4-line block ×15, first 2 shown]
	v_cmp_ne_u32_e32 vcc, v31, v50
	v_cndmask_b32_e64 v35, 0, 1, vcc
	v_cmp_ne_u32_e32 vcc, v31, v33
	v_cndmask_b32_e64 v32, 0, 1, vcc
	;; [unrolled: 2-line block ×12, first 2 shown]
	v_cmp_ne_u32_e32 vcc, v7, v5
	s_waitcnt vmcnt(0) lgkmcnt(0)
	v_mul_hi_i32 v6, v6, s4
	v_cndmask_b32_e64 v5, 0, 1, vcc
	v_cmp_ne_u32_e32 vcc, v7, v28
	v_lshrrev_b32_e32 v7, 31, v6
	v_ashrrev_i32_e32 v6, 2, v6
	v_add_u32_e32 v6, v6, v7
	v_cndmask_b32_e64 v80, 0, 1, vcc
	v_cmp_ne_u32_e64 s[8:9], v6, v50
	s_mov_b64 s[4:5], -1
.LBB613_59:
                                        ; implicit-def: $sgpr12
	s_branch .LBB613_79
.LBB613_60:
                                        ; implicit-def: $sgpr8_sgpr9
                                        ; implicit-def: $vgpr80
                                        ; implicit-def: $vgpr5
                                        ; implicit-def: $vgpr81
                                        ; implicit-def: $vgpr23
                                        ; implicit-def: $vgpr22
                                        ; implicit-def: $vgpr25
                                        ; implicit-def: $vgpr24
                                        ; implicit-def: $vgpr27
                                        ; implicit-def: $vgpr26
                                        ; implicit-def: $vgpr31
                                        ; implicit-def: $vgpr30
                                        ; implicit-def: $vgpr33
                                        ; implicit-def: $vgpr32
                                        ; implicit-def: $vgpr35
                                        ; implicit-def: $vgpr29
                                        ; implicit-def: $sgpr12
	s_cbranch_execnz .LBB613_80
	s_branch .LBB613_115
.LBB613_61:
	v_add_co_u32_e32 v34, vcc, v5, v33
	v_addc_co_u32_e32 v35, vcc, 0, v6, vcc
	flat_load_dword v34, v[34:35]
	s_or_b64 exec, exec, s[34:35]
                                        ; implicit-def: $vgpr35
	s_and_saveexec_b64 s[34:35], s[4:5]
	s_cbranch_execz .LBB613_39
.LBB613_62:
	v_add_co_u32_e32 v36, vcc, v5, v33
	v_addc_co_u32_e32 v37, vcc, 0, v6, vcc
	flat_load_dword v35, v[36:37] offset:1024
	s_or_b64 exec, exec, s[34:35]
                                        ; implicit-def: $vgpr36
	s_and_saveexec_b64 s[4:5], s[6:7]
	s_cbranch_execz .LBB613_40
.LBB613_63:
	v_add_co_u32_e32 v36, vcc, v5, v33
	v_addc_co_u32_e32 v37, vcc, 0, v6, vcc
	flat_load_dword v36, v[36:37] offset:2048
	s_or_b64 exec, exec, s[4:5]
                                        ; implicit-def: $vgpr37
	s_and_saveexec_b64 s[4:5], s[8:9]
	s_cbranch_execz .LBB613_41
.LBB613_64:
	v_add_co_u32_e32 v38, vcc, v5, v33
	v_addc_co_u32_e32 v39, vcc, 0, v6, vcc
	flat_load_dword v37, v[38:39] offset:3072
	s_or_b64 exec, exec, s[4:5]
                                        ; implicit-def: $vgpr38
	s_and_saveexec_b64 s[4:5], s[10:11]
	s_cbranch_execz .LBB613_42
.LBB613_65:
	v_add_co_u32_e32 v38, vcc, v5, v22
	v_addc_co_u32_e32 v39, vcc, 0, v6, vcc
	flat_load_dword v38, v[38:39]
	s_or_b64 exec, exec, s[4:5]
                                        ; implicit-def: $vgpr22
	s_and_saveexec_b64 s[4:5], s[12:13]
	s_cbranch_execz .LBB613_43
.LBB613_66:
	v_add_co_u32_e32 v22, vcc, v5, v23
	v_addc_co_u32_e32 v23, vcc, 0, v6, vcc
	flat_load_dword v22, v[22:23]
	s_or_b64 exec, exec, s[4:5]
                                        ; implicit-def: $vgpr23
	s_and_saveexec_b64 s[4:5], s[14:15]
	s_cbranch_execz .LBB613_44
.LBB613_67:
	v_add_co_u32_e32 v40, vcc, v5, v24
	v_addc_co_u32_e32 v41, vcc, 0, v6, vcc
	flat_load_dword v23, v[40:41]
	s_or_b64 exec, exec, s[4:5]
                                        ; implicit-def: $vgpr24
	s_and_saveexec_b64 s[4:5], s[16:17]
	s_cbranch_execz .LBB613_45
.LBB613_68:
	v_add_co_u32_e32 v24, vcc, v5, v25
	v_addc_co_u32_e32 v25, vcc, 0, v6, vcc
	flat_load_dword v24, v[24:25]
	s_or_b64 exec, exec, s[4:5]
                                        ; implicit-def: $vgpr25
	s_and_saveexec_b64 s[4:5], s[18:19]
	s_cbranch_execz .LBB613_46
.LBB613_69:
	v_add_co_u32_e32 v40, vcc, v5, v26
	v_addc_co_u32_e32 v41, vcc, 0, v6, vcc
	flat_load_dword v25, v[40:41]
	s_or_b64 exec, exec, s[4:5]
                                        ; implicit-def: $vgpr26
	s_and_saveexec_b64 s[4:5], s[20:21]
	s_cbranch_execz .LBB613_47
.LBB613_70:
	v_add_co_u32_e32 v26, vcc, v5, v27
	v_addc_co_u32_e32 v27, vcc, 0, v6, vcc
	flat_load_dword v26, v[26:27]
	s_or_b64 exec, exec, s[4:5]
                                        ; implicit-def: $vgpr27
	s_and_saveexec_b64 s[4:5], s[22:23]
	s_cbranch_execz .LBB613_48
.LBB613_71:
	v_add_co_u32_e32 v40, vcc, v5, v28
	v_addc_co_u32_e32 v41, vcc, 0, v6, vcc
	flat_load_dword v27, v[40:41]
	s_or_b64 exec, exec, s[4:5]
                                        ; implicit-def: $vgpr28
	s_and_saveexec_b64 s[4:5], s[24:25]
	s_cbranch_execz .LBB613_49
.LBB613_72:
	v_add_co_u32_e32 v28, vcc, v5, v29
	v_addc_co_u32_e32 v29, vcc, 0, v6, vcc
	flat_load_dword v28, v[28:29]
	s_or_b64 exec, exec, s[4:5]
                                        ; implicit-def: $vgpr29
	s_and_saveexec_b64 s[4:5], s[26:27]
	s_cbranch_execz .LBB613_50
.LBB613_73:
	v_add_co_u32_e32 v40, vcc, v5, v30
	v_addc_co_u32_e32 v41, vcc, 0, v6, vcc
	flat_load_dword v29, v[40:41]
	s_or_b64 exec, exec, s[4:5]
                                        ; implicit-def: $vgpr30
	s_and_saveexec_b64 s[4:5], s[28:29]
	s_cbranch_execz .LBB613_51
.LBB613_74:
	v_add_co_u32_e32 v30, vcc, v5, v31
	v_addc_co_u32_e32 v31, vcc, 0, v6, vcc
	flat_load_dword v30, v[30:31]
	s_or_b64 exec, exec, s[4:5]
                                        ; implicit-def: $vgpr31
	s_and_saveexec_b64 s[4:5], s[30:31]
	s_cbranch_execnz .LBB613_52
	s_branch .LBB613_53
.LBB613_75:
                                        ; implicit-def: $sgpr8_sgpr9
                                        ; implicit-def: $vgpr80
                                        ; implicit-def: $vgpr5
                                        ; implicit-def: $vgpr81
                                        ; implicit-def: $vgpr23
                                        ; implicit-def: $vgpr22
                                        ; implicit-def: $vgpr25
                                        ; implicit-def: $vgpr24
                                        ; implicit-def: $vgpr27
                                        ; implicit-def: $vgpr26
                                        ; implicit-def: $vgpr31
                                        ; implicit-def: $vgpr30
                                        ; implicit-def: $vgpr33
                                        ; implicit-def: $vgpr32
                                        ; implicit-def: $vgpr35
	s_cbranch_execz .LBB613_59
; %bb.76:
	s_mov_b32 s12, 0x66666667
	v_mul_hi_i32 v5, v9, s12
	v_lshrrev_b32_e32 v7, 31, v5
	v_ashrrev_i32_e32 v5, 2, v5
	v_add_u32_e32 v28, v5, v7
	v_mul_hi_i32 v5, v8, s12
	v_lshrrev_b32_e32 v7, 31, v5
	v_ashrrev_i32_e32 v5, 2, v5
	v_add_u32_e32 v5, v5, v7
	;; [unrolled: 4-line block ×15, first 2 shown]
	v_cmp_ne_u32_e32 vcc, v31, v7
	v_cndmask_b32_e64 v35, 0, 1, vcc
	v_cmp_ne_u32_e32 vcc, v31, v33
	v_cndmask_b32_e64 v32, 0, 1, vcc
	;; [unrolled: 2-line block ×13, first 2 shown]
	v_cmp_ne_u32_e32 vcc, v28, v29
	v_lshlrev_b32_e32 v6, 2, v0
	v_cndmask_b32_e64 v80, 0, 1, vcc
	ds_write_b32 v6, v1
	s_waitcnt lgkmcnt(0)
	s_barrier
	s_waitcnt lgkmcnt(0)
                                        ; implicit-def: $sgpr8_sgpr9
	s_and_saveexec_b64 s[6:7], s[2:3]
	s_xor_b64 s[6:7], exec, s[6:7]
	s_cbranch_execz .LBB613_78
; %bb.77:
	v_add_u32_e32 v6, -4, v6
	ds_read_b32 v6, v6
	s_or_b64 s[4:5], s[4:5], exec
	s_waitcnt lgkmcnt(0)
	v_mul_hi_i32 v6, v6, s12
	v_lshrrev_b32_e32 v28, 31, v6
	v_ashrrev_i32_e32 v6, 2, v6
	v_add_u32_e32 v6, v6, v28
	v_cmp_ne_u32_e32 vcc, v6, v7
	s_and_b64 s[8:9], vcc, exec
.LBB613_78:
	s_or_b64 exec, exec, s[6:7]
	s_mov_b32 s12, 1
.LBB613_79:
	v_mov_b32_e32 v29, v5
	s_branch .LBB613_115
.LBB613_80:
	s_mul_hi_u32 s7, s40, 0xfffff100
	s_mul_i32 s6, s41, 0xfffff100
	s_sub_i32 s7, s7, s40
	s_add_i32 s7, s7, s6
	s_mul_i32 s6, s40, 0xfffff100
	s_add_u32 s6, s6, s56
	s_addc_u32 s7, s7, s57
	s_and_b64 vcc, exec, s[10:11]
	v_mad_u32_u24 v28, v0, 15, 14
	s_cbranch_vccz .LBB613_220
; %bb.81:
	v_add_co_u32_e32 v6, vcc, -4, v3
	v_addc_co_u32_e32 v7, vcc, -1, v4, vcc
	flat_load_dword v6, v[6:7]
	v_mov_b32_e32 v5, 0
	v_mov_b32_e32 v29, v5
	v_lshlrev_b32_e32 v3, 2, v0
	v_cmp_gt_u64_e32 vcc, s[6:7], v[28:29]
	v_mov_b32_e32 v80, 0
	ds_write_b32 v3, v1
	s_and_saveexec_b64 s[4:5], vcc
; %bb.82:
	s_mov_b32 s8, 0x66666667
	v_mul_hi_i32 v4, v9, s8
	v_lshrrev_b32_e32 v7, 31, v4
	v_ashrrev_i32_e32 v4, 2, v4
	v_add_u32_e32 v4, v4, v7
	v_mul_hi_i32 v7, v1, s8
	v_lshrrev_b32_e32 v22, 31, v7
	v_ashrrev_i32_e32 v7, 2, v7
	v_add_u32_e32 v7, v7, v22
	v_cmp_ne_u32_e32 vcc, v4, v7
	v_cndmask_b32_e64 v80, 0, 1, vcc
; %bb.83:
	s_or_b64 exec, exec, s[4:5]
	v_add_u32_e32 v4, 13, v2
	v_cmp_gt_u64_e32 vcc, s[6:7], v[4:5]
	s_and_saveexec_b64 s[4:5], vcc
; %bb.84:
	s_mov_b32 s8, 0x66666667
	v_mul_hi_i32 v4, v8, s8
	v_lshrrev_b32_e32 v5, 31, v4
	v_ashrrev_i32_e32 v4, 2, v4
	v_add_u32_e32 v4, v4, v5
	v_mul_hi_i32 v5, v9, s8
	v_lshrrev_b32_e32 v7, 31, v5
	v_ashrrev_i32_e32 v5, 2, v5
	v_add_u32_e32 v5, v5, v7
	v_cmp_ne_u32_e32 vcc, v4, v5
	v_cndmask_b32_e64 v5, 0, 1, vcc
; %bb.85:
	s_or_b64 exec, exec, s[4:5]
	v_add_u32_e32 v22, 12, v2
	v_mov_b32_e32 v23, 0
	v_cmp_gt_u64_e32 vcc, s[6:7], v[22:23]
	v_mov_b32_e32 v81, 0
	s_and_saveexec_b64 s[4:5], vcc
; %bb.86:
	s_mov_b32 s8, 0x66666667
	v_mul_hi_i32 v4, v11, s8
	v_lshrrev_b32_e32 v7, 31, v4
	v_ashrrev_i32_e32 v4, 2, v4
	v_add_u32_e32 v4, v4, v7
	v_mul_hi_i32 v7, v8, s8
	v_lshrrev_b32_e32 v22, 31, v7
	v_ashrrev_i32_e32 v7, 2, v7
	v_add_u32_e32 v7, v7, v22
	v_cmp_ne_u32_e32 vcc, v4, v7
	v_cndmask_b32_e64 v81, 0, 1, vcc
; %bb.87:
	s_or_b64 exec, exec, s[4:5]
	v_add_u32_e32 v22, 11, v2
	v_cmp_gt_u64_e32 vcc, s[6:7], v[22:23]
	s_and_saveexec_b64 s[4:5], vcc
; %bb.88:
	s_mov_b32 s8, 0x66666667
	v_mul_hi_i32 v4, v10, s8
	v_lshrrev_b32_e32 v7, 31, v4
	v_ashrrev_i32_e32 v4, 2, v4
	v_add_u32_e32 v4, v4, v7
	v_mul_hi_i32 v7, v11, s8
	v_lshrrev_b32_e32 v22, 31, v7
	v_ashrrev_i32_e32 v7, 2, v7
	v_add_u32_e32 v7, v7, v22
	v_cmp_ne_u32_e32 vcc, v4, v7
	v_cndmask_b32_e64 v23, 0, 1, vcc
; %bb.89:
	s_or_b64 exec, exec, s[4:5]
	v_add_u32_e32 v24, 10, v2
	v_mov_b32_e32 v25, 0
	v_cmp_gt_u64_e32 vcc, s[6:7], v[24:25]
	v_mov_b32_e32 v22, 0
	;; [unrolled: 36-line block ×6, first 2 shown]
	s_and_saveexec_b64 s[4:5], vcc
; %bb.106:
	s_mov_b32 s8, 0x66666667
	v_mul_hi_i32 v4, v21, s8
	v_lshrrev_b32_e32 v7, 31, v4
	v_ashrrev_i32_e32 v4, 2, v4
	v_add_u32_e32 v4, v4, v7
	v_mul_hi_i32 v7, v18, s8
	v_lshrrev_b32_e32 v29, 31, v7
	v_ashrrev_i32_e32 v7, 2, v7
	v_add_u32_e32 v7, v7, v29
	v_cmp_ne_u32_e32 vcc, v4, v7
	v_cndmask_b32_e64 v32, 0, 1, vcc
; %bb.107:
	s_or_b64 exec, exec, s[4:5]
	v_add_u32_e32 v34, 1, v2
	v_cmp_gt_u64_e32 vcc, s[6:7], v[34:35]
	s_and_saveexec_b64 s[4:5], vcc
; %bb.108:
	s_mov_b32 s8, 0x66666667
	v_mul_hi_i32 v4, v20, s8
	v_lshrrev_b32_e32 v7, 31, v4
	v_ashrrev_i32_e32 v4, 2, v4
	v_add_u32_e32 v4, v4, v7
	v_mul_hi_i32 v7, v21, s8
	v_lshrrev_b32_e32 v29, 31, v7
	v_ashrrev_i32_e32 v7, 2, v7
	v_add_u32_e32 v7, v7, v29
	v_cmp_ne_u32_e32 vcc, v4, v7
	v_cndmask_b32_e64 v35, 0, 1, vcc
; %bb.109:
	s_or_b64 exec, exec, s[4:5]
	s_waitcnt lgkmcnt(0)
	s_barrier
	s_and_saveexec_b64 s[4:5], s[2:3]
	s_cbranch_execz .LBB613_111
; %bb.110:
	v_add_u32_e32 v3, -4, v3
	s_waitcnt vmcnt(0)
	ds_read_b32 v6, v3
.LBB613_111:
	s_or_b64 exec, exec, s[4:5]
	v_mov_b32_e32 v3, 0
	v_cmp_gt_u64_e32 vcc, s[6:7], v[2:3]
	s_mov_b64 s[10:11], 0
	s_mov_b64 s[8:9], 0
	s_and_saveexec_b64 s[4:5], vcc
	s_cbranch_execz .LBB613_113
; %bb.112:
	s_mov_b32 s8, 0x66666667
	s_waitcnt vmcnt(0) lgkmcnt(0)
	v_mul_hi_i32 v3, v6, s8
	v_lshrrev_b32_e32 v4, 31, v3
	v_ashrrev_i32_e32 v3, 2, v3
	v_add_u32_e32 v3, v3, v4
	v_mul_hi_i32 v4, v20, s8
	v_lshrrev_b32_e32 v6, 31, v4
	v_ashrrev_i32_e32 v4, 2, v4
	v_add_u32_e32 v4, v4, v6
	v_cmp_ne_u32_e32 vcc, v3, v4
	s_and_b64 s[8:9], vcc, exec
.LBB613_113:
	s_or_b64 exec, exec, s[4:5]
	s_mov_b64 s[4:5], -1
	s_and_b64 vcc, exec, s[10:11]
	s_cbranch_vccnz .LBB613_221
.LBB613_114:
                                        ; implicit-def: $vgpr29
                                        ; implicit-def: $sgpr12
.LBB613_115:
	v_mov_b32_e32 v34, s12
	s_and_saveexec_b64 s[2:3], s[4:5]
.LBB613_116:
	v_cndmask_b32_e64 v34, 0, 1, s[8:9]
	v_mov_b32_e32 v29, v5
.LBB613_117:
	s_or_b64 exec, exec, s[2:3]
	s_cmp_eq_u64 s[46:47], 0
	v_add3_u32 v2, v35, v34, v32
	s_cselect_b64 s[34:35], -1, 0
	s_cmp_lg_u32 s62, 0
	v_cmp_eq_u32_e64 s[26:27], 0, v35
	v_cmp_eq_u32_e64 s[24:25], 0, v32
	;; [unrolled: 1-line block ×3, first 2 shown]
	v_add3_u32 v86, v2, v33, v30
	v_cmp_eq_u32_e64 s[20:21], 0, v30
	v_cmp_eq_u32_e64 s[18:19], 0, v31
	;; [unrolled: 1-line block ×10, first 2 shown]
	v_cmp_eq_u32_e32 vcc, 0, v80
	v_mbcnt_lo_u32_b32 v85, -1, 0
	v_lshrrev_b32_e32 v83, 6, v0
	v_or_b32_e32 v84, 63, v0
	s_cbranch_scc0 .LBB613_144
; %bb.118:
	v_cndmask_b32_e64 v2, 0, v46, s[26:27]
	v_add_u32_e32 v2, v2, v48
	v_cndmask_b32_e64 v2, 0, v2, s[24:25]
	v_add_u32_e32 v2, v2, v47
	;; [unrolled: 2-line block ×11, first 2 shown]
	v_cndmask_b32_e64 v2, 0, v2, s[4:5]
	v_add3_u32 v3, v86, v31, v26
	v_add_u32_e32 v2, v2, v36
	v_add3_u32 v3, v3, v27, v24
	v_cndmask_b32_e64 v2, 0, v2, s[2:3]
	v_add3_u32 v3, v3, v25, v22
	v_add_u32_e32 v2, v2, v82
	v_add3_u32 v3, v3, v23, v81
	v_cndmask_b32_e32 v2, 0, v2, vcc
	v_add3_u32 v3, v3, v29, v80
	v_add_u32_e32 v2, v2, v37
	v_mbcnt_hi_u32_b32 v53, -1, v85
	v_and_b32_e32 v4, 15, v53
	s_waitcnt vmcnt(0) lgkmcnt(0)
	v_mov_b32_dpp v6, v2 row_shr:1 row_mask:0xf bank_mask:0xf
	v_cmp_eq_u32_e32 vcc, 0, v3
	v_mov_b32_dpp v5, v3 row_shr:1 row_mask:0xf bank_mask:0xf
	v_cndmask_b32_e32 v6, 0, v6, vcc
	v_cmp_eq_u32_e32 vcc, 0, v4
	v_cndmask_b32_e64 v5, v5, 0, vcc
	v_add_u32_e32 v3, v5, v3
	v_cndmask_b32_e64 v5, v6, 0, vcc
	v_add_u32_e32 v2, v5, v2
	v_cmp_eq_u32_e32 vcc, 0, v3
	v_mov_b32_dpp v5, v3 row_shr:2 row_mask:0xf bank_mask:0xf
	v_cmp_lt_u32_e64 s[28:29], 1, v4
	v_mov_b32_dpp v6, v2 row_shr:2 row_mask:0xf bank_mask:0xf
	v_cndmask_b32_e64 v5, 0, v5, s[28:29]
	s_and_b64 vcc, s[28:29], vcc
	v_cndmask_b32_e32 v6, 0, v6, vcc
	v_add_u32_e32 v3, v3, v5
	v_add_u32_e32 v2, v6, v2
	v_cmp_eq_u32_e32 vcc, 0, v3
	v_mov_b32_dpp v5, v3 row_shr:4 row_mask:0xf bank_mask:0xf
	v_cmp_lt_u32_e64 s[28:29], 3, v4
	v_mov_b32_dpp v6, v2 row_shr:4 row_mask:0xf bank_mask:0xf
	v_cndmask_b32_e64 v5, 0, v5, s[28:29]
	s_and_b64 vcc, s[28:29], vcc
	v_cndmask_b32_e32 v6, 0, v6, vcc
	v_add_u32_e32 v3, v5, v3
	v_add_u32_e32 v2, v2, v6
	v_cmp_eq_u32_e32 vcc, 0, v3
	v_cmp_lt_u32_e64 s[28:29], 7, v4
	v_mov_b32_dpp v5, v3 row_shr:8 row_mask:0xf bank_mask:0xf
	v_mov_b32_dpp v6, v2 row_shr:8 row_mask:0xf bank_mask:0xf
	s_and_b64 vcc, s[28:29], vcc
	v_cndmask_b32_e64 v4, 0, v5, s[28:29]
	v_cndmask_b32_e32 v5, 0, v6, vcc
	v_add_u32_e32 v2, v5, v2
	v_add_u32_e32 v3, v4, v3
	v_bfe_i32 v6, v53, 4, 1
	v_mov_b32_dpp v5, v2 row_bcast:15 row_mask:0xf bank_mask:0xf
	v_mov_b32_dpp v4, v3 row_bcast:15 row_mask:0xf bank_mask:0xf
	v_cmp_eq_u32_e32 vcc, 0, v3
	v_cndmask_b32_e32 v5, 0, v5, vcc
	v_and_b32_e32 v4, v6, v4
	v_add_u32_e32 v3, v4, v3
	v_and_b32_e32 v4, v6, v5
	v_add_u32_e32 v4, v4, v2
	v_mov_b32_dpp v2, v3 row_bcast:31 row_mask:0xf bank_mask:0xf
	v_cmp_eq_u32_e32 vcc, 0, v3
	v_cmp_lt_u32_e64 s[28:29], 31, v53
	v_mov_b32_dpp v5, v4 row_bcast:31 row_mask:0xf bank_mask:0xf
	v_cndmask_b32_e64 v2, 0, v2, s[28:29]
	s_and_b64 vcc, s[28:29], vcc
	v_add_u32_e32 v2, v2, v3
	v_cndmask_b32_e32 v3, 0, v5, vcc
	v_add_u32_e32 v3, v3, v4
	v_cmp_eq_u32_e32 vcc, v84, v0
	v_lshlrev_b32_e32 v4, 3, v83
	s_and_saveexec_b64 s[28:29], vcc
	s_cbranch_execz .LBB613_120
; %bb.119:
	ds_write_b64 v4, v[2:3] offset:2064
.LBB613_120:
	s_or_b64 exec, exec, s[28:29]
	v_cmp_gt_u32_e32 vcc, 4, v0
	s_waitcnt lgkmcnt(0)
	s_barrier
	s_and_saveexec_b64 s[30:31], vcc
	s_cbranch_execz .LBB613_122
; %bb.121:
	v_lshlrev_b32_e32 v5, 3, v0
	ds_read_b64 v[6:7], v5 offset:2064
	v_and_b32_e32 v28, 3, v53
	v_cmp_lt_u32_e64 s[28:29], 1, v28
	s_waitcnt lgkmcnt(0)
	v_mov_b32_dpp v51, v7 row_shr:1 row_mask:0xf bank_mask:0xf
	v_cmp_eq_u32_e32 vcc, 0, v6
	v_mov_b32_dpp v50, v6 row_shr:1 row_mask:0xf bank_mask:0xf
	v_cndmask_b32_e32 v51, 0, v51, vcc
	v_cmp_eq_u32_e32 vcc, 0, v28
	v_cndmask_b32_e64 v50, v50, 0, vcc
	v_add_u32_e32 v6, v50, v6
	v_cndmask_b32_e64 v50, v51, 0, vcc
	v_add_u32_e32 v7, v50, v7
	v_cmp_eq_u32_e32 vcc, 0, v6
	v_mov_b32_dpp v50, v6 row_shr:2 row_mask:0xf bank_mask:0xf
	v_mov_b32_dpp v51, v7 row_shr:2 row_mask:0xf bank_mask:0xf
	v_cndmask_b32_e64 v28, 0, v50, s[28:29]
	s_and_b64 vcc, s[28:29], vcc
	v_add_u32_e32 v6, v28, v6
	v_cndmask_b32_e32 v28, 0, v51, vcc
	v_add_u32_e32 v7, v28, v7
	ds_write_b64 v5, v[6:7] offset:2064
.LBB613_122:
	s_or_b64 exec, exec, s[30:31]
	v_cmp_gt_u32_e32 vcc, 64, v0
	v_cmp_lt_u32_e64 s[28:29], 63, v0
	v_mov_b32_e32 v50, 0
	v_mov_b32_e32 v51, 0
	s_waitcnt lgkmcnt(0)
	s_barrier
	s_and_saveexec_b64 s[30:31], s[28:29]
	s_cbranch_execz .LBB613_124
; %bb.123:
	ds_read_b64 v[50:51], v4 offset:2056
	v_cmp_eq_u32_e64 s[28:29], 0, v2
	s_waitcnt lgkmcnt(0)
	v_add_u32_e32 v4, v50, v2
	v_cndmask_b32_e64 v2, 0, v51, s[28:29]
	v_add_u32_e32 v3, v2, v3
	v_mov_b32_e32 v2, v4
.LBB613_124:
	s_or_b64 exec, exec, s[30:31]
	v_add_u32_e32 v4, -1, v53
	v_and_b32_e32 v5, 64, v53
	v_cmp_lt_i32_e64 s[28:29], v4, v5
	v_cndmask_b32_e64 v4, v4, v53, s[28:29]
	v_lshlrev_b32_e32 v4, 2, v4
	ds_bpermute_b32 v28, v4, v2
	ds_bpermute_b32 v58, v4, v3
	v_cmp_eq_u32_e64 s[28:29], 0, v53
	s_and_saveexec_b64 s[40:41], vcc
	s_cbranch_execz .LBB613_143
; %bb.125:
	v_mov_b32_e32 v7, 0
	ds_read_b64 v[2:3], v7 offset:2088
	s_waitcnt lgkmcnt(0)
	v_readfirstlane_b32 s48, v2
	v_readfirstlane_b32 s49, v3
	s_and_saveexec_b64 s[30:31], s[28:29]
	s_cbranch_execz .LBB613_127
; %bb.126:
	s_add_i32 s46, s62, 64
	s_mov_b32 s47, 0
	s_lshl_b64 s[50:51], s[46:47], 4
	s_add_u32 s50, s44, s50
	s_addc_u32 s51, s45, s51
	s_and_b32 s57, s49, 0xff000000
	s_mov_b32 s56, s47
	s_and_b32 s65, s49, 0xff0000
	s_mov_b32 s64, s47
	s_or_b64 s[56:57], s[64:65], s[56:57]
	s_and_b32 s65, s49, 0xff00
	s_or_b64 s[56:57], s[56:57], s[64:65]
	s_and_b32 s65, s49, 0xff
	s_or_b64 s[46:47], s[56:57], s[64:65]
	v_mov_b32_e32 v4, s48
	v_mov_b32_e32 v5, s47
	;; [unrolled: 1-line block ×3, first 2 shown]
	v_pk_mov_b32 v[2:3], s[50:51], s[50:51] op_sel:[0,1]
	;;#ASMSTART
	global_store_dwordx4 v[2:3], v[4:7] off	
s_waitcnt vmcnt(0)
	;;#ASMEND
.LBB613_127:
	s_or_b64 exec, exec, s[30:31]
	v_xad_u32 v52, v53, -1, s62
	v_add_u32_e32 v6, 64, v52
	v_lshlrev_b64 v[2:3], 4, v[6:7]
	v_mov_b32_e32 v4, s45
	v_add_co_u32_e32 v54, vcc, s44, v2
	v_addc_co_u32_e32 v55, vcc, v4, v3, vcc
	;;#ASMSTART
	global_load_dwordx4 v[2:5], v[54:55] off glc	
s_waitcnt vmcnt(0)
	;;#ASMEND
	v_and_b32_e32 v5, 0xff, v3
	v_and_b32_e32 v6, 0xff00, v3
	;; [unrolled: 1-line block ×3, first 2 shown]
	v_or3_b32 v5, 0, v5, v6
	v_or3_b32 v2, v2, 0, 0
	v_and_b32_e32 v3, 0xff000000, v3
	v_or3_b32 v3, v5, v56, v3
	v_or3_b32 v2, v2, 0, 0
	v_cmp_eq_u16_sdwa s[46:47], v4, v7 src0_sel:BYTE_0 src1_sel:DWORD
	s_and_saveexec_b64 s[30:31], s[46:47]
	s_cbranch_execz .LBB613_131
; %bb.128:
	s_mov_b64 s[46:47], 0
	v_mov_b32_e32 v6, 0
.LBB613_129:                            ; =>This Inner Loop Header: Depth=1
	;;#ASMSTART
	global_load_dwordx4 v[2:5], v[54:55] off glc	
s_waitcnt vmcnt(0)
	;;#ASMEND
	v_cmp_ne_u16_sdwa s[50:51], v4, v6 src0_sel:BYTE_0 src1_sel:DWORD
	s_or_b64 s[46:47], s[50:51], s[46:47]
	s_andn2_b64 exec, exec, s[46:47]
	s_cbranch_execnz .LBB613_129
; %bb.130:
	s_or_b64 exec, exec, s[46:47]
.LBB613_131:
	s_or_b64 exec, exec, s[30:31]
	v_mov_b32_e32 v59, 2
	v_cmp_eq_u16_sdwa s[30:31], v4, v59 src0_sel:BYTE_0 src1_sel:DWORD
	v_lshlrev_b64 v[54:55], v53, -1
	v_and_b32_e32 v5, s31, v55
	v_and_b32_e32 v60, 63, v53
	v_or_b32_e32 v5, 0x80000000, v5
	v_cmp_ne_u32_e32 vcc, 63, v60
	v_and_b32_e32 v6, s30, v54
	v_ffbl_b32_e32 v5, v5
	v_addc_co_u32_e32 v7, vcc, 0, v53, vcc
	v_add_u32_e32 v5, 32, v5
	v_ffbl_b32_e32 v6, v6
	v_lshlrev_b32_e32 v61, 2, v7
	v_min_u32_e32 v5, v6, v5
	ds_bpermute_b32 v6, v61, v3
	v_cmp_eq_u32_e32 vcc, 0, v2
	v_cmp_lt_u32_e64 s[30:31], v60, v5
	ds_bpermute_b32 v7, v61, v2
	s_and_b64 vcc, s[30:31], vcc
	s_waitcnt lgkmcnt(1)
	v_cndmask_b32_e32 v6, 0, v6, vcc
	v_cmp_gt_u32_e32 vcc, 62, v60
	v_add_u32_e32 v3, v6, v3
	v_cndmask_b32_e64 v6, 0, 1, vcc
	v_lshlrev_b32_e32 v6, 1, v6
	v_add_lshl_u32 v62, v6, v53, 2
	s_waitcnt lgkmcnt(0)
	v_cndmask_b32_e64 v7, 0, v7, s[30:31]
	ds_bpermute_b32 v6, v62, v3
	v_add_u32_e32 v2, v7, v2
	ds_bpermute_b32 v7, v62, v2
	v_add_u32_e32 v63, 2, v60
	v_cmp_eq_u32_e32 vcc, 0, v2
	s_waitcnt lgkmcnt(1)
	v_cndmask_b32_e32 v6, 0, v6, vcc
	v_cmp_gt_u32_e32 vcc, v63, v5
	v_cndmask_b32_e64 v6, v6, 0, vcc
	v_add_u32_e32 v3, v6, v3
	s_waitcnt lgkmcnt(0)
	v_cndmask_b32_e64 v6, v7, 0, vcc
	v_cmp_gt_u32_e32 vcc, 60, v60
	v_cndmask_b32_e64 v7, 0, 1, vcc
	v_lshlrev_b32_e32 v7, 2, v7
	v_add_lshl_u32 v64, v7, v53, 2
	ds_bpermute_b32 v7, v64, v3
	v_add_u32_e32 v2, v2, v6
	ds_bpermute_b32 v6, v64, v2
	v_add_u32_e32 v65, 4, v60
	v_cmp_eq_u32_e32 vcc, 0, v2
	s_waitcnt lgkmcnt(1)
	v_cndmask_b32_e32 v7, 0, v7, vcc
	v_cmp_gt_u32_e32 vcc, v65, v5
	v_cndmask_b32_e64 v7, v7, 0, vcc
	s_waitcnt lgkmcnt(0)
	v_cndmask_b32_e64 v6, v6, 0, vcc
	v_cmp_gt_u32_e32 vcc, 56, v60
	v_add_u32_e32 v3, v3, v7
	v_cndmask_b32_e64 v7, 0, 1, vcc
	v_lshlrev_b32_e32 v7, 3, v7
	v_add_lshl_u32 v66, v7, v53, 2
	ds_bpermute_b32 v7, v66, v3
	v_add_u32_e32 v2, v2, v6
	ds_bpermute_b32 v6, v66, v2
	v_add_u32_e32 v67, 8, v60
	v_cmp_eq_u32_e32 vcc, 0, v2
	s_waitcnt lgkmcnt(1)
	v_cndmask_b32_e32 v7, 0, v7, vcc
	v_cmp_gt_u32_e32 vcc, v67, v5
	v_cndmask_b32_e64 v7, v7, 0, vcc
	s_waitcnt lgkmcnt(0)
	v_cndmask_b32_e64 v6, v6, 0, vcc
	v_cmp_gt_u32_e32 vcc, 48, v60
	v_add_u32_e32 v3, v3, v7
	;; [unrolled: 16-line block ×3, first 2 shown]
	v_cndmask_b32_e64 v7, 0, 1, vcc
	v_lshlrev_b32_e32 v7, 5, v7
	v_add_lshl_u32 v70, v7, v53, 2
	ds_bpermute_b32 v7, v70, v3
	v_add_u32_e32 v2, v2, v6
	ds_bpermute_b32 v6, v70, v2
	v_add_u32_e32 v71, 32, v60
	v_cmp_eq_u32_e32 vcc, 0, v2
	s_waitcnt lgkmcnt(1)
	v_cndmask_b32_e32 v7, 0, v7, vcc
	v_cmp_gt_u32_e32 vcc, v71, v5
	v_cndmask_b32_e64 v5, v7, 0, vcc
	v_add_u32_e32 v3, v5, v3
	s_waitcnt lgkmcnt(0)
	v_cndmask_b32_e64 v5, v6, 0, vcc
	v_add_u32_e32 v2, v5, v2
	v_mov_b32_e32 v53, 0
	s_branch .LBB613_133
.LBB613_132:                            ;   in Loop: Header=BB613_133 Depth=1
	s_or_b64 exec, exec, s[30:31]
	v_cmp_eq_u16_sdwa s[30:31], v4, v59 src0_sel:BYTE_0 src1_sel:DWORD
	v_and_b32_e32 v5, s31, v55
	v_or_b32_e32 v5, 0x80000000, v5
	v_and_b32_e32 v56, s30, v54
	v_ffbl_b32_e32 v5, v5
	v_add_u32_e32 v5, 32, v5
	v_ffbl_b32_e32 v56, v56
	v_min_u32_e32 v5, v56, v5
	ds_bpermute_b32 v56, v61, v3
	v_cmp_eq_u32_e32 vcc, 0, v2
	v_cmp_lt_u32_e64 s[30:31], v60, v5
	ds_bpermute_b32 v57, v61, v2
	s_and_b64 vcc, s[30:31], vcc
	s_waitcnt lgkmcnt(1)
	v_cndmask_b32_e32 v56, 0, v56, vcc
	v_add_u32_e32 v3, v56, v3
	ds_bpermute_b32 v56, v62, v3
	s_waitcnt lgkmcnt(1)
	v_cndmask_b32_e64 v57, 0, v57, s[30:31]
	v_add_u32_e32 v2, v57, v2
	v_cmp_eq_u32_e32 vcc, 0, v2
	ds_bpermute_b32 v57, v62, v2
	s_waitcnt lgkmcnt(1)
	v_cndmask_b32_e32 v56, 0, v56, vcc
	v_cmp_gt_u32_e32 vcc, v63, v5
	v_cndmask_b32_e64 v56, v56, 0, vcc
	v_add_u32_e32 v3, v56, v3
	ds_bpermute_b32 v56, v64, v3
	s_waitcnt lgkmcnt(1)
	v_cndmask_b32_e64 v57, v57, 0, vcc
	v_add_u32_e32 v2, v2, v57
	v_cmp_eq_u32_e32 vcc, 0, v2
	ds_bpermute_b32 v57, v64, v2
	s_waitcnt lgkmcnt(1)
	v_cndmask_b32_e32 v56, 0, v56, vcc
	v_cmp_gt_u32_e32 vcc, v65, v5
	v_cndmask_b32_e64 v56, v56, 0, vcc
	v_add_u32_e32 v3, v3, v56
	ds_bpermute_b32 v56, v66, v3
	s_waitcnt lgkmcnt(1)
	v_cndmask_b32_e64 v57, v57, 0, vcc
	v_add_u32_e32 v2, v2, v57
	ds_bpermute_b32 v57, v66, v2
	v_cmp_eq_u32_e32 vcc, 0, v2
	s_waitcnt lgkmcnt(1)
	v_cndmask_b32_e32 v56, 0, v56, vcc
	v_cmp_gt_u32_e32 vcc, v67, v5
	v_cndmask_b32_e64 v56, v56, 0, vcc
	v_add_u32_e32 v3, v3, v56
	ds_bpermute_b32 v56, v68, v3
	s_waitcnt lgkmcnt(1)
	v_cndmask_b32_e64 v57, v57, 0, vcc
	v_add_u32_e32 v2, v2, v57
	ds_bpermute_b32 v57, v68, v2
	v_cmp_eq_u32_e32 vcc, 0, v2
	;; [unrolled: 11-line block ×3, first 2 shown]
	s_waitcnt lgkmcnt(1)
	v_cndmask_b32_e32 v56, 0, v56, vcc
	v_cmp_gt_u32_e32 vcc, v71, v5
	v_cndmask_b32_e64 v5, v56, 0, vcc
	v_add_u32_e32 v3, v5, v3
	s_waitcnt lgkmcnt(0)
	v_cndmask_b32_e64 v5, v57, 0, vcc
	v_cmp_eq_u32_e32 vcc, 0, v6
	v_cndmask_b32_e32 v3, 0, v3, vcc
	v_subrev_u32_e32 v52, 64, v52
	v_add3_u32 v2, v2, v6, v5
	v_add_u32_e32 v3, v3, v7
.LBB613_133:                            ; =>This Loop Header: Depth=1
                                        ;     Child Loop BB613_136 Depth 2
	v_cmp_ne_u16_sdwa s[30:31], v4, v59 src0_sel:BYTE_0 src1_sel:DWORD
	v_mov_b32_e32 v7, v3
	v_cndmask_b32_e64 v3, 0, 1, s[30:31]
	;;#ASMSTART
	;;#ASMEND
	v_cmp_ne_u32_e32 vcc, 0, v3
	s_cmp_lg_u64 vcc, exec
	v_mov_b32_e32 v6, v2
	s_cbranch_scc1 .LBB613_138
; %bb.134:                              ;   in Loop: Header=BB613_133 Depth=1
	v_lshlrev_b64 v[2:3], 4, v[52:53]
	v_mov_b32_e32 v4, s45
	v_add_co_u32_e32 v56, vcc, s44, v2
	v_addc_co_u32_e32 v57, vcc, v4, v3, vcc
	;;#ASMSTART
	global_load_dwordx4 v[2:5], v[56:57] off glc	
s_waitcnt vmcnt(0)
	;;#ASMEND
	v_and_b32_e32 v5, 0xff, v3
	v_and_b32_e32 v72, 0xff00, v3
	;; [unrolled: 1-line block ×3, first 2 shown]
	v_or3_b32 v5, 0, v5, v72
	v_or3_b32 v2, v2, 0, 0
	v_and_b32_e32 v3, 0xff000000, v3
	v_or3_b32 v3, v5, v73, v3
	v_or3_b32 v2, v2, 0, 0
	v_cmp_eq_u16_sdwa s[46:47], v4, v53 src0_sel:BYTE_0 src1_sel:DWORD
	s_and_saveexec_b64 s[30:31], s[46:47]
	s_cbranch_execz .LBB613_132
; %bb.135:                              ;   in Loop: Header=BB613_133 Depth=1
	s_mov_b64 s[46:47], 0
.LBB613_136:                            ;   Parent Loop BB613_133 Depth=1
                                        ; =>  This Inner Loop Header: Depth=2
	;;#ASMSTART
	global_load_dwordx4 v[2:5], v[56:57] off glc	
s_waitcnt vmcnt(0)
	;;#ASMEND
	v_cmp_ne_u16_sdwa s[50:51], v4, v53 src0_sel:BYTE_0 src1_sel:DWORD
	s_or_b64 s[46:47], s[50:51], s[46:47]
	s_andn2_b64 exec, exec, s[46:47]
	s_cbranch_execnz .LBB613_136
; %bb.137:                              ;   in Loop: Header=BB613_133 Depth=1
	s_or_b64 exec, exec, s[46:47]
	s_branch .LBB613_132
.LBB613_138:                            ;   in Loop: Header=BB613_133 Depth=1
                                        ; implicit-def: $vgpr3
                                        ; implicit-def: $vgpr2
                                        ; implicit-def: $vgpr4
	s_cbranch_execz .LBB613_133
; %bb.139:
	s_and_saveexec_b64 s[30:31], s[28:29]
	s_cbranch_execz .LBB613_141
; %bb.140:
	s_cmp_eq_u32 s48, 0
	s_cselect_b64 vcc, -1, 0
	s_mov_b32 s47, 0
	v_cndmask_b32_e32 v2, 0, v7, vcc
	s_add_i32 s46, s62, 64
	v_add_u32_e32 v2, s49, v2
	s_lshl_b64 s[46:47], s[46:47], 4
	s_add_u32 s46, s44, s46
	v_and_b32_e32 v3, 0xff000000, v2
	v_and_b32_e32 v4, 0xff0000, v2
	s_addc_u32 s47, s45, s47
	v_or_b32_e32 v3, v4, v3
	v_and_b32_e32 v4, 0xff00, v2
	v_and_b32_e32 v2, 0xff, v2
	v_add_u32_e32 v52, s48, v6
	v_mov_b32_e32 v55, 0
	v_or3_b32 v53, v3, v4, v2
	v_mov_b32_e32 v54, 2
	v_pk_mov_b32 v[2:3], s[46:47], s[46:47] op_sel:[0,1]
	;;#ASMSTART
	global_store_dwordx4 v[2:3], v[52:55] off	
s_waitcnt vmcnt(0)
	;;#ASMEND
	v_mov_b32_e32 v4, s48
	v_mov_b32_e32 v5, s49
	ds_write_b128 v55, v[4:7] offset:2048
.LBB613_141:
	s_or_b64 exec, exec, s[30:31]
	s_and_b64 exec, exec, s[0:1]
	s_cbranch_execz .LBB613_143
; %bb.142:
	v_mov_b32_e32 v2, 0
	ds_write_b64 v2, v[6:7] offset:2088
.LBB613_143:
	s_or_b64 exec, exec, s[40:41]
	v_mov_b32_e32 v4, 0
	s_waitcnt lgkmcnt(0)
	s_barrier
	ds_read_b64 v[2:3], v4 offset:2088
	v_cndmask_b32_e64 v6, v28, v50, s[28:29]
	v_cmp_eq_u32_e32 vcc, 0, v6
	v_cndmask_b32_e64 v5, v58, v51, s[28:29]
	s_waitcnt lgkmcnt(0)
	v_cndmask_b32_e32 v7, 0, v3, vcc
	v_add_u32_e32 v5, v7, v5
	v_cndmask_b32_e64 v79, v5, v3, s[0:1]
	v_cndmask_b32_e64 v3, v6, 0, s[0:1]
	v_cmp_eq_u32_e32 vcc, 0, v34
	v_add_u32_e32 v78, v2, v3
	v_cndmask_b32_e32 v2, 0, v79, vcc
	v_add_u32_e32 v77, v2, v46
	v_cndmask_b32_e64 v2, 0, v77, s[26:27]
	v_add_u32_e32 v75, v2, v48
	v_cndmask_b32_e64 v2, 0, v75, s[24:25]
	;; [unrolled: 2-line block ×8, first 2 shown]
	v_add_u32_e32 v76, v78, v34
	v_add_u32_e32 v61, v2, v38
	v_add_u32_e32 v74, v76, v35
	v_cndmask_b32_e64 v2, 0, v61, s[10:11]
	v_add_u32_e32 v72, v74, v32
	v_add_u32_e32 v59, v2, v40
	v_add_u32_e32 v70, v72, v33
	v_cndmask_b32_e64 v2, 0, v59, s[8:9]
	;; [unrolled: 4-line block ×3, first 2 shown]
	v_add_u32_e32 v64, v66, v26
	v_add_u32_e32 v55, v2, v41
	s_barrier
	ds_read_b128 v[2:5], v4 offset:2048
	v_add_u32_e32 v62, v64, v27
	v_add_u32_e32 v60, v62, v24
	;; [unrolled: 1-line block ×4, first 2 shown]
	v_cndmask_b32_e64 v6, 0, v55, s[4:5]
	v_add_u32_e32 v54, v56, v23
	v_add_u32_e32 v53, v6, v36
	s_waitcnt lgkmcnt(0)
	v_cmp_eq_u32_e32 vcc, 0, v2
	v_add_u32_e32 v52, v54, v81
	v_cndmask_b32_e64 v6, 0, v53, s[2:3]
	v_cndmask_b32_e32 v5, 0, v5, vcc
	v_add_u32_e32 v50, v52, v29
	v_add_u32_e32 v51, v6, v82
	;; [unrolled: 1-line block ×3, first 2 shown]
	s_branch .LBB613_156
.LBB613_144:
                                        ; implicit-def: $vgpr2
                                        ; implicit-def: $vgpr28
                                        ; implicit-def: $vgpr78_vgpr79
                                        ; implicit-def: $vgpr76_vgpr77
                                        ; implicit-def: $vgpr74_vgpr75
                                        ; implicit-def: $vgpr72_vgpr73
                                        ; implicit-def: $vgpr70_vgpr71
                                        ; implicit-def: $vgpr68_vgpr69
                                        ; implicit-def: $vgpr66_vgpr67
                                        ; implicit-def: $vgpr64_vgpr65
                                        ; implicit-def: $vgpr62_vgpr63
                                        ; implicit-def: $vgpr60_vgpr61
                                        ; implicit-def: $vgpr58_vgpr59
                                        ; implicit-def: $vgpr56_vgpr57
                                        ; implicit-def: $vgpr54_vgpr55
                                        ; implicit-def: $vgpr52_vgpr53
                                        ; implicit-def: $vgpr50_vgpr51
	s_cbranch_execz .LBB613_156
; %bb.145:
	s_and_b64 s[2:3], s[34:35], exec
	s_cselect_b32 s3, 0, s61
	s_cselect_b32 s2, 0, s60
	s_cmp_eq_u64 s[2:3], 0
	s_waitcnt vmcnt(0) lgkmcnt(0)
	v_mov_b32_e32 v6, v46
	s_cbranch_scc1 .LBB613_147
; %bb.146:
	v_mov_b32_e32 v2, 0
	global_load_dword v6, v2, s[2:3]
.LBB613_147:
	v_cmp_eq_u32_e64 s[2:3], 0, v35
	v_cndmask_b32_e64 v2, 0, v46, s[2:3]
	v_add_u32_e32 v2, v2, v48
	v_cmp_eq_u32_e64 s[4:5], 0, v32
	v_cndmask_b32_e64 v2, 0, v2, s[4:5]
	v_add_u32_e32 v2, v2, v47
	;; [unrolled: 3-line block ×11, first 2 shown]
	v_cmp_eq_u32_e64 s[24:25], 0, v81
	v_cndmask_b32_e64 v2, 0, v2, s[24:25]
	v_add3_u32 v3, v86, v31, v26
	v_add_u32_e32 v2, v2, v36
	v_cmp_eq_u32_e32 vcc, 0, v29
	v_add3_u32 v3, v3, v27, v24
	v_cndmask_b32_e32 v2, 0, v2, vcc
	v_add3_u32 v3, v3, v25, v22
	v_add_u32_e32 v2, v2, v82
	v_cmp_eq_u32_e64 s[26:27], 0, v80
	v_add3_u32 v3, v3, v23, v81
	v_cndmask_b32_e64 v2, 0, v2, s[26:27]
	v_add3_u32 v3, v3, v29, v80
	v_add_u32_e32 v2, v2, v37
	v_mbcnt_hi_u32_b32 v7, -1, v85
	v_and_b32_e32 v4, 15, v7
	v_mov_b32_dpp v28, v2 row_shr:1 row_mask:0xf bank_mask:0xf
	v_cmp_eq_u32_e64 s[26:27], 0, v3
	v_mov_b32_dpp v5, v3 row_shr:1 row_mask:0xf bank_mask:0xf
	v_cndmask_b32_e64 v28, 0, v28, s[26:27]
	v_cmp_eq_u32_e64 s[26:27], 0, v4
	v_cndmask_b32_e64 v5, v5, 0, s[26:27]
	v_add_u32_e32 v3, v5, v3
	v_cndmask_b32_e64 v5, v28, 0, s[26:27]
	v_add_u32_e32 v2, v5, v2
	v_cmp_eq_u32_e64 s[26:27], 0, v3
	v_mov_b32_dpp v5, v3 row_shr:2 row_mask:0xf bank_mask:0xf
	v_cmp_lt_u32_e64 s[28:29], 1, v4
	v_mov_b32_dpp v28, v2 row_shr:2 row_mask:0xf bank_mask:0xf
	v_cndmask_b32_e64 v5, 0, v5, s[28:29]
	s_and_b64 s[26:27], s[28:29], s[26:27]
	v_cndmask_b32_e64 v28, 0, v28, s[26:27]
	v_add_u32_e32 v3, v3, v5
	v_add_u32_e32 v2, v28, v2
	v_cmp_eq_u32_e64 s[26:27], 0, v3
	v_mov_b32_dpp v5, v3 row_shr:4 row_mask:0xf bank_mask:0xf
	v_cmp_lt_u32_e64 s[28:29], 3, v4
	v_mov_b32_dpp v28, v2 row_shr:4 row_mask:0xf bank_mask:0xf
	v_cndmask_b32_e64 v5, 0, v5, s[28:29]
	s_and_b64 s[26:27], s[28:29], s[26:27]
	v_cndmask_b32_e64 v28, 0, v28, s[26:27]
	v_add_u32_e32 v3, v5, v3
	v_add_u32_e32 v2, v2, v28
	v_cmp_eq_u32_e64 s[26:27], 0, v3
	v_cmp_lt_u32_e64 s[28:29], 7, v4
	v_mov_b32_dpp v5, v3 row_shr:8 row_mask:0xf bank_mask:0xf
	v_mov_b32_dpp v28, v2 row_shr:8 row_mask:0xf bank_mask:0xf
	s_and_b64 s[26:27], s[28:29], s[26:27]
	v_cndmask_b32_e64 v4, 0, v5, s[28:29]
	v_cndmask_b32_e64 v5, 0, v28, s[26:27]
	v_add_u32_e32 v2, v5, v2
	v_add_u32_e32 v3, v4, v3
	v_bfe_i32 v28, v7, 4, 1
	v_mov_b32_dpp v5, v2 row_bcast:15 row_mask:0xf bank_mask:0xf
	v_mov_b32_dpp v4, v3 row_bcast:15 row_mask:0xf bank_mask:0xf
	v_cmp_eq_u32_e64 s[26:27], 0, v3
	v_cndmask_b32_e64 v5, 0, v5, s[26:27]
	v_and_b32_e32 v4, v28, v4
	v_add_u32_e32 v3, v4, v3
	v_and_b32_e32 v4, v28, v5
	v_add_u32_e32 v4, v4, v2
	v_mov_b32_dpp v2, v3 row_bcast:31 row_mask:0xf bank_mask:0xf
	v_cmp_eq_u32_e64 s[26:27], 0, v3
	v_cmp_lt_u32_e64 s[28:29], 31, v7
	v_mov_b32_dpp v5, v4 row_bcast:31 row_mask:0xf bank_mask:0xf
	v_cndmask_b32_e64 v2, 0, v2, s[28:29]
	s_and_b64 s[26:27], s[28:29], s[26:27]
	v_add_u32_e32 v2, v2, v3
	v_cndmask_b32_e64 v3, 0, v5, s[26:27]
	v_add_u32_e32 v3, v3, v4
	v_cmp_eq_u32_e64 s[26:27], v84, v0
	v_lshlrev_b32_e32 v5, 3, v83
	s_and_saveexec_b64 s[28:29], s[26:27]
	s_cbranch_execz .LBB613_149
; %bb.148:
	ds_write_b64 v5, v[2:3] offset:2064
.LBB613_149:
	s_or_b64 exec, exec, s[28:29]
	v_cmp_gt_u32_e64 s[26:27], 4, v0
	s_waitcnt lgkmcnt(0)
	s_barrier
	s_and_saveexec_b64 s[30:31], s[26:27]
	s_cbranch_execz .LBB613_151
; %bb.150:
	v_lshlrev_b32_e32 v4, 3, v0
	ds_read_b64 v[50:51], v4 offset:2064
	v_and_b32_e32 v28, 3, v7
	v_cmp_lt_u32_e64 s[28:29], 1, v28
	s_waitcnt lgkmcnt(0)
	v_mov_b32_dpp v52, v51 row_shr:1 row_mask:0xf bank_mask:0xf
	v_cmp_eq_u32_e64 s[26:27], 0, v50
	v_mov_b32_dpp v37, v50 row_shr:1 row_mask:0xf bank_mask:0xf
	v_cndmask_b32_e64 v52, 0, v52, s[26:27]
	v_cmp_eq_u32_e64 s[26:27], 0, v28
	v_cndmask_b32_e64 v37, v37, 0, s[26:27]
	v_add_u32_e32 v37, v37, v50
	v_cndmask_b32_e64 v50, v52, 0, s[26:27]
	v_add_u32_e32 v51, v50, v51
	v_cmp_eq_u32_e64 s[26:27], 0, v37
	v_mov_b32_dpp v50, v37 row_shr:2 row_mask:0xf bank_mask:0xf
	v_mov_b32_dpp v52, v51 row_shr:2 row_mask:0xf bank_mask:0xf
	v_cndmask_b32_e64 v28, 0, v50, s[28:29]
	s_and_b64 s[26:27], s[28:29], s[26:27]
	v_add_u32_e32 v50, v28, v37
	v_cndmask_b32_e64 v28, 0, v52, s[26:27]
	v_add_u32_e32 v51, v28, v51
	ds_write_b64 v4, v[50:51] offset:2064
.LBB613_151:
	s_or_b64 exec, exec, s[30:31]
	v_cmp_lt_u32_e64 s[26:27], 63, v0
	v_mov_b32_e32 v28, 0
	v_mov_b32_e32 v4, 0
	s_waitcnt vmcnt(0)
	v_mov_b32_e32 v37, v6
	s_waitcnt lgkmcnt(0)
	s_barrier
	s_and_saveexec_b64 s[28:29], s[26:27]
	s_cbranch_execz .LBB613_153
; %bb.152:
	ds_read_b64 v[4:5], v5 offset:2056
	s_waitcnt lgkmcnt(0)
	v_cmp_eq_u32_e64 s[26:27], 0, v4
	v_cndmask_b32_e64 v37, 0, v6, s[26:27]
	v_add_u32_e32 v37, v37, v5
.LBB613_153:
	s_or_b64 exec, exec, s[28:29]
	v_cmp_eq_u32_e64 s[26:27], 0, v2
	v_add_u32_e32 v5, v4, v2
	v_cndmask_b32_e64 v2, 0, v37, s[26:27]
	v_add_u32_e32 v2, v2, v3
	v_add_u32_e32 v3, -1, v7
	v_and_b32_e32 v50, 64, v7
	v_cmp_lt_i32_e64 s[26:27], v3, v50
	v_cndmask_b32_e64 v3, v3, v7, s[26:27]
	v_lshlrev_b32_e32 v3, 2, v3
	ds_bpermute_b32 v2, v3, v2
	ds_bpermute_b32 v5, v3, v5
	v_cmp_eq_u32_e64 s[26:27], 0, v7
	s_waitcnt lgkmcnt(1)
	v_cndmask_b32_e64 v2, v2, v37, s[26:27]
	s_waitcnt lgkmcnt(0)
	v_cndmask_b32_e64 v3, v5, v4, s[26:27]
	v_cndmask_b32_e64 v79, v2, v6, s[0:1]
	v_cmp_eq_u32_e64 s[26:27], 0, v34
	v_cndmask_b32_e64 v2, 0, v79, s[26:27]
	v_add_u32_e32 v77, v2, v46
	v_cndmask_b32_e64 v2, 0, v77, s[2:3]
	v_add_u32_e32 v75, v2, v48
	v_cndmask_b32_e64 v2, 0, v75, s[4:5]
	v_add_u32_e32 v73, v2, v47
	v_cndmask_b32_e64 v2, 0, v73, s[6:7]
	v_add_u32_e32 v71, v2, v49
	v_cndmask_b32_e64 v2, 0, v71, s[8:9]
	v_add_u32_e32 v69, v2, v42
	v_cndmask_b32_e64 v2, 0, v69, s[10:11]
	v_add_u32_e32 v67, v2, v44
	v_cndmask_b32_e64 v2, 0, v67, s[12:13]
	v_add_u32_e32 v65, v2, v43
	v_cndmask_b32_e64 v2, 0, v65, s[14:15]
	v_add_u32_e32 v63, v2, v45
	v_cndmask_b32_e64 v78, v3, 0, s[0:1]
	v_cndmask_b32_e64 v2, 0, v63, s[16:17]
	v_add_u32_e32 v76, v78, v34
	v_add_u32_e32 v61, v2, v38
	v_add_u32_e32 v74, v76, v35
	v_cndmask_b32_e64 v2, 0, v61, s[18:19]
	v_add_u32_e32 v72, v74, v32
	v_add_u32_e32 v59, v2, v40
	v_add_u32_e32 v70, v72, v33
	;; [unrolled: 4-line block ×3, first 2 shown]
	v_cndmask_b32_e64 v2, 0, v57, s[22:23]
	v_add_u32_e32 v64, v66, v26
	v_add_u32_e32 v55, v2, v41
	ds_read_b64 v[2:3], v28 offset:2088
	v_add_u32_e32 v62, v64, v27
	v_add_u32_e32 v60, v62, v24
	;; [unrolled: 1-line block ×3, first 2 shown]
	v_cndmask_b32_e64 v4, 0, v55, s[24:25]
	v_add_u32_e32 v56, v58, v22
	v_add_u32_e32 v53, v4, v36
	;; [unrolled: 1-line block ×3, first 2 shown]
	v_cndmask_b32_e32 v4, 0, v53, vcc
	s_waitcnt lgkmcnt(0)
	v_cmp_eq_u32_e32 vcc, 0, v2
	v_add_u32_e32 v52, v54, v81
	v_add_u32_e32 v51, v4, v82
	v_cndmask_b32_e32 v4, 0, v6, vcc
	v_add_u32_e32 v50, v52, v29
	v_add_u32_e32 v28, v4, v3
	s_and_saveexec_b64 s[2:3], s[0:1]
	s_cbranch_execz .LBB613_155
; %bb.154:
	s_add_u32 s4, s44, 0x400
	v_and_b32_e32 v3, 0xff000000, v28
	v_and_b32_e32 v4, 0xff0000, v28
	s_addc_u32 s5, s45, 0
	v_or_b32_e32 v3, v4, v3
	v_and_b32_e32 v4, 0xff00, v28
	v_and_b32_e32 v6, 0xff, v28
	v_mov_b32_e32 v5, 0
	v_or3_b32 v3, v3, v4, v6
	v_mov_b32_e32 v4, 2
	v_pk_mov_b32 v[6:7], s[4:5], s[4:5] op_sel:[0,1]
	;;#ASMSTART
	global_store_dwordx4 v[6:7], v[2:5] off	
s_waitcnt vmcnt(0)
	;;#ASMEND
.LBB613_155:
	s_or_b64 exec, exec, s[2:3]
	v_mov_b32_e32 v4, 0
.LBB613_156:
	s_and_b64 s[2:3], s[34:35], exec
	s_cselect_b32 s3, 0, s59
	s_cselect_b32 s2, 0, s58
	s_cmp_eq_u64 s[2:3], 0
	s_waitcnt vmcnt(0) lgkmcnt(0)
	v_pk_mov_b32 v[6:7], 0, 0
	s_barrier
	s_cbranch_scc1 .LBB613_158
; %bb.157:
	v_mov_b32_e32 v3, 0
	global_load_dwordx2 v[6:7], v3, s[2:3]
.LBB613_158:
	s_waitcnt vmcnt(0)
	v_lshlrev_b64 v[36:37], 2, v[6:7]
	v_mov_b32_e32 v3, s43
	v_add_co_u32_e32 v40, vcc, s42, v36
	v_mov_b32_e32 v5, 0
	v_addc_co_u32_e32 v41, vcc, v3, v37, vcc
	v_lshlrev_b64 v[38:39], 2, v[4:5]
	v_add_co_u32_e32 v3, vcc, v40, v38
	v_addc_co_u32_e32 v5, vcc, v41, v39, vcc
	v_cmp_eq_u32_e32 vcc, 0, v34
	v_cndmask_b32_e64 v40, 1, 2, vcc
	v_cmp_eq_u32_e32 vcc, 0, v35
	v_cndmask_b32_e64 v41, 1, 2, vcc
	v_cmp_eq_u32_e32 vcc, 0, v32
	v_and_b32_e32 v40, v41, v40
	v_cndmask_b32_e64 v41, 1, 2, vcc
	v_cmp_eq_u32_e32 vcc, 0, v33
	v_and_b32_e32 v40, v40, v41
	;; [unrolled: 3-line block ×13, first 2 shown]
	v_cndmask_b32_e64 v41, 1, 2, vcc
	s_movk_i32 s34, 0x100
	v_and_b32_e32 v40, v40, v41
	v_cmp_gt_u32_e32 vcc, s34, v2
	v_cmp_ne_u32_e64 s[30:31], 0, v34
	v_cmp_ne_u32_e64 s[28:29], 0, v35
	;; [unrolled: 1-line block ×15, first 2 shown]
	s_mov_b64 s[40:41], -1
	v_cmp_gt_i16_e64 s[34:35], 2, v40
	s_cbranch_vccz .LBB613_165
; %bb.159:
	s_and_saveexec_b64 s[40:41], s[34:35]
	s_cbranch_execz .LBB613_164
; %bb.160:
	v_cmp_ne_u16_e32 vcc, 1, v40
	s_mov_b64 s[42:43], 0
	s_and_saveexec_b64 s[34:35], vcc
	s_xor_b64 s[34:35], exec, s[34:35]
	s_cbranch_execnz .LBB613_254
; %bb.161:
	s_andn2_saveexec_b64 s[34:35], s[34:35]
	s_cbranch_execnz .LBB613_270
.LBB613_162:
	s_or_b64 exec, exec, s[34:35]
	s_and_b64 exec, exec, s[42:43]
	s_cbranch_execz .LBB613_164
.LBB613_163:
	v_sub_u32_e32 v42, v50, v4
	v_mov_b32_e32 v43, 0
	v_lshlrev_b64 v[42:43], 2, v[42:43]
	v_add_co_u32_e32 v42, vcc, v3, v42
	v_addc_co_u32_e32 v43, vcc, v5, v43, vcc
	global_store_dword v[42:43], v1, off
.LBB613_164:
	s_or_b64 exec, exec, s[40:41]
	s_mov_b64 s[40:41], 0
.LBB613_165:
	s_and_b64 vcc, exec, s[40:41]
	s_cbranch_vccz .LBB613_187
; %bb.166:
	v_cmp_gt_i16_e32 vcc, 2, v40
	s_and_saveexec_b64 s[34:35], vcc
	s_cbranch_execz .LBB613_171
; %bb.167:
	v_cmp_ne_u16_e32 vcc, 1, v40
	s_mov_b64 s[42:43], 0
	s_and_saveexec_b64 s[40:41], vcc
	s_xor_b64 s[40:41], exec, s[40:41]
	s_cbranch_execnz .LBB613_271
; %bb.168:
	s_andn2_saveexec_b64 s[2:3], s[40:41]
	s_cbranch_execnz .LBB613_287
.LBB613_169:
	s_or_b64 exec, exec, s[2:3]
	s_and_b64 exec, exec, s[42:43]
	s_cbranch_execz .LBB613_171
.LBB613_170:
	v_sub_u32_e32 v8, v50, v4
	v_lshlrev_b32_e32 v8, 2, v8
	ds_write_b32 v8, v1
.LBB613_171:
	s_or_b64 exec, exec, s[34:35]
	v_cmp_lt_u32_e32 vcc, v0, v2
	s_waitcnt lgkmcnt(0)
	s_barrier
	s_and_saveexec_b64 s[4:5], vcc
	s_cbranch_execz .LBB613_186
; %bb.172:
	v_xad_u32 v1, v0, -1, v2
	s_movk_i32 s2, 0x1700
	v_cmp_gt_u32_e64 s[6:7], s2, v1
	s_movk_i32 s2, 0x16ff
	v_cmp_lt_u32_e32 vcc, s2, v1
	v_mov_b32_e32 v8, v0
	s_and_saveexec_b64 s[8:9], vcc
	s_cbranch_execz .LBB613_183
; %bb.173:
	v_sub_u32_e32 v8, v0, v2
	v_or_b32_e32 v8, 0xff, v8
	v_cmp_ge_u32_e32 vcc, v8, v0
	s_mov_b64 s[2:3], -1
	v_mov_b32_e32 v8, v0
	s_and_saveexec_b64 s[10:11], vcc
	s_cbranch_execz .LBB613_182
; %bb.174:
	v_lshrrev_b32_e32 v12, 8, v1
	v_add_u32_e32 v8, -1, v12
	v_or_b32_e32 v1, 0x100, v0
	v_lshrrev_b32_e32 v9, 1, v8
	v_add_u32_e32 v13, 1, v9
	v_cmp_lt_u32_e32 vcc, 13, v8
	v_mov_b32_e32 v16, 0
	v_pk_mov_b32 v[8:9], v[0:1], v[0:1] op_sel:[0,1]
	s_and_saveexec_b64 s[12:13], vcc
	s_cbranch_execz .LBB613_178
; %bb.175:
	v_and_b32_e32 v14, -8, v13
	v_lshlrev_b32_e32 v15, 2, v0
	s_mov_b32 s16, 0
	s_mov_b64 s[14:15], 0
	v_mov_b32_e32 v11, 0
	v_pk_mov_b32 v[8:9], v[0:1], v[0:1] op_sel:[0,1]
.LBB613_176:                            ; =>This Inner Loop Header: Depth=1
	v_mov_b32_e32 v10, v8
	v_add_u32_e32 v14, -8, v14
	v_lshlrev_b64 v[96:97], 2, v[10:11]
	v_mov_b32_e32 v10, v9
	ds_read2st64_b32 v[18:19], v15 offset1:4
	s_add_i32 s16, s16, 16
	v_cmp_eq_u32_e32 vcc, 0, v14
	v_lshlrev_b64 v[100:101], 2, v[10:11]
	v_add_u32_e32 v10, 0x200, v8
	s_or_b64 s[14:15], vcc, s[14:15]
	v_add_co_u32_e32 v100, vcc, v3, v100
	v_add_u32_e32 v16, 0x200, v9
	v_mov_b32_e32 v17, v11
	ds_read2st64_b32 v[20:21], v15 offset0:8 offset1:12
	ds_read2st64_b32 v[42:43], v15 offset0:16 offset1:20
	v_add_co_u32_e64 v96, s[2:3], v3, v96
	v_addc_co_u32_e32 v101, vcc, v5, v101, vcc
	v_lshlrev_b64 v[102:103], 2, v[10:11]
	v_lshlrev_b64 v[98:99], 2, v[16:17]
	v_addc_co_u32_e64 v97, s[2:3], v5, v97, s[2:3]
	v_add_u32_e32 v10, 0x400, v8
	v_add_co_u32_e32 v102, vcc, v3, v102
	v_add_u32_e32 v40, 0x400, v9
	v_mov_b32_e32 v41, v11
	ds_read2st64_b32 v[46:47], v15 offset0:24 offset1:28
	v_add_co_u32_e64 v98, s[2:3], v3, v98
	v_addc_co_u32_e32 v103, vcc, v5, v103, vcc
	v_lshlrev_b64 v[104:105], 2, v[10:11]
	ds_read2st64_b32 v[82:83], v15 offset0:32 offset1:36
	ds_read2st64_b32 v[86:87], v15 offset0:40 offset1:44
	;; [unrolled: 1-line block ×4, first 2 shown]
	v_lshlrev_b64 v[40:41], 2, v[40:41]
	v_addc_co_u32_e64 v99, s[2:3], v5, v99, s[2:3]
	v_add_u32_e32 v10, 0x600, v8
	s_waitcnt lgkmcnt(7)
	global_store_dword v[96:97], v18, off
	global_store_dword v[100:101], v19, off
	s_waitcnt lgkmcnt(6)
	global_store_dword v[102:103], v20, off
	global_store_dword v[98:99], v21, off
	v_add_co_u32_e32 v18, vcc, v3, v104
	v_add_u32_e32 v44, 0x600, v9
	v_mov_b32_e32 v45, v11
	v_add_co_u32_e64 v40, s[2:3], v3, v40
	v_addc_co_u32_e32 v19, vcc, v5, v105, vcc
	v_lshlrev_b64 v[20:21], 2, v[10:11]
	v_lshlrev_b64 v[44:45], 2, v[44:45]
	v_addc_co_u32_e64 v41, s[2:3], v5, v41, s[2:3]
	v_add_u32_e32 v10, 0x800, v8
	s_waitcnt lgkmcnt(5)
	global_store_dword v[18:19], v42, off
	global_store_dword v[40:41], v43, off
	v_add_co_u32_e32 v18, vcc, v3, v20
	v_add_u32_e32 v48, 0x800, v9
	v_mov_b32_e32 v49, v11
	v_add_co_u32_e64 v44, s[2:3], v3, v44
	v_addc_co_u32_e32 v19, vcc, v5, v21, vcc
	v_lshlrev_b64 v[20:21], 2, v[10:11]
	v_lshlrev_b64 v[48:49], 2, v[48:49]
	v_addc_co_u32_e64 v45, s[2:3], v5, v45, s[2:3]
	v_add_u32_e32 v10, 0xa00, v8
	;; [unrolled: 12-line block ×4, first 2 shown]
	s_waitcnt lgkmcnt(2)
	global_store_dword v[18:19], v86, off
	global_store_dword v[84:85], v87, off
	v_add_co_u32_e32 v18, vcc, v3, v20
	v_add_u32_e32 v92, 0xe00, v9
	v_mov_b32_e32 v93, v11
	v_add_co_u32_e64 v88, s[2:3], v3, v88
	v_addc_co_u32_e32 v19, vcc, v5, v21, vcc
	v_lshlrev_b64 v[20:21], 2, v[10:11]
	v_lshlrev_b64 v[92:93], 2, v[92:93]
	v_addc_co_u32_e64 v89, s[2:3], v5, v89, s[2:3]
	s_waitcnt lgkmcnt(1)
	global_store_dword v[18:19], v90, off
	global_store_dword v[88:89], v91, off
	v_add_co_u32_e32 v18, vcc, v3, v20
	v_add_u32_e32 v15, 0x4000, v15
	v_add_u32_e32 v9, 0x1000, v9
	v_mov_b32_e32 v16, s16
	v_add_co_u32_e64 v92, s[2:3], v3, v92
	v_add_u32_e32 v8, 0x1000, v8
	v_addc_co_u32_e32 v19, vcc, v5, v21, vcc
	v_addc_co_u32_e64 v93, s[2:3], v5, v93, s[2:3]
	s_waitcnt lgkmcnt(0)
	global_store_dword v[18:19], v94, off
	global_store_dword v[92:93], v95, off
	s_andn2_b64 exec, exec, s[14:15]
	s_cbranch_execnz .LBB613_176
; %bb.177:
	s_or_b64 exec, exec, s[14:15]
.LBB613_178:
	s_or_b64 exec, exec, s[12:13]
	v_and_b32_e32 v1, 7, v13
	v_cmp_ne_u32_e32 vcc, 0, v1
	s_and_saveexec_b64 s[12:13], vcc
	s_cbranch_execz .LBB613_181
; %bb.179:
	v_lshlrev_b32_e32 v10, 2, v0
	v_lshl_or_b32 v13, v16, 10, v10
	s_mov_b64 s[14:15], 0
	v_mov_b32_e32 v11, 0
.LBB613_180:                            ; =>This Inner Loop Header: Depth=1
	ds_read2st64_b32 v[14:15], v13 offset1:4
	v_mov_b32_e32 v10, v8
	v_add_u32_e32 v1, -1, v1
	v_lshlrev_b64 v[16:17], 2, v[10:11]
	v_mov_b32_e32 v10, v9
	v_cmp_eq_u32_e32 vcc, 0, v1
	v_add_co_u32_e64 v16, s[2:3], v3, v16
	v_lshlrev_b64 v[18:19], 2, v[10:11]
	v_add_u32_e32 v8, 0x200, v8
	v_add_u32_e32 v13, 0x800, v13
	;; [unrolled: 1-line block ×3, first 2 shown]
	v_addc_co_u32_e64 v17, s[2:3], v5, v17, s[2:3]
	s_or_b64 s[14:15], vcc, s[14:15]
	v_add_co_u32_e32 v18, vcc, v3, v18
	v_addc_co_u32_e32 v19, vcc, v5, v19, vcc
	s_waitcnt lgkmcnt(0)
	global_store_dword v[16:17], v14, off
	global_store_dword v[18:19], v15, off
	s_andn2_b64 exec, exec, s[14:15]
	s_cbranch_execnz .LBB613_180
.LBB613_181:
	s_or_b64 exec, exec, s[12:13]
	v_add_u32_e32 v1, 1, v12
	v_and_b32_e32 v9, 0x1fffffe, v1
	v_cmp_ne_u32_e32 vcc, v1, v9
	v_lshl_or_b32 v8, v9, 8, v0
	s_orn2_b64 s[2:3], vcc, exec
.LBB613_182:
	s_or_b64 exec, exec, s[10:11]
	s_andn2_b64 s[6:7], s[6:7], exec
	s_and_b64 s[2:3], s[2:3], exec
	s_or_b64 s[6:7], s[6:7], s[2:3]
.LBB613_183:
	s_or_b64 exec, exec, s[8:9]
	s_and_b64 exec, exec, s[6:7]
	s_cbranch_execz .LBB613_186
; %bb.184:
	v_lshlrev_b32_e32 v1, 2, v8
	s_mov_b64 s[2:3], 0
	v_mov_b32_e32 v9, 0
.LBB613_185:                            ; =>This Inner Loop Header: Depth=1
	v_lshlrev_b64 v[10:11], 2, v[8:9]
	ds_read_b32 v12, v1
	v_add_co_u32_e32 v10, vcc, v3, v10
	v_add_u32_e32 v8, 0x100, v8
	v_addc_co_u32_e32 v11, vcc, v5, v11, vcc
	v_cmp_ge_u32_e32 vcc, v8, v2
	v_add_u32_e32 v1, 0x400, v1
	s_or_b64 s[2:3], vcc, s[2:3]
	s_waitcnt lgkmcnt(0)
	global_store_dword v[10:11], v12, off
	s_andn2_b64 exec, exec, s[2:3]
	s_cbranch_execnz .LBB613_185
.LBB613_186:
	s_or_b64 exec, exec, s[4:5]
.LBB613_187:
	s_cmpk_lg_i32 s33, 0xf00
	s_cselect_b64 s[2:3], -1, 0
	s_and_b64 s[0:1], s[0:1], s[38:39]
	v_cndmask_b32_e64 v5, v34, 0, s[0:1]
	s_mul_hi_u32 s0, s33, 0x88888889
	s_lshr_b32 s0, s0, 3
	v_mad_i32_i24 v9, v0, -15, s33
	v_cmp_eq_u32_e32 vcc, s0, v0
	v_cmp_ne_u32_e64 s[0:1], 0, v9
	v_cndmask_b32_e64 v10, 1, v5, s[0:1]
	v_cmp_ne_u32_e64 s[0:1], 1, v9
	v_cndmask_b32_e64 v11, 1, v35, s[0:1]
	;; [unrolled: 2-line block ×15, first 2 shown]
	s_and_b64 vcc, vcc, s[36:37]
	v_cndmask_b32_e32 v41, v80, v9, vcc
	v_cndmask_b32_e32 v29, v29, v40, vcc
	;; [unrolled: 1-line block ×15, first 2 shown]
	v_mov_b32_e32 v5, s53
	v_add_co_u32_e32 v9, vcc, s52, v36
	v_addc_co_u32_e32 v12, vcc, v5, v37, vcc
	v_cndmask_b32_e64 v1, 0, 1, s[38:39]
	v_add_co_u32_e32 v5, vcc, v9, v38
	v_addc_co_u32_e32 v12, vcc, v12, v39, vcc
	v_lshlrev_b32_e32 v9, 2, v1
	v_add_co_u32_e32 v9, vcc, v9, v5
	v_addc_co_u32_e32 v14, vcc, 0, v12, vcc
	v_add_co_u32_e32 v13, vcc, -4, v9
	v_addc_co_u32_e32 v14, vcc, -1, v14, vcc
	v_cmp_eq_u32_e32 vcc, 0, v10
	v_cmp_ne_u32_e64 s[28:29], 0, v10
	v_cndmask_b32_e64 v10, 1, 2, vcc
	v_cmp_eq_u32_e32 vcc, 0, v11
	v_cmp_ne_u32_e64 s[26:27], 0, v11
	v_cndmask_b32_e64 v11, 1, 2, vcc
	v_cmp_eq_u32_e32 vcc, 0, v24
	v_and_b32_e32 v10, v11, v10
	v_cndmask_b32_e64 v11, 1, 2, vcc
	v_cmp_eq_u32_e32 vcc, 0, v23
	v_and_b32_e32 v10, v10, v11
	;; [unrolled: 3-line block ×10, first 2 shown]
	v_cndmask_b32_e64 v11, 1, 2, vcc
	v_cmp_eq_u32_e32 vcc, 0, v34
	s_and_b64 s[2:3], s[2:3], s[36:37]
	v_and_b32_e32 v10, v10, v11
	v_cndmask_b32_e64 v11, 1, 2, vcc
	v_cmp_eq_u32_e32 vcc, 0, v29
	v_sub_u32_e32 v3, v2, v1
	v_cndmask_b32_e64 v8, 0, 1, s[2:3]
	v_and_b32_e32 v10, v10, v11
	v_cndmask_b32_e64 v11, 1, 2, vcc
	v_cmp_eq_u32_e32 vcc, 0, v41
	v_add_u32_e32 v3, v3, v8
	v_and_b32_e32 v10, v10, v11
	v_cndmask_b32_e64 v11, 1, 2, vcc
	s_movk_i32 s30, 0x100
	v_and_b32_e32 v10, v10, v11
	v_cmp_gt_u32_e32 vcc, s30, v3
	v_add_u32_e32 v9, v4, v1
	v_cmp_ne_u32_e64 s[24:25], 0, v24
	v_cmp_ne_u32_e64 s[22:23], 0, v23
	;; [unrolled: 1-line block ×13, first 2 shown]
	s_mov_b64 s[34:35], -1
	v_cmp_gt_i16_e64 s[30:31], 2, v10
	s_barrier
	s_cbranch_vccz .LBB613_194
; %bb.188:
	s_and_saveexec_b64 s[34:35], s[30:31]
	s_cbranch_execz .LBB613_193
; %bb.189:
	v_cmp_ne_u16_e32 vcc, 1, v10
	s_mov_b64 s[38:39], 0
	s_and_saveexec_b64 s[30:31], vcc
	s_xor_b64 s[30:31], exec, s[30:31]
	s_cbranch_execnz .LBB613_288
; %bb.190:
	s_andn2_saveexec_b64 s[30:31], s[30:31]
	s_cbranch_execnz .LBB613_304
.LBB613_191:
	s_or_b64 exec, exec, s[30:31]
	s_and_b64 exec, exec, s[38:39]
	s_cbranch_execz .LBB613_193
.LBB613_192:
	v_sub_u32_e32 v16, v50, v9
	v_mov_b32_e32 v17, 0
	v_lshlrev_b64 v[16:17], 2, v[16:17]
	v_add_co_u32_e32 v16, vcc, v13, v16
	v_addc_co_u32_e32 v17, vcc, v14, v17, vcc
	global_store_dword v[16:17], v51, off
.LBB613_193:
	s_or_b64 exec, exec, s[34:35]
	s_mov_b64 s[34:35], 0
.LBB613_194:
	s_and_b64 vcc, exec, s[34:35]
	s_cbranch_vccz .LBB613_216
; %bb.195:
	v_cmp_gt_i16_e32 vcc, 2, v10
	s_and_saveexec_b64 s[30:31], vcc
	s_cbranch_execz .LBB613_200
; %bb.196:
	v_cmp_ne_u16_e32 vcc, 1, v10
	s_mov_b64 s[38:39], 0
	s_and_saveexec_b64 s[34:35], vcc
	s_xor_b64 s[34:35], exec, s[34:35]
	s_cbranch_execnz .LBB613_305
; %bb.197:
	s_andn2_saveexec_b64 s[0:1], s[34:35]
	s_cbranch_execnz .LBB613_321
.LBB613_198:
	s_or_b64 exec, exec, s[0:1]
	s_and_b64 exec, exec, s[38:39]
	s_cbranch_execz .LBB613_200
.LBB613_199:
	v_sub_u32_e32 v9, v50, v9
	v_lshlrev_b32_e32 v9, 2, v9
	ds_write_b32 v9, v51
.LBB613_200:
	s_or_b64 exec, exec, s[30:31]
	v_cmp_lt_u32_e32 vcc, v0, v3
	s_waitcnt lgkmcnt(0)
	s_barrier
	s_and_saveexec_b64 s[2:3], vcc
	s_cbranch_execz .LBB613_215
; %bb.201:
	v_add_u32_e32 v10, v2, v8
	v_xad_u32 v8, v0, -1, v10
	v_sub_u32_e32 v9, v8, v1
	s_movk_i32 s0, 0x1900
	v_cmp_gt_u32_e64 s[4:5], s0, v9
	s_movk_i32 s0, 0x18ff
	v_cmp_lt_u32_e32 vcc, s0, v9
	v_mov_b32_e32 v8, v0
	s_and_saveexec_b64 s[6:7], vcc
	s_cbranch_execz .LBB613_212
; %bb.202:
	v_sub_u32_e32 v8, v0, v10
	v_add_u32_e32 v1, v8, v1
	v_or_b32_e32 v1, 0xff, v1
	v_cmp_ge_u32_e32 vcc, v1, v0
	s_mov_b64 s[0:1], -1
	v_mov_b32_e32 v8, v0
	s_and_saveexec_b64 s[8:9], vcc
	s_cbranch_execz .LBB613_211
; %bb.203:
	v_lshrrev_b32_e32 v15, 8, v9
	v_add_u32_e32 v8, -1, v15
	v_or_b32_e32 v1, 0x100, v0
	v_lshrrev_b32_e32 v9, 1, v8
	v_add_u32_e32 v17, 1, v9
	v_cmp_lt_u32_e32 vcc, 13, v8
	v_mov_b32_e32 v20, 0
	v_lshlrev_b32_e32 v16, 2, v0
	v_pk_mov_b32 v[8:9], v[0:1], v[0:1] op_sel:[0,1]
	s_and_saveexec_b64 s[10:11], vcc
	s_cbranch_execz .LBB613_207
; %bb.204:
	v_and_b32_e32 v18, -8, v17
	s_mov_b32 s14, 0
	s_mov_b64 s[12:13], 0
	v_mov_b32_e32 v11, 0
	v_mov_b32_e32 v19, v16
	v_pk_mov_b32 v[8:9], v[0:1], v[0:1] op_sel:[0,1]
.LBB613_205:                            ; =>This Inner Loop Header: Depth=1
	v_mov_b32_e32 v10, v8
	v_add_u32_e32 v18, -8, v18
	v_lshlrev_b64 v[52:53], 2, v[10:11]
	v_mov_b32_e32 v10, v9
	ds_read2st64_b32 v[22:23], v19 offset1:4
	s_add_i32 s14, s14, 16
	v_cmp_eq_u32_e32 vcc, 0, v18
	v_lshlrev_b64 v[56:57], 2, v[10:11]
	v_add_u32_e32 v10, 0x200, v8
	s_or_b64 s[12:13], vcc, s[12:13]
	v_add_co_u32_e32 v56, vcc, v13, v56
	v_add_u32_e32 v20, 0x200, v9
	v_mov_b32_e32 v21, v11
	ds_read2st64_b32 v[24:25], v19 offset0:8 offset1:12
	ds_read2st64_b32 v[30:31], v19 offset0:16 offset1:20
	v_add_co_u32_e64 v52, s[0:1], v13, v52
	v_addc_co_u32_e32 v57, vcc, v14, v57, vcc
	v_lshlrev_b64 v[58:59], 2, v[10:11]
	v_lshlrev_b64 v[54:55], 2, v[20:21]
	v_addc_co_u32_e64 v53, s[0:1], v14, v53, s[0:1]
	v_add_u32_e32 v10, 0x400, v8
	v_add_co_u32_e32 v58, vcc, v13, v58
	v_add_u32_e32 v26, 0x400, v9
	v_mov_b32_e32 v27, v11
	ds_read2st64_b32 v[34:35], v19 offset0:24 offset1:28
	v_add_co_u32_e64 v54, s[0:1], v13, v54
	v_addc_co_u32_e32 v59, vcc, v14, v59, vcc
	v_lshlrev_b64 v[60:61], 2, v[10:11]
	ds_read2st64_b32 v[38:39], v19 offset0:32 offset1:36
	ds_read2st64_b32 v[42:43], v19 offset0:40 offset1:44
	;; [unrolled: 1-line block ×4, first 2 shown]
	v_lshlrev_b64 v[26:27], 2, v[26:27]
	v_addc_co_u32_e64 v55, s[0:1], v14, v55, s[0:1]
	v_add_u32_e32 v10, 0x600, v8
	s_waitcnt lgkmcnt(7)
	global_store_dword v[52:53], v22, off
	global_store_dword v[56:57], v23, off
	s_waitcnt lgkmcnt(6)
	global_store_dword v[58:59], v24, off
	global_store_dword v[54:55], v25, off
	v_add_co_u32_e32 v22, vcc, v13, v60
	v_add_u32_e32 v32, 0x600, v9
	v_mov_b32_e32 v33, v11
	v_add_co_u32_e64 v26, s[0:1], v13, v26
	v_addc_co_u32_e32 v23, vcc, v14, v61, vcc
	v_lshlrev_b64 v[24:25], 2, v[10:11]
	v_lshlrev_b64 v[32:33], 2, v[32:33]
	v_addc_co_u32_e64 v27, s[0:1], v14, v27, s[0:1]
	v_add_u32_e32 v10, 0x800, v8
	s_waitcnt lgkmcnt(5)
	global_store_dword v[22:23], v30, off
	global_store_dword v[26:27], v31, off
	v_add_co_u32_e32 v22, vcc, v13, v24
	v_add_u32_e32 v36, 0x800, v9
	v_mov_b32_e32 v37, v11
	v_add_co_u32_e64 v32, s[0:1], v13, v32
	v_addc_co_u32_e32 v23, vcc, v14, v25, vcc
	v_lshlrev_b64 v[24:25], 2, v[10:11]
	v_lshlrev_b64 v[36:37], 2, v[36:37]
	v_addc_co_u32_e64 v33, s[0:1], v14, v33, s[0:1]
	v_add_u32_e32 v10, 0xa00, v8
	;; [unrolled: 12-line block ×4, first 2 shown]
	s_waitcnt lgkmcnt(2)
	global_store_dword v[22:23], v42, off
	global_store_dword v[40:41], v43, off
	v_add_co_u32_e32 v22, vcc, v13, v24
	v_add_u32_e32 v48, 0xe00, v9
	v_mov_b32_e32 v49, v11
	v_add_co_u32_e64 v44, s[0:1], v13, v44
	v_addc_co_u32_e32 v23, vcc, v14, v25, vcc
	v_lshlrev_b64 v[24:25], 2, v[10:11]
	v_lshlrev_b64 v[48:49], 2, v[48:49]
	v_addc_co_u32_e64 v45, s[0:1], v14, v45, s[0:1]
	s_waitcnt lgkmcnt(1)
	global_store_dword v[22:23], v46, off
	global_store_dword v[44:45], v47, off
	v_add_co_u32_e32 v22, vcc, v13, v24
	v_add_u32_e32 v19, 0x4000, v19
	v_add_u32_e32 v9, 0x1000, v9
	v_mov_b32_e32 v20, s14
	v_add_co_u32_e64 v48, s[0:1], v13, v48
	v_add_u32_e32 v8, 0x1000, v8
	v_addc_co_u32_e32 v23, vcc, v14, v25, vcc
	v_addc_co_u32_e64 v49, s[0:1], v14, v49, s[0:1]
	s_waitcnt lgkmcnt(0)
	global_store_dword v[22:23], v50, off
	global_store_dword v[48:49], v51, off
	s_andn2_b64 exec, exec, s[12:13]
	s_cbranch_execnz .LBB613_205
; %bb.206:
	s_or_b64 exec, exec, s[12:13]
.LBB613_207:
	s_or_b64 exec, exec, s[10:11]
	v_and_b32_e32 v1, 7, v17
	v_cmp_ne_u32_e32 vcc, 0, v1
	s_and_saveexec_b64 s[10:11], vcc
	s_cbranch_execz .LBB613_210
; %bb.208:
	v_lshl_or_b32 v16, v20, 10, v16
	s_mov_b64 s[12:13], 0
	v_mov_b32_e32 v11, 0
.LBB613_209:                            ; =>This Inner Loop Header: Depth=1
	ds_read2st64_b32 v[18:19], v16 offset1:4
	v_mov_b32_e32 v10, v8
	v_add_u32_e32 v1, -1, v1
	v_lshlrev_b64 v[20:21], 2, v[10:11]
	v_mov_b32_e32 v10, v9
	v_cmp_eq_u32_e32 vcc, 0, v1
	v_add_co_u32_e64 v20, s[0:1], v13, v20
	v_lshlrev_b64 v[22:23], 2, v[10:11]
	v_add_u32_e32 v8, 0x200, v8
	v_add_u32_e32 v16, 0x800, v16
	;; [unrolled: 1-line block ×3, first 2 shown]
	v_addc_co_u32_e64 v21, s[0:1], v14, v21, s[0:1]
	s_or_b64 s[12:13], vcc, s[12:13]
	v_add_co_u32_e32 v22, vcc, v13, v22
	v_addc_co_u32_e32 v23, vcc, v14, v23, vcc
	s_waitcnt lgkmcnt(0)
	global_store_dword v[20:21], v18, off
	global_store_dword v[22:23], v19, off
	s_andn2_b64 exec, exec, s[12:13]
	s_cbranch_execnz .LBB613_209
.LBB613_210:
	s_or_b64 exec, exec, s[10:11]
	v_add_u32_e32 v1, 1, v15
	v_and_b32_e32 v9, 0x1fffffe, v1
	v_cmp_ne_u32_e32 vcc, v1, v9
	v_lshl_or_b32 v8, v9, 8, v0
	s_orn2_b64 s[0:1], vcc, exec
.LBB613_211:
	s_or_b64 exec, exec, s[8:9]
	s_andn2_b64 s[4:5], s[4:5], exec
	s_and_b64 s[0:1], s[0:1], exec
	s_or_b64 s[4:5], s[4:5], s[0:1]
.LBB613_212:
	s_or_b64 exec, exec, s[6:7]
	s_and_b64 exec, exec, s[4:5]
	s_cbranch_execz .LBB613_215
; %bb.213:
	v_lshlrev_b32_e32 v1, 2, v8
	s_mov_b64 s[0:1], 0
	v_mov_b32_e32 v9, 0
.LBB613_214:                            ; =>This Inner Loop Header: Depth=1
	v_lshlrev_b64 v[10:11], 2, v[8:9]
	ds_read_b32 v15, v1
	v_add_co_u32_e32 v10, vcc, v13, v10
	v_add_u32_e32 v8, 0x100, v8
	v_addc_co_u32_e32 v11, vcc, v14, v11, vcc
	v_cmp_ge_u32_e32 vcc, v8, v3
	v_add_u32_e32 v1, 0x400, v1
	s_or_b64 s[0:1], vcc, s[0:1]
	s_waitcnt lgkmcnt(0)
	global_store_dword v[10:11], v15, off
	s_andn2_b64 exec, exec, s[0:1]
	s_cbranch_execnz .LBB613_214
.LBB613_215:
	s_or_b64 exec, exec, s[2:3]
.LBB613_216:
	s_movk_i32 s0, 0xff
	v_cmp_eq_u32_e32 vcc, s0, v0
	s_and_b64 s[0:1], vcc, s[36:37]
	s_and_saveexec_b64 s[2:3], s[0:1]
	s_cbranch_execz .LBB613_219
; %bb.217:
	v_add_co_u32_e32 v0, vcc, v2, v4
	v_addc_co_u32_e64 v1, s[0:1], 0, 0, vcc
	v_add_co_u32_e32 v0, vcc, v0, v6
	v_mov_b32_e32 v3, 0
	v_addc_co_u32_e32 v1, vcc, v1, v7, vcc
	s_cmpk_lg_i32 s33, 0xf00
	global_store_dwordx2 v3, v[0:1], s[54:55]
	s_cbranch_scc1 .LBB613_219
; %bb.218:
	v_lshlrev_b64 v[0:1], 2, v[2:3]
	v_add_co_u32_e32 v0, vcc, v5, v0
	v_addc_co_u32_e32 v1, vcc, v12, v1, vcc
	global_store_dword v[0:1], v28, off offset:-4
.LBB613_219:
	s_endpgm
.LBB613_220:
                                        ; implicit-def: $sgpr8_sgpr9
                                        ; implicit-def: $vgpr80
                                        ; implicit-def: $vgpr5
                                        ; implicit-def: $vgpr81
                                        ; implicit-def: $vgpr23
                                        ; implicit-def: $vgpr22
                                        ; implicit-def: $vgpr25
                                        ; implicit-def: $vgpr24
                                        ; implicit-def: $vgpr27
                                        ; implicit-def: $vgpr26
                                        ; implicit-def: $vgpr31
                                        ; implicit-def: $vgpr30
                                        ; implicit-def: $vgpr33
                                        ; implicit-def: $vgpr32
                                        ; implicit-def: $vgpr35
	s_cbranch_execz .LBB613_114
.LBB613_221:
	v_mov_b32_e32 v29, 0
	v_lshlrev_b32_e32 v4, 2, v0
	v_cmp_gt_u64_e32 vcc, s[6:7], v[28:29]
	v_mov_b32_e32 v80, 0
	ds_write_b32 v4, v1
	s_and_saveexec_b64 s[8:9], vcc
	s_cbranch_execz .LBB613_223
; %bb.222:
	s_mov_b32 s10, 0x66666667
	v_mul_hi_i32 v3, v9, s10
	v_lshrrev_b32_e32 v5, 31, v3
	v_ashrrev_i32_e32 v3, 2, v3
	v_add_u32_e32 v3, v3, v5
	v_mul_hi_i32 v5, v1, s10
	s_waitcnt vmcnt(0) lgkmcnt(0)
	v_lshrrev_b32_e32 v6, 31, v5
	v_ashrrev_i32_e32 v5, 2, v5
	v_add_u32_e32 v5, v5, v6
	v_cmp_ne_u32_e32 vcc, v3, v5
	v_cndmask_b32_e64 v80, 0, 1, vcc
.LBB613_223:
	s_or_b64 exec, exec, s[8:9]
	v_add_u32_e32 v28, 13, v2
	v_cmp_gt_u64_e32 vcc, s[6:7], v[28:29]
	s_and_saveexec_b64 s[8:9], vcc
	s_cbranch_execz .LBB613_225
; %bb.224:
	s_mov_b32 s10, 0x66666667
	v_mul_hi_i32 v3, v8, s10
	v_lshrrev_b32_e32 v5, 31, v3
	v_ashrrev_i32_e32 v3, 2, v3
	v_add_u32_e32 v3, v3, v5
	v_mul_hi_i32 v5, v9, s10
	s_waitcnt vmcnt(0) lgkmcnt(0)
	v_lshrrev_b32_e32 v6, 31, v5
	v_ashrrev_i32_e32 v5, 2, v5
	v_add_u32_e32 v5, v5, v6
	v_cmp_ne_u32_e32 vcc, v3, v5
	v_cndmask_b32_e64 v29, 0, 1, vcc
.LBB613_225:
	s_or_b64 exec, exec, s[8:9]
	v_add_u32_e32 v22, 12, v2
	v_mov_b32_e32 v23, 0
	v_cmp_gt_u64_e32 vcc, s[6:7], v[22:23]
	v_mov_b32_e32 v81, 0
	s_and_saveexec_b64 s[8:9], vcc
	s_cbranch_execz .LBB613_227
; %bb.226:
	s_mov_b32 s10, 0x66666667
	v_mul_hi_i32 v3, v11, s10
	v_lshrrev_b32_e32 v5, 31, v3
	v_ashrrev_i32_e32 v3, 2, v3
	v_add_u32_e32 v3, v3, v5
	v_mul_hi_i32 v5, v8, s10
	s_waitcnt vmcnt(0) lgkmcnt(0)
	v_lshrrev_b32_e32 v6, 31, v5
	v_ashrrev_i32_e32 v5, 2, v5
	v_add_u32_e32 v5, v5, v6
	v_cmp_ne_u32_e32 vcc, v3, v5
	v_cndmask_b32_e64 v81, 0, 1, vcc
.LBB613_227:
	s_or_b64 exec, exec, s[8:9]
	v_add_u32_e32 v22, 11, v2
	v_cmp_gt_u64_e32 vcc, s[6:7], v[22:23]
	s_and_saveexec_b64 s[8:9], vcc
	s_cbranch_execz .LBB613_229
; %bb.228:
	s_mov_b32 s10, 0x66666667
	v_mul_hi_i32 v3, v10, s10
	v_lshrrev_b32_e32 v5, 31, v3
	v_ashrrev_i32_e32 v3, 2, v3
	v_add_u32_e32 v3, v3, v5
	v_mul_hi_i32 v5, v11, s10
	s_waitcnt vmcnt(0) lgkmcnt(0)
	v_lshrrev_b32_e32 v6, 31, v5
	v_ashrrev_i32_e32 v5, 2, v5
	v_add_u32_e32 v5, v5, v6
	v_cmp_ne_u32_e32 vcc, v3, v5
	v_cndmask_b32_e64 v23, 0, 1, vcc
.LBB613_229:
	s_or_b64 exec, exec, s[8:9]
	v_add_u32_e32 v24, 10, v2
	v_mov_b32_e32 v25, 0
	v_cmp_gt_u64_e32 vcc, s[6:7], v[24:25]
	v_mov_b32_e32 v22, 0
	;; [unrolled: 40-line block ×6, first 2 shown]
	s_and_saveexec_b64 s[8:9], vcc
	s_cbranch_execz .LBB613_247
; %bb.246:
	s_mov_b32 s10, 0x66666667
	v_mul_hi_i32 v3, v21, s10
	v_lshrrev_b32_e32 v5, 31, v3
	v_ashrrev_i32_e32 v3, 2, v3
	v_add_u32_e32 v3, v3, v5
	v_mul_hi_i32 v5, v18, s10
	s_waitcnt vmcnt(0) lgkmcnt(0)
	v_lshrrev_b32_e32 v6, 31, v5
	v_ashrrev_i32_e32 v5, 2, v5
	v_add_u32_e32 v5, v5, v6
	v_cmp_ne_u32_e32 vcc, v3, v5
	v_cndmask_b32_e64 v32, 0, 1, vcc
.LBB613_247:
	s_or_b64 exec, exec, s[8:9]
	v_add_u32_e32 v34, 1, v2
	v_cmp_gt_u64_e32 vcc, s[6:7], v[34:35]
	s_and_saveexec_b64 s[8:9], vcc
	s_cbranch_execz .LBB613_249
; %bb.248:
	s_mov_b32 s10, 0x66666667
	v_mul_hi_i32 v3, v20, s10
	v_lshrrev_b32_e32 v5, 31, v3
	v_ashrrev_i32_e32 v3, 2, v3
	v_add_u32_e32 v3, v3, v5
	v_mul_hi_i32 v5, v21, s10
	s_waitcnt vmcnt(0) lgkmcnt(0)
	v_lshrrev_b32_e32 v6, 31, v5
	v_ashrrev_i32_e32 v5, 2, v5
	v_add_u32_e32 v5, v5, v6
	v_cmp_ne_u32_e32 vcc, v3, v5
	v_cndmask_b32_e64 v35, 0, 1, vcc
.LBB613_249:
	s_or_b64 exec, exec, s[8:9]
	s_waitcnt lgkmcnt(0)
	s_barrier
	s_waitcnt lgkmcnt(0)
                                        ; implicit-def: $sgpr8_sgpr9
	s_and_saveexec_b64 s[10:11], s[2:3]
	s_cbranch_execz .LBB613_253
; %bb.250:
	v_mov_b32_e32 v3, 0
	v_cmp_gt_u64_e32 vcc, s[6:7], v[2:3]
	s_mov_b64 s[6:7], 0
	s_and_saveexec_b64 s[2:3], vcc
	s_cbranch_execz .LBB613_252
; %bb.251:
	v_add_u32_e32 v2, -4, v4
	ds_read_b32 v2, v2
	s_mov_b32 s6, 0x66666667
	v_mul_hi_i32 v3, v20, s6
	v_lshrrev_b32_e32 v4, 31, v3
	v_ashrrev_i32_e32 v3, 2, v3
	s_waitcnt lgkmcnt(0)
	v_mul_hi_i32 v2, v2, s6
	v_lshrrev_b32_e32 v5, 31, v2
	v_ashrrev_i32_e32 v2, 2, v2
	v_add_u32_e32 v2, v2, v5
	v_add_u32_e32 v3, v3, v4
	v_cmp_ne_u32_e32 vcc, v2, v3
	s_and_b64 s[6:7], vcc, exec
.LBB613_252:
	s_or_b64 exec, exec, s[2:3]
	s_and_b64 s[8:9], s[6:7], exec
	s_or_b64 s[4:5], s[4:5], exec
.LBB613_253:
	s_or_b64 exec, exec, s[10:11]
	s_mov_b32 s12, 1
	v_mov_b32_e32 v5, v29
	v_mov_b32_e32 v34, s12
	s_and_saveexec_b64 s[2:3], s[4:5]
	s_cbranch_execnz .LBB613_116
	s_branch .LBB613_117
.LBB613_254:
	s_and_saveexec_b64 s[42:43], s[30:31]
	s_cbranch_execnz .LBB613_322
; %bb.255:
	s_or_b64 exec, exec, s[42:43]
	s_and_saveexec_b64 s[42:43], s[28:29]
	s_cbranch_execnz .LBB613_323
.LBB613_256:
	s_or_b64 exec, exec, s[42:43]
	s_and_saveexec_b64 s[42:43], s[26:27]
	s_cbranch_execnz .LBB613_324
.LBB613_257:
	s_or_b64 exec, exec, s[42:43]
	s_and_saveexec_b64 s[42:43], s[24:25]
	s_cbranch_execnz .LBB613_325
.LBB613_258:
	s_or_b64 exec, exec, s[42:43]
	s_and_saveexec_b64 s[42:43], s[22:23]
	s_cbranch_execnz .LBB613_326
.LBB613_259:
	s_or_b64 exec, exec, s[42:43]
	s_and_saveexec_b64 s[42:43], s[20:21]
	s_cbranch_execnz .LBB613_327
.LBB613_260:
	s_or_b64 exec, exec, s[42:43]
	s_and_saveexec_b64 s[42:43], s[18:19]
	s_cbranch_execnz .LBB613_328
.LBB613_261:
	s_or_b64 exec, exec, s[42:43]
	s_and_saveexec_b64 s[42:43], s[16:17]
	s_cbranch_execnz .LBB613_329
.LBB613_262:
	s_or_b64 exec, exec, s[42:43]
	s_and_saveexec_b64 s[42:43], s[14:15]
	s_cbranch_execnz .LBB613_330
.LBB613_263:
	s_or_b64 exec, exec, s[42:43]
	s_and_saveexec_b64 s[42:43], s[12:13]
	s_cbranch_execnz .LBB613_331
.LBB613_264:
	s_or_b64 exec, exec, s[42:43]
	s_and_saveexec_b64 s[42:43], s[10:11]
	s_cbranch_execnz .LBB613_332
.LBB613_265:
	s_or_b64 exec, exec, s[42:43]
	s_and_saveexec_b64 s[42:43], s[8:9]
	s_cbranch_execnz .LBB613_333
.LBB613_266:
	s_or_b64 exec, exec, s[42:43]
	s_and_saveexec_b64 s[42:43], s[6:7]
	s_cbranch_execnz .LBB613_334
.LBB613_267:
	s_or_b64 exec, exec, s[42:43]
	s_and_saveexec_b64 s[42:43], s[4:5]
	s_cbranch_execz .LBB613_269
.LBB613_268:
	v_sub_u32_e32 v42, v52, v4
	v_mov_b32_e32 v43, 0
	v_lshlrev_b64 v[42:43], 2, v[42:43]
	v_add_co_u32_e32 v42, vcc, v3, v42
	v_addc_co_u32_e32 v43, vcc, v5, v43, vcc
	global_store_dword v[42:43], v9, off
.LBB613_269:
	s_or_b64 exec, exec, s[42:43]
	s_and_b64 s[42:43], s[2:3], exec
	s_andn2_saveexec_b64 s[34:35], s[34:35]
	s_cbranch_execz .LBB613_162
.LBB613_270:
	v_sub_u32_e32 v42, v78, v4
	v_mov_b32_e32 v43, 0
	v_lshlrev_b64 v[44:45], 2, v[42:43]
	v_add_co_u32_e32 v44, vcc, v3, v44
	v_addc_co_u32_e32 v45, vcc, v5, v45, vcc
	v_sub_u32_e32 v42, v76, v4
	global_store_dword v[44:45], v20, off
	v_lshlrev_b64 v[44:45], 2, v[42:43]
	v_add_co_u32_e32 v44, vcc, v3, v44
	v_addc_co_u32_e32 v45, vcc, v5, v45, vcc
	v_sub_u32_e32 v42, v74, v4
	global_store_dword v[44:45], v21, off
	;; [unrolled: 5-line block ×12, first 2 shown]
	v_lshlrev_b64 v[44:45], 2, v[42:43]
	v_add_co_u32_e32 v44, vcc, v3, v44
	v_sub_u32_e32 v42, v52, v4
	v_addc_co_u32_e32 v45, vcc, v5, v45, vcc
	v_lshlrev_b64 v[42:43], 2, v[42:43]
	v_add_co_u32_e32 v42, vcc, v3, v42
	v_addc_co_u32_e32 v43, vcc, v5, v43, vcc
	s_or_b64 s[42:43], s[42:43], exec
	global_store_dword v[44:45], v8, off
	global_store_dword v[42:43], v9, off
	s_or_b64 exec, exec, s[34:35]
	s_and_b64 exec, exec, s[42:43]
	s_cbranch_execnz .LBB613_163
	s_branch .LBB613_164
.LBB613_271:
	s_and_saveexec_b64 s[42:43], s[30:31]
	s_cbranch_execnz .LBB613_335
; %bb.272:
	s_or_b64 exec, exec, s[42:43]
	s_and_saveexec_b64 s[30:31], s[28:29]
	s_cbranch_execnz .LBB613_336
.LBB613_273:
	s_or_b64 exec, exec, s[30:31]
	s_and_saveexec_b64 s[28:29], s[26:27]
	s_cbranch_execnz .LBB613_337
.LBB613_274:
	s_or_b64 exec, exec, s[28:29]
	s_and_saveexec_b64 s[26:27], s[24:25]
	s_cbranch_execnz .LBB613_338
.LBB613_275:
	s_or_b64 exec, exec, s[26:27]
	s_and_saveexec_b64 s[24:25], s[22:23]
	s_cbranch_execnz .LBB613_339
.LBB613_276:
	s_or_b64 exec, exec, s[24:25]
	s_and_saveexec_b64 s[22:23], s[20:21]
	s_cbranch_execnz .LBB613_340
.LBB613_277:
	s_or_b64 exec, exec, s[22:23]
	s_and_saveexec_b64 s[20:21], s[18:19]
	s_cbranch_execnz .LBB613_341
.LBB613_278:
	s_or_b64 exec, exec, s[20:21]
	s_and_saveexec_b64 s[18:19], s[16:17]
	s_cbranch_execnz .LBB613_342
.LBB613_279:
	s_or_b64 exec, exec, s[18:19]
	s_and_saveexec_b64 s[16:17], s[14:15]
	s_cbranch_execnz .LBB613_343
.LBB613_280:
	s_or_b64 exec, exec, s[16:17]
	s_and_saveexec_b64 s[14:15], s[12:13]
	s_cbranch_execnz .LBB613_344
.LBB613_281:
	s_or_b64 exec, exec, s[14:15]
	s_and_saveexec_b64 s[12:13], s[10:11]
	s_cbranch_execnz .LBB613_345
.LBB613_282:
	s_or_b64 exec, exec, s[12:13]
	s_and_saveexec_b64 s[10:11], s[8:9]
	s_cbranch_execnz .LBB613_346
.LBB613_283:
	s_or_b64 exec, exec, s[10:11]
	s_and_saveexec_b64 s[8:9], s[6:7]
	s_cbranch_execnz .LBB613_347
.LBB613_284:
	s_or_b64 exec, exec, s[8:9]
	s_and_saveexec_b64 s[6:7], s[4:5]
	s_cbranch_execz .LBB613_286
.LBB613_285:
	v_sub_u32_e32 v8, v52, v4
	v_lshlrev_b32_e32 v8, 2, v8
	ds_write_b32 v8, v9
.LBB613_286:
	s_or_b64 exec, exec, s[6:7]
	s_and_b64 s[42:43], s[2:3], exec
                                        ; implicit-def: $vgpr20_vgpr21
                                        ; implicit-def: $vgpr18_vgpr19
                                        ; implicit-def: $vgpr16_vgpr17
                                        ; implicit-def: $vgpr14_vgpr15
                                        ; implicit-def: $vgpr12_vgpr13
                                        ; implicit-def: $vgpr10_vgpr11
                                        ; implicit-def: $vgpr8_vgpr9
	s_andn2_saveexec_b64 s[2:3], s[40:41]
	s_cbranch_execz .LBB613_169
.LBB613_287:
	v_sub_u32_e32 v40, v78, v4
	v_lshlrev_b32_e32 v40, 2, v40
	ds_write_b32 v40, v20
	v_sub_u32_e32 v20, v76, v4
	v_lshlrev_b32_e32 v20, 2, v20
	ds_write_b32 v20, v21
	;; [unrolled: 3-line block ×13, first 2 shown]
	v_sub_u32_e32 v8, v52, v4
	v_lshlrev_b32_e32 v8, 2, v8
	s_or_b64 s[42:43], s[42:43], exec
	ds_write_b32 v8, v9
	s_or_b64 exec, exec, s[2:3]
	s_and_b64 exec, exec, s[42:43]
	s_cbranch_execnz .LBB613_170
	s_branch .LBB613_171
.LBB613_288:
	s_and_saveexec_b64 s[38:39], s[28:29]
	s_cbranch_execnz .LBB613_348
; %bb.289:
	s_or_b64 exec, exec, s[38:39]
	s_and_saveexec_b64 s[38:39], s[26:27]
	s_cbranch_execnz .LBB613_349
.LBB613_290:
	s_or_b64 exec, exec, s[38:39]
	s_and_saveexec_b64 s[38:39], s[24:25]
	s_cbranch_execnz .LBB613_350
.LBB613_291:
	s_or_b64 exec, exec, s[38:39]
	s_and_saveexec_b64 s[38:39], s[22:23]
	s_cbranch_execnz .LBB613_351
.LBB613_292:
	s_or_b64 exec, exec, s[38:39]
	s_and_saveexec_b64 s[38:39], s[20:21]
	s_cbranch_execnz .LBB613_352
.LBB613_293:
	s_or_b64 exec, exec, s[38:39]
	s_and_saveexec_b64 s[38:39], s[18:19]
	s_cbranch_execnz .LBB613_353
.LBB613_294:
	s_or_b64 exec, exec, s[38:39]
	s_and_saveexec_b64 s[38:39], s[16:17]
	s_cbranch_execnz .LBB613_354
.LBB613_295:
	s_or_b64 exec, exec, s[38:39]
	s_and_saveexec_b64 s[38:39], s[14:15]
	s_cbranch_execnz .LBB613_355
.LBB613_296:
	s_or_b64 exec, exec, s[38:39]
	s_and_saveexec_b64 s[38:39], s[12:13]
	s_cbranch_execnz .LBB613_356
.LBB613_297:
	s_or_b64 exec, exec, s[38:39]
	s_and_saveexec_b64 s[38:39], s[10:11]
	s_cbranch_execnz .LBB613_357
.LBB613_298:
	s_or_b64 exec, exec, s[38:39]
	s_and_saveexec_b64 s[38:39], s[8:9]
	s_cbranch_execnz .LBB613_358
.LBB613_299:
	s_or_b64 exec, exec, s[38:39]
	s_and_saveexec_b64 s[38:39], s[6:7]
	s_cbranch_execnz .LBB613_359
.LBB613_300:
	s_or_b64 exec, exec, s[38:39]
	s_and_saveexec_b64 s[38:39], s[4:5]
	s_cbranch_execnz .LBB613_360
.LBB613_301:
	s_or_b64 exec, exec, s[38:39]
	s_and_saveexec_b64 s[38:39], s[2:3]
	s_cbranch_execz .LBB613_303
.LBB613_302:
	v_sub_u32_e32 v16, v52, v9
	v_mov_b32_e32 v17, 0
	v_lshlrev_b64 v[16:17], 2, v[16:17]
	v_add_co_u32_e32 v16, vcc, v13, v16
	v_addc_co_u32_e32 v17, vcc, v14, v17, vcc
	global_store_dword v[16:17], v53, off
.LBB613_303:
	s_or_b64 exec, exec, s[38:39]
	s_and_b64 s[38:39], s[0:1], exec
	s_andn2_saveexec_b64 s[30:31], s[30:31]
	s_cbranch_execz .LBB613_191
.LBB613_304:
	v_sub_u32_e32 v16, v78, v9
	v_mov_b32_e32 v17, 0
	v_lshlrev_b64 v[18:19], 2, v[16:17]
	v_add_co_u32_e32 v18, vcc, v13, v18
	v_addc_co_u32_e32 v19, vcc, v14, v19, vcc
	v_sub_u32_e32 v16, v76, v9
	global_store_dword v[18:19], v79, off
	v_lshlrev_b64 v[18:19], 2, v[16:17]
	v_add_co_u32_e32 v18, vcc, v13, v18
	v_addc_co_u32_e32 v19, vcc, v14, v19, vcc
	v_sub_u32_e32 v16, v74, v9
	global_store_dword v[18:19], v77, off
	v_lshlrev_b64 v[18:19], 2, v[16:17]
	v_add_co_u32_e32 v18, vcc, v13, v18
	v_addc_co_u32_e32 v19, vcc, v14, v19, vcc
	v_sub_u32_e32 v16, v72, v9
	global_store_dword v[18:19], v75, off
	v_lshlrev_b64 v[18:19], 2, v[16:17]
	v_add_co_u32_e32 v18, vcc, v13, v18
	v_addc_co_u32_e32 v19, vcc, v14, v19, vcc
	v_sub_u32_e32 v16, v70, v9
	global_store_dword v[18:19], v73, off
	v_lshlrev_b64 v[18:19], 2, v[16:17]
	v_add_co_u32_e32 v18, vcc, v13, v18
	v_addc_co_u32_e32 v19, vcc, v14, v19, vcc
	v_sub_u32_e32 v16, v68, v9
	global_store_dword v[18:19], v71, off
	v_lshlrev_b64 v[18:19], 2, v[16:17]
	v_add_co_u32_e32 v18, vcc, v13, v18
	v_addc_co_u32_e32 v19, vcc, v14, v19, vcc
	v_sub_u32_e32 v16, v66, v9
	global_store_dword v[18:19], v69, off
	v_lshlrev_b64 v[18:19], 2, v[16:17]
	v_add_co_u32_e32 v18, vcc, v13, v18
	v_addc_co_u32_e32 v19, vcc, v14, v19, vcc
	v_sub_u32_e32 v16, v64, v9
	global_store_dword v[18:19], v67, off
	v_lshlrev_b64 v[18:19], 2, v[16:17]
	v_add_co_u32_e32 v18, vcc, v13, v18
	v_addc_co_u32_e32 v19, vcc, v14, v19, vcc
	v_sub_u32_e32 v16, v62, v9
	global_store_dword v[18:19], v65, off
	v_lshlrev_b64 v[18:19], 2, v[16:17]
	v_add_co_u32_e32 v18, vcc, v13, v18
	v_addc_co_u32_e32 v19, vcc, v14, v19, vcc
	v_sub_u32_e32 v16, v60, v9
	global_store_dword v[18:19], v63, off
	v_lshlrev_b64 v[18:19], 2, v[16:17]
	v_add_co_u32_e32 v18, vcc, v13, v18
	v_addc_co_u32_e32 v19, vcc, v14, v19, vcc
	v_sub_u32_e32 v16, v58, v9
	global_store_dword v[18:19], v61, off
	v_lshlrev_b64 v[18:19], 2, v[16:17]
	v_add_co_u32_e32 v18, vcc, v13, v18
	v_addc_co_u32_e32 v19, vcc, v14, v19, vcc
	v_sub_u32_e32 v16, v56, v9
	global_store_dword v[18:19], v59, off
	v_lshlrev_b64 v[18:19], 2, v[16:17]
	v_add_co_u32_e32 v18, vcc, v13, v18
	v_addc_co_u32_e32 v19, vcc, v14, v19, vcc
	v_sub_u32_e32 v16, v54, v9
	global_store_dword v[18:19], v57, off
	v_lshlrev_b64 v[18:19], 2, v[16:17]
	v_add_co_u32_e32 v18, vcc, v13, v18
	v_sub_u32_e32 v16, v52, v9
	v_addc_co_u32_e32 v19, vcc, v14, v19, vcc
	v_lshlrev_b64 v[16:17], 2, v[16:17]
	v_add_co_u32_e32 v16, vcc, v13, v16
	v_addc_co_u32_e32 v17, vcc, v14, v17, vcc
	s_or_b64 s[38:39], s[38:39], exec
	global_store_dword v[18:19], v55, off
	global_store_dword v[16:17], v53, off
	s_or_b64 exec, exec, s[30:31]
	s_and_b64 exec, exec, s[38:39]
	s_cbranch_execnz .LBB613_192
	s_branch .LBB613_193
.LBB613_305:
	s_and_saveexec_b64 s[38:39], s[28:29]
	s_cbranch_execnz .LBB613_361
; %bb.306:
	s_or_b64 exec, exec, s[38:39]
	s_and_saveexec_b64 s[28:29], s[26:27]
	s_cbranch_execnz .LBB613_362
.LBB613_307:
	s_or_b64 exec, exec, s[28:29]
	s_and_saveexec_b64 s[26:27], s[24:25]
	s_cbranch_execnz .LBB613_363
.LBB613_308:
	s_or_b64 exec, exec, s[26:27]
	s_and_saveexec_b64 s[24:25], s[22:23]
	s_cbranch_execnz .LBB613_364
.LBB613_309:
	s_or_b64 exec, exec, s[24:25]
	s_and_saveexec_b64 s[22:23], s[20:21]
	s_cbranch_execnz .LBB613_365
.LBB613_310:
	s_or_b64 exec, exec, s[22:23]
	s_and_saveexec_b64 s[20:21], s[18:19]
	s_cbranch_execnz .LBB613_366
.LBB613_311:
	s_or_b64 exec, exec, s[20:21]
	s_and_saveexec_b64 s[18:19], s[16:17]
	s_cbranch_execnz .LBB613_367
.LBB613_312:
	s_or_b64 exec, exec, s[18:19]
	s_and_saveexec_b64 s[16:17], s[14:15]
	s_cbranch_execnz .LBB613_368
.LBB613_313:
	s_or_b64 exec, exec, s[16:17]
	s_and_saveexec_b64 s[14:15], s[12:13]
	s_cbranch_execnz .LBB613_369
.LBB613_314:
	s_or_b64 exec, exec, s[14:15]
	s_and_saveexec_b64 s[12:13], s[10:11]
	s_cbranch_execnz .LBB613_370
.LBB613_315:
	s_or_b64 exec, exec, s[12:13]
	s_and_saveexec_b64 s[10:11], s[8:9]
	s_cbranch_execnz .LBB613_371
.LBB613_316:
	s_or_b64 exec, exec, s[10:11]
	s_and_saveexec_b64 s[8:9], s[6:7]
	s_cbranch_execnz .LBB613_372
.LBB613_317:
	s_or_b64 exec, exec, s[8:9]
	s_and_saveexec_b64 s[6:7], s[4:5]
	s_cbranch_execnz .LBB613_373
.LBB613_318:
	s_or_b64 exec, exec, s[6:7]
	s_and_saveexec_b64 s[4:5], s[2:3]
	s_cbranch_execz .LBB613_320
.LBB613_319:
	v_sub_u32_e32 v10, v52, v9
	v_lshlrev_b32_e32 v10, 2, v10
	ds_write_b32 v10, v53
.LBB613_320:
	s_or_b64 exec, exec, s[4:5]
	s_and_b64 s[38:39], s[0:1], exec
                                        ; implicit-def: $vgpr78_vgpr79
                                        ; implicit-def: $vgpr76_vgpr77
                                        ; implicit-def: $vgpr74_vgpr75
                                        ; implicit-def: $vgpr72_vgpr73
                                        ; implicit-def: $vgpr70_vgpr71
                                        ; implicit-def: $vgpr68_vgpr69
                                        ; implicit-def: $vgpr66_vgpr67
                                        ; implicit-def: $vgpr64_vgpr65
                                        ; implicit-def: $vgpr62_vgpr63
                                        ; implicit-def: $vgpr60_vgpr61
                                        ; implicit-def: $vgpr58_vgpr59
                                        ; implicit-def: $vgpr56_vgpr57
                                        ; implicit-def: $vgpr54_vgpr55
                                        ; implicit-def: $vgpr52_vgpr53
	s_andn2_saveexec_b64 s[0:1], s[34:35]
	s_cbranch_execz .LBB613_198
.LBB613_321:
	v_sub_u32_e32 v10, v78, v9
	v_lshlrev_b32_e32 v10, 2, v10
	ds_write_b32 v10, v79
	v_sub_u32_e32 v10, v76, v9
	v_lshlrev_b32_e32 v10, 2, v10
	ds_write_b32 v10, v77
	;; [unrolled: 3-line block ×13, first 2 shown]
	v_sub_u32_e32 v10, v52, v9
	v_lshlrev_b32_e32 v10, 2, v10
	s_or_b64 s[38:39], s[38:39], exec
	ds_write_b32 v10, v53
	s_or_b64 exec, exec, s[0:1]
	s_and_b64 exec, exec, s[38:39]
	s_cbranch_execnz .LBB613_199
	s_branch .LBB613_200
.LBB613_322:
	v_sub_u32_e32 v42, v78, v4
	v_mov_b32_e32 v43, 0
	v_lshlrev_b64 v[42:43], 2, v[42:43]
	v_add_co_u32_e32 v42, vcc, v3, v42
	v_addc_co_u32_e32 v43, vcc, v5, v43, vcc
	global_store_dword v[42:43], v20, off
	s_or_b64 exec, exec, s[42:43]
	s_and_saveexec_b64 s[42:43], s[28:29]
	s_cbranch_execz .LBB613_256
.LBB613_323:
	v_sub_u32_e32 v42, v76, v4
	v_mov_b32_e32 v43, 0
	v_lshlrev_b64 v[42:43], 2, v[42:43]
	v_add_co_u32_e32 v42, vcc, v3, v42
	v_addc_co_u32_e32 v43, vcc, v5, v43, vcc
	global_store_dword v[42:43], v21, off
	s_or_b64 exec, exec, s[42:43]
	s_and_saveexec_b64 s[42:43], s[26:27]
	s_cbranch_execz .LBB613_257
.LBB613_324:
	v_sub_u32_e32 v42, v74, v4
	v_mov_b32_e32 v43, 0
	v_lshlrev_b64 v[42:43], 2, v[42:43]
	v_add_co_u32_e32 v42, vcc, v3, v42
	v_addc_co_u32_e32 v43, vcc, v5, v43, vcc
	global_store_dword v[42:43], v18, off
	s_or_b64 exec, exec, s[42:43]
	s_and_saveexec_b64 s[42:43], s[24:25]
	s_cbranch_execz .LBB613_258
.LBB613_325:
	v_sub_u32_e32 v42, v72, v4
	v_mov_b32_e32 v43, 0
	v_lshlrev_b64 v[42:43], 2, v[42:43]
	v_add_co_u32_e32 v42, vcc, v3, v42
	v_addc_co_u32_e32 v43, vcc, v5, v43, vcc
	global_store_dword v[42:43], v19, off
	s_or_b64 exec, exec, s[42:43]
	s_and_saveexec_b64 s[42:43], s[22:23]
	s_cbranch_execz .LBB613_259
.LBB613_326:
	v_sub_u32_e32 v42, v70, v4
	v_mov_b32_e32 v43, 0
	v_lshlrev_b64 v[42:43], 2, v[42:43]
	v_add_co_u32_e32 v42, vcc, v3, v42
	v_addc_co_u32_e32 v43, vcc, v5, v43, vcc
	global_store_dword v[42:43], v16, off
	s_or_b64 exec, exec, s[42:43]
	s_and_saveexec_b64 s[42:43], s[20:21]
	s_cbranch_execz .LBB613_260
.LBB613_327:
	v_sub_u32_e32 v42, v68, v4
	v_mov_b32_e32 v43, 0
	v_lshlrev_b64 v[42:43], 2, v[42:43]
	v_add_co_u32_e32 v42, vcc, v3, v42
	v_addc_co_u32_e32 v43, vcc, v5, v43, vcc
	global_store_dword v[42:43], v17, off
	s_or_b64 exec, exec, s[42:43]
	s_and_saveexec_b64 s[42:43], s[18:19]
	s_cbranch_execz .LBB613_261
.LBB613_328:
	v_sub_u32_e32 v42, v66, v4
	v_mov_b32_e32 v43, 0
	v_lshlrev_b64 v[42:43], 2, v[42:43]
	v_add_co_u32_e32 v42, vcc, v3, v42
	v_addc_co_u32_e32 v43, vcc, v5, v43, vcc
	global_store_dword v[42:43], v14, off
	s_or_b64 exec, exec, s[42:43]
	s_and_saveexec_b64 s[42:43], s[16:17]
	s_cbranch_execz .LBB613_262
.LBB613_329:
	v_sub_u32_e32 v42, v64, v4
	v_mov_b32_e32 v43, 0
	v_lshlrev_b64 v[42:43], 2, v[42:43]
	v_add_co_u32_e32 v42, vcc, v3, v42
	v_addc_co_u32_e32 v43, vcc, v5, v43, vcc
	global_store_dword v[42:43], v15, off
	s_or_b64 exec, exec, s[42:43]
	s_and_saveexec_b64 s[42:43], s[14:15]
	s_cbranch_execz .LBB613_263
.LBB613_330:
	v_sub_u32_e32 v42, v62, v4
	v_mov_b32_e32 v43, 0
	v_lshlrev_b64 v[42:43], 2, v[42:43]
	v_add_co_u32_e32 v42, vcc, v3, v42
	v_addc_co_u32_e32 v43, vcc, v5, v43, vcc
	global_store_dword v[42:43], v12, off
	s_or_b64 exec, exec, s[42:43]
	s_and_saveexec_b64 s[42:43], s[12:13]
	s_cbranch_execz .LBB613_264
.LBB613_331:
	v_sub_u32_e32 v42, v60, v4
	v_mov_b32_e32 v43, 0
	v_lshlrev_b64 v[42:43], 2, v[42:43]
	v_add_co_u32_e32 v42, vcc, v3, v42
	v_addc_co_u32_e32 v43, vcc, v5, v43, vcc
	global_store_dword v[42:43], v13, off
	s_or_b64 exec, exec, s[42:43]
	s_and_saveexec_b64 s[42:43], s[10:11]
	s_cbranch_execz .LBB613_265
.LBB613_332:
	v_sub_u32_e32 v42, v58, v4
	v_mov_b32_e32 v43, 0
	v_lshlrev_b64 v[42:43], 2, v[42:43]
	v_add_co_u32_e32 v42, vcc, v3, v42
	v_addc_co_u32_e32 v43, vcc, v5, v43, vcc
	global_store_dword v[42:43], v10, off
	s_or_b64 exec, exec, s[42:43]
	s_and_saveexec_b64 s[42:43], s[8:9]
	s_cbranch_execz .LBB613_266
.LBB613_333:
	v_sub_u32_e32 v42, v56, v4
	v_mov_b32_e32 v43, 0
	v_lshlrev_b64 v[42:43], 2, v[42:43]
	v_add_co_u32_e32 v42, vcc, v3, v42
	v_addc_co_u32_e32 v43, vcc, v5, v43, vcc
	global_store_dword v[42:43], v11, off
	s_or_b64 exec, exec, s[42:43]
	s_and_saveexec_b64 s[42:43], s[6:7]
	s_cbranch_execz .LBB613_267
.LBB613_334:
	v_sub_u32_e32 v42, v54, v4
	v_mov_b32_e32 v43, 0
	v_lshlrev_b64 v[42:43], 2, v[42:43]
	v_add_co_u32_e32 v42, vcc, v3, v42
	v_addc_co_u32_e32 v43, vcc, v5, v43, vcc
	global_store_dword v[42:43], v8, off
	s_or_b64 exec, exec, s[42:43]
	s_and_saveexec_b64 s[42:43], s[4:5]
	s_cbranch_execnz .LBB613_268
	s_branch .LBB613_269
.LBB613_335:
	v_sub_u32_e32 v40, v78, v4
	v_lshlrev_b32_e32 v40, 2, v40
	ds_write_b32 v40, v20
	s_or_b64 exec, exec, s[42:43]
	s_and_saveexec_b64 s[30:31], s[28:29]
	s_cbranch_execz .LBB613_273
.LBB613_336:
	v_sub_u32_e32 v20, v76, v4
	v_lshlrev_b32_e32 v20, 2, v20
	ds_write_b32 v20, v21
	s_or_b64 exec, exec, s[30:31]
	s_and_saveexec_b64 s[28:29], s[26:27]
	s_cbranch_execz .LBB613_274
.LBB613_337:
	v_sub_u32_e32 v20, v74, v4
	v_lshlrev_b32_e32 v20, 2, v20
	ds_write_b32 v20, v18
	s_or_b64 exec, exec, s[28:29]
	s_and_saveexec_b64 s[26:27], s[24:25]
	s_cbranch_execz .LBB613_275
.LBB613_338:
	v_sub_u32_e32 v18, v72, v4
	v_lshlrev_b32_e32 v18, 2, v18
	ds_write_b32 v18, v19
	s_or_b64 exec, exec, s[26:27]
	s_and_saveexec_b64 s[24:25], s[22:23]
	s_cbranch_execz .LBB613_276
.LBB613_339:
	v_sub_u32_e32 v18, v70, v4
	v_lshlrev_b32_e32 v18, 2, v18
	ds_write_b32 v18, v16
	s_or_b64 exec, exec, s[24:25]
	s_and_saveexec_b64 s[22:23], s[20:21]
	s_cbranch_execz .LBB613_277
.LBB613_340:
	v_sub_u32_e32 v16, v68, v4
	v_lshlrev_b32_e32 v16, 2, v16
	ds_write_b32 v16, v17
	s_or_b64 exec, exec, s[22:23]
	s_and_saveexec_b64 s[20:21], s[18:19]
	s_cbranch_execz .LBB613_278
.LBB613_341:
	v_sub_u32_e32 v16, v66, v4
	v_lshlrev_b32_e32 v16, 2, v16
	ds_write_b32 v16, v14
	s_or_b64 exec, exec, s[20:21]
	s_and_saveexec_b64 s[18:19], s[16:17]
	s_cbranch_execz .LBB613_279
.LBB613_342:
	v_sub_u32_e32 v14, v64, v4
	v_lshlrev_b32_e32 v14, 2, v14
	ds_write_b32 v14, v15
	s_or_b64 exec, exec, s[18:19]
	s_and_saveexec_b64 s[16:17], s[14:15]
	s_cbranch_execz .LBB613_280
.LBB613_343:
	v_sub_u32_e32 v14, v62, v4
	v_lshlrev_b32_e32 v14, 2, v14
	ds_write_b32 v14, v12
	s_or_b64 exec, exec, s[16:17]
	s_and_saveexec_b64 s[14:15], s[12:13]
	s_cbranch_execz .LBB613_281
.LBB613_344:
	v_sub_u32_e32 v12, v60, v4
	v_lshlrev_b32_e32 v12, 2, v12
	ds_write_b32 v12, v13
	s_or_b64 exec, exec, s[14:15]
	s_and_saveexec_b64 s[12:13], s[10:11]
	s_cbranch_execz .LBB613_282
.LBB613_345:
	v_sub_u32_e32 v12, v58, v4
	v_lshlrev_b32_e32 v12, 2, v12
	ds_write_b32 v12, v10
	s_or_b64 exec, exec, s[12:13]
	s_and_saveexec_b64 s[10:11], s[8:9]
	s_cbranch_execz .LBB613_283
.LBB613_346:
	v_sub_u32_e32 v10, v56, v4
	v_lshlrev_b32_e32 v10, 2, v10
	ds_write_b32 v10, v11
	s_or_b64 exec, exec, s[10:11]
	s_and_saveexec_b64 s[8:9], s[6:7]
	s_cbranch_execz .LBB613_284
.LBB613_347:
	v_sub_u32_e32 v10, v54, v4
	v_lshlrev_b32_e32 v10, 2, v10
	ds_write_b32 v10, v8
	s_or_b64 exec, exec, s[8:9]
	s_and_saveexec_b64 s[6:7], s[4:5]
	s_cbranch_execnz .LBB613_285
	s_branch .LBB613_286
.LBB613_348:
	v_sub_u32_e32 v16, v78, v9
	v_mov_b32_e32 v17, 0
	v_lshlrev_b64 v[16:17], 2, v[16:17]
	v_add_co_u32_e32 v16, vcc, v13, v16
	v_addc_co_u32_e32 v17, vcc, v14, v17, vcc
	global_store_dword v[16:17], v79, off
	s_or_b64 exec, exec, s[38:39]
	s_and_saveexec_b64 s[38:39], s[26:27]
	s_cbranch_execz .LBB613_290
.LBB613_349:
	v_sub_u32_e32 v16, v76, v9
	v_mov_b32_e32 v17, 0
	v_lshlrev_b64 v[16:17], 2, v[16:17]
	v_add_co_u32_e32 v16, vcc, v13, v16
	v_addc_co_u32_e32 v17, vcc, v14, v17, vcc
	global_store_dword v[16:17], v77, off
	s_or_b64 exec, exec, s[38:39]
	s_and_saveexec_b64 s[38:39], s[24:25]
	s_cbranch_execz .LBB613_291
.LBB613_350:
	v_sub_u32_e32 v16, v74, v9
	v_mov_b32_e32 v17, 0
	v_lshlrev_b64 v[16:17], 2, v[16:17]
	v_add_co_u32_e32 v16, vcc, v13, v16
	v_addc_co_u32_e32 v17, vcc, v14, v17, vcc
	global_store_dword v[16:17], v75, off
	s_or_b64 exec, exec, s[38:39]
	s_and_saveexec_b64 s[38:39], s[22:23]
	s_cbranch_execz .LBB613_292
.LBB613_351:
	v_sub_u32_e32 v16, v72, v9
	v_mov_b32_e32 v17, 0
	v_lshlrev_b64 v[16:17], 2, v[16:17]
	v_add_co_u32_e32 v16, vcc, v13, v16
	v_addc_co_u32_e32 v17, vcc, v14, v17, vcc
	global_store_dword v[16:17], v73, off
	s_or_b64 exec, exec, s[38:39]
	s_and_saveexec_b64 s[38:39], s[20:21]
	s_cbranch_execz .LBB613_293
.LBB613_352:
	v_sub_u32_e32 v16, v70, v9
	v_mov_b32_e32 v17, 0
	v_lshlrev_b64 v[16:17], 2, v[16:17]
	v_add_co_u32_e32 v16, vcc, v13, v16
	v_addc_co_u32_e32 v17, vcc, v14, v17, vcc
	global_store_dword v[16:17], v71, off
	s_or_b64 exec, exec, s[38:39]
	s_and_saveexec_b64 s[38:39], s[18:19]
	s_cbranch_execz .LBB613_294
.LBB613_353:
	v_sub_u32_e32 v16, v68, v9
	v_mov_b32_e32 v17, 0
	v_lshlrev_b64 v[16:17], 2, v[16:17]
	v_add_co_u32_e32 v16, vcc, v13, v16
	v_addc_co_u32_e32 v17, vcc, v14, v17, vcc
	global_store_dword v[16:17], v69, off
	s_or_b64 exec, exec, s[38:39]
	s_and_saveexec_b64 s[38:39], s[16:17]
	s_cbranch_execz .LBB613_295
.LBB613_354:
	v_sub_u32_e32 v16, v66, v9
	v_mov_b32_e32 v17, 0
	v_lshlrev_b64 v[16:17], 2, v[16:17]
	v_add_co_u32_e32 v16, vcc, v13, v16
	v_addc_co_u32_e32 v17, vcc, v14, v17, vcc
	global_store_dword v[16:17], v67, off
	s_or_b64 exec, exec, s[38:39]
	s_and_saveexec_b64 s[38:39], s[14:15]
	s_cbranch_execz .LBB613_296
.LBB613_355:
	v_sub_u32_e32 v16, v64, v9
	v_mov_b32_e32 v17, 0
	v_lshlrev_b64 v[16:17], 2, v[16:17]
	v_add_co_u32_e32 v16, vcc, v13, v16
	v_addc_co_u32_e32 v17, vcc, v14, v17, vcc
	global_store_dword v[16:17], v65, off
	s_or_b64 exec, exec, s[38:39]
	s_and_saveexec_b64 s[38:39], s[12:13]
	s_cbranch_execz .LBB613_297
.LBB613_356:
	v_sub_u32_e32 v16, v62, v9
	v_mov_b32_e32 v17, 0
	v_lshlrev_b64 v[16:17], 2, v[16:17]
	v_add_co_u32_e32 v16, vcc, v13, v16
	v_addc_co_u32_e32 v17, vcc, v14, v17, vcc
	global_store_dword v[16:17], v63, off
	s_or_b64 exec, exec, s[38:39]
	s_and_saveexec_b64 s[38:39], s[10:11]
	s_cbranch_execz .LBB613_298
.LBB613_357:
	v_sub_u32_e32 v16, v60, v9
	v_mov_b32_e32 v17, 0
	v_lshlrev_b64 v[16:17], 2, v[16:17]
	v_add_co_u32_e32 v16, vcc, v13, v16
	v_addc_co_u32_e32 v17, vcc, v14, v17, vcc
	global_store_dword v[16:17], v61, off
	s_or_b64 exec, exec, s[38:39]
	s_and_saveexec_b64 s[38:39], s[8:9]
	s_cbranch_execz .LBB613_299
.LBB613_358:
	v_sub_u32_e32 v16, v58, v9
	v_mov_b32_e32 v17, 0
	v_lshlrev_b64 v[16:17], 2, v[16:17]
	v_add_co_u32_e32 v16, vcc, v13, v16
	v_addc_co_u32_e32 v17, vcc, v14, v17, vcc
	global_store_dword v[16:17], v59, off
	s_or_b64 exec, exec, s[38:39]
	s_and_saveexec_b64 s[38:39], s[6:7]
	s_cbranch_execz .LBB613_300
.LBB613_359:
	v_sub_u32_e32 v16, v56, v9
	v_mov_b32_e32 v17, 0
	v_lshlrev_b64 v[16:17], 2, v[16:17]
	v_add_co_u32_e32 v16, vcc, v13, v16
	v_addc_co_u32_e32 v17, vcc, v14, v17, vcc
	global_store_dword v[16:17], v57, off
	s_or_b64 exec, exec, s[38:39]
	s_and_saveexec_b64 s[38:39], s[4:5]
	s_cbranch_execz .LBB613_301
.LBB613_360:
	v_sub_u32_e32 v16, v54, v9
	v_mov_b32_e32 v17, 0
	v_lshlrev_b64 v[16:17], 2, v[16:17]
	v_add_co_u32_e32 v16, vcc, v13, v16
	v_addc_co_u32_e32 v17, vcc, v14, v17, vcc
	global_store_dword v[16:17], v55, off
	s_or_b64 exec, exec, s[38:39]
	s_and_saveexec_b64 s[38:39], s[2:3]
	s_cbranch_execnz .LBB613_302
	s_branch .LBB613_303
.LBB613_361:
	v_sub_u32_e32 v10, v78, v9
	v_lshlrev_b32_e32 v10, 2, v10
	ds_write_b32 v10, v79
	s_or_b64 exec, exec, s[38:39]
	s_and_saveexec_b64 s[28:29], s[26:27]
	s_cbranch_execz .LBB613_307
.LBB613_362:
	v_sub_u32_e32 v10, v76, v9
	v_lshlrev_b32_e32 v10, 2, v10
	ds_write_b32 v10, v77
	s_or_b64 exec, exec, s[28:29]
	s_and_saveexec_b64 s[26:27], s[24:25]
	s_cbranch_execz .LBB613_308
.LBB613_363:
	v_sub_u32_e32 v10, v74, v9
	v_lshlrev_b32_e32 v10, 2, v10
	ds_write_b32 v10, v75
	s_or_b64 exec, exec, s[26:27]
	s_and_saveexec_b64 s[24:25], s[22:23]
	s_cbranch_execz .LBB613_309
.LBB613_364:
	v_sub_u32_e32 v10, v72, v9
	v_lshlrev_b32_e32 v10, 2, v10
	ds_write_b32 v10, v73
	s_or_b64 exec, exec, s[24:25]
	s_and_saveexec_b64 s[22:23], s[20:21]
	s_cbranch_execz .LBB613_310
.LBB613_365:
	v_sub_u32_e32 v10, v70, v9
	v_lshlrev_b32_e32 v10, 2, v10
	ds_write_b32 v10, v71
	s_or_b64 exec, exec, s[22:23]
	s_and_saveexec_b64 s[20:21], s[18:19]
	s_cbranch_execz .LBB613_311
.LBB613_366:
	v_sub_u32_e32 v10, v68, v9
	v_lshlrev_b32_e32 v10, 2, v10
	ds_write_b32 v10, v69
	s_or_b64 exec, exec, s[20:21]
	s_and_saveexec_b64 s[18:19], s[16:17]
	s_cbranch_execz .LBB613_312
.LBB613_367:
	v_sub_u32_e32 v10, v66, v9
	v_lshlrev_b32_e32 v10, 2, v10
	ds_write_b32 v10, v67
	s_or_b64 exec, exec, s[18:19]
	s_and_saveexec_b64 s[16:17], s[14:15]
	s_cbranch_execz .LBB613_313
.LBB613_368:
	v_sub_u32_e32 v10, v64, v9
	v_lshlrev_b32_e32 v10, 2, v10
	ds_write_b32 v10, v65
	s_or_b64 exec, exec, s[16:17]
	s_and_saveexec_b64 s[14:15], s[12:13]
	s_cbranch_execz .LBB613_314
.LBB613_369:
	v_sub_u32_e32 v10, v62, v9
	v_lshlrev_b32_e32 v10, 2, v10
	ds_write_b32 v10, v63
	s_or_b64 exec, exec, s[14:15]
	s_and_saveexec_b64 s[12:13], s[10:11]
	s_cbranch_execz .LBB613_315
.LBB613_370:
	v_sub_u32_e32 v10, v60, v9
	v_lshlrev_b32_e32 v10, 2, v10
	ds_write_b32 v10, v61
	s_or_b64 exec, exec, s[12:13]
	s_and_saveexec_b64 s[10:11], s[8:9]
	s_cbranch_execz .LBB613_316
.LBB613_371:
	v_sub_u32_e32 v10, v58, v9
	v_lshlrev_b32_e32 v10, 2, v10
	ds_write_b32 v10, v59
	s_or_b64 exec, exec, s[10:11]
	s_and_saveexec_b64 s[8:9], s[6:7]
	s_cbranch_execz .LBB613_317
.LBB613_372:
	v_sub_u32_e32 v10, v56, v9
	v_lshlrev_b32_e32 v10, 2, v10
	ds_write_b32 v10, v57
	s_or_b64 exec, exec, s[8:9]
	s_and_saveexec_b64 s[6:7], s[4:5]
	s_cbranch_execz .LBB613_318
.LBB613_373:
	v_sub_u32_e32 v10, v54, v9
	v_lshlrev_b32_e32 v10, 2, v10
	ds_write_b32 v10, v55
	s_or_b64 exec, exec, s[6:7]
	s_and_saveexec_b64 s[4:5], s[2:3]
	s_cbranch_execnz .LBB613_319
	s_branch .LBB613_320
	.section	.rodata,"a",@progbits
	.p2align	6, 0x0
	.amdhsa_kernel _ZN7rocprim17ROCPRIM_400000_NS6detail17trampoline_kernelINS0_14default_configENS1_29reduce_by_key_config_selectorIiiN6thrust23THRUST_200600_302600_NS4plusIiEEEEZZNS1_33reduce_by_key_impl_wrapped_configILNS1_25lookback_scan_determinismE0ES3_S9_NS6_6detail15normal_iteratorINS6_10device_ptrIiEEEESG_SG_SG_PmS8_22is_equal_div_10_reduceIiEEE10hipError_tPvRmT2_T3_mT4_T5_T6_T7_T8_P12ihipStream_tbENKUlT_T0_E_clISt17integral_constantIbLb0EES10_IbLb1EEEEDaSW_SX_EUlSW_E_NS1_11comp_targetILNS1_3genE4ELNS1_11target_archE910ELNS1_3gpuE8ELNS1_3repE0EEENS1_30default_config_static_selectorELNS0_4arch9wavefront6targetE1EEEvT1_
		.amdhsa_group_segment_fixed_size 15360
		.amdhsa_private_segment_fixed_size 0
		.amdhsa_kernarg_size 120
		.amdhsa_user_sgpr_count 6
		.amdhsa_user_sgpr_private_segment_buffer 1
		.amdhsa_user_sgpr_dispatch_ptr 0
		.amdhsa_user_sgpr_queue_ptr 0
		.amdhsa_user_sgpr_kernarg_segment_ptr 1
		.amdhsa_user_sgpr_dispatch_id 0
		.amdhsa_user_sgpr_flat_scratch_init 0
		.amdhsa_user_sgpr_kernarg_preload_length 0
		.amdhsa_user_sgpr_kernarg_preload_offset 0
		.amdhsa_user_sgpr_private_segment_size 0
		.amdhsa_uses_dynamic_stack 0
		.amdhsa_system_sgpr_private_segment_wavefront_offset 0
		.amdhsa_system_sgpr_workgroup_id_x 1
		.amdhsa_system_sgpr_workgroup_id_y 0
		.amdhsa_system_sgpr_workgroup_id_z 0
		.amdhsa_system_sgpr_workgroup_info 0
		.amdhsa_system_vgpr_workitem_id 0
		.amdhsa_next_free_vgpr 106
		.amdhsa_next_free_sgpr 66
		.amdhsa_accum_offset 108
		.amdhsa_reserve_vcc 1
		.amdhsa_reserve_flat_scratch 0
		.amdhsa_float_round_mode_32 0
		.amdhsa_float_round_mode_16_64 0
		.amdhsa_float_denorm_mode_32 3
		.amdhsa_float_denorm_mode_16_64 3
		.amdhsa_dx10_clamp 1
		.amdhsa_ieee_mode 1
		.amdhsa_fp16_overflow 0
		.amdhsa_tg_split 0
		.amdhsa_exception_fp_ieee_invalid_op 0
		.amdhsa_exception_fp_denorm_src 0
		.amdhsa_exception_fp_ieee_div_zero 0
		.amdhsa_exception_fp_ieee_overflow 0
		.amdhsa_exception_fp_ieee_underflow 0
		.amdhsa_exception_fp_ieee_inexact 0
		.amdhsa_exception_int_div_zero 0
	.end_amdhsa_kernel
	.section	.text._ZN7rocprim17ROCPRIM_400000_NS6detail17trampoline_kernelINS0_14default_configENS1_29reduce_by_key_config_selectorIiiN6thrust23THRUST_200600_302600_NS4plusIiEEEEZZNS1_33reduce_by_key_impl_wrapped_configILNS1_25lookback_scan_determinismE0ES3_S9_NS6_6detail15normal_iteratorINS6_10device_ptrIiEEEESG_SG_SG_PmS8_22is_equal_div_10_reduceIiEEE10hipError_tPvRmT2_T3_mT4_T5_T6_T7_T8_P12ihipStream_tbENKUlT_T0_E_clISt17integral_constantIbLb0EES10_IbLb1EEEEDaSW_SX_EUlSW_E_NS1_11comp_targetILNS1_3genE4ELNS1_11target_archE910ELNS1_3gpuE8ELNS1_3repE0EEENS1_30default_config_static_selectorELNS0_4arch9wavefront6targetE1EEEvT1_,"axG",@progbits,_ZN7rocprim17ROCPRIM_400000_NS6detail17trampoline_kernelINS0_14default_configENS1_29reduce_by_key_config_selectorIiiN6thrust23THRUST_200600_302600_NS4plusIiEEEEZZNS1_33reduce_by_key_impl_wrapped_configILNS1_25lookback_scan_determinismE0ES3_S9_NS6_6detail15normal_iteratorINS6_10device_ptrIiEEEESG_SG_SG_PmS8_22is_equal_div_10_reduceIiEEE10hipError_tPvRmT2_T3_mT4_T5_T6_T7_T8_P12ihipStream_tbENKUlT_T0_E_clISt17integral_constantIbLb0EES10_IbLb1EEEEDaSW_SX_EUlSW_E_NS1_11comp_targetILNS1_3genE4ELNS1_11target_archE910ELNS1_3gpuE8ELNS1_3repE0EEENS1_30default_config_static_selectorELNS0_4arch9wavefront6targetE1EEEvT1_,comdat
.Lfunc_end613:
	.size	_ZN7rocprim17ROCPRIM_400000_NS6detail17trampoline_kernelINS0_14default_configENS1_29reduce_by_key_config_selectorIiiN6thrust23THRUST_200600_302600_NS4plusIiEEEEZZNS1_33reduce_by_key_impl_wrapped_configILNS1_25lookback_scan_determinismE0ES3_S9_NS6_6detail15normal_iteratorINS6_10device_ptrIiEEEESG_SG_SG_PmS8_22is_equal_div_10_reduceIiEEE10hipError_tPvRmT2_T3_mT4_T5_T6_T7_T8_P12ihipStream_tbENKUlT_T0_E_clISt17integral_constantIbLb0EES10_IbLb1EEEEDaSW_SX_EUlSW_E_NS1_11comp_targetILNS1_3genE4ELNS1_11target_archE910ELNS1_3gpuE8ELNS1_3repE0EEENS1_30default_config_static_selectorELNS0_4arch9wavefront6targetE1EEEvT1_, .Lfunc_end613-_ZN7rocprim17ROCPRIM_400000_NS6detail17trampoline_kernelINS0_14default_configENS1_29reduce_by_key_config_selectorIiiN6thrust23THRUST_200600_302600_NS4plusIiEEEEZZNS1_33reduce_by_key_impl_wrapped_configILNS1_25lookback_scan_determinismE0ES3_S9_NS6_6detail15normal_iteratorINS6_10device_ptrIiEEEESG_SG_SG_PmS8_22is_equal_div_10_reduceIiEEE10hipError_tPvRmT2_T3_mT4_T5_T6_T7_T8_P12ihipStream_tbENKUlT_T0_E_clISt17integral_constantIbLb0EES10_IbLb1EEEEDaSW_SX_EUlSW_E_NS1_11comp_targetILNS1_3genE4ELNS1_11target_archE910ELNS1_3gpuE8ELNS1_3repE0EEENS1_30default_config_static_selectorELNS0_4arch9wavefront6targetE1EEEvT1_
                                        ; -- End function
	.section	.AMDGPU.csdata,"",@progbits
; Kernel info:
; codeLenInByte = 19328
; NumSgprs: 70
; NumVgprs: 106
; NumAgprs: 0
; TotalNumVgprs: 106
; ScratchSize: 0
; MemoryBound: 0
; FloatMode: 240
; IeeeMode: 1
; LDSByteSize: 15360 bytes/workgroup (compile time only)
; SGPRBlocks: 8
; VGPRBlocks: 13
; NumSGPRsForWavesPerEU: 70
; NumVGPRsForWavesPerEU: 106
; AccumOffset: 108
; Occupancy: 4
; WaveLimiterHint : 1
; COMPUTE_PGM_RSRC2:SCRATCH_EN: 0
; COMPUTE_PGM_RSRC2:USER_SGPR: 6
; COMPUTE_PGM_RSRC2:TRAP_HANDLER: 0
; COMPUTE_PGM_RSRC2:TGID_X_EN: 1
; COMPUTE_PGM_RSRC2:TGID_Y_EN: 0
; COMPUTE_PGM_RSRC2:TGID_Z_EN: 0
; COMPUTE_PGM_RSRC2:TIDIG_COMP_CNT: 0
; COMPUTE_PGM_RSRC3_GFX90A:ACCUM_OFFSET: 26
; COMPUTE_PGM_RSRC3_GFX90A:TG_SPLIT: 0
	.section	.text._ZN7rocprim17ROCPRIM_400000_NS6detail17trampoline_kernelINS0_14default_configENS1_29reduce_by_key_config_selectorIiiN6thrust23THRUST_200600_302600_NS4plusIiEEEEZZNS1_33reduce_by_key_impl_wrapped_configILNS1_25lookback_scan_determinismE0ES3_S9_NS6_6detail15normal_iteratorINS6_10device_ptrIiEEEESG_SG_SG_PmS8_22is_equal_div_10_reduceIiEEE10hipError_tPvRmT2_T3_mT4_T5_T6_T7_T8_P12ihipStream_tbENKUlT_T0_E_clISt17integral_constantIbLb0EES10_IbLb1EEEEDaSW_SX_EUlSW_E_NS1_11comp_targetILNS1_3genE3ELNS1_11target_archE908ELNS1_3gpuE7ELNS1_3repE0EEENS1_30default_config_static_selectorELNS0_4arch9wavefront6targetE1EEEvT1_,"axG",@progbits,_ZN7rocprim17ROCPRIM_400000_NS6detail17trampoline_kernelINS0_14default_configENS1_29reduce_by_key_config_selectorIiiN6thrust23THRUST_200600_302600_NS4plusIiEEEEZZNS1_33reduce_by_key_impl_wrapped_configILNS1_25lookback_scan_determinismE0ES3_S9_NS6_6detail15normal_iteratorINS6_10device_ptrIiEEEESG_SG_SG_PmS8_22is_equal_div_10_reduceIiEEE10hipError_tPvRmT2_T3_mT4_T5_T6_T7_T8_P12ihipStream_tbENKUlT_T0_E_clISt17integral_constantIbLb0EES10_IbLb1EEEEDaSW_SX_EUlSW_E_NS1_11comp_targetILNS1_3genE3ELNS1_11target_archE908ELNS1_3gpuE7ELNS1_3repE0EEENS1_30default_config_static_selectorELNS0_4arch9wavefront6targetE1EEEvT1_,comdat
	.protected	_ZN7rocprim17ROCPRIM_400000_NS6detail17trampoline_kernelINS0_14default_configENS1_29reduce_by_key_config_selectorIiiN6thrust23THRUST_200600_302600_NS4plusIiEEEEZZNS1_33reduce_by_key_impl_wrapped_configILNS1_25lookback_scan_determinismE0ES3_S9_NS6_6detail15normal_iteratorINS6_10device_ptrIiEEEESG_SG_SG_PmS8_22is_equal_div_10_reduceIiEEE10hipError_tPvRmT2_T3_mT4_T5_T6_T7_T8_P12ihipStream_tbENKUlT_T0_E_clISt17integral_constantIbLb0EES10_IbLb1EEEEDaSW_SX_EUlSW_E_NS1_11comp_targetILNS1_3genE3ELNS1_11target_archE908ELNS1_3gpuE7ELNS1_3repE0EEENS1_30default_config_static_selectorELNS0_4arch9wavefront6targetE1EEEvT1_ ; -- Begin function _ZN7rocprim17ROCPRIM_400000_NS6detail17trampoline_kernelINS0_14default_configENS1_29reduce_by_key_config_selectorIiiN6thrust23THRUST_200600_302600_NS4plusIiEEEEZZNS1_33reduce_by_key_impl_wrapped_configILNS1_25lookback_scan_determinismE0ES3_S9_NS6_6detail15normal_iteratorINS6_10device_ptrIiEEEESG_SG_SG_PmS8_22is_equal_div_10_reduceIiEEE10hipError_tPvRmT2_T3_mT4_T5_T6_T7_T8_P12ihipStream_tbENKUlT_T0_E_clISt17integral_constantIbLb0EES10_IbLb1EEEEDaSW_SX_EUlSW_E_NS1_11comp_targetILNS1_3genE3ELNS1_11target_archE908ELNS1_3gpuE7ELNS1_3repE0EEENS1_30default_config_static_selectorELNS0_4arch9wavefront6targetE1EEEvT1_
	.globl	_ZN7rocprim17ROCPRIM_400000_NS6detail17trampoline_kernelINS0_14default_configENS1_29reduce_by_key_config_selectorIiiN6thrust23THRUST_200600_302600_NS4plusIiEEEEZZNS1_33reduce_by_key_impl_wrapped_configILNS1_25lookback_scan_determinismE0ES3_S9_NS6_6detail15normal_iteratorINS6_10device_ptrIiEEEESG_SG_SG_PmS8_22is_equal_div_10_reduceIiEEE10hipError_tPvRmT2_T3_mT4_T5_T6_T7_T8_P12ihipStream_tbENKUlT_T0_E_clISt17integral_constantIbLb0EES10_IbLb1EEEEDaSW_SX_EUlSW_E_NS1_11comp_targetILNS1_3genE3ELNS1_11target_archE908ELNS1_3gpuE7ELNS1_3repE0EEENS1_30default_config_static_selectorELNS0_4arch9wavefront6targetE1EEEvT1_
	.p2align	8
	.type	_ZN7rocprim17ROCPRIM_400000_NS6detail17trampoline_kernelINS0_14default_configENS1_29reduce_by_key_config_selectorIiiN6thrust23THRUST_200600_302600_NS4plusIiEEEEZZNS1_33reduce_by_key_impl_wrapped_configILNS1_25lookback_scan_determinismE0ES3_S9_NS6_6detail15normal_iteratorINS6_10device_ptrIiEEEESG_SG_SG_PmS8_22is_equal_div_10_reduceIiEEE10hipError_tPvRmT2_T3_mT4_T5_T6_T7_T8_P12ihipStream_tbENKUlT_T0_E_clISt17integral_constantIbLb0EES10_IbLb1EEEEDaSW_SX_EUlSW_E_NS1_11comp_targetILNS1_3genE3ELNS1_11target_archE908ELNS1_3gpuE7ELNS1_3repE0EEENS1_30default_config_static_selectorELNS0_4arch9wavefront6targetE1EEEvT1_,@function
_ZN7rocprim17ROCPRIM_400000_NS6detail17trampoline_kernelINS0_14default_configENS1_29reduce_by_key_config_selectorIiiN6thrust23THRUST_200600_302600_NS4plusIiEEEEZZNS1_33reduce_by_key_impl_wrapped_configILNS1_25lookback_scan_determinismE0ES3_S9_NS6_6detail15normal_iteratorINS6_10device_ptrIiEEEESG_SG_SG_PmS8_22is_equal_div_10_reduceIiEEE10hipError_tPvRmT2_T3_mT4_T5_T6_T7_T8_P12ihipStream_tbENKUlT_T0_E_clISt17integral_constantIbLb0EES10_IbLb1EEEEDaSW_SX_EUlSW_E_NS1_11comp_targetILNS1_3genE3ELNS1_11target_archE908ELNS1_3gpuE7ELNS1_3repE0EEENS1_30default_config_static_selectorELNS0_4arch9wavefront6targetE1EEEvT1_: ; @_ZN7rocprim17ROCPRIM_400000_NS6detail17trampoline_kernelINS0_14default_configENS1_29reduce_by_key_config_selectorIiiN6thrust23THRUST_200600_302600_NS4plusIiEEEEZZNS1_33reduce_by_key_impl_wrapped_configILNS1_25lookback_scan_determinismE0ES3_S9_NS6_6detail15normal_iteratorINS6_10device_ptrIiEEEESG_SG_SG_PmS8_22is_equal_div_10_reduceIiEEE10hipError_tPvRmT2_T3_mT4_T5_T6_T7_T8_P12ihipStream_tbENKUlT_T0_E_clISt17integral_constantIbLb0EES10_IbLb1EEEEDaSW_SX_EUlSW_E_NS1_11comp_targetILNS1_3genE3ELNS1_11target_archE908ELNS1_3gpuE7ELNS1_3repE0EEENS1_30default_config_static_selectorELNS0_4arch9wavefront6targetE1EEEvT1_
; %bb.0:
	.section	.rodata,"a",@progbits
	.p2align	6, 0x0
	.amdhsa_kernel _ZN7rocprim17ROCPRIM_400000_NS6detail17trampoline_kernelINS0_14default_configENS1_29reduce_by_key_config_selectorIiiN6thrust23THRUST_200600_302600_NS4plusIiEEEEZZNS1_33reduce_by_key_impl_wrapped_configILNS1_25lookback_scan_determinismE0ES3_S9_NS6_6detail15normal_iteratorINS6_10device_ptrIiEEEESG_SG_SG_PmS8_22is_equal_div_10_reduceIiEEE10hipError_tPvRmT2_T3_mT4_T5_T6_T7_T8_P12ihipStream_tbENKUlT_T0_E_clISt17integral_constantIbLb0EES10_IbLb1EEEEDaSW_SX_EUlSW_E_NS1_11comp_targetILNS1_3genE3ELNS1_11target_archE908ELNS1_3gpuE7ELNS1_3repE0EEENS1_30default_config_static_selectorELNS0_4arch9wavefront6targetE1EEEvT1_
		.amdhsa_group_segment_fixed_size 0
		.amdhsa_private_segment_fixed_size 0
		.amdhsa_kernarg_size 120
		.amdhsa_user_sgpr_count 6
		.amdhsa_user_sgpr_private_segment_buffer 1
		.amdhsa_user_sgpr_dispatch_ptr 0
		.amdhsa_user_sgpr_queue_ptr 0
		.amdhsa_user_sgpr_kernarg_segment_ptr 1
		.amdhsa_user_sgpr_dispatch_id 0
		.amdhsa_user_sgpr_flat_scratch_init 0
		.amdhsa_user_sgpr_kernarg_preload_length 0
		.amdhsa_user_sgpr_kernarg_preload_offset 0
		.amdhsa_user_sgpr_private_segment_size 0
		.amdhsa_uses_dynamic_stack 0
		.amdhsa_system_sgpr_private_segment_wavefront_offset 0
		.amdhsa_system_sgpr_workgroup_id_x 1
		.amdhsa_system_sgpr_workgroup_id_y 0
		.amdhsa_system_sgpr_workgroup_id_z 0
		.amdhsa_system_sgpr_workgroup_info 0
		.amdhsa_system_vgpr_workitem_id 0
		.amdhsa_next_free_vgpr 1
		.amdhsa_next_free_sgpr 0
		.amdhsa_accum_offset 4
		.amdhsa_reserve_vcc 0
		.amdhsa_reserve_flat_scratch 0
		.amdhsa_float_round_mode_32 0
		.amdhsa_float_round_mode_16_64 0
		.amdhsa_float_denorm_mode_32 3
		.amdhsa_float_denorm_mode_16_64 3
		.amdhsa_dx10_clamp 1
		.amdhsa_ieee_mode 1
		.amdhsa_fp16_overflow 0
		.amdhsa_tg_split 0
		.amdhsa_exception_fp_ieee_invalid_op 0
		.amdhsa_exception_fp_denorm_src 0
		.amdhsa_exception_fp_ieee_div_zero 0
		.amdhsa_exception_fp_ieee_overflow 0
		.amdhsa_exception_fp_ieee_underflow 0
		.amdhsa_exception_fp_ieee_inexact 0
		.amdhsa_exception_int_div_zero 0
	.end_amdhsa_kernel
	.section	.text._ZN7rocprim17ROCPRIM_400000_NS6detail17trampoline_kernelINS0_14default_configENS1_29reduce_by_key_config_selectorIiiN6thrust23THRUST_200600_302600_NS4plusIiEEEEZZNS1_33reduce_by_key_impl_wrapped_configILNS1_25lookback_scan_determinismE0ES3_S9_NS6_6detail15normal_iteratorINS6_10device_ptrIiEEEESG_SG_SG_PmS8_22is_equal_div_10_reduceIiEEE10hipError_tPvRmT2_T3_mT4_T5_T6_T7_T8_P12ihipStream_tbENKUlT_T0_E_clISt17integral_constantIbLb0EES10_IbLb1EEEEDaSW_SX_EUlSW_E_NS1_11comp_targetILNS1_3genE3ELNS1_11target_archE908ELNS1_3gpuE7ELNS1_3repE0EEENS1_30default_config_static_selectorELNS0_4arch9wavefront6targetE1EEEvT1_,"axG",@progbits,_ZN7rocprim17ROCPRIM_400000_NS6detail17trampoline_kernelINS0_14default_configENS1_29reduce_by_key_config_selectorIiiN6thrust23THRUST_200600_302600_NS4plusIiEEEEZZNS1_33reduce_by_key_impl_wrapped_configILNS1_25lookback_scan_determinismE0ES3_S9_NS6_6detail15normal_iteratorINS6_10device_ptrIiEEEESG_SG_SG_PmS8_22is_equal_div_10_reduceIiEEE10hipError_tPvRmT2_T3_mT4_T5_T6_T7_T8_P12ihipStream_tbENKUlT_T0_E_clISt17integral_constantIbLb0EES10_IbLb1EEEEDaSW_SX_EUlSW_E_NS1_11comp_targetILNS1_3genE3ELNS1_11target_archE908ELNS1_3gpuE7ELNS1_3repE0EEENS1_30default_config_static_selectorELNS0_4arch9wavefront6targetE1EEEvT1_,comdat
.Lfunc_end614:
	.size	_ZN7rocprim17ROCPRIM_400000_NS6detail17trampoline_kernelINS0_14default_configENS1_29reduce_by_key_config_selectorIiiN6thrust23THRUST_200600_302600_NS4plusIiEEEEZZNS1_33reduce_by_key_impl_wrapped_configILNS1_25lookback_scan_determinismE0ES3_S9_NS6_6detail15normal_iteratorINS6_10device_ptrIiEEEESG_SG_SG_PmS8_22is_equal_div_10_reduceIiEEE10hipError_tPvRmT2_T3_mT4_T5_T6_T7_T8_P12ihipStream_tbENKUlT_T0_E_clISt17integral_constantIbLb0EES10_IbLb1EEEEDaSW_SX_EUlSW_E_NS1_11comp_targetILNS1_3genE3ELNS1_11target_archE908ELNS1_3gpuE7ELNS1_3repE0EEENS1_30default_config_static_selectorELNS0_4arch9wavefront6targetE1EEEvT1_, .Lfunc_end614-_ZN7rocprim17ROCPRIM_400000_NS6detail17trampoline_kernelINS0_14default_configENS1_29reduce_by_key_config_selectorIiiN6thrust23THRUST_200600_302600_NS4plusIiEEEEZZNS1_33reduce_by_key_impl_wrapped_configILNS1_25lookback_scan_determinismE0ES3_S9_NS6_6detail15normal_iteratorINS6_10device_ptrIiEEEESG_SG_SG_PmS8_22is_equal_div_10_reduceIiEEE10hipError_tPvRmT2_T3_mT4_T5_T6_T7_T8_P12ihipStream_tbENKUlT_T0_E_clISt17integral_constantIbLb0EES10_IbLb1EEEEDaSW_SX_EUlSW_E_NS1_11comp_targetILNS1_3genE3ELNS1_11target_archE908ELNS1_3gpuE7ELNS1_3repE0EEENS1_30default_config_static_selectorELNS0_4arch9wavefront6targetE1EEEvT1_
                                        ; -- End function
	.section	.AMDGPU.csdata,"",@progbits
; Kernel info:
; codeLenInByte = 0
; NumSgprs: 4
; NumVgprs: 0
; NumAgprs: 0
; TotalNumVgprs: 0
; ScratchSize: 0
; MemoryBound: 0
; FloatMode: 240
; IeeeMode: 1
; LDSByteSize: 0 bytes/workgroup (compile time only)
; SGPRBlocks: 0
; VGPRBlocks: 0
; NumSGPRsForWavesPerEU: 4
; NumVGPRsForWavesPerEU: 1
; AccumOffset: 4
; Occupancy: 8
; WaveLimiterHint : 0
; COMPUTE_PGM_RSRC2:SCRATCH_EN: 0
; COMPUTE_PGM_RSRC2:USER_SGPR: 6
; COMPUTE_PGM_RSRC2:TRAP_HANDLER: 0
; COMPUTE_PGM_RSRC2:TGID_X_EN: 1
; COMPUTE_PGM_RSRC2:TGID_Y_EN: 0
; COMPUTE_PGM_RSRC2:TGID_Z_EN: 0
; COMPUTE_PGM_RSRC2:TIDIG_COMP_CNT: 0
; COMPUTE_PGM_RSRC3_GFX90A:ACCUM_OFFSET: 0
; COMPUTE_PGM_RSRC3_GFX90A:TG_SPLIT: 0
	.section	.text._ZN7rocprim17ROCPRIM_400000_NS6detail17trampoline_kernelINS0_14default_configENS1_29reduce_by_key_config_selectorIiiN6thrust23THRUST_200600_302600_NS4plusIiEEEEZZNS1_33reduce_by_key_impl_wrapped_configILNS1_25lookback_scan_determinismE0ES3_S9_NS6_6detail15normal_iteratorINS6_10device_ptrIiEEEESG_SG_SG_PmS8_22is_equal_div_10_reduceIiEEE10hipError_tPvRmT2_T3_mT4_T5_T6_T7_T8_P12ihipStream_tbENKUlT_T0_E_clISt17integral_constantIbLb0EES10_IbLb1EEEEDaSW_SX_EUlSW_E_NS1_11comp_targetILNS1_3genE2ELNS1_11target_archE906ELNS1_3gpuE6ELNS1_3repE0EEENS1_30default_config_static_selectorELNS0_4arch9wavefront6targetE1EEEvT1_,"axG",@progbits,_ZN7rocprim17ROCPRIM_400000_NS6detail17trampoline_kernelINS0_14default_configENS1_29reduce_by_key_config_selectorIiiN6thrust23THRUST_200600_302600_NS4plusIiEEEEZZNS1_33reduce_by_key_impl_wrapped_configILNS1_25lookback_scan_determinismE0ES3_S9_NS6_6detail15normal_iteratorINS6_10device_ptrIiEEEESG_SG_SG_PmS8_22is_equal_div_10_reduceIiEEE10hipError_tPvRmT2_T3_mT4_T5_T6_T7_T8_P12ihipStream_tbENKUlT_T0_E_clISt17integral_constantIbLb0EES10_IbLb1EEEEDaSW_SX_EUlSW_E_NS1_11comp_targetILNS1_3genE2ELNS1_11target_archE906ELNS1_3gpuE6ELNS1_3repE0EEENS1_30default_config_static_selectorELNS0_4arch9wavefront6targetE1EEEvT1_,comdat
	.protected	_ZN7rocprim17ROCPRIM_400000_NS6detail17trampoline_kernelINS0_14default_configENS1_29reduce_by_key_config_selectorIiiN6thrust23THRUST_200600_302600_NS4plusIiEEEEZZNS1_33reduce_by_key_impl_wrapped_configILNS1_25lookback_scan_determinismE0ES3_S9_NS6_6detail15normal_iteratorINS6_10device_ptrIiEEEESG_SG_SG_PmS8_22is_equal_div_10_reduceIiEEE10hipError_tPvRmT2_T3_mT4_T5_T6_T7_T8_P12ihipStream_tbENKUlT_T0_E_clISt17integral_constantIbLb0EES10_IbLb1EEEEDaSW_SX_EUlSW_E_NS1_11comp_targetILNS1_3genE2ELNS1_11target_archE906ELNS1_3gpuE6ELNS1_3repE0EEENS1_30default_config_static_selectorELNS0_4arch9wavefront6targetE1EEEvT1_ ; -- Begin function _ZN7rocprim17ROCPRIM_400000_NS6detail17trampoline_kernelINS0_14default_configENS1_29reduce_by_key_config_selectorIiiN6thrust23THRUST_200600_302600_NS4plusIiEEEEZZNS1_33reduce_by_key_impl_wrapped_configILNS1_25lookback_scan_determinismE0ES3_S9_NS6_6detail15normal_iteratorINS6_10device_ptrIiEEEESG_SG_SG_PmS8_22is_equal_div_10_reduceIiEEE10hipError_tPvRmT2_T3_mT4_T5_T6_T7_T8_P12ihipStream_tbENKUlT_T0_E_clISt17integral_constantIbLb0EES10_IbLb1EEEEDaSW_SX_EUlSW_E_NS1_11comp_targetILNS1_3genE2ELNS1_11target_archE906ELNS1_3gpuE6ELNS1_3repE0EEENS1_30default_config_static_selectorELNS0_4arch9wavefront6targetE1EEEvT1_
	.globl	_ZN7rocprim17ROCPRIM_400000_NS6detail17trampoline_kernelINS0_14default_configENS1_29reduce_by_key_config_selectorIiiN6thrust23THRUST_200600_302600_NS4plusIiEEEEZZNS1_33reduce_by_key_impl_wrapped_configILNS1_25lookback_scan_determinismE0ES3_S9_NS6_6detail15normal_iteratorINS6_10device_ptrIiEEEESG_SG_SG_PmS8_22is_equal_div_10_reduceIiEEE10hipError_tPvRmT2_T3_mT4_T5_T6_T7_T8_P12ihipStream_tbENKUlT_T0_E_clISt17integral_constantIbLb0EES10_IbLb1EEEEDaSW_SX_EUlSW_E_NS1_11comp_targetILNS1_3genE2ELNS1_11target_archE906ELNS1_3gpuE6ELNS1_3repE0EEENS1_30default_config_static_selectorELNS0_4arch9wavefront6targetE1EEEvT1_
	.p2align	8
	.type	_ZN7rocprim17ROCPRIM_400000_NS6detail17trampoline_kernelINS0_14default_configENS1_29reduce_by_key_config_selectorIiiN6thrust23THRUST_200600_302600_NS4plusIiEEEEZZNS1_33reduce_by_key_impl_wrapped_configILNS1_25lookback_scan_determinismE0ES3_S9_NS6_6detail15normal_iteratorINS6_10device_ptrIiEEEESG_SG_SG_PmS8_22is_equal_div_10_reduceIiEEE10hipError_tPvRmT2_T3_mT4_T5_T6_T7_T8_P12ihipStream_tbENKUlT_T0_E_clISt17integral_constantIbLb0EES10_IbLb1EEEEDaSW_SX_EUlSW_E_NS1_11comp_targetILNS1_3genE2ELNS1_11target_archE906ELNS1_3gpuE6ELNS1_3repE0EEENS1_30default_config_static_selectorELNS0_4arch9wavefront6targetE1EEEvT1_,@function
_ZN7rocprim17ROCPRIM_400000_NS6detail17trampoline_kernelINS0_14default_configENS1_29reduce_by_key_config_selectorIiiN6thrust23THRUST_200600_302600_NS4plusIiEEEEZZNS1_33reduce_by_key_impl_wrapped_configILNS1_25lookback_scan_determinismE0ES3_S9_NS6_6detail15normal_iteratorINS6_10device_ptrIiEEEESG_SG_SG_PmS8_22is_equal_div_10_reduceIiEEE10hipError_tPvRmT2_T3_mT4_T5_T6_T7_T8_P12ihipStream_tbENKUlT_T0_E_clISt17integral_constantIbLb0EES10_IbLb1EEEEDaSW_SX_EUlSW_E_NS1_11comp_targetILNS1_3genE2ELNS1_11target_archE906ELNS1_3gpuE6ELNS1_3repE0EEENS1_30default_config_static_selectorELNS0_4arch9wavefront6targetE1EEEvT1_: ; @_ZN7rocprim17ROCPRIM_400000_NS6detail17trampoline_kernelINS0_14default_configENS1_29reduce_by_key_config_selectorIiiN6thrust23THRUST_200600_302600_NS4plusIiEEEEZZNS1_33reduce_by_key_impl_wrapped_configILNS1_25lookback_scan_determinismE0ES3_S9_NS6_6detail15normal_iteratorINS6_10device_ptrIiEEEESG_SG_SG_PmS8_22is_equal_div_10_reduceIiEEE10hipError_tPvRmT2_T3_mT4_T5_T6_T7_T8_P12ihipStream_tbENKUlT_T0_E_clISt17integral_constantIbLb0EES10_IbLb1EEEEDaSW_SX_EUlSW_E_NS1_11comp_targetILNS1_3genE2ELNS1_11target_archE906ELNS1_3gpuE6ELNS1_3repE0EEENS1_30default_config_static_selectorELNS0_4arch9wavefront6targetE1EEEvT1_
; %bb.0:
	.section	.rodata,"a",@progbits
	.p2align	6, 0x0
	.amdhsa_kernel _ZN7rocprim17ROCPRIM_400000_NS6detail17trampoline_kernelINS0_14default_configENS1_29reduce_by_key_config_selectorIiiN6thrust23THRUST_200600_302600_NS4plusIiEEEEZZNS1_33reduce_by_key_impl_wrapped_configILNS1_25lookback_scan_determinismE0ES3_S9_NS6_6detail15normal_iteratorINS6_10device_ptrIiEEEESG_SG_SG_PmS8_22is_equal_div_10_reduceIiEEE10hipError_tPvRmT2_T3_mT4_T5_T6_T7_T8_P12ihipStream_tbENKUlT_T0_E_clISt17integral_constantIbLb0EES10_IbLb1EEEEDaSW_SX_EUlSW_E_NS1_11comp_targetILNS1_3genE2ELNS1_11target_archE906ELNS1_3gpuE6ELNS1_3repE0EEENS1_30default_config_static_selectorELNS0_4arch9wavefront6targetE1EEEvT1_
		.amdhsa_group_segment_fixed_size 0
		.amdhsa_private_segment_fixed_size 0
		.amdhsa_kernarg_size 120
		.amdhsa_user_sgpr_count 6
		.amdhsa_user_sgpr_private_segment_buffer 1
		.amdhsa_user_sgpr_dispatch_ptr 0
		.amdhsa_user_sgpr_queue_ptr 0
		.amdhsa_user_sgpr_kernarg_segment_ptr 1
		.amdhsa_user_sgpr_dispatch_id 0
		.amdhsa_user_sgpr_flat_scratch_init 0
		.amdhsa_user_sgpr_kernarg_preload_length 0
		.amdhsa_user_sgpr_kernarg_preload_offset 0
		.amdhsa_user_sgpr_private_segment_size 0
		.amdhsa_uses_dynamic_stack 0
		.amdhsa_system_sgpr_private_segment_wavefront_offset 0
		.amdhsa_system_sgpr_workgroup_id_x 1
		.amdhsa_system_sgpr_workgroup_id_y 0
		.amdhsa_system_sgpr_workgroup_id_z 0
		.amdhsa_system_sgpr_workgroup_info 0
		.amdhsa_system_vgpr_workitem_id 0
		.amdhsa_next_free_vgpr 1
		.amdhsa_next_free_sgpr 0
		.amdhsa_accum_offset 4
		.amdhsa_reserve_vcc 0
		.amdhsa_reserve_flat_scratch 0
		.amdhsa_float_round_mode_32 0
		.amdhsa_float_round_mode_16_64 0
		.amdhsa_float_denorm_mode_32 3
		.amdhsa_float_denorm_mode_16_64 3
		.amdhsa_dx10_clamp 1
		.amdhsa_ieee_mode 1
		.amdhsa_fp16_overflow 0
		.amdhsa_tg_split 0
		.amdhsa_exception_fp_ieee_invalid_op 0
		.amdhsa_exception_fp_denorm_src 0
		.amdhsa_exception_fp_ieee_div_zero 0
		.amdhsa_exception_fp_ieee_overflow 0
		.amdhsa_exception_fp_ieee_underflow 0
		.amdhsa_exception_fp_ieee_inexact 0
		.amdhsa_exception_int_div_zero 0
	.end_amdhsa_kernel
	.section	.text._ZN7rocprim17ROCPRIM_400000_NS6detail17trampoline_kernelINS0_14default_configENS1_29reduce_by_key_config_selectorIiiN6thrust23THRUST_200600_302600_NS4plusIiEEEEZZNS1_33reduce_by_key_impl_wrapped_configILNS1_25lookback_scan_determinismE0ES3_S9_NS6_6detail15normal_iteratorINS6_10device_ptrIiEEEESG_SG_SG_PmS8_22is_equal_div_10_reduceIiEEE10hipError_tPvRmT2_T3_mT4_T5_T6_T7_T8_P12ihipStream_tbENKUlT_T0_E_clISt17integral_constantIbLb0EES10_IbLb1EEEEDaSW_SX_EUlSW_E_NS1_11comp_targetILNS1_3genE2ELNS1_11target_archE906ELNS1_3gpuE6ELNS1_3repE0EEENS1_30default_config_static_selectorELNS0_4arch9wavefront6targetE1EEEvT1_,"axG",@progbits,_ZN7rocprim17ROCPRIM_400000_NS6detail17trampoline_kernelINS0_14default_configENS1_29reduce_by_key_config_selectorIiiN6thrust23THRUST_200600_302600_NS4plusIiEEEEZZNS1_33reduce_by_key_impl_wrapped_configILNS1_25lookback_scan_determinismE0ES3_S9_NS6_6detail15normal_iteratorINS6_10device_ptrIiEEEESG_SG_SG_PmS8_22is_equal_div_10_reduceIiEEE10hipError_tPvRmT2_T3_mT4_T5_T6_T7_T8_P12ihipStream_tbENKUlT_T0_E_clISt17integral_constantIbLb0EES10_IbLb1EEEEDaSW_SX_EUlSW_E_NS1_11comp_targetILNS1_3genE2ELNS1_11target_archE906ELNS1_3gpuE6ELNS1_3repE0EEENS1_30default_config_static_selectorELNS0_4arch9wavefront6targetE1EEEvT1_,comdat
.Lfunc_end615:
	.size	_ZN7rocprim17ROCPRIM_400000_NS6detail17trampoline_kernelINS0_14default_configENS1_29reduce_by_key_config_selectorIiiN6thrust23THRUST_200600_302600_NS4plusIiEEEEZZNS1_33reduce_by_key_impl_wrapped_configILNS1_25lookback_scan_determinismE0ES3_S9_NS6_6detail15normal_iteratorINS6_10device_ptrIiEEEESG_SG_SG_PmS8_22is_equal_div_10_reduceIiEEE10hipError_tPvRmT2_T3_mT4_T5_T6_T7_T8_P12ihipStream_tbENKUlT_T0_E_clISt17integral_constantIbLb0EES10_IbLb1EEEEDaSW_SX_EUlSW_E_NS1_11comp_targetILNS1_3genE2ELNS1_11target_archE906ELNS1_3gpuE6ELNS1_3repE0EEENS1_30default_config_static_selectorELNS0_4arch9wavefront6targetE1EEEvT1_, .Lfunc_end615-_ZN7rocprim17ROCPRIM_400000_NS6detail17trampoline_kernelINS0_14default_configENS1_29reduce_by_key_config_selectorIiiN6thrust23THRUST_200600_302600_NS4plusIiEEEEZZNS1_33reduce_by_key_impl_wrapped_configILNS1_25lookback_scan_determinismE0ES3_S9_NS6_6detail15normal_iteratorINS6_10device_ptrIiEEEESG_SG_SG_PmS8_22is_equal_div_10_reduceIiEEE10hipError_tPvRmT2_T3_mT4_T5_T6_T7_T8_P12ihipStream_tbENKUlT_T0_E_clISt17integral_constantIbLb0EES10_IbLb1EEEEDaSW_SX_EUlSW_E_NS1_11comp_targetILNS1_3genE2ELNS1_11target_archE906ELNS1_3gpuE6ELNS1_3repE0EEENS1_30default_config_static_selectorELNS0_4arch9wavefront6targetE1EEEvT1_
                                        ; -- End function
	.section	.AMDGPU.csdata,"",@progbits
; Kernel info:
; codeLenInByte = 0
; NumSgprs: 4
; NumVgprs: 0
; NumAgprs: 0
; TotalNumVgprs: 0
; ScratchSize: 0
; MemoryBound: 0
; FloatMode: 240
; IeeeMode: 1
; LDSByteSize: 0 bytes/workgroup (compile time only)
; SGPRBlocks: 0
; VGPRBlocks: 0
; NumSGPRsForWavesPerEU: 4
; NumVGPRsForWavesPerEU: 1
; AccumOffset: 4
; Occupancy: 8
; WaveLimiterHint : 0
; COMPUTE_PGM_RSRC2:SCRATCH_EN: 0
; COMPUTE_PGM_RSRC2:USER_SGPR: 6
; COMPUTE_PGM_RSRC2:TRAP_HANDLER: 0
; COMPUTE_PGM_RSRC2:TGID_X_EN: 1
; COMPUTE_PGM_RSRC2:TGID_Y_EN: 0
; COMPUTE_PGM_RSRC2:TGID_Z_EN: 0
; COMPUTE_PGM_RSRC2:TIDIG_COMP_CNT: 0
; COMPUTE_PGM_RSRC3_GFX90A:ACCUM_OFFSET: 0
; COMPUTE_PGM_RSRC3_GFX90A:TG_SPLIT: 0
	.section	.text._ZN7rocprim17ROCPRIM_400000_NS6detail17trampoline_kernelINS0_14default_configENS1_29reduce_by_key_config_selectorIiiN6thrust23THRUST_200600_302600_NS4plusIiEEEEZZNS1_33reduce_by_key_impl_wrapped_configILNS1_25lookback_scan_determinismE0ES3_S9_NS6_6detail15normal_iteratorINS6_10device_ptrIiEEEESG_SG_SG_PmS8_22is_equal_div_10_reduceIiEEE10hipError_tPvRmT2_T3_mT4_T5_T6_T7_T8_P12ihipStream_tbENKUlT_T0_E_clISt17integral_constantIbLb0EES10_IbLb1EEEEDaSW_SX_EUlSW_E_NS1_11comp_targetILNS1_3genE10ELNS1_11target_archE1201ELNS1_3gpuE5ELNS1_3repE0EEENS1_30default_config_static_selectorELNS0_4arch9wavefront6targetE1EEEvT1_,"axG",@progbits,_ZN7rocprim17ROCPRIM_400000_NS6detail17trampoline_kernelINS0_14default_configENS1_29reduce_by_key_config_selectorIiiN6thrust23THRUST_200600_302600_NS4plusIiEEEEZZNS1_33reduce_by_key_impl_wrapped_configILNS1_25lookback_scan_determinismE0ES3_S9_NS6_6detail15normal_iteratorINS6_10device_ptrIiEEEESG_SG_SG_PmS8_22is_equal_div_10_reduceIiEEE10hipError_tPvRmT2_T3_mT4_T5_T6_T7_T8_P12ihipStream_tbENKUlT_T0_E_clISt17integral_constantIbLb0EES10_IbLb1EEEEDaSW_SX_EUlSW_E_NS1_11comp_targetILNS1_3genE10ELNS1_11target_archE1201ELNS1_3gpuE5ELNS1_3repE0EEENS1_30default_config_static_selectorELNS0_4arch9wavefront6targetE1EEEvT1_,comdat
	.protected	_ZN7rocprim17ROCPRIM_400000_NS6detail17trampoline_kernelINS0_14default_configENS1_29reduce_by_key_config_selectorIiiN6thrust23THRUST_200600_302600_NS4plusIiEEEEZZNS1_33reduce_by_key_impl_wrapped_configILNS1_25lookback_scan_determinismE0ES3_S9_NS6_6detail15normal_iteratorINS6_10device_ptrIiEEEESG_SG_SG_PmS8_22is_equal_div_10_reduceIiEEE10hipError_tPvRmT2_T3_mT4_T5_T6_T7_T8_P12ihipStream_tbENKUlT_T0_E_clISt17integral_constantIbLb0EES10_IbLb1EEEEDaSW_SX_EUlSW_E_NS1_11comp_targetILNS1_3genE10ELNS1_11target_archE1201ELNS1_3gpuE5ELNS1_3repE0EEENS1_30default_config_static_selectorELNS0_4arch9wavefront6targetE1EEEvT1_ ; -- Begin function _ZN7rocprim17ROCPRIM_400000_NS6detail17trampoline_kernelINS0_14default_configENS1_29reduce_by_key_config_selectorIiiN6thrust23THRUST_200600_302600_NS4plusIiEEEEZZNS1_33reduce_by_key_impl_wrapped_configILNS1_25lookback_scan_determinismE0ES3_S9_NS6_6detail15normal_iteratorINS6_10device_ptrIiEEEESG_SG_SG_PmS8_22is_equal_div_10_reduceIiEEE10hipError_tPvRmT2_T3_mT4_T5_T6_T7_T8_P12ihipStream_tbENKUlT_T0_E_clISt17integral_constantIbLb0EES10_IbLb1EEEEDaSW_SX_EUlSW_E_NS1_11comp_targetILNS1_3genE10ELNS1_11target_archE1201ELNS1_3gpuE5ELNS1_3repE0EEENS1_30default_config_static_selectorELNS0_4arch9wavefront6targetE1EEEvT1_
	.globl	_ZN7rocprim17ROCPRIM_400000_NS6detail17trampoline_kernelINS0_14default_configENS1_29reduce_by_key_config_selectorIiiN6thrust23THRUST_200600_302600_NS4plusIiEEEEZZNS1_33reduce_by_key_impl_wrapped_configILNS1_25lookback_scan_determinismE0ES3_S9_NS6_6detail15normal_iteratorINS6_10device_ptrIiEEEESG_SG_SG_PmS8_22is_equal_div_10_reduceIiEEE10hipError_tPvRmT2_T3_mT4_T5_T6_T7_T8_P12ihipStream_tbENKUlT_T0_E_clISt17integral_constantIbLb0EES10_IbLb1EEEEDaSW_SX_EUlSW_E_NS1_11comp_targetILNS1_3genE10ELNS1_11target_archE1201ELNS1_3gpuE5ELNS1_3repE0EEENS1_30default_config_static_selectorELNS0_4arch9wavefront6targetE1EEEvT1_
	.p2align	8
	.type	_ZN7rocprim17ROCPRIM_400000_NS6detail17trampoline_kernelINS0_14default_configENS1_29reduce_by_key_config_selectorIiiN6thrust23THRUST_200600_302600_NS4plusIiEEEEZZNS1_33reduce_by_key_impl_wrapped_configILNS1_25lookback_scan_determinismE0ES3_S9_NS6_6detail15normal_iteratorINS6_10device_ptrIiEEEESG_SG_SG_PmS8_22is_equal_div_10_reduceIiEEE10hipError_tPvRmT2_T3_mT4_T5_T6_T7_T8_P12ihipStream_tbENKUlT_T0_E_clISt17integral_constantIbLb0EES10_IbLb1EEEEDaSW_SX_EUlSW_E_NS1_11comp_targetILNS1_3genE10ELNS1_11target_archE1201ELNS1_3gpuE5ELNS1_3repE0EEENS1_30default_config_static_selectorELNS0_4arch9wavefront6targetE1EEEvT1_,@function
_ZN7rocprim17ROCPRIM_400000_NS6detail17trampoline_kernelINS0_14default_configENS1_29reduce_by_key_config_selectorIiiN6thrust23THRUST_200600_302600_NS4plusIiEEEEZZNS1_33reduce_by_key_impl_wrapped_configILNS1_25lookback_scan_determinismE0ES3_S9_NS6_6detail15normal_iteratorINS6_10device_ptrIiEEEESG_SG_SG_PmS8_22is_equal_div_10_reduceIiEEE10hipError_tPvRmT2_T3_mT4_T5_T6_T7_T8_P12ihipStream_tbENKUlT_T0_E_clISt17integral_constantIbLb0EES10_IbLb1EEEEDaSW_SX_EUlSW_E_NS1_11comp_targetILNS1_3genE10ELNS1_11target_archE1201ELNS1_3gpuE5ELNS1_3repE0EEENS1_30default_config_static_selectorELNS0_4arch9wavefront6targetE1EEEvT1_: ; @_ZN7rocprim17ROCPRIM_400000_NS6detail17trampoline_kernelINS0_14default_configENS1_29reduce_by_key_config_selectorIiiN6thrust23THRUST_200600_302600_NS4plusIiEEEEZZNS1_33reduce_by_key_impl_wrapped_configILNS1_25lookback_scan_determinismE0ES3_S9_NS6_6detail15normal_iteratorINS6_10device_ptrIiEEEESG_SG_SG_PmS8_22is_equal_div_10_reduceIiEEE10hipError_tPvRmT2_T3_mT4_T5_T6_T7_T8_P12ihipStream_tbENKUlT_T0_E_clISt17integral_constantIbLb0EES10_IbLb1EEEEDaSW_SX_EUlSW_E_NS1_11comp_targetILNS1_3genE10ELNS1_11target_archE1201ELNS1_3gpuE5ELNS1_3repE0EEENS1_30default_config_static_selectorELNS0_4arch9wavefront6targetE1EEEvT1_
; %bb.0:
	.section	.rodata,"a",@progbits
	.p2align	6, 0x0
	.amdhsa_kernel _ZN7rocprim17ROCPRIM_400000_NS6detail17trampoline_kernelINS0_14default_configENS1_29reduce_by_key_config_selectorIiiN6thrust23THRUST_200600_302600_NS4plusIiEEEEZZNS1_33reduce_by_key_impl_wrapped_configILNS1_25lookback_scan_determinismE0ES3_S9_NS6_6detail15normal_iteratorINS6_10device_ptrIiEEEESG_SG_SG_PmS8_22is_equal_div_10_reduceIiEEE10hipError_tPvRmT2_T3_mT4_T5_T6_T7_T8_P12ihipStream_tbENKUlT_T0_E_clISt17integral_constantIbLb0EES10_IbLb1EEEEDaSW_SX_EUlSW_E_NS1_11comp_targetILNS1_3genE10ELNS1_11target_archE1201ELNS1_3gpuE5ELNS1_3repE0EEENS1_30default_config_static_selectorELNS0_4arch9wavefront6targetE1EEEvT1_
		.amdhsa_group_segment_fixed_size 0
		.amdhsa_private_segment_fixed_size 0
		.amdhsa_kernarg_size 120
		.amdhsa_user_sgpr_count 6
		.amdhsa_user_sgpr_private_segment_buffer 1
		.amdhsa_user_sgpr_dispatch_ptr 0
		.amdhsa_user_sgpr_queue_ptr 0
		.amdhsa_user_sgpr_kernarg_segment_ptr 1
		.amdhsa_user_sgpr_dispatch_id 0
		.amdhsa_user_sgpr_flat_scratch_init 0
		.amdhsa_user_sgpr_kernarg_preload_length 0
		.amdhsa_user_sgpr_kernarg_preload_offset 0
		.amdhsa_user_sgpr_private_segment_size 0
		.amdhsa_uses_dynamic_stack 0
		.amdhsa_system_sgpr_private_segment_wavefront_offset 0
		.amdhsa_system_sgpr_workgroup_id_x 1
		.amdhsa_system_sgpr_workgroup_id_y 0
		.amdhsa_system_sgpr_workgroup_id_z 0
		.amdhsa_system_sgpr_workgroup_info 0
		.amdhsa_system_vgpr_workitem_id 0
		.amdhsa_next_free_vgpr 1
		.amdhsa_next_free_sgpr 0
		.amdhsa_accum_offset 4
		.amdhsa_reserve_vcc 0
		.amdhsa_reserve_flat_scratch 0
		.amdhsa_float_round_mode_32 0
		.amdhsa_float_round_mode_16_64 0
		.amdhsa_float_denorm_mode_32 3
		.amdhsa_float_denorm_mode_16_64 3
		.amdhsa_dx10_clamp 1
		.amdhsa_ieee_mode 1
		.amdhsa_fp16_overflow 0
		.amdhsa_tg_split 0
		.amdhsa_exception_fp_ieee_invalid_op 0
		.amdhsa_exception_fp_denorm_src 0
		.amdhsa_exception_fp_ieee_div_zero 0
		.amdhsa_exception_fp_ieee_overflow 0
		.amdhsa_exception_fp_ieee_underflow 0
		.amdhsa_exception_fp_ieee_inexact 0
		.amdhsa_exception_int_div_zero 0
	.end_amdhsa_kernel
	.section	.text._ZN7rocprim17ROCPRIM_400000_NS6detail17trampoline_kernelINS0_14default_configENS1_29reduce_by_key_config_selectorIiiN6thrust23THRUST_200600_302600_NS4plusIiEEEEZZNS1_33reduce_by_key_impl_wrapped_configILNS1_25lookback_scan_determinismE0ES3_S9_NS6_6detail15normal_iteratorINS6_10device_ptrIiEEEESG_SG_SG_PmS8_22is_equal_div_10_reduceIiEEE10hipError_tPvRmT2_T3_mT4_T5_T6_T7_T8_P12ihipStream_tbENKUlT_T0_E_clISt17integral_constantIbLb0EES10_IbLb1EEEEDaSW_SX_EUlSW_E_NS1_11comp_targetILNS1_3genE10ELNS1_11target_archE1201ELNS1_3gpuE5ELNS1_3repE0EEENS1_30default_config_static_selectorELNS0_4arch9wavefront6targetE1EEEvT1_,"axG",@progbits,_ZN7rocprim17ROCPRIM_400000_NS6detail17trampoline_kernelINS0_14default_configENS1_29reduce_by_key_config_selectorIiiN6thrust23THRUST_200600_302600_NS4plusIiEEEEZZNS1_33reduce_by_key_impl_wrapped_configILNS1_25lookback_scan_determinismE0ES3_S9_NS6_6detail15normal_iteratorINS6_10device_ptrIiEEEESG_SG_SG_PmS8_22is_equal_div_10_reduceIiEEE10hipError_tPvRmT2_T3_mT4_T5_T6_T7_T8_P12ihipStream_tbENKUlT_T0_E_clISt17integral_constantIbLb0EES10_IbLb1EEEEDaSW_SX_EUlSW_E_NS1_11comp_targetILNS1_3genE10ELNS1_11target_archE1201ELNS1_3gpuE5ELNS1_3repE0EEENS1_30default_config_static_selectorELNS0_4arch9wavefront6targetE1EEEvT1_,comdat
.Lfunc_end616:
	.size	_ZN7rocprim17ROCPRIM_400000_NS6detail17trampoline_kernelINS0_14default_configENS1_29reduce_by_key_config_selectorIiiN6thrust23THRUST_200600_302600_NS4plusIiEEEEZZNS1_33reduce_by_key_impl_wrapped_configILNS1_25lookback_scan_determinismE0ES3_S9_NS6_6detail15normal_iteratorINS6_10device_ptrIiEEEESG_SG_SG_PmS8_22is_equal_div_10_reduceIiEEE10hipError_tPvRmT2_T3_mT4_T5_T6_T7_T8_P12ihipStream_tbENKUlT_T0_E_clISt17integral_constantIbLb0EES10_IbLb1EEEEDaSW_SX_EUlSW_E_NS1_11comp_targetILNS1_3genE10ELNS1_11target_archE1201ELNS1_3gpuE5ELNS1_3repE0EEENS1_30default_config_static_selectorELNS0_4arch9wavefront6targetE1EEEvT1_, .Lfunc_end616-_ZN7rocprim17ROCPRIM_400000_NS6detail17trampoline_kernelINS0_14default_configENS1_29reduce_by_key_config_selectorIiiN6thrust23THRUST_200600_302600_NS4plusIiEEEEZZNS1_33reduce_by_key_impl_wrapped_configILNS1_25lookback_scan_determinismE0ES3_S9_NS6_6detail15normal_iteratorINS6_10device_ptrIiEEEESG_SG_SG_PmS8_22is_equal_div_10_reduceIiEEE10hipError_tPvRmT2_T3_mT4_T5_T6_T7_T8_P12ihipStream_tbENKUlT_T0_E_clISt17integral_constantIbLb0EES10_IbLb1EEEEDaSW_SX_EUlSW_E_NS1_11comp_targetILNS1_3genE10ELNS1_11target_archE1201ELNS1_3gpuE5ELNS1_3repE0EEENS1_30default_config_static_selectorELNS0_4arch9wavefront6targetE1EEEvT1_
                                        ; -- End function
	.section	.AMDGPU.csdata,"",@progbits
; Kernel info:
; codeLenInByte = 0
; NumSgprs: 4
; NumVgprs: 0
; NumAgprs: 0
; TotalNumVgprs: 0
; ScratchSize: 0
; MemoryBound: 0
; FloatMode: 240
; IeeeMode: 1
; LDSByteSize: 0 bytes/workgroup (compile time only)
; SGPRBlocks: 0
; VGPRBlocks: 0
; NumSGPRsForWavesPerEU: 4
; NumVGPRsForWavesPerEU: 1
; AccumOffset: 4
; Occupancy: 8
; WaveLimiterHint : 0
; COMPUTE_PGM_RSRC2:SCRATCH_EN: 0
; COMPUTE_PGM_RSRC2:USER_SGPR: 6
; COMPUTE_PGM_RSRC2:TRAP_HANDLER: 0
; COMPUTE_PGM_RSRC2:TGID_X_EN: 1
; COMPUTE_PGM_RSRC2:TGID_Y_EN: 0
; COMPUTE_PGM_RSRC2:TGID_Z_EN: 0
; COMPUTE_PGM_RSRC2:TIDIG_COMP_CNT: 0
; COMPUTE_PGM_RSRC3_GFX90A:ACCUM_OFFSET: 0
; COMPUTE_PGM_RSRC3_GFX90A:TG_SPLIT: 0
	.section	.text._ZN7rocprim17ROCPRIM_400000_NS6detail17trampoline_kernelINS0_14default_configENS1_29reduce_by_key_config_selectorIiiN6thrust23THRUST_200600_302600_NS4plusIiEEEEZZNS1_33reduce_by_key_impl_wrapped_configILNS1_25lookback_scan_determinismE0ES3_S9_NS6_6detail15normal_iteratorINS6_10device_ptrIiEEEESG_SG_SG_PmS8_22is_equal_div_10_reduceIiEEE10hipError_tPvRmT2_T3_mT4_T5_T6_T7_T8_P12ihipStream_tbENKUlT_T0_E_clISt17integral_constantIbLb0EES10_IbLb1EEEEDaSW_SX_EUlSW_E_NS1_11comp_targetILNS1_3genE10ELNS1_11target_archE1200ELNS1_3gpuE4ELNS1_3repE0EEENS1_30default_config_static_selectorELNS0_4arch9wavefront6targetE1EEEvT1_,"axG",@progbits,_ZN7rocprim17ROCPRIM_400000_NS6detail17trampoline_kernelINS0_14default_configENS1_29reduce_by_key_config_selectorIiiN6thrust23THRUST_200600_302600_NS4plusIiEEEEZZNS1_33reduce_by_key_impl_wrapped_configILNS1_25lookback_scan_determinismE0ES3_S9_NS6_6detail15normal_iteratorINS6_10device_ptrIiEEEESG_SG_SG_PmS8_22is_equal_div_10_reduceIiEEE10hipError_tPvRmT2_T3_mT4_T5_T6_T7_T8_P12ihipStream_tbENKUlT_T0_E_clISt17integral_constantIbLb0EES10_IbLb1EEEEDaSW_SX_EUlSW_E_NS1_11comp_targetILNS1_3genE10ELNS1_11target_archE1200ELNS1_3gpuE4ELNS1_3repE0EEENS1_30default_config_static_selectorELNS0_4arch9wavefront6targetE1EEEvT1_,comdat
	.protected	_ZN7rocprim17ROCPRIM_400000_NS6detail17trampoline_kernelINS0_14default_configENS1_29reduce_by_key_config_selectorIiiN6thrust23THRUST_200600_302600_NS4plusIiEEEEZZNS1_33reduce_by_key_impl_wrapped_configILNS1_25lookback_scan_determinismE0ES3_S9_NS6_6detail15normal_iteratorINS6_10device_ptrIiEEEESG_SG_SG_PmS8_22is_equal_div_10_reduceIiEEE10hipError_tPvRmT2_T3_mT4_T5_T6_T7_T8_P12ihipStream_tbENKUlT_T0_E_clISt17integral_constantIbLb0EES10_IbLb1EEEEDaSW_SX_EUlSW_E_NS1_11comp_targetILNS1_3genE10ELNS1_11target_archE1200ELNS1_3gpuE4ELNS1_3repE0EEENS1_30default_config_static_selectorELNS0_4arch9wavefront6targetE1EEEvT1_ ; -- Begin function _ZN7rocprim17ROCPRIM_400000_NS6detail17trampoline_kernelINS0_14default_configENS1_29reduce_by_key_config_selectorIiiN6thrust23THRUST_200600_302600_NS4plusIiEEEEZZNS1_33reduce_by_key_impl_wrapped_configILNS1_25lookback_scan_determinismE0ES3_S9_NS6_6detail15normal_iteratorINS6_10device_ptrIiEEEESG_SG_SG_PmS8_22is_equal_div_10_reduceIiEEE10hipError_tPvRmT2_T3_mT4_T5_T6_T7_T8_P12ihipStream_tbENKUlT_T0_E_clISt17integral_constantIbLb0EES10_IbLb1EEEEDaSW_SX_EUlSW_E_NS1_11comp_targetILNS1_3genE10ELNS1_11target_archE1200ELNS1_3gpuE4ELNS1_3repE0EEENS1_30default_config_static_selectorELNS0_4arch9wavefront6targetE1EEEvT1_
	.globl	_ZN7rocprim17ROCPRIM_400000_NS6detail17trampoline_kernelINS0_14default_configENS1_29reduce_by_key_config_selectorIiiN6thrust23THRUST_200600_302600_NS4plusIiEEEEZZNS1_33reduce_by_key_impl_wrapped_configILNS1_25lookback_scan_determinismE0ES3_S9_NS6_6detail15normal_iteratorINS6_10device_ptrIiEEEESG_SG_SG_PmS8_22is_equal_div_10_reduceIiEEE10hipError_tPvRmT2_T3_mT4_T5_T6_T7_T8_P12ihipStream_tbENKUlT_T0_E_clISt17integral_constantIbLb0EES10_IbLb1EEEEDaSW_SX_EUlSW_E_NS1_11comp_targetILNS1_3genE10ELNS1_11target_archE1200ELNS1_3gpuE4ELNS1_3repE0EEENS1_30default_config_static_selectorELNS0_4arch9wavefront6targetE1EEEvT1_
	.p2align	8
	.type	_ZN7rocprim17ROCPRIM_400000_NS6detail17trampoline_kernelINS0_14default_configENS1_29reduce_by_key_config_selectorIiiN6thrust23THRUST_200600_302600_NS4plusIiEEEEZZNS1_33reduce_by_key_impl_wrapped_configILNS1_25lookback_scan_determinismE0ES3_S9_NS6_6detail15normal_iteratorINS6_10device_ptrIiEEEESG_SG_SG_PmS8_22is_equal_div_10_reduceIiEEE10hipError_tPvRmT2_T3_mT4_T5_T6_T7_T8_P12ihipStream_tbENKUlT_T0_E_clISt17integral_constantIbLb0EES10_IbLb1EEEEDaSW_SX_EUlSW_E_NS1_11comp_targetILNS1_3genE10ELNS1_11target_archE1200ELNS1_3gpuE4ELNS1_3repE0EEENS1_30default_config_static_selectorELNS0_4arch9wavefront6targetE1EEEvT1_,@function
_ZN7rocprim17ROCPRIM_400000_NS6detail17trampoline_kernelINS0_14default_configENS1_29reduce_by_key_config_selectorIiiN6thrust23THRUST_200600_302600_NS4plusIiEEEEZZNS1_33reduce_by_key_impl_wrapped_configILNS1_25lookback_scan_determinismE0ES3_S9_NS6_6detail15normal_iteratorINS6_10device_ptrIiEEEESG_SG_SG_PmS8_22is_equal_div_10_reduceIiEEE10hipError_tPvRmT2_T3_mT4_T5_T6_T7_T8_P12ihipStream_tbENKUlT_T0_E_clISt17integral_constantIbLb0EES10_IbLb1EEEEDaSW_SX_EUlSW_E_NS1_11comp_targetILNS1_3genE10ELNS1_11target_archE1200ELNS1_3gpuE4ELNS1_3repE0EEENS1_30default_config_static_selectorELNS0_4arch9wavefront6targetE1EEEvT1_: ; @_ZN7rocprim17ROCPRIM_400000_NS6detail17trampoline_kernelINS0_14default_configENS1_29reduce_by_key_config_selectorIiiN6thrust23THRUST_200600_302600_NS4plusIiEEEEZZNS1_33reduce_by_key_impl_wrapped_configILNS1_25lookback_scan_determinismE0ES3_S9_NS6_6detail15normal_iteratorINS6_10device_ptrIiEEEESG_SG_SG_PmS8_22is_equal_div_10_reduceIiEEE10hipError_tPvRmT2_T3_mT4_T5_T6_T7_T8_P12ihipStream_tbENKUlT_T0_E_clISt17integral_constantIbLb0EES10_IbLb1EEEEDaSW_SX_EUlSW_E_NS1_11comp_targetILNS1_3genE10ELNS1_11target_archE1200ELNS1_3gpuE4ELNS1_3repE0EEENS1_30default_config_static_selectorELNS0_4arch9wavefront6targetE1EEEvT1_
; %bb.0:
	.section	.rodata,"a",@progbits
	.p2align	6, 0x0
	.amdhsa_kernel _ZN7rocprim17ROCPRIM_400000_NS6detail17trampoline_kernelINS0_14default_configENS1_29reduce_by_key_config_selectorIiiN6thrust23THRUST_200600_302600_NS4plusIiEEEEZZNS1_33reduce_by_key_impl_wrapped_configILNS1_25lookback_scan_determinismE0ES3_S9_NS6_6detail15normal_iteratorINS6_10device_ptrIiEEEESG_SG_SG_PmS8_22is_equal_div_10_reduceIiEEE10hipError_tPvRmT2_T3_mT4_T5_T6_T7_T8_P12ihipStream_tbENKUlT_T0_E_clISt17integral_constantIbLb0EES10_IbLb1EEEEDaSW_SX_EUlSW_E_NS1_11comp_targetILNS1_3genE10ELNS1_11target_archE1200ELNS1_3gpuE4ELNS1_3repE0EEENS1_30default_config_static_selectorELNS0_4arch9wavefront6targetE1EEEvT1_
		.amdhsa_group_segment_fixed_size 0
		.amdhsa_private_segment_fixed_size 0
		.amdhsa_kernarg_size 120
		.amdhsa_user_sgpr_count 6
		.amdhsa_user_sgpr_private_segment_buffer 1
		.amdhsa_user_sgpr_dispatch_ptr 0
		.amdhsa_user_sgpr_queue_ptr 0
		.amdhsa_user_sgpr_kernarg_segment_ptr 1
		.amdhsa_user_sgpr_dispatch_id 0
		.amdhsa_user_sgpr_flat_scratch_init 0
		.amdhsa_user_sgpr_kernarg_preload_length 0
		.amdhsa_user_sgpr_kernarg_preload_offset 0
		.amdhsa_user_sgpr_private_segment_size 0
		.amdhsa_uses_dynamic_stack 0
		.amdhsa_system_sgpr_private_segment_wavefront_offset 0
		.amdhsa_system_sgpr_workgroup_id_x 1
		.amdhsa_system_sgpr_workgroup_id_y 0
		.amdhsa_system_sgpr_workgroup_id_z 0
		.amdhsa_system_sgpr_workgroup_info 0
		.amdhsa_system_vgpr_workitem_id 0
		.amdhsa_next_free_vgpr 1
		.amdhsa_next_free_sgpr 0
		.amdhsa_accum_offset 4
		.amdhsa_reserve_vcc 0
		.amdhsa_reserve_flat_scratch 0
		.amdhsa_float_round_mode_32 0
		.amdhsa_float_round_mode_16_64 0
		.amdhsa_float_denorm_mode_32 3
		.amdhsa_float_denorm_mode_16_64 3
		.amdhsa_dx10_clamp 1
		.amdhsa_ieee_mode 1
		.amdhsa_fp16_overflow 0
		.amdhsa_tg_split 0
		.amdhsa_exception_fp_ieee_invalid_op 0
		.amdhsa_exception_fp_denorm_src 0
		.amdhsa_exception_fp_ieee_div_zero 0
		.amdhsa_exception_fp_ieee_overflow 0
		.amdhsa_exception_fp_ieee_underflow 0
		.amdhsa_exception_fp_ieee_inexact 0
		.amdhsa_exception_int_div_zero 0
	.end_amdhsa_kernel
	.section	.text._ZN7rocprim17ROCPRIM_400000_NS6detail17trampoline_kernelINS0_14default_configENS1_29reduce_by_key_config_selectorIiiN6thrust23THRUST_200600_302600_NS4plusIiEEEEZZNS1_33reduce_by_key_impl_wrapped_configILNS1_25lookback_scan_determinismE0ES3_S9_NS6_6detail15normal_iteratorINS6_10device_ptrIiEEEESG_SG_SG_PmS8_22is_equal_div_10_reduceIiEEE10hipError_tPvRmT2_T3_mT4_T5_T6_T7_T8_P12ihipStream_tbENKUlT_T0_E_clISt17integral_constantIbLb0EES10_IbLb1EEEEDaSW_SX_EUlSW_E_NS1_11comp_targetILNS1_3genE10ELNS1_11target_archE1200ELNS1_3gpuE4ELNS1_3repE0EEENS1_30default_config_static_selectorELNS0_4arch9wavefront6targetE1EEEvT1_,"axG",@progbits,_ZN7rocprim17ROCPRIM_400000_NS6detail17trampoline_kernelINS0_14default_configENS1_29reduce_by_key_config_selectorIiiN6thrust23THRUST_200600_302600_NS4plusIiEEEEZZNS1_33reduce_by_key_impl_wrapped_configILNS1_25lookback_scan_determinismE0ES3_S9_NS6_6detail15normal_iteratorINS6_10device_ptrIiEEEESG_SG_SG_PmS8_22is_equal_div_10_reduceIiEEE10hipError_tPvRmT2_T3_mT4_T5_T6_T7_T8_P12ihipStream_tbENKUlT_T0_E_clISt17integral_constantIbLb0EES10_IbLb1EEEEDaSW_SX_EUlSW_E_NS1_11comp_targetILNS1_3genE10ELNS1_11target_archE1200ELNS1_3gpuE4ELNS1_3repE0EEENS1_30default_config_static_selectorELNS0_4arch9wavefront6targetE1EEEvT1_,comdat
.Lfunc_end617:
	.size	_ZN7rocprim17ROCPRIM_400000_NS6detail17trampoline_kernelINS0_14default_configENS1_29reduce_by_key_config_selectorIiiN6thrust23THRUST_200600_302600_NS4plusIiEEEEZZNS1_33reduce_by_key_impl_wrapped_configILNS1_25lookback_scan_determinismE0ES3_S9_NS6_6detail15normal_iteratorINS6_10device_ptrIiEEEESG_SG_SG_PmS8_22is_equal_div_10_reduceIiEEE10hipError_tPvRmT2_T3_mT4_T5_T6_T7_T8_P12ihipStream_tbENKUlT_T0_E_clISt17integral_constantIbLb0EES10_IbLb1EEEEDaSW_SX_EUlSW_E_NS1_11comp_targetILNS1_3genE10ELNS1_11target_archE1200ELNS1_3gpuE4ELNS1_3repE0EEENS1_30default_config_static_selectorELNS0_4arch9wavefront6targetE1EEEvT1_, .Lfunc_end617-_ZN7rocprim17ROCPRIM_400000_NS6detail17trampoline_kernelINS0_14default_configENS1_29reduce_by_key_config_selectorIiiN6thrust23THRUST_200600_302600_NS4plusIiEEEEZZNS1_33reduce_by_key_impl_wrapped_configILNS1_25lookback_scan_determinismE0ES3_S9_NS6_6detail15normal_iteratorINS6_10device_ptrIiEEEESG_SG_SG_PmS8_22is_equal_div_10_reduceIiEEE10hipError_tPvRmT2_T3_mT4_T5_T6_T7_T8_P12ihipStream_tbENKUlT_T0_E_clISt17integral_constantIbLb0EES10_IbLb1EEEEDaSW_SX_EUlSW_E_NS1_11comp_targetILNS1_3genE10ELNS1_11target_archE1200ELNS1_3gpuE4ELNS1_3repE0EEENS1_30default_config_static_selectorELNS0_4arch9wavefront6targetE1EEEvT1_
                                        ; -- End function
	.section	.AMDGPU.csdata,"",@progbits
; Kernel info:
; codeLenInByte = 0
; NumSgprs: 4
; NumVgprs: 0
; NumAgprs: 0
; TotalNumVgprs: 0
; ScratchSize: 0
; MemoryBound: 0
; FloatMode: 240
; IeeeMode: 1
; LDSByteSize: 0 bytes/workgroup (compile time only)
; SGPRBlocks: 0
; VGPRBlocks: 0
; NumSGPRsForWavesPerEU: 4
; NumVGPRsForWavesPerEU: 1
; AccumOffset: 4
; Occupancy: 8
; WaveLimiterHint : 0
; COMPUTE_PGM_RSRC2:SCRATCH_EN: 0
; COMPUTE_PGM_RSRC2:USER_SGPR: 6
; COMPUTE_PGM_RSRC2:TRAP_HANDLER: 0
; COMPUTE_PGM_RSRC2:TGID_X_EN: 1
; COMPUTE_PGM_RSRC2:TGID_Y_EN: 0
; COMPUTE_PGM_RSRC2:TGID_Z_EN: 0
; COMPUTE_PGM_RSRC2:TIDIG_COMP_CNT: 0
; COMPUTE_PGM_RSRC3_GFX90A:ACCUM_OFFSET: 0
; COMPUTE_PGM_RSRC3_GFX90A:TG_SPLIT: 0
	.section	.text._ZN7rocprim17ROCPRIM_400000_NS6detail17trampoline_kernelINS0_14default_configENS1_29reduce_by_key_config_selectorIiiN6thrust23THRUST_200600_302600_NS4plusIiEEEEZZNS1_33reduce_by_key_impl_wrapped_configILNS1_25lookback_scan_determinismE0ES3_S9_NS6_6detail15normal_iteratorINS6_10device_ptrIiEEEESG_SG_SG_PmS8_22is_equal_div_10_reduceIiEEE10hipError_tPvRmT2_T3_mT4_T5_T6_T7_T8_P12ihipStream_tbENKUlT_T0_E_clISt17integral_constantIbLb0EES10_IbLb1EEEEDaSW_SX_EUlSW_E_NS1_11comp_targetILNS1_3genE9ELNS1_11target_archE1100ELNS1_3gpuE3ELNS1_3repE0EEENS1_30default_config_static_selectorELNS0_4arch9wavefront6targetE1EEEvT1_,"axG",@progbits,_ZN7rocprim17ROCPRIM_400000_NS6detail17trampoline_kernelINS0_14default_configENS1_29reduce_by_key_config_selectorIiiN6thrust23THRUST_200600_302600_NS4plusIiEEEEZZNS1_33reduce_by_key_impl_wrapped_configILNS1_25lookback_scan_determinismE0ES3_S9_NS6_6detail15normal_iteratorINS6_10device_ptrIiEEEESG_SG_SG_PmS8_22is_equal_div_10_reduceIiEEE10hipError_tPvRmT2_T3_mT4_T5_T6_T7_T8_P12ihipStream_tbENKUlT_T0_E_clISt17integral_constantIbLb0EES10_IbLb1EEEEDaSW_SX_EUlSW_E_NS1_11comp_targetILNS1_3genE9ELNS1_11target_archE1100ELNS1_3gpuE3ELNS1_3repE0EEENS1_30default_config_static_selectorELNS0_4arch9wavefront6targetE1EEEvT1_,comdat
	.protected	_ZN7rocprim17ROCPRIM_400000_NS6detail17trampoline_kernelINS0_14default_configENS1_29reduce_by_key_config_selectorIiiN6thrust23THRUST_200600_302600_NS4plusIiEEEEZZNS1_33reduce_by_key_impl_wrapped_configILNS1_25lookback_scan_determinismE0ES3_S9_NS6_6detail15normal_iteratorINS6_10device_ptrIiEEEESG_SG_SG_PmS8_22is_equal_div_10_reduceIiEEE10hipError_tPvRmT2_T3_mT4_T5_T6_T7_T8_P12ihipStream_tbENKUlT_T0_E_clISt17integral_constantIbLb0EES10_IbLb1EEEEDaSW_SX_EUlSW_E_NS1_11comp_targetILNS1_3genE9ELNS1_11target_archE1100ELNS1_3gpuE3ELNS1_3repE0EEENS1_30default_config_static_selectorELNS0_4arch9wavefront6targetE1EEEvT1_ ; -- Begin function _ZN7rocprim17ROCPRIM_400000_NS6detail17trampoline_kernelINS0_14default_configENS1_29reduce_by_key_config_selectorIiiN6thrust23THRUST_200600_302600_NS4plusIiEEEEZZNS1_33reduce_by_key_impl_wrapped_configILNS1_25lookback_scan_determinismE0ES3_S9_NS6_6detail15normal_iteratorINS6_10device_ptrIiEEEESG_SG_SG_PmS8_22is_equal_div_10_reduceIiEEE10hipError_tPvRmT2_T3_mT4_T5_T6_T7_T8_P12ihipStream_tbENKUlT_T0_E_clISt17integral_constantIbLb0EES10_IbLb1EEEEDaSW_SX_EUlSW_E_NS1_11comp_targetILNS1_3genE9ELNS1_11target_archE1100ELNS1_3gpuE3ELNS1_3repE0EEENS1_30default_config_static_selectorELNS0_4arch9wavefront6targetE1EEEvT1_
	.globl	_ZN7rocprim17ROCPRIM_400000_NS6detail17trampoline_kernelINS0_14default_configENS1_29reduce_by_key_config_selectorIiiN6thrust23THRUST_200600_302600_NS4plusIiEEEEZZNS1_33reduce_by_key_impl_wrapped_configILNS1_25lookback_scan_determinismE0ES3_S9_NS6_6detail15normal_iteratorINS6_10device_ptrIiEEEESG_SG_SG_PmS8_22is_equal_div_10_reduceIiEEE10hipError_tPvRmT2_T3_mT4_T5_T6_T7_T8_P12ihipStream_tbENKUlT_T0_E_clISt17integral_constantIbLb0EES10_IbLb1EEEEDaSW_SX_EUlSW_E_NS1_11comp_targetILNS1_3genE9ELNS1_11target_archE1100ELNS1_3gpuE3ELNS1_3repE0EEENS1_30default_config_static_selectorELNS0_4arch9wavefront6targetE1EEEvT1_
	.p2align	8
	.type	_ZN7rocprim17ROCPRIM_400000_NS6detail17trampoline_kernelINS0_14default_configENS1_29reduce_by_key_config_selectorIiiN6thrust23THRUST_200600_302600_NS4plusIiEEEEZZNS1_33reduce_by_key_impl_wrapped_configILNS1_25lookback_scan_determinismE0ES3_S9_NS6_6detail15normal_iteratorINS6_10device_ptrIiEEEESG_SG_SG_PmS8_22is_equal_div_10_reduceIiEEE10hipError_tPvRmT2_T3_mT4_T5_T6_T7_T8_P12ihipStream_tbENKUlT_T0_E_clISt17integral_constantIbLb0EES10_IbLb1EEEEDaSW_SX_EUlSW_E_NS1_11comp_targetILNS1_3genE9ELNS1_11target_archE1100ELNS1_3gpuE3ELNS1_3repE0EEENS1_30default_config_static_selectorELNS0_4arch9wavefront6targetE1EEEvT1_,@function
_ZN7rocprim17ROCPRIM_400000_NS6detail17trampoline_kernelINS0_14default_configENS1_29reduce_by_key_config_selectorIiiN6thrust23THRUST_200600_302600_NS4plusIiEEEEZZNS1_33reduce_by_key_impl_wrapped_configILNS1_25lookback_scan_determinismE0ES3_S9_NS6_6detail15normal_iteratorINS6_10device_ptrIiEEEESG_SG_SG_PmS8_22is_equal_div_10_reduceIiEEE10hipError_tPvRmT2_T3_mT4_T5_T6_T7_T8_P12ihipStream_tbENKUlT_T0_E_clISt17integral_constantIbLb0EES10_IbLb1EEEEDaSW_SX_EUlSW_E_NS1_11comp_targetILNS1_3genE9ELNS1_11target_archE1100ELNS1_3gpuE3ELNS1_3repE0EEENS1_30default_config_static_selectorELNS0_4arch9wavefront6targetE1EEEvT1_: ; @_ZN7rocprim17ROCPRIM_400000_NS6detail17trampoline_kernelINS0_14default_configENS1_29reduce_by_key_config_selectorIiiN6thrust23THRUST_200600_302600_NS4plusIiEEEEZZNS1_33reduce_by_key_impl_wrapped_configILNS1_25lookback_scan_determinismE0ES3_S9_NS6_6detail15normal_iteratorINS6_10device_ptrIiEEEESG_SG_SG_PmS8_22is_equal_div_10_reduceIiEEE10hipError_tPvRmT2_T3_mT4_T5_T6_T7_T8_P12ihipStream_tbENKUlT_T0_E_clISt17integral_constantIbLb0EES10_IbLb1EEEEDaSW_SX_EUlSW_E_NS1_11comp_targetILNS1_3genE9ELNS1_11target_archE1100ELNS1_3gpuE3ELNS1_3repE0EEENS1_30default_config_static_selectorELNS0_4arch9wavefront6targetE1EEEvT1_
; %bb.0:
	.section	.rodata,"a",@progbits
	.p2align	6, 0x0
	.amdhsa_kernel _ZN7rocprim17ROCPRIM_400000_NS6detail17trampoline_kernelINS0_14default_configENS1_29reduce_by_key_config_selectorIiiN6thrust23THRUST_200600_302600_NS4plusIiEEEEZZNS1_33reduce_by_key_impl_wrapped_configILNS1_25lookback_scan_determinismE0ES3_S9_NS6_6detail15normal_iteratorINS6_10device_ptrIiEEEESG_SG_SG_PmS8_22is_equal_div_10_reduceIiEEE10hipError_tPvRmT2_T3_mT4_T5_T6_T7_T8_P12ihipStream_tbENKUlT_T0_E_clISt17integral_constantIbLb0EES10_IbLb1EEEEDaSW_SX_EUlSW_E_NS1_11comp_targetILNS1_3genE9ELNS1_11target_archE1100ELNS1_3gpuE3ELNS1_3repE0EEENS1_30default_config_static_selectorELNS0_4arch9wavefront6targetE1EEEvT1_
		.amdhsa_group_segment_fixed_size 0
		.amdhsa_private_segment_fixed_size 0
		.amdhsa_kernarg_size 120
		.amdhsa_user_sgpr_count 6
		.amdhsa_user_sgpr_private_segment_buffer 1
		.amdhsa_user_sgpr_dispatch_ptr 0
		.amdhsa_user_sgpr_queue_ptr 0
		.amdhsa_user_sgpr_kernarg_segment_ptr 1
		.amdhsa_user_sgpr_dispatch_id 0
		.amdhsa_user_sgpr_flat_scratch_init 0
		.amdhsa_user_sgpr_kernarg_preload_length 0
		.amdhsa_user_sgpr_kernarg_preload_offset 0
		.amdhsa_user_sgpr_private_segment_size 0
		.amdhsa_uses_dynamic_stack 0
		.amdhsa_system_sgpr_private_segment_wavefront_offset 0
		.amdhsa_system_sgpr_workgroup_id_x 1
		.amdhsa_system_sgpr_workgroup_id_y 0
		.amdhsa_system_sgpr_workgroup_id_z 0
		.amdhsa_system_sgpr_workgroup_info 0
		.amdhsa_system_vgpr_workitem_id 0
		.amdhsa_next_free_vgpr 1
		.amdhsa_next_free_sgpr 0
		.amdhsa_accum_offset 4
		.amdhsa_reserve_vcc 0
		.amdhsa_reserve_flat_scratch 0
		.amdhsa_float_round_mode_32 0
		.amdhsa_float_round_mode_16_64 0
		.amdhsa_float_denorm_mode_32 3
		.amdhsa_float_denorm_mode_16_64 3
		.amdhsa_dx10_clamp 1
		.amdhsa_ieee_mode 1
		.amdhsa_fp16_overflow 0
		.amdhsa_tg_split 0
		.amdhsa_exception_fp_ieee_invalid_op 0
		.amdhsa_exception_fp_denorm_src 0
		.amdhsa_exception_fp_ieee_div_zero 0
		.amdhsa_exception_fp_ieee_overflow 0
		.amdhsa_exception_fp_ieee_underflow 0
		.amdhsa_exception_fp_ieee_inexact 0
		.amdhsa_exception_int_div_zero 0
	.end_amdhsa_kernel
	.section	.text._ZN7rocprim17ROCPRIM_400000_NS6detail17trampoline_kernelINS0_14default_configENS1_29reduce_by_key_config_selectorIiiN6thrust23THRUST_200600_302600_NS4plusIiEEEEZZNS1_33reduce_by_key_impl_wrapped_configILNS1_25lookback_scan_determinismE0ES3_S9_NS6_6detail15normal_iteratorINS6_10device_ptrIiEEEESG_SG_SG_PmS8_22is_equal_div_10_reduceIiEEE10hipError_tPvRmT2_T3_mT4_T5_T6_T7_T8_P12ihipStream_tbENKUlT_T0_E_clISt17integral_constantIbLb0EES10_IbLb1EEEEDaSW_SX_EUlSW_E_NS1_11comp_targetILNS1_3genE9ELNS1_11target_archE1100ELNS1_3gpuE3ELNS1_3repE0EEENS1_30default_config_static_selectorELNS0_4arch9wavefront6targetE1EEEvT1_,"axG",@progbits,_ZN7rocprim17ROCPRIM_400000_NS6detail17trampoline_kernelINS0_14default_configENS1_29reduce_by_key_config_selectorIiiN6thrust23THRUST_200600_302600_NS4plusIiEEEEZZNS1_33reduce_by_key_impl_wrapped_configILNS1_25lookback_scan_determinismE0ES3_S9_NS6_6detail15normal_iteratorINS6_10device_ptrIiEEEESG_SG_SG_PmS8_22is_equal_div_10_reduceIiEEE10hipError_tPvRmT2_T3_mT4_T5_T6_T7_T8_P12ihipStream_tbENKUlT_T0_E_clISt17integral_constantIbLb0EES10_IbLb1EEEEDaSW_SX_EUlSW_E_NS1_11comp_targetILNS1_3genE9ELNS1_11target_archE1100ELNS1_3gpuE3ELNS1_3repE0EEENS1_30default_config_static_selectorELNS0_4arch9wavefront6targetE1EEEvT1_,comdat
.Lfunc_end618:
	.size	_ZN7rocprim17ROCPRIM_400000_NS6detail17trampoline_kernelINS0_14default_configENS1_29reduce_by_key_config_selectorIiiN6thrust23THRUST_200600_302600_NS4plusIiEEEEZZNS1_33reduce_by_key_impl_wrapped_configILNS1_25lookback_scan_determinismE0ES3_S9_NS6_6detail15normal_iteratorINS6_10device_ptrIiEEEESG_SG_SG_PmS8_22is_equal_div_10_reduceIiEEE10hipError_tPvRmT2_T3_mT4_T5_T6_T7_T8_P12ihipStream_tbENKUlT_T0_E_clISt17integral_constantIbLb0EES10_IbLb1EEEEDaSW_SX_EUlSW_E_NS1_11comp_targetILNS1_3genE9ELNS1_11target_archE1100ELNS1_3gpuE3ELNS1_3repE0EEENS1_30default_config_static_selectorELNS0_4arch9wavefront6targetE1EEEvT1_, .Lfunc_end618-_ZN7rocprim17ROCPRIM_400000_NS6detail17trampoline_kernelINS0_14default_configENS1_29reduce_by_key_config_selectorIiiN6thrust23THRUST_200600_302600_NS4plusIiEEEEZZNS1_33reduce_by_key_impl_wrapped_configILNS1_25lookback_scan_determinismE0ES3_S9_NS6_6detail15normal_iteratorINS6_10device_ptrIiEEEESG_SG_SG_PmS8_22is_equal_div_10_reduceIiEEE10hipError_tPvRmT2_T3_mT4_T5_T6_T7_T8_P12ihipStream_tbENKUlT_T0_E_clISt17integral_constantIbLb0EES10_IbLb1EEEEDaSW_SX_EUlSW_E_NS1_11comp_targetILNS1_3genE9ELNS1_11target_archE1100ELNS1_3gpuE3ELNS1_3repE0EEENS1_30default_config_static_selectorELNS0_4arch9wavefront6targetE1EEEvT1_
                                        ; -- End function
	.section	.AMDGPU.csdata,"",@progbits
; Kernel info:
; codeLenInByte = 0
; NumSgprs: 4
; NumVgprs: 0
; NumAgprs: 0
; TotalNumVgprs: 0
; ScratchSize: 0
; MemoryBound: 0
; FloatMode: 240
; IeeeMode: 1
; LDSByteSize: 0 bytes/workgroup (compile time only)
; SGPRBlocks: 0
; VGPRBlocks: 0
; NumSGPRsForWavesPerEU: 4
; NumVGPRsForWavesPerEU: 1
; AccumOffset: 4
; Occupancy: 8
; WaveLimiterHint : 0
; COMPUTE_PGM_RSRC2:SCRATCH_EN: 0
; COMPUTE_PGM_RSRC2:USER_SGPR: 6
; COMPUTE_PGM_RSRC2:TRAP_HANDLER: 0
; COMPUTE_PGM_RSRC2:TGID_X_EN: 1
; COMPUTE_PGM_RSRC2:TGID_Y_EN: 0
; COMPUTE_PGM_RSRC2:TGID_Z_EN: 0
; COMPUTE_PGM_RSRC2:TIDIG_COMP_CNT: 0
; COMPUTE_PGM_RSRC3_GFX90A:ACCUM_OFFSET: 0
; COMPUTE_PGM_RSRC3_GFX90A:TG_SPLIT: 0
	.section	.text._ZN7rocprim17ROCPRIM_400000_NS6detail17trampoline_kernelINS0_14default_configENS1_29reduce_by_key_config_selectorIiiN6thrust23THRUST_200600_302600_NS4plusIiEEEEZZNS1_33reduce_by_key_impl_wrapped_configILNS1_25lookback_scan_determinismE0ES3_S9_NS6_6detail15normal_iteratorINS6_10device_ptrIiEEEESG_SG_SG_PmS8_22is_equal_div_10_reduceIiEEE10hipError_tPvRmT2_T3_mT4_T5_T6_T7_T8_P12ihipStream_tbENKUlT_T0_E_clISt17integral_constantIbLb0EES10_IbLb1EEEEDaSW_SX_EUlSW_E_NS1_11comp_targetILNS1_3genE8ELNS1_11target_archE1030ELNS1_3gpuE2ELNS1_3repE0EEENS1_30default_config_static_selectorELNS0_4arch9wavefront6targetE1EEEvT1_,"axG",@progbits,_ZN7rocprim17ROCPRIM_400000_NS6detail17trampoline_kernelINS0_14default_configENS1_29reduce_by_key_config_selectorIiiN6thrust23THRUST_200600_302600_NS4plusIiEEEEZZNS1_33reduce_by_key_impl_wrapped_configILNS1_25lookback_scan_determinismE0ES3_S9_NS6_6detail15normal_iteratorINS6_10device_ptrIiEEEESG_SG_SG_PmS8_22is_equal_div_10_reduceIiEEE10hipError_tPvRmT2_T3_mT4_T5_T6_T7_T8_P12ihipStream_tbENKUlT_T0_E_clISt17integral_constantIbLb0EES10_IbLb1EEEEDaSW_SX_EUlSW_E_NS1_11comp_targetILNS1_3genE8ELNS1_11target_archE1030ELNS1_3gpuE2ELNS1_3repE0EEENS1_30default_config_static_selectorELNS0_4arch9wavefront6targetE1EEEvT1_,comdat
	.protected	_ZN7rocprim17ROCPRIM_400000_NS6detail17trampoline_kernelINS0_14default_configENS1_29reduce_by_key_config_selectorIiiN6thrust23THRUST_200600_302600_NS4plusIiEEEEZZNS1_33reduce_by_key_impl_wrapped_configILNS1_25lookback_scan_determinismE0ES3_S9_NS6_6detail15normal_iteratorINS6_10device_ptrIiEEEESG_SG_SG_PmS8_22is_equal_div_10_reduceIiEEE10hipError_tPvRmT2_T3_mT4_T5_T6_T7_T8_P12ihipStream_tbENKUlT_T0_E_clISt17integral_constantIbLb0EES10_IbLb1EEEEDaSW_SX_EUlSW_E_NS1_11comp_targetILNS1_3genE8ELNS1_11target_archE1030ELNS1_3gpuE2ELNS1_3repE0EEENS1_30default_config_static_selectorELNS0_4arch9wavefront6targetE1EEEvT1_ ; -- Begin function _ZN7rocprim17ROCPRIM_400000_NS6detail17trampoline_kernelINS0_14default_configENS1_29reduce_by_key_config_selectorIiiN6thrust23THRUST_200600_302600_NS4plusIiEEEEZZNS1_33reduce_by_key_impl_wrapped_configILNS1_25lookback_scan_determinismE0ES3_S9_NS6_6detail15normal_iteratorINS6_10device_ptrIiEEEESG_SG_SG_PmS8_22is_equal_div_10_reduceIiEEE10hipError_tPvRmT2_T3_mT4_T5_T6_T7_T8_P12ihipStream_tbENKUlT_T0_E_clISt17integral_constantIbLb0EES10_IbLb1EEEEDaSW_SX_EUlSW_E_NS1_11comp_targetILNS1_3genE8ELNS1_11target_archE1030ELNS1_3gpuE2ELNS1_3repE0EEENS1_30default_config_static_selectorELNS0_4arch9wavefront6targetE1EEEvT1_
	.globl	_ZN7rocprim17ROCPRIM_400000_NS6detail17trampoline_kernelINS0_14default_configENS1_29reduce_by_key_config_selectorIiiN6thrust23THRUST_200600_302600_NS4plusIiEEEEZZNS1_33reduce_by_key_impl_wrapped_configILNS1_25lookback_scan_determinismE0ES3_S9_NS6_6detail15normal_iteratorINS6_10device_ptrIiEEEESG_SG_SG_PmS8_22is_equal_div_10_reduceIiEEE10hipError_tPvRmT2_T3_mT4_T5_T6_T7_T8_P12ihipStream_tbENKUlT_T0_E_clISt17integral_constantIbLb0EES10_IbLb1EEEEDaSW_SX_EUlSW_E_NS1_11comp_targetILNS1_3genE8ELNS1_11target_archE1030ELNS1_3gpuE2ELNS1_3repE0EEENS1_30default_config_static_selectorELNS0_4arch9wavefront6targetE1EEEvT1_
	.p2align	8
	.type	_ZN7rocprim17ROCPRIM_400000_NS6detail17trampoline_kernelINS0_14default_configENS1_29reduce_by_key_config_selectorIiiN6thrust23THRUST_200600_302600_NS4plusIiEEEEZZNS1_33reduce_by_key_impl_wrapped_configILNS1_25lookback_scan_determinismE0ES3_S9_NS6_6detail15normal_iteratorINS6_10device_ptrIiEEEESG_SG_SG_PmS8_22is_equal_div_10_reduceIiEEE10hipError_tPvRmT2_T3_mT4_T5_T6_T7_T8_P12ihipStream_tbENKUlT_T0_E_clISt17integral_constantIbLb0EES10_IbLb1EEEEDaSW_SX_EUlSW_E_NS1_11comp_targetILNS1_3genE8ELNS1_11target_archE1030ELNS1_3gpuE2ELNS1_3repE0EEENS1_30default_config_static_selectorELNS0_4arch9wavefront6targetE1EEEvT1_,@function
_ZN7rocprim17ROCPRIM_400000_NS6detail17trampoline_kernelINS0_14default_configENS1_29reduce_by_key_config_selectorIiiN6thrust23THRUST_200600_302600_NS4plusIiEEEEZZNS1_33reduce_by_key_impl_wrapped_configILNS1_25lookback_scan_determinismE0ES3_S9_NS6_6detail15normal_iteratorINS6_10device_ptrIiEEEESG_SG_SG_PmS8_22is_equal_div_10_reduceIiEEE10hipError_tPvRmT2_T3_mT4_T5_T6_T7_T8_P12ihipStream_tbENKUlT_T0_E_clISt17integral_constantIbLb0EES10_IbLb1EEEEDaSW_SX_EUlSW_E_NS1_11comp_targetILNS1_3genE8ELNS1_11target_archE1030ELNS1_3gpuE2ELNS1_3repE0EEENS1_30default_config_static_selectorELNS0_4arch9wavefront6targetE1EEEvT1_: ; @_ZN7rocprim17ROCPRIM_400000_NS6detail17trampoline_kernelINS0_14default_configENS1_29reduce_by_key_config_selectorIiiN6thrust23THRUST_200600_302600_NS4plusIiEEEEZZNS1_33reduce_by_key_impl_wrapped_configILNS1_25lookback_scan_determinismE0ES3_S9_NS6_6detail15normal_iteratorINS6_10device_ptrIiEEEESG_SG_SG_PmS8_22is_equal_div_10_reduceIiEEE10hipError_tPvRmT2_T3_mT4_T5_T6_T7_T8_P12ihipStream_tbENKUlT_T0_E_clISt17integral_constantIbLb0EES10_IbLb1EEEEDaSW_SX_EUlSW_E_NS1_11comp_targetILNS1_3genE8ELNS1_11target_archE1030ELNS1_3gpuE2ELNS1_3repE0EEENS1_30default_config_static_selectorELNS0_4arch9wavefront6targetE1EEEvT1_
; %bb.0:
	.section	.rodata,"a",@progbits
	.p2align	6, 0x0
	.amdhsa_kernel _ZN7rocprim17ROCPRIM_400000_NS6detail17trampoline_kernelINS0_14default_configENS1_29reduce_by_key_config_selectorIiiN6thrust23THRUST_200600_302600_NS4plusIiEEEEZZNS1_33reduce_by_key_impl_wrapped_configILNS1_25lookback_scan_determinismE0ES3_S9_NS6_6detail15normal_iteratorINS6_10device_ptrIiEEEESG_SG_SG_PmS8_22is_equal_div_10_reduceIiEEE10hipError_tPvRmT2_T3_mT4_T5_T6_T7_T8_P12ihipStream_tbENKUlT_T0_E_clISt17integral_constantIbLb0EES10_IbLb1EEEEDaSW_SX_EUlSW_E_NS1_11comp_targetILNS1_3genE8ELNS1_11target_archE1030ELNS1_3gpuE2ELNS1_3repE0EEENS1_30default_config_static_selectorELNS0_4arch9wavefront6targetE1EEEvT1_
		.amdhsa_group_segment_fixed_size 0
		.amdhsa_private_segment_fixed_size 0
		.amdhsa_kernarg_size 120
		.amdhsa_user_sgpr_count 6
		.amdhsa_user_sgpr_private_segment_buffer 1
		.amdhsa_user_sgpr_dispatch_ptr 0
		.amdhsa_user_sgpr_queue_ptr 0
		.amdhsa_user_sgpr_kernarg_segment_ptr 1
		.amdhsa_user_sgpr_dispatch_id 0
		.amdhsa_user_sgpr_flat_scratch_init 0
		.amdhsa_user_sgpr_kernarg_preload_length 0
		.amdhsa_user_sgpr_kernarg_preload_offset 0
		.amdhsa_user_sgpr_private_segment_size 0
		.amdhsa_uses_dynamic_stack 0
		.amdhsa_system_sgpr_private_segment_wavefront_offset 0
		.amdhsa_system_sgpr_workgroup_id_x 1
		.amdhsa_system_sgpr_workgroup_id_y 0
		.amdhsa_system_sgpr_workgroup_id_z 0
		.amdhsa_system_sgpr_workgroup_info 0
		.amdhsa_system_vgpr_workitem_id 0
		.amdhsa_next_free_vgpr 1
		.amdhsa_next_free_sgpr 0
		.amdhsa_accum_offset 4
		.amdhsa_reserve_vcc 0
		.amdhsa_reserve_flat_scratch 0
		.amdhsa_float_round_mode_32 0
		.amdhsa_float_round_mode_16_64 0
		.amdhsa_float_denorm_mode_32 3
		.amdhsa_float_denorm_mode_16_64 3
		.amdhsa_dx10_clamp 1
		.amdhsa_ieee_mode 1
		.amdhsa_fp16_overflow 0
		.amdhsa_tg_split 0
		.amdhsa_exception_fp_ieee_invalid_op 0
		.amdhsa_exception_fp_denorm_src 0
		.amdhsa_exception_fp_ieee_div_zero 0
		.amdhsa_exception_fp_ieee_overflow 0
		.amdhsa_exception_fp_ieee_underflow 0
		.amdhsa_exception_fp_ieee_inexact 0
		.amdhsa_exception_int_div_zero 0
	.end_amdhsa_kernel
	.section	.text._ZN7rocprim17ROCPRIM_400000_NS6detail17trampoline_kernelINS0_14default_configENS1_29reduce_by_key_config_selectorIiiN6thrust23THRUST_200600_302600_NS4plusIiEEEEZZNS1_33reduce_by_key_impl_wrapped_configILNS1_25lookback_scan_determinismE0ES3_S9_NS6_6detail15normal_iteratorINS6_10device_ptrIiEEEESG_SG_SG_PmS8_22is_equal_div_10_reduceIiEEE10hipError_tPvRmT2_T3_mT4_T5_T6_T7_T8_P12ihipStream_tbENKUlT_T0_E_clISt17integral_constantIbLb0EES10_IbLb1EEEEDaSW_SX_EUlSW_E_NS1_11comp_targetILNS1_3genE8ELNS1_11target_archE1030ELNS1_3gpuE2ELNS1_3repE0EEENS1_30default_config_static_selectorELNS0_4arch9wavefront6targetE1EEEvT1_,"axG",@progbits,_ZN7rocprim17ROCPRIM_400000_NS6detail17trampoline_kernelINS0_14default_configENS1_29reduce_by_key_config_selectorIiiN6thrust23THRUST_200600_302600_NS4plusIiEEEEZZNS1_33reduce_by_key_impl_wrapped_configILNS1_25lookback_scan_determinismE0ES3_S9_NS6_6detail15normal_iteratorINS6_10device_ptrIiEEEESG_SG_SG_PmS8_22is_equal_div_10_reduceIiEEE10hipError_tPvRmT2_T3_mT4_T5_T6_T7_T8_P12ihipStream_tbENKUlT_T0_E_clISt17integral_constantIbLb0EES10_IbLb1EEEEDaSW_SX_EUlSW_E_NS1_11comp_targetILNS1_3genE8ELNS1_11target_archE1030ELNS1_3gpuE2ELNS1_3repE0EEENS1_30default_config_static_selectorELNS0_4arch9wavefront6targetE1EEEvT1_,comdat
.Lfunc_end619:
	.size	_ZN7rocprim17ROCPRIM_400000_NS6detail17trampoline_kernelINS0_14default_configENS1_29reduce_by_key_config_selectorIiiN6thrust23THRUST_200600_302600_NS4plusIiEEEEZZNS1_33reduce_by_key_impl_wrapped_configILNS1_25lookback_scan_determinismE0ES3_S9_NS6_6detail15normal_iteratorINS6_10device_ptrIiEEEESG_SG_SG_PmS8_22is_equal_div_10_reduceIiEEE10hipError_tPvRmT2_T3_mT4_T5_T6_T7_T8_P12ihipStream_tbENKUlT_T0_E_clISt17integral_constantIbLb0EES10_IbLb1EEEEDaSW_SX_EUlSW_E_NS1_11comp_targetILNS1_3genE8ELNS1_11target_archE1030ELNS1_3gpuE2ELNS1_3repE0EEENS1_30default_config_static_selectorELNS0_4arch9wavefront6targetE1EEEvT1_, .Lfunc_end619-_ZN7rocprim17ROCPRIM_400000_NS6detail17trampoline_kernelINS0_14default_configENS1_29reduce_by_key_config_selectorIiiN6thrust23THRUST_200600_302600_NS4plusIiEEEEZZNS1_33reduce_by_key_impl_wrapped_configILNS1_25lookback_scan_determinismE0ES3_S9_NS6_6detail15normal_iteratorINS6_10device_ptrIiEEEESG_SG_SG_PmS8_22is_equal_div_10_reduceIiEEE10hipError_tPvRmT2_T3_mT4_T5_T6_T7_T8_P12ihipStream_tbENKUlT_T0_E_clISt17integral_constantIbLb0EES10_IbLb1EEEEDaSW_SX_EUlSW_E_NS1_11comp_targetILNS1_3genE8ELNS1_11target_archE1030ELNS1_3gpuE2ELNS1_3repE0EEENS1_30default_config_static_selectorELNS0_4arch9wavefront6targetE1EEEvT1_
                                        ; -- End function
	.section	.AMDGPU.csdata,"",@progbits
; Kernel info:
; codeLenInByte = 0
; NumSgprs: 4
; NumVgprs: 0
; NumAgprs: 0
; TotalNumVgprs: 0
; ScratchSize: 0
; MemoryBound: 0
; FloatMode: 240
; IeeeMode: 1
; LDSByteSize: 0 bytes/workgroup (compile time only)
; SGPRBlocks: 0
; VGPRBlocks: 0
; NumSGPRsForWavesPerEU: 4
; NumVGPRsForWavesPerEU: 1
; AccumOffset: 4
; Occupancy: 8
; WaveLimiterHint : 0
; COMPUTE_PGM_RSRC2:SCRATCH_EN: 0
; COMPUTE_PGM_RSRC2:USER_SGPR: 6
; COMPUTE_PGM_RSRC2:TRAP_HANDLER: 0
; COMPUTE_PGM_RSRC2:TGID_X_EN: 1
; COMPUTE_PGM_RSRC2:TGID_Y_EN: 0
; COMPUTE_PGM_RSRC2:TGID_Z_EN: 0
; COMPUTE_PGM_RSRC2:TIDIG_COMP_CNT: 0
; COMPUTE_PGM_RSRC3_GFX90A:ACCUM_OFFSET: 0
; COMPUTE_PGM_RSRC3_GFX90A:TG_SPLIT: 0
	.section	.text._ZN6thrust23THRUST_200600_302600_NS11hip_rocprim14__parallel_for6kernelILj256ENS1_20__uninitialized_fill7functorINS0_10device_ptrIsEEsEEmLj1EEEvT0_T1_SA_,"axG",@progbits,_ZN6thrust23THRUST_200600_302600_NS11hip_rocprim14__parallel_for6kernelILj256ENS1_20__uninitialized_fill7functorINS0_10device_ptrIsEEsEEmLj1EEEvT0_T1_SA_,comdat
	.protected	_ZN6thrust23THRUST_200600_302600_NS11hip_rocprim14__parallel_for6kernelILj256ENS1_20__uninitialized_fill7functorINS0_10device_ptrIsEEsEEmLj1EEEvT0_T1_SA_ ; -- Begin function _ZN6thrust23THRUST_200600_302600_NS11hip_rocprim14__parallel_for6kernelILj256ENS1_20__uninitialized_fill7functorINS0_10device_ptrIsEEsEEmLj1EEEvT0_T1_SA_
	.globl	_ZN6thrust23THRUST_200600_302600_NS11hip_rocprim14__parallel_for6kernelILj256ENS1_20__uninitialized_fill7functorINS0_10device_ptrIsEEsEEmLj1EEEvT0_T1_SA_
	.p2align	8
	.type	_ZN6thrust23THRUST_200600_302600_NS11hip_rocprim14__parallel_for6kernelILj256ENS1_20__uninitialized_fill7functorINS0_10device_ptrIsEEsEEmLj1EEEvT0_T1_SA_,@function
_ZN6thrust23THRUST_200600_302600_NS11hip_rocprim14__parallel_for6kernelILj256ENS1_20__uninitialized_fill7functorINS0_10device_ptrIsEEsEEmLj1EEEvT0_T1_SA_: ; @_ZN6thrust23THRUST_200600_302600_NS11hip_rocprim14__parallel_for6kernelILj256ENS1_20__uninitialized_fill7functorINS0_10device_ptrIsEEsEEmLj1EEEvT0_T1_SA_
; %bb.0:
	s_load_dwordx4 s[8:11], s[4:5], 0x10
	s_lshl_b32 s0, s6, 8
	v_mov_b32_e32 v2, 0x100
	v_mov_b32_e32 v3, 0
	s_waitcnt lgkmcnt(0)
	s_add_u32 s0, s0, s10
	s_addc_u32 s1, 0, s11
	s_sub_u32 s2, s8, s0
	s_subb_u32 s3, s9, s1
	v_cmp_lt_u64_e32 vcc, s[2:3], v[2:3]
	s_cbranch_vccz .LBB620_2
; %bb.1:
	v_cmp_gt_u32_e32 vcc, s2, v0
	s_and_b64 s[2:3], vcc, exec
	s_cbranch_execz .LBB620_3
	s_branch .LBB620_4
.LBB620_2:
	s_mov_b64 s[2:3], 0
.LBB620_3:
	s_or_b64 s[2:3], s[2:3], exec
.LBB620_4:
	s_and_saveexec_b64 s[6:7], s[2:3]
	s_cbranch_execnz .LBB620_6
; %bb.5:
	s_endpgm
.LBB620_6:
	s_load_dwordx2 s[2:3], s[4:5], 0x0
	s_load_dword s6, s[4:5], 0x8
	s_lshl_b64 s[0:1], s[0:1], 1
	v_mov_b32_e32 v1, 0
	v_lshlrev_b64 v[0:1], 1, v[0:1]
	s_waitcnt lgkmcnt(0)
	s_add_u32 s0, s2, s0
	s_addc_u32 s1, s3, s1
	v_mov_b32_e32 v2, s1
	v_add_co_u32_e32 v0, vcc, s0, v0
	v_addc_co_u32_e32 v1, vcc, v2, v1, vcc
	v_mov_b32_e32 v2, s6
	flat_store_short v[0:1], v2
	s_endpgm
	.section	.rodata,"a",@progbits
	.p2align	6, 0x0
	.amdhsa_kernel _ZN6thrust23THRUST_200600_302600_NS11hip_rocprim14__parallel_for6kernelILj256ENS1_20__uninitialized_fill7functorINS0_10device_ptrIsEEsEEmLj1EEEvT0_T1_SA_
		.amdhsa_group_segment_fixed_size 0
		.amdhsa_private_segment_fixed_size 0
		.amdhsa_kernarg_size 32
		.amdhsa_user_sgpr_count 6
		.amdhsa_user_sgpr_private_segment_buffer 1
		.amdhsa_user_sgpr_dispatch_ptr 0
		.amdhsa_user_sgpr_queue_ptr 0
		.amdhsa_user_sgpr_kernarg_segment_ptr 1
		.amdhsa_user_sgpr_dispatch_id 0
		.amdhsa_user_sgpr_flat_scratch_init 0
		.amdhsa_user_sgpr_kernarg_preload_length 0
		.amdhsa_user_sgpr_kernarg_preload_offset 0
		.amdhsa_user_sgpr_private_segment_size 0
		.amdhsa_uses_dynamic_stack 0
		.amdhsa_system_sgpr_private_segment_wavefront_offset 0
		.amdhsa_system_sgpr_workgroup_id_x 1
		.amdhsa_system_sgpr_workgroup_id_y 0
		.amdhsa_system_sgpr_workgroup_id_z 0
		.amdhsa_system_sgpr_workgroup_info 0
		.amdhsa_system_vgpr_workitem_id 0
		.amdhsa_next_free_vgpr 4
		.amdhsa_next_free_sgpr 12
		.amdhsa_accum_offset 4
		.amdhsa_reserve_vcc 1
		.amdhsa_reserve_flat_scratch 0
		.amdhsa_float_round_mode_32 0
		.amdhsa_float_round_mode_16_64 0
		.amdhsa_float_denorm_mode_32 3
		.amdhsa_float_denorm_mode_16_64 3
		.amdhsa_dx10_clamp 1
		.amdhsa_ieee_mode 1
		.amdhsa_fp16_overflow 0
		.amdhsa_tg_split 0
		.amdhsa_exception_fp_ieee_invalid_op 0
		.amdhsa_exception_fp_denorm_src 0
		.amdhsa_exception_fp_ieee_div_zero 0
		.amdhsa_exception_fp_ieee_overflow 0
		.amdhsa_exception_fp_ieee_underflow 0
		.amdhsa_exception_fp_ieee_inexact 0
		.amdhsa_exception_int_div_zero 0
	.end_amdhsa_kernel
	.section	.text._ZN6thrust23THRUST_200600_302600_NS11hip_rocprim14__parallel_for6kernelILj256ENS1_20__uninitialized_fill7functorINS0_10device_ptrIsEEsEEmLj1EEEvT0_T1_SA_,"axG",@progbits,_ZN6thrust23THRUST_200600_302600_NS11hip_rocprim14__parallel_for6kernelILj256ENS1_20__uninitialized_fill7functorINS0_10device_ptrIsEEsEEmLj1EEEvT0_T1_SA_,comdat
.Lfunc_end620:
	.size	_ZN6thrust23THRUST_200600_302600_NS11hip_rocprim14__parallel_for6kernelILj256ENS1_20__uninitialized_fill7functorINS0_10device_ptrIsEEsEEmLj1EEEvT0_T1_SA_, .Lfunc_end620-_ZN6thrust23THRUST_200600_302600_NS11hip_rocprim14__parallel_for6kernelILj256ENS1_20__uninitialized_fill7functorINS0_10device_ptrIsEEsEEmLj1EEEvT0_T1_SA_
                                        ; -- End function
	.section	.AMDGPU.csdata,"",@progbits
; Kernel info:
; codeLenInByte = 160
; NumSgprs: 16
; NumVgprs: 4
; NumAgprs: 0
; TotalNumVgprs: 4
; ScratchSize: 0
; MemoryBound: 0
; FloatMode: 240
; IeeeMode: 1
; LDSByteSize: 0 bytes/workgroup (compile time only)
; SGPRBlocks: 1
; VGPRBlocks: 0
; NumSGPRsForWavesPerEU: 16
; NumVGPRsForWavesPerEU: 4
; AccumOffset: 4
; Occupancy: 8
; WaveLimiterHint : 0
; COMPUTE_PGM_RSRC2:SCRATCH_EN: 0
; COMPUTE_PGM_RSRC2:USER_SGPR: 6
; COMPUTE_PGM_RSRC2:TRAP_HANDLER: 0
; COMPUTE_PGM_RSRC2:TGID_X_EN: 1
; COMPUTE_PGM_RSRC2:TGID_Y_EN: 0
; COMPUTE_PGM_RSRC2:TGID_Z_EN: 0
; COMPUTE_PGM_RSRC2:TIDIG_COMP_CNT: 0
; COMPUTE_PGM_RSRC3_GFX90A:ACCUM_OFFSET: 0
; COMPUTE_PGM_RSRC3_GFX90A:TG_SPLIT: 0
	.section	.text._ZN7rocprim17ROCPRIM_400000_NS6detail25reduce_by_key_init_kernelINS1_19lookback_scan_stateINS0_5tupleIJjsEEELb0ELb1EEEsNS1_16block_id_wrapperIjLb0EEEEEvT_jbjPmPT0_T1_,"axG",@progbits,_ZN7rocprim17ROCPRIM_400000_NS6detail25reduce_by_key_init_kernelINS1_19lookback_scan_stateINS0_5tupleIJjsEEELb0ELb1EEEsNS1_16block_id_wrapperIjLb0EEEEEvT_jbjPmPT0_T1_,comdat
	.protected	_ZN7rocprim17ROCPRIM_400000_NS6detail25reduce_by_key_init_kernelINS1_19lookback_scan_stateINS0_5tupleIJjsEEELb0ELb1EEEsNS1_16block_id_wrapperIjLb0EEEEEvT_jbjPmPT0_T1_ ; -- Begin function _ZN7rocprim17ROCPRIM_400000_NS6detail25reduce_by_key_init_kernelINS1_19lookback_scan_stateINS0_5tupleIJjsEEELb0ELb1EEEsNS1_16block_id_wrapperIjLb0EEEEEvT_jbjPmPT0_T1_
	.globl	_ZN7rocprim17ROCPRIM_400000_NS6detail25reduce_by_key_init_kernelINS1_19lookback_scan_stateINS0_5tupleIJjsEEELb0ELb1EEEsNS1_16block_id_wrapperIjLb0EEEEEvT_jbjPmPT0_T1_
	.p2align	8
	.type	_ZN7rocprim17ROCPRIM_400000_NS6detail25reduce_by_key_init_kernelINS1_19lookback_scan_stateINS0_5tupleIJjsEEELb0ELb1EEEsNS1_16block_id_wrapperIjLb0EEEEEvT_jbjPmPT0_T1_,@function
_ZN7rocprim17ROCPRIM_400000_NS6detail25reduce_by_key_init_kernelINS1_19lookback_scan_stateINS0_5tupleIJjsEEELb0ELb1EEEsNS1_16block_id_wrapperIjLb0EEEEEvT_jbjPmPT0_T1_: ; @_ZN7rocprim17ROCPRIM_400000_NS6detail25reduce_by_key_init_kernelINS1_19lookback_scan_stateINS0_5tupleIJjsEEELb0ELb1EEEsNS1_16block_id_wrapperIjLb0EEEEEvT_jbjPmPT0_T1_
; %bb.0:
	s_load_dwordx8 s[8:15], s[4:5], 0x8
	s_load_dword s2, s[4:5], 0x3c
	s_load_dwordx2 s[0:1], s[4:5], 0x0
	s_waitcnt lgkmcnt(0)
	s_and_b32 s3, s9, 1
	s_and_b32 s2, s2, 0xffff
	s_mul_i32 s6, s6, s2
	s_cmp_eq_u32 s3, 0
	v_add_u32_e32 v0, s6, v0
	s_mov_b64 s[2:3], -1
	s_cbranch_scc1 .LBB621_5
; %bb.1:
	s_andn2_b64 vcc, exec, s[2:3]
	s_cbranch_vccz .LBB621_12
.LBB621_2:
	v_cmp_gt_u32_e32 vcc, s8, v0
	s_and_saveexec_b64 s[2:3], vcc
	s_cbranch_execnz .LBB621_15
.LBB621_3:
	s_or_b64 exec, exec, s[2:3]
	v_cmp_gt_u32_e32 vcc, 64, v0
	s_and_saveexec_b64 s[2:3], vcc
	s_cbranch_execnz .LBB621_16
.LBB621_4:
	s_endpgm
.LBB621_5:
	s_cmp_lt_u32 s10, s8
	s_cselect_b32 s2, s10, 0
	v_cmp_eq_u32_e32 vcc, s2, v0
	s_and_saveexec_b64 s[2:3], vcc
	s_cbranch_execz .LBB621_11
; %bb.6:
	s_add_i32 s4, s10, 64
	s_mov_b32 s5, 0
	s_lshl_b64 s[4:5], s[4:5], 4
	s_add_u32 s10, s0, s4
	s_addc_u32 s11, s1, s5
	v_pk_mov_b32 v[2:3], s[10:11], s[10:11] op_sel:[0,1]
	;;#ASMSTART
	global_load_dwordx4 v[2:5], v[2:3] off glc	
s_waitcnt vmcnt(0)
	;;#ASMEND
	v_mov_b32_e32 v7, 0
	v_and_b32_e32 v6, 0xff, v4
	s_mov_b64 s[6:7], 0
	v_cmp_eq_u64_e32 vcc, 0, v[6:7]
	s_and_saveexec_b64 s[4:5], vcc
	s_cbranch_execz .LBB621_10
; %bb.7:
	v_pk_mov_b32 v[8:9], s[10:11], s[10:11] op_sel:[0,1]
.LBB621_8:                              ; =>This Inner Loop Header: Depth=1
	;;#ASMSTART
	global_load_dwordx4 v[2:5], v[8:9] off glc	
s_waitcnt vmcnt(0)
	;;#ASMEND
	v_and_b32_e32 v6, 0xff, v4
	v_cmp_ne_u64_e32 vcc, 0, v[6:7]
	s_or_b64 s[6:7], vcc, s[6:7]
	s_andn2_b64 exec, exec, s[6:7]
	s_cbranch_execnz .LBB621_8
; %bb.9:
	s_or_b64 exec, exec, s[6:7]
.LBB621_10:
	s_or_b64 exec, exec, s[4:5]
	v_mov_b32_e32 v1, 0
	global_load_dwordx2 v[4:5], v1, s[12:13]
	s_waitcnt vmcnt(0)
	v_add_co_u32_e32 v4, vcc, v4, v2
	v_addc_co_u32_e32 v5, vcc, 0, v5, vcc
	global_store_dwordx2 v1, v[4:5], s[12:13]
	global_store_short v1, v3, s[14:15]
.LBB621_11:
	s_or_b64 exec, exec, s[2:3]
	s_cbranch_execnz .LBB621_2
.LBB621_12:
	s_cmp_lg_u64 s[12:13], 0
	s_cselect_b64 s[2:3], -1, 0
	v_cmp_eq_u32_e32 vcc, 0, v0
	s_and_b64 s[4:5], s[2:3], vcc
	s_and_saveexec_b64 s[2:3], s[4:5]
	s_cbranch_execz .LBB621_14
; %bb.13:
	v_mov_b32_e32 v2, 0
	v_mov_b32_e32 v3, v2
	global_store_dwordx2 v2, v[2:3], s[12:13]
.LBB621_14:
	s_or_b64 exec, exec, s[2:3]
	v_cmp_gt_u32_e32 vcc, s8, v0
	s_and_saveexec_b64 s[2:3], vcc
	s_cbranch_execz .LBB621_3
.LBB621_15:
	v_add_u32_e32 v2, 64, v0
	v_mov_b32_e32 v3, 0
	v_lshlrev_b64 v[4:5], 4, v[2:3]
	v_mov_b32_e32 v1, s1
	v_add_co_u32_e32 v6, vcc, s0, v4
	v_addc_co_u32_e32 v7, vcc, v1, v5, vcc
	v_mov_b32_e32 v2, v3
	v_mov_b32_e32 v4, v3
	v_mov_b32_e32 v5, v3
	global_store_dwordx4 v[6:7], v[2:5], off
	s_or_b64 exec, exec, s[2:3]
	v_cmp_gt_u32_e32 vcc, 64, v0
	s_and_saveexec_b64 s[2:3], vcc
	s_cbranch_execz .LBB621_4
.LBB621_16:
	v_mov_b32_e32 v1, 0
	v_lshlrev_b64 v[2:3], 4, v[0:1]
	v_mov_b32_e32 v0, s1
	v_add_co_u32_e32 v4, vcc, s0, v2
	v_addc_co_u32_e32 v5, vcc, v0, v3, vcc
	v_mov_b32_e32 v2, 0xff
	v_mov_b32_e32 v0, v1
	;; [unrolled: 1-line block ×3, first 2 shown]
	global_store_dwordx4 v[4:5], v[0:3], off
	s_endpgm
	.section	.rodata,"a",@progbits
	.p2align	6, 0x0
	.amdhsa_kernel _ZN7rocprim17ROCPRIM_400000_NS6detail25reduce_by_key_init_kernelINS1_19lookback_scan_stateINS0_5tupleIJjsEEELb0ELb1EEEsNS1_16block_id_wrapperIjLb0EEEEEvT_jbjPmPT0_T1_
		.amdhsa_group_segment_fixed_size 0
		.amdhsa_private_segment_fixed_size 0
		.amdhsa_kernarg_size 304
		.amdhsa_user_sgpr_count 6
		.amdhsa_user_sgpr_private_segment_buffer 1
		.amdhsa_user_sgpr_dispatch_ptr 0
		.amdhsa_user_sgpr_queue_ptr 0
		.amdhsa_user_sgpr_kernarg_segment_ptr 1
		.amdhsa_user_sgpr_dispatch_id 0
		.amdhsa_user_sgpr_flat_scratch_init 0
		.amdhsa_user_sgpr_kernarg_preload_length 0
		.amdhsa_user_sgpr_kernarg_preload_offset 0
		.amdhsa_user_sgpr_private_segment_size 0
		.amdhsa_uses_dynamic_stack 0
		.amdhsa_system_sgpr_private_segment_wavefront_offset 0
		.amdhsa_system_sgpr_workgroup_id_x 1
		.amdhsa_system_sgpr_workgroup_id_y 0
		.amdhsa_system_sgpr_workgroup_id_z 0
		.amdhsa_system_sgpr_workgroup_info 0
		.amdhsa_system_vgpr_workitem_id 0
		.amdhsa_next_free_vgpr 10
		.amdhsa_next_free_sgpr 16
		.amdhsa_accum_offset 12
		.amdhsa_reserve_vcc 1
		.amdhsa_reserve_flat_scratch 0
		.amdhsa_float_round_mode_32 0
		.amdhsa_float_round_mode_16_64 0
		.amdhsa_float_denorm_mode_32 3
		.amdhsa_float_denorm_mode_16_64 3
		.amdhsa_dx10_clamp 1
		.amdhsa_ieee_mode 1
		.amdhsa_fp16_overflow 0
		.amdhsa_tg_split 0
		.amdhsa_exception_fp_ieee_invalid_op 0
		.amdhsa_exception_fp_denorm_src 0
		.amdhsa_exception_fp_ieee_div_zero 0
		.amdhsa_exception_fp_ieee_overflow 0
		.amdhsa_exception_fp_ieee_underflow 0
		.amdhsa_exception_fp_ieee_inexact 0
		.amdhsa_exception_int_div_zero 0
	.end_amdhsa_kernel
	.section	.text._ZN7rocprim17ROCPRIM_400000_NS6detail25reduce_by_key_init_kernelINS1_19lookback_scan_stateINS0_5tupleIJjsEEELb0ELb1EEEsNS1_16block_id_wrapperIjLb0EEEEEvT_jbjPmPT0_T1_,"axG",@progbits,_ZN7rocprim17ROCPRIM_400000_NS6detail25reduce_by_key_init_kernelINS1_19lookback_scan_stateINS0_5tupleIJjsEEELb0ELb1EEEsNS1_16block_id_wrapperIjLb0EEEEEvT_jbjPmPT0_T1_,comdat
.Lfunc_end621:
	.size	_ZN7rocprim17ROCPRIM_400000_NS6detail25reduce_by_key_init_kernelINS1_19lookback_scan_stateINS0_5tupleIJjsEEELb0ELb1EEEsNS1_16block_id_wrapperIjLb0EEEEEvT_jbjPmPT0_T1_, .Lfunc_end621-_ZN7rocprim17ROCPRIM_400000_NS6detail25reduce_by_key_init_kernelINS1_19lookback_scan_stateINS0_5tupleIJjsEEELb0ELb1EEEsNS1_16block_id_wrapperIjLb0EEEEEvT_jbjPmPT0_T1_
                                        ; -- End function
	.section	.AMDGPU.csdata,"",@progbits
; Kernel info:
; codeLenInByte = 468
; NumSgprs: 20
; NumVgprs: 10
; NumAgprs: 0
; TotalNumVgprs: 10
; ScratchSize: 0
; MemoryBound: 0
; FloatMode: 240
; IeeeMode: 1
; LDSByteSize: 0 bytes/workgroup (compile time only)
; SGPRBlocks: 2
; VGPRBlocks: 1
; NumSGPRsForWavesPerEU: 20
; NumVGPRsForWavesPerEU: 10
; AccumOffset: 12
; Occupancy: 8
; WaveLimiterHint : 0
; COMPUTE_PGM_RSRC2:SCRATCH_EN: 0
; COMPUTE_PGM_RSRC2:USER_SGPR: 6
; COMPUTE_PGM_RSRC2:TRAP_HANDLER: 0
; COMPUTE_PGM_RSRC2:TGID_X_EN: 1
; COMPUTE_PGM_RSRC2:TGID_Y_EN: 0
; COMPUTE_PGM_RSRC2:TGID_Z_EN: 0
; COMPUTE_PGM_RSRC2:TIDIG_COMP_CNT: 0
; COMPUTE_PGM_RSRC3_GFX90A:ACCUM_OFFSET: 2
; COMPUTE_PGM_RSRC3_GFX90A:TG_SPLIT: 0
	.section	.text._ZN7rocprim17ROCPRIM_400000_NS6detail17trampoline_kernelINS0_14default_configENS1_29reduce_by_key_config_selectorIssN6thrust23THRUST_200600_302600_NS4plusIsEEEEZZNS1_33reduce_by_key_impl_wrapped_configILNS1_25lookback_scan_determinismE0ES3_S9_NS6_6detail15normal_iteratorINS6_10device_ptrIsEEEESG_SG_SG_PmS8_NS6_8equal_toIsEEEE10hipError_tPvRmT2_T3_mT4_T5_T6_T7_T8_P12ihipStream_tbENKUlT_T0_E_clISt17integral_constantIbLb0EES11_EEDaSW_SX_EUlSW_E_NS1_11comp_targetILNS1_3genE0ELNS1_11target_archE4294967295ELNS1_3gpuE0ELNS1_3repE0EEENS1_30default_config_static_selectorELNS0_4arch9wavefront6targetE1EEEvT1_,"axG",@progbits,_ZN7rocprim17ROCPRIM_400000_NS6detail17trampoline_kernelINS0_14default_configENS1_29reduce_by_key_config_selectorIssN6thrust23THRUST_200600_302600_NS4plusIsEEEEZZNS1_33reduce_by_key_impl_wrapped_configILNS1_25lookback_scan_determinismE0ES3_S9_NS6_6detail15normal_iteratorINS6_10device_ptrIsEEEESG_SG_SG_PmS8_NS6_8equal_toIsEEEE10hipError_tPvRmT2_T3_mT4_T5_T6_T7_T8_P12ihipStream_tbENKUlT_T0_E_clISt17integral_constantIbLb0EES11_EEDaSW_SX_EUlSW_E_NS1_11comp_targetILNS1_3genE0ELNS1_11target_archE4294967295ELNS1_3gpuE0ELNS1_3repE0EEENS1_30default_config_static_selectorELNS0_4arch9wavefront6targetE1EEEvT1_,comdat
	.protected	_ZN7rocprim17ROCPRIM_400000_NS6detail17trampoline_kernelINS0_14default_configENS1_29reduce_by_key_config_selectorIssN6thrust23THRUST_200600_302600_NS4plusIsEEEEZZNS1_33reduce_by_key_impl_wrapped_configILNS1_25lookback_scan_determinismE0ES3_S9_NS6_6detail15normal_iteratorINS6_10device_ptrIsEEEESG_SG_SG_PmS8_NS6_8equal_toIsEEEE10hipError_tPvRmT2_T3_mT4_T5_T6_T7_T8_P12ihipStream_tbENKUlT_T0_E_clISt17integral_constantIbLb0EES11_EEDaSW_SX_EUlSW_E_NS1_11comp_targetILNS1_3genE0ELNS1_11target_archE4294967295ELNS1_3gpuE0ELNS1_3repE0EEENS1_30default_config_static_selectorELNS0_4arch9wavefront6targetE1EEEvT1_ ; -- Begin function _ZN7rocprim17ROCPRIM_400000_NS6detail17trampoline_kernelINS0_14default_configENS1_29reduce_by_key_config_selectorIssN6thrust23THRUST_200600_302600_NS4plusIsEEEEZZNS1_33reduce_by_key_impl_wrapped_configILNS1_25lookback_scan_determinismE0ES3_S9_NS6_6detail15normal_iteratorINS6_10device_ptrIsEEEESG_SG_SG_PmS8_NS6_8equal_toIsEEEE10hipError_tPvRmT2_T3_mT4_T5_T6_T7_T8_P12ihipStream_tbENKUlT_T0_E_clISt17integral_constantIbLb0EES11_EEDaSW_SX_EUlSW_E_NS1_11comp_targetILNS1_3genE0ELNS1_11target_archE4294967295ELNS1_3gpuE0ELNS1_3repE0EEENS1_30default_config_static_selectorELNS0_4arch9wavefront6targetE1EEEvT1_
	.globl	_ZN7rocprim17ROCPRIM_400000_NS6detail17trampoline_kernelINS0_14default_configENS1_29reduce_by_key_config_selectorIssN6thrust23THRUST_200600_302600_NS4plusIsEEEEZZNS1_33reduce_by_key_impl_wrapped_configILNS1_25lookback_scan_determinismE0ES3_S9_NS6_6detail15normal_iteratorINS6_10device_ptrIsEEEESG_SG_SG_PmS8_NS6_8equal_toIsEEEE10hipError_tPvRmT2_T3_mT4_T5_T6_T7_T8_P12ihipStream_tbENKUlT_T0_E_clISt17integral_constantIbLb0EES11_EEDaSW_SX_EUlSW_E_NS1_11comp_targetILNS1_3genE0ELNS1_11target_archE4294967295ELNS1_3gpuE0ELNS1_3repE0EEENS1_30default_config_static_selectorELNS0_4arch9wavefront6targetE1EEEvT1_
	.p2align	8
	.type	_ZN7rocprim17ROCPRIM_400000_NS6detail17trampoline_kernelINS0_14default_configENS1_29reduce_by_key_config_selectorIssN6thrust23THRUST_200600_302600_NS4plusIsEEEEZZNS1_33reduce_by_key_impl_wrapped_configILNS1_25lookback_scan_determinismE0ES3_S9_NS6_6detail15normal_iteratorINS6_10device_ptrIsEEEESG_SG_SG_PmS8_NS6_8equal_toIsEEEE10hipError_tPvRmT2_T3_mT4_T5_T6_T7_T8_P12ihipStream_tbENKUlT_T0_E_clISt17integral_constantIbLb0EES11_EEDaSW_SX_EUlSW_E_NS1_11comp_targetILNS1_3genE0ELNS1_11target_archE4294967295ELNS1_3gpuE0ELNS1_3repE0EEENS1_30default_config_static_selectorELNS0_4arch9wavefront6targetE1EEEvT1_,@function
_ZN7rocprim17ROCPRIM_400000_NS6detail17trampoline_kernelINS0_14default_configENS1_29reduce_by_key_config_selectorIssN6thrust23THRUST_200600_302600_NS4plusIsEEEEZZNS1_33reduce_by_key_impl_wrapped_configILNS1_25lookback_scan_determinismE0ES3_S9_NS6_6detail15normal_iteratorINS6_10device_ptrIsEEEESG_SG_SG_PmS8_NS6_8equal_toIsEEEE10hipError_tPvRmT2_T3_mT4_T5_T6_T7_T8_P12ihipStream_tbENKUlT_T0_E_clISt17integral_constantIbLb0EES11_EEDaSW_SX_EUlSW_E_NS1_11comp_targetILNS1_3genE0ELNS1_11target_archE4294967295ELNS1_3gpuE0ELNS1_3repE0EEENS1_30default_config_static_selectorELNS0_4arch9wavefront6targetE1EEEvT1_: ; @_ZN7rocprim17ROCPRIM_400000_NS6detail17trampoline_kernelINS0_14default_configENS1_29reduce_by_key_config_selectorIssN6thrust23THRUST_200600_302600_NS4plusIsEEEEZZNS1_33reduce_by_key_impl_wrapped_configILNS1_25lookback_scan_determinismE0ES3_S9_NS6_6detail15normal_iteratorINS6_10device_ptrIsEEEESG_SG_SG_PmS8_NS6_8equal_toIsEEEE10hipError_tPvRmT2_T3_mT4_T5_T6_T7_T8_P12ihipStream_tbENKUlT_T0_E_clISt17integral_constantIbLb0EES11_EEDaSW_SX_EUlSW_E_NS1_11comp_targetILNS1_3genE0ELNS1_11target_archE4294967295ELNS1_3gpuE0ELNS1_3repE0EEENS1_30default_config_static_selectorELNS0_4arch9wavefront6targetE1EEEvT1_
; %bb.0:
	.section	.rodata,"a",@progbits
	.p2align	6, 0x0
	.amdhsa_kernel _ZN7rocprim17ROCPRIM_400000_NS6detail17trampoline_kernelINS0_14default_configENS1_29reduce_by_key_config_selectorIssN6thrust23THRUST_200600_302600_NS4plusIsEEEEZZNS1_33reduce_by_key_impl_wrapped_configILNS1_25lookback_scan_determinismE0ES3_S9_NS6_6detail15normal_iteratorINS6_10device_ptrIsEEEESG_SG_SG_PmS8_NS6_8equal_toIsEEEE10hipError_tPvRmT2_T3_mT4_T5_T6_T7_T8_P12ihipStream_tbENKUlT_T0_E_clISt17integral_constantIbLb0EES11_EEDaSW_SX_EUlSW_E_NS1_11comp_targetILNS1_3genE0ELNS1_11target_archE4294967295ELNS1_3gpuE0ELNS1_3repE0EEENS1_30default_config_static_selectorELNS0_4arch9wavefront6targetE1EEEvT1_
		.amdhsa_group_segment_fixed_size 0
		.amdhsa_private_segment_fixed_size 0
		.amdhsa_kernarg_size 120
		.amdhsa_user_sgpr_count 6
		.amdhsa_user_sgpr_private_segment_buffer 1
		.amdhsa_user_sgpr_dispatch_ptr 0
		.amdhsa_user_sgpr_queue_ptr 0
		.amdhsa_user_sgpr_kernarg_segment_ptr 1
		.amdhsa_user_sgpr_dispatch_id 0
		.amdhsa_user_sgpr_flat_scratch_init 0
		.amdhsa_user_sgpr_kernarg_preload_length 0
		.amdhsa_user_sgpr_kernarg_preload_offset 0
		.amdhsa_user_sgpr_private_segment_size 0
		.amdhsa_uses_dynamic_stack 0
		.amdhsa_system_sgpr_private_segment_wavefront_offset 0
		.amdhsa_system_sgpr_workgroup_id_x 1
		.amdhsa_system_sgpr_workgroup_id_y 0
		.amdhsa_system_sgpr_workgroup_id_z 0
		.amdhsa_system_sgpr_workgroup_info 0
		.amdhsa_system_vgpr_workitem_id 0
		.amdhsa_next_free_vgpr 1
		.amdhsa_next_free_sgpr 0
		.amdhsa_accum_offset 4
		.amdhsa_reserve_vcc 0
		.amdhsa_reserve_flat_scratch 0
		.amdhsa_float_round_mode_32 0
		.amdhsa_float_round_mode_16_64 0
		.amdhsa_float_denorm_mode_32 3
		.amdhsa_float_denorm_mode_16_64 3
		.amdhsa_dx10_clamp 1
		.amdhsa_ieee_mode 1
		.amdhsa_fp16_overflow 0
		.amdhsa_tg_split 0
		.amdhsa_exception_fp_ieee_invalid_op 0
		.amdhsa_exception_fp_denorm_src 0
		.amdhsa_exception_fp_ieee_div_zero 0
		.amdhsa_exception_fp_ieee_overflow 0
		.amdhsa_exception_fp_ieee_underflow 0
		.amdhsa_exception_fp_ieee_inexact 0
		.amdhsa_exception_int_div_zero 0
	.end_amdhsa_kernel
	.section	.text._ZN7rocprim17ROCPRIM_400000_NS6detail17trampoline_kernelINS0_14default_configENS1_29reduce_by_key_config_selectorIssN6thrust23THRUST_200600_302600_NS4plusIsEEEEZZNS1_33reduce_by_key_impl_wrapped_configILNS1_25lookback_scan_determinismE0ES3_S9_NS6_6detail15normal_iteratorINS6_10device_ptrIsEEEESG_SG_SG_PmS8_NS6_8equal_toIsEEEE10hipError_tPvRmT2_T3_mT4_T5_T6_T7_T8_P12ihipStream_tbENKUlT_T0_E_clISt17integral_constantIbLb0EES11_EEDaSW_SX_EUlSW_E_NS1_11comp_targetILNS1_3genE0ELNS1_11target_archE4294967295ELNS1_3gpuE0ELNS1_3repE0EEENS1_30default_config_static_selectorELNS0_4arch9wavefront6targetE1EEEvT1_,"axG",@progbits,_ZN7rocprim17ROCPRIM_400000_NS6detail17trampoline_kernelINS0_14default_configENS1_29reduce_by_key_config_selectorIssN6thrust23THRUST_200600_302600_NS4plusIsEEEEZZNS1_33reduce_by_key_impl_wrapped_configILNS1_25lookback_scan_determinismE0ES3_S9_NS6_6detail15normal_iteratorINS6_10device_ptrIsEEEESG_SG_SG_PmS8_NS6_8equal_toIsEEEE10hipError_tPvRmT2_T3_mT4_T5_T6_T7_T8_P12ihipStream_tbENKUlT_T0_E_clISt17integral_constantIbLb0EES11_EEDaSW_SX_EUlSW_E_NS1_11comp_targetILNS1_3genE0ELNS1_11target_archE4294967295ELNS1_3gpuE0ELNS1_3repE0EEENS1_30default_config_static_selectorELNS0_4arch9wavefront6targetE1EEEvT1_,comdat
.Lfunc_end622:
	.size	_ZN7rocprim17ROCPRIM_400000_NS6detail17trampoline_kernelINS0_14default_configENS1_29reduce_by_key_config_selectorIssN6thrust23THRUST_200600_302600_NS4plusIsEEEEZZNS1_33reduce_by_key_impl_wrapped_configILNS1_25lookback_scan_determinismE0ES3_S9_NS6_6detail15normal_iteratorINS6_10device_ptrIsEEEESG_SG_SG_PmS8_NS6_8equal_toIsEEEE10hipError_tPvRmT2_T3_mT4_T5_T6_T7_T8_P12ihipStream_tbENKUlT_T0_E_clISt17integral_constantIbLb0EES11_EEDaSW_SX_EUlSW_E_NS1_11comp_targetILNS1_3genE0ELNS1_11target_archE4294967295ELNS1_3gpuE0ELNS1_3repE0EEENS1_30default_config_static_selectorELNS0_4arch9wavefront6targetE1EEEvT1_, .Lfunc_end622-_ZN7rocprim17ROCPRIM_400000_NS6detail17trampoline_kernelINS0_14default_configENS1_29reduce_by_key_config_selectorIssN6thrust23THRUST_200600_302600_NS4plusIsEEEEZZNS1_33reduce_by_key_impl_wrapped_configILNS1_25lookback_scan_determinismE0ES3_S9_NS6_6detail15normal_iteratorINS6_10device_ptrIsEEEESG_SG_SG_PmS8_NS6_8equal_toIsEEEE10hipError_tPvRmT2_T3_mT4_T5_T6_T7_T8_P12ihipStream_tbENKUlT_T0_E_clISt17integral_constantIbLb0EES11_EEDaSW_SX_EUlSW_E_NS1_11comp_targetILNS1_3genE0ELNS1_11target_archE4294967295ELNS1_3gpuE0ELNS1_3repE0EEENS1_30default_config_static_selectorELNS0_4arch9wavefront6targetE1EEEvT1_
                                        ; -- End function
	.section	.AMDGPU.csdata,"",@progbits
; Kernel info:
; codeLenInByte = 0
; NumSgprs: 4
; NumVgprs: 0
; NumAgprs: 0
; TotalNumVgprs: 0
; ScratchSize: 0
; MemoryBound: 0
; FloatMode: 240
; IeeeMode: 1
; LDSByteSize: 0 bytes/workgroup (compile time only)
; SGPRBlocks: 0
; VGPRBlocks: 0
; NumSGPRsForWavesPerEU: 4
; NumVGPRsForWavesPerEU: 1
; AccumOffset: 4
; Occupancy: 8
; WaveLimiterHint : 0
; COMPUTE_PGM_RSRC2:SCRATCH_EN: 0
; COMPUTE_PGM_RSRC2:USER_SGPR: 6
; COMPUTE_PGM_RSRC2:TRAP_HANDLER: 0
; COMPUTE_PGM_RSRC2:TGID_X_EN: 1
; COMPUTE_PGM_RSRC2:TGID_Y_EN: 0
; COMPUTE_PGM_RSRC2:TGID_Z_EN: 0
; COMPUTE_PGM_RSRC2:TIDIG_COMP_CNT: 0
; COMPUTE_PGM_RSRC3_GFX90A:ACCUM_OFFSET: 0
; COMPUTE_PGM_RSRC3_GFX90A:TG_SPLIT: 0
	.section	.text._ZN7rocprim17ROCPRIM_400000_NS6detail17trampoline_kernelINS0_14default_configENS1_29reduce_by_key_config_selectorIssN6thrust23THRUST_200600_302600_NS4plusIsEEEEZZNS1_33reduce_by_key_impl_wrapped_configILNS1_25lookback_scan_determinismE0ES3_S9_NS6_6detail15normal_iteratorINS6_10device_ptrIsEEEESG_SG_SG_PmS8_NS6_8equal_toIsEEEE10hipError_tPvRmT2_T3_mT4_T5_T6_T7_T8_P12ihipStream_tbENKUlT_T0_E_clISt17integral_constantIbLb0EES11_EEDaSW_SX_EUlSW_E_NS1_11comp_targetILNS1_3genE5ELNS1_11target_archE942ELNS1_3gpuE9ELNS1_3repE0EEENS1_30default_config_static_selectorELNS0_4arch9wavefront6targetE1EEEvT1_,"axG",@progbits,_ZN7rocprim17ROCPRIM_400000_NS6detail17trampoline_kernelINS0_14default_configENS1_29reduce_by_key_config_selectorIssN6thrust23THRUST_200600_302600_NS4plusIsEEEEZZNS1_33reduce_by_key_impl_wrapped_configILNS1_25lookback_scan_determinismE0ES3_S9_NS6_6detail15normal_iteratorINS6_10device_ptrIsEEEESG_SG_SG_PmS8_NS6_8equal_toIsEEEE10hipError_tPvRmT2_T3_mT4_T5_T6_T7_T8_P12ihipStream_tbENKUlT_T0_E_clISt17integral_constantIbLb0EES11_EEDaSW_SX_EUlSW_E_NS1_11comp_targetILNS1_3genE5ELNS1_11target_archE942ELNS1_3gpuE9ELNS1_3repE0EEENS1_30default_config_static_selectorELNS0_4arch9wavefront6targetE1EEEvT1_,comdat
	.protected	_ZN7rocprim17ROCPRIM_400000_NS6detail17trampoline_kernelINS0_14default_configENS1_29reduce_by_key_config_selectorIssN6thrust23THRUST_200600_302600_NS4plusIsEEEEZZNS1_33reduce_by_key_impl_wrapped_configILNS1_25lookback_scan_determinismE0ES3_S9_NS6_6detail15normal_iteratorINS6_10device_ptrIsEEEESG_SG_SG_PmS8_NS6_8equal_toIsEEEE10hipError_tPvRmT2_T3_mT4_T5_T6_T7_T8_P12ihipStream_tbENKUlT_T0_E_clISt17integral_constantIbLb0EES11_EEDaSW_SX_EUlSW_E_NS1_11comp_targetILNS1_3genE5ELNS1_11target_archE942ELNS1_3gpuE9ELNS1_3repE0EEENS1_30default_config_static_selectorELNS0_4arch9wavefront6targetE1EEEvT1_ ; -- Begin function _ZN7rocprim17ROCPRIM_400000_NS6detail17trampoline_kernelINS0_14default_configENS1_29reduce_by_key_config_selectorIssN6thrust23THRUST_200600_302600_NS4plusIsEEEEZZNS1_33reduce_by_key_impl_wrapped_configILNS1_25lookback_scan_determinismE0ES3_S9_NS6_6detail15normal_iteratorINS6_10device_ptrIsEEEESG_SG_SG_PmS8_NS6_8equal_toIsEEEE10hipError_tPvRmT2_T3_mT4_T5_T6_T7_T8_P12ihipStream_tbENKUlT_T0_E_clISt17integral_constantIbLb0EES11_EEDaSW_SX_EUlSW_E_NS1_11comp_targetILNS1_3genE5ELNS1_11target_archE942ELNS1_3gpuE9ELNS1_3repE0EEENS1_30default_config_static_selectorELNS0_4arch9wavefront6targetE1EEEvT1_
	.globl	_ZN7rocprim17ROCPRIM_400000_NS6detail17trampoline_kernelINS0_14default_configENS1_29reduce_by_key_config_selectorIssN6thrust23THRUST_200600_302600_NS4plusIsEEEEZZNS1_33reduce_by_key_impl_wrapped_configILNS1_25lookback_scan_determinismE0ES3_S9_NS6_6detail15normal_iteratorINS6_10device_ptrIsEEEESG_SG_SG_PmS8_NS6_8equal_toIsEEEE10hipError_tPvRmT2_T3_mT4_T5_T6_T7_T8_P12ihipStream_tbENKUlT_T0_E_clISt17integral_constantIbLb0EES11_EEDaSW_SX_EUlSW_E_NS1_11comp_targetILNS1_3genE5ELNS1_11target_archE942ELNS1_3gpuE9ELNS1_3repE0EEENS1_30default_config_static_selectorELNS0_4arch9wavefront6targetE1EEEvT1_
	.p2align	8
	.type	_ZN7rocprim17ROCPRIM_400000_NS6detail17trampoline_kernelINS0_14default_configENS1_29reduce_by_key_config_selectorIssN6thrust23THRUST_200600_302600_NS4plusIsEEEEZZNS1_33reduce_by_key_impl_wrapped_configILNS1_25lookback_scan_determinismE0ES3_S9_NS6_6detail15normal_iteratorINS6_10device_ptrIsEEEESG_SG_SG_PmS8_NS6_8equal_toIsEEEE10hipError_tPvRmT2_T3_mT4_T5_T6_T7_T8_P12ihipStream_tbENKUlT_T0_E_clISt17integral_constantIbLb0EES11_EEDaSW_SX_EUlSW_E_NS1_11comp_targetILNS1_3genE5ELNS1_11target_archE942ELNS1_3gpuE9ELNS1_3repE0EEENS1_30default_config_static_selectorELNS0_4arch9wavefront6targetE1EEEvT1_,@function
_ZN7rocprim17ROCPRIM_400000_NS6detail17trampoline_kernelINS0_14default_configENS1_29reduce_by_key_config_selectorIssN6thrust23THRUST_200600_302600_NS4plusIsEEEEZZNS1_33reduce_by_key_impl_wrapped_configILNS1_25lookback_scan_determinismE0ES3_S9_NS6_6detail15normal_iteratorINS6_10device_ptrIsEEEESG_SG_SG_PmS8_NS6_8equal_toIsEEEE10hipError_tPvRmT2_T3_mT4_T5_T6_T7_T8_P12ihipStream_tbENKUlT_T0_E_clISt17integral_constantIbLb0EES11_EEDaSW_SX_EUlSW_E_NS1_11comp_targetILNS1_3genE5ELNS1_11target_archE942ELNS1_3gpuE9ELNS1_3repE0EEENS1_30default_config_static_selectorELNS0_4arch9wavefront6targetE1EEEvT1_: ; @_ZN7rocprim17ROCPRIM_400000_NS6detail17trampoline_kernelINS0_14default_configENS1_29reduce_by_key_config_selectorIssN6thrust23THRUST_200600_302600_NS4plusIsEEEEZZNS1_33reduce_by_key_impl_wrapped_configILNS1_25lookback_scan_determinismE0ES3_S9_NS6_6detail15normal_iteratorINS6_10device_ptrIsEEEESG_SG_SG_PmS8_NS6_8equal_toIsEEEE10hipError_tPvRmT2_T3_mT4_T5_T6_T7_T8_P12ihipStream_tbENKUlT_T0_E_clISt17integral_constantIbLb0EES11_EEDaSW_SX_EUlSW_E_NS1_11comp_targetILNS1_3genE5ELNS1_11target_archE942ELNS1_3gpuE9ELNS1_3repE0EEENS1_30default_config_static_selectorELNS0_4arch9wavefront6targetE1EEEvT1_
; %bb.0:
	.section	.rodata,"a",@progbits
	.p2align	6, 0x0
	.amdhsa_kernel _ZN7rocprim17ROCPRIM_400000_NS6detail17trampoline_kernelINS0_14default_configENS1_29reduce_by_key_config_selectorIssN6thrust23THRUST_200600_302600_NS4plusIsEEEEZZNS1_33reduce_by_key_impl_wrapped_configILNS1_25lookback_scan_determinismE0ES3_S9_NS6_6detail15normal_iteratorINS6_10device_ptrIsEEEESG_SG_SG_PmS8_NS6_8equal_toIsEEEE10hipError_tPvRmT2_T3_mT4_T5_T6_T7_T8_P12ihipStream_tbENKUlT_T0_E_clISt17integral_constantIbLb0EES11_EEDaSW_SX_EUlSW_E_NS1_11comp_targetILNS1_3genE5ELNS1_11target_archE942ELNS1_3gpuE9ELNS1_3repE0EEENS1_30default_config_static_selectorELNS0_4arch9wavefront6targetE1EEEvT1_
		.amdhsa_group_segment_fixed_size 0
		.amdhsa_private_segment_fixed_size 0
		.amdhsa_kernarg_size 120
		.amdhsa_user_sgpr_count 6
		.amdhsa_user_sgpr_private_segment_buffer 1
		.amdhsa_user_sgpr_dispatch_ptr 0
		.amdhsa_user_sgpr_queue_ptr 0
		.amdhsa_user_sgpr_kernarg_segment_ptr 1
		.amdhsa_user_sgpr_dispatch_id 0
		.amdhsa_user_sgpr_flat_scratch_init 0
		.amdhsa_user_sgpr_kernarg_preload_length 0
		.amdhsa_user_sgpr_kernarg_preload_offset 0
		.amdhsa_user_sgpr_private_segment_size 0
		.amdhsa_uses_dynamic_stack 0
		.amdhsa_system_sgpr_private_segment_wavefront_offset 0
		.amdhsa_system_sgpr_workgroup_id_x 1
		.amdhsa_system_sgpr_workgroup_id_y 0
		.amdhsa_system_sgpr_workgroup_id_z 0
		.amdhsa_system_sgpr_workgroup_info 0
		.amdhsa_system_vgpr_workitem_id 0
		.amdhsa_next_free_vgpr 1
		.amdhsa_next_free_sgpr 0
		.amdhsa_accum_offset 4
		.amdhsa_reserve_vcc 0
		.amdhsa_reserve_flat_scratch 0
		.amdhsa_float_round_mode_32 0
		.amdhsa_float_round_mode_16_64 0
		.amdhsa_float_denorm_mode_32 3
		.amdhsa_float_denorm_mode_16_64 3
		.amdhsa_dx10_clamp 1
		.amdhsa_ieee_mode 1
		.amdhsa_fp16_overflow 0
		.amdhsa_tg_split 0
		.amdhsa_exception_fp_ieee_invalid_op 0
		.amdhsa_exception_fp_denorm_src 0
		.amdhsa_exception_fp_ieee_div_zero 0
		.amdhsa_exception_fp_ieee_overflow 0
		.amdhsa_exception_fp_ieee_underflow 0
		.amdhsa_exception_fp_ieee_inexact 0
		.amdhsa_exception_int_div_zero 0
	.end_amdhsa_kernel
	.section	.text._ZN7rocprim17ROCPRIM_400000_NS6detail17trampoline_kernelINS0_14default_configENS1_29reduce_by_key_config_selectorIssN6thrust23THRUST_200600_302600_NS4plusIsEEEEZZNS1_33reduce_by_key_impl_wrapped_configILNS1_25lookback_scan_determinismE0ES3_S9_NS6_6detail15normal_iteratorINS6_10device_ptrIsEEEESG_SG_SG_PmS8_NS6_8equal_toIsEEEE10hipError_tPvRmT2_T3_mT4_T5_T6_T7_T8_P12ihipStream_tbENKUlT_T0_E_clISt17integral_constantIbLb0EES11_EEDaSW_SX_EUlSW_E_NS1_11comp_targetILNS1_3genE5ELNS1_11target_archE942ELNS1_3gpuE9ELNS1_3repE0EEENS1_30default_config_static_selectorELNS0_4arch9wavefront6targetE1EEEvT1_,"axG",@progbits,_ZN7rocprim17ROCPRIM_400000_NS6detail17trampoline_kernelINS0_14default_configENS1_29reduce_by_key_config_selectorIssN6thrust23THRUST_200600_302600_NS4plusIsEEEEZZNS1_33reduce_by_key_impl_wrapped_configILNS1_25lookback_scan_determinismE0ES3_S9_NS6_6detail15normal_iteratorINS6_10device_ptrIsEEEESG_SG_SG_PmS8_NS6_8equal_toIsEEEE10hipError_tPvRmT2_T3_mT4_T5_T6_T7_T8_P12ihipStream_tbENKUlT_T0_E_clISt17integral_constantIbLb0EES11_EEDaSW_SX_EUlSW_E_NS1_11comp_targetILNS1_3genE5ELNS1_11target_archE942ELNS1_3gpuE9ELNS1_3repE0EEENS1_30default_config_static_selectorELNS0_4arch9wavefront6targetE1EEEvT1_,comdat
.Lfunc_end623:
	.size	_ZN7rocprim17ROCPRIM_400000_NS6detail17trampoline_kernelINS0_14default_configENS1_29reduce_by_key_config_selectorIssN6thrust23THRUST_200600_302600_NS4plusIsEEEEZZNS1_33reduce_by_key_impl_wrapped_configILNS1_25lookback_scan_determinismE0ES3_S9_NS6_6detail15normal_iteratorINS6_10device_ptrIsEEEESG_SG_SG_PmS8_NS6_8equal_toIsEEEE10hipError_tPvRmT2_T3_mT4_T5_T6_T7_T8_P12ihipStream_tbENKUlT_T0_E_clISt17integral_constantIbLb0EES11_EEDaSW_SX_EUlSW_E_NS1_11comp_targetILNS1_3genE5ELNS1_11target_archE942ELNS1_3gpuE9ELNS1_3repE0EEENS1_30default_config_static_selectorELNS0_4arch9wavefront6targetE1EEEvT1_, .Lfunc_end623-_ZN7rocprim17ROCPRIM_400000_NS6detail17trampoline_kernelINS0_14default_configENS1_29reduce_by_key_config_selectorIssN6thrust23THRUST_200600_302600_NS4plusIsEEEEZZNS1_33reduce_by_key_impl_wrapped_configILNS1_25lookback_scan_determinismE0ES3_S9_NS6_6detail15normal_iteratorINS6_10device_ptrIsEEEESG_SG_SG_PmS8_NS6_8equal_toIsEEEE10hipError_tPvRmT2_T3_mT4_T5_T6_T7_T8_P12ihipStream_tbENKUlT_T0_E_clISt17integral_constantIbLb0EES11_EEDaSW_SX_EUlSW_E_NS1_11comp_targetILNS1_3genE5ELNS1_11target_archE942ELNS1_3gpuE9ELNS1_3repE0EEENS1_30default_config_static_selectorELNS0_4arch9wavefront6targetE1EEEvT1_
                                        ; -- End function
	.section	.AMDGPU.csdata,"",@progbits
; Kernel info:
; codeLenInByte = 0
; NumSgprs: 4
; NumVgprs: 0
; NumAgprs: 0
; TotalNumVgprs: 0
; ScratchSize: 0
; MemoryBound: 0
; FloatMode: 240
; IeeeMode: 1
; LDSByteSize: 0 bytes/workgroup (compile time only)
; SGPRBlocks: 0
; VGPRBlocks: 0
; NumSGPRsForWavesPerEU: 4
; NumVGPRsForWavesPerEU: 1
; AccumOffset: 4
; Occupancy: 8
; WaveLimiterHint : 0
; COMPUTE_PGM_RSRC2:SCRATCH_EN: 0
; COMPUTE_PGM_RSRC2:USER_SGPR: 6
; COMPUTE_PGM_RSRC2:TRAP_HANDLER: 0
; COMPUTE_PGM_RSRC2:TGID_X_EN: 1
; COMPUTE_PGM_RSRC2:TGID_Y_EN: 0
; COMPUTE_PGM_RSRC2:TGID_Z_EN: 0
; COMPUTE_PGM_RSRC2:TIDIG_COMP_CNT: 0
; COMPUTE_PGM_RSRC3_GFX90A:ACCUM_OFFSET: 0
; COMPUTE_PGM_RSRC3_GFX90A:TG_SPLIT: 0
	.section	.text._ZN7rocprim17ROCPRIM_400000_NS6detail17trampoline_kernelINS0_14default_configENS1_29reduce_by_key_config_selectorIssN6thrust23THRUST_200600_302600_NS4plusIsEEEEZZNS1_33reduce_by_key_impl_wrapped_configILNS1_25lookback_scan_determinismE0ES3_S9_NS6_6detail15normal_iteratorINS6_10device_ptrIsEEEESG_SG_SG_PmS8_NS6_8equal_toIsEEEE10hipError_tPvRmT2_T3_mT4_T5_T6_T7_T8_P12ihipStream_tbENKUlT_T0_E_clISt17integral_constantIbLb0EES11_EEDaSW_SX_EUlSW_E_NS1_11comp_targetILNS1_3genE4ELNS1_11target_archE910ELNS1_3gpuE8ELNS1_3repE0EEENS1_30default_config_static_selectorELNS0_4arch9wavefront6targetE1EEEvT1_,"axG",@progbits,_ZN7rocprim17ROCPRIM_400000_NS6detail17trampoline_kernelINS0_14default_configENS1_29reduce_by_key_config_selectorIssN6thrust23THRUST_200600_302600_NS4plusIsEEEEZZNS1_33reduce_by_key_impl_wrapped_configILNS1_25lookback_scan_determinismE0ES3_S9_NS6_6detail15normal_iteratorINS6_10device_ptrIsEEEESG_SG_SG_PmS8_NS6_8equal_toIsEEEE10hipError_tPvRmT2_T3_mT4_T5_T6_T7_T8_P12ihipStream_tbENKUlT_T0_E_clISt17integral_constantIbLb0EES11_EEDaSW_SX_EUlSW_E_NS1_11comp_targetILNS1_3genE4ELNS1_11target_archE910ELNS1_3gpuE8ELNS1_3repE0EEENS1_30default_config_static_selectorELNS0_4arch9wavefront6targetE1EEEvT1_,comdat
	.protected	_ZN7rocprim17ROCPRIM_400000_NS6detail17trampoline_kernelINS0_14default_configENS1_29reduce_by_key_config_selectorIssN6thrust23THRUST_200600_302600_NS4plusIsEEEEZZNS1_33reduce_by_key_impl_wrapped_configILNS1_25lookback_scan_determinismE0ES3_S9_NS6_6detail15normal_iteratorINS6_10device_ptrIsEEEESG_SG_SG_PmS8_NS6_8equal_toIsEEEE10hipError_tPvRmT2_T3_mT4_T5_T6_T7_T8_P12ihipStream_tbENKUlT_T0_E_clISt17integral_constantIbLb0EES11_EEDaSW_SX_EUlSW_E_NS1_11comp_targetILNS1_3genE4ELNS1_11target_archE910ELNS1_3gpuE8ELNS1_3repE0EEENS1_30default_config_static_selectorELNS0_4arch9wavefront6targetE1EEEvT1_ ; -- Begin function _ZN7rocprim17ROCPRIM_400000_NS6detail17trampoline_kernelINS0_14default_configENS1_29reduce_by_key_config_selectorIssN6thrust23THRUST_200600_302600_NS4plusIsEEEEZZNS1_33reduce_by_key_impl_wrapped_configILNS1_25lookback_scan_determinismE0ES3_S9_NS6_6detail15normal_iteratorINS6_10device_ptrIsEEEESG_SG_SG_PmS8_NS6_8equal_toIsEEEE10hipError_tPvRmT2_T3_mT4_T5_T6_T7_T8_P12ihipStream_tbENKUlT_T0_E_clISt17integral_constantIbLb0EES11_EEDaSW_SX_EUlSW_E_NS1_11comp_targetILNS1_3genE4ELNS1_11target_archE910ELNS1_3gpuE8ELNS1_3repE0EEENS1_30default_config_static_selectorELNS0_4arch9wavefront6targetE1EEEvT1_
	.globl	_ZN7rocprim17ROCPRIM_400000_NS6detail17trampoline_kernelINS0_14default_configENS1_29reduce_by_key_config_selectorIssN6thrust23THRUST_200600_302600_NS4plusIsEEEEZZNS1_33reduce_by_key_impl_wrapped_configILNS1_25lookback_scan_determinismE0ES3_S9_NS6_6detail15normal_iteratorINS6_10device_ptrIsEEEESG_SG_SG_PmS8_NS6_8equal_toIsEEEE10hipError_tPvRmT2_T3_mT4_T5_T6_T7_T8_P12ihipStream_tbENKUlT_T0_E_clISt17integral_constantIbLb0EES11_EEDaSW_SX_EUlSW_E_NS1_11comp_targetILNS1_3genE4ELNS1_11target_archE910ELNS1_3gpuE8ELNS1_3repE0EEENS1_30default_config_static_selectorELNS0_4arch9wavefront6targetE1EEEvT1_
	.p2align	8
	.type	_ZN7rocprim17ROCPRIM_400000_NS6detail17trampoline_kernelINS0_14default_configENS1_29reduce_by_key_config_selectorIssN6thrust23THRUST_200600_302600_NS4plusIsEEEEZZNS1_33reduce_by_key_impl_wrapped_configILNS1_25lookback_scan_determinismE0ES3_S9_NS6_6detail15normal_iteratorINS6_10device_ptrIsEEEESG_SG_SG_PmS8_NS6_8equal_toIsEEEE10hipError_tPvRmT2_T3_mT4_T5_T6_T7_T8_P12ihipStream_tbENKUlT_T0_E_clISt17integral_constantIbLb0EES11_EEDaSW_SX_EUlSW_E_NS1_11comp_targetILNS1_3genE4ELNS1_11target_archE910ELNS1_3gpuE8ELNS1_3repE0EEENS1_30default_config_static_selectorELNS0_4arch9wavefront6targetE1EEEvT1_,@function
_ZN7rocprim17ROCPRIM_400000_NS6detail17trampoline_kernelINS0_14default_configENS1_29reduce_by_key_config_selectorIssN6thrust23THRUST_200600_302600_NS4plusIsEEEEZZNS1_33reduce_by_key_impl_wrapped_configILNS1_25lookback_scan_determinismE0ES3_S9_NS6_6detail15normal_iteratorINS6_10device_ptrIsEEEESG_SG_SG_PmS8_NS6_8equal_toIsEEEE10hipError_tPvRmT2_T3_mT4_T5_T6_T7_T8_P12ihipStream_tbENKUlT_T0_E_clISt17integral_constantIbLb0EES11_EEDaSW_SX_EUlSW_E_NS1_11comp_targetILNS1_3genE4ELNS1_11target_archE910ELNS1_3gpuE8ELNS1_3repE0EEENS1_30default_config_static_selectorELNS0_4arch9wavefront6targetE1EEEvT1_: ; @_ZN7rocprim17ROCPRIM_400000_NS6detail17trampoline_kernelINS0_14default_configENS1_29reduce_by_key_config_selectorIssN6thrust23THRUST_200600_302600_NS4plusIsEEEEZZNS1_33reduce_by_key_impl_wrapped_configILNS1_25lookback_scan_determinismE0ES3_S9_NS6_6detail15normal_iteratorINS6_10device_ptrIsEEEESG_SG_SG_PmS8_NS6_8equal_toIsEEEE10hipError_tPvRmT2_T3_mT4_T5_T6_T7_T8_P12ihipStream_tbENKUlT_T0_E_clISt17integral_constantIbLb0EES11_EEDaSW_SX_EUlSW_E_NS1_11comp_targetILNS1_3genE4ELNS1_11target_archE910ELNS1_3gpuE8ELNS1_3repE0EEENS1_30default_config_static_selectorELNS0_4arch9wavefront6targetE1EEEvT1_
; %bb.0:
	s_load_dwordx8 s[36:43], s[4:5], 0x0
	s_load_dwordx4 s[52:55], s[4:5], 0x20
	s_load_dwordx8 s[44:51], s[4:5], 0x38
	s_load_dwordx2 s[60:61], s[4:5], 0x68
	s_load_dwordx4 s[56:59], s[4:5], 0x58
	s_waitcnt lgkmcnt(0)
	s_lshl_b64 s[0:1], s[38:39], 1
	s_add_u32 s2, s36, s0
	s_addc_u32 s3, s37, s1
	s_add_u32 s4, s40, s0
	s_addc_u32 s5, s41, s1
	s_mul_i32 s0, s48, s47
	s_mul_hi_u32 s1, s48, s46
	s_add_i32 s0, s1, s0
	s_mul_i32 s1, s49, s46
	s_add_i32 s8, s0, s1
	s_mul_i32 s0, s6, 0xf00
	s_mov_b32 s1, 0
	s_lshl_b64 s[0:1], s[0:1], 1
	s_add_u32 s7, s2, s0
	s_mul_i32 s9, s48, s46
	s_addc_u32 s48, s3, s1
	s_add_u32 s49, s4, s0
	s_addc_u32 s62, s5, s1
	s_add_u32 s38, s9, s6
	s_addc_u32 s39, s8, 0
	s_add_u32 s2, s50, -1
	s_addc_u32 s3, s51, -1
	s_cmp_eq_u64 s[38:39], s[2:3]
	s_cselect_b64 s[34:35], -1, 0
	s_cmp_lg_u64 s[38:39], s[2:3]
	s_mov_b64 s[0:1], -1
	s_cselect_b64 s[40:41], -1, 0
	s_mul_i32 s33, s2, 0xfffff100
	s_and_b64 vcc, exec, s[34:35]
	s_cbranch_vccnz .LBB624_2
; %bb.1:
	v_lshlrev_b32_e32 v12, 1, v0
	v_mov_b32_e32 v1, s48
	v_add_co_u32_e32 v2, vcc, s7, v12
	v_addc_co_u32_e32 v3, vcc, 0, v1, vcc
	flat_load_ushort v1, v[2:3]
	flat_load_ushort v4, v[2:3] offset:512
	flat_load_ushort v5, v[2:3] offset:1024
	;; [unrolled: 1-line block ×7, first 2 shown]
	v_add_co_u32_e32 v2, vcc, 0x1000, v2
	v_addc_co_u32_e32 v3, vcc, 0, v3, vcc
	flat_load_ushort v17, v[2:3]
	flat_load_ushort v18, v[2:3] offset:512
	flat_load_ushort v19, v[2:3] offset:1024
	;; [unrolled: 1-line block ×6, first 2 shown]
	v_mov_b32_e32 v2, s62
	v_add_co_u32_e32 v8, vcc, s49, v12
	s_movk_i32 s0, 0x1000
	v_addc_co_u32_e32 v9, vcc, 0, v2, vcc
	v_mad_u32_u24 v6, v0, 28, v12
	v_add_co_u32_e32 v10, vcc, s0, v8
	v_addc_co_u32_e32 v11, vcc, 0, v9, vcc
	s_waitcnt vmcnt(0) lgkmcnt(0)
	ds_write_b16 v12, v1
	ds_write_b16 v12, v4 offset:512
	ds_write_b16 v12, v5 offset:1024
	;; [unrolled: 1-line block ×14, first 2 shown]
	s_waitcnt lgkmcnt(0)
	s_barrier
	ds_read_u16 v1, v6
	ds_read_b128 v[2:5], v6 offset:2
	ds_read_b96 v[14:16], v6 offset:18
	s_waitcnt lgkmcnt(0)
	s_barrier
	flat_load_ushort v13, v[8:9]
	flat_load_ushort v17, v[8:9] offset:512
	flat_load_ushort v18, v[8:9] offset:1024
	;; [unrolled: 1-line block ×7, first 2 shown]
	flat_load_ushort v24, v[10:11]
	flat_load_ushort v25, v[10:11] offset:512
	flat_load_ushort v26, v[10:11] offset:1024
	;; [unrolled: 1-line block ×6, first 2 shown]
	v_mul_u32_u24_e32 v7, 15, v0
	s_waitcnt vmcnt(0) lgkmcnt(0)
	ds_write_b16 v12, v13
	ds_write_b16 v12, v17 offset:512
	ds_write_b16 v12, v18 offset:1024
	;; [unrolled: 1-line block ×14, first 2 shown]
	s_waitcnt lgkmcnt(0)
	s_barrier
	s_add_i32 s33, s33, s56
	s_cbranch_execz .LBB624_3
	s_branch .LBB624_50
.LBB624_2:
                                        ; implicit-def: $vgpr2
                                        ; implicit-def: $vgpr14
                                        ; implicit-def: $vgpr7
                                        ; implicit-def: $vgpr6
                                        ; implicit-def: $vgpr1
	s_andn2_b64 vcc, exec, s[0:1]
	s_add_i32 s33, s33, s56
	s_cbranch_vccnz .LBB624_50
.LBB624_3:
	v_cmp_gt_u32_e32 vcc, s33, v0
                                        ; implicit-def: $vgpr1
	s_and_saveexec_b64 s[2:3], vcc
	s_cbranch_execz .LBB624_5
; %bb.4:
	v_lshlrev_b32_e32 v1, 1, v0
	v_mov_b32_e32 v3, s48
	v_add_co_u32_e64 v2, s[0:1], s7, v1
	v_addc_co_u32_e64 v3, s[0:1], 0, v3, s[0:1]
	flat_load_ushort v1, v[2:3]
.LBB624_5:
	s_or_b64 exec, exec, s[2:3]
	v_or_b32_e32 v2, 0x100, v0
	v_cmp_gt_u32_e64 s[0:1], s33, v2
                                        ; implicit-def: $vgpr2
	s_and_saveexec_b64 s[4:5], s[0:1]
	s_cbranch_execz .LBB624_7
; %bb.6:
	v_lshlrev_b32_e32 v2, 1, v0
	v_mov_b32_e32 v3, s48
	v_add_co_u32_e64 v2, s[2:3], s7, v2
	v_addc_co_u32_e64 v3, s[2:3], 0, v3, s[2:3]
	flat_load_ushort v2, v[2:3] offset:512
.LBB624_7:
	s_or_b64 exec, exec, s[4:5]
	v_or_b32_e32 v3, 0x200, v0
	v_cmp_gt_u32_e64 s[2:3], s33, v3
                                        ; implicit-def: $vgpr3
	s_and_saveexec_b64 s[8:9], s[2:3]
	s_cbranch_execz .LBB624_9
; %bb.8:
	v_lshlrev_b32_e32 v3, 1, v0
	v_mov_b32_e32 v5, s48
	v_add_co_u32_e64 v4, s[4:5], s7, v3
	v_addc_co_u32_e64 v5, s[4:5], 0, v5, s[4:5]
	flat_load_ushort v3, v[4:5] offset:1024
.LBB624_9:
	s_or_b64 exec, exec, s[8:9]
	v_or_b32_e32 v4, 0x300, v0
	v_cmp_gt_u32_e64 s[4:5], s33, v4
                                        ; implicit-def: $vgpr4
	s_and_saveexec_b64 s[10:11], s[4:5]
	s_cbranch_execz .LBB624_11
; %bb.10:
	v_lshlrev_b32_e32 v4, 1, v0
	v_mov_b32_e32 v5, s48
	v_add_co_u32_e64 v4, s[8:9], s7, v4
	v_addc_co_u32_e64 v5, s[8:9], 0, v5, s[8:9]
	flat_load_ushort v4, v[4:5] offset:1536
.LBB624_11:
	s_or_b64 exec, exec, s[10:11]
	v_or_b32_e32 v5, 0x400, v0
	v_cmp_gt_u32_e64 s[28:29], s33, v5
                                        ; implicit-def: $vgpr5
	s_and_saveexec_b64 s[10:11], s[28:29]
	s_cbranch_execz .LBB624_13
; %bb.12:
	v_lshlrev_b32_e32 v5, 1, v0
	v_mov_b32_e32 v7, s48
	v_add_co_u32_e64 v6, s[8:9], s7, v5
	v_addc_co_u32_e64 v7, s[8:9], 0, v7, s[8:9]
	flat_load_ushort v5, v[6:7] offset:2048
.LBB624_13:
	s_or_b64 exec, exec, s[10:11]
	v_or_b32_e32 v6, 0x500, v0
	v_cmp_gt_u32_e64 s[8:9], s33, v6
                                        ; implicit-def: $vgpr6
	s_and_saveexec_b64 s[12:13], s[8:9]
	s_cbranch_execz .LBB624_15
; %bb.14:
	v_lshlrev_b32_e32 v6, 1, v0
	v_mov_b32_e32 v7, s48
	v_add_co_u32_e64 v6, s[10:11], s7, v6
	v_addc_co_u32_e64 v7, s[10:11], 0, v7, s[10:11]
	flat_load_ushort v6, v[6:7] offset:2560
.LBB624_15:
	s_or_b64 exec, exec, s[12:13]
	v_or_b32_e32 v7, 0x600, v0
	v_cmp_gt_u32_e64 s[10:11], s33, v7
                                        ; implicit-def: $vgpr14
	s_and_saveexec_b64 s[14:15], s[10:11]
	s_cbranch_execz .LBB624_17
; %bb.16:
	v_lshlrev_b32_e32 v7, 1, v0
	v_mov_b32_e32 v9, s48
	v_add_co_u32_e64 v8, s[12:13], s7, v7
	v_addc_co_u32_e64 v9, s[12:13], 0, v9, s[12:13]
	flat_load_ushort v14, v[8:9] offset:3072
.LBB624_17:
	s_or_b64 exec, exec, s[14:15]
	v_or_b32_e32 v7, 0x700, v0
	v_cmp_gt_u32_e64 s[12:13], s33, v7
                                        ; implicit-def: $vgpr15
	s_and_saveexec_b64 s[16:17], s[12:13]
	s_cbranch_execz .LBB624_19
; %bb.18:
	v_lshlrev_b32_e32 v7, 1, v0
	v_mov_b32_e32 v9, s48
	v_add_co_u32_e64 v8, s[14:15], s7, v7
	v_addc_co_u32_e64 v9, s[14:15], 0, v9, s[14:15]
	flat_load_ushort v15, v[8:9] offset:3584
.LBB624_19:
	s_or_b64 exec, exec, s[16:17]
	v_or_b32_e32 v7, 0x800, v0
	v_cmp_gt_u32_e64 s[14:15], s33, v7
	v_lshlrev_b32_e32 v7, 1, v7
                                        ; implicit-def: $vgpr16
	s_and_saveexec_b64 s[18:19], s[14:15]
	s_cbranch_execz .LBB624_21
; %bb.20:
	v_mov_b32_e32 v9, s48
	v_add_co_u32_e64 v8, s[16:17], s7, v7
	v_addc_co_u32_e64 v9, s[16:17], 0, v9, s[16:17]
	flat_load_ushort v16, v[8:9]
.LBB624_21:
	s_or_b64 exec, exec, s[18:19]
	v_or_b32_e32 v8, 0x900, v0
	v_cmp_gt_u32_e64 s[16:17], s33, v8
	v_lshlrev_b32_e32 v8, 1, v8
                                        ; implicit-def: $vgpr18
	s_and_saveexec_b64 s[20:21], s[16:17]
	s_cbranch_execz .LBB624_23
; %bb.22:
	v_mov_b32_e32 v9, s48
	v_add_co_u32_e64 v10, s[18:19], s7, v8
	v_addc_co_u32_e64 v11, s[18:19], 0, v9, s[18:19]
	flat_load_ushort v18, v[10:11]
.LBB624_23:
	s_or_b64 exec, exec, s[20:21]
	v_or_b32_e32 v9, 0xa00, v0
	v_cmp_gt_u32_e64 s[18:19], s33, v9
	v_lshlrev_b32_e32 v10, 1, v9
                                        ; implicit-def: $vgpr19
	s_and_saveexec_b64 s[22:23], s[18:19]
	s_cbranch_execz .LBB624_25
; %bb.24:
	v_mov_b32_e32 v9, s48
	v_add_co_u32_e64 v12, s[20:21], s7, v10
	v_addc_co_u32_e64 v13, s[20:21], 0, v9, s[20:21]
	flat_load_ushort v19, v[12:13]
.LBB624_25:
	s_or_b64 exec, exec, s[22:23]
	v_or_b32_e32 v9, 0xb00, v0
	v_cmp_gt_u32_e64 s[20:21], s33, v9
	v_lshlrev_b32_e32 v11, 1, v9
                                        ; implicit-def: $vgpr20
	s_and_saveexec_b64 s[24:25], s[20:21]
	s_cbranch_execz .LBB624_27
; %bb.26:
	v_mov_b32_e32 v9, s48
	v_add_co_u32_e64 v12, s[22:23], s7, v11
	v_addc_co_u32_e64 v13, s[22:23], 0, v9, s[22:23]
	flat_load_ushort v20, v[12:13]
.LBB624_27:
	s_or_b64 exec, exec, s[24:25]
	v_or_b32_e32 v9, 0xc00, v0
	v_cmp_gt_u32_e64 s[22:23], s33, v9
	v_lshlrev_b32_e32 v12, 1, v9
                                        ; implicit-def: $vgpr21
	s_and_saveexec_b64 s[26:27], s[22:23]
	s_cbranch_execz .LBB624_29
; %bb.28:
	v_mov_b32_e32 v9, s48
	v_add_co_u32_e64 v22, s[24:25], s7, v12
	v_addc_co_u32_e64 v23, s[24:25], 0, v9, s[24:25]
	flat_load_ushort v21, v[22:23]
.LBB624_29:
	s_or_b64 exec, exec, s[26:27]
	v_or_b32_e32 v9, 0xd00, v0
	v_cmp_gt_u32_e64 s[24:25], s33, v9
	v_lshlrev_b32_e32 v13, 1, v9
                                        ; implicit-def: $vgpr22
	s_and_saveexec_b64 s[30:31], s[24:25]
	s_cbranch_execz .LBB624_31
; %bb.30:
	v_mov_b32_e32 v9, s48
	v_add_co_u32_e64 v22, s[26:27], s7, v13
	v_addc_co_u32_e64 v23, s[26:27], 0, v9, s[26:27]
	flat_load_ushort v22, v[22:23]
.LBB624_31:
	s_or_b64 exec, exec, s[30:31]
	v_or_b32_e32 v9, 0xe00, v0
	v_cmp_gt_u32_e64 s[26:27], s33, v9
	v_lshlrev_b32_e32 v17, 1, v9
                                        ; implicit-def: $vgpr23
	s_and_saveexec_b64 s[36:37], s[26:27]
	s_cbranch_execz .LBB624_33
; %bb.32:
	v_mov_b32_e32 v9, s48
	v_add_co_u32_e64 v24, s[30:31], s7, v17
	v_addc_co_u32_e64 v25, s[30:31], 0, v9, s[30:31]
	flat_load_ushort v23, v[24:25]
.LBB624_33:
	s_or_b64 exec, exec, s[36:37]
	v_lshlrev_b32_e32 v9, 1, v0
	s_waitcnt vmcnt(0) lgkmcnt(0)
	ds_write_b16 v9, v1
	ds_write_b16 v9, v2 offset:512
	ds_write_b16 v9, v3 offset:1024
	;; [unrolled: 1-line block ×14, first 2 shown]
	v_mad_u32_u24 v6, v0, 28, v9
	s_waitcnt lgkmcnt(0)
	s_barrier
	ds_read_u16 v1, v6
	ds_read_b128 v[2:5], v6 offset:2
	ds_read_b96 v[14:16], v6 offset:18
	s_waitcnt lgkmcnt(0)
	s_barrier
	s_waitcnt lgkmcnt(0)
                                        ; implicit-def: $vgpr18
	s_and_saveexec_b64 s[30:31], vcc
	s_cbranch_execnz .LBB624_57
; %bb.34:
	s_or_b64 exec, exec, s[30:31]
                                        ; implicit-def: $vgpr19
	s_and_saveexec_b64 s[30:31], s[0:1]
	s_cbranch_execnz .LBB624_58
.LBB624_35:
	s_or_b64 exec, exec, s[30:31]
                                        ; implicit-def: $vgpr20
	s_and_saveexec_b64 s[0:1], s[2:3]
	s_cbranch_execnz .LBB624_59
.LBB624_36:
	s_or_b64 exec, exec, s[0:1]
                                        ; implicit-def: $vgpr21
	s_and_saveexec_b64 s[0:1], s[4:5]
	s_cbranch_execnz .LBB624_60
.LBB624_37:
	s_or_b64 exec, exec, s[0:1]
                                        ; implicit-def: $vgpr22
	s_and_saveexec_b64 s[0:1], s[28:29]
	s_cbranch_execnz .LBB624_61
.LBB624_38:
	s_or_b64 exec, exec, s[0:1]
                                        ; implicit-def: $vgpr23
	s_and_saveexec_b64 s[0:1], s[8:9]
	s_cbranch_execnz .LBB624_62
.LBB624_39:
	s_or_b64 exec, exec, s[0:1]
                                        ; implicit-def: $vgpr24
	s_and_saveexec_b64 s[0:1], s[10:11]
	s_cbranch_execnz .LBB624_63
.LBB624_40:
	s_or_b64 exec, exec, s[0:1]
                                        ; implicit-def: $vgpr25
	s_and_saveexec_b64 s[0:1], s[12:13]
	s_cbranch_execnz .LBB624_64
.LBB624_41:
	s_or_b64 exec, exec, s[0:1]
                                        ; implicit-def: $vgpr26
	s_and_saveexec_b64 s[0:1], s[14:15]
	s_cbranch_execnz .LBB624_65
.LBB624_42:
	s_or_b64 exec, exec, s[0:1]
                                        ; implicit-def: $vgpr27
	s_and_saveexec_b64 s[0:1], s[16:17]
	s_cbranch_execnz .LBB624_66
.LBB624_43:
	s_or_b64 exec, exec, s[0:1]
                                        ; implicit-def: $vgpr8
	s_and_saveexec_b64 s[0:1], s[18:19]
	s_cbranch_execnz .LBB624_67
.LBB624_44:
	s_or_b64 exec, exec, s[0:1]
                                        ; implicit-def: $vgpr10
	s_and_saveexec_b64 s[0:1], s[20:21]
	s_cbranch_execnz .LBB624_68
.LBB624_45:
	s_or_b64 exec, exec, s[0:1]
                                        ; implicit-def: $vgpr11
	s_and_saveexec_b64 s[0:1], s[22:23]
	s_cbranch_execnz .LBB624_69
.LBB624_46:
	s_or_b64 exec, exec, s[0:1]
                                        ; implicit-def: $vgpr12
	s_and_saveexec_b64 s[0:1], s[24:25]
	s_cbranch_execnz .LBB624_70
.LBB624_47:
	s_or_b64 exec, exec, s[0:1]
                                        ; implicit-def: $vgpr13
	s_and_saveexec_b64 s[0:1], s[26:27]
	s_cbranch_execz .LBB624_49
.LBB624_48:
	v_mov_b32_e32 v7, s62
	v_add_co_u32_e32 v28, vcc, s49, v17
	v_addc_co_u32_e32 v29, vcc, 0, v7, vcc
	flat_load_ushort v13, v[28:29]
.LBB624_49:
	s_or_b64 exec, exec, s[0:1]
	v_mul_u32_u24_e32 v7, 15, v0
	s_waitcnt vmcnt(0) lgkmcnt(0)
	ds_write_b16 v9, v18
	ds_write_b16 v9, v19 offset:512
	ds_write_b16 v9, v20 offset:1024
	;; [unrolled: 1-line block ×14, first 2 shown]
	s_waitcnt lgkmcnt(0)
	s_barrier
.LBB624_50:
	v_lshlrev_b32_e32 v7, 1, v7
	ds_read_u16 v77, v6
	ds_read_u16 v76, v6 offset:2
	ds_read_u16 v74, v6 offset:6
	;; [unrolled: 1-line block ×14, first 2 shown]
	s_cmp_eq_u64 s[38:39], 0
	s_cselect_b64 s[36:37], -1, 0
	s_cmp_lg_u64 s[38:39], 0
	s_mov_b64 s[4:5], 0
	s_cselect_b64 s[8:9], -1, 0
	s_and_b64 vcc, exec, s[40:41]
	s_waitcnt lgkmcnt(0)
	s_barrier
	s_cbranch_vccz .LBB624_56
; %bb.51:
	s_and_b64 vcc, exec, s[8:9]
	s_cbranch_vccz .LBB624_71
; %bb.52:
	v_mov_b32_e32 v7, s48
	v_add_co_u32_e64 v6, vcc, -2, s7
	v_addc_co_u32_e32 v7, vcc, -1, v7, vcc
	flat_load_ushort v6, v[6:7]
	v_lshrrev_b32_e32 v8, 16, v16
	v_lshlrev_b32_e32 v7, 1, v0
	v_cmp_ne_u16_e32 vcc, v16, v8
	v_cmp_ne_u16_sdwa s[4:5], v15, v16 src0_sel:WORD_1 src1_sel:DWORD
	v_cmp_ne_u16_sdwa s[10:11], v15, v15 src0_sel:DWORD src1_sel:WORD_1
	v_cmp_ne_u16_sdwa s[12:13], v14, v15 src0_sel:WORD_1 src1_sel:DWORD
	v_cmp_ne_u16_sdwa s[14:15], v14, v14 src0_sel:DWORD src1_sel:WORD_1
	;; [unrolled: 2-line block ×6, first 2 shown]
	v_cmp_ne_u16_e64 s[0:1], v1, v2
	v_cmp_ne_u32_e64 s[2:3], 0, v0
	ds_write_b16 v7, v8
	s_waitcnt lgkmcnt(0)
	s_barrier
	s_and_saveexec_b64 s[40:41], s[2:3]
	s_cbranch_execz .LBB624_54
; %bb.53:
	s_waitcnt vmcnt(0)
	v_add_u32_e32 v6, -2, v7
	ds_read_u16 v6, v6
.LBB624_54:
	s_or_b64 exec, exec, s[40:41]
	v_cndmask_b32_e64 v17, 0, 1, vcc
	v_cndmask_b32_e64 v54, 0, 1, s[4:5]
	v_cndmask_b32_e64 v55, 0, 1, s[10:11]
	;; [unrolled: 1-line block ×13, first 2 shown]
	s_waitcnt vmcnt(0) lgkmcnt(0)
	v_cmp_ne_u16_e64 s[0:1], v6, v1
	s_mov_b64 s[4:5], -1
.LBB624_55:
                                        ; implicit-def: $sgpr12
	s_branch .LBB624_83
.LBB624_56:
                                        ; implicit-def: $sgpr0_sgpr1
                                        ; implicit-def: $vgpr17
                                        ; implicit-def: $vgpr54
                                        ; implicit-def: $vgpr55
                                        ; implicit-def: $vgpr56
                                        ; implicit-def: $vgpr57
                                        ; implicit-def: $vgpr58
                                        ; implicit-def: $vgpr59
                                        ; implicit-def: $vgpr60
                                        ; implicit-def: $vgpr61
                                        ; implicit-def: $vgpr62
                                        ; implicit-def: $vgpr63
                                        ; implicit-def: $vgpr64
                                        ; implicit-def: $vgpr65
                                        ; implicit-def: $vgpr66
                                        ; implicit-def: $sgpr12
	s_cbranch_execnz .LBB624_75
	s_branch .LBB624_83
.LBB624_57:
	v_mov_b32_e32 v19, s62
	v_add_co_u32_e32 v18, vcc, s49, v9
	v_addc_co_u32_e32 v19, vcc, 0, v19, vcc
	flat_load_ushort v18, v[18:19]
	s_or_b64 exec, exec, s[30:31]
                                        ; implicit-def: $vgpr19
	s_and_saveexec_b64 s[30:31], s[0:1]
	s_cbranch_execz .LBB624_35
.LBB624_58:
	v_mov_b32_e32 v19, s62
	v_add_co_u32_e32 v20, vcc, s49, v9
	v_addc_co_u32_e32 v21, vcc, 0, v19, vcc
	flat_load_ushort v19, v[20:21] offset:512
	s_or_b64 exec, exec, s[30:31]
                                        ; implicit-def: $vgpr20
	s_and_saveexec_b64 s[0:1], s[2:3]
	s_cbranch_execz .LBB624_36
.LBB624_59:
	v_mov_b32_e32 v21, s62
	v_add_co_u32_e32 v20, vcc, s49, v9
	v_addc_co_u32_e32 v21, vcc, 0, v21, vcc
	flat_load_ushort v20, v[20:21] offset:1024
	s_or_b64 exec, exec, s[0:1]
                                        ; implicit-def: $vgpr21
	s_and_saveexec_b64 s[0:1], s[4:5]
	s_cbranch_execz .LBB624_37
.LBB624_60:
	v_mov_b32_e32 v21, s62
	v_add_co_u32_e32 v22, vcc, s49, v9
	v_addc_co_u32_e32 v23, vcc, 0, v21, vcc
	flat_load_ushort v21, v[22:23] offset:1536
	s_or_b64 exec, exec, s[0:1]
                                        ; implicit-def: $vgpr22
	s_and_saveexec_b64 s[0:1], s[28:29]
	s_cbranch_execz .LBB624_38
.LBB624_61:
	v_mov_b32_e32 v23, s62
	v_add_co_u32_e32 v22, vcc, s49, v9
	v_addc_co_u32_e32 v23, vcc, 0, v23, vcc
	flat_load_ushort v22, v[22:23] offset:2048
	s_or_b64 exec, exec, s[0:1]
                                        ; implicit-def: $vgpr23
	s_and_saveexec_b64 s[0:1], s[8:9]
	s_cbranch_execz .LBB624_39
.LBB624_62:
	v_mov_b32_e32 v23, s62
	v_add_co_u32_e32 v24, vcc, s49, v9
	v_addc_co_u32_e32 v25, vcc, 0, v23, vcc
	flat_load_ushort v23, v[24:25] offset:2560
	s_or_b64 exec, exec, s[0:1]
                                        ; implicit-def: $vgpr24
	s_and_saveexec_b64 s[0:1], s[10:11]
	s_cbranch_execz .LBB624_40
.LBB624_63:
	v_mov_b32_e32 v25, s62
	v_add_co_u32_e32 v24, vcc, s49, v9
	v_addc_co_u32_e32 v25, vcc, 0, v25, vcc
	flat_load_ushort v24, v[24:25] offset:3072
	s_or_b64 exec, exec, s[0:1]
                                        ; implicit-def: $vgpr25
	s_and_saveexec_b64 s[0:1], s[12:13]
	s_cbranch_execz .LBB624_41
.LBB624_64:
	v_mov_b32_e32 v25, s62
	v_add_co_u32_e32 v26, vcc, s49, v9
	v_addc_co_u32_e32 v27, vcc, 0, v25, vcc
	flat_load_ushort v25, v[26:27] offset:3584
	s_or_b64 exec, exec, s[0:1]
                                        ; implicit-def: $vgpr26
	s_and_saveexec_b64 s[0:1], s[14:15]
	s_cbranch_execz .LBB624_42
.LBB624_65:
	v_mov_b32_e32 v27, s62
	v_add_co_u32_e32 v26, vcc, s49, v7
	v_addc_co_u32_e32 v27, vcc, 0, v27, vcc
	flat_load_ushort v26, v[26:27]
	s_or_b64 exec, exec, s[0:1]
                                        ; implicit-def: $vgpr27
	s_and_saveexec_b64 s[0:1], s[16:17]
	s_cbranch_execz .LBB624_43
.LBB624_66:
	v_mov_b32_e32 v7, s62
	v_add_co_u32_e32 v28, vcc, s49, v8
	v_addc_co_u32_e32 v29, vcc, 0, v7, vcc
	flat_load_ushort v27, v[28:29]
	s_or_b64 exec, exec, s[0:1]
                                        ; implicit-def: $vgpr8
	s_and_saveexec_b64 s[0:1], s[18:19]
	s_cbranch_execz .LBB624_44
.LBB624_67:
	v_mov_b32_e32 v7, s62
	v_add_co_u32_e32 v28, vcc, s49, v10
	v_addc_co_u32_e32 v29, vcc, 0, v7, vcc
	flat_load_ushort v8, v[28:29]
	s_or_b64 exec, exec, s[0:1]
                                        ; implicit-def: $vgpr10
	s_and_saveexec_b64 s[0:1], s[20:21]
	s_cbranch_execz .LBB624_45
.LBB624_68:
	v_mov_b32_e32 v7, s62
	v_add_co_u32_e32 v10, vcc, s49, v11
	v_addc_co_u32_e32 v11, vcc, 0, v7, vcc
	flat_load_ushort v10, v[10:11]
	s_or_b64 exec, exec, s[0:1]
                                        ; implicit-def: $vgpr11
	s_and_saveexec_b64 s[0:1], s[22:23]
	s_cbranch_execz .LBB624_46
.LBB624_69:
	v_mov_b32_e32 v7, s62
	v_add_co_u32_e32 v28, vcc, s49, v12
	v_addc_co_u32_e32 v29, vcc, 0, v7, vcc
	flat_load_ushort v11, v[28:29]
	s_or_b64 exec, exec, s[0:1]
                                        ; implicit-def: $vgpr12
	s_and_saveexec_b64 s[0:1], s[24:25]
	s_cbranch_execz .LBB624_47
.LBB624_70:
	v_mov_b32_e32 v7, s62
	v_add_co_u32_e32 v12, vcc, s49, v13
	v_addc_co_u32_e32 v13, vcc, 0, v7, vcc
	flat_load_ushort v12, v[12:13]
	s_or_b64 exec, exec, s[0:1]
                                        ; implicit-def: $vgpr13
	s_and_saveexec_b64 s[0:1], s[26:27]
	s_cbranch_execnz .LBB624_48
	s_branch .LBB624_49
.LBB624_71:
                                        ; implicit-def: $sgpr0_sgpr1
                                        ; implicit-def: $vgpr17
                                        ; implicit-def: $vgpr54
                                        ; implicit-def: $vgpr55
                                        ; implicit-def: $vgpr56
                                        ; implicit-def: $vgpr57
                                        ; implicit-def: $vgpr58
                                        ; implicit-def: $vgpr59
                                        ; implicit-def: $vgpr60
                                        ; implicit-def: $vgpr61
                                        ; implicit-def: $vgpr62
                                        ; implicit-def: $vgpr63
                                        ; implicit-def: $vgpr64
                                        ; implicit-def: $vgpr65
                                        ; implicit-def: $vgpr66
	s_cbranch_execz .LBB624_55
; %bb.72:
	v_cmp_ne_u16_sdwa s[0:1], v15, v16 src0_sel:WORD_1 src1_sel:DWORD
	v_cndmask_b32_e64 v54, 0, 1, s[0:1]
	v_cmp_ne_u16_sdwa s[0:1], v15, v15 src0_sel:DWORD src1_sel:WORD_1
	v_cndmask_b32_e64 v55, 0, 1, s[0:1]
	v_cmp_ne_u16_sdwa s[0:1], v14, v15 src0_sel:WORD_1 src1_sel:DWORD
	v_cndmask_b32_e64 v56, 0, 1, s[0:1]
	v_cmp_ne_u16_sdwa s[0:1], v14, v14 src0_sel:DWORD src1_sel:WORD_1
	v_cndmask_b32_e64 v57, 0, 1, s[0:1]
	;; [unrolled: 4-line block ×4, first 2 shown]
	v_cmp_ne_u16_sdwa s[0:1], v3, v4 src0_sel:WORD_1 src1_sel:DWORD
	v_lshrrev_b32_e32 v7, 16, v16
	v_cndmask_b32_e64 v62, 0, 1, s[0:1]
	v_cmp_ne_u16_sdwa s[0:1], v3, v3 src0_sel:DWORD src1_sel:WORD_1
	v_cmp_ne_u16_e32 vcc, v16, v7
	v_cndmask_b32_e64 v63, 0, 1, s[0:1]
	v_cmp_ne_u16_sdwa s[0:1], v2, v3 src0_sel:WORD_1 src1_sel:DWORD
	v_cndmask_b32_e64 v17, 0, 1, vcc
	v_cndmask_b32_e64 v64, 0, 1, s[0:1]
	v_cmp_ne_u16_sdwa s[0:1], v2, v2 src0_sel:DWORD src1_sel:WORD_1
	v_cmp_ne_u16_e32 vcc, v1, v2
	s_mov_b32 s12, 1
	v_lshlrev_b32_e32 v6, 1, v0
	v_cndmask_b32_e64 v65, 0, 1, s[0:1]
	v_cndmask_b32_e64 v66, 0, 1, vcc
	v_cmp_ne_u32_e32 vcc, 0, v0
	ds_write_b16 v6, v7
	s_waitcnt lgkmcnt(0)
	s_barrier
	s_waitcnt lgkmcnt(0)
                                        ; implicit-def: $sgpr0_sgpr1
	s_and_saveexec_b64 s[2:3], vcc
	s_xor_b64 s[2:3], exec, s[2:3]
	s_cbranch_execz .LBB624_74
; %bb.73:
	v_add_u32_e32 v6, -2, v6
	ds_read_u16 v6, v6
	s_or_b64 s[4:5], s[4:5], exec
	s_waitcnt lgkmcnt(0)
	v_cmp_ne_u16_e32 vcc, v6, v1
	s_and_b64 s[0:1], vcc, exec
.LBB624_74:
	s_or_b64 exec, exec, s[2:3]
	s_branch .LBB624_83
.LBB624_75:
	s_mul_hi_u32 s1, s38, 0xfffff100
	s_mul_i32 s0, s39, 0xfffff100
	s_sub_i32 s1, s1, s38
	s_add_i32 s1, s1, s0
	s_mul_i32 s0, s38, 0xfffff100
	s_add_u32 s10, s0, s56
	s_addc_u32 s11, s1, s57
	s_and_b64 vcc, exec, s[8:9]
	v_lshrrev_b32_e32 v40, 16, v16
	v_mad_u32_u24 v6, v0, 15, 14
	v_mad_u32_u24 v36, v0, 15, 13
	v_cmp_ne_u16_sdwa s[14:15], v15, v16 src0_sel:WORD_1 src1_sel:DWORD
	v_mad_u32_u24 v34, v0, 15, 12
	v_cmp_ne_u16_sdwa s[18:19], v15, v15 src0_sel:DWORD src1_sel:WORD_1
	v_mad_u32_u24 v32, v0, 15, 11
	v_cmp_ne_u16_sdwa s[24:25], v14, v15 src0_sel:WORD_1 src1_sel:DWORD
	v_mad_u32_u24 v30, v0, 15, 10
	v_cmp_ne_u16_sdwa s[28:29], v14, v14 src0_sel:DWORD src1_sel:WORD_1
	;; [unrolled: 4-line block ×6, first 2 shown]
	v_mad_u32_u24 v8, v0, 15, 1
	v_cmp_ne_u16_e64 s[2:3], v1, v2
	v_cmp_ne_u32_e64 s[0:1], 0, v0
	s_cbranch_vccz .LBB624_80
; %bb.76:
	v_mov_b32_e32 v7, s48
	v_add_co_u32_e64 v38, vcc, -2, s7
	v_addc_co_u32_e32 v39, vcc, -1, v7, vcc
	flat_load_ushort v41, v[38:39]
	v_mov_b32_e32 v7, 0
	v_cmp_gt_u64_e32 vcc, s[10:11], v[6:7]
	v_cmp_ne_u16_e64 s[4:5], v16, v40
	v_mov_b32_e32 v37, v7
	s_and_b64 s[4:5], vcc, s[4:5]
	v_cmp_gt_u64_e32 vcc, s[10:11], v[36:37]
	v_mov_b32_e32 v35, v7
	s_and_b64 s[14:15], vcc, s[14:15]
	v_cmp_gt_u64_e32 vcc, s[10:11], v[34:35]
	;; [unrolled: 3-line block ×13, first 2 shown]
	v_lshlrev_b32_e32 v17, 1, v0
	v_mul_u32_u24_e32 v38, 15, v0
	s_and_b64 s[2:3], vcc, s[2:3]
	ds_write_b16 v17, v40
	s_waitcnt lgkmcnt(0)
	s_barrier
	s_and_saveexec_b64 s[40:41], s[0:1]
	s_cbranch_execz .LBB624_78
; %bb.77:
	v_add_u32_e32 v9, -2, v17
	s_waitcnt vmcnt(0)
	ds_read_u16 v41, v9
.LBB624_78:
	s_or_b64 exec, exec, s[40:41]
	v_mov_b32_e32 v39, v7
	v_cmp_gt_u64_e32 vcc, s[10:11], v[38:39]
	s_waitcnt vmcnt(0) lgkmcnt(0)
	v_cmp_ne_u16_e64 s[0:1], v41, v1
	v_cndmask_b32_e64 v17, 0, 1, s[4:5]
	v_cndmask_b32_e64 v54, 0, 1, s[14:15]
	;; [unrolled: 1-line block ×14, first 2 shown]
	s_and_b64 s[0:1], vcc, s[0:1]
	s_mov_b64 s[4:5], -1
.LBB624_79:
                                        ; implicit-def: $sgpr12
	v_mov_b32_e32 v68, s12
	s_and_saveexec_b64 s[2:3], s[4:5]
	s_cbranch_execnz .LBB624_84
	s_branch .LBB624_85
.LBB624_80:
                                        ; implicit-def: $sgpr0_sgpr1
                                        ; implicit-def: $vgpr17
                                        ; implicit-def: $vgpr54
                                        ; implicit-def: $vgpr55
                                        ; implicit-def: $vgpr56
                                        ; implicit-def: $vgpr57
                                        ; implicit-def: $vgpr58
                                        ; implicit-def: $vgpr59
                                        ; implicit-def: $vgpr60
                                        ; implicit-def: $vgpr61
                                        ; implicit-def: $vgpr62
                                        ; implicit-def: $vgpr63
                                        ; implicit-def: $vgpr64
                                        ; implicit-def: $vgpr65
                                        ; implicit-def: $vgpr66
	s_cbranch_execz .LBB624_79
; %bb.81:
	v_mov_b32_e32 v7, 0
	v_cmp_gt_u64_e32 vcc, s[10:11], v[6:7]
	v_cmp_ne_u16_e64 s[0:1], v16, v40
	s_and_b64 s[0:1], vcc, s[0:1]
	v_mov_b32_e32 v37, v7
	v_cndmask_b32_e64 v17, 0, 1, s[0:1]
	v_cmp_gt_u64_e32 vcc, s[10:11], v[36:37]
	v_cmp_ne_u16_sdwa s[0:1], v15, v16 src0_sel:WORD_1 src1_sel:DWORD
	s_and_b64 s[0:1], vcc, s[0:1]
	v_mov_b32_e32 v35, v7
	v_cndmask_b32_e64 v54, 0, 1, s[0:1]
	v_cmp_gt_u64_e32 vcc, s[10:11], v[34:35]
	v_cmp_ne_u16_sdwa s[0:1], v15, v15 src0_sel:DWORD src1_sel:WORD_1
	s_and_b64 s[0:1], vcc, s[0:1]
	v_mov_b32_e32 v33, v7
	v_cndmask_b32_e64 v55, 0, 1, s[0:1]
	v_cmp_gt_u64_e32 vcc, s[10:11], v[32:33]
	v_cmp_ne_u16_sdwa s[0:1], v14, v15 src0_sel:WORD_1 src1_sel:DWORD
	s_and_b64 s[0:1], vcc, s[0:1]
	v_mov_b32_e32 v31, v7
	v_cndmask_b32_e64 v56, 0, 1, s[0:1]
	v_cmp_gt_u64_e32 vcc, s[10:11], v[30:31]
	v_cmp_ne_u16_sdwa s[0:1], v14, v14 src0_sel:DWORD src1_sel:WORD_1
	;; [unrolled: 10-line block ×6, first 2 shown]
	s_and_b64 s[0:1], vcc, s[0:1]
	v_mov_b32_e32 v9, v7
	v_cndmask_b32_e64 v65, 0, 1, s[0:1]
	v_cmp_gt_u64_e32 vcc, s[10:11], v[8:9]
	v_cmp_ne_u16_e64 s[0:1], v1, v2
	s_and_b64 s[0:1], vcc, s[0:1]
	s_mov_b32 s12, 1
	v_lshlrev_b32_e32 v38, 1, v0
	v_cndmask_b32_e64 v66, 0, 1, s[0:1]
	v_cmp_ne_u32_e32 vcc, 0, v0
	ds_write_b16 v38, v40
	s_waitcnt lgkmcnt(0)
	s_barrier
	s_waitcnt lgkmcnt(0)
                                        ; implicit-def: $sgpr0_sgpr1
	s_and_saveexec_b64 s[2:3], vcc
	s_cbranch_execz .LBB624_188
; %bb.82:
	v_add_u32_e32 v6, -2, v38
	ds_read_u16 v8, v6
	v_mul_u32_u24_e32 v6, 15, v0
	v_cmp_gt_u64_e32 vcc, s[10:11], v[6:7]
	s_or_b64 s[4:5], s[4:5], exec
	s_waitcnt lgkmcnt(0)
	v_cmp_ne_u16_e64 s[0:1], v8, v1
	s_and_b64 s[0:1], vcc, s[0:1]
	s_and_b64 s[0:1], s[0:1], exec
	s_or_b64 exec, exec, s[2:3]
.LBB624_83:
	v_mov_b32_e32 v68, s12
	s_and_saveexec_b64 s[2:3], s[4:5]
.LBB624_84:
	v_cndmask_b32_e64 v68, 0, 1, s[0:1]
.LBB624_85:
	s_or_b64 exec, exec, s[2:3]
	s_cmp_eq_u64 s[46:47], 0
	v_add3_u32 v6, v66, v68, v65
	s_cselect_b64 s[30:31], -1, 0
	s_cmp_lg_u32 s6, 0
	v_cmp_eq_u32_e64 s[24:25], 0, v66
	v_cmp_eq_u32_e64 s[22:23], 0, v65
	;; [unrolled: 1-line block ×3, first 2 shown]
	v_add3_u32 v83, v6, v64, v63
	v_cmp_eq_u32_e64 s[18:19], 0, v63
	v_cmp_eq_u32_e64 s[16:17], 0, v62
	;; [unrolled: 1-line block ×10, first 2 shown]
	v_cmp_eq_u32_e32 vcc, 0, v17
	v_mbcnt_lo_u32_b32 v82, -1, 0
	v_lshrrev_b32_e32 v80, 6, v0
	v_or_b32_e32 v81, 63, v0
	s_cbranch_scc0 .LBB624_112
; %bb.86:
	v_cndmask_b32_e64 v6, 0, v77, s[24:25]
	v_add_u16_e32 v6, v6, v76
	v_cndmask_b32_e64 v6, 0, v6, s[22:23]
	v_add_u16_e32 v6, v6, v78
	;; [unrolled: 2-line block ×11, first 2 shown]
	v_cndmask_b32_e64 v6, 0, v6, s[2:3]
	v_add3_u32 v7, v83, v62, v61
	v_add_u16_e32 v6, v6, v52
	v_add3_u32 v7, v7, v60, v59
	v_cndmask_b32_e64 v6, 0, v6, s[0:1]
	v_add3_u32 v7, v7, v58, v57
	v_add_u16_e32 v6, v6, v50
	v_add3_u32 v7, v7, v56, v55
	v_cndmask_b32_e32 v6, 0, v6, vcc
	v_add3_u32 v7, v7, v54, v17
	v_add_u16_e32 v6, v6, v79
	v_mbcnt_hi_u32_b32 v19, -1, v82
	v_and_b32_e32 v8, 15, v19
	v_mov_b32_dpp v10, v6 row_shr:1 row_mask:0xf bank_mask:0xf
	v_cmp_eq_u32_e32 vcc, 0, v7
	v_mov_b32_dpp v9, v7 row_shr:1 row_mask:0xf bank_mask:0xf
	v_cndmask_b32_e32 v10, 0, v10, vcc
	v_cmp_eq_u32_e32 vcc, 0, v8
	v_add_u16_e32 v10, v10, v6
	v_cndmask_b32_e64 v9, v9, 0, vcc
	v_add_u32_e32 v7, v9, v7
	v_cndmask_b32_e32 v6, v10, v6, vcc
	v_cmp_eq_u32_e32 vcc, 0, v7
	v_mov_b32_dpp v9, v7 row_shr:2 row_mask:0xf bank_mask:0xf
	v_mov_b32_dpp v10, v6 row_shr:2 row_mask:0xf bank_mask:0xf
	v_cndmask_b32_e32 v10, 0, v10, vcc
	v_cmp_lt_u32_e32 vcc, 1, v8
	v_add_u16_e32 v10, v10, v6
	v_cndmask_b32_e32 v9, 0, v9, vcc
	v_cndmask_b32_e32 v6, v6, v10, vcc
	v_add_u32_e32 v7, v7, v9
	v_cmp_eq_u32_e32 vcc, 0, v7
	v_mov_b32_dpp v10, v6 row_shr:4 row_mask:0xf bank_mask:0xf
	v_mov_b32_dpp v9, v7 row_shr:4 row_mask:0xf bank_mask:0xf
	v_cndmask_b32_e32 v10, 0, v10, vcc
	v_cmp_lt_u32_e32 vcc, 3, v8
	v_add_u16_e32 v10, v10, v6
	v_cndmask_b32_e32 v9, 0, v9, vcc
	v_cndmask_b32_e32 v6, v6, v10, vcc
	v_add_u32_e32 v7, v9, v7
	;; [unrolled: 9-line block ×3, first 2 shown]
	v_bfe_i32 v10, v19, 4, 1
	v_mov_b32_dpp v9, v6 row_bcast:15 row_mask:0xf bank_mask:0xf
	v_mov_b32_dpp v8, v7 row_bcast:15 row_mask:0xf bank_mask:0xf
	v_cmp_eq_u32_e32 vcc, 0, v7
	v_and_b32_e32 v11, 16, v19
	v_cndmask_b32_e32 v9, 0, v9, vcc
	v_and_b32_e32 v8, v10, v8
	v_add_u16_e32 v9, v9, v6
	v_add_u32_e32 v7, v8, v7
	v_cmp_eq_u32_e32 vcc, 0, v11
	v_cndmask_b32_e32 v8, v9, v6, vcc
	v_mov_b32_dpp v6, v7 row_bcast:31 row_mask:0xf bank_mask:0xf
	v_cmp_eq_u32_e32 vcc, 0, v7
	v_cmp_lt_u32_e64 s[26:27], 31, v19
	v_mov_b32_dpp v9, v8 row_bcast:31 row_mask:0xf bank_mask:0xf
	v_cndmask_b32_e64 v6, 0, v6, s[26:27]
	s_and_b64 vcc, s[26:27], vcc
	v_add_u32_e32 v6, v6, v7
	v_cndmask_b32_e32 v7, 0, v9, vcc
	v_add_u16_e32 v7, v7, v8
	v_cmp_eq_u32_e32 vcc, v81, v0
	v_lshlrev_b32_e32 v8, 3, v80
	s_and_saveexec_b64 s[26:27], vcc
	s_cbranch_execz .LBB624_88
; %bb.87:
	ds_write_b32 v8, v6 offset:1040
	ds_write_b16 v8, v7 offset:1044
.LBB624_88:
	s_or_b64 exec, exec, s[26:27]
	v_cmp_gt_u32_e32 vcc, 4, v0
	s_waitcnt lgkmcnt(0)
	s_barrier
	s_and_saveexec_b64 s[38:39], vcc
	s_cbranch_execz .LBB624_90
; %bb.89:
	v_lshlrev_b32_e32 v9, 3, v0
	ds_read_b64 v[10:11], v9 offset:1040
	v_and_b32_e32 v12, 3, v19
	s_mov_b32 s7, 0xffff0000
	v_cmp_lt_u32_e64 s[26:27], 1, v12
	s_waitcnt lgkmcnt(0)
	v_mov_b32_dpp v18, v11 row_shr:1 row_mask:0xf bank_mask:0xf
	v_cmp_eq_u32_e32 vcc, 0, v10
	v_mov_b32_dpp v13, v10 row_shr:1 row_mask:0xf bank_mask:0xf
	v_cndmask_b32_e32 v18, 0, v18, vcc
	v_cmp_eq_u32_e32 vcc, 0, v12
	v_add_u16_e32 v18, v18, v11
	v_cndmask_b32_e64 v13, v13, 0, vcc
	v_and_or_b32 v20, v11, s7, v18
	v_add_u32_e32 v10, v13, v10
	v_cndmask_b32_e32 v13, v18, v11, vcc
	v_cndmask_b32_e32 v11, v20, v11, vcc
	v_mov_b32_dpp v18, v10 row_shr:2 row_mask:0xf bank_mask:0xf
	v_cmp_eq_u32_e32 vcc, 0, v10
	v_mov_b32_dpp v11, v11 row_shr:2 row_mask:0xf bank_mask:0xf
	v_cndmask_b32_e64 v12, 0, v18, s[26:27]
	s_and_b64 vcc, s[26:27], vcc
	v_add_u32_e32 v10, v12, v10
	v_cndmask_b32_e32 v11, 0, v11, vcc
	v_add_u16_e32 v11, v13, v11
	ds_write_b32 v9, v10 offset:1040
	ds_write_b16 v9, v11 offset:1044
.LBB624_90:
	s_or_b64 exec, exec, s[38:39]
	v_cmp_gt_u32_e32 vcc, 64, v0
	v_cmp_lt_u32_e64 s[26:27], 63, v0
	v_mov_b32_e32 v22, 0
	v_mov_b32_e32 v23, 0
	s_waitcnt lgkmcnt(0)
	s_barrier
	s_and_saveexec_b64 s[38:39], s[26:27]
	s_cbranch_execz .LBB624_92
; %bb.91:
	ds_read_b32 v22, v8 offset:1032
	ds_read_u16 v23, v8 offset:1036
	v_cmp_eq_u32_e64 s[26:27], 0, v6
	s_waitcnt lgkmcnt(1)
	v_add_u32_e32 v8, v22, v6
	s_waitcnt lgkmcnt(0)
	v_cndmask_b32_e64 v6, 0, v23, s[26:27]
	v_add_u16_e32 v7, v6, v7
	v_mov_b32_e32 v6, v8
.LBB624_92:
	s_or_b64 exec, exec, s[38:39]
	v_add_u32_e32 v8, -1, v19
	v_and_b32_e32 v9, 64, v19
	v_cmp_lt_i32_e64 s[26:27], v8, v9
	v_cndmask_b32_e64 v8, v8, v19, s[26:27]
	v_and_b32_e32 v7, 0xffff, v7
	v_lshlrev_b32_e32 v8, 2, v8
	ds_bpermute_b32 v24, v8, v6
	ds_bpermute_b32 v25, v8, v7
	v_cmp_eq_u32_e64 s[26:27], 0, v19
	s_and_saveexec_b64 s[38:39], vcc
	s_cbranch_execz .LBB624_111
; %bb.93:
	v_mov_b32_e32 v9, 0
	ds_read_b64 v[6:7], v9 offset:1064
	s_waitcnt lgkmcnt(0)
	v_readfirstlane_b32 s7, v7
	s_and_saveexec_b64 s[40:41], s[26:27]
	s_cbranch_execz .LBB624_95
; %bb.94:
	s_add_i32 s46, s6, 64
	s_mov_b32 s47, 0
	s_lshl_b64 s[48:49], s[46:47], 4
	s_add_u32 s48, s44, s48
	s_addc_u32 s49, s45, s49
	s_and_b32 s51, s7, 0xff000000
	s_mov_b32 s50, s47
	s_and_b32 s57, s7, 0xff0000
	s_mov_b32 s56, s47
	s_or_b64 s[50:51], s[56:57], s[50:51]
	s_and_b32 s57, s7, 0xff00
	s_or_b64 s[50:51], s[50:51], s[56:57]
	s_and_b32 s57, s7, 0xff
	s_or_b64 s[46:47], s[50:51], s[56:57]
	v_mov_b32_e32 v7, s47
	v_mov_b32_e32 v8, 1
	v_pk_mov_b32 v[10:11], s[48:49], s[48:49] op_sel:[0,1]
	;;#ASMSTART
	global_store_dwordx4 v[10:11], v[6:9] off	
s_waitcnt vmcnt(0)
	;;#ASMEND
.LBB624_95:
	s_or_b64 exec, exec, s[40:41]
	v_xad_u32 v18, v19, -1, s6
	v_add_u32_e32 v8, 64, v18
	v_lshlrev_b64 v[10:11], 4, v[8:9]
	v_mov_b32_e32 v7, s45
	v_add_co_u32_e32 v20, vcc, s44, v10
	v_addc_co_u32_e32 v21, vcc, v7, v11, vcc
	;;#ASMSTART
	global_load_dwordx4 v[10:13], v[20:21] off glc	
s_waitcnt vmcnt(0)
	;;#ASMEND
	v_and_b32_e32 v7, 0xffffff, v10
	v_and_b32_e32 v8, 0xff000000, v10
	v_or_b32_e32 v7, v7, v8
	v_and_b32_e32 v8, 0xff, v11
	v_and_b32_e32 v10, 0xff00, v11
	v_or3_b32 v11, 0, v8, v10
	v_or3_b32 v10, v7, 0, 0
	v_cmp_eq_u16_sdwa s[46:47], v12, v9 src0_sel:BYTE_0 src1_sel:DWORD
	s_and_saveexec_b64 s[40:41], s[46:47]
	s_cbranch_execz .LBB624_99
; %bb.96:
	s_mov_b64 s[46:47], 0
	v_mov_b32_e32 v7, 0
.LBB624_97:                             ; =>This Inner Loop Header: Depth=1
	;;#ASMSTART
	global_load_dwordx4 v[10:13], v[20:21] off glc	
s_waitcnt vmcnt(0)
	;;#ASMEND
	v_cmp_ne_u16_sdwa s[48:49], v12, v7 src0_sel:BYTE_0 src1_sel:DWORD
	s_or_b64 s[46:47], s[48:49], s[46:47]
	s_andn2_b64 exec, exec, s[46:47]
	s_cbranch_execnz .LBB624_97
; %bb.98:
	s_or_b64 exec, exec, s[46:47]
	v_and_b32_e32 v11, 0xffff, v11
.LBB624_99:
	s_or_b64 exec, exec, s[40:41]
	v_mov_b32_e32 v7, 2
	v_and_b32_e32 v26, 63, v19
	v_cmp_eq_u16_sdwa s[40:41], v12, v7 src0_sel:BYTE_0 src1_sel:DWORD
	v_lshlrev_b64 v[8:9], v19, -1
	v_cmp_ne_u32_e32 vcc, 63, v26
	v_and_b32_e32 v13, s41, v9
	v_addc_co_u32_e32 v21, vcc, 0, v19, vcc
	v_or_b32_e32 v13, 0x80000000, v13
	v_lshlrev_b32_e32 v27, 2, v21
	v_and_b32_e32 v20, s40, v8
	v_ffbl_b32_e32 v13, v13
	ds_bpermute_b32 v21, v27, v11
	v_add_u32_e32 v13, 32, v13
	v_ffbl_b32_e32 v20, v20
	v_min_u32_e32 v13, v20, v13
	ds_bpermute_b32 v20, v27, v10
	v_cmp_eq_u32_e32 vcc, 0, v10
	s_waitcnt lgkmcnt(1)
	v_cndmask_b32_e32 v21, 0, v21, vcc
	v_add_u16_e32 v21, v21, v11
	v_cmp_lt_u32_e32 vcc, v26, v13
	v_cndmask_b32_e32 v11, v11, v21, vcc
	s_waitcnt lgkmcnt(0)
	v_cndmask_b32_e32 v20, 0, v20, vcc
	v_cmp_gt_u32_e32 vcc, 62, v26
	v_cndmask_b32_e64 v21, 0, 1, vcc
	v_lshlrev_b32_e32 v21, 1, v21
	v_add_lshl_u32 v28, v21, v19, 2
	ds_bpermute_b32 v21, v28, v11
	v_add_u32_e32 v10, v20, v10
	ds_bpermute_b32 v20, v28, v10
	v_cmp_eq_u32_e32 vcc, 0, v10
	v_add_u32_e32 v29, 2, v26
	s_waitcnt lgkmcnt(1)
	v_cndmask_b32_e32 v21, 0, v21, vcc
	v_add_u16_e32 v21, v21, v11
	v_cmp_gt_u32_e32 vcc, v29, v13
	v_cndmask_b32_e32 v11, v21, v11, vcc
	s_waitcnt lgkmcnt(0)
	v_cndmask_b32_e64 v20, v20, 0, vcc
	v_cmp_gt_u32_e32 vcc, 60, v26
	v_cndmask_b32_e64 v21, 0, 1, vcc
	v_lshlrev_b32_e32 v21, 2, v21
	v_add_lshl_u32 v30, v21, v19, 2
	ds_bpermute_b32 v21, v30, v11
	v_add_u32_e32 v10, v10, v20
	ds_bpermute_b32 v20, v30, v10
	v_cmp_eq_u32_e32 vcc, 0, v10
	v_add_u32_e32 v31, 4, v26
	s_waitcnt lgkmcnt(1)
	v_cndmask_b32_e32 v21, 0, v21, vcc
	v_add_u16_e32 v21, v11, v21
	v_cmp_gt_u32_e32 vcc, v31, v13
	v_cndmask_b32_e32 v11, v21, v11, vcc
	s_waitcnt lgkmcnt(0)
	v_cndmask_b32_e64 v20, v20, 0, vcc
	;; [unrolled: 16-line block ×4, first 2 shown]
	v_cmp_gt_u32_e32 vcc, 32, v26
	v_cndmask_b32_e64 v21, 0, 1, vcc
	v_lshlrev_b32_e32 v21, 5, v21
	v_add_lshl_u32 v38, v21, v19, 2
	ds_bpermute_b32 v19, v38, v11
	v_add_u32_e32 v10, v10, v20
	ds_bpermute_b32 v20, v38, v10
	v_add_u32_e32 v39, 32, v26
	v_cmp_eq_u32_e32 vcc, 0, v10
	s_waitcnt lgkmcnt(1)
	v_cndmask_b32_e32 v19, 0, v19, vcc
	v_cmp_gt_u32_e32 vcc, v39, v13
	v_cndmask_b32_e64 v13, v19, 0, vcc
	v_add_u16_e32 v11, v11, v13
	s_waitcnt lgkmcnt(0)
	v_cndmask_b32_e64 v13, v20, 0, vcc
	v_add_u32_e32 v10, v13, v10
	v_mov_b32_e32 v19, 0
	s_branch .LBB624_101
.LBB624_100:                            ;   in Loop: Header=BB624_101 Depth=1
	s_or_b64 exec, exec, s[40:41]
	v_cmp_eq_u16_sdwa s[40:41], v12, v7 src0_sel:BYTE_0 src1_sel:DWORD
	ds_bpermute_b32 v21, v27, v11
	v_and_b32_e32 v13, s41, v9
	v_or_b32_e32 v13, 0x80000000, v13
	v_and_b32_e32 v20, s40, v8
	v_ffbl_b32_e32 v13, v13
	v_add_u32_e32 v13, 32, v13
	v_ffbl_b32_e32 v20, v20
	v_cmp_eq_u32_e32 vcc, 0, v10
	v_min_u32_e32 v13, v20, v13
	ds_bpermute_b32 v20, v27, v10
	s_waitcnt lgkmcnt(1)
	v_cndmask_b32_e32 v21, 0, v21, vcc
	v_add_u16_e32 v21, v21, v11
	v_cmp_lt_u32_e32 vcc, v26, v13
	v_cndmask_b32_e32 v11, v11, v21, vcc
	ds_bpermute_b32 v21, v28, v11
	s_waitcnt lgkmcnt(1)
	v_cndmask_b32_e32 v20, 0, v20, vcc
	v_add_u32_e32 v10, v20, v10
	v_cmp_eq_u32_e32 vcc, 0, v10
	ds_bpermute_b32 v20, v28, v10
	s_waitcnt lgkmcnt(1)
	v_cndmask_b32_e32 v21, 0, v21, vcc
	v_add_u16_e32 v21, v21, v11
	v_cmp_gt_u32_e32 vcc, v29, v13
	v_cndmask_b32_e32 v11, v21, v11, vcc
	ds_bpermute_b32 v21, v30, v11
	s_waitcnt lgkmcnt(1)
	v_cndmask_b32_e64 v20, v20, 0, vcc
	v_add_u32_e32 v10, v10, v20
	v_cmp_eq_u32_e32 vcc, 0, v10
	ds_bpermute_b32 v20, v30, v10
	s_waitcnt lgkmcnt(1)
	v_cndmask_b32_e32 v21, 0, v21, vcc
	v_add_u16_e32 v21, v11, v21
	v_cmp_gt_u32_e32 vcc, v31, v13
	v_cndmask_b32_e32 v11, v21, v11, vcc
	ds_bpermute_b32 v21, v32, v11
	s_waitcnt lgkmcnt(1)
	v_cndmask_b32_e64 v20, v20, 0, vcc
	v_add_u32_e32 v10, v10, v20
	ds_bpermute_b32 v20, v32, v10
	v_cmp_eq_u32_e32 vcc, 0, v10
	s_waitcnt lgkmcnt(1)
	v_cndmask_b32_e32 v21, 0, v21, vcc
	v_add_u16_e32 v21, v11, v21
	v_cmp_gt_u32_e32 vcc, v33, v13
	v_cndmask_b32_e32 v11, v21, v11, vcc
	ds_bpermute_b32 v21, v35, v11
	s_waitcnt lgkmcnt(1)
	v_cndmask_b32_e64 v20, v20, 0, vcc
	v_add_u32_e32 v10, v10, v20
	ds_bpermute_b32 v20, v35, v10
	v_cmp_eq_u32_e32 vcc, 0, v10
	;; [unrolled: 11-line block ×3, first 2 shown]
	s_waitcnt lgkmcnt(1)
	v_cndmask_b32_e32 v21, 0, v21, vcc
	v_cmp_gt_u32_e32 vcc, v39, v13
	v_cndmask_b32_e64 v13, v21, 0, vcc
	v_add_u16_e32 v11, v11, v13
	s_waitcnt lgkmcnt(0)
	v_cndmask_b32_e64 v13, v20, 0, vcc
	v_cmp_eq_u32_e32 vcc, 0, v36
	v_cndmask_b32_e32 v11, 0, v11, vcc
	v_subrev_u32_e32 v18, 64, v18
	v_add3_u32 v10, v10, v36, v13
	v_add_u16_e32 v11, v11, v34
.LBB624_101:                            ; =>This Loop Header: Depth=1
                                        ;     Child Loop BB624_104 Depth 2
	v_cmp_ne_u16_sdwa s[40:41], v12, v7 src0_sel:BYTE_0 src1_sel:DWORD
	v_mov_b32_e32 v34, v11
	v_cndmask_b32_e64 v11, 0, 1, s[40:41]
	;;#ASMSTART
	;;#ASMEND
	v_cmp_ne_u32_e32 vcc, 0, v11
	s_cmp_lg_u64 vcc, exec
	v_mov_b32_e32 v36, v10
	s_cbranch_scc1 .LBB624_106
; %bb.102:                              ;   in Loop: Header=BB624_101 Depth=1
	v_lshlrev_b64 v[10:11], 4, v[18:19]
	v_mov_b32_e32 v12, s45
	v_add_co_u32_e32 v20, vcc, s44, v10
	v_addc_co_u32_e32 v21, vcc, v12, v11, vcc
	;;#ASMSTART
	global_load_dwordx4 v[10:13], v[20:21] off glc	
s_waitcnt vmcnt(0)
	;;#ASMEND
	v_and_b32_e32 v13, 0xffffff, v10
	v_and_b32_e32 v10, 0xff000000, v10
	v_or_b32_e32 v10, v13, v10
	v_and_b32_e32 v13, 0xff, v11
	v_and_b32_e32 v11, 0xff00, v11
	v_or3_b32 v11, 0, v13, v11
	v_or3_b32 v10, v10, 0, 0
	v_cmp_eq_u16_sdwa s[46:47], v12, v19 src0_sel:BYTE_0 src1_sel:DWORD
	s_and_saveexec_b64 s[40:41], s[46:47]
	s_cbranch_execz .LBB624_100
; %bb.103:                              ;   in Loop: Header=BB624_101 Depth=1
	s_mov_b64 s[46:47], 0
.LBB624_104:                            ;   Parent Loop BB624_101 Depth=1
                                        ; =>  This Inner Loop Header: Depth=2
	;;#ASMSTART
	global_load_dwordx4 v[10:13], v[20:21] off glc	
s_waitcnt vmcnt(0)
	;;#ASMEND
	v_cmp_ne_u16_sdwa s[48:49], v12, v19 src0_sel:BYTE_0 src1_sel:DWORD
	s_or_b64 s[46:47], s[48:49], s[46:47]
	s_andn2_b64 exec, exec, s[46:47]
	s_cbranch_execnz .LBB624_104
; %bb.105:                              ;   in Loop: Header=BB624_101 Depth=1
	s_or_b64 exec, exec, s[46:47]
	v_and_b32_e32 v11, 0xffff, v11
	s_branch .LBB624_100
.LBB624_106:                            ;   in Loop: Header=BB624_101 Depth=1
                                        ; implicit-def: $vgpr11
                                        ; implicit-def: $vgpr10
                                        ; implicit-def: $vgpr12
	s_cbranch_execz .LBB624_101
; %bb.107:
	s_and_saveexec_b64 s[40:41], s[26:27]
	s_cbranch_execz .LBB624_109
; %bb.108:
	s_mov_b32 s47, 0
	v_cmp_eq_u32_e32 vcc, 0, v6
	s_add_i32 s46, s6, 64
	v_cndmask_b32_e32 v7, 0, v34, vcc
	s_lshl_b64 s[46:47], s[46:47], 4
	v_add_u16_e32 v7, s7, v7
	s_add_u32 s46, s44, s46
	s_addc_u32 s47, s45, s47
	v_and_b32_e32 v9, 0xff00, v7
	v_add_u32_e32 v8, v36, v6
	v_mov_b32_e32 v11, 0
	v_or_b32_sdwa v9, v9, v7 dst_sel:DWORD dst_unused:UNUSED_PAD src0_sel:DWORD src1_sel:BYTE_0
	v_mov_b32_e32 v10, 2
	v_pk_mov_b32 v[12:13], s[46:47], s[46:47] op_sel:[0,1]
	;;#ASMSTART
	global_store_dwordx4 v[12:13], v[8:11] off	
s_waitcnt vmcnt(0)
	;;#ASMEND
	v_mov_b32_e32 v7, s7
	s_movk_i32 s6, 0x400
	ds_write_b16 v11, v7 offset:1028
	v_add_u32_e64 v7, s6, 0
	ds_write2_b32 v7, v6, v36 offset1:2
	ds_write_b16 v11, v34 offset:1036
.LBB624_109:
	s_or_b64 exec, exec, s[40:41]
	v_cmp_eq_u32_e32 vcc, 0, v0
	s_and_b64 exec, exec, vcc
	s_cbranch_execz .LBB624_111
; %bb.110:
	v_mov_b32_e32 v6, 0
	ds_write_b32 v6, v36 offset:1064
	ds_write_b16 v6, v34 offset:1068
.LBB624_111:
	s_or_b64 exec, exec, s[38:39]
	v_mov_b32_e32 v8, 0
	s_waitcnt lgkmcnt(0)
	s_barrier
	ds_read_b64 v[6:7], v8 offset:1064
	v_cndmask_b32_e64 v10, v24, v22, s[26:27]
	v_cmp_eq_u32_e32 vcc, 0, v10
	v_cndmask_b32_e64 v9, v25, v23, s[26:27]
	s_waitcnt lgkmcnt(0)
	v_cndmask_b32_e32 v11, 0, v7, vcc
	v_add_u16_e32 v9, v11, v9
	v_cmp_eq_u32_e32 vcc, 0, v0
	v_cndmask_b32_e32 v7, v9, v7, vcc
	v_cndmask_b32_e64 v9, v10, 0, vcc
	v_cmp_eq_u32_e32 vcc, 0, v68
	v_add_u32_e32 v48, v6, v9
	v_cndmask_b32_e32 v6, 0, v7, vcc
	v_add_u16_e32 v47, v6, v77
	v_cndmask_b32_e64 v6, 0, v47, s[24:25]
	v_add_u16_e32 v45, v6, v76
	v_cndmask_b32_e64 v6, 0, v45, s[22:23]
	v_add_u16_e32 v43, v6, v78
	v_cndmask_b32_e64 v6, 0, v43, s[20:21]
	v_add_u16_e32 v41, v6, v74
	v_cndmask_b32_e64 v6, 0, v41, s[18:19]
	v_add_u16_e32 v39, v6, v75
	v_cndmask_b32_e64 v6, 0, v39, s[16:17]
	v_add_u16_e32 v37, v6, v72
	v_cndmask_b32_e64 v6, 0, v37, s[14:15]
	v_add_u16_e32 v35, v6, v73
	v_cndmask_b32_e64 v6, 0, v35, s[12:13]
	v_add_u16_e32 v33, v6, v70
	v_cndmask_b32_e64 v6, 0, v33, s[10:11]
	v_add_u32_e32 v46, v48, v68
	v_add_u16_e32 v31, v6, v71
	v_add_u32_e32 v44, v46, v66
	v_cndmask_b32_e64 v6, 0, v31, s[8:9]
	v_add_u32_e32 v42, v44, v65
	v_add_u16_e32 v29, v6, v53
	v_add_u32_e32 v40, v42, v64
	v_cndmask_b32_e64 v6, 0, v29, s[28:29]
	;; [unrolled: 4-line block ×3, first 2 shown]
	v_and_b32_e32 v49, 0xffff, v7
	v_add_u32_e32 v34, v36, v61
	v_add_u16_e32 v25, v6, v51
	s_barrier
	ds_read_b128 v[6:9], v8 offset:1024
	v_add_u32_e32 v32, v34, v60
	v_add_u32_e32 v30, v32, v59
	;; [unrolled: 1-line block ×4, first 2 shown]
	v_cndmask_b32_e64 v10, 0, v25, s[2:3]
	v_add_u32_e32 v24, v26, v56
	v_add_u16_e32 v23, v10, v52
	s_waitcnt lgkmcnt(0)
	v_cmp_eq_u32_e32 vcc, 0, v6
	v_add_u32_e32 v22, v24, v55
	v_cndmask_b32_e64 v10, 0, v23, s[0:1]
	v_cndmask_b32_e32 v9, 0, v9, vcc
	v_add_u32_e32 v20, v22, v54
	v_add_u16_e32 v21, v10, v50
	v_add_u32_e32 v67, v9, v7
	s_branch .LBB624_124
.LBB624_112:
                                        ; implicit-def: $vgpr6
                                        ; implicit-def: $vgpr67
                                        ; implicit-def: $vgpr48_vgpr49
                                        ; implicit-def: $vgpr46_vgpr47
                                        ; implicit-def: $vgpr44_vgpr45
                                        ; implicit-def: $vgpr42_vgpr43
                                        ; implicit-def: $vgpr40_vgpr41
                                        ; implicit-def: $vgpr38_vgpr39
                                        ; implicit-def: $vgpr36_vgpr37
                                        ; implicit-def: $vgpr34_vgpr35
                                        ; implicit-def: $vgpr32_vgpr33
                                        ; implicit-def: $vgpr30_vgpr31
                                        ; implicit-def: $vgpr28_vgpr29
                                        ; implicit-def: $vgpr26_vgpr27
                                        ; implicit-def: $vgpr24_vgpr25
                                        ; implicit-def: $vgpr22_vgpr23
                                        ; implicit-def: $vgpr20_vgpr21
	s_cbranch_execz .LBB624_124
; %bb.113:
	s_and_b64 s[0:1], s[30:31], exec
	s_cselect_b32 s1, 0, s61
	s_cselect_b32 s0, 0, s60
	s_cmp_eq_u64 s[0:1], 0
	v_mov_b32_e32 v7, v77
	s_cbranch_scc1 .LBB624_115
; %bb.114:
	v_mov_b32_e32 v6, 0
	global_load_ushort v7, v6, s[0:1]
.LBB624_115:
	v_cmp_eq_u32_e64 s[0:1], 0, v66
	v_cndmask_b32_e64 v6, 0, v77, s[0:1]
	v_add_u16_e32 v6, v6, v76
	v_cmp_eq_u32_e64 s[2:3], 0, v65
	v_cndmask_b32_e64 v6, 0, v6, s[2:3]
	v_add_u16_e32 v6, v6, v78
	;; [unrolled: 3-line block ×11, first 2 shown]
	v_cmp_eq_u32_e64 s[22:23], 0, v55
	v_cndmask_b32_e64 v6, 0, v6, s[22:23]
	v_add3_u32 v8, v83, v62, v61
	v_add_u16_e32 v6, v6, v52
	v_cmp_eq_u32_e32 vcc, 0, v54
	v_add3_u32 v8, v8, v60, v59
	v_cndmask_b32_e32 v6, 0, v6, vcc
	v_add3_u32 v8, v8, v58, v57
	v_add_u16_e32 v6, v6, v50
	v_cmp_eq_u32_e64 s[24:25], 0, v17
	v_add3_u32 v8, v8, v56, v55
	v_cndmask_b32_e64 v6, 0, v6, s[24:25]
	v_add3_u32 v8, v8, v54, v17
	v_add_u16_e32 v9, v6, v79
	v_mbcnt_hi_u32_b32 v6, -1, v82
	v_and_b32_e32 v10, 15, v6
	v_mov_b32_dpp v12, v9 row_shr:1 row_mask:0xf bank_mask:0xf
	v_cmp_eq_u32_e64 s[24:25], 0, v8
	v_mov_b32_dpp v11, v8 row_shr:1 row_mask:0xf bank_mask:0xf
	v_cndmask_b32_e64 v12, 0, v12, s[24:25]
	v_cmp_eq_u32_e64 s[24:25], 0, v10
	v_add_u16_e32 v12, v12, v9
	v_cndmask_b32_e64 v11, v11, 0, s[24:25]
	v_add_u32_e32 v8, v11, v8
	v_cndmask_b32_e64 v9, v12, v9, s[24:25]
	v_cmp_eq_u32_e64 s[24:25], 0, v8
	v_mov_b32_dpp v11, v8 row_shr:2 row_mask:0xf bank_mask:0xf
	v_mov_b32_dpp v12, v9 row_shr:2 row_mask:0xf bank_mask:0xf
	v_cndmask_b32_e64 v12, 0, v12, s[24:25]
	v_cmp_lt_u32_e64 s[24:25], 1, v10
	v_add_u16_e32 v12, v12, v9
	v_cndmask_b32_e64 v11, 0, v11, s[24:25]
	v_cndmask_b32_e64 v9, v9, v12, s[24:25]
	v_add_u32_e32 v8, v8, v11
	v_cmp_eq_u32_e64 s[24:25], 0, v8
	v_mov_b32_dpp v12, v9 row_shr:4 row_mask:0xf bank_mask:0xf
	v_mov_b32_dpp v11, v8 row_shr:4 row_mask:0xf bank_mask:0xf
	v_cndmask_b32_e64 v12, 0, v12, s[24:25]
	v_cmp_lt_u32_e64 s[24:25], 3, v10
	v_add_u16_e32 v12, v12, v9
	v_cndmask_b32_e64 v11, 0, v11, s[24:25]
	v_cndmask_b32_e64 v9, v9, v12, s[24:25]
	v_add_u32_e32 v8, v11, v8
	v_cmp_eq_u32_e64 s[24:25], 0, v8
	v_mov_b32_dpp v12, v9 row_shr:8 row_mask:0xf bank_mask:0xf
	v_mov_b32_dpp v11, v8 row_shr:8 row_mask:0xf bank_mask:0xf
	v_cndmask_b32_e64 v12, 0, v12, s[24:25]
	v_cmp_lt_u32_e64 s[24:25], 7, v10
	v_add_u16_e32 v12, v12, v9
	v_cndmask_b32_e64 v10, 0, v11, s[24:25]
	v_cndmask_b32_e64 v9, v9, v12, s[24:25]
	v_add_u32_e32 v8, v10, v8
	v_bfe_i32 v12, v6, 4, 1
	v_mov_b32_dpp v11, v9 row_bcast:15 row_mask:0xf bank_mask:0xf
	v_mov_b32_dpp v10, v8 row_bcast:15 row_mask:0xf bank_mask:0xf
	v_cmp_eq_u32_e64 s[24:25], 0, v8
	v_and_b32_e32 v13, 16, v6
	v_cndmask_b32_e64 v11, 0, v11, s[24:25]
	v_and_b32_e32 v10, v12, v10
	v_add_u16_e32 v11, v11, v9
	v_add_u32_e32 v8, v10, v8
	v_cmp_eq_u32_e64 s[24:25], 0, v13
	v_cndmask_b32_e64 v9, v11, v9, s[24:25]
	v_mov_b32_dpp v10, v8 row_bcast:31 row_mask:0xf bank_mask:0xf
	v_cmp_eq_u32_e64 s[24:25], 0, v8
	v_cmp_lt_u32_e64 s[26:27], 31, v6
	v_mov_b32_dpp v11, v9 row_bcast:31 row_mask:0xf bank_mask:0xf
	v_cndmask_b32_e64 v10, 0, v10, s[26:27]
	s_and_b64 s[24:25], s[26:27], s[24:25]
	v_add_u32_e32 v8, v10, v8
	v_cndmask_b32_e64 v10, 0, v11, s[24:25]
	v_add_u16_e32 v9, v10, v9
	v_cmp_eq_u32_e64 s[24:25], v81, v0
	v_lshlrev_b32_e32 v11, 3, v80
	s_and_saveexec_b64 s[26:27], s[24:25]
	s_cbranch_execz .LBB624_117
; %bb.116:
	ds_write_b32 v11, v8 offset:1040
	ds_write_b16 v11, v9 offset:1044
.LBB624_117:
	s_or_b64 exec, exec, s[26:27]
	v_cmp_gt_u32_e64 s[24:25], 4, v0
	s_waitcnt lgkmcnt(0)
	s_barrier
	s_and_saveexec_b64 s[28:29], s[24:25]
	s_cbranch_execz .LBB624_119
; %bb.118:
	v_lshlrev_b32_e32 v10, 3, v0
	ds_read_b64 v[12:13], v10 offset:1040
	v_and_b32_e32 v18, 3, v6
	s_mov_b32 s26, 0xffff0000
	s_waitcnt lgkmcnt(0)
	v_mov_b32_dpp v20, v13 row_shr:1 row_mask:0xf bank_mask:0xf
	v_cmp_eq_u32_e64 s[24:25], 0, v12
	v_mov_b32_dpp v19, v12 row_shr:1 row_mask:0xf bank_mask:0xf
	v_cndmask_b32_e64 v20, 0, v20, s[24:25]
	v_cmp_eq_u32_e64 s[24:25], 0, v18
	v_add_u16_e32 v20, v20, v13
	v_cndmask_b32_e64 v19, v19, 0, s[24:25]
	v_and_or_b32 v21, v13, s26, v20
	v_add_u32_e32 v12, v19, v12
	v_cndmask_b32_e64 v19, v20, v13, s[24:25]
	v_cndmask_b32_e64 v13, v21, v13, s[24:25]
	v_mov_b32_dpp v20, v12 row_shr:2 row_mask:0xf bank_mask:0xf
	v_cmp_eq_u32_e64 s[24:25], 0, v12
	v_cmp_lt_u32_e64 s[26:27], 1, v18
	v_mov_b32_dpp v13, v13 row_shr:2 row_mask:0xf bank_mask:0xf
	v_cndmask_b32_e64 v18, 0, v20, s[26:27]
	s_and_b64 s[24:25], s[26:27], s[24:25]
	v_add_u32_e32 v12, v18, v12
	v_cndmask_b32_e64 v13, 0, v13, s[24:25]
	v_add_u16_e32 v13, v19, v13
	ds_write_b32 v10, v12 offset:1040
	ds_write_b16 v10, v13 offset:1044
.LBB624_119:
	s_or_b64 exec, exec, s[28:29]
	v_cmp_lt_u32_e64 s[24:25], 63, v0
	v_mov_b32_e32 v10, 0
	v_mov_b32_e32 v12, 0
	s_waitcnt vmcnt(0)
	v_mov_b32_e32 v13, v7
	s_waitcnt lgkmcnt(0)
	s_barrier
	s_and_saveexec_b64 s[26:27], s[24:25]
	s_cbranch_execz .LBB624_121
; %bb.120:
	ds_read_b32 v12, v11 offset:1032
	ds_read_u16 v11, v11 offset:1036
	s_waitcnt lgkmcnt(1)
	v_cmp_eq_u32_e64 s[24:25], 0, v12
	v_cndmask_b32_e64 v13, 0, v7, s[24:25]
	s_waitcnt lgkmcnt(0)
	v_add_u16_e32 v13, v13, v11
.LBB624_121:
	s_or_b64 exec, exec, s[26:27]
	v_cmp_eq_u32_e64 s[24:25], 0, v8
	v_add_u32_e32 v11, v12, v8
	v_cndmask_b32_e64 v8, 0, v13, s[24:25]
	v_add_u16_e32 v8, v8, v9
	v_add_u32_e32 v9, -1, v6
	v_and_b32_e32 v18, 64, v6
	v_cmp_lt_i32_e64 s[24:25], v9, v18
	v_cndmask_b32_e64 v9, v9, v6, s[24:25]
	v_lshlrev_b32_e32 v9, 2, v9
	ds_bpermute_b32 v11, v9, v11
	ds_bpermute_b32 v8, v9, v8
	v_cmp_eq_u32_e64 s[24:25], 0, v6
	v_cmp_eq_u32_e64 s[26:27], 0, v68
	s_waitcnt lgkmcnt(1)
	v_cndmask_b32_e64 v6, v11, v12, s[24:25]
	s_waitcnt lgkmcnt(0)
	v_cndmask_b32_e64 v8, v8, v13, s[24:25]
	v_cmp_eq_u32_e64 s[24:25], 0, v0
	v_cndmask_b32_e64 v8, v8, v7, s[24:25]
	v_cndmask_b32_e64 v48, v6, 0, s[24:25]
	;; [unrolled: 1-line block ×3, first 2 shown]
	v_add_u16_e32 v47, v6, v77
	v_cndmask_b32_e64 v6, 0, v47, s[0:1]
	v_add_u16_e32 v45, v6, v76
	v_cndmask_b32_e64 v6, 0, v45, s[2:3]
	;; [unrolled: 2-line block ×9, first 2 shown]
	v_add_u32_e32 v46, v48, v68
	v_add_u16_e32 v29, v6, v53
	v_add_u32_e32 v44, v46, v66
	v_cndmask_b32_e64 v6, 0, v29, s[18:19]
	v_add_u32_e32 v42, v44, v65
	v_add_u16_e32 v27, v6, v69
	v_add_u32_e32 v40, v42, v64
	v_cndmask_b32_e64 v6, 0, v27, s[20:21]
	;; [unrolled: 4-line block ×3, first 2 shown]
	v_add_u32_e32 v34, v36, v61
	v_add_u16_e32 v23, v6, v52
	ds_read_b32 v6, v10 offset:1064
	v_add_u32_e32 v32, v34, v60
	v_and_b32_e32 v49, 0xffff, v8
	ds_read_u16 v8, v10 offset:1068
	v_add_u32_e32 v30, v32, v59
	v_add_u32_e32 v28, v30, v58
	v_add_u32_e32 v26, v28, v57
	v_add_u32_e32 v24, v26, v56
	v_cndmask_b32_e32 v9, 0, v23, vcc
	s_waitcnt lgkmcnt(1)
	v_cmp_eq_u32_e32 vcc, 0, v6
	v_add_u32_e32 v22, v24, v55
	v_cndmask_b32_e32 v7, 0, v7, vcc
	v_add_u32_e32 v20, v22, v54
	v_add_u16_e32 v21, v9, v50
	s_waitcnt lgkmcnt(0)
	v_add_u16_e32 v67, v7, v8
	s_and_saveexec_b64 s[0:1], s[24:25]
	s_cbranch_execz .LBB624_123
; %bb.122:
	s_add_u32 s2, s44, 0x400
	s_addc_u32 s3, s45, 0
	v_and_b32_e32 v7, 0xff00, v67
	v_mov_b32_e32 v9, 0
	v_or_b32_sdwa v7, v7, v67 dst_sel:DWORD dst_unused:UNUSED_PAD src0_sel:DWORD src1_sel:BYTE_0
	v_mov_b32_e32 v8, 2
	v_pk_mov_b32 v[10:11], s[2:3], s[2:3] op_sel:[0,1]
	;;#ASMSTART
	global_store_dwordx4 v[10:11], v[6:9] off	
s_waitcnt vmcnt(0)
	;;#ASMEND
.LBB624_123:
	s_or_b64 exec, exec, s[0:1]
	v_mov_b32_e32 v8, 0
.LBB624_124:
	s_and_b64 s[0:1], s[30:31], exec
	s_cselect_b32 s1, 0, s59
	s_cselect_b32 s0, 0, s58
	s_cmp_eq_u64 s[0:1], 0
	v_pk_mov_b32 v[18:19], 0, 0
	s_barrier
	s_cbranch_scc1 .LBB624_126
; %bb.125:
	v_mov_b32_e32 v7, 0
	global_load_dwordx2 v[18:19], v7, s[0:1]
.LBB624_126:
	s_waitcnt vmcnt(0)
	v_lshlrev_b64 v[50:51], 1, v[18:19]
	v_mov_b32_e32 v7, s43
	v_add_co_u32_e32 v10, vcc, s42, v50
	v_mov_b32_e32 v9, 0
	v_addc_co_u32_e32 v11, vcc, v7, v51, vcc
	v_lshlrev_b64 v[52:53], 1, v[8:9]
	v_add_co_u32_e32 v7, vcc, v10, v52
	v_addc_co_u32_e32 v9, vcc, v11, v53, vcc
	v_cmp_eq_u32_e32 vcc, 0, v68
	v_cndmask_b32_e64 v10, 1, 2, vcc
	v_cmp_eq_u32_e32 vcc, 0, v66
	v_cndmask_b32_e64 v11, 1, 2, vcc
	v_cmp_eq_u32_e32 vcc, 0, v65
	v_and_b32_e32 v10, v11, v10
	v_cndmask_b32_e64 v11, 1, 2, vcc
	v_cmp_eq_u32_e32 vcc, 0, v64
	v_and_b32_e32 v10, v10, v11
	;; [unrolled: 3-line block ×13, first 2 shown]
	v_cndmask_b32_e64 v11, 1, 2, vcc
	s_movk_i32 s30, 0x100
	v_and_b32_e32 v10, v10, v11
	v_cmp_gt_u32_e32 vcc, s30, v6
	v_cmp_ne_u32_e64 s[28:29], 0, v68
	v_cmp_ne_u32_e64 s[26:27], 0, v66
	;; [unrolled: 1-line block ×15, first 2 shown]
	s_mov_b64 s[38:39], -1
	v_cmp_gt_i16_e64 s[30:31], 2, v10
	s_cbranch_vccz .LBB624_133
; %bb.127:
	s_and_saveexec_b64 s[38:39], s[30:31]
	s_cbranch_execz .LBB624_132
; %bb.128:
	v_cmp_ne_u16_e32 vcc, 1, v10
	s_mov_b64 s[40:41], 0
	s_and_saveexec_b64 s[30:31], vcc
	s_xor_b64 s[30:31], exec, s[30:31]
	s_cbranch_execnz .LBB624_189
; %bb.129:
	s_andn2_saveexec_b64 s[30:31], s[30:31]
	s_cbranch_execnz .LBB624_205
.LBB624_130:
	s_or_b64 exec, exec, s[30:31]
	s_and_b64 exec, exec, s[40:41]
	s_cbranch_execz .LBB624_132
.LBB624_131:
	v_sub_u32_e32 v12, v20, v8
	v_mov_b32_e32 v13, 0
	v_lshlrev_b64 v[12:13], 1, v[12:13]
	v_add_co_u32_e32 v12, vcc, v7, v12
	v_addc_co_u32_e32 v13, vcc, v9, v13, vcc
	global_store_short_d16_hi v[12:13], v16, off
.LBB624_132:
	s_or_b64 exec, exec, s[38:39]
	s_mov_b64 s[38:39], 0
.LBB624_133:
	s_and_b64 vcc, exec, s[38:39]
	s_cbranch_vccz .LBB624_155
; %bb.134:
	v_cmp_gt_i16_e32 vcc, 2, v10
	s_and_saveexec_b64 s[30:31], vcc
	s_cbranch_execz .LBB624_139
; %bb.135:
	v_cmp_ne_u16_e32 vcc, 1, v10
	s_mov_b64 s[40:41], 0
	s_and_saveexec_b64 s[38:39], vcc
	s_xor_b64 s[38:39], exec, s[38:39]
	s_cbranch_execnz .LBB624_206
; %bb.136:
	s_andn2_saveexec_b64 s[0:1], s[38:39]
	s_cbranch_execnz .LBB624_222
.LBB624_137:
	s_or_b64 exec, exec, s[0:1]
	s_and_b64 exec, exec, s[40:41]
	s_cbranch_execz .LBB624_139
.LBB624_138:
	v_sub_u32_e32 v1, v20, v8
	v_lshlrev_b32_e32 v1, 1, v1
	ds_write_b16_d16_hi v1, v16
.LBB624_139:
	s_or_b64 exec, exec, s[30:31]
	v_cmp_lt_u32_e32 vcc, v0, v6
	s_waitcnt lgkmcnt(0)
	s_barrier
	s_and_saveexec_b64 s[2:3], vcc
	s_cbranch_execz .LBB624_154
; %bb.140:
	v_xad_u32 v1, v0, -1, v6
	s_movk_i32 s0, 0x1700
	v_cmp_gt_u32_e64 s[4:5], s0, v1
	s_movk_i32 s0, 0x16ff
	v_cmp_lt_u32_e32 vcc, s0, v1
	v_mov_b32_e32 v2, v0
	s_and_saveexec_b64 s[6:7], vcc
	s_cbranch_execz .LBB624_151
; %bb.141:
	v_sub_u32_e32 v2, v0, v6
	v_or_b32_e32 v2, 0xff, v2
	v_cmp_ge_u32_e32 vcc, v2, v0
	s_mov_b64 s[0:1], -1
	v_mov_b32_e32 v2, v0
	s_and_saveexec_b64 s[8:9], vcc
	s_cbranch_execz .LBB624_150
; %bb.142:
	v_lshrrev_b32_e32 v14, 8, v1
	v_or_b32_e32 v3, 0x300, v0
	v_or_b32_e32 v2, 0x200, v0
	v_add_u32_e32 v4, -3, v14
	v_or_b32_e32 v1, 0x100, v0
	v_lshrrev_b32_e32 v5, 2, v4
	v_pk_mov_b32 v[12:13], v[2:3], v[2:3] op_sel:[0,1]
	v_add_u32_e32 v15, 1, v5
	v_cmp_lt_u32_e32 vcc, 11, v4
	v_mov_b32_e32 v70, 0
	v_pk_mov_b32 v[10:11], v[0:1], v[0:1] op_sel:[0,1]
	s_and_saveexec_b64 s[10:11], vcc
	s_cbranch_execz .LBB624_146
; %bb.143:
	v_pk_mov_b32 v[12:13], v[2:3], v[2:3] op_sel:[0,1]
	v_and_b32_e32 v16, 0x7ffffffc, v15
	v_lshlrev_b32_e32 v69, 1, v0
	s_mov_b32 s14, 0
	s_mov_b64 s[12:13], 0
	v_mov_b32_e32 v5, 0
	v_pk_mov_b32 v[10:11], v[0:1], v[0:1] op_sel:[0,1]
.LBB624_144:                            ; =>This Inner Loop Header: Depth=1
	v_mov_b32_e32 v4, v10
	v_lshlrev_b64 v[86:87], 1, v[4:5]
	v_add_u32_e32 v72, 0x400, v11
	v_mov_b32_e32 v73, v5
	v_add_co_u32_e64 v86, s[0:1], v7, v86
	v_lshlrev_b64 v[72:73], 1, v[72:73]
	v_addc_co_u32_e64 v87, s[0:1], v9, v87, s[0:1]
	v_add_u32_e32 v70, 0x400, v12
	v_mov_b32_e32 v71, v5
	v_add_co_u32_e64 v72, s[0:1], v7, v72
	v_lshlrev_b64 v[88:89], 1, v[70:71]
	v_addc_co_u32_e64 v73, s[0:1], v9, v73, s[0:1]
	v_add_u32_e32 v2, 0x400, v13
	v_mov_b32_e32 v3, v5
	v_add_co_u32_e64 v88, s[0:1], v7, v88
	v_add_u32_e32 v16, -4, v16
	v_mov_b32_e32 v4, v11
	v_lshlrev_b64 v[2:3], 1, v[2:3]
	v_addc_co_u32_e64 v89, s[0:1], v9, v89, s[0:1]
	v_add_u32_e32 v78, 0x800, v11
	v_mov_b32_e32 v79, v5
	s_add_i32 s14, s14, 16
	v_cmp_eq_u32_e32 vcc, 0, v16
	v_lshlrev_b64 v[90:91], 1, v[4:5]
	v_add_co_u32_e64 v2, s[0:1], v7, v2
	v_lshlrev_b64 v[78:79], 1, v[78:79]
	v_mov_b32_e32 v4, v12
	v_addc_co_u32_e64 v3, s[0:1], v9, v3, s[0:1]
	s_or_b64 s[12:13], vcc, s[12:13]
	v_add_co_u32_e32 v90, vcc, v7, v90
	v_add_u32_e32 v76, 0x800, v12
	v_mov_b32_e32 v77, v5
	v_add_co_u32_e64 v78, s[0:1], v7, v78
	v_addc_co_u32_e32 v91, vcc, v9, v91, vcc
	v_lshlrev_b64 v[92:93], 1, v[4:5]
	v_lshlrev_b64 v[76:77], 1, v[76:77]
	v_addc_co_u32_e64 v79, s[0:1], v9, v79, s[0:1]
	v_mov_b32_e32 v4, v13
	v_add_co_u32_e32 v92, vcc, v7, v92
	ds_read_u16 v1, v69
	ds_read_u16 v96, v69 offset:512
	ds_read_u16 v97, v69 offset:1024
	;; [unrolled: 1-line block ×7, first 2 shown]
	v_add_u32_e32 v74, 0x800, v13
	v_mov_b32_e32 v75, v5
	v_add_co_u32_e64 v76, s[0:1], v7, v76
	v_addc_co_u32_e32 v93, vcc, v9, v93, vcc
	v_lshlrev_b64 v[94:95], 1, v[4:5]
	v_lshlrev_b64 v[74:75], 1, v[74:75]
	v_addc_co_u32_e64 v77, s[0:1], v9, v77, s[0:1]
	v_add_u32_e32 v4, 0x400, v10
	v_add_co_u32_e32 v94, vcc, v7, v94
	v_add_u32_e32 v84, 0xc00, v11
	v_mov_b32_e32 v85, v5
	ds_read_u16 v103, v69 offset:4096
	ds_read_u16 v104, v69 offset:4608
	;; [unrolled: 1-line block ×8, first 2 shown]
	v_add_co_u32_e64 v74, s[0:1], v7, v74
	v_addc_co_u32_e32 v95, vcc, v9, v95, vcc
	s_waitcnt lgkmcnt(14)
	global_store_short v[86:87], v1, off
	global_store_short v[90:91], v96, off
	s_waitcnt lgkmcnt(13)
	global_store_short v[92:93], v97, off
	v_lshlrev_b64 v[86:87], 1, v[4:5]
	v_lshlrev_b64 v[84:85], 1, v[84:85]
	v_addc_co_u32_e64 v75, s[0:1], v9, v75, s[0:1]
	v_add_u32_e32 v4, 0x800, v10
	v_add_co_u32_e32 v86, vcc, v7, v86
	v_add_u32_e32 v82, 0xc00, v12
	v_mov_b32_e32 v83, v5
	v_add_co_u32_e64 v84, s[0:1], v7, v84
	v_addc_co_u32_e32 v87, vcc, v9, v87, vcc
	v_lshlrev_b64 v[90:91], 1, v[4:5]
	v_lshlrev_b64 v[82:83], 1, v[82:83]
	v_addc_co_u32_e64 v85, s[0:1], v9, v85, s[0:1]
	s_waitcnt lgkmcnt(12)
	global_store_short v[94:95], v98, off
	v_add_u32_e32 v4, 0xc00, v10
	s_waitcnt lgkmcnt(11)
	global_store_short v[86:87], v99, off
	s_waitcnt lgkmcnt(10)
	global_store_short v[72:73], v100, off
	s_waitcnt lgkmcnt(9)
	global_store_short v[88:89], v101, off
	s_waitcnt lgkmcnt(8)
	global_store_short v[2:3], v102, off
	v_add_co_u32_e32 v2, vcc, v7, v90
	v_add_u32_e32 v80, 0xc00, v13
	v_mov_b32_e32 v81, v5
	v_add_co_u32_e64 v82, s[0:1], v7, v82
	v_addc_co_u32_e32 v3, vcc, v9, v91, vcc
	v_lshlrev_b64 v[72:73], 1, v[4:5]
	v_lshlrev_b64 v[80:81], 1, v[80:81]
	v_addc_co_u32_e64 v83, s[0:1], v9, v83, s[0:1]
	s_waitcnt lgkmcnt(7)
	global_store_short v[2:3], v103, off
	s_waitcnt lgkmcnt(6)
	global_store_short v[78:79], v104, off
	;; [unrolled: 2-line block ×4, first 2 shown]
	v_add_co_u32_e32 v2, vcc, v7, v72
	v_add_u32_e32 v69, 0x2000, v69
	v_add_u32_e32 v11, 0x1000, v11
	v_mov_b32_e32 v70, s14
	v_add_co_u32_e64 v80, s[0:1], v7, v80
	v_add_u32_e32 v12, 0x1000, v12
	v_add_u32_e32 v13, 0x1000, v13
	;; [unrolled: 1-line block ×3, first 2 shown]
	v_addc_co_u32_e32 v3, vcc, v9, v73, vcc
	v_addc_co_u32_e64 v81, s[0:1], v9, v81, s[0:1]
	s_waitcnt lgkmcnt(3)
	global_store_short v[2:3], v107, off
	s_waitcnt lgkmcnt(2)
	global_store_short v[84:85], v108, off
	;; [unrolled: 2-line block ×4, first 2 shown]
	s_andn2_b64 exec, exec, s[12:13]
	s_cbranch_execnz .LBB624_144
; %bb.145:
	s_or_b64 exec, exec, s[12:13]
.LBB624_146:
	s_or_b64 exec, exec, s[10:11]
	v_and_b32_e32 v1, 3, v15
	v_cmp_ne_u32_e32 vcc, 0, v1
	s_and_saveexec_b64 s[10:11], vcc
	s_cbranch_execz .LBB624_149
; %bb.147:
	v_lshlrev_b32_e32 v2, 1, v0
	v_lshl_or_b32 v4, v70, 9, v2
	s_mov_b64 s[12:13], 0
	v_mov_b32_e32 v3, 0
.LBB624_148:                            ; =>This Inner Loop Header: Depth=1
	v_mov_b32_e32 v2, v10
	v_add_u32_e32 v1, -1, v1
	v_lshlrev_b64 v[70:71], 1, v[2:3]
	v_mov_b32_e32 v2, v11
	v_cmp_eq_u32_e32 vcc, 0, v1
	v_lshlrev_b64 v[72:73], 1, v[2:3]
	ds_read_u16 v5, v4
	ds_read_u16 v15, v4 offset:512
	ds_read_u16 v16, v4 offset:1024
	ds_read_u16 v69, v4 offset:1536
	v_mov_b32_e32 v2, v12
	s_or_b64 s[12:13], vcc, s[12:13]
	v_add_co_u32_e32 v72, vcc, v7, v72
	v_addc_co_u32_e32 v73, vcc, v9, v73, vcc
	v_lshlrev_b64 v[74:75], 1, v[2:3]
	v_mov_b32_e32 v2, v13
	v_add_co_u32_e32 v74, vcc, v7, v74
	v_add_co_u32_e64 v70, s[0:1], v7, v70
	v_addc_co_u32_e32 v75, vcc, v9, v75, vcc
	v_lshlrev_b64 v[76:77], 1, v[2:3]
	v_add_u32_e32 v10, 0x400, v10
	v_add_u32_e32 v4, 0x800, v4
	;; [unrolled: 1-line block ×3, first 2 shown]
	v_addc_co_u32_e64 v71, s[0:1], v9, v71, s[0:1]
	v_add_u32_e32 v12, 0x400, v12
	v_add_u32_e32 v13, 0x400, v13
	v_add_co_u32_e32 v76, vcc, v7, v76
	v_addc_co_u32_e32 v77, vcc, v9, v77, vcc
	s_waitcnt lgkmcnt(3)
	global_store_short v[70:71], v5, off
	s_waitcnt lgkmcnt(2)
	global_store_short v[72:73], v15, off
	;; [unrolled: 2-line block ×4, first 2 shown]
	s_andn2_b64 exec, exec, s[12:13]
	s_cbranch_execnz .LBB624_148
.LBB624_149:
	s_or_b64 exec, exec, s[10:11]
	v_add_u32_e32 v1, 1, v14
	v_and_b32_e32 v3, 0x1fffffc, v1
	v_cmp_ne_u32_e32 vcc, v1, v3
	v_lshl_or_b32 v2, v3, 8, v0
	s_orn2_b64 s[0:1], vcc, exec
.LBB624_150:
	s_or_b64 exec, exec, s[8:9]
	s_andn2_b64 s[4:5], s[4:5], exec
	s_and_b64 s[0:1], s[0:1], exec
	s_or_b64 s[4:5], s[4:5], s[0:1]
.LBB624_151:
	s_or_b64 exec, exec, s[6:7]
	s_and_b64 exec, exec, s[4:5]
	s_cbranch_execz .LBB624_154
; %bb.152:
	v_lshlrev_b32_e32 v1, 1, v2
	s_mov_b64 s[0:1], 0
	v_mov_b32_e32 v3, 0
.LBB624_153:                            ; =>This Inner Loop Header: Depth=1
	v_lshlrev_b64 v[4:5], 1, v[2:3]
	ds_read_u16 v10, v1
	v_add_co_u32_e32 v4, vcc, v7, v4
	v_add_u32_e32 v2, 0x100, v2
	v_addc_co_u32_e32 v5, vcc, v9, v5, vcc
	v_cmp_ge_u32_e32 vcc, v2, v6
	v_add_u32_e32 v1, 0x200, v1
	s_or_b64 s[0:1], vcc, s[0:1]
	s_waitcnt lgkmcnt(0)
	global_store_short v[4:5], v10, off
	s_andn2_b64 exec, exec, s[0:1]
	s_cbranch_execnz .LBB624_153
.LBB624_154:
	s_or_b64 exec, exec, s[2:3]
.LBB624_155:
	s_cmpk_lg_i32 s33, 0xf00
	s_cselect_b64 s[0:1], -1, 0
	v_cndmask_b32_e64 v1, 0, 1, s[36:37]
	s_and_b64 s[0:1], s[34:35], s[0:1]
	v_cmp_eq_u32_e32 vcc, 0, v0
	v_sub_u32_e32 v3, v6, v1
	v_cndmask_b32_e64 v2, 0, 1, s[0:1]
	s_and_b64 s[0:1], vcc, s[36:37]
	v_add_u32_e32 v7, v3, v2
	v_cndmask_b32_e64 v3, v68, 0, s[0:1]
	s_mul_hi_u32 s0, s33, 0x88888889
	s_lshr_b32 s0, s0, 3
	v_mad_i32_i24 v4, v0, -15, s33
	v_cmp_eq_u32_e32 vcc, s0, v0
	v_cmp_ne_u32_e64 s[0:1], 0, v4
	v_cndmask_b32_e64 v5, 1, v3, s[0:1]
	v_cmp_ne_u32_e64 s[0:1], 1, v4
	v_cndmask_b32_e64 v9, 1, v66, s[0:1]
	;; [unrolled: 2-line block ×15, first 2 shown]
	s_and_b64 vcc, s[34:35], vcc
	v_cndmask_b32_e32 v4, v17, v4, vcc
	v_cndmask_b32_e32 v17, v54, v72, vcc
	;; [unrolled: 1-line block ×15, first 2 shown]
	v_mov_b32_e32 v3, s53
	v_add_co_u32_e32 v9, vcc, s52, v50
	v_addc_co_u32_e32 v3, vcc, v3, v51, vcc
	v_add_co_u32_e32 v9, vcc, v9, v52
	v_addc_co_u32_e32 v14, vcc, v3, v53, vcc
	v_lshlrev_b32_e32 v3, 1, v1
	v_add_co_u32_e32 v3, vcc, v3, v9
	v_addc_co_u32_e32 v16, vcc, 0, v14, vcc
	v_add_co_u32_e32 v15, vcc, -2, v3
	v_addc_co_u32_e32 v16, vcc, -1, v16, vcc
	v_cmp_eq_u32_e32 vcc, 0, v5
	v_cmp_ne_u32_e64 s[28:29], 0, v5
	v_cndmask_b32_e64 v5, 1, 2, vcc
	v_cmp_eq_u32_e32 vcc, 0, v61
	v_cndmask_b32_e64 v50, 1, 2, vcc
	v_cmp_eq_u32_e32 vcc, 0, v10
	v_and_b32_e32 v5, v50, v5
	v_cmp_ne_u32_e64 s[24:25], 0, v10
	v_cndmask_b32_e64 v10, 1, 2, vcc
	v_cmp_eq_u32_e32 vcc, 0, v11
	v_and_b32_e32 v5, v5, v10
	v_cndmask_b32_e64 v10, 1, 2, vcc
	v_cmp_eq_u32_e32 vcc, 0, v12
	v_and_b32_e32 v5, v5, v10
	;; [unrolled: 3-line block ×12, first 2 shown]
	v_cmp_ne_u32_e64 s[0:1], 0, v4
	v_cndmask_b32_e64 v4, 1, 2, vcc
	s_movk_i32 s30, 0x100
	v_and_b32_e32 v4, v5, v4
	v_cmp_gt_u32_e32 vcc, s30, v7
	v_add_u32_e32 v3, v8, v1
	v_cmp_ne_u32_e64 s[26:27], 0, v61
	v_cmp_ne_u32_e64 s[22:23], 0, v11
	;; [unrolled: 1-line block ×12, first 2 shown]
	s_mov_b64 s[36:37], -1
	v_cmp_gt_i16_e64 s[30:31], 2, v4
	s_barrier
	s_cbranch_vccz .LBB624_162
; %bb.156:
	s_and_saveexec_b64 s[36:37], s[30:31]
	s_cbranch_execz .LBB624_161
; %bb.157:
	v_cmp_ne_u16_e32 vcc, 1, v4
	s_mov_b64 s[38:39], 0
	s_and_saveexec_b64 s[30:31], vcc
	s_xor_b64 s[30:31], exec, s[30:31]
	s_cbranch_execnz .LBB624_223
; %bb.158:
	s_andn2_saveexec_b64 s[30:31], s[30:31]
	s_cbranch_execnz .LBB624_239
.LBB624_159:
	s_or_b64 exec, exec, s[30:31]
	s_and_b64 exec, exec, s[38:39]
	s_cbranch_execz .LBB624_161
.LBB624_160:
	v_sub_u32_e32 v10, v20, v3
	v_mov_b32_e32 v11, 0
	v_lshlrev_b64 v[10:11], 1, v[10:11]
	v_add_co_u32_e32 v10, vcc, v15, v10
	v_addc_co_u32_e32 v11, vcc, v16, v11, vcc
	global_store_short v[10:11], v21, off
.LBB624_161:
	s_or_b64 exec, exec, s[36:37]
	s_mov_b64 s[36:37], 0
.LBB624_162:
	s_and_b64 vcc, exec, s[36:37]
	s_cbranch_vccz .LBB624_184
; %bb.163:
	v_cmp_gt_i16_e32 vcc, 2, v4
	s_and_saveexec_b64 s[30:31], vcc
	s_cbranch_execz .LBB624_168
; %bb.164:
	v_cmp_ne_u16_e32 vcc, 1, v4
	s_mov_b64 s[38:39], 0
	s_and_saveexec_b64 s[36:37], vcc
	s_xor_b64 s[36:37], exec, s[36:37]
	s_cbranch_execnz .LBB624_240
; %bb.165:
	s_andn2_saveexec_b64 s[0:1], s[36:37]
	s_cbranch_execnz .LBB624_256
.LBB624_166:
	s_or_b64 exec, exec, s[0:1]
	s_and_b64 exec, exec, s[38:39]
	s_cbranch_execz .LBB624_168
.LBB624_167:
	v_sub_u32_e32 v3, v20, v3
	v_lshlrev_b32_e32 v3, 1, v3
	ds_write_b16 v3, v21
.LBB624_168:
	s_or_b64 exec, exec, s[30:31]
	v_cmp_lt_u32_e32 vcc, v0, v7
	s_waitcnt lgkmcnt(0)
	s_barrier
	s_and_saveexec_b64 s[2:3], vcc
	s_cbranch_execz .LBB624_183
; %bb.169:
	v_add_u32_e32 v4, v6, v2
	v_xad_u32 v2, v0, -1, v4
	v_sub_u32_e32 v3, v2, v1
	s_movk_i32 s0, 0x1b00
	v_cmp_gt_u32_e64 s[4:5], s0, v3
	s_movk_i32 s0, 0x1aff
	v_cmp_lt_u32_e32 vcc, s0, v3
	v_mov_b32_e32 v2, v0
	s_and_saveexec_b64 s[6:7], vcc
	s_cbranch_execz .LBB624_180
; %bb.170:
	v_sub_u32_e32 v2, v0, v4
	v_add_u32_e32 v1, v2, v1
	v_or_b32_e32 v1, 0xff, v1
	v_cmp_ge_u32_e32 vcc, v1, v0
	s_mov_b64 s[0:1], -1
	v_mov_b32_e32 v2, v0
	s_and_saveexec_b64 s[8:9], vcc
	s_cbranch_execz .LBB624_179
; %bb.171:
	v_lshrrev_b32_e32 v17, 8, v3
	v_or_b32_e32 v3, 0x300, v0
	v_or_b32_e32 v2, 0x200, v0
	v_add_u32_e32 v4, -3, v17
	v_or_b32_e32 v1, 0x100, v0
	v_lshrrev_b32_e32 v5, 2, v4
	v_pk_mov_b32 v[12:13], v[2:3], v[2:3] op_sel:[0,1]
	v_add_u32_e32 v21, 1, v5
	v_cmp_lt_u32_e32 vcc, 11, v4
	v_mov_b32_e32 v24, 0
	v_lshlrev_b32_e32 v20, 1, v0
	v_pk_mov_b32 v[10:11], v[0:1], v[0:1] op_sel:[0,1]
	s_and_saveexec_b64 s[10:11], vcc
	s_cbranch_execz .LBB624_175
; %bb.172:
	v_pk_mov_b32 v[12:13], v[2:3], v[2:3] op_sel:[0,1]
	v_and_b32_e32 v22, 0x7ffffffc, v21
	s_mov_b32 s14, 0
	s_mov_b64 s[12:13], 0
	v_mov_b32_e32 v5, 0
	v_mov_b32_e32 v23, v20
	v_pk_mov_b32 v[10:11], v[0:1], v[0:1] op_sel:[0,1]
.LBB624_173:                            ; =>This Inner Loop Header: Depth=1
	v_mov_b32_e32 v4, v10
	v_lshlrev_b64 v[40:41], 1, v[4:5]
	v_add_u32_e32 v26, 0x400, v11
	v_mov_b32_e32 v27, v5
	v_add_co_u32_e64 v40, s[0:1], v15, v40
	v_lshlrev_b64 v[26:27], 1, v[26:27]
	v_addc_co_u32_e64 v41, s[0:1], v16, v41, s[0:1]
	v_add_u32_e32 v24, 0x400, v12
	v_mov_b32_e32 v25, v5
	v_add_co_u32_e64 v26, s[0:1], v15, v26
	v_lshlrev_b64 v[42:43], 1, v[24:25]
	v_addc_co_u32_e64 v27, s[0:1], v16, v27, s[0:1]
	v_add_u32_e32 v2, 0x400, v13
	v_mov_b32_e32 v3, v5
	v_add_co_u32_e64 v42, s[0:1], v15, v42
	v_add_u32_e32 v22, -4, v22
	v_mov_b32_e32 v4, v11
	v_lshlrev_b64 v[2:3], 1, v[2:3]
	v_addc_co_u32_e64 v43, s[0:1], v16, v43, s[0:1]
	v_add_u32_e32 v32, 0x800, v11
	v_mov_b32_e32 v33, v5
	s_add_i32 s14, s14, 16
	v_cmp_eq_u32_e32 vcc, 0, v22
	v_lshlrev_b64 v[44:45], 1, v[4:5]
	v_add_co_u32_e64 v2, s[0:1], v15, v2
	v_lshlrev_b64 v[32:33], 1, v[32:33]
	v_mov_b32_e32 v4, v12
	v_addc_co_u32_e64 v3, s[0:1], v16, v3, s[0:1]
	s_or_b64 s[12:13], vcc, s[12:13]
	v_add_co_u32_e32 v44, vcc, v15, v44
	v_add_u32_e32 v30, 0x800, v12
	v_mov_b32_e32 v31, v5
	v_add_co_u32_e64 v32, s[0:1], v15, v32
	v_addc_co_u32_e32 v45, vcc, v16, v45, vcc
	v_lshlrev_b64 v[46:47], 1, v[4:5]
	v_lshlrev_b64 v[30:31], 1, v[30:31]
	v_addc_co_u32_e64 v33, s[0:1], v16, v33, s[0:1]
	v_mov_b32_e32 v4, v13
	v_add_co_u32_e32 v46, vcc, v15, v46
	ds_read_u16 v1, v23
	ds_read_u16 v50, v23 offset:512
	ds_read_u16 v51, v23 offset:1024
	;; [unrolled: 1-line block ×7, first 2 shown]
	v_add_u32_e32 v28, 0x800, v13
	v_mov_b32_e32 v29, v5
	v_add_co_u32_e64 v30, s[0:1], v15, v30
	v_addc_co_u32_e32 v47, vcc, v16, v47, vcc
	v_lshlrev_b64 v[48:49], 1, v[4:5]
	v_lshlrev_b64 v[28:29], 1, v[28:29]
	v_addc_co_u32_e64 v31, s[0:1], v16, v31, s[0:1]
	v_add_u32_e32 v4, 0x400, v10
	v_add_co_u32_e32 v48, vcc, v15, v48
	v_add_u32_e32 v38, 0xc00, v11
	v_mov_b32_e32 v39, v5
	ds_read_u16 v57, v23 offset:4096
	ds_read_u16 v58, v23 offset:4608
	;; [unrolled: 1-line block ×8, first 2 shown]
	v_add_co_u32_e64 v28, s[0:1], v15, v28
	v_addc_co_u32_e32 v49, vcc, v16, v49, vcc
	s_waitcnt lgkmcnt(14)
	global_store_short v[40:41], v1, off
	global_store_short v[44:45], v50, off
	s_waitcnt lgkmcnt(13)
	global_store_short v[46:47], v51, off
	v_lshlrev_b64 v[40:41], 1, v[4:5]
	v_lshlrev_b64 v[38:39], 1, v[38:39]
	v_addc_co_u32_e64 v29, s[0:1], v16, v29, s[0:1]
	v_add_u32_e32 v4, 0x800, v10
	v_add_co_u32_e32 v40, vcc, v15, v40
	v_add_u32_e32 v36, 0xc00, v12
	v_mov_b32_e32 v37, v5
	v_add_co_u32_e64 v38, s[0:1], v15, v38
	v_addc_co_u32_e32 v41, vcc, v16, v41, vcc
	v_lshlrev_b64 v[44:45], 1, v[4:5]
	v_lshlrev_b64 v[36:37], 1, v[36:37]
	v_addc_co_u32_e64 v39, s[0:1], v16, v39, s[0:1]
	s_waitcnt lgkmcnt(12)
	global_store_short v[48:49], v52, off
	v_add_u32_e32 v4, 0xc00, v10
	s_waitcnt lgkmcnt(11)
	global_store_short v[40:41], v53, off
	s_waitcnt lgkmcnt(10)
	global_store_short v[26:27], v54, off
	;; [unrolled: 2-line block ×4, first 2 shown]
	v_add_co_u32_e32 v2, vcc, v15, v44
	v_add_u32_e32 v34, 0xc00, v13
	v_mov_b32_e32 v35, v5
	v_add_co_u32_e64 v36, s[0:1], v15, v36
	v_addc_co_u32_e32 v3, vcc, v16, v45, vcc
	v_lshlrev_b64 v[26:27], 1, v[4:5]
	v_lshlrev_b64 v[34:35], 1, v[34:35]
	v_addc_co_u32_e64 v37, s[0:1], v16, v37, s[0:1]
	s_waitcnt lgkmcnt(7)
	global_store_short v[2:3], v57, off
	s_waitcnt lgkmcnt(6)
	global_store_short v[32:33], v58, off
	;; [unrolled: 2-line block ×4, first 2 shown]
	v_add_co_u32_e32 v2, vcc, v15, v26
	v_add_u32_e32 v23, 0x2000, v23
	v_add_u32_e32 v11, 0x1000, v11
	v_mov_b32_e32 v24, s14
	v_add_co_u32_e64 v34, s[0:1], v15, v34
	v_add_u32_e32 v12, 0x1000, v12
	v_add_u32_e32 v13, 0x1000, v13
	;; [unrolled: 1-line block ×3, first 2 shown]
	v_addc_co_u32_e32 v3, vcc, v16, v27, vcc
	v_addc_co_u32_e64 v35, s[0:1], v16, v35, s[0:1]
	s_waitcnt lgkmcnt(3)
	global_store_short v[2:3], v61, off
	s_waitcnt lgkmcnt(2)
	global_store_short v[38:39], v62, off
	;; [unrolled: 2-line block ×4, first 2 shown]
	s_andn2_b64 exec, exec, s[12:13]
	s_cbranch_execnz .LBB624_173
; %bb.174:
	s_or_b64 exec, exec, s[12:13]
.LBB624_175:
	s_or_b64 exec, exec, s[10:11]
	v_and_b32_e32 v1, 3, v21
	v_cmp_ne_u32_e32 vcc, 0, v1
	s_and_saveexec_b64 s[10:11], vcc
	s_cbranch_execz .LBB624_178
; %bb.176:
	v_lshl_or_b32 v4, v24, 9, v20
	s_mov_b64 s[12:13], 0
	v_mov_b32_e32 v3, 0
.LBB624_177:                            ; =>This Inner Loop Header: Depth=1
	v_mov_b32_e32 v2, v10
	v_add_u32_e32 v1, -1, v1
	v_lshlrev_b64 v[20:21], 1, v[2:3]
	v_mov_b32_e32 v2, v11
	v_cmp_eq_u32_e32 vcc, 0, v1
	v_lshlrev_b64 v[22:23], 1, v[2:3]
	ds_read_u16 v5, v4
	ds_read_u16 v28, v4 offset:512
	ds_read_u16 v29, v4 offset:1024
	;; [unrolled: 1-line block ×3, first 2 shown]
	v_mov_b32_e32 v2, v12
	s_or_b64 s[12:13], vcc, s[12:13]
	v_add_co_u32_e32 v22, vcc, v15, v22
	v_addc_co_u32_e32 v23, vcc, v16, v23, vcc
	v_lshlrev_b64 v[24:25], 1, v[2:3]
	v_mov_b32_e32 v2, v13
	v_add_co_u32_e32 v24, vcc, v15, v24
	v_add_co_u32_e64 v20, s[0:1], v15, v20
	v_addc_co_u32_e32 v25, vcc, v16, v25, vcc
	v_lshlrev_b64 v[26:27], 1, v[2:3]
	v_add_u32_e32 v10, 0x400, v10
	v_add_u32_e32 v4, 0x800, v4
	;; [unrolled: 1-line block ×3, first 2 shown]
	v_addc_co_u32_e64 v21, s[0:1], v16, v21, s[0:1]
	v_add_u32_e32 v12, 0x400, v12
	v_add_u32_e32 v13, 0x400, v13
	v_add_co_u32_e32 v26, vcc, v15, v26
	v_addc_co_u32_e32 v27, vcc, v16, v27, vcc
	s_waitcnt lgkmcnt(3)
	global_store_short v[20:21], v5, off
	s_waitcnt lgkmcnt(2)
	global_store_short v[22:23], v28, off
	s_waitcnt lgkmcnt(1)
	global_store_short v[24:25], v29, off
	s_waitcnt lgkmcnt(0)
	global_store_short v[26:27], v30, off
	s_andn2_b64 exec, exec, s[12:13]
	s_cbranch_execnz .LBB624_177
.LBB624_178:
	s_or_b64 exec, exec, s[10:11]
	v_add_u32_e32 v1, 1, v17
	v_and_b32_e32 v3, 0x1fffffc, v1
	v_cmp_ne_u32_e32 vcc, v1, v3
	v_lshl_or_b32 v2, v3, 8, v0
	s_orn2_b64 s[0:1], vcc, exec
.LBB624_179:
	s_or_b64 exec, exec, s[8:9]
	s_andn2_b64 s[4:5], s[4:5], exec
	s_and_b64 s[0:1], s[0:1], exec
	s_or_b64 s[4:5], s[4:5], s[0:1]
.LBB624_180:
	s_or_b64 exec, exec, s[6:7]
	s_and_b64 exec, exec, s[4:5]
	s_cbranch_execz .LBB624_183
; %bb.181:
	v_lshlrev_b32_e32 v1, 1, v2
	s_mov_b64 s[0:1], 0
	v_mov_b32_e32 v3, 0
.LBB624_182:                            ; =>This Inner Loop Header: Depth=1
	v_lshlrev_b64 v[4:5], 1, v[2:3]
	ds_read_u16 v10, v1
	v_add_co_u32_e32 v4, vcc, v15, v4
	v_add_u32_e32 v2, 0x100, v2
	v_addc_co_u32_e32 v5, vcc, v16, v5, vcc
	v_cmp_ge_u32_e32 vcc, v2, v7
	v_add_u32_e32 v1, 0x200, v1
	s_or_b64 s[0:1], vcc, s[0:1]
	s_waitcnt lgkmcnt(0)
	global_store_short v[4:5], v10, off
	s_andn2_b64 exec, exec, s[0:1]
	s_cbranch_execnz .LBB624_182
.LBB624_183:
	s_or_b64 exec, exec, s[2:3]
.LBB624_184:
	s_movk_i32 s0, 0xff
	v_cmp_eq_u32_e32 vcc, s0, v0
	s_and_b64 s[0:1], vcc, s[34:35]
	s_and_saveexec_b64 s[2:3], s[0:1]
	s_cbranch_execz .LBB624_187
; %bb.185:
	v_add_co_u32_e32 v0, vcc, v6, v8
	v_addc_co_u32_e64 v1, s[0:1], 0, 0, vcc
	v_add_co_u32_e32 v0, vcc, v0, v18
	v_mov_b32_e32 v7, 0
	v_addc_co_u32_e32 v1, vcc, v1, v19, vcc
	s_cmpk_lg_i32 s33, 0xf00
	global_store_dwordx2 v7, v[0:1], s[54:55]
	s_cbranch_scc1 .LBB624_187
; %bb.186:
	v_lshlrev_b64 v[0:1], 1, v[6:7]
	v_add_co_u32_e32 v0, vcc, v9, v0
	v_addc_co_u32_e32 v1, vcc, v14, v1, vcc
	global_store_short v[0:1], v67, off offset:-2
.LBB624_187:
	s_endpgm
.LBB624_188:
	s_or_b64 exec, exec, s[2:3]
	v_mov_b32_e32 v68, s12
	s_and_saveexec_b64 s[2:3], s[4:5]
	s_cbranch_execnz .LBB624_84
	s_branch .LBB624_85
.LBB624_189:
	s_and_saveexec_b64 s[40:41], s[28:29]
	s_cbranch_execnz .LBB624_257
; %bb.190:
	s_or_b64 exec, exec, s[40:41]
	s_and_saveexec_b64 s[40:41], s[26:27]
	s_cbranch_execnz .LBB624_258
.LBB624_191:
	s_or_b64 exec, exec, s[40:41]
	s_and_saveexec_b64 s[40:41], s[24:25]
	s_cbranch_execnz .LBB624_259
.LBB624_192:
	s_or_b64 exec, exec, s[40:41]
	s_and_saveexec_b64 s[40:41], s[22:23]
	s_cbranch_execnz .LBB624_260
.LBB624_193:
	s_or_b64 exec, exec, s[40:41]
	s_and_saveexec_b64 s[40:41], s[20:21]
	s_cbranch_execnz .LBB624_261
.LBB624_194:
	s_or_b64 exec, exec, s[40:41]
	s_and_saveexec_b64 s[40:41], s[18:19]
	s_cbranch_execnz .LBB624_262
.LBB624_195:
	s_or_b64 exec, exec, s[40:41]
	s_and_saveexec_b64 s[40:41], s[16:17]
	s_cbranch_execnz .LBB624_263
.LBB624_196:
	s_or_b64 exec, exec, s[40:41]
	s_and_saveexec_b64 s[40:41], s[14:15]
	s_cbranch_execnz .LBB624_264
.LBB624_197:
	s_or_b64 exec, exec, s[40:41]
	s_and_saveexec_b64 s[40:41], s[12:13]
	s_cbranch_execnz .LBB624_265
.LBB624_198:
	s_or_b64 exec, exec, s[40:41]
	s_and_saveexec_b64 s[40:41], s[10:11]
	s_cbranch_execnz .LBB624_266
.LBB624_199:
	s_or_b64 exec, exec, s[40:41]
	s_and_saveexec_b64 s[40:41], s[8:9]
	s_cbranch_execnz .LBB624_267
.LBB624_200:
	s_or_b64 exec, exec, s[40:41]
	s_and_saveexec_b64 s[40:41], s[6:7]
	s_cbranch_execnz .LBB624_268
.LBB624_201:
	s_or_b64 exec, exec, s[40:41]
	s_and_saveexec_b64 s[40:41], s[4:5]
	s_cbranch_execnz .LBB624_269
.LBB624_202:
	s_or_b64 exec, exec, s[40:41]
	s_and_saveexec_b64 s[40:41], s[2:3]
	s_cbranch_execz .LBB624_204
.LBB624_203:
	v_sub_u32_e32 v12, v22, v8
	v_mov_b32_e32 v13, 0
	v_lshlrev_b64 v[12:13], 1, v[12:13]
	v_add_co_u32_e32 v12, vcc, v7, v12
	v_addc_co_u32_e32 v13, vcc, v9, v13, vcc
	global_store_short v[12:13], v16, off
.LBB624_204:
	s_or_b64 exec, exec, s[40:41]
	s_and_b64 s[40:41], s[0:1], exec
	s_andn2_saveexec_b64 s[30:31], s[30:31]
	s_cbranch_execz .LBB624_130
.LBB624_205:
	v_sub_u32_e32 v12, v48, v8
	v_mov_b32_e32 v13, 0
	v_lshlrev_b64 v[70:71], 1, v[12:13]
	v_add_co_u32_e32 v70, vcc, v7, v70
	v_addc_co_u32_e32 v71, vcc, v9, v71, vcc
	v_sub_u32_e32 v12, v46, v8
	global_store_short v[70:71], v1, off
	v_lshlrev_b64 v[70:71], 1, v[12:13]
	v_add_co_u32_e32 v70, vcc, v7, v70
	v_addc_co_u32_e32 v71, vcc, v9, v71, vcc
	v_sub_u32_e32 v12, v44, v8
	global_store_short v[70:71], v2, off
	v_lshlrev_b64 v[70:71], 1, v[12:13]
	v_add_co_u32_e32 v70, vcc, v7, v70
	v_addc_co_u32_e32 v71, vcc, v9, v71, vcc
	v_sub_u32_e32 v12, v42, v8
	global_store_short_d16_hi v[70:71], v2, off
	v_lshlrev_b64 v[70:71], 1, v[12:13]
	v_add_co_u32_e32 v70, vcc, v7, v70
	v_addc_co_u32_e32 v71, vcc, v9, v71, vcc
	v_sub_u32_e32 v12, v40, v8
	global_store_short v[70:71], v3, off
	v_lshlrev_b64 v[70:71], 1, v[12:13]
	v_add_co_u32_e32 v70, vcc, v7, v70
	v_addc_co_u32_e32 v71, vcc, v9, v71, vcc
	v_sub_u32_e32 v12, v38, v8
	global_store_short_d16_hi v[70:71], v3, off
	v_lshlrev_b64 v[70:71], 1, v[12:13]
	v_add_co_u32_e32 v70, vcc, v7, v70
	v_addc_co_u32_e32 v71, vcc, v9, v71, vcc
	v_sub_u32_e32 v12, v36, v8
	global_store_short v[70:71], v4, off
	v_lshlrev_b64 v[70:71], 1, v[12:13]
	v_add_co_u32_e32 v70, vcc, v7, v70
	v_addc_co_u32_e32 v71, vcc, v9, v71, vcc
	v_sub_u32_e32 v12, v34, v8
	global_store_short_d16_hi v[70:71], v4, off
	v_lshlrev_b64 v[70:71], 1, v[12:13]
	v_add_co_u32_e32 v70, vcc, v7, v70
	v_addc_co_u32_e32 v71, vcc, v9, v71, vcc
	v_sub_u32_e32 v12, v32, v8
	global_store_short v[70:71], v5, off
	v_lshlrev_b64 v[70:71], 1, v[12:13]
	v_add_co_u32_e32 v70, vcc, v7, v70
	v_addc_co_u32_e32 v71, vcc, v9, v71, vcc
	v_sub_u32_e32 v12, v30, v8
	global_store_short_d16_hi v[70:71], v5, off
	v_lshlrev_b64 v[70:71], 1, v[12:13]
	v_add_co_u32_e32 v70, vcc, v7, v70
	v_addc_co_u32_e32 v71, vcc, v9, v71, vcc
	v_sub_u32_e32 v12, v28, v8
	global_store_short v[70:71], v14, off
	v_lshlrev_b64 v[70:71], 1, v[12:13]
	v_add_co_u32_e32 v70, vcc, v7, v70
	v_addc_co_u32_e32 v71, vcc, v9, v71, vcc
	v_sub_u32_e32 v12, v26, v8
	global_store_short_d16_hi v[70:71], v14, off
	v_lshlrev_b64 v[70:71], 1, v[12:13]
	v_add_co_u32_e32 v70, vcc, v7, v70
	v_addc_co_u32_e32 v71, vcc, v9, v71, vcc
	v_sub_u32_e32 v12, v24, v8
	global_store_short v[70:71], v15, off
	v_lshlrev_b64 v[70:71], 1, v[12:13]
	v_add_co_u32_e32 v70, vcc, v7, v70
	v_sub_u32_e32 v12, v22, v8
	v_addc_co_u32_e32 v71, vcc, v9, v71, vcc
	v_lshlrev_b64 v[12:13], 1, v[12:13]
	v_add_co_u32_e32 v12, vcc, v7, v12
	v_addc_co_u32_e32 v13, vcc, v9, v13, vcc
	s_or_b64 s[40:41], s[40:41], exec
	global_store_short_d16_hi v[70:71], v15, off
	global_store_short v[12:13], v16, off
	s_or_b64 exec, exec, s[30:31]
	s_and_b64 exec, exec, s[40:41]
	s_cbranch_execnz .LBB624_131
	s_branch .LBB624_132
.LBB624_206:
	s_and_saveexec_b64 s[40:41], s[28:29]
	s_cbranch_execnz .LBB624_270
; %bb.207:
	s_or_b64 exec, exec, s[40:41]
	s_and_saveexec_b64 s[28:29], s[26:27]
	s_cbranch_execnz .LBB624_271
.LBB624_208:
	s_or_b64 exec, exec, s[28:29]
	s_and_saveexec_b64 s[26:27], s[24:25]
	s_cbranch_execnz .LBB624_272
.LBB624_209:
	s_or_b64 exec, exec, s[26:27]
	s_and_saveexec_b64 s[24:25], s[22:23]
	s_cbranch_execnz .LBB624_273
.LBB624_210:
	s_or_b64 exec, exec, s[24:25]
	s_and_saveexec_b64 s[22:23], s[20:21]
	s_cbranch_execnz .LBB624_274
.LBB624_211:
	s_or_b64 exec, exec, s[22:23]
	s_and_saveexec_b64 s[20:21], s[18:19]
	s_cbranch_execnz .LBB624_275
.LBB624_212:
	s_or_b64 exec, exec, s[20:21]
	s_and_saveexec_b64 s[18:19], s[16:17]
	s_cbranch_execnz .LBB624_276
.LBB624_213:
	s_or_b64 exec, exec, s[18:19]
	s_and_saveexec_b64 s[16:17], s[14:15]
	s_cbranch_execnz .LBB624_277
.LBB624_214:
	s_or_b64 exec, exec, s[16:17]
	s_and_saveexec_b64 s[14:15], s[12:13]
	s_cbranch_execnz .LBB624_278
.LBB624_215:
	s_or_b64 exec, exec, s[14:15]
	s_and_saveexec_b64 s[12:13], s[10:11]
	s_cbranch_execnz .LBB624_279
.LBB624_216:
	s_or_b64 exec, exec, s[12:13]
	s_and_saveexec_b64 s[10:11], s[8:9]
	s_cbranch_execnz .LBB624_280
.LBB624_217:
	s_or_b64 exec, exec, s[10:11]
	s_and_saveexec_b64 s[8:9], s[6:7]
	s_cbranch_execnz .LBB624_281
.LBB624_218:
	s_or_b64 exec, exec, s[8:9]
	s_and_saveexec_b64 s[6:7], s[4:5]
	s_cbranch_execnz .LBB624_282
.LBB624_219:
	s_or_b64 exec, exec, s[6:7]
	s_and_saveexec_b64 s[4:5], s[2:3]
	s_cbranch_execz .LBB624_221
.LBB624_220:
	v_sub_u32_e32 v1, v22, v8
	v_lshlrev_b32_e32 v1, 1, v1
	ds_write_b16 v1, v16
.LBB624_221:
	s_or_b64 exec, exec, s[4:5]
	s_and_b64 s[40:41], s[0:1], exec
                                        ; implicit-def: $vgpr1
                                        ; implicit-def: $vgpr2
	s_andn2_saveexec_b64 s[0:1], s[38:39]
	s_cbranch_execz .LBB624_137
.LBB624_222:
	v_sub_u32_e32 v10, v48, v8
	v_lshlrev_b32_e32 v10, 1, v10
	ds_write_b16 v10, v1
	v_sub_u32_e32 v1, v46, v8
	v_lshlrev_b32_e32 v1, 1, v1
	ds_write_b16 v1, v2
	v_sub_u32_e32 v1, v44, v8
	v_lshlrev_b32_e32 v1, 1, v1
	ds_write_b16_d16_hi v1, v2
	v_sub_u32_e32 v1, v42, v8
	v_lshlrev_b32_e32 v1, 1, v1
	ds_write_b16 v1, v3
	v_sub_u32_e32 v1, v40, v8
	v_lshlrev_b32_e32 v1, 1, v1
	ds_write_b16_d16_hi v1, v3
	;; [unrolled: 6-line block ×6, first 2 shown]
	v_sub_u32_e32 v1, v22, v8
	v_lshlrev_b32_e32 v1, 1, v1
	s_or_b64 s[40:41], s[40:41], exec
	ds_write_b16 v1, v16
	s_or_b64 exec, exec, s[0:1]
	s_and_b64 exec, exec, s[40:41]
	s_cbranch_execnz .LBB624_138
	s_branch .LBB624_139
.LBB624_223:
	s_and_saveexec_b64 s[38:39], s[28:29]
	s_cbranch_execnz .LBB624_283
; %bb.224:
	s_or_b64 exec, exec, s[38:39]
	s_and_saveexec_b64 s[38:39], s[26:27]
	s_cbranch_execnz .LBB624_284
.LBB624_225:
	s_or_b64 exec, exec, s[38:39]
	s_and_saveexec_b64 s[38:39], s[24:25]
	s_cbranch_execnz .LBB624_285
.LBB624_226:
	s_or_b64 exec, exec, s[38:39]
	s_and_saveexec_b64 s[38:39], s[22:23]
	s_cbranch_execnz .LBB624_286
.LBB624_227:
	s_or_b64 exec, exec, s[38:39]
	s_and_saveexec_b64 s[38:39], s[20:21]
	s_cbranch_execnz .LBB624_287
.LBB624_228:
	s_or_b64 exec, exec, s[38:39]
	s_and_saveexec_b64 s[38:39], s[18:19]
	s_cbranch_execnz .LBB624_288
.LBB624_229:
	s_or_b64 exec, exec, s[38:39]
	s_and_saveexec_b64 s[38:39], s[16:17]
	s_cbranch_execnz .LBB624_289
.LBB624_230:
	s_or_b64 exec, exec, s[38:39]
	s_and_saveexec_b64 s[38:39], s[14:15]
	s_cbranch_execnz .LBB624_290
.LBB624_231:
	s_or_b64 exec, exec, s[38:39]
	s_and_saveexec_b64 s[38:39], s[12:13]
	s_cbranch_execnz .LBB624_291
.LBB624_232:
	s_or_b64 exec, exec, s[38:39]
	s_and_saveexec_b64 s[38:39], s[10:11]
	s_cbranch_execnz .LBB624_292
.LBB624_233:
	s_or_b64 exec, exec, s[38:39]
	s_and_saveexec_b64 s[38:39], s[8:9]
	s_cbranch_execnz .LBB624_293
.LBB624_234:
	s_or_b64 exec, exec, s[38:39]
	s_and_saveexec_b64 s[38:39], s[6:7]
	s_cbranch_execnz .LBB624_294
.LBB624_235:
	s_or_b64 exec, exec, s[38:39]
	s_and_saveexec_b64 s[38:39], s[4:5]
	s_cbranch_execnz .LBB624_295
.LBB624_236:
	s_or_b64 exec, exec, s[38:39]
	s_and_saveexec_b64 s[38:39], s[2:3]
	s_cbranch_execz .LBB624_238
.LBB624_237:
	v_sub_u32_e32 v10, v22, v3
	v_mov_b32_e32 v11, 0
	v_lshlrev_b64 v[10:11], 1, v[10:11]
	v_add_co_u32_e32 v10, vcc, v15, v10
	v_addc_co_u32_e32 v11, vcc, v16, v11, vcc
	global_store_short v[10:11], v23, off
.LBB624_238:
	s_or_b64 exec, exec, s[38:39]
	s_and_b64 s[38:39], s[0:1], exec
	s_andn2_saveexec_b64 s[30:31], s[30:31]
	s_cbranch_execz .LBB624_159
.LBB624_239:
	v_sub_u32_e32 v10, v48, v3
	v_mov_b32_e32 v11, 0
	v_lshlrev_b64 v[12:13], 1, v[10:11]
	v_add_co_u32_e32 v12, vcc, v15, v12
	v_addc_co_u32_e32 v13, vcc, v16, v13, vcc
	v_sub_u32_e32 v10, v46, v3
	global_store_short v[12:13], v49, off
	v_lshlrev_b64 v[12:13], 1, v[10:11]
	v_add_co_u32_e32 v12, vcc, v15, v12
	v_addc_co_u32_e32 v13, vcc, v16, v13, vcc
	v_sub_u32_e32 v10, v44, v3
	global_store_short v[12:13], v47, off
	;; [unrolled: 5-line block ×12, first 2 shown]
	v_lshlrev_b64 v[12:13], 1, v[10:11]
	v_add_co_u32_e32 v12, vcc, v15, v12
	v_sub_u32_e32 v10, v22, v3
	v_addc_co_u32_e32 v13, vcc, v16, v13, vcc
	v_lshlrev_b64 v[10:11], 1, v[10:11]
	v_add_co_u32_e32 v10, vcc, v15, v10
	v_addc_co_u32_e32 v11, vcc, v16, v11, vcc
	s_or_b64 s[38:39], s[38:39], exec
	global_store_short v[12:13], v25, off
	global_store_short v[10:11], v23, off
	s_or_b64 exec, exec, s[30:31]
	s_and_b64 exec, exec, s[38:39]
	s_cbranch_execnz .LBB624_160
	s_branch .LBB624_161
.LBB624_240:
	s_and_saveexec_b64 s[38:39], s[28:29]
	s_cbranch_execnz .LBB624_296
; %bb.241:
	s_or_b64 exec, exec, s[38:39]
	s_and_saveexec_b64 s[28:29], s[26:27]
	s_cbranch_execnz .LBB624_297
.LBB624_242:
	s_or_b64 exec, exec, s[28:29]
	s_and_saveexec_b64 s[26:27], s[24:25]
	s_cbranch_execnz .LBB624_298
.LBB624_243:
	s_or_b64 exec, exec, s[26:27]
	s_and_saveexec_b64 s[24:25], s[22:23]
	s_cbranch_execnz .LBB624_299
.LBB624_244:
	s_or_b64 exec, exec, s[24:25]
	s_and_saveexec_b64 s[22:23], s[20:21]
	s_cbranch_execnz .LBB624_300
.LBB624_245:
	s_or_b64 exec, exec, s[22:23]
	s_and_saveexec_b64 s[20:21], s[18:19]
	s_cbranch_execnz .LBB624_301
.LBB624_246:
	s_or_b64 exec, exec, s[20:21]
	s_and_saveexec_b64 s[18:19], s[16:17]
	s_cbranch_execnz .LBB624_302
.LBB624_247:
	s_or_b64 exec, exec, s[18:19]
	s_and_saveexec_b64 s[16:17], s[14:15]
	s_cbranch_execnz .LBB624_303
.LBB624_248:
	s_or_b64 exec, exec, s[16:17]
	s_and_saveexec_b64 s[14:15], s[12:13]
	s_cbranch_execnz .LBB624_304
.LBB624_249:
	s_or_b64 exec, exec, s[14:15]
	s_and_saveexec_b64 s[12:13], s[10:11]
	s_cbranch_execnz .LBB624_305
.LBB624_250:
	s_or_b64 exec, exec, s[12:13]
	s_and_saveexec_b64 s[10:11], s[8:9]
	s_cbranch_execnz .LBB624_306
.LBB624_251:
	s_or_b64 exec, exec, s[10:11]
	s_and_saveexec_b64 s[8:9], s[6:7]
	s_cbranch_execnz .LBB624_307
.LBB624_252:
	s_or_b64 exec, exec, s[8:9]
	s_and_saveexec_b64 s[6:7], s[4:5]
	s_cbranch_execnz .LBB624_308
.LBB624_253:
	s_or_b64 exec, exec, s[6:7]
	s_and_saveexec_b64 s[4:5], s[2:3]
	s_cbranch_execz .LBB624_255
.LBB624_254:
	v_sub_u32_e32 v4, v22, v3
	v_lshlrev_b32_e32 v4, 1, v4
	ds_write_b16 v4, v23
.LBB624_255:
	s_or_b64 exec, exec, s[4:5]
	s_and_b64 s[38:39], s[0:1], exec
                                        ; implicit-def: $vgpr48_vgpr49
                                        ; implicit-def: $vgpr46_vgpr47
                                        ; implicit-def: $vgpr44_vgpr45
                                        ; implicit-def: $vgpr42_vgpr43
                                        ; implicit-def: $vgpr40_vgpr41
                                        ; implicit-def: $vgpr38_vgpr39
                                        ; implicit-def: $vgpr36_vgpr37
                                        ; implicit-def: $vgpr34_vgpr35
                                        ; implicit-def: $vgpr32_vgpr33
                                        ; implicit-def: $vgpr30_vgpr31
                                        ; implicit-def: $vgpr28_vgpr29
                                        ; implicit-def: $vgpr26_vgpr27
                                        ; implicit-def: $vgpr24_vgpr25
                                        ; implicit-def: $vgpr22_vgpr23
	s_andn2_saveexec_b64 s[0:1], s[36:37]
	s_cbranch_execz .LBB624_166
.LBB624_256:
	v_sub_u32_e32 v4, v48, v3
	v_lshlrev_b32_e32 v4, 1, v4
	ds_write_b16 v4, v49
	v_sub_u32_e32 v4, v46, v3
	v_lshlrev_b32_e32 v4, 1, v4
	ds_write_b16 v4, v47
	;; [unrolled: 3-line block ×13, first 2 shown]
	v_sub_u32_e32 v4, v22, v3
	v_lshlrev_b32_e32 v4, 1, v4
	s_or_b64 s[38:39], s[38:39], exec
	ds_write_b16 v4, v23
	s_or_b64 exec, exec, s[0:1]
	s_and_b64 exec, exec, s[38:39]
	s_cbranch_execnz .LBB624_167
	s_branch .LBB624_168
.LBB624_257:
	v_sub_u32_e32 v12, v48, v8
	v_mov_b32_e32 v13, 0
	v_lshlrev_b64 v[12:13], 1, v[12:13]
	v_add_co_u32_e32 v12, vcc, v7, v12
	v_addc_co_u32_e32 v13, vcc, v9, v13, vcc
	global_store_short v[12:13], v1, off
	s_or_b64 exec, exec, s[40:41]
	s_and_saveexec_b64 s[40:41], s[26:27]
	s_cbranch_execz .LBB624_191
.LBB624_258:
	v_sub_u32_e32 v12, v46, v8
	v_mov_b32_e32 v13, 0
	v_lshlrev_b64 v[12:13], 1, v[12:13]
	v_add_co_u32_e32 v12, vcc, v7, v12
	v_addc_co_u32_e32 v13, vcc, v9, v13, vcc
	global_store_short v[12:13], v2, off
	s_or_b64 exec, exec, s[40:41]
	s_and_saveexec_b64 s[40:41], s[24:25]
	s_cbranch_execz .LBB624_192
.LBB624_259:
	v_sub_u32_e32 v12, v44, v8
	v_mov_b32_e32 v13, 0
	v_lshlrev_b64 v[12:13], 1, v[12:13]
	v_add_co_u32_e32 v12, vcc, v7, v12
	v_addc_co_u32_e32 v13, vcc, v9, v13, vcc
	global_store_short_d16_hi v[12:13], v2, off
	s_or_b64 exec, exec, s[40:41]
	s_and_saveexec_b64 s[40:41], s[22:23]
	s_cbranch_execz .LBB624_193
.LBB624_260:
	v_sub_u32_e32 v12, v42, v8
	v_mov_b32_e32 v13, 0
	v_lshlrev_b64 v[12:13], 1, v[12:13]
	v_add_co_u32_e32 v12, vcc, v7, v12
	v_addc_co_u32_e32 v13, vcc, v9, v13, vcc
	global_store_short v[12:13], v3, off
	s_or_b64 exec, exec, s[40:41]
	s_and_saveexec_b64 s[40:41], s[20:21]
	s_cbranch_execz .LBB624_194
.LBB624_261:
	v_sub_u32_e32 v12, v40, v8
	v_mov_b32_e32 v13, 0
	v_lshlrev_b64 v[12:13], 1, v[12:13]
	v_add_co_u32_e32 v12, vcc, v7, v12
	v_addc_co_u32_e32 v13, vcc, v9, v13, vcc
	global_store_short_d16_hi v[12:13], v3, off
	s_or_b64 exec, exec, s[40:41]
	s_and_saveexec_b64 s[40:41], s[18:19]
	s_cbranch_execz .LBB624_195
.LBB624_262:
	v_sub_u32_e32 v12, v38, v8
	v_mov_b32_e32 v13, 0
	v_lshlrev_b64 v[12:13], 1, v[12:13]
	v_add_co_u32_e32 v12, vcc, v7, v12
	v_addc_co_u32_e32 v13, vcc, v9, v13, vcc
	global_store_short v[12:13], v4, off
	s_or_b64 exec, exec, s[40:41]
	s_and_saveexec_b64 s[40:41], s[16:17]
	s_cbranch_execz .LBB624_196
.LBB624_263:
	v_sub_u32_e32 v12, v36, v8
	v_mov_b32_e32 v13, 0
	v_lshlrev_b64 v[12:13], 1, v[12:13]
	v_add_co_u32_e32 v12, vcc, v7, v12
	v_addc_co_u32_e32 v13, vcc, v9, v13, vcc
	global_store_short_d16_hi v[12:13], v4, off
	s_or_b64 exec, exec, s[40:41]
	s_and_saveexec_b64 s[40:41], s[14:15]
	s_cbranch_execz .LBB624_197
.LBB624_264:
	v_sub_u32_e32 v12, v34, v8
	v_mov_b32_e32 v13, 0
	v_lshlrev_b64 v[12:13], 1, v[12:13]
	v_add_co_u32_e32 v12, vcc, v7, v12
	v_addc_co_u32_e32 v13, vcc, v9, v13, vcc
	global_store_short v[12:13], v5, off
	s_or_b64 exec, exec, s[40:41]
	s_and_saveexec_b64 s[40:41], s[12:13]
	s_cbranch_execz .LBB624_198
.LBB624_265:
	v_sub_u32_e32 v12, v32, v8
	v_mov_b32_e32 v13, 0
	v_lshlrev_b64 v[12:13], 1, v[12:13]
	v_add_co_u32_e32 v12, vcc, v7, v12
	v_addc_co_u32_e32 v13, vcc, v9, v13, vcc
	global_store_short_d16_hi v[12:13], v5, off
	s_or_b64 exec, exec, s[40:41]
	s_and_saveexec_b64 s[40:41], s[10:11]
	s_cbranch_execz .LBB624_199
.LBB624_266:
	v_sub_u32_e32 v12, v30, v8
	v_mov_b32_e32 v13, 0
	v_lshlrev_b64 v[12:13], 1, v[12:13]
	v_add_co_u32_e32 v12, vcc, v7, v12
	v_addc_co_u32_e32 v13, vcc, v9, v13, vcc
	global_store_short v[12:13], v14, off
	s_or_b64 exec, exec, s[40:41]
	s_and_saveexec_b64 s[40:41], s[8:9]
	s_cbranch_execz .LBB624_200
.LBB624_267:
	v_sub_u32_e32 v12, v28, v8
	v_mov_b32_e32 v13, 0
	v_lshlrev_b64 v[12:13], 1, v[12:13]
	v_add_co_u32_e32 v12, vcc, v7, v12
	v_addc_co_u32_e32 v13, vcc, v9, v13, vcc
	global_store_short_d16_hi v[12:13], v14, off
	s_or_b64 exec, exec, s[40:41]
	s_and_saveexec_b64 s[40:41], s[6:7]
	s_cbranch_execz .LBB624_201
.LBB624_268:
	v_sub_u32_e32 v12, v26, v8
	v_mov_b32_e32 v13, 0
	v_lshlrev_b64 v[12:13], 1, v[12:13]
	v_add_co_u32_e32 v12, vcc, v7, v12
	v_addc_co_u32_e32 v13, vcc, v9, v13, vcc
	global_store_short v[12:13], v15, off
	s_or_b64 exec, exec, s[40:41]
	s_and_saveexec_b64 s[40:41], s[4:5]
	s_cbranch_execz .LBB624_202
.LBB624_269:
	v_sub_u32_e32 v12, v24, v8
	v_mov_b32_e32 v13, 0
	v_lshlrev_b64 v[12:13], 1, v[12:13]
	v_add_co_u32_e32 v12, vcc, v7, v12
	v_addc_co_u32_e32 v13, vcc, v9, v13, vcc
	global_store_short_d16_hi v[12:13], v15, off
	s_or_b64 exec, exec, s[40:41]
	s_and_saveexec_b64 s[40:41], s[2:3]
	s_cbranch_execnz .LBB624_203
	s_branch .LBB624_204
.LBB624_270:
	v_sub_u32_e32 v10, v48, v8
	v_lshlrev_b32_e32 v10, 1, v10
	ds_write_b16 v10, v1
	s_or_b64 exec, exec, s[40:41]
	s_and_saveexec_b64 s[28:29], s[26:27]
	s_cbranch_execz .LBB624_208
.LBB624_271:
	v_sub_u32_e32 v1, v46, v8
	v_lshlrev_b32_e32 v1, 1, v1
	ds_write_b16 v1, v2
	s_or_b64 exec, exec, s[28:29]
	s_and_saveexec_b64 s[26:27], s[24:25]
	s_cbranch_execz .LBB624_209
.LBB624_272:
	v_sub_u32_e32 v1, v44, v8
	v_lshlrev_b32_e32 v1, 1, v1
	ds_write_b16_d16_hi v1, v2
	s_or_b64 exec, exec, s[26:27]
	s_and_saveexec_b64 s[24:25], s[22:23]
	s_cbranch_execz .LBB624_210
.LBB624_273:
	v_sub_u32_e32 v1, v42, v8
	v_lshlrev_b32_e32 v1, 1, v1
	ds_write_b16 v1, v3
	s_or_b64 exec, exec, s[24:25]
	s_and_saveexec_b64 s[22:23], s[20:21]
	s_cbranch_execz .LBB624_211
.LBB624_274:
	v_sub_u32_e32 v1, v40, v8
	v_lshlrev_b32_e32 v1, 1, v1
	ds_write_b16_d16_hi v1, v3
	s_or_b64 exec, exec, s[22:23]
	s_and_saveexec_b64 s[20:21], s[18:19]
	s_cbranch_execz .LBB624_212
.LBB624_275:
	v_sub_u32_e32 v1, v38, v8
	v_lshlrev_b32_e32 v1, 1, v1
	ds_write_b16 v1, v4
	s_or_b64 exec, exec, s[20:21]
	s_and_saveexec_b64 s[18:19], s[16:17]
	s_cbranch_execz .LBB624_213
.LBB624_276:
	v_sub_u32_e32 v1, v36, v8
	v_lshlrev_b32_e32 v1, 1, v1
	ds_write_b16_d16_hi v1, v4
	s_or_b64 exec, exec, s[18:19]
	s_and_saveexec_b64 s[16:17], s[14:15]
	s_cbranch_execz .LBB624_214
.LBB624_277:
	v_sub_u32_e32 v1, v34, v8
	v_lshlrev_b32_e32 v1, 1, v1
	ds_write_b16 v1, v5
	s_or_b64 exec, exec, s[16:17]
	s_and_saveexec_b64 s[14:15], s[12:13]
	s_cbranch_execz .LBB624_215
.LBB624_278:
	v_sub_u32_e32 v1, v32, v8
	v_lshlrev_b32_e32 v1, 1, v1
	ds_write_b16_d16_hi v1, v5
	s_or_b64 exec, exec, s[14:15]
	s_and_saveexec_b64 s[12:13], s[10:11]
	s_cbranch_execz .LBB624_216
.LBB624_279:
	v_sub_u32_e32 v1, v30, v8
	v_lshlrev_b32_e32 v1, 1, v1
	ds_write_b16 v1, v14
	s_or_b64 exec, exec, s[12:13]
	s_and_saveexec_b64 s[10:11], s[8:9]
	s_cbranch_execz .LBB624_217
.LBB624_280:
	v_sub_u32_e32 v1, v28, v8
	v_lshlrev_b32_e32 v1, 1, v1
	ds_write_b16_d16_hi v1, v14
	s_or_b64 exec, exec, s[10:11]
	s_and_saveexec_b64 s[8:9], s[6:7]
	s_cbranch_execz .LBB624_218
.LBB624_281:
	v_sub_u32_e32 v1, v26, v8
	v_lshlrev_b32_e32 v1, 1, v1
	ds_write_b16 v1, v15
	s_or_b64 exec, exec, s[8:9]
	s_and_saveexec_b64 s[6:7], s[4:5]
	s_cbranch_execz .LBB624_219
.LBB624_282:
	v_sub_u32_e32 v1, v24, v8
	v_lshlrev_b32_e32 v1, 1, v1
	ds_write_b16_d16_hi v1, v15
	s_or_b64 exec, exec, s[6:7]
	s_and_saveexec_b64 s[4:5], s[2:3]
	s_cbranch_execnz .LBB624_220
	s_branch .LBB624_221
.LBB624_283:
	v_sub_u32_e32 v10, v48, v3
	v_mov_b32_e32 v11, 0
	v_lshlrev_b64 v[10:11], 1, v[10:11]
	v_add_co_u32_e32 v10, vcc, v15, v10
	v_addc_co_u32_e32 v11, vcc, v16, v11, vcc
	global_store_short v[10:11], v49, off
	s_or_b64 exec, exec, s[38:39]
	s_and_saveexec_b64 s[38:39], s[26:27]
	s_cbranch_execz .LBB624_225
.LBB624_284:
	v_sub_u32_e32 v10, v46, v3
	v_mov_b32_e32 v11, 0
	v_lshlrev_b64 v[10:11], 1, v[10:11]
	v_add_co_u32_e32 v10, vcc, v15, v10
	v_addc_co_u32_e32 v11, vcc, v16, v11, vcc
	global_store_short v[10:11], v47, off
	s_or_b64 exec, exec, s[38:39]
	s_and_saveexec_b64 s[38:39], s[24:25]
	s_cbranch_execz .LBB624_226
.LBB624_285:
	v_sub_u32_e32 v10, v44, v3
	v_mov_b32_e32 v11, 0
	v_lshlrev_b64 v[10:11], 1, v[10:11]
	v_add_co_u32_e32 v10, vcc, v15, v10
	v_addc_co_u32_e32 v11, vcc, v16, v11, vcc
	global_store_short v[10:11], v45, off
	s_or_b64 exec, exec, s[38:39]
	s_and_saveexec_b64 s[38:39], s[22:23]
	s_cbranch_execz .LBB624_227
.LBB624_286:
	v_sub_u32_e32 v10, v42, v3
	v_mov_b32_e32 v11, 0
	v_lshlrev_b64 v[10:11], 1, v[10:11]
	v_add_co_u32_e32 v10, vcc, v15, v10
	v_addc_co_u32_e32 v11, vcc, v16, v11, vcc
	global_store_short v[10:11], v43, off
	s_or_b64 exec, exec, s[38:39]
	s_and_saveexec_b64 s[38:39], s[20:21]
	s_cbranch_execz .LBB624_228
.LBB624_287:
	v_sub_u32_e32 v10, v40, v3
	v_mov_b32_e32 v11, 0
	v_lshlrev_b64 v[10:11], 1, v[10:11]
	v_add_co_u32_e32 v10, vcc, v15, v10
	v_addc_co_u32_e32 v11, vcc, v16, v11, vcc
	global_store_short v[10:11], v41, off
	s_or_b64 exec, exec, s[38:39]
	s_and_saveexec_b64 s[38:39], s[18:19]
	s_cbranch_execz .LBB624_229
.LBB624_288:
	v_sub_u32_e32 v10, v38, v3
	v_mov_b32_e32 v11, 0
	v_lshlrev_b64 v[10:11], 1, v[10:11]
	v_add_co_u32_e32 v10, vcc, v15, v10
	v_addc_co_u32_e32 v11, vcc, v16, v11, vcc
	global_store_short v[10:11], v39, off
	s_or_b64 exec, exec, s[38:39]
	s_and_saveexec_b64 s[38:39], s[16:17]
	s_cbranch_execz .LBB624_230
.LBB624_289:
	v_sub_u32_e32 v10, v36, v3
	v_mov_b32_e32 v11, 0
	v_lshlrev_b64 v[10:11], 1, v[10:11]
	v_add_co_u32_e32 v10, vcc, v15, v10
	v_addc_co_u32_e32 v11, vcc, v16, v11, vcc
	global_store_short v[10:11], v37, off
	s_or_b64 exec, exec, s[38:39]
	s_and_saveexec_b64 s[38:39], s[14:15]
	s_cbranch_execz .LBB624_231
.LBB624_290:
	v_sub_u32_e32 v10, v34, v3
	v_mov_b32_e32 v11, 0
	v_lshlrev_b64 v[10:11], 1, v[10:11]
	v_add_co_u32_e32 v10, vcc, v15, v10
	v_addc_co_u32_e32 v11, vcc, v16, v11, vcc
	global_store_short v[10:11], v35, off
	s_or_b64 exec, exec, s[38:39]
	s_and_saveexec_b64 s[38:39], s[12:13]
	s_cbranch_execz .LBB624_232
.LBB624_291:
	v_sub_u32_e32 v10, v32, v3
	v_mov_b32_e32 v11, 0
	v_lshlrev_b64 v[10:11], 1, v[10:11]
	v_add_co_u32_e32 v10, vcc, v15, v10
	v_addc_co_u32_e32 v11, vcc, v16, v11, vcc
	global_store_short v[10:11], v33, off
	s_or_b64 exec, exec, s[38:39]
	s_and_saveexec_b64 s[38:39], s[10:11]
	s_cbranch_execz .LBB624_233
.LBB624_292:
	v_sub_u32_e32 v10, v30, v3
	v_mov_b32_e32 v11, 0
	v_lshlrev_b64 v[10:11], 1, v[10:11]
	v_add_co_u32_e32 v10, vcc, v15, v10
	v_addc_co_u32_e32 v11, vcc, v16, v11, vcc
	global_store_short v[10:11], v31, off
	s_or_b64 exec, exec, s[38:39]
	s_and_saveexec_b64 s[38:39], s[8:9]
	s_cbranch_execz .LBB624_234
.LBB624_293:
	v_sub_u32_e32 v10, v28, v3
	v_mov_b32_e32 v11, 0
	v_lshlrev_b64 v[10:11], 1, v[10:11]
	v_add_co_u32_e32 v10, vcc, v15, v10
	v_addc_co_u32_e32 v11, vcc, v16, v11, vcc
	global_store_short v[10:11], v29, off
	s_or_b64 exec, exec, s[38:39]
	s_and_saveexec_b64 s[38:39], s[6:7]
	s_cbranch_execz .LBB624_235
.LBB624_294:
	v_sub_u32_e32 v10, v26, v3
	v_mov_b32_e32 v11, 0
	v_lshlrev_b64 v[10:11], 1, v[10:11]
	v_add_co_u32_e32 v10, vcc, v15, v10
	v_addc_co_u32_e32 v11, vcc, v16, v11, vcc
	global_store_short v[10:11], v27, off
	s_or_b64 exec, exec, s[38:39]
	s_and_saveexec_b64 s[38:39], s[4:5]
	s_cbranch_execz .LBB624_236
.LBB624_295:
	v_sub_u32_e32 v10, v24, v3
	v_mov_b32_e32 v11, 0
	v_lshlrev_b64 v[10:11], 1, v[10:11]
	v_add_co_u32_e32 v10, vcc, v15, v10
	v_addc_co_u32_e32 v11, vcc, v16, v11, vcc
	global_store_short v[10:11], v25, off
	s_or_b64 exec, exec, s[38:39]
	s_and_saveexec_b64 s[38:39], s[2:3]
	s_cbranch_execnz .LBB624_237
	s_branch .LBB624_238
.LBB624_296:
	v_sub_u32_e32 v4, v48, v3
	v_lshlrev_b32_e32 v4, 1, v4
	ds_write_b16 v4, v49
	s_or_b64 exec, exec, s[38:39]
	s_and_saveexec_b64 s[28:29], s[26:27]
	s_cbranch_execz .LBB624_242
.LBB624_297:
	v_sub_u32_e32 v4, v46, v3
	v_lshlrev_b32_e32 v4, 1, v4
	ds_write_b16 v4, v47
	s_or_b64 exec, exec, s[28:29]
	s_and_saveexec_b64 s[26:27], s[24:25]
	s_cbranch_execz .LBB624_243
.LBB624_298:
	v_sub_u32_e32 v4, v44, v3
	v_lshlrev_b32_e32 v4, 1, v4
	ds_write_b16 v4, v45
	s_or_b64 exec, exec, s[26:27]
	s_and_saveexec_b64 s[24:25], s[22:23]
	s_cbranch_execz .LBB624_244
.LBB624_299:
	v_sub_u32_e32 v4, v42, v3
	v_lshlrev_b32_e32 v4, 1, v4
	ds_write_b16 v4, v43
	s_or_b64 exec, exec, s[24:25]
	s_and_saveexec_b64 s[22:23], s[20:21]
	s_cbranch_execz .LBB624_245
.LBB624_300:
	v_sub_u32_e32 v4, v40, v3
	v_lshlrev_b32_e32 v4, 1, v4
	ds_write_b16 v4, v41
	s_or_b64 exec, exec, s[22:23]
	s_and_saveexec_b64 s[20:21], s[18:19]
	s_cbranch_execz .LBB624_246
.LBB624_301:
	v_sub_u32_e32 v4, v38, v3
	v_lshlrev_b32_e32 v4, 1, v4
	ds_write_b16 v4, v39
	s_or_b64 exec, exec, s[20:21]
	s_and_saveexec_b64 s[18:19], s[16:17]
	s_cbranch_execz .LBB624_247
.LBB624_302:
	v_sub_u32_e32 v4, v36, v3
	v_lshlrev_b32_e32 v4, 1, v4
	ds_write_b16 v4, v37
	s_or_b64 exec, exec, s[18:19]
	s_and_saveexec_b64 s[16:17], s[14:15]
	s_cbranch_execz .LBB624_248
.LBB624_303:
	v_sub_u32_e32 v4, v34, v3
	v_lshlrev_b32_e32 v4, 1, v4
	ds_write_b16 v4, v35
	s_or_b64 exec, exec, s[16:17]
	s_and_saveexec_b64 s[14:15], s[12:13]
	s_cbranch_execz .LBB624_249
.LBB624_304:
	v_sub_u32_e32 v4, v32, v3
	v_lshlrev_b32_e32 v4, 1, v4
	ds_write_b16 v4, v33
	s_or_b64 exec, exec, s[14:15]
	s_and_saveexec_b64 s[12:13], s[10:11]
	s_cbranch_execz .LBB624_250
.LBB624_305:
	v_sub_u32_e32 v4, v30, v3
	v_lshlrev_b32_e32 v4, 1, v4
	ds_write_b16 v4, v31
	s_or_b64 exec, exec, s[12:13]
	s_and_saveexec_b64 s[10:11], s[8:9]
	s_cbranch_execz .LBB624_251
.LBB624_306:
	v_sub_u32_e32 v4, v28, v3
	v_lshlrev_b32_e32 v4, 1, v4
	ds_write_b16 v4, v29
	s_or_b64 exec, exec, s[10:11]
	s_and_saveexec_b64 s[8:9], s[6:7]
	s_cbranch_execz .LBB624_252
.LBB624_307:
	v_sub_u32_e32 v4, v26, v3
	v_lshlrev_b32_e32 v4, 1, v4
	ds_write_b16 v4, v27
	s_or_b64 exec, exec, s[8:9]
	s_and_saveexec_b64 s[6:7], s[4:5]
	s_cbranch_execz .LBB624_253
.LBB624_308:
	v_sub_u32_e32 v4, v24, v3
	v_lshlrev_b32_e32 v4, 1, v4
	ds_write_b16 v4, v25
	s_or_b64 exec, exec, s[6:7]
	s_and_saveexec_b64 s[4:5], s[2:3]
	s_cbranch_execnz .LBB624_254
	s_branch .LBB624_255
	.section	.rodata,"a",@progbits
	.p2align	6, 0x0
	.amdhsa_kernel _ZN7rocprim17ROCPRIM_400000_NS6detail17trampoline_kernelINS0_14default_configENS1_29reduce_by_key_config_selectorIssN6thrust23THRUST_200600_302600_NS4plusIsEEEEZZNS1_33reduce_by_key_impl_wrapped_configILNS1_25lookback_scan_determinismE0ES3_S9_NS6_6detail15normal_iteratorINS6_10device_ptrIsEEEESG_SG_SG_PmS8_NS6_8equal_toIsEEEE10hipError_tPvRmT2_T3_mT4_T5_T6_T7_T8_P12ihipStream_tbENKUlT_T0_E_clISt17integral_constantIbLb0EES11_EEDaSW_SX_EUlSW_E_NS1_11comp_targetILNS1_3genE4ELNS1_11target_archE910ELNS1_3gpuE8ELNS1_3repE0EEENS1_30default_config_static_selectorELNS0_4arch9wavefront6targetE1EEEvT1_
		.amdhsa_group_segment_fixed_size 7680
		.amdhsa_private_segment_fixed_size 0
		.amdhsa_kernarg_size 120
		.amdhsa_user_sgpr_count 6
		.amdhsa_user_sgpr_private_segment_buffer 1
		.amdhsa_user_sgpr_dispatch_ptr 0
		.amdhsa_user_sgpr_queue_ptr 0
		.amdhsa_user_sgpr_kernarg_segment_ptr 1
		.amdhsa_user_sgpr_dispatch_id 0
		.amdhsa_user_sgpr_flat_scratch_init 0
		.amdhsa_user_sgpr_kernarg_preload_length 0
		.amdhsa_user_sgpr_kernarg_preload_offset 0
		.amdhsa_user_sgpr_private_segment_size 0
		.amdhsa_uses_dynamic_stack 0
		.amdhsa_system_sgpr_private_segment_wavefront_offset 0
		.amdhsa_system_sgpr_workgroup_id_x 1
		.amdhsa_system_sgpr_workgroup_id_y 0
		.amdhsa_system_sgpr_workgroup_id_z 0
		.amdhsa_system_sgpr_workgroup_info 0
		.amdhsa_system_vgpr_workitem_id 0
		.amdhsa_next_free_vgpr 111
		.amdhsa_next_free_sgpr 63
		.amdhsa_accum_offset 112
		.amdhsa_reserve_vcc 1
		.amdhsa_reserve_flat_scratch 0
		.amdhsa_float_round_mode_32 0
		.amdhsa_float_round_mode_16_64 0
		.amdhsa_float_denorm_mode_32 3
		.amdhsa_float_denorm_mode_16_64 3
		.amdhsa_dx10_clamp 1
		.amdhsa_ieee_mode 1
		.amdhsa_fp16_overflow 0
		.amdhsa_tg_split 0
		.amdhsa_exception_fp_ieee_invalid_op 0
		.amdhsa_exception_fp_denorm_src 0
		.amdhsa_exception_fp_ieee_div_zero 0
		.amdhsa_exception_fp_ieee_overflow 0
		.amdhsa_exception_fp_ieee_underflow 0
		.amdhsa_exception_fp_ieee_inexact 0
		.amdhsa_exception_int_div_zero 0
	.end_amdhsa_kernel
	.section	.text._ZN7rocprim17ROCPRIM_400000_NS6detail17trampoline_kernelINS0_14default_configENS1_29reduce_by_key_config_selectorIssN6thrust23THRUST_200600_302600_NS4plusIsEEEEZZNS1_33reduce_by_key_impl_wrapped_configILNS1_25lookback_scan_determinismE0ES3_S9_NS6_6detail15normal_iteratorINS6_10device_ptrIsEEEESG_SG_SG_PmS8_NS6_8equal_toIsEEEE10hipError_tPvRmT2_T3_mT4_T5_T6_T7_T8_P12ihipStream_tbENKUlT_T0_E_clISt17integral_constantIbLb0EES11_EEDaSW_SX_EUlSW_E_NS1_11comp_targetILNS1_3genE4ELNS1_11target_archE910ELNS1_3gpuE8ELNS1_3repE0EEENS1_30default_config_static_selectorELNS0_4arch9wavefront6targetE1EEEvT1_,"axG",@progbits,_ZN7rocprim17ROCPRIM_400000_NS6detail17trampoline_kernelINS0_14default_configENS1_29reduce_by_key_config_selectorIssN6thrust23THRUST_200600_302600_NS4plusIsEEEEZZNS1_33reduce_by_key_impl_wrapped_configILNS1_25lookback_scan_determinismE0ES3_S9_NS6_6detail15normal_iteratorINS6_10device_ptrIsEEEESG_SG_SG_PmS8_NS6_8equal_toIsEEEE10hipError_tPvRmT2_T3_mT4_T5_T6_T7_T8_P12ihipStream_tbENKUlT_T0_E_clISt17integral_constantIbLb0EES11_EEDaSW_SX_EUlSW_E_NS1_11comp_targetILNS1_3genE4ELNS1_11target_archE910ELNS1_3gpuE8ELNS1_3repE0EEENS1_30default_config_static_selectorELNS0_4arch9wavefront6targetE1EEEvT1_,comdat
.Lfunc_end624:
	.size	_ZN7rocprim17ROCPRIM_400000_NS6detail17trampoline_kernelINS0_14default_configENS1_29reduce_by_key_config_selectorIssN6thrust23THRUST_200600_302600_NS4plusIsEEEEZZNS1_33reduce_by_key_impl_wrapped_configILNS1_25lookback_scan_determinismE0ES3_S9_NS6_6detail15normal_iteratorINS6_10device_ptrIsEEEESG_SG_SG_PmS8_NS6_8equal_toIsEEEE10hipError_tPvRmT2_T3_mT4_T5_T6_T7_T8_P12ihipStream_tbENKUlT_T0_E_clISt17integral_constantIbLb0EES11_EEDaSW_SX_EUlSW_E_NS1_11comp_targetILNS1_3genE4ELNS1_11target_archE910ELNS1_3gpuE8ELNS1_3repE0EEENS1_30default_config_static_selectorELNS0_4arch9wavefront6targetE1EEEvT1_, .Lfunc_end624-_ZN7rocprim17ROCPRIM_400000_NS6detail17trampoline_kernelINS0_14default_configENS1_29reduce_by_key_config_selectorIssN6thrust23THRUST_200600_302600_NS4plusIsEEEEZZNS1_33reduce_by_key_impl_wrapped_configILNS1_25lookback_scan_determinismE0ES3_S9_NS6_6detail15normal_iteratorINS6_10device_ptrIsEEEESG_SG_SG_PmS8_NS6_8equal_toIsEEEE10hipError_tPvRmT2_T3_mT4_T5_T6_T7_T8_P12ihipStream_tbENKUlT_T0_E_clISt17integral_constantIbLb0EES11_EEDaSW_SX_EUlSW_E_NS1_11comp_targetILNS1_3genE4ELNS1_11target_archE910ELNS1_3gpuE8ELNS1_3repE0EEENS1_30default_config_static_selectorELNS0_4arch9wavefront6targetE1EEEvT1_
                                        ; -- End function
	.section	.AMDGPU.csdata,"",@progbits
; Kernel info:
; codeLenInByte = 17948
; NumSgprs: 67
; NumVgprs: 111
; NumAgprs: 0
; TotalNumVgprs: 111
; ScratchSize: 0
; MemoryBound: 0
; FloatMode: 240
; IeeeMode: 1
; LDSByteSize: 7680 bytes/workgroup (compile time only)
; SGPRBlocks: 8
; VGPRBlocks: 13
; NumSGPRsForWavesPerEU: 67
; NumVGPRsForWavesPerEU: 111
; AccumOffset: 112
; Occupancy: 4
; WaveLimiterHint : 1
; COMPUTE_PGM_RSRC2:SCRATCH_EN: 0
; COMPUTE_PGM_RSRC2:USER_SGPR: 6
; COMPUTE_PGM_RSRC2:TRAP_HANDLER: 0
; COMPUTE_PGM_RSRC2:TGID_X_EN: 1
; COMPUTE_PGM_RSRC2:TGID_Y_EN: 0
; COMPUTE_PGM_RSRC2:TGID_Z_EN: 0
; COMPUTE_PGM_RSRC2:TIDIG_COMP_CNT: 0
; COMPUTE_PGM_RSRC3_GFX90A:ACCUM_OFFSET: 27
; COMPUTE_PGM_RSRC3_GFX90A:TG_SPLIT: 0
	.section	.text._ZN7rocprim17ROCPRIM_400000_NS6detail17trampoline_kernelINS0_14default_configENS1_29reduce_by_key_config_selectorIssN6thrust23THRUST_200600_302600_NS4plusIsEEEEZZNS1_33reduce_by_key_impl_wrapped_configILNS1_25lookback_scan_determinismE0ES3_S9_NS6_6detail15normal_iteratorINS6_10device_ptrIsEEEESG_SG_SG_PmS8_NS6_8equal_toIsEEEE10hipError_tPvRmT2_T3_mT4_T5_T6_T7_T8_P12ihipStream_tbENKUlT_T0_E_clISt17integral_constantIbLb0EES11_EEDaSW_SX_EUlSW_E_NS1_11comp_targetILNS1_3genE3ELNS1_11target_archE908ELNS1_3gpuE7ELNS1_3repE0EEENS1_30default_config_static_selectorELNS0_4arch9wavefront6targetE1EEEvT1_,"axG",@progbits,_ZN7rocprim17ROCPRIM_400000_NS6detail17trampoline_kernelINS0_14default_configENS1_29reduce_by_key_config_selectorIssN6thrust23THRUST_200600_302600_NS4plusIsEEEEZZNS1_33reduce_by_key_impl_wrapped_configILNS1_25lookback_scan_determinismE0ES3_S9_NS6_6detail15normal_iteratorINS6_10device_ptrIsEEEESG_SG_SG_PmS8_NS6_8equal_toIsEEEE10hipError_tPvRmT2_T3_mT4_T5_T6_T7_T8_P12ihipStream_tbENKUlT_T0_E_clISt17integral_constantIbLb0EES11_EEDaSW_SX_EUlSW_E_NS1_11comp_targetILNS1_3genE3ELNS1_11target_archE908ELNS1_3gpuE7ELNS1_3repE0EEENS1_30default_config_static_selectorELNS0_4arch9wavefront6targetE1EEEvT1_,comdat
	.protected	_ZN7rocprim17ROCPRIM_400000_NS6detail17trampoline_kernelINS0_14default_configENS1_29reduce_by_key_config_selectorIssN6thrust23THRUST_200600_302600_NS4plusIsEEEEZZNS1_33reduce_by_key_impl_wrapped_configILNS1_25lookback_scan_determinismE0ES3_S9_NS6_6detail15normal_iteratorINS6_10device_ptrIsEEEESG_SG_SG_PmS8_NS6_8equal_toIsEEEE10hipError_tPvRmT2_T3_mT4_T5_T6_T7_T8_P12ihipStream_tbENKUlT_T0_E_clISt17integral_constantIbLb0EES11_EEDaSW_SX_EUlSW_E_NS1_11comp_targetILNS1_3genE3ELNS1_11target_archE908ELNS1_3gpuE7ELNS1_3repE0EEENS1_30default_config_static_selectorELNS0_4arch9wavefront6targetE1EEEvT1_ ; -- Begin function _ZN7rocprim17ROCPRIM_400000_NS6detail17trampoline_kernelINS0_14default_configENS1_29reduce_by_key_config_selectorIssN6thrust23THRUST_200600_302600_NS4plusIsEEEEZZNS1_33reduce_by_key_impl_wrapped_configILNS1_25lookback_scan_determinismE0ES3_S9_NS6_6detail15normal_iteratorINS6_10device_ptrIsEEEESG_SG_SG_PmS8_NS6_8equal_toIsEEEE10hipError_tPvRmT2_T3_mT4_T5_T6_T7_T8_P12ihipStream_tbENKUlT_T0_E_clISt17integral_constantIbLb0EES11_EEDaSW_SX_EUlSW_E_NS1_11comp_targetILNS1_3genE3ELNS1_11target_archE908ELNS1_3gpuE7ELNS1_3repE0EEENS1_30default_config_static_selectorELNS0_4arch9wavefront6targetE1EEEvT1_
	.globl	_ZN7rocprim17ROCPRIM_400000_NS6detail17trampoline_kernelINS0_14default_configENS1_29reduce_by_key_config_selectorIssN6thrust23THRUST_200600_302600_NS4plusIsEEEEZZNS1_33reduce_by_key_impl_wrapped_configILNS1_25lookback_scan_determinismE0ES3_S9_NS6_6detail15normal_iteratorINS6_10device_ptrIsEEEESG_SG_SG_PmS8_NS6_8equal_toIsEEEE10hipError_tPvRmT2_T3_mT4_T5_T6_T7_T8_P12ihipStream_tbENKUlT_T0_E_clISt17integral_constantIbLb0EES11_EEDaSW_SX_EUlSW_E_NS1_11comp_targetILNS1_3genE3ELNS1_11target_archE908ELNS1_3gpuE7ELNS1_3repE0EEENS1_30default_config_static_selectorELNS0_4arch9wavefront6targetE1EEEvT1_
	.p2align	8
	.type	_ZN7rocprim17ROCPRIM_400000_NS6detail17trampoline_kernelINS0_14default_configENS1_29reduce_by_key_config_selectorIssN6thrust23THRUST_200600_302600_NS4plusIsEEEEZZNS1_33reduce_by_key_impl_wrapped_configILNS1_25lookback_scan_determinismE0ES3_S9_NS6_6detail15normal_iteratorINS6_10device_ptrIsEEEESG_SG_SG_PmS8_NS6_8equal_toIsEEEE10hipError_tPvRmT2_T3_mT4_T5_T6_T7_T8_P12ihipStream_tbENKUlT_T0_E_clISt17integral_constantIbLb0EES11_EEDaSW_SX_EUlSW_E_NS1_11comp_targetILNS1_3genE3ELNS1_11target_archE908ELNS1_3gpuE7ELNS1_3repE0EEENS1_30default_config_static_selectorELNS0_4arch9wavefront6targetE1EEEvT1_,@function
_ZN7rocprim17ROCPRIM_400000_NS6detail17trampoline_kernelINS0_14default_configENS1_29reduce_by_key_config_selectorIssN6thrust23THRUST_200600_302600_NS4plusIsEEEEZZNS1_33reduce_by_key_impl_wrapped_configILNS1_25lookback_scan_determinismE0ES3_S9_NS6_6detail15normal_iteratorINS6_10device_ptrIsEEEESG_SG_SG_PmS8_NS6_8equal_toIsEEEE10hipError_tPvRmT2_T3_mT4_T5_T6_T7_T8_P12ihipStream_tbENKUlT_T0_E_clISt17integral_constantIbLb0EES11_EEDaSW_SX_EUlSW_E_NS1_11comp_targetILNS1_3genE3ELNS1_11target_archE908ELNS1_3gpuE7ELNS1_3repE0EEENS1_30default_config_static_selectorELNS0_4arch9wavefront6targetE1EEEvT1_: ; @_ZN7rocprim17ROCPRIM_400000_NS6detail17trampoline_kernelINS0_14default_configENS1_29reduce_by_key_config_selectorIssN6thrust23THRUST_200600_302600_NS4plusIsEEEEZZNS1_33reduce_by_key_impl_wrapped_configILNS1_25lookback_scan_determinismE0ES3_S9_NS6_6detail15normal_iteratorINS6_10device_ptrIsEEEESG_SG_SG_PmS8_NS6_8equal_toIsEEEE10hipError_tPvRmT2_T3_mT4_T5_T6_T7_T8_P12ihipStream_tbENKUlT_T0_E_clISt17integral_constantIbLb0EES11_EEDaSW_SX_EUlSW_E_NS1_11comp_targetILNS1_3genE3ELNS1_11target_archE908ELNS1_3gpuE7ELNS1_3repE0EEENS1_30default_config_static_selectorELNS0_4arch9wavefront6targetE1EEEvT1_
; %bb.0:
	.section	.rodata,"a",@progbits
	.p2align	6, 0x0
	.amdhsa_kernel _ZN7rocprim17ROCPRIM_400000_NS6detail17trampoline_kernelINS0_14default_configENS1_29reduce_by_key_config_selectorIssN6thrust23THRUST_200600_302600_NS4plusIsEEEEZZNS1_33reduce_by_key_impl_wrapped_configILNS1_25lookback_scan_determinismE0ES3_S9_NS6_6detail15normal_iteratorINS6_10device_ptrIsEEEESG_SG_SG_PmS8_NS6_8equal_toIsEEEE10hipError_tPvRmT2_T3_mT4_T5_T6_T7_T8_P12ihipStream_tbENKUlT_T0_E_clISt17integral_constantIbLb0EES11_EEDaSW_SX_EUlSW_E_NS1_11comp_targetILNS1_3genE3ELNS1_11target_archE908ELNS1_3gpuE7ELNS1_3repE0EEENS1_30default_config_static_selectorELNS0_4arch9wavefront6targetE1EEEvT1_
		.amdhsa_group_segment_fixed_size 0
		.amdhsa_private_segment_fixed_size 0
		.amdhsa_kernarg_size 120
		.amdhsa_user_sgpr_count 6
		.amdhsa_user_sgpr_private_segment_buffer 1
		.amdhsa_user_sgpr_dispatch_ptr 0
		.amdhsa_user_sgpr_queue_ptr 0
		.amdhsa_user_sgpr_kernarg_segment_ptr 1
		.amdhsa_user_sgpr_dispatch_id 0
		.amdhsa_user_sgpr_flat_scratch_init 0
		.amdhsa_user_sgpr_kernarg_preload_length 0
		.amdhsa_user_sgpr_kernarg_preload_offset 0
		.amdhsa_user_sgpr_private_segment_size 0
		.amdhsa_uses_dynamic_stack 0
		.amdhsa_system_sgpr_private_segment_wavefront_offset 0
		.amdhsa_system_sgpr_workgroup_id_x 1
		.amdhsa_system_sgpr_workgroup_id_y 0
		.amdhsa_system_sgpr_workgroup_id_z 0
		.amdhsa_system_sgpr_workgroup_info 0
		.amdhsa_system_vgpr_workitem_id 0
		.amdhsa_next_free_vgpr 1
		.amdhsa_next_free_sgpr 0
		.amdhsa_accum_offset 4
		.amdhsa_reserve_vcc 0
		.amdhsa_reserve_flat_scratch 0
		.amdhsa_float_round_mode_32 0
		.amdhsa_float_round_mode_16_64 0
		.amdhsa_float_denorm_mode_32 3
		.amdhsa_float_denorm_mode_16_64 3
		.amdhsa_dx10_clamp 1
		.amdhsa_ieee_mode 1
		.amdhsa_fp16_overflow 0
		.amdhsa_tg_split 0
		.amdhsa_exception_fp_ieee_invalid_op 0
		.amdhsa_exception_fp_denorm_src 0
		.amdhsa_exception_fp_ieee_div_zero 0
		.amdhsa_exception_fp_ieee_overflow 0
		.amdhsa_exception_fp_ieee_underflow 0
		.amdhsa_exception_fp_ieee_inexact 0
		.amdhsa_exception_int_div_zero 0
	.end_amdhsa_kernel
	.section	.text._ZN7rocprim17ROCPRIM_400000_NS6detail17trampoline_kernelINS0_14default_configENS1_29reduce_by_key_config_selectorIssN6thrust23THRUST_200600_302600_NS4plusIsEEEEZZNS1_33reduce_by_key_impl_wrapped_configILNS1_25lookback_scan_determinismE0ES3_S9_NS6_6detail15normal_iteratorINS6_10device_ptrIsEEEESG_SG_SG_PmS8_NS6_8equal_toIsEEEE10hipError_tPvRmT2_T3_mT4_T5_T6_T7_T8_P12ihipStream_tbENKUlT_T0_E_clISt17integral_constantIbLb0EES11_EEDaSW_SX_EUlSW_E_NS1_11comp_targetILNS1_3genE3ELNS1_11target_archE908ELNS1_3gpuE7ELNS1_3repE0EEENS1_30default_config_static_selectorELNS0_4arch9wavefront6targetE1EEEvT1_,"axG",@progbits,_ZN7rocprim17ROCPRIM_400000_NS6detail17trampoline_kernelINS0_14default_configENS1_29reduce_by_key_config_selectorIssN6thrust23THRUST_200600_302600_NS4plusIsEEEEZZNS1_33reduce_by_key_impl_wrapped_configILNS1_25lookback_scan_determinismE0ES3_S9_NS6_6detail15normal_iteratorINS6_10device_ptrIsEEEESG_SG_SG_PmS8_NS6_8equal_toIsEEEE10hipError_tPvRmT2_T3_mT4_T5_T6_T7_T8_P12ihipStream_tbENKUlT_T0_E_clISt17integral_constantIbLb0EES11_EEDaSW_SX_EUlSW_E_NS1_11comp_targetILNS1_3genE3ELNS1_11target_archE908ELNS1_3gpuE7ELNS1_3repE0EEENS1_30default_config_static_selectorELNS0_4arch9wavefront6targetE1EEEvT1_,comdat
.Lfunc_end625:
	.size	_ZN7rocprim17ROCPRIM_400000_NS6detail17trampoline_kernelINS0_14default_configENS1_29reduce_by_key_config_selectorIssN6thrust23THRUST_200600_302600_NS4plusIsEEEEZZNS1_33reduce_by_key_impl_wrapped_configILNS1_25lookback_scan_determinismE0ES3_S9_NS6_6detail15normal_iteratorINS6_10device_ptrIsEEEESG_SG_SG_PmS8_NS6_8equal_toIsEEEE10hipError_tPvRmT2_T3_mT4_T5_T6_T7_T8_P12ihipStream_tbENKUlT_T0_E_clISt17integral_constantIbLb0EES11_EEDaSW_SX_EUlSW_E_NS1_11comp_targetILNS1_3genE3ELNS1_11target_archE908ELNS1_3gpuE7ELNS1_3repE0EEENS1_30default_config_static_selectorELNS0_4arch9wavefront6targetE1EEEvT1_, .Lfunc_end625-_ZN7rocprim17ROCPRIM_400000_NS6detail17trampoline_kernelINS0_14default_configENS1_29reduce_by_key_config_selectorIssN6thrust23THRUST_200600_302600_NS4plusIsEEEEZZNS1_33reduce_by_key_impl_wrapped_configILNS1_25lookback_scan_determinismE0ES3_S9_NS6_6detail15normal_iteratorINS6_10device_ptrIsEEEESG_SG_SG_PmS8_NS6_8equal_toIsEEEE10hipError_tPvRmT2_T3_mT4_T5_T6_T7_T8_P12ihipStream_tbENKUlT_T0_E_clISt17integral_constantIbLb0EES11_EEDaSW_SX_EUlSW_E_NS1_11comp_targetILNS1_3genE3ELNS1_11target_archE908ELNS1_3gpuE7ELNS1_3repE0EEENS1_30default_config_static_selectorELNS0_4arch9wavefront6targetE1EEEvT1_
                                        ; -- End function
	.section	.AMDGPU.csdata,"",@progbits
; Kernel info:
; codeLenInByte = 0
; NumSgprs: 4
; NumVgprs: 0
; NumAgprs: 0
; TotalNumVgprs: 0
; ScratchSize: 0
; MemoryBound: 0
; FloatMode: 240
; IeeeMode: 1
; LDSByteSize: 0 bytes/workgroup (compile time only)
; SGPRBlocks: 0
; VGPRBlocks: 0
; NumSGPRsForWavesPerEU: 4
; NumVGPRsForWavesPerEU: 1
; AccumOffset: 4
; Occupancy: 8
; WaveLimiterHint : 0
; COMPUTE_PGM_RSRC2:SCRATCH_EN: 0
; COMPUTE_PGM_RSRC2:USER_SGPR: 6
; COMPUTE_PGM_RSRC2:TRAP_HANDLER: 0
; COMPUTE_PGM_RSRC2:TGID_X_EN: 1
; COMPUTE_PGM_RSRC2:TGID_Y_EN: 0
; COMPUTE_PGM_RSRC2:TGID_Z_EN: 0
; COMPUTE_PGM_RSRC2:TIDIG_COMP_CNT: 0
; COMPUTE_PGM_RSRC3_GFX90A:ACCUM_OFFSET: 0
; COMPUTE_PGM_RSRC3_GFX90A:TG_SPLIT: 0
	.section	.text._ZN7rocprim17ROCPRIM_400000_NS6detail17trampoline_kernelINS0_14default_configENS1_29reduce_by_key_config_selectorIssN6thrust23THRUST_200600_302600_NS4plusIsEEEEZZNS1_33reduce_by_key_impl_wrapped_configILNS1_25lookback_scan_determinismE0ES3_S9_NS6_6detail15normal_iteratorINS6_10device_ptrIsEEEESG_SG_SG_PmS8_NS6_8equal_toIsEEEE10hipError_tPvRmT2_T3_mT4_T5_T6_T7_T8_P12ihipStream_tbENKUlT_T0_E_clISt17integral_constantIbLb0EES11_EEDaSW_SX_EUlSW_E_NS1_11comp_targetILNS1_3genE2ELNS1_11target_archE906ELNS1_3gpuE6ELNS1_3repE0EEENS1_30default_config_static_selectorELNS0_4arch9wavefront6targetE1EEEvT1_,"axG",@progbits,_ZN7rocprim17ROCPRIM_400000_NS6detail17trampoline_kernelINS0_14default_configENS1_29reduce_by_key_config_selectorIssN6thrust23THRUST_200600_302600_NS4plusIsEEEEZZNS1_33reduce_by_key_impl_wrapped_configILNS1_25lookback_scan_determinismE0ES3_S9_NS6_6detail15normal_iteratorINS6_10device_ptrIsEEEESG_SG_SG_PmS8_NS6_8equal_toIsEEEE10hipError_tPvRmT2_T3_mT4_T5_T6_T7_T8_P12ihipStream_tbENKUlT_T0_E_clISt17integral_constantIbLb0EES11_EEDaSW_SX_EUlSW_E_NS1_11comp_targetILNS1_3genE2ELNS1_11target_archE906ELNS1_3gpuE6ELNS1_3repE0EEENS1_30default_config_static_selectorELNS0_4arch9wavefront6targetE1EEEvT1_,comdat
	.protected	_ZN7rocprim17ROCPRIM_400000_NS6detail17trampoline_kernelINS0_14default_configENS1_29reduce_by_key_config_selectorIssN6thrust23THRUST_200600_302600_NS4plusIsEEEEZZNS1_33reduce_by_key_impl_wrapped_configILNS1_25lookback_scan_determinismE0ES3_S9_NS6_6detail15normal_iteratorINS6_10device_ptrIsEEEESG_SG_SG_PmS8_NS6_8equal_toIsEEEE10hipError_tPvRmT2_T3_mT4_T5_T6_T7_T8_P12ihipStream_tbENKUlT_T0_E_clISt17integral_constantIbLb0EES11_EEDaSW_SX_EUlSW_E_NS1_11comp_targetILNS1_3genE2ELNS1_11target_archE906ELNS1_3gpuE6ELNS1_3repE0EEENS1_30default_config_static_selectorELNS0_4arch9wavefront6targetE1EEEvT1_ ; -- Begin function _ZN7rocprim17ROCPRIM_400000_NS6detail17trampoline_kernelINS0_14default_configENS1_29reduce_by_key_config_selectorIssN6thrust23THRUST_200600_302600_NS4plusIsEEEEZZNS1_33reduce_by_key_impl_wrapped_configILNS1_25lookback_scan_determinismE0ES3_S9_NS6_6detail15normal_iteratorINS6_10device_ptrIsEEEESG_SG_SG_PmS8_NS6_8equal_toIsEEEE10hipError_tPvRmT2_T3_mT4_T5_T6_T7_T8_P12ihipStream_tbENKUlT_T0_E_clISt17integral_constantIbLb0EES11_EEDaSW_SX_EUlSW_E_NS1_11comp_targetILNS1_3genE2ELNS1_11target_archE906ELNS1_3gpuE6ELNS1_3repE0EEENS1_30default_config_static_selectorELNS0_4arch9wavefront6targetE1EEEvT1_
	.globl	_ZN7rocprim17ROCPRIM_400000_NS6detail17trampoline_kernelINS0_14default_configENS1_29reduce_by_key_config_selectorIssN6thrust23THRUST_200600_302600_NS4plusIsEEEEZZNS1_33reduce_by_key_impl_wrapped_configILNS1_25lookback_scan_determinismE0ES3_S9_NS6_6detail15normal_iteratorINS6_10device_ptrIsEEEESG_SG_SG_PmS8_NS6_8equal_toIsEEEE10hipError_tPvRmT2_T3_mT4_T5_T6_T7_T8_P12ihipStream_tbENKUlT_T0_E_clISt17integral_constantIbLb0EES11_EEDaSW_SX_EUlSW_E_NS1_11comp_targetILNS1_3genE2ELNS1_11target_archE906ELNS1_3gpuE6ELNS1_3repE0EEENS1_30default_config_static_selectorELNS0_4arch9wavefront6targetE1EEEvT1_
	.p2align	8
	.type	_ZN7rocprim17ROCPRIM_400000_NS6detail17trampoline_kernelINS0_14default_configENS1_29reduce_by_key_config_selectorIssN6thrust23THRUST_200600_302600_NS4plusIsEEEEZZNS1_33reduce_by_key_impl_wrapped_configILNS1_25lookback_scan_determinismE0ES3_S9_NS6_6detail15normal_iteratorINS6_10device_ptrIsEEEESG_SG_SG_PmS8_NS6_8equal_toIsEEEE10hipError_tPvRmT2_T3_mT4_T5_T6_T7_T8_P12ihipStream_tbENKUlT_T0_E_clISt17integral_constantIbLb0EES11_EEDaSW_SX_EUlSW_E_NS1_11comp_targetILNS1_3genE2ELNS1_11target_archE906ELNS1_3gpuE6ELNS1_3repE0EEENS1_30default_config_static_selectorELNS0_4arch9wavefront6targetE1EEEvT1_,@function
_ZN7rocprim17ROCPRIM_400000_NS6detail17trampoline_kernelINS0_14default_configENS1_29reduce_by_key_config_selectorIssN6thrust23THRUST_200600_302600_NS4plusIsEEEEZZNS1_33reduce_by_key_impl_wrapped_configILNS1_25lookback_scan_determinismE0ES3_S9_NS6_6detail15normal_iteratorINS6_10device_ptrIsEEEESG_SG_SG_PmS8_NS6_8equal_toIsEEEE10hipError_tPvRmT2_T3_mT4_T5_T6_T7_T8_P12ihipStream_tbENKUlT_T0_E_clISt17integral_constantIbLb0EES11_EEDaSW_SX_EUlSW_E_NS1_11comp_targetILNS1_3genE2ELNS1_11target_archE906ELNS1_3gpuE6ELNS1_3repE0EEENS1_30default_config_static_selectorELNS0_4arch9wavefront6targetE1EEEvT1_: ; @_ZN7rocprim17ROCPRIM_400000_NS6detail17trampoline_kernelINS0_14default_configENS1_29reduce_by_key_config_selectorIssN6thrust23THRUST_200600_302600_NS4plusIsEEEEZZNS1_33reduce_by_key_impl_wrapped_configILNS1_25lookback_scan_determinismE0ES3_S9_NS6_6detail15normal_iteratorINS6_10device_ptrIsEEEESG_SG_SG_PmS8_NS6_8equal_toIsEEEE10hipError_tPvRmT2_T3_mT4_T5_T6_T7_T8_P12ihipStream_tbENKUlT_T0_E_clISt17integral_constantIbLb0EES11_EEDaSW_SX_EUlSW_E_NS1_11comp_targetILNS1_3genE2ELNS1_11target_archE906ELNS1_3gpuE6ELNS1_3repE0EEENS1_30default_config_static_selectorELNS0_4arch9wavefront6targetE1EEEvT1_
; %bb.0:
	.section	.rodata,"a",@progbits
	.p2align	6, 0x0
	.amdhsa_kernel _ZN7rocprim17ROCPRIM_400000_NS6detail17trampoline_kernelINS0_14default_configENS1_29reduce_by_key_config_selectorIssN6thrust23THRUST_200600_302600_NS4plusIsEEEEZZNS1_33reduce_by_key_impl_wrapped_configILNS1_25lookback_scan_determinismE0ES3_S9_NS6_6detail15normal_iteratorINS6_10device_ptrIsEEEESG_SG_SG_PmS8_NS6_8equal_toIsEEEE10hipError_tPvRmT2_T3_mT4_T5_T6_T7_T8_P12ihipStream_tbENKUlT_T0_E_clISt17integral_constantIbLb0EES11_EEDaSW_SX_EUlSW_E_NS1_11comp_targetILNS1_3genE2ELNS1_11target_archE906ELNS1_3gpuE6ELNS1_3repE0EEENS1_30default_config_static_selectorELNS0_4arch9wavefront6targetE1EEEvT1_
		.amdhsa_group_segment_fixed_size 0
		.amdhsa_private_segment_fixed_size 0
		.amdhsa_kernarg_size 120
		.amdhsa_user_sgpr_count 6
		.amdhsa_user_sgpr_private_segment_buffer 1
		.amdhsa_user_sgpr_dispatch_ptr 0
		.amdhsa_user_sgpr_queue_ptr 0
		.amdhsa_user_sgpr_kernarg_segment_ptr 1
		.amdhsa_user_sgpr_dispatch_id 0
		.amdhsa_user_sgpr_flat_scratch_init 0
		.amdhsa_user_sgpr_kernarg_preload_length 0
		.amdhsa_user_sgpr_kernarg_preload_offset 0
		.amdhsa_user_sgpr_private_segment_size 0
		.amdhsa_uses_dynamic_stack 0
		.amdhsa_system_sgpr_private_segment_wavefront_offset 0
		.amdhsa_system_sgpr_workgroup_id_x 1
		.amdhsa_system_sgpr_workgroup_id_y 0
		.amdhsa_system_sgpr_workgroup_id_z 0
		.amdhsa_system_sgpr_workgroup_info 0
		.amdhsa_system_vgpr_workitem_id 0
		.amdhsa_next_free_vgpr 1
		.amdhsa_next_free_sgpr 0
		.amdhsa_accum_offset 4
		.amdhsa_reserve_vcc 0
		.amdhsa_reserve_flat_scratch 0
		.amdhsa_float_round_mode_32 0
		.amdhsa_float_round_mode_16_64 0
		.amdhsa_float_denorm_mode_32 3
		.amdhsa_float_denorm_mode_16_64 3
		.amdhsa_dx10_clamp 1
		.amdhsa_ieee_mode 1
		.amdhsa_fp16_overflow 0
		.amdhsa_tg_split 0
		.amdhsa_exception_fp_ieee_invalid_op 0
		.amdhsa_exception_fp_denorm_src 0
		.amdhsa_exception_fp_ieee_div_zero 0
		.amdhsa_exception_fp_ieee_overflow 0
		.amdhsa_exception_fp_ieee_underflow 0
		.amdhsa_exception_fp_ieee_inexact 0
		.amdhsa_exception_int_div_zero 0
	.end_amdhsa_kernel
	.section	.text._ZN7rocprim17ROCPRIM_400000_NS6detail17trampoline_kernelINS0_14default_configENS1_29reduce_by_key_config_selectorIssN6thrust23THRUST_200600_302600_NS4plusIsEEEEZZNS1_33reduce_by_key_impl_wrapped_configILNS1_25lookback_scan_determinismE0ES3_S9_NS6_6detail15normal_iteratorINS6_10device_ptrIsEEEESG_SG_SG_PmS8_NS6_8equal_toIsEEEE10hipError_tPvRmT2_T3_mT4_T5_T6_T7_T8_P12ihipStream_tbENKUlT_T0_E_clISt17integral_constantIbLb0EES11_EEDaSW_SX_EUlSW_E_NS1_11comp_targetILNS1_3genE2ELNS1_11target_archE906ELNS1_3gpuE6ELNS1_3repE0EEENS1_30default_config_static_selectorELNS0_4arch9wavefront6targetE1EEEvT1_,"axG",@progbits,_ZN7rocprim17ROCPRIM_400000_NS6detail17trampoline_kernelINS0_14default_configENS1_29reduce_by_key_config_selectorIssN6thrust23THRUST_200600_302600_NS4plusIsEEEEZZNS1_33reduce_by_key_impl_wrapped_configILNS1_25lookback_scan_determinismE0ES3_S9_NS6_6detail15normal_iteratorINS6_10device_ptrIsEEEESG_SG_SG_PmS8_NS6_8equal_toIsEEEE10hipError_tPvRmT2_T3_mT4_T5_T6_T7_T8_P12ihipStream_tbENKUlT_T0_E_clISt17integral_constantIbLb0EES11_EEDaSW_SX_EUlSW_E_NS1_11comp_targetILNS1_3genE2ELNS1_11target_archE906ELNS1_3gpuE6ELNS1_3repE0EEENS1_30default_config_static_selectorELNS0_4arch9wavefront6targetE1EEEvT1_,comdat
.Lfunc_end626:
	.size	_ZN7rocprim17ROCPRIM_400000_NS6detail17trampoline_kernelINS0_14default_configENS1_29reduce_by_key_config_selectorIssN6thrust23THRUST_200600_302600_NS4plusIsEEEEZZNS1_33reduce_by_key_impl_wrapped_configILNS1_25lookback_scan_determinismE0ES3_S9_NS6_6detail15normal_iteratorINS6_10device_ptrIsEEEESG_SG_SG_PmS8_NS6_8equal_toIsEEEE10hipError_tPvRmT2_T3_mT4_T5_T6_T7_T8_P12ihipStream_tbENKUlT_T0_E_clISt17integral_constantIbLb0EES11_EEDaSW_SX_EUlSW_E_NS1_11comp_targetILNS1_3genE2ELNS1_11target_archE906ELNS1_3gpuE6ELNS1_3repE0EEENS1_30default_config_static_selectorELNS0_4arch9wavefront6targetE1EEEvT1_, .Lfunc_end626-_ZN7rocprim17ROCPRIM_400000_NS6detail17trampoline_kernelINS0_14default_configENS1_29reduce_by_key_config_selectorIssN6thrust23THRUST_200600_302600_NS4plusIsEEEEZZNS1_33reduce_by_key_impl_wrapped_configILNS1_25lookback_scan_determinismE0ES3_S9_NS6_6detail15normal_iteratorINS6_10device_ptrIsEEEESG_SG_SG_PmS8_NS6_8equal_toIsEEEE10hipError_tPvRmT2_T3_mT4_T5_T6_T7_T8_P12ihipStream_tbENKUlT_T0_E_clISt17integral_constantIbLb0EES11_EEDaSW_SX_EUlSW_E_NS1_11comp_targetILNS1_3genE2ELNS1_11target_archE906ELNS1_3gpuE6ELNS1_3repE0EEENS1_30default_config_static_selectorELNS0_4arch9wavefront6targetE1EEEvT1_
                                        ; -- End function
	.section	.AMDGPU.csdata,"",@progbits
; Kernel info:
; codeLenInByte = 0
; NumSgprs: 4
; NumVgprs: 0
; NumAgprs: 0
; TotalNumVgprs: 0
; ScratchSize: 0
; MemoryBound: 0
; FloatMode: 240
; IeeeMode: 1
; LDSByteSize: 0 bytes/workgroup (compile time only)
; SGPRBlocks: 0
; VGPRBlocks: 0
; NumSGPRsForWavesPerEU: 4
; NumVGPRsForWavesPerEU: 1
; AccumOffset: 4
; Occupancy: 8
; WaveLimiterHint : 0
; COMPUTE_PGM_RSRC2:SCRATCH_EN: 0
; COMPUTE_PGM_RSRC2:USER_SGPR: 6
; COMPUTE_PGM_RSRC2:TRAP_HANDLER: 0
; COMPUTE_PGM_RSRC2:TGID_X_EN: 1
; COMPUTE_PGM_RSRC2:TGID_Y_EN: 0
; COMPUTE_PGM_RSRC2:TGID_Z_EN: 0
; COMPUTE_PGM_RSRC2:TIDIG_COMP_CNT: 0
; COMPUTE_PGM_RSRC3_GFX90A:ACCUM_OFFSET: 0
; COMPUTE_PGM_RSRC3_GFX90A:TG_SPLIT: 0
	.section	.text._ZN7rocprim17ROCPRIM_400000_NS6detail17trampoline_kernelINS0_14default_configENS1_29reduce_by_key_config_selectorIssN6thrust23THRUST_200600_302600_NS4plusIsEEEEZZNS1_33reduce_by_key_impl_wrapped_configILNS1_25lookback_scan_determinismE0ES3_S9_NS6_6detail15normal_iteratorINS6_10device_ptrIsEEEESG_SG_SG_PmS8_NS6_8equal_toIsEEEE10hipError_tPvRmT2_T3_mT4_T5_T6_T7_T8_P12ihipStream_tbENKUlT_T0_E_clISt17integral_constantIbLb0EES11_EEDaSW_SX_EUlSW_E_NS1_11comp_targetILNS1_3genE10ELNS1_11target_archE1201ELNS1_3gpuE5ELNS1_3repE0EEENS1_30default_config_static_selectorELNS0_4arch9wavefront6targetE1EEEvT1_,"axG",@progbits,_ZN7rocprim17ROCPRIM_400000_NS6detail17trampoline_kernelINS0_14default_configENS1_29reduce_by_key_config_selectorIssN6thrust23THRUST_200600_302600_NS4plusIsEEEEZZNS1_33reduce_by_key_impl_wrapped_configILNS1_25lookback_scan_determinismE0ES3_S9_NS6_6detail15normal_iteratorINS6_10device_ptrIsEEEESG_SG_SG_PmS8_NS6_8equal_toIsEEEE10hipError_tPvRmT2_T3_mT4_T5_T6_T7_T8_P12ihipStream_tbENKUlT_T0_E_clISt17integral_constantIbLb0EES11_EEDaSW_SX_EUlSW_E_NS1_11comp_targetILNS1_3genE10ELNS1_11target_archE1201ELNS1_3gpuE5ELNS1_3repE0EEENS1_30default_config_static_selectorELNS0_4arch9wavefront6targetE1EEEvT1_,comdat
	.protected	_ZN7rocprim17ROCPRIM_400000_NS6detail17trampoline_kernelINS0_14default_configENS1_29reduce_by_key_config_selectorIssN6thrust23THRUST_200600_302600_NS4plusIsEEEEZZNS1_33reduce_by_key_impl_wrapped_configILNS1_25lookback_scan_determinismE0ES3_S9_NS6_6detail15normal_iteratorINS6_10device_ptrIsEEEESG_SG_SG_PmS8_NS6_8equal_toIsEEEE10hipError_tPvRmT2_T3_mT4_T5_T6_T7_T8_P12ihipStream_tbENKUlT_T0_E_clISt17integral_constantIbLb0EES11_EEDaSW_SX_EUlSW_E_NS1_11comp_targetILNS1_3genE10ELNS1_11target_archE1201ELNS1_3gpuE5ELNS1_3repE0EEENS1_30default_config_static_selectorELNS0_4arch9wavefront6targetE1EEEvT1_ ; -- Begin function _ZN7rocprim17ROCPRIM_400000_NS6detail17trampoline_kernelINS0_14default_configENS1_29reduce_by_key_config_selectorIssN6thrust23THRUST_200600_302600_NS4plusIsEEEEZZNS1_33reduce_by_key_impl_wrapped_configILNS1_25lookback_scan_determinismE0ES3_S9_NS6_6detail15normal_iteratorINS6_10device_ptrIsEEEESG_SG_SG_PmS8_NS6_8equal_toIsEEEE10hipError_tPvRmT2_T3_mT4_T5_T6_T7_T8_P12ihipStream_tbENKUlT_T0_E_clISt17integral_constantIbLb0EES11_EEDaSW_SX_EUlSW_E_NS1_11comp_targetILNS1_3genE10ELNS1_11target_archE1201ELNS1_3gpuE5ELNS1_3repE0EEENS1_30default_config_static_selectorELNS0_4arch9wavefront6targetE1EEEvT1_
	.globl	_ZN7rocprim17ROCPRIM_400000_NS6detail17trampoline_kernelINS0_14default_configENS1_29reduce_by_key_config_selectorIssN6thrust23THRUST_200600_302600_NS4plusIsEEEEZZNS1_33reduce_by_key_impl_wrapped_configILNS1_25lookback_scan_determinismE0ES3_S9_NS6_6detail15normal_iteratorINS6_10device_ptrIsEEEESG_SG_SG_PmS8_NS6_8equal_toIsEEEE10hipError_tPvRmT2_T3_mT4_T5_T6_T7_T8_P12ihipStream_tbENKUlT_T0_E_clISt17integral_constantIbLb0EES11_EEDaSW_SX_EUlSW_E_NS1_11comp_targetILNS1_3genE10ELNS1_11target_archE1201ELNS1_3gpuE5ELNS1_3repE0EEENS1_30default_config_static_selectorELNS0_4arch9wavefront6targetE1EEEvT1_
	.p2align	8
	.type	_ZN7rocprim17ROCPRIM_400000_NS6detail17trampoline_kernelINS0_14default_configENS1_29reduce_by_key_config_selectorIssN6thrust23THRUST_200600_302600_NS4plusIsEEEEZZNS1_33reduce_by_key_impl_wrapped_configILNS1_25lookback_scan_determinismE0ES3_S9_NS6_6detail15normal_iteratorINS6_10device_ptrIsEEEESG_SG_SG_PmS8_NS6_8equal_toIsEEEE10hipError_tPvRmT2_T3_mT4_T5_T6_T7_T8_P12ihipStream_tbENKUlT_T0_E_clISt17integral_constantIbLb0EES11_EEDaSW_SX_EUlSW_E_NS1_11comp_targetILNS1_3genE10ELNS1_11target_archE1201ELNS1_3gpuE5ELNS1_3repE0EEENS1_30default_config_static_selectorELNS0_4arch9wavefront6targetE1EEEvT1_,@function
_ZN7rocprim17ROCPRIM_400000_NS6detail17trampoline_kernelINS0_14default_configENS1_29reduce_by_key_config_selectorIssN6thrust23THRUST_200600_302600_NS4plusIsEEEEZZNS1_33reduce_by_key_impl_wrapped_configILNS1_25lookback_scan_determinismE0ES3_S9_NS6_6detail15normal_iteratorINS6_10device_ptrIsEEEESG_SG_SG_PmS8_NS6_8equal_toIsEEEE10hipError_tPvRmT2_T3_mT4_T5_T6_T7_T8_P12ihipStream_tbENKUlT_T0_E_clISt17integral_constantIbLb0EES11_EEDaSW_SX_EUlSW_E_NS1_11comp_targetILNS1_3genE10ELNS1_11target_archE1201ELNS1_3gpuE5ELNS1_3repE0EEENS1_30default_config_static_selectorELNS0_4arch9wavefront6targetE1EEEvT1_: ; @_ZN7rocprim17ROCPRIM_400000_NS6detail17trampoline_kernelINS0_14default_configENS1_29reduce_by_key_config_selectorIssN6thrust23THRUST_200600_302600_NS4plusIsEEEEZZNS1_33reduce_by_key_impl_wrapped_configILNS1_25lookback_scan_determinismE0ES3_S9_NS6_6detail15normal_iteratorINS6_10device_ptrIsEEEESG_SG_SG_PmS8_NS6_8equal_toIsEEEE10hipError_tPvRmT2_T3_mT4_T5_T6_T7_T8_P12ihipStream_tbENKUlT_T0_E_clISt17integral_constantIbLb0EES11_EEDaSW_SX_EUlSW_E_NS1_11comp_targetILNS1_3genE10ELNS1_11target_archE1201ELNS1_3gpuE5ELNS1_3repE0EEENS1_30default_config_static_selectorELNS0_4arch9wavefront6targetE1EEEvT1_
; %bb.0:
	.section	.rodata,"a",@progbits
	.p2align	6, 0x0
	.amdhsa_kernel _ZN7rocprim17ROCPRIM_400000_NS6detail17trampoline_kernelINS0_14default_configENS1_29reduce_by_key_config_selectorIssN6thrust23THRUST_200600_302600_NS4plusIsEEEEZZNS1_33reduce_by_key_impl_wrapped_configILNS1_25lookback_scan_determinismE0ES3_S9_NS6_6detail15normal_iteratorINS6_10device_ptrIsEEEESG_SG_SG_PmS8_NS6_8equal_toIsEEEE10hipError_tPvRmT2_T3_mT4_T5_T6_T7_T8_P12ihipStream_tbENKUlT_T0_E_clISt17integral_constantIbLb0EES11_EEDaSW_SX_EUlSW_E_NS1_11comp_targetILNS1_3genE10ELNS1_11target_archE1201ELNS1_3gpuE5ELNS1_3repE0EEENS1_30default_config_static_selectorELNS0_4arch9wavefront6targetE1EEEvT1_
		.amdhsa_group_segment_fixed_size 0
		.amdhsa_private_segment_fixed_size 0
		.amdhsa_kernarg_size 120
		.amdhsa_user_sgpr_count 6
		.amdhsa_user_sgpr_private_segment_buffer 1
		.amdhsa_user_sgpr_dispatch_ptr 0
		.amdhsa_user_sgpr_queue_ptr 0
		.amdhsa_user_sgpr_kernarg_segment_ptr 1
		.amdhsa_user_sgpr_dispatch_id 0
		.amdhsa_user_sgpr_flat_scratch_init 0
		.amdhsa_user_sgpr_kernarg_preload_length 0
		.amdhsa_user_sgpr_kernarg_preload_offset 0
		.amdhsa_user_sgpr_private_segment_size 0
		.amdhsa_uses_dynamic_stack 0
		.amdhsa_system_sgpr_private_segment_wavefront_offset 0
		.amdhsa_system_sgpr_workgroup_id_x 1
		.amdhsa_system_sgpr_workgroup_id_y 0
		.amdhsa_system_sgpr_workgroup_id_z 0
		.amdhsa_system_sgpr_workgroup_info 0
		.amdhsa_system_vgpr_workitem_id 0
		.amdhsa_next_free_vgpr 1
		.amdhsa_next_free_sgpr 0
		.amdhsa_accum_offset 4
		.amdhsa_reserve_vcc 0
		.amdhsa_reserve_flat_scratch 0
		.amdhsa_float_round_mode_32 0
		.amdhsa_float_round_mode_16_64 0
		.amdhsa_float_denorm_mode_32 3
		.amdhsa_float_denorm_mode_16_64 3
		.amdhsa_dx10_clamp 1
		.amdhsa_ieee_mode 1
		.amdhsa_fp16_overflow 0
		.amdhsa_tg_split 0
		.amdhsa_exception_fp_ieee_invalid_op 0
		.amdhsa_exception_fp_denorm_src 0
		.amdhsa_exception_fp_ieee_div_zero 0
		.amdhsa_exception_fp_ieee_overflow 0
		.amdhsa_exception_fp_ieee_underflow 0
		.amdhsa_exception_fp_ieee_inexact 0
		.amdhsa_exception_int_div_zero 0
	.end_amdhsa_kernel
	.section	.text._ZN7rocprim17ROCPRIM_400000_NS6detail17trampoline_kernelINS0_14default_configENS1_29reduce_by_key_config_selectorIssN6thrust23THRUST_200600_302600_NS4plusIsEEEEZZNS1_33reduce_by_key_impl_wrapped_configILNS1_25lookback_scan_determinismE0ES3_S9_NS6_6detail15normal_iteratorINS6_10device_ptrIsEEEESG_SG_SG_PmS8_NS6_8equal_toIsEEEE10hipError_tPvRmT2_T3_mT4_T5_T6_T7_T8_P12ihipStream_tbENKUlT_T0_E_clISt17integral_constantIbLb0EES11_EEDaSW_SX_EUlSW_E_NS1_11comp_targetILNS1_3genE10ELNS1_11target_archE1201ELNS1_3gpuE5ELNS1_3repE0EEENS1_30default_config_static_selectorELNS0_4arch9wavefront6targetE1EEEvT1_,"axG",@progbits,_ZN7rocprim17ROCPRIM_400000_NS6detail17trampoline_kernelINS0_14default_configENS1_29reduce_by_key_config_selectorIssN6thrust23THRUST_200600_302600_NS4plusIsEEEEZZNS1_33reduce_by_key_impl_wrapped_configILNS1_25lookback_scan_determinismE0ES3_S9_NS6_6detail15normal_iteratorINS6_10device_ptrIsEEEESG_SG_SG_PmS8_NS6_8equal_toIsEEEE10hipError_tPvRmT2_T3_mT4_T5_T6_T7_T8_P12ihipStream_tbENKUlT_T0_E_clISt17integral_constantIbLb0EES11_EEDaSW_SX_EUlSW_E_NS1_11comp_targetILNS1_3genE10ELNS1_11target_archE1201ELNS1_3gpuE5ELNS1_3repE0EEENS1_30default_config_static_selectorELNS0_4arch9wavefront6targetE1EEEvT1_,comdat
.Lfunc_end627:
	.size	_ZN7rocprim17ROCPRIM_400000_NS6detail17trampoline_kernelINS0_14default_configENS1_29reduce_by_key_config_selectorIssN6thrust23THRUST_200600_302600_NS4plusIsEEEEZZNS1_33reduce_by_key_impl_wrapped_configILNS1_25lookback_scan_determinismE0ES3_S9_NS6_6detail15normal_iteratorINS6_10device_ptrIsEEEESG_SG_SG_PmS8_NS6_8equal_toIsEEEE10hipError_tPvRmT2_T3_mT4_T5_T6_T7_T8_P12ihipStream_tbENKUlT_T0_E_clISt17integral_constantIbLb0EES11_EEDaSW_SX_EUlSW_E_NS1_11comp_targetILNS1_3genE10ELNS1_11target_archE1201ELNS1_3gpuE5ELNS1_3repE0EEENS1_30default_config_static_selectorELNS0_4arch9wavefront6targetE1EEEvT1_, .Lfunc_end627-_ZN7rocprim17ROCPRIM_400000_NS6detail17trampoline_kernelINS0_14default_configENS1_29reduce_by_key_config_selectorIssN6thrust23THRUST_200600_302600_NS4plusIsEEEEZZNS1_33reduce_by_key_impl_wrapped_configILNS1_25lookback_scan_determinismE0ES3_S9_NS6_6detail15normal_iteratorINS6_10device_ptrIsEEEESG_SG_SG_PmS8_NS6_8equal_toIsEEEE10hipError_tPvRmT2_T3_mT4_T5_T6_T7_T8_P12ihipStream_tbENKUlT_T0_E_clISt17integral_constantIbLb0EES11_EEDaSW_SX_EUlSW_E_NS1_11comp_targetILNS1_3genE10ELNS1_11target_archE1201ELNS1_3gpuE5ELNS1_3repE0EEENS1_30default_config_static_selectorELNS0_4arch9wavefront6targetE1EEEvT1_
                                        ; -- End function
	.section	.AMDGPU.csdata,"",@progbits
; Kernel info:
; codeLenInByte = 0
; NumSgprs: 4
; NumVgprs: 0
; NumAgprs: 0
; TotalNumVgprs: 0
; ScratchSize: 0
; MemoryBound: 0
; FloatMode: 240
; IeeeMode: 1
; LDSByteSize: 0 bytes/workgroup (compile time only)
; SGPRBlocks: 0
; VGPRBlocks: 0
; NumSGPRsForWavesPerEU: 4
; NumVGPRsForWavesPerEU: 1
; AccumOffset: 4
; Occupancy: 8
; WaveLimiterHint : 0
; COMPUTE_PGM_RSRC2:SCRATCH_EN: 0
; COMPUTE_PGM_RSRC2:USER_SGPR: 6
; COMPUTE_PGM_RSRC2:TRAP_HANDLER: 0
; COMPUTE_PGM_RSRC2:TGID_X_EN: 1
; COMPUTE_PGM_RSRC2:TGID_Y_EN: 0
; COMPUTE_PGM_RSRC2:TGID_Z_EN: 0
; COMPUTE_PGM_RSRC2:TIDIG_COMP_CNT: 0
; COMPUTE_PGM_RSRC3_GFX90A:ACCUM_OFFSET: 0
; COMPUTE_PGM_RSRC3_GFX90A:TG_SPLIT: 0
	.section	.text._ZN7rocprim17ROCPRIM_400000_NS6detail17trampoline_kernelINS0_14default_configENS1_29reduce_by_key_config_selectorIssN6thrust23THRUST_200600_302600_NS4plusIsEEEEZZNS1_33reduce_by_key_impl_wrapped_configILNS1_25lookback_scan_determinismE0ES3_S9_NS6_6detail15normal_iteratorINS6_10device_ptrIsEEEESG_SG_SG_PmS8_NS6_8equal_toIsEEEE10hipError_tPvRmT2_T3_mT4_T5_T6_T7_T8_P12ihipStream_tbENKUlT_T0_E_clISt17integral_constantIbLb0EES11_EEDaSW_SX_EUlSW_E_NS1_11comp_targetILNS1_3genE10ELNS1_11target_archE1200ELNS1_3gpuE4ELNS1_3repE0EEENS1_30default_config_static_selectorELNS0_4arch9wavefront6targetE1EEEvT1_,"axG",@progbits,_ZN7rocprim17ROCPRIM_400000_NS6detail17trampoline_kernelINS0_14default_configENS1_29reduce_by_key_config_selectorIssN6thrust23THRUST_200600_302600_NS4plusIsEEEEZZNS1_33reduce_by_key_impl_wrapped_configILNS1_25lookback_scan_determinismE0ES3_S9_NS6_6detail15normal_iteratorINS6_10device_ptrIsEEEESG_SG_SG_PmS8_NS6_8equal_toIsEEEE10hipError_tPvRmT2_T3_mT4_T5_T6_T7_T8_P12ihipStream_tbENKUlT_T0_E_clISt17integral_constantIbLb0EES11_EEDaSW_SX_EUlSW_E_NS1_11comp_targetILNS1_3genE10ELNS1_11target_archE1200ELNS1_3gpuE4ELNS1_3repE0EEENS1_30default_config_static_selectorELNS0_4arch9wavefront6targetE1EEEvT1_,comdat
	.protected	_ZN7rocprim17ROCPRIM_400000_NS6detail17trampoline_kernelINS0_14default_configENS1_29reduce_by_key_config_selectorIssN6thrust23THRUST_200600_302600_NS4plusIsEEEEZZNS1_33reduce_by_key_impl_wrapped_configILNS1_25lookback_scan_determinismE0ES3_S9_NS6_6detail15normal_iteratorINS6_10device_ptrIsEEEESG_SG_SG_PmS8_NS6_8equal_toIsEEEE10hipError_tPvRmT2_T3_mT4_T5_T6_T7_T8_P12ihipStream_tbENKUlT_T0_E_clISt17integral_constantIbLb0EES11_EEDaSW_SX_EUlSW_E_NS1_11comp_targetILNS1_3genE10ELNS1_11target_archE1200ELNS1_3gpuE4ELNS1_3repE0EEENS1_30default_config_static_selectorELNS0_4arch9wavefront6targetE1EEEvT1_ ; -- Begin function _ZN7rocprim17ROCPRIM_400000_NS6detail17trampoline_kernelINS0_14default_configENS1_29reduce_by_key_config_selectorIssN6thrust23THRUST_200600_302600_NS4plusIsEEEEZZNS1_33reduce_by_key_impl_wrapped_configILNS1_25lookback_scan_determinismE0ES3_S9_NS6_6detail15normal_iteratorINS6_10device_ptrIsEEEESG_SG_SG_PmS8_NS6_8equal_toIsEEEE10hipError_tPvRmT2_T3_mT4_T5_T6_T7_T8_P12ihipStream_tbENKUlT_T0_E_clISt17integral_constantIbLb0EES11_EEDaSW_SX_EUlSW_E_NS1_11comp_targetILNS1_3genE10ELNS1_11target_archE1200ELNS1_3gpuE4ELNS1_3repE0EEENS1_30default_config_static_selectorELNS0_4arch9wavefront6targetE1EEEvT1_
	.globl	_ZN7rocprim17ROCPRIM_400000_NS6detail17trampoline_kernelINS0_14default_configENS1_29reduce_by_key_config_selectorIssN6thrust23THRUST_200600_302600_NS4plusIsEEEEZZNS1_33reduce_by_key_impl_wrapped_configILNS1_25lookback_scan_determinismE0ES3_S9_NS6_6detail15normal_iteratorINS6_10device_ptrIsEEEESG_SG_SG_PmS8_NS6_8equal_toIsEEEE10hipError_tPvRmT2_T3_mT4_T5_T6_T7_T8_P12ihipStream_tbENKUlT_T0_E_clISt17integral_constantIbLb0EES11_EEDaSW_SX_EUlSW_E_NS1_11comp_targetILNS1_3genE10ELNS1_11target_archE1200ELNS1_3gpuE4ELNS1_3repE0EEENS1_30default_config_static_selectorELNS0_4arch9wavefront6targetE1EEEvT1_
	.p2align	8
	.type	_ZN7rocprim17ROCPRIM_400000_NS6detail17trampoline_kernelINS0_14default_configENS1_29reduce_by_key_config_selectorIssN6thrust23THRUST_200600_302600_NS4plusIsEEEEZZNS1_33reduce_by_key_impl_wrapped_configILNS1_25lookback_scan_determinismE0ES3_S9_NS6_6detail15normal_iteratorINS6_10device_ptrIsEEEESG_SG_SG_PmS8_NS6_8equal_toIsEEEE10hipError_tPvRmT2_T3_mT4_T5_T6_T7_T8_P12ihipStream_tbENKUlT_T0_E_clISt17integral_constantIbLb0EES11_EEDaSW_SX_EUlSW_E_NS1_11comp_targetILNS1_3genE10ELNS1_11target_archE1200ELNS1_3gpuE4ELNS1_3repE0EEENS1_30default_config_static_selectorELNS0_4arch9wavefront6targetE1EEEvT1_,@function
_ZN7rocprim17ROCPRIM_400000_NS6detail17trampoline_kernelINS0_14default_configENS1_29reduce_by_key_config_selectorIssN6thrust23THRUST_200600_302600_NS4plusIsEEEEZZNS1_33reduce_by_key_impl_wrapped_configILNS1_25lookback_scan_determinismE0ES3_S9_NS6_6detail15normal_iteratorINS6_10device_ptrIsEEEESG_SG_SG_PmS8_NS6_8equal_toIsEEEE10hipError_tPvRmT2_T3_mT4_T5_T6_T7_T8_P12ihipStream_tbENKUlT_T0_E_clISt17integral_constantIbLb0EES11_EEDaSW_SX_EUlSW_E_NS1_11comp_targetILNS1_3genE10ELNS1_11target_archE1200ELNS1_3gpuE4ELNS1_3repE0EEENS1_30default_config_static_selectorELNS0_4arch9wavefront6targetE1EEEvT1_: ; @_ZN7rocprim17ROCPRIM_400000_NS6detail17trampoline_kernelINS0_14default_configENS1_29reduce_by_key_config_selectorIssN6thrust23THRUST_200600_302600_NS4plusIsEEEEZZNS1_33reduce_by_key_impl_wrapped_configILNS1_25lookback_scan_determinismE0ES3_S9_NS6_6detail15normal_iteratorINS6_10device_ptrIsEEEESG_SG_SG_PmS8_NS6_8equal_toIsEEEE10hipError_tPvRmT2_T3_mT4_T5_T6_T7_T8_P12ihipStream_tbENKUlT_T0_E_clISt17integral_constantIbLb0EES11_EEDaSW_SX_EUlSW_E_NS1_11comp_targetILNS1_3genE10ELNS1_11target_archE1200ELNS1_3gpuE4ELNS1_3repE0EEENS1_30default_config_static_selectorELNS0_4arch9wavefront6targetE1EEEvT1_
; %bb.0:
	.section	.rodata,"a",@progbits
	.p2align	6, 0x0
	.amdhsa_kernel _ZN7rocprim17ROCPRIM_400000_NS6detail17trampoline_kernelINS0_14default_configENS1_29reduce_by_key_config_selectorIssN6thrust23THRUST_200600_302600_NS4plusIsEEEEZZNS1_33reduce_by_key_impl_wrapped_configILNS1_25lookback_scan_determinismE0ES3_S9_NS6_6detail15normal_iteratorINS6_10device_ptrIsEEEESG_SG_SG_PmS8_NS6_8equal_toIsEEEE10hipError_tPvRmT2_T3_mT4_T5_T6_T7_T8_P12ihipStream_tbENKUlT_T0_E_clISt17integral_constantIbLb0EES11_EEDaSW_SX_EUlSW_E_NS1_11comp_targetILNS1_3genE10ELNS1_11target_archE1200ELNS1_3gpuE4ELNS1_3repE0EEENS1_30default_config_static_selectorELNS0_4arch9wavefront6targetE1EEEvT1_
		.amdhsa_group_segment_fixed_size 0
		.amdhsa_private_segment_fixed_size 0
		.amdhsa_kernarg_size 120
		.amdhsa_user_sgpr_count 6
		.amdhsa_user_sgpr_private_segment_buffer 1
		.amdhsa_user_sgpr_dispatch_ptr 0
		.amdhsa_user_sgpr_queue_ptr 0
		.amdhsa_user_sgpr_kernarg_segment_ptr 1
		.amdhsa_user_sgpr_dispatch_id 0
		.amdhsa_user_sgpr_flat_scratch_init 0
		.amdhsa_user_sgpr_kernarg_preload_length 0
		.amdhsa_user_sgpr_kernarg_preload_offset 0
		.amdhsa_user_sgpr_private_segment_size 0
		.amdhsa_uses_dynamic_stack 0
		.amdhsa_system_sgpr_private_segment_wavefront_offset 0
		.amdhsa_system_sgpr_workgroup_id_x 1
		.amdhsa_system_sgpr_workgroup_id_y 0
		.amdhsa_system_sgpr_workgroup_id_z 0
		.amdhsa_system_sgpr_workgroup_info 0
		.amdhsa_system_vgpr_workitem_id 0
		.amdhsa_next_free_vgpr 1
		.amdhsa_next_free_sgpr 0
		.amdhsa_accum_offset 4
		.amdhsa_reserve_vcc 0
		.amdhsa_reserve_flat_scratch 0
		.amdhsa_float_round_mode_32 0
		.amdhsa_float_round_mode_16_64 0
		.amdhsa_float_denorm_mode_32 3
		.amdhsa_float_denorm_mode_16_64 3
		.amdhsa_dx10_clamp 1
		.amdhsa_ieee_mode 1
		.amdhsa_fp16_overflow 0
		.amdhsa_tg_split 0
		.amdhsa_exception_fp_ieee_invalid_op 0
		.amdhsa_exception_fp_denorm_src 0
		.amdhsa_exception_fp_ieee_div_zero 0
		.amdhsa_exception_fp_ieee_overflow 0
		.amdhsa_exception_fp_ieee_underflow 0
		.amdhsa_exception_fp_ieee_inexact 0
		.amdhsa_exception_int_div_zero 0
	.end_amdhsa_kernel
	.section	.text._ZN7rocprim17ROCPRIM_400000_NS6detail17trampoline_kernelINS0_14default_configENS1_29reduce_by_key_config_selectorIssN6thrust23THRUST_200600_302600_NS4plusIsEEEEZZNS1_33reduce_by_key_impl_wrapped_configILNS1_25lookback_scan_determinismE0ES3_S9_NS6_6detail15normal_iteratorINS6_10device_ptrIsEEEESG_SG_SG_PmS8_NS6_8equal_toIsEEEE10hipError_tPvRmT2_T3_mT4_T5_T6_T7_T8_P12ihipStream_tbENKUlT_T0_E_clISt17integral_constantIbLb0EES11_EEDaSW_SX_EUlSW_E_NS1_11comp_targetILNS1_3genE10ELNS1_11target_archE1200ELNS1_3gpuE4ELNS1_3repE0EEENS1_30default_config_static_selectorELNS0_4arch9wavefront6targetE1EEEvT1_,"axG",@progbits,_ZN7rocprim17ROCPRIM_400000_NS6detail17trampoline_kernelINS0_14default_configENS1_29reduce_by_key_config_selectorIssN6thrust23THRUST_200600_302600_NS4plusIsEEEEZZNS1_33reduce_by_key_impl_wrapped_configILNS1_25lookback_scan_determinismE0ES3_S9_NS6_6detail15normal_iteratorINS6_10device_ptrIsEEEESG_SG_SG_PmS8_NS6_8equal_toIsEEEE10hipError_tPvRmT2_T3_mT4_T5_T6_T7_T8_P12ihipStream_tbENKUlT_T0_E_clISt17integral_constantIbLb0EES11_EEDaSW_SX_EUlSW_E_NS1_11comp_targetILNS1_3genE10ELNS1_11target_archE1200ELNS1_3gpuE4ELNS1_3repE0EEENS1_30default_config_static_selectorELNS0_4arch9wavefront6targetE1EEEvT1_,comdat
.Lfunc_end628:
	.size	_ZN7rocprim17ROCPRIM_400000_NS6detail17trampoline_kernelINS0_14default_configENS1_29reduce_by_key_config_selectorIssN6thrust23THRUST_200600_302600_NS4plusIsEEEEZZNS1_33reduce_by_key_impl_wrapped_configILNS1_25lookback_scan_determinismE0ES3_S9_NS6_6detail15normal_iteratorINS6_10device_ptrIsEEEESG_SG_SG_PmS8_NS6_8equal_toIsEEEE10hipError_tPvRmT2_T3_mT4_T5_T6_T7_T8_P12ihipStream_tbENKUlT_T0_E_clISt17integral_constantIbLb0EES11_EEDaSW_SX_EUlSW_E_NS1_11comp_targetILNS1_3genE10ELNS1_11target_archE1200ELNS1_3gpuE4ELNS1_3repE0EEENS1_30default_config_static_selectorELNS0_4arch9wavefront6targetE1EEEvT1_, .Lfunc_end628-_ZN7rocprim17ROCPRIM_400000_NS6detail17trampoline_kernelINS0_14default_configENS1_29reduce_by_key_config_selectorIssN6thrust23THRUST_200600_302600_NS4plusIsEEEEZZNS1_33reduce_by_key_impl_wrapped_configILNS1_25lookback_scan_determinismE0ES3_S9_NS6_6detail15normal_iteratorINS6_10device_ptrIsEEEESG_SG_SG_PmS8_NS6_8equal_toIsEEEE10hipError_tPvRmT2_T3_mT4_T5_T6_T7_T8_P12ihipStream_tbENKUlT_T0_E_clISt17integral_constantIbLb0EES11_EEDaSW_SX_EUlSW_E_NS1_11comp_targetILNS1_3genE10ELNS1_11target_archE1200ELNS1_3gpuE4ELNS1_3repE0EEENS1_30default_config_static_selectorELNS0_4arch9wavefront6targetE1EEEvT1_
                                        ; -- End function
	.section	.AMDGPU.csdata,"",@progbits
; Kernel info:
; codeLenInByte = 0
; NumSgprs: 4
; NumVgprs: 0
; NumAgprs: 0
; TotalNumVgprs: 0
; ScratchSize: 0
; MemoryBound: 0
; FloatMode: 240
; IeeeMode: 1
; LDSByteSize: 0 bytes/workgroup (compile time only)
; SGPRBlocks: 0
; VGPRBlocks: 0
; NumSGPRsForWavesPerEU: 4
; NumVGPRsForWavesPerEU: 1
; AccumOffset: 4
; Occupancy: 8
; WaveLimiterHint : 0
; COMPUTE_PGM_RSRC2:SCRATCH_EN: 0
; COMPUTE_PGM_RSRC2:USER_SGPR: 6
; COMPUTE_PGM_RSRC2:TRAP_HANDLER: 0
; COMPUTE_PGM_RSRC2:TGID_X_EN: 1
; COMPUTE_PGM_RSRC2:TGID_Y_EN: 0
; COMPUTE_PGM_RSRC2:TGID_Z_EN: 0
; COMPUTE_PGM_RSRC2:TIDIG_COMP_CNT: 0
; COMPUTE_PGM_RSRC3_GFX90A:ACCUM_OFFSET: 0
; COMPUTE_PGM_RSRC3_GFX90A:TG_SPLIT: 0
	.section	.text._ZN7rocprim17ROCPRIM_400000_NS6detail17trampoline_kernelINS0_14default_configENS1_29reduce_by_key_config_selectorIssN6thrust23THRUST_200600_302600_NS4plusIsEEEEZZNS1_33reduce_by_key_impl_wrapped_configILNS1_25lookback_scan_determinismE0ES3_S9_NS6_6detail15normal_iteratorINS6_10device_ptrIsEEEESG_SG_SG_PmS8_NS6_8equal_toIsEEEE10hipError_tPvRmT2_T3_mT4_T5_T6_T7_T8_P12ihipStream_tbENKUlT_T0_E_clISt17integral_constantIbLb0EES11_EEDaSW_SX_EUlSW_E_NS1_11comp_targetILNS1_3genE9ELNS1_11target_archE1100ELNS1_3gpuE3ELNS1_3repE0EEENS1_30default_config_static_selectorELNS0_4arch9wavefront6targetE1EEEvT1_,"axG",@progbits,_ZN7rocprim17ROCPRIM_400000_NS6detail17trampoline_kernelINS0_14default_configENS1_29reduce_by_key_config_selectorIssN6thrust23THRUST_200600_302600_NS4plusIsEEEEZZNS1_33reduce_by_key_impl_wrapped_configILNS1_25lookback_scan_determinismE0ES3_S9_NS6_6detail15normal_iteratorINS6_10device_ptrIsEEEESG_SG_SG_PmS8_NS6_8equal_toIsEEEE10hipError_tPvRmT2_T3_mT4_T5_T6_T7_T8_P12ihipStream_tbENKUlT_T0_E_clISt17integral_constantIbLb0EES11_EEDaSW_SX_EUlSW_E_NS1_11comp_targetILNS1_3genE9ELNS1_11target_archE1100ELNS1_3gpuE3ELNS1_3repE0EEENS1_30default_config_static_selectorELNS0_4arch9wavefront6targetE1EEEvT1_,comdat
	.protected	_ZN7rocprim17ROCPRIM_400000_NS6detail17trampoline_kernelINS0_14default_configENS1_29reduce_by_key_config_selectorIssN6thrust23THRUST_200600_302600_NS4plusIsEEEEZZNS1_33reduce_by_key_impl_wrapped_configILNS1_25lookback_scan_determinismE0ES3_S9_NS6_6detail15normal_iteratorINS6_10device_ptrIsEEEESG_SG_SG_PmS8_NS6_8equal_toIsEEEE10hipError_tPvRmT2_T3_mT4_T5_T6_T7_T8_P12ihipStream_tbENKUlT_T0_E_clISt17integral_constantIbLb0EES11_EEDaSW_SX_EUlSW_E_NS1_11comp_targetILNS1_3genE9ELNS1_11target_archE1100ELNS1_3gpuE3ELNS1_3repE0EEENS1_30default_config_static_selectorELNS0_4arch9wavefront6targetE1EEEvT1_ ; -- Begin function _ZN7rocprim17ROCPRIM_400000_NS6detail17trampoline_kernelINS0_14default_configENS1_29reduce_by_key_config_selectorIssN6thrust23THRUST_200600_302600_NS4plusIsEEEEZZNS1_33reduce_by_key_impl_wrapped_configILNS1_25lookback_scan_determinismE0ES3_S9_NS6_6detail15normal_iteratorINS6_10device_ptrIsEEEESG_SG_SG_PmS8_NS6_8equal_toIsEEEE10hipError_tPvRmT2_T3_mT4_T5_T6_T7_T8_P12ihipStream_tbENKUlT_T0_E_clISt17integral_constantIbLb0EES11_EEDaSW_SX_EUlSW_E_NS1_11comp_targetILNS1_3genE9ELNS1_11target_archE1100ELNS1_3gpuE3ELNS1_3repE0EEENS1_30default_config_static_selectorELNS0_4arch9wavefront6targetE1EEEvT1_
	.globl	_ZN7rocprim17ROCPRIM_400000_NS6detail17trampoline_kernelINS0_14default_configENS1_29reduce_by_key_config_selectorIssN6thrust23THRUST_200600_302600_NS4plusIsEEEEZZNS1_33reduce_by_key_impl_wrapped_configILNS1_25lookback_scan_determinismE0ES3_S9_NS6_6detail15normal_iteratorINS6_10device_ptrIsEEEESG_SG_SG_PmS8_NS6_8equal_toIsEEEE10hipError_tPvRmT2_T3_mT4_T5_T6_T7_T8_P12ihipStream_tbENKUlT_T0_E_clISt17integral_constantIbLb0EES11_EEDaSW_SX_EUlSW_E_NS1_11comp_targetILNS1_3genE9ELNS1_11target_archE1100ELNS1_3gpuE3ELNS1_3repE0EEENS1_30default_config_static_selectorELNS0_4arch9wavefront6targetE1EEEvT1_
	.p2align	8
	.type	_ZN7rocprim17ROCPRIM_400000_NS6detail17trampoline_kernelINS0_14default_configENS1_29reduce_by_key_config_selectorIssN6thrust23THRUST_200600_302600_NS4plusIsEEEEZZNS1_33reduce_by_key_impl_wrapped_configILNS1_25lookback_scan_determinismE0ES3_S9_NS6_6detail15normal_iteratorINS6_10device_ptrIsEEEESG_SG_SG_PmS8_NS6_8equal_toIsEEEE10hipError_tPvRmT2_T3_mT4_T5_T6_T7_T8_P12ihipStream_tbENKUlT_T0_E_clISt17integral_constantIbLb0EES11_EEDaSW_SX_EUlSW_E_NS1_11comp_targetILNS1_3genE9ELNS1_11target_archE1100ELNS1_3gpuE3ELNS1_3repE0EEENS1_30default_config_static_selectorELNS0_4arch9wavefront6targetE1EEEvT1_,@function
_ZN7rocprim17ROCPRIM_400000_NS6detail17trampoline_kernelINS0_14default_configENS1_29reduce_by_key_config_selectorIssN6thrust23THRUST_200600_302600_NS4plusIsEEEEZZNS1_33reduce_by_key_impl_wrapped_configILNS1_25lookback_scan_determinismE0ES3_S9_NS6_6detail15normal_iteratorINS6_10device_ptrIsEEEESG_SG_SG_PmS8_NS6_8equal_toIsEEEE10hipError_tPvRmT2_T3_mT4_T5_T6_T7_T8_P12ihipStream_tbENKUlT_T0_E_clISt17integral_constantIbLb0EES11_EEDaSW_SX_EUlSW_E_NS1_11comp_targetILNS1_3genE9ELNS1_11target_archE1100ELNS1_3gpuE3ELNS1_3repE0EEENS1_30default_config_static_selectorELNS0_4arch9wavefront6targetE1EEEvT1_: ; @_ZN7rocprim17ROCPRIM_400000_NS6detail17trampoline_kernelINS0_14default_configENS1_29reduce_by_key_config_selectorIssN6thrust23THRUST_200600_302600_NS4plusIsEEEEZZNS1_33reduce_by_key_impl_wrapped_configILNS1_25lookback_scan_determinismE0ES3_S9_NS6_6detail15normal_iteratorINS6_10device_ptrIsEEEESG_SG_SG_PmS8_NS6_8equal_toIsEEEE10hipError_tPvRmT2_T3_mT4_T5_T6_T7_T8_P12ihipStream_tbENKUlT_T0_E_clISt17integral_constantIbLb0EES11_EEDaSW_SX_EUlSW_E_NS1_11comp_targetILNS1_3genE9ELNS1_11target_archE1100ELNS1_3gpuE3ELNS1_3repE0EEENS1_30default_config_static_selectorELNS0_4arch9wavefront6targetE1EEEvT1_
; %bb.0:
	.section	.rodata,"a",@progbits
	.p2align	6, 0x0
	.amdhsa_kernel _ZN7rocprim17ROCPRIM_400000_NS6detail17trampoline_kernelINS0_14default_configENS1_29reduce_by_key_config_selectorIssN6thrust23THRUST_200600_302600_NS4plusIsEEEEZZNS1_33reduce_by_key_impl_wrapped_configILNS1_25lookback_scan_determinismE0ES3_S9_NS6_6detail15normal_iteratorINS6_10device_ptrIsEEEESG_SG_SG_PmS8_NS6_8equal_toIsEEEE10hipError_tPvRmT2_T3_mT4_T5_T6_T7_T8_P12ihipStream_tbENKUlT_T0_E_clISt17integral_constantIbLb0EES11_EEDaSW_SX_EUlSW_E_NS1_11comp_targetILNS1_3genE9ELNS1_11target_archE1100ELNS1_3gpuE3ELNS1_3repE0EEENS1_30default_config_static_selectorELNS0_4arch9wavefront6targetE1EEEvT1_
		.amdhsa_group_segment_fixed_size 0
		.amdhsa_private_segment_fixed_size 0
		.amdhsa_kernarg_size 120
		.amdhsa_user_sgpr_count 6
		.amdhsa_user_sgpr_private_segment_buffer 1
		.amdhsa_user_sgpr_dispatch_ptr 0
		.amdhsa_user_sgpr_queue_ptr 0
		.amdhsa_user_sgpr_kernarg_segment_ptr 1
		.amdhsa_user_sgpr_dispatch_id 0
		.amdhsa_user_sgpr_flat_scratch_init 0
		.amdhsa_user_sgpr_kernarg_preload_length 0
		.amdhsa_user_sgpr_kernarg_preload_offset 0
		.amdhsa_user_sgpr_private_segment_size 0
		.amdhsa_uses_dynamic_stack 0
		.amdhsa_system_sgpr_private_segment_wavefront_offset 0
		.amdhsa_system_sgpr_workgroup_id_x 1
		.amdhsa_system_sgpr_workgroup_id_y 0
		.amdhsa_system_sgpr_workgroup_id_z 0
		.amdhsa_system_sgpr_workgroup_info 0
		.amdhsa_system_vgpr_workitem_id 0
		.amdhsa_next_free_vgpr 1
		.amdhsa_next_free_sgpr 0
		.amdhsa_accum_offset 4
		.amdhsa_reserve_vcc 0
		.amdhsa_reserve_flat_scratch 0
		.amdhsa_float_round_mode_32 0
		.amdhsa_float_round_mode_16_64 0
		.amdhsa_float_denorm_mode_32 3
		.amdhsa_float_denorm_mode_16_64 3
		.amdhsa_dx10_clamp 1
		.amdhsa_ieee_mode 1
		.amdhsa_fp16_overflow 0
		.amdhsa_tg_split 0
		.amdhsa_exception_fp_ieee_invalid_op 0
		.amdhsa_exception_fp_denorm_src 0
		.amdhsa_exception_fp_ieee_div_zero 0
		.amdhsa_exception_fp_ieee_overflow 0
		.amdhsa_exception_fp_ieee_underflow 0
		.amdhsa_exception_fp_ieee_inexact 0
		.amdhsa_exception_int_div_zero 0
	.end_amdhsa_kernel
	.section	.text._ZN7rocprim17ROCPRIM_400000_NS6detail17trampoline_kernelINS0_14default_configENS1_29reduce_by_key_config_selectorIssN6thrust23THRUST_200600_302600_NS4plusIsEEEEZZNS1_33reduce_by_key_impl_wrapped_configILNS1_25lookback_scan_determinismE0ES3_S9_NS6_6detail15normal_iteratorINS6_10device_ptrIsEEEESG_SG_SG_PmS8_NS6_8equal_toIsEEEE10hipError_tPvRmT2_T3_mT4_T5_T6_T7_T8_P12ihipStream_tbENKUlT_T0_E_clISt17integral_constantIbLb0EES11_EEDaSW_SX_EUlSW_E_NS1_11comp_targetILNS1_3genE9ELNS1_11target_archE1100ELNS1_3gpuE3ELNS1_3repE0EEENS1_30default_config_static_selectorELNS0_4arch9wavefront6targetE1EEEvT1_,"axG",@progbits,_ZN7rocprim17ROCPRIM_400000_NS6detail17trampoline_kernelINS0_14default_configENS1_29reduce_by_key_config_selectorIssN6thrust23THRUST_200600_302600_NS4plusIsEEEEZZNS1_33reduce_by_key_impl_wrapped_configILNS1_25lookback_scan_determinismE0ES3_S9_NS6_6detail15normal_iteratorINS6_10device_ptrIsEEEESG_SG_SG_PmS8_NS6_8equal_toIsEEEE10hipError_tPvRmT2_T3_mT4_T5_T6_T7_T8_P12ihipStream_tbENKUlT_T0_E_clISt17integral_constantIbLb0EES11_EEDaSW_SX_EUlSW_E_NS1_11comp_targetILNS1_3genE9ELNS1_11target_archE1100ELNS1_3gpuE3ELNS1_3repE0EEENS1_30default_config_static_selectorELNS0_4arch9wavefront6targetE1EEEvT1_,comdat
.Lfunc_end629:
	.size	_ZN7rocprim17ROCPRIM_400000_NS6detail17trampoline_kernelINS0_14default_configENS1_29reduce_by_key_config_selectorIssN6thrust23THRUST_200600_302600_NS4plusIsEEEEZZNS1_33reduce_by_key_impl_wrapped_configILNS1_25lookback_scan_determinismE0ES3_S9_NS6_6detail15normal_iteratorINS6_10device_ptrIsEEEESG_SG_SG_PmS8_NS6_8equal_toIsEEEE10hipError_tPvRmT2_T3_mT4_T5_T6_T7_T8_P12ihipStream_tbENKUlT_T0_E_clISt17integral_constantIbLb0EES11_EEDaSW_SX_EUlSW_E_NS1_11comp_targetILNS1_3genE9ELNS1_11target_archE1100ELNS1_3gpuE3ELNS1_3repE0EEENS1_30default_config_static_selectorELNS0_4arch9wavefront6targetE1EEEvT1_, .Lfunc_end629-_ZN7rocprim17ROCPRIM_400000_NS6detail17trampoline_kernelINS0_14default_configENS1_29reduce_by_key_config_selectorIssN6thrust23THRUST_200600_302600_NS4plusIsEEEEZZNS1_33reduce_by_key_impl_wrapped_configILNS1_25lookback_scan_determinismE0ES3_S9_NS6_6detail15normal_iteratorINS6_10device_ptrIsEEEESG_SG_SG_PmS8_NS6_8equal_toIsEEEE10hipError_tPvRmT2_T3_mT4_T5_T6_T7_T8_P12ihipStream_tbENKUlT_T0_E_clISt17integral_constantIbLb0EES11_EEDaSW_SX_EUlSW_E_NS1_11comp_targetILNS1_3genE9ELNS1_11target_archE1100ELNS1_3gpuE3ELNS1_3repE0EEENS1_30default_config_static_selectorELNS0_4arch9wavefront6targetE1EEEvT1_
                                        ; -- End function
	.section	.AMDGPU.csdata,"",@progbits
; Kernel info:
; codeLenInByte = 0
; NumSgprs: 4
; NumVgprs: 0
; NumAgprs: 0
; TotalNumVgprs: 0
; ScratchSize: 0
; MemoryBound: 0
; FloatMode: 240
; IeeeMode: 1
; LDSByteSize: 0 bytes/workgroup (compile time only)
; SGPRBlocks: 0
; VGPRBlocks: 0
; NumSGPRsForWavesPerEU: 4
; NumVGPRsForWavesPerEU: 1
; AccumOffset: 4
; Occupancy: 8
; WaveLimiterHint : 0
; COMPUTE_PGM_RSRC2:SCRATCH_EN: 0
; COMPUTE_PGM_RSRC2:USER_SGPR: 6
; COMPUTE_PGM_RSRC2:TRAP_HANDLER: 0
; COMPUTE_PGM_RSRC2:TGID_X_EN: 1
; COMPUTE_PGM_RSRC2:TGID_Y_EN: 0
; COMPUTE_PGM_RSRC2:TGID_Z_EN: 0
; COMPUTE_PGM_RSRC2:TIDIG_COMP_CNT: 0
; COMPUTE_PGM_RSRC3_GFX90A:ACCUM_OFFSET: 0
; COMPUTE_PGM_RSRC3_GFX90A:TG_SPLIT: 0
	.section	.text._ZN7rocprim17ROCPRIM_400000_NS6detail17trampoline_kernelINS0_14default_configENS1_29reduce_by_key_config_selectorIssN6thrust23THRUST_200600_302600_NS4plusIsEEEEZZNS1_33reduce_by_key_impl_wrapped_configILNS1_25lookback_scan_determinismE0ES3_S9_NS6_6detail15normal_iteratorINS6_10device_ptrIsEEEESG_SG_SG_PmS8_NS6_8equal_toIsEEEE10hipError_tPvRmT2_T3_mT4_T5_T6_T7_T8_P12ihipStream_tbENKUlT_T0_E_clISt17integral_constantIbLb0EES11_EEDaSW_SX_EUlSW_E_NS1_11comp_targetILNS1_3genE8ELNS1_11target_archE1030ELNS1_3gpuE2ELNS1_3repE0EEENS1_30default_config_static_selectorELNS0_4arch9wavefront6targetE1EEEvT1_,"axG",@progbits,_ZN7rocprim17ROCPRIM_400000_NS6detail17trampoline_kernelINS0_14default_configENS1_29reduce_by_key_config_selectorIssN6thrust23THRUST_200600_302600_NS4plusIsEEEEZZNS1_33reduce_by_key_impl_wrapped_configILNS1_25lookback_scan_determinismE0ES3_S9_NS6_6detail15normal_iteratorINS6_10device_ptrIsEEEESG_SG_SG_PmS8_NS6_8equal_toIsEEEE10hipError_tPvRmT2_T3_mT4_T5_T6_T7_T8_P12ihipStream_tbENKUlT_T0_E_clISt17integral_constantIbLb0EES11_EEDaSW_SX_EUlSW_E_NS1_11comp_targetILNS1_3genE8ELNS1_11target_archE1030ELNS1_3gpuE2ELNS1_3repE0EEENS1_30default_config_static_selectorELNS0_4arch9wavefront6targetE1EEEvT1_,comdat
	.protected	_ZN7rocprim17ROCPRIM_400000_NS6detail17trampoline_kernelINS0_14default_configENS1_29reduce_by_key_config_selectorIssN6thrust23THRUST_200600_302600_NS4plusIsEEEEZZNS1_33reduce_by_key_impl_wrapped_configILNS1_25lookback_scan_determinismE0ES3_S9_NS6_6detail15normal_iteratorINS6_10device_ptrIsEEEESG_SG_SG_PmS8_NS6_8equal_toIsEEEE10hipError_tPvRmT2_T3_mT4_T5_T6_T7_T8_P12ihipStream_tbENKUlT_T0_E_clISt17integral_constantIbLb0EES11_EEDaSW_SX_EUlSW_E_NS1_11comp_targetILNS1_3genE8ELNS1_11target_archE1030ELNS1_3gpuE2ELNS1_3repE0EEENS1_30default_config_static_selectorELNS0_4arch9wavefront6targetE1EEEvT1_ ; -- Begin function _ZN7rocprim17ROCPRIM_400000_NS6detail17trampoline_kernelINS0_14default_configENS1_29reduce_by_key_config_selectorIssN6thrust23THRUST_200600_302600_NS4plusIsEEEEZZNS1_33reduce_by_key_impl_wrapped_configILNS1_25lookback_scan_determinismE0ES3_S9_NS6_6detail15normal_iteratorINS6_10device_ptrIsEEEESG_SG_SG_PmS8_NS6_8equal_toIsEEEE10hipError_tPvRmT2_T3_mT4_T5_T6_T7_T8_P12ihipStream_tbENKUlT_T0_E_clISt17integral_constantIbLb0EES11_EEDaSW_SX_EUlSW_E_NS1_11comp_targetILNS1_3genE8ELNS1_11target_archE1030ELNS1_3gpuE2ELNS1_3repE0EEENS1_30default_config_static_selectorELNS0_4arch9wavefront6targetE1EEEvT1_
	.globl	_ZN7rocprim17ROCPRIM_400000_NS6detail17trampoline_kernelINS0_14default_configENS1_29reduce_by_key_config_selectorIssN6thrust23THRUST_200600_302600_NS4plusIsEEEEZZNS1_33reduce_by_key_impl_wrapped_configILNS1_25lookback_scan_determinismE0ES3_S9_NS6_6detail15normal_iteratorINS6_10device_ptrIsEEEESG_SG_SG_PmS8_NS6_8equal_toIsEEEE10hipError_tPvRmT2_T3_mT4_T5_T6_T7_T8_P12ihipStream_tbENKUlT_T0_E_clISt17integral_constantIbLb0EES11_EEDaSW_SX_EUlSW_E_NS1_11comp_targetILNS1_3genE8ELNS1_11target_archE1030ELNS1_3gpuE2ELNS1_3repE0EEENS1_30default_config_static_selectorELNS0_4arch9wavefront6targetE1EEEvT1_
	.p2align	8
	.type	_ZN7rocprim17ROCPRIM_400000_NS6detail17trampoline_kernelINS0_14default_configENS1_29reduce_by_key_config_selectorIssN6thrust23THRUST_200600_302600_NS4plusIsEEEEZZNS1_33reduce_by_key_impl_wrapped_configILNS1_25lookback_scan_determinismE0ES3_S9_NS6_6detail15normal_iteratorINS6_10device_ptrIsEEEESG_SG_SG_PmS8_NS6_8equal_toIsEEEE10hipError_tPvRmT2_T3_mT4_T5_T6_T7_T8_P12ihipStream_tbENKUlT_T0_E_clISt17integral_constantIbLb0EES11_EEDaSW_SX_EUlSW_E_NS1_11comp_targetILNS1_3genE8ELNS1_11target_archE1030ELNS1_3gpuE2ELNS1_3repE0EEENS1_30default_config_static_selectorELNS0_4arch9wavefront6targetE1EEEvT1_,@function
_ZN7rocprim17ROCPRIM_400000_NS6detail17trampoline_kernelINS0_14default_configENS1_29reduce_by_key_config_selectorIssN6thrust23THRUST_200600_302600_NS4plusIsEEEEZZNS1_33reduce_by_key_impl_wrapped_configILNS1_25lookback_scan_determinismE0ES3_S9_NS6_6detail15normal_iteratorINS6_10device_ptrIsEEEESG_SG_SG_PmS8_NS6_8equal_toIsEEEE10hipError_tPvRmT2_T3_mT4_T5_T6_T7_T8_P12ihipStream_tbENKUlT_T0_E_clISt17integral_constantIbLb0EES11_EEDaSW_SX_EUlSW_E_NS1_11comp_targetILNS1_3genE8ELNS1_11target_archE1030ELNS1_3gpuE2ELNS1_3repE0EEENS1_30default_config_static_selectorELNS0_4arch9wavefront6targetE1EEEvT1_: ; @_ZN7rocprim17ROCPRIM_400000_NS6detail17trampoline_kernelINS0_14default_configENS1_29reduce_by_key_config_selectorIssN6thrust23THRUST_200600_302600_NS4plusIsEEEEZZNS1_33reduce_by_key_impl_wrapped_configILNS1_25lookback_scan_determinismE0ES3_S9_NS6_6detail15normal_iteratorINS6_10device_ptrIsEEEESG_SG_SG_PmS8_NS6_8equal_toIsEEEE10hipError_tPvRmT2_T3_mT4_T5_T6_T7_T8_P12ihipStream_tbENKUlT_T0_E_clISt17integral_constantIbLb0EES11_EEDaSW_SX_EUlSW_E_NS1_11comp_targetILNS1_3genE8ELNS1_11target_archE1030ELNS1_3gpuE2ELNS1_3repE0EEENS1_30default_config_static_selectorELNS0_4arch9wavefront6targetE1EEEvT1_
; %bb.0:
	.section	.rodata,"a",@progbits
	.p2align	6, 0x0
	.amdhsa_kernel _ZN7rocprim17ROCPRIM_400000_NS6detail17trampoline_kernelINS0_14default_configENS1_29reduce_by_key_config_selectorIssN6thrust23THRUST_200600_302600_NS4plusIsEEEEZZNS1_33reduce_by_key_impl_wrapped_configILNS1_25lookback_scan_determinismE0ES3_S9_NS6_6detail15normal_iteratorINS6_10device_ptrIsEEEESG_SG_SG_PmS8_NS6_8equal_toIsEEEE10hipError_tPvRmT2_T3_mT4_T5_T6_T7_T8_P12ihipStream_tbENKUlT_T0_E_clISt17integral_constantIbLb0EES11_EEDaSW_SX_EUlSW_E_NS1_11comp_targetILNS1_3genE8ELNS1_11target_archE1030ELNS1_3gpuE2ELNS1_3repE0EEENS1_30default_config_static_selectorELNS0_4arch9wavefront6targetE1EEEvT1_
		.amdhsa_group_segment_fixed_size 0
		.amdhsa_private_segment_fixed_size 0
		.amdhsa_kernarg_size 120
		.amdhsa_user_sgpr_count 6
		.amdhsa_user_sgpr_private_segment_buffer 1
		.amdhsa_user_sgpr_dispatch_ptr 0
		.amdhsa_user_sgpr_queue_ptr 0
		.amdhsa_user_sgpr_kernarg_segment_ptr 1
		.amdhsa_user_sgpr_dispatch_id 0
		.amdhsa_user_sgpr_flat_scratch_init 0
		.amdhsa_user_sgpr_kernarg_preload_length 0
		.amdhsa_user_sgpr_kernarg_preload_offset 0
		.amdhsa_user_sgpr_private_segment_size 0
		.amdhsa_uses_dynamic_stack 0
		.amdhsa_system_sgpr_private_segment_wavefront_offset 0
		.amdhsa_system_sgpr_workgroup_id_x 1
		.amdhsa_system_sgpr_workgroup_id_y 0
		.amdhsa_system_sgpr_workgroup_id_z 0
		.amdhsa_system_sgpr_workgroup_info 0
		.amdhsa_system_vgpr_workitem_id 0
		.amdhsa_next_free_vgpr 1
		.amdhsa_next_free_sgpr 0
		.amdhsa_accum_offset 4
		.amdhsa_reserve_vcc 0
		.amdhsa_reserve_flat_scratch 0
		.amdhsa_float_round_mode_32 0
		.amdhsa_float_round_mode_16_64 0
		.amdhsa_float_denorm_mode_32 3
		.amdhsa_float_denorm_mode_16_64 3
		.amdhsa_dx10_clamp 1
		.amdhsa_ieee_mode 1
		.amdhsa_fp16_overflow 0
		.amdhsa_tg_split 0
		.amdhsa_exception_fp_ieee_invalid_op 0
		.amdhsa_exception_fp_denorm_src 0
		.amdhsa_exception_fp_ieee_div_zero 0
		.amdhsa_exception_fp_ieee_overflow 0
		.amdhsa_exception_fp_ieee_underflow 0
		.amdhsa_exception_fp_ieee_inexact 0
		.amdhsa_exception_int_div_zero 0
	.end_amdhsa_kernel
	.section	.text._ZN7rocprim17ROCPRIM_400000_NS6detail17trampoline_kernelINS0_14default_configENS1_29reduce_by_key_config_selectorIssN6thrust23THRUST_200600_302600_NS4plusIsEEEEZZNS1_33reduce_by_key_impl_wrapped_configILNS1_25lookback_scan_determinismE0ES3_S9_NS6_6detail15normal_iteratorINS6_10device_ptrIsEEEESG_SG_SG_PmS8_NS6_8equal_toIsEEEE10hipError_tPvRmT2_T3_mT4_T5_T6_T7_T8_P12ihipStream_tbENKUlT_T0_E_clISt17integral_constantIbLb0EES11_EEDaSW_SX_EUlSW_E_NS1_11comp_targetILNS1_3genE8ELNS1_11target_archE1030ELNS1_3gpuE2ELNS1_3repE0EEENS1_30default_config_static_selectorELNS0_4arch9wavefront6targetE1EEEvT1_,"axG",@progbits,_ZN7rocprim17ROCPRIM_400000_NS6detail17trampoline_kernelINS0_14default_configENS1_29reduce_by_key_config_selectorIssN6thrust23THRUST_200600_302600_NS4plusIsEEEEZZNS1_33reduce_by_key_impl_wrapped_configILNS1_25lookback_scan_determinismE0ES3_S9_NS6_6detail15normal_iteratorINS6_10device_ptrIsEEEESG_SG_SG_PmS8_NS6_8equal_toIsEEEE10hipError_tPvRmT2_T3_mT4_T5_T6_T7_T8_P12ihipStream_tbENKUlT_T0_E_clISt17integral_constantIbLb0EES11_EEDaSW_SX_EUlSW_E_NS1_11comp_targetILNS1_3genE8ELNS1_11target_archE1030ELNS1_3gpuE2ELNS1_3repE0EEENS1_30default_config_static_selectorELNS0_4arch9wavefront6targetE1EEEvT1_,comdat
.Lfunc_end630:
	.size	_ZN7rocprim17ROCPRIM_400000_NS6detail17trampoline_kernelINS0_14default_configENS1_29reduce_by_key_config_selectorIssN6thrust23THRUST_200600_302600_NS4plusIsEEEEZZNS1_33reduce_by_key_impl_wrapped_configILNS1_25lookback_scan_determinismE0ES3_S9_NS6_6detail15normal_iteratorINS6_10device_ptrIsEEEESG_SG_SG_PmS8_NS6_8equal_toIsEEEE10hipError_tPvRmT2_T3_mT4_T5_T6_T7_T8_P12ihipStream_tbENKUlT_T0_E_clISt17integral_constantIbLb0EES11_EEDaSW_SX_EUlSW_E_NS1_11comp_targetILNS1_3genE8ELNS1_11target_archE1030ELNS1_3gpuE2ELNS1_3repE0EEENS1_30default_config_static_selectorELNS0_4arch9wavefront6targetE1EEEvT1_, .Lfunc_end630-_ZN7rocprim17ROCPRIM_400000_NS6detail17trampoline_kernelINS0_14default_configENS1_29reduce_by_key_config_selectorIssN6thrust23THRUST_200600_302600_NS4plusIsEEEEZZNS1_33reduce_by_key_impl_wrapped_configILNS1_25lookback_scan_determinismE0ES3_S9_NS6_6detail15normal_iteratorINS6_10device_ptrIsEEEESG_SG_SG_PmS8_NS6_8equal_toIsEEEE10hipError_tPvRmT2_T3_mT4_T5_T6_T7_T8_P12ihipStream_tbENKUlT_T0_E_clISt17integral_constantIbLb0EES11_EEDaSW_SX_EUlSW_E_NS1_11comp_targetILNS1_3genE8ELNS1_11target_archE1030ELNS1_3gpuE2ELNS1_3repE0EEENS1_30default_config_static_selectorELNS0_4arch9wavefront6targetE1EEEvT1_
                                        ; -- End function
	.section	.AMDGPU.csdata,"",@progbits
; Kernel info:
; codeLenInByte = 0
; NumSgprs: 4
; NumVgprs: 0
; NumAgprs: 0
; TotalNumVgprs: 0
; ScratchSize: 0
; MemoryBound: 0
; FloatMode: 240
; IeeeMode: 1
; LDSByteSize: 0 bytes/workgroup (compile time only)
; SGPRBlocks: 0
; VGPRBlocks: 0
; NumSGPRsForWavesPerEU: 4
; NumVGPRsForWavesPerEU: 1
; AccumOffset: 4
; Occupancy: 8
; WaveLimiterHint : 0
; COMPUTE_PGM_RSRC2:SCRATCH_EN: 0
; COMPUTE_PGM_RSRC2:USER_SGPR: 6
; COMPUTE_PGM_RSRC2:TRAP_HANDLER: 0
; COMPUTE_PGM_RSRC2:TGID_X_EN: 1
; COMPUTE_PGM_RSRC2:TGID_Y_EN: 0
; COMPUTE_PGM_RSRC2:TGID_Z_EN: 0
; COMPUTE_PGM_RSRC2:TIDIG_COMP_CNT: 0
; COMPUTE_PGM_RSRC3_GFX90A:ACCUM_OFFSET: 0
; COMPUTE_PGM_RSRC3_GFX90A:TG_SPLIT: 0
	.section	.text._ZN7rocprim17ROCPRIM_400000_NS6detail25reduce_by_key_init_kernelINS1_19lookback_scan_stateINS0_5tupleIJjsEEELb1ELb1EEEsNS1_16block_id_wrapperIjLb1EEEEEvT_jbjPmPT0_T1_,"axG",@progbits,_ZN7rocprim17ROCPRIM_400000_NS6detail25reduce_by_key_init_kernelINS1_19lookback_scan_stateINS0_5tupleIJjsEEELb1ELb1EEEsNS1_16block_id_wrapperIjLb1EEEEEvT_jbjPmPT0_T1_,comdat
	.protected	_ZN7rocprim17ROCPRIM_400000_NS6detail25reduce_by_key_init_kernelINS1_19lookback_scan_stateINS0_5tupleIJjsEEELb1ELb1EEEsNS1_16block_id_wrapperIjLb1EEEEEvT_jbjPmPT0_T1_ ; -- Begin function _ZN7rocprim17ROCPRIM_400000_NS6detail25reduce_by_key_init_kernelINS1_19lookback_scan_stateINS0_5tupleIJjsEEELb1ELb1EEEsNS1_16block_id_wrapperIjLb1EEEEEvT_jbjPmPT0_T1_
	.globl	_ZN7rocprim17ROCPRIM_400000_NS6detail25reduce_by_key_init_kernelINS1_19lookback_scan_stateINS0_5tupleIJjsEEELb1ELb1EEEsNS1_16block_id_wrapperIjLb1EEEEEvT_jbjPmPT0_T1_
	.p2align	8
	.type	_ZN7rocprim17ROCPRIM_400000_NS6detail25reduce_by_key_init_kernelINS1_19lookback_scan_stateINS0_5tupleIJjsEEELb1ELb1EEEsNS1_16block_id_wrapperIjLb1EEEEEvT_jbjPmPT0_T1_,@function
_ZN7rocprim17ROCPRIM_400000_NS6detail25reduce_by_key_init_kernelINS1_19lookback_scan_stateINS0_5tupleIJjsEEELb1ELb1EEEsNS1_16block_id_wrapperIjLb1EEEEEvT_jbjPmPT0_T1_: ; @_ZN7rocprim17ROCPRIM_400000_NS6detail25reduce_by_key_init_kernelINS1_19lookback_scan_stateINS0_5tupleIJjsEEELb1ELb1EEEsNS1_16block_id_wrapperIjLb1EEEEEvT_jbjPmPT0_T1_
; %bb.0:
	s_load_dwordx8 s[8:15], s[4:5], 0x8
	s_load_dword s0, s[4:5], 0x3c
	s_load_dwordx2 s[16:17], s[4:5], 0x28
	s_load_dwordx2 s[2:3], s[4:5], 0x0
	s_waitcnt lgkmcnt(0)
	s_and_b32 s1, s9, 1
	s_and_b32 s0, s0, 0xffff
	s_mul_i32 s6, s6, s0
	s_cmp_eq_u32 s1, 0
	v_add_u32_e32 v0, s6, v0
	s_mov_b64 s[0:1], -1
	s_cbranch_scc1 .LBB631_6
; %bb.1:
	s_andn2_b64 vcc, exec, s[0:1]
	v_cmp_eq_u32_e64 s[0:1], 0, v0
	s_cbranch_vccz .LBB631_15
.LBB631_2:
	v_cmp_eq_u32_e32 vcc, 0, v0
	s_and_saveexec_b64 s[0:1], vcc
	s_cbranch_execnz .LBB631_18
.LBB631_3:
	s_or_b64 exec, exec, s[0:1]
	v_cmp_gt_u32_e32 vcc, s8, v0
	s_and_saveexec_b64 s[0:1], vcc
	s_cbranch_execnz .LBB631_19
.LBB631_4:
	s_or_b64 exec, exec, s[0:1]
	v_cmp_gt_u32_e32 vcc, 64, v0
	s_and_saveexec_b64 s[0:1], vcc
	s_cbranch_execnz .LBB631_20
.LBB631_5:
	s_endpgm
.LBB631_6:
	s_cmp_lt_u32 s10, s8
	s_cselect_b32 s0, s10, 0
	v_cmp_eq_u32_e32 vcc, s0, v0
	s_and_saveexec_b64 s[0:1], vcc
	s_cbranch_execz .LBB631_14
; %bb.7:
	s_add_i32 s4, s10, 64
	s_mov_b32 s5, 0
	s_lshl_b64 s[4:5], s[4:5], 4
	s_add_u32 s10, s2, s4
	s_addc_u32 s11, s3, s5
	v_pk_mov_b32 v[2:3], s[10:11], s[10:11] op_sel:[0,1]
	;;#ASMSTART
	global_load_dwordx4 v[2:5], v[2:3] off glc	
s_waitcnt vmcnt(0)
	;;#ASMEND
	v_mov_b32_e32 v7, 0
	v_and_b32_e32 v6, 0xff, v4
	s_mov_b64 s[6:7], 0
	v_cmp_eq_u64_e32 vcc, 0, v[6:7]
	s_and_saveexec_b64 s[4:5], vcc
	s_cbranch_execz .LBB631_13
; %bb.8:
	s_mov_b32 s9, 1
	v_pk_mov_b32 v[8:9], s[10:11], s[10:11] op_sel:[0,1]
.LBB631_9:                              ; =>This Loop Header: Depth=1
                                        ;     Child Loop BB631_10 Depth 2
	s_max_u32 s10, s9, 1
.LBB631_10:                             ;   Parent Loop BB631_9 Depth=1
                                        ; =>  This Inner Loop Header: Depth=2
	s_add_i32 s10, s10, -1
	s_cmp_eq_u32 s10, 0
	s_sleep 1
	s_cbranch_scc0 .LBB631_10
; %bb.11:                               ;   in Loop: Header=BB631_9 Depth=1
	s_cmp_lt_u32 s9, 32
	s_cselect_b64 s[10:11], -1, 0
	s_cmp_lg_u64 s[10:11], 0
	;;#ASMSTART
	global_load_dwordx4 v[2:5], v[8:9] off glc	
s_waitcnt vmcnt(0)
	;;#ASMEND
	v_and_b32_e32 v6, 0xff, v4
	s_addc_u32 s9, s9, 0
	v_cmp_ne_u64_e32 vcc, 0, v[6:7]
	s_or_b64 s[6:7], vcc, s[6:7]
	s_andn2_b64 exec, exec, s[6:7]
	s_cbranch_execnz .LBB631_9
; %bb.12:
	s_or_b64 exec, exec, s[6:7]
.LBB631_13:
	s_or_b64 exec, exec, s[4:5]
	v_mov_b32_e32 v1, 0
	global_load_dwordx2 v[4:5], v1, s[12:13]
	s_waitcnt vmcnt(0)
	v_add_co_u32_e32 v4, vcc, v4, v2
	v_addc_co_u32_e32 v5, vcc, 0, v5, vcc
	global_store_dwordx2 v1, v[4:5], s[12:13]
	global_store_short v1, v3, s[14:15]
.LBB631_14:
	s_or_b64 exec, exec, s[0:1]
	v_cmp_eq_u32_e64 s[0:1], 0, v0
	s_cbranch_execnz .LBB631_2
.LBB631_15:
	s_cmp_lg_u64 s[12:13], 0
	s_cselect_b64 s[4:5], -1, 0
	s_and_b64 s[4:5], s[4:5], s[0:1]
	s_and_saveexec_b64 s[0:1], s[4:5]
	s_cbranch_execz .LBB631_17
; %bb.16:
	v_mov_b32_e32 v2, 0
	v_mov_b32_e32 v3, v2
	global_store_dwordx2 v2, v[2:3], s[12:13]
.LBB631_17:
	s_or_b64 exec, exec, s[0:1]
	v_cmp_eq_u32_e32 vcc, 0, v0
	s_and_saveexec_b64 s[0:1], vcc
	s_cbranch_execz .LBB631_3
.LBB631_18:
	v_mov_b32_e32 v1, 0
	global_store_dword v1, v1, s[16:17]
	s_or_b64 exec, exec, s[0:1]
	v_cmp_gt_u32_e32 vcc, s8, v0
	s_and_saveexec_b64 s[0:1], vcc
	s_cbranch_execz .LBB631_4
.LBB631_19:
	v_add_u32_e32 v2, 64, v0
	v_mov_b32_e32 v3, 0
	v_lshlrev_b64 v[4:5], 4, v[2:3]
	v_mov_b32_e32 v1, s3
	v_add_co_u32_e32 v6, vcc, s2, v4
	v_addc_co_u32_e32 v7, vcc, v1, v5, vcc
	v_mov_b32_e32 v2, v3
	v_mov_b32_e32 v4, v3
	;; [unrolled: 1-line block ×3, first 2 shown]
	global_store_dwordx4 v[6:7], v[2:5], off
	s_or_b64 exec, exec, s[0:1]
	v_cmp_gt_u32_e32 vcc, 64, v0
	s_and_saveexec_b64 s[0:1], vcc
	s_cbranch_execz .LBB631_5
.LBB631_20:
	v_mov_b32_e32 v1, 0
	v_lshlrev_b64 v[2:3], 4, v[0:1]
	v_mov_b32_e32 v0, s3
	v_add_co_u32_e32 v4, vcc, s2, v2
	v_addc_co_u32_e32 v5, vcc, v0, v3, vcc
	v_mov_b32_e32 v2, 0xff
	v_mov_b32_e32 v0, v1
	;; [unrolled: 1-line block ×3, first 2 shown]
	global_store_dwordx4 v[4:5], v[0:3], off
	s_endpgm
	.section	.rodata,"a",@progbits
	.p2align	6, 0x0
	.amdhsa_kernel _ZN7rocprim17ROCPRIM_400000_NS6detail25reduce_by_key_init_kernelINS1_19lookback_scan_stateINS0_5tupleIJjsEEELb1ELb1EEEsNS1_16block_id_wrapperIjLb1EEEEEvT_jbjPmPT0_T1_
		.amdhsa_group_segment_fixed_size 0
		.amdhsa_private_segment_fixed_size 0
		.amdhsa_kernarg_size 304
		.amdhsa_user_sgpr_count 6
		.amdhsa_user_sgpr_private_segment_buffer 1
		.amdhsa_user_sgpr_dispatch_ptr 0
		.amdhsa_user_sgpr_queue_ptr 0
		.amdhsa_user_sgpr_kernarg_segment_ptr 1
		.amdhsa_user_sgpr_dispatch_id 0
		.amdhsa_user_sgpr_flat_scratch_init 0
		.amdhsa_user_sgpr_kernarg_preload_length 0
		.amdhsa_user_sgpr_kernarg_preload_offset 0
		.amdhsa_user_sgpr_private_segment_size 0
		.amdhsa_uses_dynamic_stack 0
		.amdhsa_system_sgpr_private_segment_wavefront_offset 0
		.amdhsa_system_sgpr_workgroup_id_x 1
		.amdhsa_system_sgpr_workgroup_id_y 0
		.amdhsa_system_sgpr_workgroup_id_z 0
		.amdhsa_system_sgpr_workgroup_info 0
		.amdhsa_system_vgpr_workitem_id 0
		.amdhsa_next_free_vgpr 10
		.amdhsa_next_free_sgpr 18
		.amdhsa_accum_offset 12
		.amdhsa_reserve_vcc 1
		.amdhsa_reserve_flat_scratch 0
		.amdhsa_float_round_mode_32 0
		.amdhsa_float_round_mode_16_64 0
		.amdhsa_float_denorm_mode_32 3
		.amdhsa_float_denorm_mode_16_64 3
		.amdhsa_dx10_clamp 1
		.amdhsa_ieee_mode 1
		.amdhsa_fp16_overflow 0
		.amdhsa_tg_split 0
		.amdhsa_exception_fp_ieee_invalid_op 0
		.amdhsa_exception_fp_denorm_src 0
		.amdhsa_exception_fp_ieee_div_zero 0
		.amdhsa_exception_fp_ieee_overflow 0
		.amdhsa_exception_fp_ieee_underflow 0
		.amdhsa_exception_fp_ieee_inexact 0
		.amdhsa_exception_int_div_zero 0
	.end_amdhsa_kernel
	.section	.text._ZN7rocprim17ROCPRIM_400000_NS6detail25reduce_by_key_init_kernelINS1_19lookback_scan_stateINS0_5tupleIJjsEEELb1ELb1EEEsNS1_16block_id_wrapperIjLb1EEEEEvT_jbjPmPT0_T1_,"axG",@progbits,_ZN7rocprim17ROCPRIM_400000_NS6detail25reduce_by_key_init_kernelINS1_19lookback_scan_stateINS0_5tupleIJjsEEELb1ELb1EEEsNS1_16block_id_wrapperIjLb1EEEEEvT_jbjPmPT0_T1_,comdat
.Lfunc_end631:
	.size	_ZN7rocprim17ROCPRIM_400000_NS6detail25reduce_by_key_init_kernelINS1_19lookback_scan_stateINS0_5tupleIJjsEEELb1ELb1EEEsNS1_16block_id_wrapperIjLb1EEEEEvT_jbjPmPT0_T1_, .Lfunc_end631-_ZN7rocprim17ROCPRIM_400000_NS6detail25reduce_by_key_init_kernelINS1_19lookback_scan_stateINS0_5tupleIJjsEEELb1ELb1EEEsNS1_16block_id_wrapperIjLb1EEEEEvT_jbjPmPT0_T1_
                                        ; -- End function
	.section	.AMDGPU.csdata,"",@progbits
; Kernel info:
; codeLenInByte = 572
; NumSgprs: 22
; NumVgprs: 10
; NumAgprs: 0
; TotalNumVgprs: 10
; ScratchSize: 0
; MemoryBound: 0
; FloatMode: 240
; IeeeMode: 1
; LDSByteSize: 0 bytes/workgroup (compile time only)
; SGPRBlocks: 2
; VGPRBlocks: 1
; NumSGPRsForWavesPerEU: 22
; NumVGPRsForWavesPerEU: 10
; AccumOffset: 12
; Occupancy: 8
; WaveLimiterHint : 0
; COMPUTE_PGM_RSRC2:SCRATCH_EN: 0
; COMPUTE_PGM_RSRC2:USER_SGPR: 6
; COMPUTE_PGM_RSRC2:TRAP_HANDLER: 0
; COMPUTE_PGM_RSRC2:TGID_X_EN: 1
; COMPUTE_PGM_RSRC2:TGID_Y_EN: 0
; COMPUTE_PGM_RSRC2:TGID_Z_EN: 0
; COMPUTE_PGM_RSRC2:TIDIG_COMP_CNT: 0
; COMPUTE_PGM_RSRC3_GFX90A:ACCUM_OFFSET: 2
; COMPUTE_PGM_RSRC3_GFX90A:TG_SPLIT: 0
	.section	.text._ZN7rocprim17ROCPRIM_400000_NS6detail17trampoline_kernelINS0_14default_configENS1_29reduce_by_key_config_selectorIssN6thrust23THRUST_200600_302600_NS4plusIsEEEEZZNS1_33reduce_by_key_impl_wrapped_configILNS1_25lookback_scan_determinismE0ES3_S9_NS6_6detail15normal_iteratorINS6_10device_ptrIsEEEESG_SG_SG_PmS8_NS6_8equal_toIsEEEE10hipError_tPvRmT2_T3_mT4_T5_T6_T7_T8_P12ihipStream_tbENKUlT_T0_E_clISt17integral_constantIbLb1EES11_EEDaSW_SX_EUlSW_E_NS1_11comp_targetILNS1_3genE0ELNS1_11target_archE4294967295ELNS1_3gpuE0ELNS1_3repE0EEENS1_30default_config_static_selectorELNS0_4arch9wavefront6targetE1EEEvT1_,"axG",@progbits,_ZN7rocprim17ROCPRIM_400000_NS6detail17trampoline_kernelINS0_14default_configENS1_29reduce_by_key_config_selectorIssN6thrust23THRUST_200600_302600_NS4plusIsEEEEZZNS1_33reduce_by_key_impl_wrapped_configILNS1_25lookback_scan_determinismE0ES3_S9_NS6_6detail15normal_iteratorINS6_10device_ptrIsEEEESG_SG_SG_PmS8_NS6_8equal_toIsEEEE10hipError_tPvRmT2_T3_mT4_T5_T6_T7_T8_P12ihipStream_tbENKUlT_T0_E_clISt17integral_constantIbLb1EES11_EEDaSW_SX_EUlSW_E_NS1_11comp_targetILNS1_3genE0ELNS1_11target_archE4294967295ELNS1_3gpuE0ELNS1_3repE0EEENS1_30default_config_static_selectorELNS0_4arch9wavefront6targetE1EEEvT1_,comdat
	.protected	_ZN7rocprim17ROCPRIM_400000_NS6detail17trampoline_kernelINS0_14default_configENS1_29reduce_by_key_config_selectorIssN6thrust23THRUST_200600_302600_NS4plusIsEEEEZZNS1_33reduce_by_key_impl_wrapped_configILNS1_25lookback_scan_determinismE0ES3_S9_NS6_6detail15normal_iteratorINS6_10device_ptrIsEEEESG_SG_SG_PmS8_NS6_8equal_toIsEEEE10hipError_tPvRmT2_T3_mT4_T5_T6_T7_T8_P12ihipStream_tbENKUlT_T0_E_clISt17integral_constantIbLb1EES11_EEDaSW_SX_EUlSW_E_NS1_11comp_targetILNS1_3genE0ELNS1_11target_archE4294967295ELNS1_3gpuE0ELNS1_3repE0EEENS1_30default_config_static_selectorELNS0_4arch9wavefront6targetE1EEEvT1_ ; -- Begin function _ZN7rocprim17ROCPRIM_400000_NS6detail17trampoline_kernelINS0_14default_configENS1_29reduce_by_key_config_selectorIssN6thrust23THRUST_200600_302600_NS4plusIsEEEEZZNS1_33reduce_by_key_impl_wrapped_configILNS1_25lookback_scan_determinismE0ES3_S9_NS6_6detail15normal_iteratorINS6_10device_ptrIsEEEESG_SG_SG_PmS8_NS6_8equal_toIsEEEE10hipError_tPvRmT2_T3_mT4_T5_T6_T7_T8_P12ihipStream_tbENKUlT_T0_E_clISt17integral_constantIbLb1EES11_EEDaSW_SX_EUlSW_E_NS1_11comp_targetILNS1_3genE0ELNS1_11target_archE4294967295ELNS1_3gpuE0ELNS1_3repE0EEENS1_30default_config_static_selectorELNS0_4arch9wavefront6targetE1EEEvT1_
	.globl	_ZN7rocprim17ROCPRIM_400000_NS6detail17trampoline_kernelINS0_14default_configENS1_29reduce_by_key_config_selectorIssN6thrust23THRUST_200600_302600_NS4plusIsEEEEZZNS1_33reduce_by_key_impl_wrapped_configILNS1_25lookback_scan_determinismE0ES3_S9_NS6_6detail15normal_iteratorINS6_10device_ptrIsEEEESG_SG_SG_PmS8_NS6_8equal_toIsEEEE10hipError_tPvRmT2_T3_mT4_T5_T6_T7_T8_P12ihipStream_tbENKUlT_T0_E_clISt17integral_constantIbLb1EES11_EEDaSW_SX_EUlSW_E_NS1_11comp_targetILNS1_3genE0ELNS1_11target_archE4294967295ELNS1_3gpuE0ELNS1_3repE0EEENS1_30default_config_static_selectorELNS0_4arch9wavefront6targetE1EEEvT1_
	.p2align	8
	.type	_ZN7rocprim17ROCPRIM_400000_NS6detail17trampoline_kernelINS0_14default_configENS1_29reduce_by_key_config_selectorIssN6thrust23THRUST_200600_302600_NS4plusIsEEEEZZNS1_33reduce_by_key_impl_wrapped_configILNS1_25lookback_scan_determinismE0ES3_S9_NS6_6detail15normal_iteratorINS6_10device_ptrIsEEEESG_SG_SG_PmS8_NS6_8equal_toIsEEEE10hipError_tPvRmT2_T3_mT4_T5_T6_T7_T8_P12ihipStream_tbENKUlT_T0_E_clISt17integral_constantIbLb1EES11_EEDaSW_SX_EUlSW_E_NS1_11comp_targetILNS1_3genE0ELNS1_11target_archE4294967295ELNS1_3gpuE0ELNS1_3repE0EEENS1_30default_config_static_selectorELNS0_4arch9wavefront6targetE1EEEvT1_,@function
_ZN7rocprim17ROCPRIM_400000_NS6detail17trampoline_kernelINS0_14default_configENS1_29reduce_by_key_config_selectorIssN6thrust23THRUST_200600_302600_NS4plusIsEEEEZZNS1_33reduce_by_key_impl_wrapped_configILNS1_25lookback_scan_determinismE0ES3_S9_NS6_6detail15normal_iteratorINS6_10device_ptrIsEEEESG_SG_SG_PmS8_NS6_8equal_toIsEEEE10hipError_tPvRmT2_T3_mT4_T5_T6_T7_T8_P12ihipStream_tbENKUlT_T0_E_clISt17integral_constantIbLb1EES11_EEDaSW_SX_EUlSW_E_NS1_11comp_targetILNS1_3genE0ELNS1_11target_archE4294967295ELNS1_3gpuE0ELNS1_3repE0EEENS1_30default_config_static_selectorELNS0_4arch9wavefront6targetE1EEEvT1_: ; @_ZN7rocprim17ROCPRIM_400000_NS6detail17trampoline_kernelINS0_14default_configENS1_29reduce_by_key_config_selectorIssN6thrust23THRUST_200600_302600_NS4plusIsEEEEZZNS1_33reduce_by_key_impl_wrapped_configILNS1_25lookback_scan_determinismE0ES3_S9_NS6_6detail15normal_iteratorINS6_10device_ptrIsEEEESG_SG_SG_PmS8_NS6_8equal_toIsEEEE10hipError_tPvRmT2_T3_mT4_T5_T6_T7_T8_P12ihipStream_tbENKUlT_T0_E_clISt17integral_constantIbLb1EES11_EEDaSW_SX_EUlSW_E_NS1_11comp_targetILNS1_3genE0ELNS1_11target_archE4294967295ELNS1_3gpuE0ELNS1_3repE0EEENS1_30default_config_static_selectorELNS0_4arch9wavefront6targetE1EEEvT1_
; %bb.0:
	.section	.rodata,"a",@progbits
	.p2align	6, 0x0
	.amdhsa_kernel _ZN7rocprim17ROCPRIM_400000_NS6detail17trampoline_kernelINS0_14default_configENS1_29reduce_by_key_config_selectorIssN6thrust23THRUST_200600_302600_NS4plusIsEEEEZZNS1_33reduce_by_key_impl_wrapped_configILNS1_25lookback_scan_determinismE0ES3_S9_NS6_6detail15normal_iteratorINS6_10device_ptrIsEEEESG_SG_SG_PmS8_NS6_8equal_toIsEEEE10hipError_tPvRmT2_T3_mT4_T5_T6_T7_T8_P12ihipStream_tbENKUlT_T0_E_clISt17integral_constantIbLb1EES11_EEDaSW_SX_EUlSW_E_NS1_11comp_targetILNS1_3genE0ELNS1_11target_archE4294967295ELNS1_3gpuE0ELNS1_3repE0EEENS1_30default_config_static_selectorELNS0_4arch9wavefront6targetE1EEEvT1_
		.amdhsa_group_segment_fixed_size 0
		.amdhsa_private_segment_fixed_size 0
		.amdhsa_kernarg_size 120
		.amdhsa_user_sgpr_count 6
		.amdhsa_user_sgpr_private_segment_buffer 1
		.amdhsa_user_sgpr_dispatch_ptr 0
		.amdhsa_user_sgpr_queue_ptr 0
		.amdhsa_user_sgpr_kernarg_segment_ptr 1
		.amdhsa_user_sgpr_dispatch_id 0
		.amdhsa_user_sgpr_flat_scratch_init 0
		.amdhsa_user_sgpr_kernarg_preload_length 0
		.amdhsa_user_sgpr_kernarg_preload_offset 0
		.amdhsa_user_sgpr_private_segment_size 0
		.amdhsa_uses_dynamic_stack 0
		.amdhsa_system_sgpr_private_segment_wavefront_offset 0
		.amdhsa_system_sgpr_workgroup_id_x 1
		.amdhsa_system_sgpr_workgroup_id_y 0
		.amdhsa_system_sgpr_workgroup_id_z 0
		.amdhsa_system_sgpr_workgroup_info 0
		.amdhsa_system_vgpr_workitem_id 0
		.amdhsa_next_free_vgpr 1
		.amdhsa_next_free_sgpr 0
		.amdhsa_accum_offset 4
		.amdhsa_reserve_vcc 0
		.amdhsa_reserve_flat_scratch 0
		.amdhsa_float_round_mode_32 0
		.amdhsa_float_round_mode_16_64 0
		.amdhsa_float_denorm_mode_32 3
		.amdhsa_float_denorm_mode_16_64 3
		.amdhsa_dx10_clamp 1
		.amdhsa_ieee_mode 1
		.amdhsa_fp16_overflow 0
		.amdhsa_tg_split 0
		.amdhsa_exception_fp_ieee_invalid_op 0
		.amdhsa_exception_fp_denorm_src 0
		.amdhsa_exception_fp_ieee_div_zero 0
		.amdhsa_exception_fp_ieee_overflow 0
		.amdhsa_exception_fp_ieee_underflow 0
		.amdhsa_exception_fp_ieee_inexact 0
		.amdhsa_exception_int_div_zero 0
	.end_amdhsa_kernel
	.section	.text._ZN7rocprim17ROCPRIM_400000_NS6detail17trampoline_kernelINS0_14default_configENS1_29reduce_by_key_config_selectorIssN6thrust23THRUST_200600_302600_NS4plusIsEEEEZZNS1_33reduce_by_key_impl_wrapped_configILNS1_25lookback_scan_determinismE0ES3_S9_NS6_6detail15normal_iteratorINS6_10device_ptrIsEEEESG_SG_SG_PmS8_NS6_8equal_toIsEEEE10hipError_tPvRmT2_T3_mT4_T5_T6_T7_T8_P12ihipStream_tbENKUlT_T0_E_clISt17integral_constantIbLb1EES11_EEDaSW_SX_EUlSW_E_NS1_11comp_targetILNS1_3genE0ELNS1_11target_archE4294967295ELNS1_3gpuE0ELNS1_3repE0EEENS1_30default_config_static_selectorELNS0_4arch9wavefront6targetE1EEEvT1_,"axG",@progbits,_ZN7rocprim17ROCPRIM_400000_NS6detail17trampoline_kernelINS0_14default_configENS1_29reduce_by_key_config_selectorIssN6thrust23THRUST_200600_302600_NS4plusIsEEEEZZNS1_33reduce_by_key_impl_wrapped_configILNS1_25lookback_scan_determinismE0ES3_S9_NS6_6detail15normal_iteratorINS6_10device_ptrIsEEEESG_SG_SG_PmS8_NS6_8equal_toIsEEEE10hipError_tPvRmT2_T3_mT4_T5_T6_T7_T8_P12ihipStream_tbENKUlT_T0_E_clISt17integral_constantIbLb1EES11_EEDaSW_SX_EUlSW_E_NS1_11comp_targetILNS1_3genE0ELNS1_11target_archE4294967295ELNS1_3gpuE0ELNS1_3repE0EEENS1_30default_config_static_selectorELNS0_4arch9wavefront6targetE1EEEvT1_,comdat
.Lfunc_end632:
	.size	_ZN7rocprim17ROCPRIM_400000_NS6detail17trampoline_kernelINS0_14default_configENS1_29reduce_by_key_config_selectorIssN6thrust23THRUST_200600_302600_NS4plusIsEEEEZZNS1_33reduce_by_key_impl_wrapped_configILNS1_25lookback_scan_determinismE0ES3_S9_NS6_6detail15normal_iteratorINS6_10device_ptrIsEEEESG_SG_SG_PmS8_NS6_8equal_toIsEEEE10hipError_tPvRmT2_T3_mT4_T5_T6_T7_T8_P12ihipStream_tbENKUlT_T0_E_clISt17integral_constantIbLb1EES11_EEDaSW_SX_EUlSW_E_NS1_11comp_targetILNS1_3genE0ELNS1_11target_archE4294967295ELNS1_3gpuE0ELNS1_3repE0EEENS1_30default_config_static_selectorELNS0_4arch9wavefront6targetE1EEEvT1_, .Lfunc_end632-_ZN7rocprim17ROCPRIM_400000_NS6detail17trampoline_kernelINS0_14default_configENS1_29reduce_by_key_config_selectorIssN6thrust23THRUST_200600_302600_NS4plusIsEEEEZZNS1_33reduce_by_key_impl_wrapped_configILNS1_25lookback_scan_determinismE0ES3_S9_NS6_6detail15normal_iteratorINS6_10device_ptrIsEEEESG_SG_SG_PmS8_NS6_8equal_toIsEEEE10hipError_tPvRmT2_T3_mT4_T5_T6_T7_T8_P12ihipStream_tbENKUlT_T0_E_clISt17integral_constantIbLb1EES11_EEDaSW_SX_EUlSW_E_NS1_11comp_targetILNS1_3genE0ELNS1_11target_archE4294967295ELNS1_3gpuE0ELNS1_3repE0EEENS1_30default_config_static_selectorELNS0_4arch9wavefront6targetE1EEEvT1_
                                        ; -- End function
	.section	.AMDGPU.csdata,"",@progbits
; Kernel info:
; codeLenInByte = 0
; NumSgprs: 4
; NumVgprs: 0
; NumAgprs: 0
; TotalNumVgprs: 0
; ScratchSize: 0
; MemoryBound: 0
; FloatMode: 240
; IeeeMode: 1
; LDSByteSize: 0 bytes/workgroup (compile time only)
; SGPRBlocks: 0
; VGPRBlocks: 0
; NumSGPRsForWavesPerEU: 4
; NumVGPRsForWavesPerEU: 1
; AccumOffset: 4
; Occupancy: 8
; WaveLimiterHint : 0
; COMPUTE_PGM_RSRC2:SCRATCH_EN: 0
; COMPUTE_PGM_RSRC2:USER_SGPR: 6
; COMPUTE_PGM_RSRC2:TRAP_HANDLER: 0
; COMPUTE_PGM_RSRC2:TGID_X_EN: 1
; COMPUTE_PGM_RSRC2:TGID_Y_EN: 0
; COMPUTE_PGM_RSRC2:TGID_Z_EN: 0
; COMPUTE_PGM_RSRC2:TIDIG_COMP_CNT: 0
; COMPUTE_PGM_RSRC3_GFX90A:ACCUM_OFFSET: 0
; COMPUTE_PGM_RSRC3_GFX90A:TG_SPLIT: 0
	.section	.text._ZN7rocprim17ROCPRIM_400000_NS6detail17trampoline_kernelINS0_14default_configENS1_29reduce_by_key_config_selectorIssN6thrust23THRUST_200600_302600_NS4plusIsEEEEZZNS1_33reduce_by_key_impl_wrapped_configILNS1_25lookback_scan_determinismE0ES3_S9_NS6_6detail15normal_iteratorINS6_10device_ptrIsEEEESG_SG_SG_PmS8_NS6_8equal_toIsEEEE10hipError_tPvRmT2_T3_mT4_T5_T6_T7_T8_P12ihipStream_tbENKUlT_T0_E_clISt17integral_constantIbLb1EES11_EEDaSW_SX_EUlSW_E_NS1_11comp_targetILNS1_3genE5ELNS1_11target_archE942ELNS1_3gpuE9ELNS1_3repE0EEENS1_30default_config_static_selectorELNS0_4arch9wavefront6targetE1EEEvT1_,"axG",@progbits,_ZN7rocprim17ROCPRIM_400000_NS6detail17trampoline_kernelINS0_14default_configENS1_29reduce_by_key_config_selectorIssN6thrust23THRUST_200600_302600_NS4plusIsEEEEZZNS1_33reduce_by_key_impl_wrapped_configILNS1_25lookback_scan_determinismE0ES3_S9_NS6_6detail15normal_iteratorINS6_10device_ptrIsEEEESG_SG_SG_PmS8_NS6_8equal_toIsEEEE10hipError_tPvRmT2_T3_mT4_T5_T6_T7_T8_P12ihipStream_tbENKUlT_T0_E_clISt17integral_constantIbLb1EES11_EEDaSW_SX_EUlSW_E_NS1_11comp_targetILNS1_3genE5ELNS1_11target_archE942ELNS1_3gpuE9ELNS1_3repE0EEENS1_30default_config_static_selectorELNS0_4arch9wavefront6targetE1EEEvT1_,comdat
	.protected	_ZN7rocprim17ROCPRIM_400000_NS6detail17trampoline_kernelINS0_14default_configENS1_29reduce_by_key_config_selectorIssN6thrust23THRUST_200600_302600_NS4plusIsEEEEZZNS1_33reduce_by_key_impl_wrapped_configILNS1_25lookback_scan_determinismE0ES3_S9_NS6_6detail15normal_iteratorINS6_10device_ptrIsEEEESG_SG_SG_PmS8_NS6_8equal_toIsEEEE10hipError_tPvRmT2_T3_mT4_T5_T6_T7_T8_P12ihipStream_tbENKUlT_T0_E_clISt17integral_constantIbLb1EES11_EEDaSW_SX_EUlSW_E_NS1_11comp_targetILNS1_3genE5ELNS1_11target_archE942ELNS1_3gpuE9ELNS1_3repE0EEENS1_30default_config_static_selectorELNS0_4arch9wavefront6targetE1EEEvT1_ ; -- Begin function _ZN7rocprim17ROCPRIM_400000_NS6detail17trampoline_kernelINS0_14default_configENS1_29reduce_by_key_config_selectorIssN6thrust23THRUST_200600_302600_NS4plusIsEEEEZZNS1_33reduce_by_key_impl_wrapped_configILNS1_25lookback_scan_determinismE0ES3_S9_NS6_6detail15normal_iteratorINS6_10device_ptrIsEEEESG_SG_SG_PmS8_NS6_8equal_toIsEEEE10hipError_tPvRmT2_T3_mT4_T5_T6_T7_T8_P12ihipStream_tbENKUlT_T0_E_clISt17integral_constantIbLb1EES11_EEDaSW_SX_EUlSW_E_NS1_11comp_targetILNS1_3genE5ELNS1_11target_archE942ELNS1_3gpuE9ELNS1_3repE0EEENS1_30default_config_static_selectorELNS0_4arch9wavefront6targetE1EEEvT1_
	.globl	_ZN7rocprim17ROCPRIM_400000_NS6detail17trampoline_kernelINS0_14default_configENS1_29reduce_by_key_config_selectorIssN6thrust23THRUST_200600_302600_NS4plusIsEEEEZZNS1_33reduce_by_key_impl_wrapped_configILNS1_25lookback_scan_determinismE0ES3_S9_NS6_6detail15normal_iteratorINS6_10device_ptrIsEEEESG_SG_SG_PmS8_NS6_8equal_toIsEEEE10hipError_tPvRmT2_T3_mT4_T5_T6_T7_T8_P12ihipStream_tbENKUlT_T0_E_clISt17integral_constantIbLb1EES11_EEDaSW_SX_EUlSW_E_NS1_11comp_targetILNS1_3genE5ELNS1_11target_archE942ELNS1_3gpuE9ELNS1_3repE0EEENS1_30default_config_static_selectorELNS0_4arch9wavefront6targetE1EEEvT1_
	.p2align	8
	.type	_ZN7rocprim17ROCPRIM_400000_NS6detail17trampoline_kernelINS0_14default_configENS1_29reduce_by_key_config_selectorIssN6thrust23THRUST_200600_302600_NS4plusIsEEEEZZNS1_33reduce_by_key_impl_wrapped_configILNS1_25lookback_scan_determinismE0ES3_S9_NS6_6detail15normal_iteratorINS6_10device_ptrIsEEEESG_SG_SG_PmS8_NS6_8equal_toIsEEEE10hipError_tPvRmT2_T3_mT4_T5_T6_T7_T8_P12ihipStream_tbENKUlT_T0_E_clISt17integral_constantIbLb1EES11_EEDaSW_SX_EUlSW_E_NS1_11comp_targetILNS1_3genE5ELNS1_11target_archE942ELNS1_3gpuE9ELNS1_3repE0EEENS1_30default_config_static_selectorELNS0_4arch9wavefront6targetE1EEEvT1_,@function
_ZN7rocprim17ROCPRIM_400000_NS6detail17trampoline_kernelINS0_14default_configENS1_29reduce_by_key_config_selectorIssN6thrust23THRUST_200600_302600_NS4plusIsEEEEZZNS1_33reduce_by_key_impl_wrapped_configILNS1_25lookback_scan_determinismE0ES3_S9_NS6_6detail15normal_iteratorINS6_10device_ptrIsEEEESG_SG_SG_PmS8_NS6_8equal_toIsEEEE10hipError_tPvRmT2_T3_mT4_T5_T6_T7_T8_P12ihipStream_tbENKUlT_T0_E_clISt17integral_constantIbLb1EES11_EEDaSW_SX_EUlSW_E_NS1_11comp_targetILNS1_3genE5ELNS1_11target_archE942ELNS1_3gpuE9ELNS1_3repE0EEENS1_30default_config_static_selectorELNS0_4arch9wavefront6targetE1EEEvT1_: ; @_ZN7rocprim17ROCPRIM_400000_NS6detail17trampoline_kernelINS0_14default_configENS1_29reduce_by_key_config_selectorIssN6thrust23THRUST_200600_302600_NS4plusIsEEEEZZNS1_33reduce_by_key_impl_wrapped_configILNS1_25lookback_scan_determinismE0ES3_S9_NS6_6detail15normal_iteratorINS6_10device_ptrIsEEEESG_SG_SG_PmS8_NS6_8equal_toIsEEEE10hipError_tPvRmT2_T3_mT4_T5_T6_T7_T8_P12ihipStream_tbENKUlT_T0_E_clISt17integral_constantIbLb1EES11_EEDaSW_SX_EUlSW_E_NS1_11comp_targetILNS1_3genE5ELNS1_11target_archE942ELNS1_3gpuE9ELNS1_3repE0EEENS1_30default_config_static_selectorELNS0_4arch9wavefront6targetE1EEEvT1_
; %bb.0:
	.section	.rodata,"a",@progbits
	.p2align	6, 0x0
	.amdhsa_kernel _ZN7rocprim17ROCPRIM_400000_NS6detail17trampoline_kernelINS0_14default_configENS1_29reduce_by_key_config_selectorIssN6thrust23THRUST_200600_302600_NS4plusIsEEEEZZNS1_33reduce_by_key_impl_wrapped_configILNS1_25lookback_scan_determinismE0ES3_S9_NS6_6detail15normal_iteratorINS6_10device_ptrIsEEEESG_SG_SG_PmS8_NS6_8equal_toIsEEEE10hipError_tPvRmT2_T3_mT4_T5_T6_T7_T8_P12ihipStream_tbENKUlT_T0_E_clISt17integral_constantIbLb1EES11_EEDaSW_SX_EUlSW_E_NS1_11comp_targetILNS1_3genE5ELNS1_11target_archE942ELNS1_3gpuE9ELNS1_3repE0EEENS1_30default_config_static_selectorELNS0_4arch9wavefront6targetE1EEEvT1_
		.amdhsa_group_segment_fixed_size 0
		.amdhsa_private_segment_fixed_size 0
		.amdhsa_kernarg_size 120
		.amdhsa_user_sgpr_count 6
		.amdhsa_user_sgpr_private_segment_buffer 1
		.amdhsa_user_sgpr_dispatch_ptr 0
		.amdhsa_user_sgpr_queue_ptr 0
		.amdhsa_user_sgpr_kernarg_segment_ptr 1
		.amdhsa_user_sgpr_dispatch_id 0
		.amdhsa_user_sgpr_flat_scratch_init 0
		.amdhsa_user_sgpr_kernarg_preload_length 0
		.amdhsa_user_sgpr_kernarg_preload_offset 0
		.amdhsa_user_sgpr_private_segment_size 0
		.amdhsa_uses_dynamic_stack 0
		.amdhsa_system_sgpr_private_segment_wavefront_offset 0
		.amdhsa_system_sgpr_workgroup_id_x 1
		.amdhsa_system_sgpr_workgroup_id_y 0
		.amdhsa_system_sgpr_workgroup_id_z 0
		.amdhsa_system_sgpr_workgroup_info 0
		.amdhsa_system_vgpr_workitem_id 0
		.amdhsa_next_free_vgpr 1
		.amdhsa_next_free_sgpr 0
		.amdhsa_accum_offset 4
		.amdhsa_reserve_vcc 0
		.amdhsa_reserve_flat_scratch 0
		.amdhsa_float_round_mode_32 0
		.amdhsa_float_round_mode_16_64 0
		.amdhsa_float_denorm_mode_32 3
		.amdhsa_float_denorm_mode_16_64 3
		.amdhsa_dx10_clamp 1
		.amdhsa_ieee_mode 1
		.amdhsa_fp16_overflow 0
		.amdhsa_tg_split 0
		.amdhsa_exception_fp_ieee_invalid_op 0
		.amdhsa_exception_fp_denorm_src 0
		.amdhsa_exception_fp_ieee_div_zero 0
		.amdhsa_exception_fp_ieee_overflow 0
		.amdhsa_exception_fp_ieee_underflow 0
		.amdhsa_exception_fp_ieee_inexact 0
		.amdhsa_exception_int_div_zero 0
	.end_amdhsa_kernel
	.section	.text._ZN7rocprim17ROCPRIM_400000_NS6detail17trampoline_kernelINS0_14default_configENS1_29reduce_by_key_config_selectorIssN6thrust23THRUST_200600_302600_NS4plusIsEEEEZZNS1_33reduce_by_key_impl_wrapped_configILNS1_25lookback_scan_determinismE0ES3_S9_NS6_6detail15normal_iteratorINS6_10device_ptrIsEEEESG_SG_SG_PmS8_NS6_8equal_toIsEEEE10hipError_tPvRmT2_T3_mT4_T5_T6_T7_T8_P12ihipStream_tbENKUlT_T0_E_clISt17integral_constantIbLb1EES11_EEDaSW_SX_EUlSW_E_NS1_11comp_targetILNS1_3genE5ELNS1_11target_archE942ELNS1_3gpuE9ELNS1_3repE0EEENS1_30default_config_static_selectorELNS0_4arch9wavefront6targetE1EEEvT1_,"axG",@progbits,_ZN7rocprim17ROCPRIM_400000_NS6detail17trampoline_kernelINS0_14default_configENS1_29reduce_by_key_config_selectorIssN6thrust23THRUST_200600_302600_NS4plusIsEEEEZZNS1_33reduce_by_key_impl_wrapped_configILNS1_25lookback_scan_determinismE0ES3_S9_NS6_6detail15normal_iteratorINS6_10device_ptrIsEEEESG_SG_SG_PmS8_NS6_8equal_toIsEEEE10hipError_tPvRmT2_T3_mT4_T5_T6_T7_T8_P12ihipStream_tbENKUlT_T0_E_clISt17integral_constantIbLb1EES11_EEDaSW_SX_EUlSW_E_NS1_11comp_targetILNS1_3genE5ELNS1_11target_archE942ELNS1_3gpuE9ELNS1_3repE0EEENS1_30default_config_static_selectorELNS0_4arch9wavefront6targetE1EEEvT1_,comdat
.Lfunc_end633:
	.size	_ZN7rocprim17ROCPRIM_400000_NS6detail17trampoline_kernelINS0_14default_configENS1_29reduce_by_key_config_selectorIssN6thrust23THRUST_200600_302600_NS4plusIsEEEEZZNS1_33reduce_by_key_impl_wrapped_configILNS1_25lookback_scan_determinismE0ES3_S9_NS6_6detail15normal_iteratorINS6_10device_ptrIsEEEESG_SG_SG_PmS8_NS6_8equal_toIsEEEE10hipError_tPvRmT2_T3_mT4_T5_T6_T7_T8_P12ihipStream_tbENKUlT_T0_E_clISt17integral_constantIbLb1EES11_EEDaSW_SX_EUlSW_E_NS1_11comp_targetILNS1_3genE5ELNS1_11target_archE942ELNS1_3gpuE9ELNS1_3repE0EEENS1_30default_config_static_selectorELNS0_4arch9wavefront6targetE1EEEvT1_, .Lfunc_end633-_ZN7rocprim17ROCPRIM_400000_NS6detail17trampoline_kernelINS0_14default_configENS1_29reduce_by_key_config_selectorIssN6thrust23THRUST_200600_302600_NS4plusIsEEEEZZNS1_33reduce_by_key_impl_wrapped_configILNS1_25lookback_scan_determinismE0ES3_S9_NS6_6detail15normal_iteratorINS6_10device_ptrIsEEEESG_SG_SG_PmS8_NS6_8equal_toIsEEEE10hipError_tPvRmT2_T3_mT4_T5_T6_T7_T8_P12ihipStream_tbENKUlT_T0_E_clISt17integral_constantIbLb1EES11_EEDaSW_SX_EUlSW_E_NS1_11comp_targetILNS1_3genE5ELNS1_11target_archE942ELNS1_3gpuE9ELNS1_3repE0EEENS1_30default_config_static_selectorELNS0_4arch9wavefront6targetE1EEEvT1_
                                        ; -- End function
	.section	.AMDGPU.csdata,"",@progbits
; Kernel info:
; codeLenInByte = 0
; NumSgprs: 4
; NumVgprs: 0
; NumAgprs: 0
; TotalNumVgprs: 0
; ScratchSize: 0
; MemoryBound: 0
; FloatMode: 240
; IeeeMode: 1
; LDSByteSize: 0 bytes/workgroup (compile time only)
; SGPRBlocks: 0
; VGPRBlocks: 0
; NumSGPRsForWavesPerEU: 4
; NumVGPRsForWavesPerEU: 1
; AccumOffset: 4
; Occupancy: 8
; WaveLimiterHint : 0
; COMPUTE_PGM_RSRC2:SCRATCH_EN: 0
; COMPUTE_PGM_RSRC2:USER_SGPR: 6
; COMPUTE_PGM_RSRC2:TRAP_HANDLER: 0
; COMPUTE_PGM_RSRC2:TGID_X_EN: 1
; COMPUTE_PGM_RSRC2:TGID_Y_EN: 0
; COMPUTE_PGM_RSRC2:TGID_Z_EN: 0
; COMPUTE_PGM_RSRC2:TIDIG_COMP_CNT: 0
; COMPUTE_PGM_RSRC3_GFX90A:ACCUM_OFFSET: 0
; COMPUTE_PGM_RSRC3_GFX90A:TG_SPLIT: 0
	.section	.text._ZN7rocprim17ROCPRIM_400000_NS6detail17trampoline_kernelINS0_14default_configENS1_29reduce_by_key_config_selectorIssN6thrust23THRUST_200600_302600_NS4plusIsEEEEZZNS1_33reduce_by_key_impl_wrapped_configILNS1_25lookback_scan_determinismE0ES3_S9_NS6_6detail15normal_iteratorINS6_10device_ptrIsEEEESG_SG_SG_PmS8_NS6_8equal_toIsEEEE10hipError_tPvRmT2_T3_mT4_T5_T6_T7_T8_P12ihipStream_tbENKUlT_T0_E_clISt17integral_constantIbLb1EES11_EEDaSW_SX_EUlSW_E_NS1_11comp_targetILNS1_3genE4ELNS1_11target_archE910ELNS1_3gpuE8ELNS1_3repE0EEENS1_30default_config_static_selectorELNS0_4arch9wavefront6targetE1EEEvT1_,"axG",@progbits,_ZN7rocprim17ROCPRIM_400000_NS6detail17trampoline_kernelINS0_14default_configENS1_29reduce_by_key_config_selectorIssN6thrust23THRUST_200600_302600_NS4plusIsEEEEZZNS1_33reduce_by_key_impl_wrapped_configILNS1_25lookback_scan_determinismE0ES3_S9_NS6_6detail15normal_iteratorINS6_10device_ptrIsEEEESG_SG_SG_PmS8_NS6_8equal_toIsEEEE10hipError_tPvRmT2_T3_mT4_T5_T6_T7_T8_P12ihipStream_tbENKUlT_T0_E_clISt17integral_constantIbLb1EES11_EEDaSW_SX_EUlSW_E_NS1_11comp_targetILNS1_3genE4ELNS1_11target_archE910ELNS1_3gpuE8ELNS1_3repE0EEENS1_30default_config_static_selectorELNS0_4arch9wavefront6targetE1EEEvT1_,comdat
	.protected	_ZN7rocprim17ROCPRIM_400000_NS6detail17trampoline_kernelINS0_14default_configENS1_29reduce_by_key_config_selectorIssN6thrust23THRUST_200600_302600_NS4plusIsEEEEZZNS1_33reduce_by_key_impl_wrapped_configILNS1_25lookback_scan_determinismE0ES3_S9_NS6_6detail15normal_iteratorINS6_10device_ptrIsEEEESG_SG_SG_PmS8_NS6_8equal_toIsEEEE10hipError_tPvRmT2_T3_mT4_T5_T6_T7_T8_P12ihipStream_tbENKUlT_T0_E_clISt17integral_constantIbLb1EES11_EEDaSW_SX_EUlSW_E_NS1_11comp_targetILNS1_3genE4ELNS1_11target_archE910ELNS1_3gpuE8ELNS1_3repE0EEENS1_30default_config_static_selectorELNS0_4arch9wavefront6targetE1EEEvT1_ ; -- Begin function _ZN7rocprim17ROCPRIM_400000_NS6detail17trampoline_kernelINS0_14default_configENS1_29reduce_by_key_config_selectorIssN6thrust23THRUST_200600_302600_NS4plusIsEEEEZZNS1_33reduce_by_key_impl_wrapped_configILNS1_25lookback_scan_determinismE0ES3_S9_NS6_6detail15normal_iteratorINS6_10device_ptrIsEEEESG_SG_SG_PmS8_NS6_8equal_toIsEEEE10hipError_tPvRmT2_T3_mT4_T5_T6_T7_T8_P12ihipStream_tbENKUlT_T0_E_clISt17integral_constantIbLb1EES11_EEDaSW_SX_EUlSW_E_NS1_11comp_targetILNS1_3genE4ELNS1_11target_archE910ELNS1_3gpuE8ELNS1_3repE0EEENS1_30default_config_static_selectorELNS0_4arch9wavefront6targetE1EEEvT1_
	.globl	_ZN7rocprim17ROCPRIM_400000_NS6detail17trampoline_kernelINS0_14default_configENS1_29reduce_by_key_config_selectorIssN6thrust23THRUST_200600_302600_NS4plusIsEEEEZZNS1_33reduce_by_key_impl_wrapped_configILNS1_25lookback_scan_determinismE0ES3_S9_NS6_6detail15normal_iteratorINS6_10device_ptrIsEEEESG_SG_SG_PmS8_NS6_8equal_toIsEEEE10hipError_tPvRmT2_T3_mT4_T5_T6_T7_T8_P12ihipStream_tbENKUlT_T0_E_clISt17integral_constantIbLb1EES11_EEDaSW_SX_EUlSW_E_NS1_11comp_targetILNS1_3genE4ELNS1_11target_archE910ELNS1_3gpuE8ELNS1_3repE0EEENS1_30default_config_static_selectorELNS0_4arch9wavefront6targetE1EEEvT1_
	.p2align	8
	.type	_ZN7rocprim17ROCPRIM_400000_NS6detail17trampoline_kernelINS0_14default_configENS1_29reduce_by_key_config_selectorIssN6thrust23THRUST_200600_302600_NS4plusIsEEEEZZNS1_33reduce_by_key_impl_wrapped_configILNS1_25lookback_scan_determinismE0ES3_S9_NS6_6detail15normal_iteratorINS6_10device_ptrIsEEEESG_SG_SG_PmS8_NS6_8equal_toIsEEEE10hipError_tPvRmT2_T3_mT4_T5_T6_T7_T8_P12ihipStream_tbENKUlT_T0_E_clISt17integral_constantIbLb1EES11_EEDaSW_SX_EUlSW_E_NS1_11comp_targetILNS1_3genE4ELNS1_11target_archE910ELNS1_3gpuE8ELNS1_3repE0EEENS1_30default_config_static_selectorELNS0_4arch9wavefront6targetE1EEEvT1_,@function
_ZN7rocprim17ROCPRIM_400000_NS6detail17trampoline_kernelINS0_14default_configENS1_29reduce_by_key_config_selectorIssN6thrust23THRUST_200600_302600_NS4plusIsEEEEZZNS1_33reduce_by_key_impl_wrapped_configILNS1_25lookback_scan_determinismE0ES3_S9_NS6_6detail15normal_iteratorINS6_10device_ptrIsEEEESG_SG_SG_PmS8_NS6_8equal_toIsEEEE10hipError_tPvRmT2_T3_mT4_T5_T6_T7_T8_P12ihipStream_tbENKUlT_T0_E_clISt17integral_constantIbLb1EES11_EEDaSW_SX_EUlSW_E_NS1_11comp_targetILNS1_3genE4ELNS1_11target_archE910ELNS1_3gpuE8ELNS1_3repE0EEENS1_30default_config_static_selectorELNS0_4arch9wavefront6targetE1EEEvT1_: ; @_ZN7rocprim17ROCPRIM_400000_NS6detail17trampoline_kernelINS0_14default_configENS1_29reduce_by_key_config_selectorIssN6thrust23THRUST_200600_302600_NS4plusIsEEEEZZNS1_33reduce_by_key_impl_wrapped_configILNS1_25lookback_scan_determinismE0ES3_S9_NS6_6detail15normal_iteratorINS6_10device_ptrIsEEEESG_SG_SG_PmS8_NS6_8equal_toIsEEEE10hipError_tPvRmT2_T3_mT4_T5_T6_T7_T8_P12ihipStream_tbENKUlT_T0_E_clISt17integral_constantIbLb1EES11_EEDaSW_SX_EUlSW_E_NS1_11comp_targetILNS1_3genE4ELNS1_11target_archE910ELNS1_3gpuE8ELNS1_3repE0EEENS1_30default_config_static_selectorELNS0_4arch9wavefront6targetE1EEEvT1_
; %bb.0:
	s_load_dwordx8 s[36:43], s[4:5], 0x0
	s_load_dwordx4 s[52:55], s[4:5], 0x20
	s_load_dwordx8 s[44:51], s[4:5], 0x38
	s_load_dwordx2 s[60:61], s[4:5], 0x68
	s_load_dwordx4 s[56:59], s[4:5], 0x58
	v_cmp_ne_u32_e64 s[2:3], 0, v0
	v_cmp_eq_u32_e64 s[0:1], 0, v0
	s_and_saveexec_b64 s[6:7], s[0:1]
	s_cbranch_execz .LBB634_4
; %bb.1:
	s_mov_b64 s[10:11], exec
	v_mbcnt_lo_u32_b32 v1, s10, 0
	v_mbcnt_hi_u32_b32 v1, s11, v1
	v_cmp_eq_u32_e32 vcc, 0, v1
                                        ; implicit-def: $vgpr2
	s_and_saveexec_b64 s[8:9], vcc
	s_cbranch_execz .LBB634_3
; %bb.2:
	s_load_dwordx2 s[4:5], s[4:5], 0x70
	s_bcnt1_i32_b64 s10, s[10:11]
	v_mov_b32_e32 v2, 0
	v_mov_b32_e32 v3, s10
	s_waitcnt lgkmcnt(0)
	global_atomic_add v2, v2, v3, s[4:5] glc
.LBB634_3:
	s_or_b64 exec, exec, s[8:9]
	s_waitcnt vmcnt(0)
	v_readfirstlane_b32 s4, v2
	v_add_u32_e32 v1, s4, v1
	v_mov_b32_e32 v2, 0
	ds_write_b32 v2, v1
.LBB634_4:
	s_or_b64 exec, exec, s[6:7]
	v_mov_b32_e32 v3, 0
	s_waitcnt lgkmcnt(0)
	s_lshl_b64 s[4:5], s[38:39], 1
	s_barrier
	ds_read_b32 v1, v3
	s_add_u32 s6, s36, s4
	s_addc_u32 s7, s37, s5
	s_add_u32 s4, s40, s4
	s_mul_i32 s8, s48, s47
	s_mul_hi_u32 s9, s48, s46
	s_addc_u32 s5, s41, s5
	s_add_i32 s8, s9, s8
	s_mul_i32 s9, s49, s46
	s_add_i32 s8, s8, s9
	s_mul_i32 s9, s48, s46
	s_waitcnt lgkmcnt(0)
	v_readfirstlane_b32 s62, v1
	s_movk_i32 s10, 0xf00
	v_mul_lo_u32 v2, v1, s10
	s_add_u32 s40, s9, s62
	v_lshlrev_b64 v[2:3], 1, v[2:3]
	s_addc_u32 s41, s8, 0
	v_mov_b32_e32 v1, s7
	v_add_co_u32_e32 v6, vcc, s6, v2
	s_add_u32 s6, s50, -1
	v_addc_co_u32_e32 v7, vcc, v1, v3, vcc
	s_addc_u32 s7, s51, -1
	v_mov_b32_e32 v1, s5
	v_add_co_u32_e32 v8, vcc, s4, v2
	s_cmp_eq_u64 s[40:41], s[6:7]
	v_addc_co_u32_e32 v9, vcc, v1, v3, vcc
	s_cselect_b64 s[36:37], -1, 0
	s_cmp_lg_u64 s[40:41], s[6:7]
	s_mov_b64 s[4:5], -1
	s_cselect_b64 s[48:49], -1, 0
	s_mul_i32 s33, s6, 0xfffff100
	s_and_b64 vcc, exec, s[36:37]
	s_barrier
	s_cbranch_vccnz .LBB634_6
; %bb.5:
	v_lshlrev_b32_e32 v11, 1, v0
	v_add_co_u32_e32 v2, vcc, v6, v11
	v_addc_co_u32_e32 v3, vcc, 0, v7, vcc
	flat_load_ushort v1, v[2:3]
	flat_load_ushort v4, v[2:3] offset:512
	flat_load_ushort v5, v[2:3] offset:1024
	flat_load_ushort v14, v[2:3] offset:1536
	flat_load_ushort v15, v[2:3] offset:2048
	flat_load_ushort v16, v[2:3] offset:2560
	flat_load_ushort v17, v[2:3] offset:3072
	flat_load_ushort v20, v[2:3] offset:3584
	v_add_co_u32_e32 v2, vcc, 0x1000, v2
	v_addc_co_u32_e32 v3, vcc, 0, v3, vcc
	flat_load_ushort v21, v[2:3]
	flat_load_ushort v22, v[2:3] offset:512
	flat_load_ushort v23, v[2:3] offset:1024
	;; [unrolled: 1-line block ×6, first 2 shown]
	v_add_co_u32_e32 v12, vcc, v8, v11
	s_movk_i32 s4, 0x1000
	v_addc_co_u32_e32 v13, vcc, 0, v9, vcc
	v_mad_u32_u24 v10, v0, 28, v11
	v_add_co_u32_e32 v18, vcc, s4, v12
	v_addc_co_u32_e32 v19, vcc, 0, v13, vcc
	s_waitcnt vmcnt(0) lgkmcnt(0)
	ds_write_b16 v11, v1
	ds_write_b16 v11, v4 offset:512
	ds_write_b16 v11, v5 offset:1024
	;; [unrolled: 1-line block ×14, first 2 shown]
	s_waitcnt lgkmcnt(0)
	s_barrier
	ds_read_u16 v1, v10
	ds_read_b128 v[2:5], v10 offset:2
	ds_read_b96 v[14:16], v10 offset:18
	s_waitcnt lgkmcnt(0)
	s_barrier
	flat_load_ushort v17, v[12:13]
	flat_load_ushort v20, v[12:13] offset:512
	flat_load_ushort v21, v[12:13] offset:1024
	;; [unrolled: 1-line block ×7, first 2 shown]
	flat_load_ushort v27, v[18:19]
	flat_load_ushort v28, v[18:19] offset:512
	flat_load_ushort v29, v[18:19] offset:1024
	;; [unrolled: 1-line block ×6, first 2 shown]
	v_mul_u32_u24_e32 v12, 15, v0
	s_waitcnt vmcnt(0) lgkmcnt(0)
	ds_write_b16 v11, v17
	ds_write_b16 v11, v20 offset:512
	ds_write_b16 v11, v21 offset:1024
	;; [unrolled: 1-line block ×14, first 2 shown]
	s_waitcnt lgkmcnt(0)
	s_barrier
	s_add_i32 s33, s33, s56
	s_cbranch_execz .LBB634_7
	s_branch .LBB634_54
.LBB634_6:
                                        ; implicit-def: $vgpr2
                                        ; implicit-def: $vgpr14
                                        ; implicit-def: $vgpr12
                                        ; implicit-def: $vgpr10
                                        ; implicit-def: $vgpr1
	s_andn2_b64 vcc, exec, s[4:5]
	s_add_i32 s33, s33, s56
	s_cbranch_vccnz .LBB634_54
.LBB634_7:
	v_cmp_gt_u32_e32 vcc, s33, v0
                                        ; implicit-def: $vgpr1
	s_and_saveexec_b64 s[6:7], vcc
	s_cbranch_execz .LBB634_9
; %bb.8:
	v_lshlrev_b32_e32 v1, 1, v0
	v_add_co_u32_e64 v2, s[4:5], v6, v1
	v_addc_co_u32_e64 v3, s[4:5], 0, v7, s[4:5]
	flat_load_ushort v1, v[2:3]
.LBB634_9:
	s_or_b64 exec, exec, s[6:7]
	v_or_b32_e32 v2, 0x100, v0
	v_cmp_gt_u32_e64 s[4:5], s33, v2
                                        ; implicit-def: $vgpr2
	s_and_saveexec_b64 s[8:9], s[4:5]
	s_cbranch_execz .LBB634_11
; %bb.10:
	v_lshlrev_b32_e32 v2, 1, v0
	v_add_co_u32_e64 v2, s[6:7], v6, v2
	v_addc_co_u32_e64 v3, s[6:7], 0, v7, s[6:7]
	flat_load_ushort v2, v[2:3] offset:512
.LBB634_11:
	s_or_b64 exec, exec, s[8:9]
	v_or_b32_e32 v3, 0x200, v0
	v_cmp_gt_u32_e64 s[6:7], s33, v3
                                        ; implicit-def: $vgpr3
	s_and_saveexec_b64 s[10:11], s[6:7]
	s_cbranch_execz .LBB634_13
; %bb.12:
	v_lshlrev_b32_e32 v3, 1, v0
	v_add_co_u32_e64 v4, s[8:9], v6, v3
	v_addc_co_u32_e64 v5, s[8:9], 0, v7, s[8:9]
	flat_load_ushort v3, v[4:5] offset:1024
.LBB634_13:
	s_or_b64 exec, exec, s[10:11]
	v_or_b32_e32 v4, 0x300, v0
	v_cmp_gt_u32_e64 s[8:9], s33, v4
                                        ; implicit-def: $vgpr4
	s_and_saveexec_b64 s[12:13], s[8:9]
	s_cbranch_execz .LBB634_15
; %bb.14:
	v_lshlrev_b32_e32 v4, 1, v0
	v_add_co_u32_e64 v4, s[10:11], v6, v4
	v_addc_co_u32_e64 v5, s[10:11], 0, v7, s[10:11]
	flat_load_ushort v4, v[4:5] offset:1536
.LBB634_15:
	s_or_b64 exec, exec, s[12:13]
	v_or_b32_e32 v5, 0x400, v0
	v_cmp_gt_u32_e64 s[10:11], s33, v5
                                        ; implicit-def: $vgpr5
	s_and_saveexec_b64 s[14:15], s[10:11]
	s_cbranch_execz .LBB634_17
; %bb.16:
	v_lshlrev_b32_e32 v5, 1, v0
	v_add_co_u32_e64 v10, s[12:13], v6, v5
	v_addc_co_u32_e64 v11, s[12:13], 0, v7, s[12:13]
	flat_load_ushort v5, v[10:11] offset:2048
.LBB634_17:
	s_or_b64 exec, exec, s[14:15]
	v_or_b32_e32 v10, 0x500, v0
	v_cmp_gt_u32_e64 s[12:13], s33, v10
                                        ; implicit-def: $vgpr10
	s_and_saveexec_b64 s[16:17], s[12:13]
	s_cbranch_execz .LBB634_19
; %bb.18:
	v_lshlrev_b32_e32 v10, 1, v0
	v_add_co_u32_e64 v10, s[14:15], v6, v10
	v_addc_co_u32_e64 v11, s[14:15], 0, v7, s[14:15]
	flat_load_ushort v10, v[10:11] offset:2560
.LBB634_19:
	s_or_b64 exec, exec, s[16:17]
	v_or_b32_e32 v11, 0x600, v0
	v_cmp_gt_u32_e64 s[14:15], s33, v11
                                        ; implicit-def: $vgpr14
	s_and_saveexec_b64 s[18:19], s[14:15]
	s_cbranch_execz .LBB634_21
; %bb.20:
	v_lshlrev_b32_e32 v11, 1, v0
	v_add_co_u32_e64 v12, s[16:17], v6, v11
	v_addc_co_u32_e64 v13, s[16:17], 0, v7, s[16:17]
	flat_load_ushort v14, v[12:13] offset:3072
.LBB634_21:
	s_or_b64 exec, exec, s[18:19]
	v_or_b32_e32 v11, 0x700, v0
	v_cmp_gt_u32_e64 s[16:17], s33, v11
                                        ; implicit-def: $vgpr15
	s_and_saveexec_b64 s[20:21], s[16:17]
	s_cbranch_execz .LBB634_23
; %bb.22:
	v_lshlrev_b32_e32 v11, 1, v0
	v_add_co_u32_e64 v12, s[18:19], v6, v11
	v_addc_co_u32_e64 v13, s[18:19], 0, v7, s[18:19]
	flat_load_ushort v15, v[12:13] offset:3584
.LBB634_23:
	s_or_b64 exec, exec, s[20:21]
	v_or_b32_e32 v12, 0x800, v0
	v_cmp_gt_u32_e64 s[18:19], s33, v12
                                        ; implicit-def: $vgpr16
	s_and_saveexec_b64 s[22:23], s[18:19]
	s_cbranch_execz .LBB634_25
; %bb.24:
	v_lshlrev_b32_e32 v11, 1, v12
	v_add_co_u32_e64 v16, s[20:21], v6, v11
	v_addc_co_u32_e64 v17, s[20:21], 0, v7, s[20:21]
	flat_load_ushort v16, v[16:17]
.LBB634_25:
	s_or_b64 exec, exec, s[22:23]
	v_or_b32_e32 v13, 0x900, v0
	v_cmp_gt_u32_e64 s[20:21], s33, v13
                                        ; implicit-def: $vgpr22
	s_and_saveexec_b64 s[24:25], s[20:21]
	s_cbranch_execz .LBB634_27
; %bb.26:
	v_lshlrev_b32_e32 v11, 1, v13
	v_add_co_u32_e64 v18, s[22:23], v6, v11
	v_addc_co_u32_e64 v19, s[22:23], 0, v7, s[22:23]
	flat_load_ushort v22, v[18:19]
.LBB634_27:
	s_or_b64 exec, exec, s[24:25]
	v_or_b32_e32 v17, 0xa00, v0
	v_cmp_gt_u32_e64 s[22:23], s33, v17
                                        ; implicit-def: $vgpr23
	s_and_saveexec_b64 s[26:27], s[22:23]
	s_cbranch_execz .LBB634_29
; %bb.28:
	v_lshlrev_b32_e32 v11, 1, v17
	v_add_co_u32_e64 v18, s[24:25], v6, v11
	v_addc_co_u32_e64 v19, s[24:25], 0, v7, s[24:25]
	flat_load_ushort v23, v[18:19]
.LBB634_29:
	s_or_b64 exec, exec, s[26:27]
	v_or_b32_e32 v18, 0xb00, v0
	v_cmp_gt_u32_e64 s[24:25], s33, v18
                                        ; implicit-def: $vgpr24
	s_and_saveexec_b64 s[28:29], s[24:25]
	s_cbranch_execz .LBB634_31
; %bb.30:
	v_lshlrev_b32_e32 v11, 1, v18
	v_add_co_u32_e64 v20, s[26:27], v6, v11
	v_addc_co_u32_e64 v21, s[26:27], 0, v7, s[26:27]
	flat_load_ushort v24, v[20:21]
.LBB634_31:
	s_or_b64 exec, exec, s[28:29]
	v_or_b32_e32 v19, 0xc00, v0
	v_cmp_gt_u32_e64 s[26:27], s33, v19
                                        ; implicit-def: $vgpr25
	s_and_saveexec_b64 s[30:31], s[26:27]
	s_cbranch_execz .LBB634_33
; %bb.32:
	v_lshlrev_b32_e32 v11, 1, v19
	v_add_co_u32_e64 v20, s[28:29], v6, v11
	v_addc_co_u32_e64 v21, s[28:29], 0, v7, s[28:29]
	flat_load_ushort v25, v[20:21]
.LBB634_33:
	s_or_b64 exec, exec, s[30:31]
	v_or_b32_e32 v20, 0xd00, v0
	v_cmp_gt_u32_e64 s[28:29], s33, v20
                                        ; implicit-def: $vgpr26
	s_and_saveexec_b64 s[34:35], s[28:29]
	s_cbranch_execz .LBB634_35
; %bb.34:
	v_lshlrev_b32_e32 v11, 1, v20
	v_add_co_u32_e64 v26, s[30:31], v6, v11
	v_addc_co_u32_e64 v27, s[30:31], 0, v7, s[30:31]
	flat_load_ushort v26, v[26:27]
.LBB634_35:
	s_or_b64 exec, exec, s[34:35]
	v_or_b32_e32 v21, 0xe00, v0
	v_cmp_gt_u32_e64 s[30:31], s33, v21
                                        ; implicit-def: $vgpr27
	s_and_saveexec_b64 s[38:39], s[30:31]
	s_cbranch_execz .LBB634_37
; %bb.36:
	v_lshlrev_b32_e32 v11, 1, v21
	v_add_co_u32_e64 v28, s[34:35], v6, v11
	v_addc_co_u32_e64 v29, s[34:35], 0, v7, s[34:35]
	flat_load_ushort v27, v[28:29]
.LBB634_37:
	s_or_b64 exec, exec, s[38:39]
	v_lshlrev_b32_e32 v11, 1, v0
	s_waitcnt vmcnt(0) lgkmcnt(0)
	ds_write_b16 v11, v1
	ds_write_b16 v11, v2 offset:512
	ds_write_b16 v11, v3 offset:1024
	;; [unrolled: 1-line block ×14, first 2 shown]
	v_mad_u32_u24 v10, v0, 28, v11
	s_waitcnt lgkmcnt(0)
	s_barrier
	ds_read_u16 v1, v10
	ds_read_b128 v[2:5], v10 offset:2
	ds_read_b96 v[14:16], v10 offset:18
	s_waitcnt lgkmcnt(0)
	s_barrier
	s_waitcnt lgkmcnt(0)
                                        ; implicit-def: $vgpr22
	s_and_saveexec_b64 s[34:35], vcc
	s_cbranch_execnz .LBB634_61
; %bb.38:
	s_or_b64 exec, exec, s[34:35]
                                        ; implicit-def: $vgpr23
	s_and_saveexec_b64 s[34:35], s[4:5]
	s_cbranch_execnz .LBB634_62
.LBB634_39:
	s_or_b64 exec, exec, s[34:35]
                                        ; implicit-def: $vgpr24
	s_and_saveexec_b64 s[4:5], s[6:7]
	s_cbranch_execnz .LBB634_63
.LBB634_40:
	s_or_b64 exec, exec, s[4:5]
                                        ; implicit-def: $vgpr25
	s_and_saveexec_b64 s[4:5], s[8:9]
	s_cbranch_execnz .LBB634_64
.LBB634_41:
	s_or_b64 exec, exec, s[4:5]
                                        ; implicit-def: $vgpr26
	s_and_saveexec_b64 s[4:5], s[10:11]
	s_cbranch_execnz .LBB634_65
.LBB634_42:
	s_or_b64 exec, exec, s[4:5]
                                        ; implicit-def: $vgpr27
	s_and_saveexec_b64 s[4:5], s[12:13]
	s_cbranch_execnz .LBB634_66
.LBB634_43:
	s_or_b64 exec, exec, s[4:5]
                                        ; implicit-def: $vgpr28
	s_and_saveexec_b64 s[4:5], s[14:15]
	s_cbranch_execnz .LBB634_67
.LBB634_44:
	s_or_b64 exec, exec, s[4:5]
                                        ; implicit-def: $vgpr29
	s_and_saveexec_b64 s[4:5], s[16:17]
	s_cbranch_execnz .LBB634_68
.LBB634_45:
	s_or_b64 exec, exec, s[4:5]
                                        ; implicit-def: $vgpr30
	s_and_saveexec_b64 s[4:5], s[18:19]
	s_cbranch_execnz .LBB634_69
.LBB634_46:
	s_or_b64 exec, exec, s[4:5]
                                        ; implicit-def: $vgpr31
	s_and_saveexec_b64 s[4:5], s[20:21]
	s_cbranch_execnz .LBB634_70
.LBB634_47:
	s_or_b64 exec, exec, s[4:5]
                                        ; implicit-def: $vgpr13
	s_and_saveexec_b64 s[4:5], s[22:23]
	s_cbranch_execnz .LBB634_71
.LBB634_48:
	s_or_b64 exec, exec, s[4:5]
                                        ; implicit-def: $vgpr17
	s_and_saveexec_b64 s[4:5], s[24:25]
	s_cbranch_execnz .LBB634_72
.LBB634_49:
	s_or_b64 exec, exec, s[4:5]
                                        ; implicit-def: $vgpr18
	s_and_saveexec_b64 s[4:5], s[26:27]
	s_cbranch_execnz .LBB634_73
.LBB634_50:
	s_or_b64 exec, exec, s[4:5]
                                        ; implicit-def: $vgpr19
	s_and_saveexec_b64 s[4:5], s[28:29]
	s_cbranch_execnz .LBB634_74
.LBB634_51:
	s_or_b64 exec, exec, s[4:5]
                                        ; implicit-def: $vgpr20
	s_and_saveexec_b64 s[4:5], s[30:31]
	s_cbranch_execz .LBB634_53
.LBB634_52:
	v_lshlrev_b32_e32 v12, 1, v21
	v_add_co_u32_e32 v8, vcc, v8, v12
	v_addc_co_u32_e32 v9, vcc, 0, v9, vcc
	flat_load_ushort v20, v[8:9]
.LBB634_53:
	s_or_b64 exec, exec, s[4:5]
	v_mul_u32_u24_e32 v12, 15, v0
	s_waitcnt vmcnt(0) lgkmcnt(0)
	ds_write_b16 v11, v22
	ds_write_b16 v11, v23 offset:512
	ds_write_b16 v11, v24 offset:1024
	;; [unrolled: 1-line block ×14, first 2 shown]
	s_waitcnt lgkmcnt(0)
	s_barrier
.LBB634_54:
	v_lshlrev_b32_e32 v8, 1, v12
	ds_read_u16 v77, v10
	ds_read_u16 v76, v10 offset:2
	ds_read_u16 v74, v10 offset:6
	;; [unrolled: 1-line block ×14, first 2 shown]
	s_cmp_eq_u64 s[40:41], 0
	s_cselect_b64 s[38:39], -1, 0
	s_cmp_lg_u64 s[40:41], 0
	s_mov_b64 s[6:7], 0
	s_cselect_b64 s[8:9], -1, 0
	s_and_b64 vcc, exec, s[48:49]
	s_waitcnt lgkmcnt(0)
	s_barrier
	s_cbranch_vccz .LBB634_60
; %bb.55:
	s_and_b64 vcc, exec, s[8:9]
	s_cbranch_vccz .LBB634_75
; %bb.56:
	v_add_co_u32_e32 v8, vcc, -2, v6
	v_addc_co_u32_e32 v9, vcc, -1, v7, vcc
	flat_load_ushort v8, v[8:9]
	v_lshrrev_b32_e32 v10, 16, v16
	v_lshlrev_b32_e32 v9, 1, v0
	v_cmp_ne_u16_e32 vcc, v16, v10
	v_cmp_ne_u16_sdwa s[6:7], v15, v16 src0_sel:WORD_1 src1_sel:DWORD
	v_cmp_ne_u16_sdwa s[10:11], v15, v15 src0_sel:DWORD src1_sel:WORD_1
	v_cmp_ne_u16_sdwa s[12:13], v14, v15 src0_sel:WORD_1 src1_sel:DWORD
	v_cmp_ne_u16_sdwa s[14:15], v14, v14 src0_sel:DWORD src1_sel:WORD_1
	;; [unrolled: 2-line block ×6, first 2 shown]
	v_cmp_ne_u16_e64 s[4:5], v1, v2
	ds_write_b16 v9, v10
	s_waitcnt lgkmcnt(0)
	s_barrier
	s_and_saveexec_b64 s[34:35], s[2:3]
	s_cbranch_execz .LBB634_58
; %bb.57:
	s_waitcnt vmcnt(0)
	v_add_u32_e32 v8, -2, v9
	ds_read_u16 v8, v8
.LBB634_58:
	s_or_b64 exec, exec, s[34:35]
	v_cndmask_b32_e64 v17, 0, 1, vcc
	v_cndmask_b32_e64 v54, 0, 1, s[6:7]
	v_cndmask_b32_e64 v55, 0, 1, s[10:11]
	;; [unrolled: 1-line block ×13, first 2 shown]
	s_waitcnt vmcnt(0) lgkmcnt(0)
	v_cmp_ne_u16_e64 s[4:5], v8, v1
	s_mov_b64 s[6:7], -1
.LBB634_59:
                                        ; implicit-def: $sgpr12
	s_branch .LBB634_87
.LBB634_60:
                                        ; implicit-def: $sgpr4_sgpr5
                                        ; implicit-def: $vgpr17
                                        ; implicit-def: $vgpr54
                                        ; implicit-def: $vgpr55
                                        ; implicit-def: $vgpr56
                                        ; implicit-def: $vgpr57
                                        ; implicit-def: $vgpr58
                                        ; implicit-def: $vgpr59
                                        ; implicit-def: $vgpr60
                                        ; implicit-def: $vgpr61
                                        ; implicit-def: $vgpr62
                                        ; implicit-def: $vgpr63
                                        ; implicit-def: $vgpr64
                                        ; implicit-def: $vgpr65
                                        ; implicit-def: $vgpr66
                                        ; implicit-def: $sgpr12
	s_cbranch_execnz .LBB634_79
	s_branch .LBB634_87
.LBB634_61:
	v_add_co_u32_e32 v22, vcc, v8, v11
	v_addc_co_u32_e32 v23, vcc, 0, v9, vcc
	flat_load_ushort v22, v[22:23]
	s_or_b64 exec, exec, s[34:35]
                                        ; implicit-def: $vgpr23
	s_and_saveexec_b64 s[34:35], s[4:5]
	s_cbranch_execz .LBB634_39
.LBB634_62:
	v_add_co_u32_e32 v24, vcc, v8, v11
	v_addc_co_u32_e32 v25, vcc, 0, v9, vcc
	flat_load_ushort v23, v[24:25] offset:512
	s_or_b64 exec, exec, s[34:35]
                                        ; implicit-def: $vgpr24
	s_and_saveexec_b64 s[4:5], s[6:7]
	s_cbranch_execz .LBB634_40
.LBB634_63:
	v_add_co_u32_e32 v24, vcc, v8, v11
	v_addc_co_u32_e32 v25, vcc, 0, v9, vcc
	flat_load_ushort v24, v[24:25] offset:1024
	s_or_b64 exec, exec, s[4:5]
                                        ; implicit-def: $vgpr25
	s_and_saveexec_b64 s[4:5], s[8:9]
	s_cbranch_execz .LBB634_41
.LBB634_64:
	v_add_co_u32_e32 v26, vcc, v8, v11
	v_addc_co_u32_e32 v27, vcc, 0, v9, vcc
	flat_load_ushort v25, v[26:27] offset:1536
	s_or_b64 exec, exec, s[4:5]
                                        ; implicit-def: $vgpr26
	s_and_saveexec_b64 s[4:5], s[10:11]
	s_cbranch_execz .LBB634_42
.LBB634_65:
	v_add_co_u32_e32 v26, vcc, v8, v11
	v_addc_co_u32_e32 v27, vcc, 0, v9, vcc
	flat_load_ushort v26, v[26:27] offset:2048
	s_or_b64 exec, exec, s[4:5]
                                        ; implicit-def: $vgpr27
	s_and_saveexec_b64 s[4:5], s[12:13]
	s_cbranch_execz .LBB634_43
.LBB634_66:
	v_add_co_u32_e32 v28, vcc, v8, v11
	v_addc_co_u32_e32 v29, vcc, 0, v9, vcc
	flat_load_ushort v27, v[28:29] offset:2560
	s_or_b64 exec, exec, s[4:5]
                                        ; implicit-def: $vgpr28
	s_and_saveexec_b64 s[4:5], s[14:15]
	s_cbranch_execz .LBB634_44
.LBB634_67:
	v_add_co_u32_e32 v28, vcc, v8, v11
	v_addc_co_u32_e32 v29, vcc, 0, v9, vcc
	flat_load_ushort v28, v[28:29] offset:3072
	s_or_b64 exec, exec, s[4:5]
                                        ; implicit-def: $vgpr29
	s_and_saveexec_b64 s[4:5], s[16:17]
	s_cbranch_execz .LBB634_45
.LBB634_68:
	v_add_co_u32_e32 v30, vcc, v8, v11
	v_addc_co_u32_e32 v31, vcc, 0, v9, vcc
	flat_load_ushort v29, v[30:31] offset:3584
	s_or_b64 exec, exec, s[4:5]
                                        ; implicit-def: $vgpr30
	s_and_saveexec_b64 s[4:5], s[18:19]
	s_cbranch_execz .LBB634_46
.LBB634_69:
	v_lshlrev_b32_e32 v12, 1, v12
	v_add_co_u32_e32 v30, vcc, v8, v12
	v_addc_co_u32_e32 v31, vcc, 0, v9, vcc
	flat_load_ushort v30, v[30:31]
	s_or_b64 exec, exec, s[4:5]
                                        ; implicit-def: $vgpr31
	s_and_saveexec_b64 s[4:5], s[20:21]
	s_cbranch_execz .LBB634_47
.LBB634_70:
	v_lshlrev_b32_e32 v12, 1, v13
	v_add_co_u32_e32 v12, vcc, v8, v12
	v_addc_co_u32_e32 v13, vcc, 0, v9, vcc
	flat_load_ushort v31, v[12:13]
	s_or_b64 exec, exec, s[4:5]
                                        ; implicit-def: $vgpr13
	s_and_saveexec_b64 s[4:5], s[22:23]
	s_cbranch_execz .LBB634_48
.LBB634_71:
	v_lshlrev_b32_e32 v12, 1, v17
	v_add_co_u32_e32 v12, vcc, v8, v12
	v_addc_co_u32_e32 v13, vcc, 0, v9, vcc
	flat_load_ushort v13, v[12:13]
	s_or_b64 exec, exec, s[4:5]
                                        ; implicit-def: $vgpr17
	s_and_saveexec_b64 s[4:5], s[24:25]
	s_cbranch_execz .LBB634_49
.LBB634_72:
	v_lshlrev_b32_e32 v12, 1, v18
	v_add_co_u32_e32 v32, vcc, v8, v12
	v_addc_co_u32_e32 v33, vcc, 0, v9, vcc
	flat_load_ushort v17, v[32:33]
	s_or_b64 exec, exec, s[4:5]
                                        ; implicit-def: $vgpr18
	s_and_saveexec_b64 s[4:5], s[26:27]
	s_cbranch_execz .LBB634_50
.LBB634_73:
	v_lshlrev_b32_e32 v12, 1, v19
	v_add_co_u32_e32 v18, vcc, v8, v12
	v_addc_co_u32_e32 v19, vcc, 0, v9, vcc
	flat_load_ushort v18, v[18:19]
	s_or_b64 exec, exec, s[4:5]
                                        ; implicit-def: $vgpr19
	s_and_saveexec_b64 s[4:5], s[28:29]
	s_cbranch_execz .LBB634_51
.LBB634_74:
	v_lshlrev_b32_e32 v12, 1, v20
	v_add_co_u32_e32 v32, vcc, v8, v12
	v_addc_co_u32_e32 v33, vcc, 0, v9, vcc
	flat_load_ushort v19, v[32:33]
	s_or_b64 exec, exec, s[4:5]
                                        ; implicit-def: $vgpr20
	s_and_saveexec_b64 s[4:5], s[30:31]
	s_cbranch_execnz .LBB634_52
	s_branch .LBB634_53
.LBB634_75:
                                        ; implicit-def: $sgpr4_sgpr5
                                        ; implicit-def: $vgpr17
                                        ; implicit-def: $vgpr54
                                        ; implicit-def: $vgpr55
                                        ; implicit-def: $vgpr56
                                        ; implicit-def: $vgpr57
                                        ; implicit-def: $vgpr58
                                        ; implicit-def: $vgpr59
                                        ; implicit-def: $vgpr60
                                        ; implicit-def: $vgpr61
                                        ; implicit-def: $vgpr62
                                        ; implicit-def: $vgpr63
                                        ; implicit-def: $vgpr64
                                        ; implicit-def: $vgpr65
                                        ; implicit-def: $vgpr66
	s_cbranch_execz .LBB634_59
; %bb.76:
	v_cmp_ne_u16_sdwa s[4:5], v15, v16 src0_sel:WORD_1 src1_sel:DWORD
	v_cndmask_b32_e64 v54, 0, 1, s[4:5]
	v_cmp_ne_u16_sdwa s[4:5], v15, v15 src0_sel:DWORD src1_sel:WORD_1
	v_cndmask_b32_e64 v55, 0, 1, s[4:5]
	v_cmp_ne_u16_sdwa s[4:5], v14, v15 src0_sel:WORD_1 src1_sel:DWORD
	v_cndmask_b32_e64 v56, 0, 1, s[4:5]
	v_cmp_ne_u16_sdwa s[4:5], v14, v14 src0_sel:DWORD src1_sel:WORD_1
	v_cndmask_b32_e64 v57, 0, 1, s[4:5]
	;; [unrolled: 4-line block ×4, first 2 shown]
	v_cmp_ne_u16_sdwa s[4:5], v3, v4 src0_sel:WORD_1 src1_sel:DWORD
	v_lshrrev_b32_e32 v9, 16, v16
	v_cndmask_b32_e64 v62, 0, 1, s[4:5]
	v_cmp_ne_u16_sdwa s[4:5], v3, v3 src0_sel:DWORD src1_sel:WORD_1
	v_cmp_ne_u16_e32 vcc, v16, v9
	v_cndmask_b32_e64 v63, 0, 1, s[4:5]
	v_cmp_ne_u16_sdwa s[4:5], v2, v3 src0_sel:WORD_1 src1_sel:DWORD
	v_cndmask_b32_e64 v17, 0, 1, vcc
	v_cndmask_b32_e64 v64, 0, 1, s[4:5]
	v_cmp_ne_u16_sdwa s[4:5], v2, v2 src0_sel:DWORD src1_sel:WORD_1
	v_cmp_ne_u16_e32 vcc, v1, v2
	s_mov_b32 s12, 1
	v_lshlrev_b32_e32 v8, 1, v0
	v_cndmask_b32_e64 v65, 0, 1, s[4:5]
	v_cndmask_b32_e64 v66, 0, 1, vcc
	ds_write_b16 v8, v9
	s_waitcnt lgkmcnt(0)
	s_barrier
	s_waitcnt lgkmcnt(0)
                                        ; implicit-def: $sgpr4_sgpr5
	s_and_saveexec_b64 s[10:11], s[2:3]
	s_xor_b64 s[10:11], exec, s[10:11]
	s_cbranch_execz .LBB634_78
; %bb.77:
	v_add_u32_e32 v8, -2, v8
	ds_read_u16 v8, v8
	s_or_b64 s[6:7], s[6:7], exec
	s_waitcnt lgkmcnt(0)
	v_cmp_ne_u16_e32 vcc, v8, v1
	s_and_b64 s[4:5], vcc, exec
.LBB634_78:
	s_or_b64 exec, exec, s[10:11]
	s_branch .LBB634_87
.LBB634_79:
	s_mul_hi_u32 s5, s40, 0xfffff100
	s_mul_i32 s4, s41, 0xfffff100
	s_sub_i32 s5, s5, s40
	s_add_i32 s5, s5, s4
	s_mul_i32 s4, s40, 0xfffff100
	s_add_u32 s10, s4, s56
	s_addc_u32 s11, s5, s57
	s_and_b64 vcc, exec, s[8:9]
	s_cbranch_vccz .LBB634_84
; %bb.80:
	v_add_co_u32_e32 v6, vcc, -2, v6
	v_addc_co_u32_e32 v7, vcc, -1, v7, vcc
	flat_load_ushort v10, v[6:7]
	v_lshrrev_b32_e32 v11, 16, v16
	v_mad_u32_u24 v8, v0, 15, 14
	v_mov_b32_e32 v9, 0
	v_cmp_gt_u64_e32 vcc, s[10:11], v[8:9]
	v_cmp_ne_u16_e64 s[4:5], v16, v11
	v_mad_u32_u24 v8, v0, 15, 13
	s_and_b64 s[6:7], vcc, s[4:5]
	v_cmp_gt_u64_e32 vcc, s[10:11], v[8:9]
	v_cmp_ne_u16_sdwa s[4:5], v15, v16 src0_sel:WORD_1 src1_sel:DWORD
	v_mad_u32_u24 v8, v0, 15, 12
	s_and_b64 s[8:9], vcc, s[4:5]
	v_cmp_gt_u64_e32 vcc, s[10:11], v[8:9]
	v_cmp_ne_u16_sdwa s[4:5], v15, v15 src0_sel:DWORD src1_sel:WORD_1
	v_mad_u32_u24 v8, v0, 15, 11
	s_and_b64 s[12:13], vcc, s[4:5]
	v_cmp_gt_u64_e32 vcc, s[10:11], v[8:9]
	v_cmp_ne_u16_sdwa s[4:5], v14, v15 src0_sel:WORD_1 src1_sel:DWORD
	v_mad_u32_u24 v8, v0, 15, 10
	s_and_b64 s[14:15], vcc, s[4:5]
	v_cmp_gt_u64_e32 vcc, s[10:11], v[8:9]
	v_cmp_ne_u16_sdwa s[4:5], v14, v14 src0_sel:DWORD src1_sel:WORD_1
	;; [unrolled: 8-line block ×6, first 2 shown]
	v_mad_u32_u24 v8, v0, 15, 1
	s_and_b64 s[34:35], vcc, s[4:5]
	v_cmp_gt_u64_e32 vcc, s[10:11], v[8:9]
	v_cmp_ne_u16_e64 s[4:5], v1, v2
	v_lshlrev_b32_e32 v7, 1, v0
	v_mul_u32_u24_e32 v6, 15, v0
	s_and_b64 s[4:5], vcc, s[4:5]
	ds_write_b16 v7, v11
	s_waitcnt lgkmcnt(0)
	s_barrier
	s_and_saveexec_b64 s[40:41], s[2:3]
	s_cbranch_execz .LBB634_82
; %bb.81:
	v_add_u32_e32 v7, -2, v7
	s_waitcnt vmcnt(0)
	ds_read_u16 v10, v7
.LBB634_82:
	s_or_b64 exec, exec, s[40:41]
	v_mov_b32_e32 v7, v9
	v_cndmask_b32_e64 v66, 0, 1, s[4:5]
	v_cmp_gt_u64_e32 vcc, s[10:11], v[6:7]
	s_waitcnt vmcnt(0) lgkmcnt(0)
	v_cmp_ne_u16_e64 s[4:5], v10, v1
	v_cndmask_b32_e64 v17, 0, 1, s[6:7]
	v_cndmask_b32_e64 v54, 0, 1, s[8:9]
	;; [unrolled: 1-line block ×13, first 2 shown]
	s_and_b64 s[4:5], vcc, s[4:5]
	s_mov_b64 s[6:7], -1
.LBB634_83:
                                        ; implicit-def: $sgpr12
	v_mov_b32_e32 v68, s12
	s_and_saveexec_b64 s[2:3], s[6:7]
	s_cbranch_execnz .LBB634_88
	s_branch .LBB634_89
.LBB634_84:
                                        ; implicit-def: $sgpr4_sgpr5
                                        ; implicit-def: $vgpr17
                                        ; implicit-def: $vgpr54
                                        ; implicit-def: $vgpr55
                                        ; implicit-def: $vgpr56
                                        ; implicit-def: $vgpr57
                                        ; implicit-def: $vgpr58
                                        ; implicit-def: $vgpr59
                                        ; implicit-def: $vgpr60
                                        ; implicit-def: $vgpr61
                                        ; implicit-def: $vgpr62
                                        ; implicit-def: $vgpr63
                                        ; implicit-def: $vgpr64
                                        ; implicit-def: $vgpr65
                                        ; implicit-def: $vgpr66
	s_cbranch_execz .LBB634_83
; %bb.85:
	v_lshrrev_b32_e32 v9, 16, v16
	v_mad_u32_u24 v6, v0, 15, 14
	v_mov_b32_e32 v7, 0
	v_cmp_gt_u64_e32 vcc, s[10:11], v[6:7]
	v_cmp_ne_u16_e64 s[4:5], v16, v9
	s_and_b64 s[4:5], vcc, s[4:5]
	v_mad_u32_u24 v6, v0, 15, 13
	v_cndmask_b32_e64 v17, 0, 1, s[4:5]
	v_cmp_gt_u64_e32 vcc, s[10:11], v[6:7]
	v_cmp_ne_u16_sdwa s[4:5], v15, v16 src0_sel:WORD_1 src1_sel:DWORD
	s_and_b64 s[4:5], vcc, s[4:5]
	v_mad_u32_u24 v6, v0, 15, 12
	v_cndmask_b32_e64 v54, 0, 1, s[4:5]
	v_cmp_gt_u64_e32 vcc, s[10:11], v[6:7]
	v_cmp_ne_u16_sdwa s[4:5], v15, v15 src0_sel:DWORD src1_sel:WORD_1
	s_and_b64 s[4:5], vcc, s[4:5]
	v_mad_u32_u24 v6, v0, 15, 11
	v_cndmask_b32_e64 v55, 0, 1, s[4:5]
	v_cmp_gt_u64_e32 vcc, s[10:11], v[6:7]
	v_cmp_ne_u16_sdwa s[4:5], v14, v15 src0_sel:WORD_1 src1_sel:DWORD
	s_and_b64 s[4:5], vcc, s[4:5]
	v_mad_u32_u24 v6, v0, 15, 10
	v_cndmask_b32_e64 v56, 0, 1, s[4:5]
	v_cmp_gt_u64_e32 vcc, s[10:11], v[6:7]
	v_cmp_ne_u16_sdwa s[4:5], v14, v14 src0_sel:DWORD src1_sel:WORD_1
	;; [unrolled: 10-line block ×6, first 2 shown]
	s_and_b64 s[4:5], vcc, s[4:5]
	v_mad_u32_u24 v6, v0, 15, 1
	v_cndmask_b32_e64 v65, 0, 1, s[4:5]
	v_cmp_gt_u64_e32 vcc, s[10:11], v[6:7]
	v_cmp_ne_u16_e64 s[4:5], v1, v2
	s_and_b64 s[4:5], vcc, s[4:5]
	s_mov_b32 s12, 1
	v_lshlrev_b32_e32 v8, 1, v0
	v_cndmask_b32_e64 v66, 0, 1, s[4:5]
	ds_write_b16 v8, v9
	s_waitcnt lgkmcnt(0)
	s_barrier
	s_waitcnt lgkmcnt(0)
                                        ; implicit-def: $sgpr4_sgpr5
	s_and_saveexec_b64 s[8:9], s[2:3]
	s_cbranch_execz .LBB634_196
; %bb.86:
	v_add_u32_e32 v6, -2, v8
	ds_read_u16 v8, v6
	v_mul_u32_u24_e32 v6, 15, v0
	v_cmp_gt_u64_e32 vcc, s[10:11], v[6:7]
	s_or_b64 s[6:7], s[6:7], exec
	s_waitcnt lgkmcnt(0)
	v_cmp_ne_u16_e64 s[2:3], v8, v1
	s_and_b64 s[2:3], vcc, s[2:3]
	s_and_b64 s[4:5], s[2:3], exec
	s_or_b64 exec, exec, s[8:9]
.LBB634_87:
	v_mov_b32_e32 v68, s12
	s_and_saveexec_b64 s[2:3], s[6:7]
.LBB634_88:
	v_cndmask_b32_e64 v68, 0, 1, s[4:5]
.LBB634_89:
	s_or_b64 exec, exec, s[2:3]
	s_cmp_eq_u64 s[46:47], 0
	v_add3_u32 v6, v66, v68, v65
	s_cselect_b64 s[30:31], -1, 0
	s_cmp_lg_u32 s62, 0
	v_cmp_eq_u32_e64 s[26:27], 0, v66
	v_cmp_eq_u32_e64 s[24:25], 0, v65
	;; [unrolled: 1-line block ×3, first 2 shown]
	v_add3_u32 v83, v6, v64, v63
	v_cmp_eq_u32_e64 s[20:21], 0, v63
	v_cmp_eq_u32_e64 s[18:19], 0, v62
	;; [unrolled: 1-line block ×10, first 2 shown]
	v_cmp_eq_u32_e32 vcc, 0, v17
	v_mbcnt_lo_u32_b32 v82, -1, 0
	v_lshrrev_b32_e32 v80, 6, v0
	v_or_b32_e32 v81, 63, v0
	s_cbranch_scc0 .LBB634_120
; %bb.90:
	v_cndmask_b32_e64 v6, 0, v77, s[26:27]
	v_add_u16_e32 v6, v6, v76
	v_cndmask_b32_e64 v6, 0, v6, s[24:25]
	v_add_u16_e32 v6, v6, v78
	;; [unrolled: 2-line block ×11, first 2 shown]
	v_cndmask_b32_e64 v6, 0, v6, s[4:5]
	v_add3_u32 v7, v83, v62, v61
	v_add_u16_e32 v6, v6, v52
	v_add3_u32 v7, v7, v60, v59
	v_cndmask_b32_e64 v6, 0, v6, s[2:3]
	v_add3_u32 v7, v7, v58, v57
	v_add_u16_e32 v6, v6, v50
	v_add3_u32 v7, v7, v56, v55
	v_cndmask_b32_e32 v6, 0, v6, vcc
	v_add3_u32 v7, v7, v54, v17
	v_add_u16_e32 v6, v6, v79
	v_mbcnt_hi_u32_b32 v19, -1, v82
	v_and_b32_e32 v8, 15, v19
	v_mov_b32_dpp v10, v6 row_shr:1 row_mask:0xf bank_mask:0xf
	v_cmp_eq_u32_e32 vcc, 0, v7
	v_mov_b32_dpp v9, v7 row_shr:1 row_mask:0xf bank_mask:0xf
	v_cndmask_b32_e32 v10, 0, v10, vcc
	v_cmp_eq_u32_e32 vcc, 0, v8
	v_add_u16_e32 v10, v10, v6
	v_cndmask_b32_e64 v9, v9, 0, vcc
	v_add_u32_e32 v7, v9, v7
	v_cndmask_b32_e32 v6, v10, v6, vcc
	v_cmp_eq_u32_e32 vcc, 0, v7
	v_mov_b32_dpp v9, v7 row_shr:2 row_mask:0xf bank_mask:0xf
	v_mov_b32_dpp v10, v6 row_shr:2 row_mask:0xf bank_mask:0xf
	v_cndmask_b32_e32 v10, 0, v10, vcc
	v_cmp_lt_u32_e32 vcc, 1, v8
	v_add_u16_e32 v10, v10, v6
	v_cndmask_b32_e32 v9, 0, v9, vcc
	v_cndmask_b32_e32 v6, v6, v10, vcc
	v_add_u32_e32 v7, v7, v9
	v_cmp_eq_u32_e32 vcc, 0, v7
	v_mov_b32_dpp v10, v6 row_shr:4 row_mask:0xf bank_mask:0xf
	v_mov_b32_dpp v9, v7 row_shr:4 row_mask:0xf bank_mask:0xf
	v_cndmask_b32_e32 v10, 0, v10, vcc
	v_cmp_lt_u32_e32 vcc, 3, v8
	v_add_u16_e32 v10, v10, v6
	v_cndmask_b32_e32 v9, 0, v9, vcc
	v_cndmask_b32_e32 v6, v6, v10, vcc
	v_add_u32_e32 v7, v9, v7
	;; [unrolled: 9-line block ×3, first 2 shown]
	v_bfe_i32 v10, v19, 4, 1
	v_mov_b32_dpp v9, v6 row_bcast:15 row_mask:0xf bank_mask:0xf
	v_mov_b32_dpp v8, v7 row_bcast:15 row_mask:0xf bank_mask:0xf
	v_cmp_eq_u32_e32 vcc, 0, v7
	v_and_b32_e32 v11, 16, v19
	v_cndmask_b32_e32 v9, 0, v9, vcc
	v_and_b32_e32 v8, v10, v8
	v_add_u16_e32 v9, v9, v6
	v_add_u32_e32 v7, v8, v7
	v_cmp_eq_u32_e32 vcc, 0, v11
	v_cndmask_b32_e32 v8, v9, v6, vcc
	v_mov_b32_dpp v6, v7 row_bcast:31 row_mask:0xf bank_mask:0xf
	v_cmp_eq_u32_e32 vcc, 0, v7
	v_cmp_lt_u32_e64 s[28:29], 31, v19
	v_mov_b32_dpp v9, v8 row_bcast:31 row_mask:0xf bank_mask:0xf
	v_cndmask_b32_e64 v6, 0, v6, s[28:29]
	s_and_b64 vcc, s[28:29], vcc
	v_add_u32_e32 v6, v6, v7
	v_cndmask_b32_e32 v7, 0, v9, vcc
	v_add_u16_e32 v7, v7, v8
	v_cmp_eq_u32_e32 vcc, v81, v0
	v_lshlrev_b32_e32 v8, 3, v80
	s_and_saveexec_b64 s[28:29], vcc
	s_cbranch_execz .LBB634_92
; %bb.91:
	ds_write_b32 v8, v6 offset:1040
	ds_write_b16 v8, v7 offset:1044
.LBB634_92:
	s_or_b64 exec, exec, s[28:29]
	v_cmp_gt_u32_e32 vcc, 4, v0
	s_waitcnt lgkmcnt(0)
	s_barrier
	s_and_saveexec_b64 s[34:35], vcc
	s_cbranch_execz .LBB634_94
; %bb.93:
	v_lshlrev_b32_e32 v9, 3, v0
	ds_read_b64 v[10:11], v9 offset:1040
	v_and_b32_e32 v12, 3, v19
	s_mov_b32 s28, 0xffff0000
	s_waitcnt lgkmcnt(0)
	v_mov_b32_dpp v18, v11 row_shr:1 row_mask:0xf bank_mask:0xf
	v_cmp_eq_u32_e32 vcc, 0, v10
	v_mov_b32_dpp v13, v10 row_shr:1 row_mask:0xf bank_mask:0xf
	v_cndmask_b32_e32 v18, 0, v18, vcc
	v_cmp_eq_u32_e32 vcc, 0, v12
	v_add_u16_e32 v18, v18, v11
	v_cndmask_b32_e64 v13, v13, 0, vcc
	v_and_or_b32 v20, v11, s28, v18
	v_add_u32_e32 v10, v13, v10
	v_cndmask_b32_e32 v13, v18, v11, vcc
	v_cndmask_b32_e32 v11, v20, v11, vcc
	v_mov_b32_dpp v18, v10 row_shr:2 row_mask:0xf bank_mask:0xf
	v_cmp_eq_u32_e32 vcc, 0, v10
	v_cmp_lt_u32_e64 s[28:29], 1, v12
	v_mov_b32_dpp v11, v11 row_shr:2 row_mask:0xf bank_mask:0xf
	v_cndmask_b32_e64 v12, 0, v18, s[28:29]
	s_and_b64 vcc, s[28:29], vcc
	v_add_u32_e32 v10, v12, v10
	v_cndmask_b32_e32 v11, 0, v11, vcc
	v_add_u16_e32 v11, v13, v11
	ds_write_b32 v9, v10 offset:1040
	ds_write_b16 v9, v11 offset:1044
.LBB634_94:
	s_or_b64 exec, exec, s[34:35]
	v_cmp_gt_u32_e32 vcc, 64, v0
	v_cmp_lt_u32_e64 s[28:29], 63, v0
	v_mov_b32_e32 v22, 0
	v_mov_b32_e32 v23, 0
	s_waitcnt lgkmcnt(0)
	s_barrier
	s_and_saveexec_b64 s[34:35], s[28:29]
	s_cbranch_execz .LBB634_96
; %bb.95:
	ds_read_b32 v22, v8 offset:1032
	ds_read_u16 v23, v8 offset:1036
	v_cmp_eq_u32_e64 s[28:29], 0, v6
	s_waitcnt lgkmcnt(1)
	v_add_u32_e32 v8, v22, v6
	s_waitcnt lgkmcnt(0)
	v_cndmask_b32_e64 v6, 0, v23, s[28:29]
	v_add_u16_e32 v7, v6, v7
	v_mov_b32_e32 v6, v8
.LBB634_96:
	s_or_b64 exec, exec, s[34:35]
	v_add_u32_e32 v8, -1, v19
	v_and_b32_e32 v9, 64, v19
	v_cmp_lt_i32_e64 s[28:29], v8, v9
	v_cndmask_b32_e64 v8, v8, v19, s[28:29]
	v_and_b32_e32 v7, 0xffff, v7
	v_lshlrev_b32_e32 v8, 2, v8
	ds_bpermute_b32 v24, v8, v6
	ds_bpermute_b32 v25, v8, v7
	v_cmp_eq_u32_e64 s[28:29], 0, v19
	s_and_saveexec_b64 s[34:35], vcc
	s_cbranch_execz .LBB634_119
; %bb.97:
	v_mov_b32_e32 v9, 0
	ds_read_b64 v[6:7], v9 offset:1064
	s_waitcnt lgkmcnt(0)
	v_readfirstlane_b32 s48, v7
	s_and_saveexec_b64 s[40:41], s[28:29]
	s_cbranch_execz .LBB634_99
; %bb.98:
	s_add_i32 s46, s62, 64
	s_mov_b32 s47, 0
	s_lshl_b64 s[50:51], s[46:47], 4
	s_add_u32 s50, s44, s50
	s_addc_u32 s51, s45, s51
	s_and_b32 s57, s48, 0xff000000
	s_mov_b32 s56, s47
	s_and_b32 s65, s48, 0xff0000
	s_mov_b32 s64, s47
	s_or_b64 s[56:57], s[64:65], s[56:57]
	s_and_b32 s65, s48, 0xff00
	s_or_b64 s[56:57], s[56:57], s[64:65]
	s_and_b32 s65, s48, 0xff
	s_or_b64 s[46:47], s[56:57], s[64:65]
	v_mov_b32_e32 v7, s47
	v_mov_b32_e32 v8, 1
	v_pk_mov_b32 v[10:11], s[50:51], s[50:51] op_sel:[0,1]
	;;#ASMSTART
	global_store_dwordx4 v[10:11], v[6:9] off	
s_waitcnt vmcnt(0)
	;;#ASMEND
.LBB634_99:
	s_or_b64 exec, exec, s[40:41]
	v_xad_u32 v18, v19, -1, s62
	v_add_u32_e32 v8, 64, v18
	v_lshlrev_b64 v[10:11], 4, v[8:9]
	v_mov_b32_e32 v7, s45
	v_add_co_u32_e32 v20, vcc, s44, v10
	v_addc_co_u32_e32 v21, vcc, v7, v11, vcc
	;;#ASMSTART
	global_load_dwordx4 v[10:13], v[20:21] off glc	
s_waitcnt vmcnt(0)
	;;#ASMEND
	v_and_b32_e32 v7, 0xffffff, v10
	v_and_b32_e32 v8, 0xff000000, v10
	v_or_b32_e32 v7, v7, v8
	v_and_b32_e32 v8, 0xff, v11
	v_and_b32_e32 v10, 0xff00, v11
	v_or3_b32 v11, 0, v8, v10
	v_or3_b32 v10, v7, 0, 0
	v_cmp_eq_u16_sdwa s[46:47], v12, v9 src0_sel:BYTE_0 src1_sel:DWORD
	s_and_saveexec_b64 s[40:41], s[46:47]
	s_cbranch_execz .LBB634_105
; %bb.100:
	s_mov_b32 s49, 1
	s_mov_b64 s[46:47], 0
	v_mov_b32_e32 v7, 0
.LBB634_101:                            ; =>This Loop Header: Depth=1
                                        ;     Child Loop BB634_102 Depth 2
	s_max_u32 s50, s49, 1
.LBB634_102:                            ;   Parent Loop BB634_101 Depth=1
                                        ; =>  This Inner Loop Header: Depth=2
	s_add_i32 s50, s50, -1
	s_cmp_eq_u32 s50, 0
	s_sleep 1
	s_cbranch_scc0 .LBB634_102
; %bb.103:                              ;   in Loop: Header=BB634_101 Depth=1
	s_cmp_lt_u32 s49, 32
	s_cselect_b64 s[50:51], -1, 0
	s_cmp_lg_u64 s[50:51], 0
	s_addc_u32 s49, s49, 0
	;;#ASMSTART
	global_load_dwordx4 v[10:13], v[20:21] off glc	
s_waitcnt vmcnt(0)
	;;#ASMEND
	v_cmp_ne_u16_sdwa s[50:51], v12, v7 src0_sel:BYTE_0 src1_sel:DWORD
	s_or_b64 s[46:47], s[50:51], s[46:47]
	s_andn2_b64 exec, exec, s[46:47]
	s_cbranch_execnz .LBB634_101
; %bb.104:
	s_or_b64 exec, exec, s[46:47]
	v_and_b32_e32 v11, 0xffff, v11
.LBB634_105:
	s_or_b64 exec, exec, s[40:41]
	v_mov_b32_e32 v7, 2
	v_and_b32_e32 v26, 63, v19
	v_cmp_eq_u16_sdwa s[40:41], v12, v7 src0_sel:BYTE_0 src1_sel:DWORD
	v_lshlrev_b64 v[8:9], v19, -1
	v_cmp_ne_u32_e32 vcc, 63, v26
	v_and_b32_e32 v13, s41, v9
	v_addc_co_u32_e32 v21, vcc, 0, v19, vcc
	v_or_b32_e32 v13, 0x80000000, v13
	v_lshlrev_b32_e32 v27, 2, v21
	v_and_b32_e32 v20, s40, v8
	v_ffbl_b32_e32 v13, v13
	ds_bpermute_b32 v21, v27, v11
	v_add_u32_e32 v13, 32, v13
	v_ffbl_b32_e32 v20, v20
	v_min_u32_e32 v13, v20, v13
	ds_bpermute_b32 v20, v27, v10
	v_cmp_eq_u32_e32 vcc, 0, v10
	s_waitcnt lgkmcnt(1)
	v_cndmask_b32_e32 v21, 0, v21, vcc
	v_add_u16_e32 v21, v21, v11
	v_cmp_lt_u32_e32 vcc, v26, v13
	v_cndmask_b32_e32 v11, v11, v21, vcc
	s_waitcnt lgkmcnt(0)
	v_cndmask_b32_e32 v20, 0, v20, vcc
	v_cmp_gt_u32_e32 vcc, 62, v26
	v_cndmask_b32_e64 v21, 0, 1, vcc
	v_lshlrev_b32_e32 v21, 1, v21
	v_add_lshl_u32 v28, v21, v19, 2
	ds_bpermute_b32 v21, v28, v11
	v_add_u32_e32 v10, v20, v10
	ds_bpermute_b32 v20, v28, v10
	v_cmp_eq_u32_e32 vcc, 0, v10
	v_add_u32_e32 v29, 2, v26
	s_waitcnt lgkmcnt(1)
	v_cndmask_b32_e32 v21, 0, v21, vcc
	v_add_u16_e32 v21, v21, v11
	v_cmp_gt_u32_e32 vcc, v29, v13
	v_cndmask_b32_e32 v11, v21, v11, vcc
	s_waitcnt lgkmcnt(0)
	v_cndmask_b32_e64 v20, v20, 0, vcc
	v_cmp_gt_u32_e32 vcc, 60, v26
	v_cndmask_b32_e64 v21, 0, 1, vcc
	v_lshlrev_b32_e32 v21, 2, v21
	v_add_lshl_u32 v30, v21, v19, 2
	ds_bpermute_b32 v21, v30, v11
	v_add_u32_e32 v10, v10, v20
	ds_bpermute_b32 v20, v30, v10
	v_cmp_eq_u32_e32 vcc, 0, v10
	v_add_u32_e32 v31, 4, v26
	s_waitcnt lgkmcnt(1)
	v_cndmask_b32_e32 v21, 0, v21, vcc
	v_add_u16_e32 v21, v11, v21
	v_cmp_gt_u32_e32 vcc, v31, v13
	v_cndmask_b32_e32 v11, v21, v11, vcc
	s_waitcnt lgkmcnt(0)
	v_cndmask_b32_e64 v20, v20, 0, vcc
	v_cmp_gt_u32_e32 vcc, 56, v26
	v_cndmask_b32_e64 v21, 0, 1, vcc
	v_lshlrev_b32_e32 v21, 3, v21
	v_add_lshl_u32 v32, v21, v19, 2
	ds_bpermute_b32 v21, v32, v11
	v_add_u32_e32 v10, v10, v20
	ds_bpermute_b32 v20, v32, v10
	v_cmp_eq_u32_e32 vcc, 0, v10
	v_add_u32_e32 v33, 8, v26
	s_waitcnt lgkmcnt(1)
	v_cndmask_b32_e32 v21, 0, v21, vcc
	v_add_u16_e32 v21, v11, v21
	v_cmp_gt_u32_e32 vcc, v33, v13
	v_cndmask_b32_e32 v11, v21, v11, vcc
	s_waitcnt lgkmcnt(0)
	v_cndmask_b32_e64 v20, v20, 0, vcc
	v_cmp_gt_u32_e32 vcc, 48, v26
	v_cndmask_b32_e64 v21, 0, 1, vcc
	v_lshlrev_b32_e32 v21, 4, v21
	v_add_lshl_u32 v35, v21, v19, 2
	ds_bpermute_b32 v21, v35, v11
	v_add_u32_e32 v10, v10, v20
	ds_bpermute_b32 v20, v35, v10
	v_cmp_eq_u32_e32 vcc, 0, v10
	v_add_u32_e32 v37, 16, v26
	s_waitcnt lgkmcnt(1)
	v_cndmask_b32_e32 v21, 0, v21, vcc
	v_add_u16_e32 v21, v11, v21
	v_cmp_gt_u32_e32 vcc, v37, v13
	v_cndmask_b32_e32 v11, v21, v11, vcc
	s_waitcnt lgkmcnt(0)
	v_cndmask_b32_e64 v20, v20, 0, vcc
	v_cmp_gt_u32_e32 vcc, 32, v26
	v_cndmask_b32_e64 v21, 0, 1, vcc
	v_lshlrev_b32_e32 v21, 5, v21
	v_add_lshl_u32 v38, v21, v19, 2
	ds_bpermute_b32 v19, v38, v11
	v_add_u32_e32 v10, v10, v20
	ds_bpermute_b32 v20, v38, v10
	v_add_u32_e32 v39, 32, v26
	v_cmp_eq_u32_e32 vcc, 0, v10
	s_waitcnt lgkmcnt(1)
	v_cndmask_b32_e32 v19, 0, v19, vcc
	v_cmp_gt_u32_e32 vcc, v39, v13
	v_cndmask_b32_e64 v13, v19, 0, vcc
	v_add_u16_e32 v11, v11, v13
	s_waitcnt lgkmcnt(0)
	v_cndmask_b32_e64 v13, v20, 0, vcc
	v_add_u32_e32 v10, v13, v10
	v_mov_b32_e32 v19, 0
	s_branch .LBB634_107
.LBB634_106:                            ;   in Loop: Header=BB634_107 Depth=1
	s_or_b64 exec, exec, s[40:41]
	v_cmp_eq_u16_sdwa s[40:41], v12, v7 src0_sel:BYTE_0 src1_sel:DWORD
	ds_bpermute_b32 v21, v27, v11
	v_and_b32_e32 v13, s41, v9
	v_or_b32_e32 v13, 0x80000000, v13
	v_and_b32_e32 v20, s40, v8
	v_ffbl_b32_e32 v13, v13
	v_add_u32_e32 v13, 32, v13
	v_ffbl_b32_e32 v20, v20
	v_cmp_eq_u32_e32 vcc, 0, v10
	v_min_u32_e32 v13, v20, v13
	ds_bpermute_b32 v20, v27, v10
	s_waitcnt lgkmcnt(1)
	v_cndmask_b32_e32 v21, 0, v21, vcc
	v_add_u16_e32 v21, v21, v11
	v_cmp_lt_u32_e32 vcc, v26, v13
	v_cndmask_b32_e32 v11, v11, v21, vcc
	ds_bpermute_b32 v21, v28, v11
	s_waitcnt lgkmcnt(1)
	v_cndmask_b32_e32 v20, 0, v20, vcc
	v_add_u32_e32 v10, v20, v10
	v_cmp_eq_u32_e32 vcc, 0, v10
	ds_bpermute_b32 v20, v28, v10
	s_waitcnt lgkmcnt(1)
	v_cndmask_b32_e32 v21, 0, v21, vcc
	v_add_u16_e32 v21, v21, v11
	v_cmp_gt_u32_e32 vcc, v29, v13
	v_cndmask_b32_e32 v11, v21, v11, vcc
	ds_bpermute_b32 v21, v30, v11
	s_waitcnt lgkmcnt(1)
	v_cndmask_b32_e64 v20, v20, 0, vcc
	v_add_u32_e32 v10, v10, v20
	v_cmp_eq_u32_e32 vcc, 0, v10
	ds_bpermute_b32 v20, v30, v10
	s_waitcnt lgkmcnt(1)
	v_cndmask_b32_e32 v21, 0, v21, vcc
	v_add_u16_e32 v21, v11, v21
	v_cmp_gt_u32_e32 vcc, v31, v13
	v_cndmask_b32_e32 v11, v21, v11, vcc
	ds_bpermute_b32 v21, v32, v11
	s_waitcnt lgkmcnt(1)
	v_cndmask_b32_e64 v20, v20, 0, vcc
	v_add_u32_e32 v10, v10, v20
	ds_bpermute_b32 v20, v32, v10
	v_cmp_eq_u32_e32 vcc, 0, v10
	s_waitcnt lgkmcnt(1)
	v_cndmask_b32_e32 v21, 0, v21, vcc
	v_add_u16_e32 v21, v11, v21
	v_cmp_gt_u32_e32 vcc, v33, v13
	v_cndmask_b32_e32 v11, v21, v11, vcc
	ds_bpermute_b32 v21, v35, v11
	s_waitcnt lgkmcnt(1)
	v_cndmask_b32_e64 v20, v20, 0, vcc
	v_add_u32_e32 v10, v10, v20
	ds_bpermute_b32 v20, v35, v10
	v_cmp_eq_u32_e32 vcc, 0, v10
	s_waitcnt lgkmcnt(1)
	v_cndmask_b32_e32 v21, 0, v21, vcc
	v_add_u16_e32 v21, v11, v21
	v_cmp_gt_u32_e32 vcc, v37, v13
	v_cndmask_b32_e32 v11, v21, v11, vcc
	ds_bpermute_b32 v21, v38, v11
	s_waitcnt lgkmcnt(1)
	v_cndmask_b32_e64 v20, v20, 0, vcc
	v_add_u32_e32 v10, v10, v20
	ds_bpermute_b32 v20, v38, v10
	v_cmp_eq_u32_e32 vcc, 0, v10
	s_waitcnt lgkmcnt(1)
	v_cndmask_b32_e32 v21, 0, v21, vcc
	v_cmp_gt_u32_e32 vcc, v39, v13
	v_cndmask_b32_e64 v13, v21, 0, vcc
	v_add_u16_e32 v11, v11, v13
	s_waitcnt lgkmcnt(0)
	v_cndmask_b32_e64 v13, v20, 0, vcc
	v_cmp_eq_u32_e32 vcc, 0, v36
	v_cndmask_b32_e32 v11, 0, v11, vcc
	v_subrev_u32_e32 v18, 64, v18
	v_add3_u32 v10, v10, v36, v13
	v_add_u16_e32 v11, v11, v34
.LBB634_107:                            ; =>This Loop Header: Depth=1
                                        ;     Child Loop BB634_110 Depth 2
                                        ;       Child Loop BB634_111 Depth 3
	v_cmp_ne_u16_sdwa s[40:41], v12, v7 src0_sel:BYTE_0 src1_sel:DWORD
	v_mov_b32_e32 v34, v11
	v_cndmask_b32_e64 v11, 0, 1, s[40:41]
	;;#ASMSTART
	;;#ASMEND
	v_cmp_ne_u32_e32 vcc, 0, v11
	s_cmp_lg_u64 vcc, exec
	v_mov_b32_e32 v36, v10
	s_cbranch_scc1 .LBB634_114
; %bb.108:                              ;   in Loop: Header=BB634_107 Depth=1
	v_lshlrev_b64 v[10:11], 4, v[18:19]
	v_mov_b32_e32 v12, s45
	v_add_co_u32_e32 v20, vcc, s44, v10
	v_addc_co_u32_e32 v21, vcc, v12, v11, vcc
	;;#ASMSTART
	global_load_dwordx4 v[10:13], v[20:21] off glc	
s_waitcnt vmcnt(0)
	;;#ASMEND
	v_and_b32_e32 v13, 0xffffff, v10
	v_and_b32_e32 v10, 0xff000000, v10
	v_or_b32_e32 v10, v13, v10
	v_and_b32_e32 v13, 0xff, v11
	v_and_b32_e32 v11, 0xff00, v11
	v_or3_b32 v11, 0, v13, v11
	v_or3_b32 v10, v10, 0, 0
	v_cmp_eq_u16_sdwa s[46:47], v12, v19 src0_sel:BYTE_0 src1_sel:DWORD
	s_and_saveexec_b64 s[40:41], s[46:47]
	s_cbranch_execz .LBB634_106
; %bb.109:                              ;   in Loop: Header=BB634_107 Depth=1
	s_mov_b32 s49, 1
	s_mov_b64 s[46:47], 0
.LBB634_110:                            ;   Parent Loop BB634_107 Depth=1
                                        ; =>  This Loop Header: Depth=2
                                        ;       Child Loop BB634_111 Depth 3
	s_max_u32 s50, s49, 1
.LBB634_111:                            ;   Parent Loop BB634_107 Depth=1
                                        ;     Parent Loop BB634_110 Depth=2
                                        ; =>    This Inner Loop Header: Depth=3
	s_add_i32 s50, s50, -1
	s_cmp_eq_u32 s50, 0
	s_sleep 1
	s_cbranch_scc0 .LBB634_111
; %bb.112:                              ;   in Loop: Header=BB634_110 Depth=2
	s_cmp_lt_u32 s49, 32
	s_cselect_b64 s[50:51], -1, 0
	s_cmp_lg_u64 s[50:51], 0
	s_addc_u32 s49, s49, 0
	;;#ASMSTART
	global_load_dwordx4 v[10:13], v[20:21] off glc	
s_waitcnt vmcnt(0)
	;;#ASMEND
	v_cmp_ne_u16_sdwa s[50:51], v12, v19 src0_sel:BYTE_0 src1_sel:DWORD
	s_or_b64 s[46:47], s[50:51], s[46:47]
	s_andn2_b64 exec, exec, s[46:47]
	s_cbranch_execnz .LBB634_110
; %bb.113:                              ;   in Loop: Header=BB634_107 Depth=1
	s_or_b64 exec, exec, s[46:47]
	v_and_b32_e32 v11, 0xffff, v11
	s_branch .LBB634_106
.LBB634_114:                            ;   in Loop: Header=BB634_107 Depth=1
                                        ; implicit-def: $vgpr11
                                        ; implicit-def: $vgpr10
                                        ; implicit-def: $vgpr12
	s_cbranch_execz .LBB634_107
; %bb.115:
	s_and_saveexec_b64 s[40:41], s[28:29]
	s_cbranch_execz .LBB634_117
; %bb.116:
	s_mov_b32 s47, 0
	v_cmp_eq_u32_e32 vcc, 0, v6
	s_add_i32 s46, s62, 64
	v_cndmask_b32_e32 v7, 0, v34, vcc
	s_lshl_b64 s[46:47], s[46:47], 4
	v_add_u16_e32 v7, s48, v7
	s_add_u32 s46, s44, s46
	s_addc_u32 s47, s45, s47
	v_and_b32_e32 v9, 0xff00, v7
	v_add_u32_e32 v8, v36, v6
	v_mov_b32_e32 v11, 0
	v_or_b32_sdwa v9, v9, v7 dst_sel:DWORD dst_unused:UNUSED_PAD src0_sel:DWORD src1_sel:BYTE_0
	v_mov_b32_e32 v10, 2
	v_pk_mov_b32 v[12:13], s[46:47], s[46:47] op_sel:[0,1]
	;;#ASMSTART
	global_store_dwordx4 v[12:13], v[8:11] off	
s_waitcnt vmcnt(0)
	;;#ASMEND
	v_mov_b32_e32 v7, s48
	s_movk_i32 s46, 0x400
	ds_write_b16 v11, v7 offset:1028
	v_add_u32_e64 v7, s46, 0
	ds_write2_b32 v7, v6, v36 offset1:2
	ds_write_b16 v11, v34 offset:1036
.LBB634_117:
	s_or_b64 exec, exec, s[40:41]
	s_and_b64 exec, exec, s[0:1]
	s_cbranch_execz .LBB634_119
; %bb.118:
	v_mov_b32_e32 v6, 0
	ds_write_b32 v6, v36 offset:1064
	ds_write_b16 v6, v34 offset:1068
.LBB634_119:
	s_or_b64 exec, exec, s[34:35]
	v_mov_b32_e32 v8, 0
	s_waitcnt lgkmcnt(0)
	s_barrier
	ds_read_b64 v[6:7], v8 offset:1064
	v_cndmask_b32_e64 v10, v24, v22, s[28:29]
	v_cmp_eq_u32_e32 vcc, 0, v10
	v_cndmask_b32_e64 v9, v25, v23, s[28:29]
	s_waitcnt lgkmcnt(0)
	v_cndmask_b32_e32 v11, 0, v7, vcc
	v_add_u16_e32 v9, v11, v9
	v_cndmask_b32_e64 v7, v9, v7, s[0:1]
	v_cndmask_b32_e64 v9, v10, 0, s[0:1]
	v_cmp_eq_u32_e32 vcc, 0, v68
	v_add_u32_e32 v48, v6, v9
	v_cndmask_b32_e32 v6, 0, v7, vcc
	v_add_u16_e32 v47, v6, v77
	v_cndmask_b32_e64 v6, 0, v47, s[26:27]
	v_add_u16_e32 v45, v6, v76
	v_cndmask_b32_e64 v6, 0, v45, s[24:25]
	;; [unrolled: 2-line block ×8, first 2 shown]
	v_add_u32_e32 v46, v48, v68
	v_add_u16_e32 v31, v6, v71
	v_add_u32_e32 v44, v46, v66
	v_cndmask_b32_e64 v6, 0, v31, s[10:11]
	v_add_u32_e32 v42, v44, v65
	v_add_u16_e32 v29, v6, v53
	v_add_u32_e32 v40, v42, v64
	v_cndmask_b32_e64 v6, 0, v29, s[8:9]
	;; [unrolled: 4-line block ×3, first 2 shown]
	v_and_b32_e32 v49, 0xffff, v7
	v_add_u32_e32 v34, v36, v61
	v_add_u16_e32 v25, v6, v51
	s_barrier
	ds_read_b128 v[6:9], v8 offset:1024
	v_add_u32_e32 v32, v34, v60
	v_add_u32_e32 v30, v32, v59
	;; [unrolled: 1-line block ×4, first 2 shown]
	v_cndmask_b32_e64 v10, 0, v25, s[4:5]
	v_add_u32_e32 v24, v26, v56
	v_add_u16_e32 v23, v10, v52
	s_waitcnt lgkmcnt(0)
	v_cmp_eq_u32_e32 vcc, 0, v6
	v_add_u32_e32 v22, v24, v55
	v_cndmask_b32_e64 v10, 0, v23, s[2:3]
	v_cndmask_b32_e32 v9, 0, v9, vcc
	v_add_u32_e32 v20, v22, v54
	v_add_u16_e32 v21, v10, v50
	v_add_u32_e32 v67, v9, v7
	s_branch .LBB634_132
.LBB634_120:
                                        ; implicit-def: $vgpr6
                                        ; implicit-def: $vgpr67
                                        ; implicit-def: $vgpr48_vgpr49
                                        ; implicit-def: $vgpr46_vgpr47
                                        ; implicit-def: $vgpr44_vgpr45
                                        ; implicit-def: $vgpr42_vgpr43
                                        ; implicit-def: $vgpr40_vgpr41
                                        ; implicit-def: $vgpr38_vgpr39
                                        ; implicit-def: $vgpr36_vgpr37
                                        ; implicit-def: $vgpr34_vgpr35
                                        ; implicit-def: $vgpr32_vgpr33
                                        ; implicit-def: $vgpr30_vgpr31
                                        ; implicit-def: $vgpr28_vgpr29
                                        ; implicit-def: $vgpr26_vgpr27
                                        ; implicit-def: $vgpr24_vgpr25
                                        ; implicit-def: $vgpr22_vgpr23
                                        ; implicit-def: $vgpr20_vgpr21
	s_cbranch_execz .LBB634_132
; %bb.121:
	s_and_b64 s[2:3], s[30:31], exec
	s_cselect_b32 s3, 0, s61
	s_cselect_b32 s2, 0, s60
	s_cmp_eq_u64 s[2:3], 0
	v_mov_b32_e32 v7, v77
	s_cbranch_scc1 .LBB634_123
; %bb.122:
	v_mov_b32_e32 v6, 0
	global_load_ushort v7, v6, s[2:3]
.LBB634_123:
	v_cmp_eq_u32_e64 s[2:3], 0, v66
	v_cndmask_b32_e64 v6, 0, v77, s[2:3]
	v_add_u16_e32 v6, v6, v76
	v_cmp_eq_u32_e64 s[4:5], 0, v65
	v_cndmask_b32_e64 v6, 0, v6, s[4:5]
	v_add_u16_e32 v6, v6, v78
	;; [unrolled: 3-line block ×11, first 2 shown]
	v_cmp_eq_u32_e64 s[24:25], 0, v55
	v_cndmask_b32_e64 v6, 0, v6, s[24:25]
	v_add3_u32 v8, v83, v62, v61
	v_add_u16_e32 v6, v6, v52
	v_cmp_eq_u32_e32 vcc, 0, v54
	v_add3_u32 v8, v8, v60, v59
	v_cndmask_b32_e32 v6, 0, v6, vcc
	v_add3_u32 v8, v8, v58, v57
	v_add_u16_e32 v6, v6, v50
	v_cmp_eq_u32_e64 s[26:27], 0, v17
	v_add3_u32 v8, v8, v56, v55
	v_cndmask_b32_e64 v6, 0, v6, s[26:27]
	v_add3_u32 v8, v8, v54, v17
	v_add_u16_e32 v9, v6, v79
	v_mbcnt_hi_u32_b32 v6, -1, v82
	v_and_b32_e32 v10, 15, v6
	v_mov_b32_dpp v12, v9 row_shr:1 row_mask:0xf bank_mask:0xf
	v_cmp_eq_u32_e64 s[26:27], 0, v8
	v_mov_b32_dpp v11, v8 row_shr:1 row_mask:0xf bank_mask:0xf
	v_cndmask_b32_e64 v12, 0, v12, s[26:27]
	v_cmp_eq_u32_e64 s[26:27], 0, v10
	v_add_u16_e32 v12, v12, v9
	v_cndmask_b32_e64 v11, v11, 0, s[26:27]
	v_add_u32_e32 v8, v11, v8
	v_cndmask_b32_e64 v9, v12, v9, s[26:27]
	v_cmp_eq_u32_e64 s[26:27], 0, v8
	v_mov_b32_dpp v11, v8 row_shr:2 row_mask:0xf bank_mask:0xf
	v_mov_b32_dpp v12, v9 row_shr:2 row_mask:0xf bank_mask:0xf
	v_cndmask_b32_e64 v12, 0, v12, s[26:27]
	v_cmp_lt_u32_e64 s[26:27], 1, v10
	v_add_u16_e32 v12, v12, v9
	v_cndmask_b32_e64 v11, 0, v11, s[26:27]
	v_cndmask_b32_e64 v9, v9, v12, s[26:27]
	v_add_u32_e32 v8, v8, v11
	v_cmp_eq_u32_e64 s[26:27], 0, v8
	v_mov_b32_dpp v12, v9 row_shr:4 row_mask:0xf bank_mask:0xf
	v_mov_b32_dpp v11, v8 row_shr:4 row_mask:0xf bank_mask:0xf
	v_cndmask_b32_e64 v12, 0, v12, s[26:27]
	v_cmp_lt_u32_e64 s[26:27], 3, v10
	v_add_u16_e32 v12, v12, v9
	v_cndmask_b32_e64 v11, 0, v11, s[26:27]
	v_cndmask_b32_e64 v9, v9, v12, s[26:27]
	v_add_u32_e32 v8, v11, v8
	;; [unrolled: 9-line block ×3, first 2 shown]
	v_bfe_i32 v12, v6, 4, 1
	v_mov_b32_dpp v11, v9 row_bcast:15 row_mask:0xf bank_mask:0xf
	v_mov_b32_dpp v10, v8 row_bcast:15 row_mask:0xf bank_mask:0xf
	v_cmp_eq_u32_e64 s[26:27], 0, v8
	v_and_b32_e32 v13, 16, v6
	v_cndmask_b32_e64 v11, 0, v11, s[26:27]
	v_and_b32_e32 v10, v12, v10
	v_add_u16_e32 v11, v11, v9
	v_add_u32_e32 v8, v10, v8
	v_cmp_eq_u32_e64 s[26:27], 0, v13
	v_cndmask_b32_e64 v9, v11, v9, s[26:27]
	v_mov_b32_dpp v10, v8 row_bcast:31 row_mask:0xf bank_mask:0xf
	v_cmp_eq_u32_e64 s[26:27], 0, v8
	v_cmp_lt_u32_e64 s[28:29], 31, v6
	v_mov_b32_dpp v11, v9 row_bcast:31 row_mask:0xf bank_mask:0xf
	v_cndmask_b32_e64 v10, 0, v10, s[28:29]
	s_and_b64 s[26:27], s[28:29], s[26:27]
	v_add_u32_e32 v8, v10, v8
	v_cndmask_b32_e64 v10, 0, v11, s[26:27]
	v_add_u16_e32 v9, v10, v9
	v_cmp_eq_u32_e64 s[26:27], v81, v0
	s_and_saveexec_b64 s[28:29], s[26:27]
	s_cbranch_execz .LBB634_125
; %bb.124:
	v_lshlrev_b32_e32 v10, 3, v80
	ds_write_b32 v10, v8 offset:1040
	ds_write_b16 v10, v9 offset:1044
.LBB634_125:
	s_or_b64 exec, exec, s[28:29]
	v_cmp_gt_u32_e64 s[26:27], 4, v0
	s_waitcnt lgkmcnt(0)
	s_barrier
	s_and_saveexec_b64 s[34:35], s[26:27]
	s_cbranch_execz .LBB634_127
; %bb.126:
	v_lshlrev_b32_e32 v12, 3, v0
	ds_read_b64 v[10:11], v12 offset:1040
	v_and_b32_e32 v13, 3, v6
	s_mov_b32 s28, 0xffff0000
	s_waitcnt lgkmcnt(0)
	v_mov_b32_dpp v19, v11 row_shr:1 row_mask:0xf bank_mask:0xf
	v_cmp_eq_u32_e64 s[26:27], 0, v10
	v_mov_b32_dpp v18, v10 row_shr:1 row_mask:0xf bank_mask:0xf
	v_cndmask_b32_e64 v19, 0, v19, s[26:27]
	v_cmp_eq_u32_e64 s[26:27], 0, v13
	v_add_u16_e32 v19, v19, v11
	v_cndmask_b32_e64 v18, v18, 0, s[26:27]
	v_and_or_b32 v20, v11, s28, v19
	v_add_u32_e32 v10, v18, v10
	v_cndmask_b32_e64 v18, v19, v11, s[26:27]
	v_cndmask_b32_e64 v11, v20, v11, s[26:27]
	v_mov_b32_dpp v19, v10 row_shr:2 row_mask:0xf bank_mask:0xf
	v_cmp_eq_u32_e64 s[26:27], 0, v10
	v_cmp_lt_u32_e64 s[28:29], 1, v13
	v_mov_b32_dpp v11, v11 row_shr:2 row_mask:0xf bank_mask:0xf
	v_cndmask_b32_e64 v13, 0, v19, s[28:29]
	s_and_b64 s[26:27], s[28:29], s[26:27]
	v_add_u32_e32 v10, v13, v10
	v_cndmask_b32_e64 v11, 0, v11, s[26:27]
	v_add_u16_e32 v11, v18, v11
	ds_write_b32 v12, v10 offset:1040
	ds_write_b16 v12, v11 offset:1044
.LBB634_127:
	s_or_b64 exec, exec, s[34:35]
	v_cmp_lt_u32_e64 s[26:27], 63, v0
	v_mov_b32_e32 v10, 0
	v_mov_b32_e32 v11, 0
	s_waitcnt vmcnt(0)
	v_mov_b32_e32 v12, v7
	s_waitcnt lgkmcnt(0)
	s_barrier
	s_and_saveexec_b64 s[28:29], s[26:27]
	s_cbranch_execz .LBB634_129
; %bb.128:
	v_lshlrev_b32_e32 v12, 3, v80
	ds_read_b32 v11, v12 offset:1032
	ds_read_u16 v12, v12 offset:1036
	s_waitcnt lgkmcnt(1)
	v_cmp_eq_u32_e64 s[26:27], 0, v11
	v_cndmask_b32_e64 v13, 0, v7, s[26:27]
	s_waitcnt lgkmcnt(0)
	v_add_u16_e32 v12, v13, v12
.LBB634_129:
	s_or_b64 exec, exec, s[28:29]
	v_cmp_eq_u32_e64 s[26:27], 0, v8
	v_add_u32_e32 v13, v11, v8
	v_cndmask_b32_e64 v8, 0, v12, s[26:27]
	v_add_u16_e32 v8, v8, v9
	v_add_u32_e32 v9, -1, v6
	v_and_b32_e32 v18, 64, v6
	v_cmp_lt_i32_e64 s[26:27], v9, v18
	v_cndmask_b32_e64 v9, v9, v6, s[26:27]
	v_lshlrev_b32_e32 v9, 2, v9
	ds_bpermute_b32 v8, v9, v8
	ds_bpermute_b32 v13, v9, v13
	v_cmp_eq_u32_e64 s[26:27], 0, v6
	s_waitcnt lgkmcnt(1)
	v_cndmask_b32_e64 v8, v8, v12, s[26:27]
	s_waitcnt lgkmcnt(0)
	v_cndmask_b32_e64 v6, v13, v11, s[26:27]
	v_cndmask_b32_e64 v8, v8, v7, s[0:1]
	v_cmp_eq_u32_e64 s[26:27], 0, v68
	v_cndmask_b32_e64 v48, v6, 0, s[0:1]
	v_cndmask_b32_e64 v6, 0, v8, s[26:27]
	v_add_u16_e32 v47, v6, v77
	v_cndmask_b32_e64 v6, 0, v47, s[2:3]
	v_add_u16_e32 v45, v6, v76
	v_cndmask_b32_e64 v6, 0, v45, s[4:5]
	v_add_u16_e32 v43, v6, v78
	v_cndmask_b32_e64 v6, 0, v43, s[6:7]
	v_add_u16_e32 v41, v6, v74
	v_cndmask_b32_e64 v6, 0, v41, s[8:9]
	v_add_u16_e32 v39, v6, v75
	v_cndmask_b32_e64 v6, 0, v39, s[10:11]
	v_add_u16_e32 v37, v6, v72
	v_cndmask_b32_e64 v6, 0, v37, s[12:13]
	v_add_u16_e32 v35, v6, v73
	v_cndmask_b32_e64 v6, 0, v35, s[14:15]
	v_add_u16_e32 v33, v6, v70
	v_cndmask_b32_e64 v6, 0, v33, s[16:17]
	v_add_u16_e32 v31, v6, v71
	v_cndmask_b32_e64 v6, 0, v31, s[18:19]
	v_add_u32_e32 v46, v48, v68
	v_add_u16_e32 v29, v6, v53
	v_add_u32_e32 v44, v46, v66
	v_cndmask_b32_e64 v6, 0, v29, s[20:21]
	v_add_u32_e32 v42, v44, v65
	v_add_u16_e32 v27, v6, v69
	v_add_u32_e32 v40, v42, v64
	;; [unrolled: 4-line block ×3, first 2 shown]
	v_cndmask_b32_e64 v6, 0, v25, s[24:25]
	v_add_u32_e32 v34, v36, v61
	v_add_u16_e32 v23, v6, v52
	ds_read_b32 v6, v10 offset:1064
	v_add_u32_e32 v32, v34, v60
	v_and_b32_e32 v49, 0xffff, v8
	ds_read_u16 v8, v10 offset:1068
	v_add_u32_e32 v30, v32, v59
	v_add_u32_e32 v28, v30, v58
	;; [unrolled: 1-line block ×4, first 2 shown]
	v_cndmask_b32_e32 v9, 0, v23, vcc
	s_waitcnt lgkmcnt(1)
	v_cmp_eq_u32_e32 vcc, 0, v6
	v_add_u32_e32 v22, v24, v55
	v_cndmask_b32_e32 v7, 0, v7, vcc
	v_add_u32_e32 v20, v22, v54
	v_add_u16_e32 v21, v9, v50
	s_waitcnt lgkmcnt(0)
	v_add_u16_e32 v67, v7, v8
	s_and_saveexec_b64 s[2:3], s[0:1]
	s_cbranch_execz .LBB634_131
; %bb.130:
	s_add_u32 s4, s44, 0x400
	s_addc_u32 s5, s45, 0
	v_and_b32_e32 v7, 0xff00, v67
	v_mov_b32_e32 v9, 0
	v_or_b32_sdwa v7, v7, v67 dst_sel:DWORD dst_unused:UNUSED_PAD src0_sel:DWORD src1_sel:BYTE_0
	v_mov_b32_e32 v8, 2
	v_pk_mov_b32 v[10:11], s[4:5], s[4:5] op_sel:[0,1]
	;;#ASMSTART
	global_store_dwordx4 v[10:11], v[6:9] off	
s_waitcnt vmcnt(0)
	;;#ASMEND
.LBB634_131:
	s_or_b64 exec, exec, s[2:3]
	v_mov_b32_e32 v8, 0
.LBB634_132:
	s_and_b64 s[2:3], s[30:31], exec
	s_cselect_b32 s3, 0, s59
	s_cselect_b32 s2, 0, s58
	s_cmp_eq_u64 s[2:3], 0
	v_pk_mov_b32 v[18:19], 0, 0
	s_barrier
	s_cbranch_scc1 .LBB634_134
; %bb.133:
	v_mov_b32_e32 v7, 0
	global_load_dwordx2 v[18:19], v7, s[2:3]
.LBB634_134:
	s_waitcnt vmcnt(0)
	v_lshlrev_b64 v[50:51], 1, v[18:19]
	v_mov_b32_e32 v7, s43
	v_add_co_u32_e32 v10, vcc, s42, v50
	v_mov_b32_e32 v9, 0
	v_addc_co_u32_e32 v11, vcc, v7, v51, vcc
	v_lshlrev_b64 v[52:53], 1, v[8:9]
	v_add_co_u32_e32 v7, vcc, v10, v52
	v_addc_co_u32_e32 v9, vcc, v11, v53, vcc
	v_cmp_eq_u32_e32 vcc, 0, v68
	v_cndmask_b32_e64 v10, 1, 2, vcc
	v_cmp_eq_u32_e32 vcc, 0, v66
	v_cndmask_b32_e64 v11, 1, 2, vcc
	v_cmp_eq_u32_e32 vcc, 0, v65
	v_and_b32_e32 v10, v11, v10
	v_cndmask_b32_e64 v11, 1, 2, vcc
	v_cmp_eq_u32_e32 vcc, 0, v64
	v_and_b32_e32 v10, v10, v11
	;; [unrolled: 3-line block ×13, first 2 shown]
	v_cndmask_b32_e64 v11, 1, 2, vcc
	s_movk_i32 s34, 0x100
	v_and_b32_e32 v10, v10, v11
	v_cmp_gt_u32_e32 vcc, s34, v6
	v_cmp_ne_u32_e64 s[30:31], 0, v68
	v_cmp_ne_u32_e64 s[28:29], 0, v66
	;; [unrolled: 1-line block ×15, first 2 shown]
	s_mov_b64 s[40:41], -1
	v_cmp_gt_i16_e64 s[34:35], 2, v10
	s_cbranch_vccz .LBB634_141
; %bb.135:
	s_and_saveexec_b64 s[40:41], s[34:35]
	s_cbranch_execz .LBB634_140
; %bb.136:
	v_cmp_ne_u16_e32 vcc, 1, v10
	s_mov_b64 s[42:43], 0
	s_and_saveexec_b64 s[34:35], vcc
	s_xor_b64 s[34:35], exec, s[34:35]
	s_cbranch_execnz .LBB634_197
; %bb.137:
	s_andn2_saveexec_b64 s[34:35], s[34:35]
	s_cbranch_execnz .LBB634_213
.LBB634_138:
	s_or_b64 exec, exec, s[34:35]
	s_and_b64 exec, exec, s[42:43]
	s_cbranch_execz .LBB634_140
.LBB634_139:
	v_sub_u32_e32 v12, v20, v8
	v_mov_b32_e32 v13, 0
	v_lshlrev_b64 v[12:13], 1, v[12:13]
	v_add_co_u32_e32 v12, vcc, v7, v12
	v_addc_co_u32_e32 v13, vcc, v9, v13, vcc
	global_store_short_d16_hi v[12:13], v16, off
.LBB634_140:
	s_or_b64 exec, exec, s[40:41]
	s_mov_b64 s[40:41], 0
.LBB634_141:
	s_and_b64 vcc, exec, s[40:41]
	s_cbranch_vccz .LBB634_163
; %bb.142:
	v_cmp_gt_i16_e32 vcc, 2, v10
	s_and_saveexec_b64 s[34:35], vcc
	s_cbranch_execz .LBB634_147
; %bb.143:
	v_cmp_ne_u16_e32 vcc, 1, v10
	s_mov_b64 s[42:43], 0
	s_and_saveexec_b64 s[40:41], vcc
	s_xor_b64 s[40:41], exec, s[40:41]
	s_cbranch_execnz .LBB634_214
; %bb.144:
	s_andn2_saveexec_b64 s[2:3], s[40:41]
	s_cbranch_execnz .LBB634_230
.LBB634_145:
	s_or_b64 exec, exec, s[2:3]
	s_and_b64 exec, exec, s[42:43]
	s_cbranch_execz .LBB634_147
.LBB634_146:
	v_sub_u32_e32 v1, v20, v8
	v_lshlrev_b32_e32 v1, 1, v1
	ds_write_b16_d16_hi v1, v16
.LBB634_147:
	s_or_b64 exec, exec, s[34:35]
	v_cmp_lt_u32_e32 vcc, v0, v6
	s_waitcnt lgkmcnt(0)
	s_barrier
	s_and_saveexec_b64 s[4:5], vcc
	s_cbranch_execz .LBB634_162
; %bb.148:
	v_xad_u32 v1, v0, -1, v6
	s_movk_i32 s2, 0x1700
	v_cmp_gt_u32_e64 s[6:7], s2, v1
	s_movk_i32 s2, 0x16ff
	v_cmp_lt_u32_e32 vcc, s2, v1
	v_mov_b32_e32 v2, v0
	s_and_saveexec_b64 s[8:9], vcc
	s_cbranch_execz .LBB634_159
; %bb.149:
	v_sub_u32_e32 v2, v0, v6
	v_or_b32_e32 v2, 0xff, v2
	v_cmp_ge_u32_e32 vcc, v2, v0
	s_mov_b64 s[2:3], -1
	v_mov_b32_e32 v2, v0
	s_and_saveexec_b64 s[10:11], vcc
	s_cbranch_execz .LBB634_158
; %bb.150:
	v_lshrrev_b32_e32 v14, 8, v1
	v_or_b32_e32 v3, 0x300, v0
	v_or_b32_e32 v2, 0x200, v0
	v_add_u32_e32 v4, -3, v14
	v_or_b32_e32 v1, 0x100, v0
	v_lshrrev_b32_e32 v5, 2, v4
	v_pk_mov_b32 v[12:13], v[2:3], v[2:3] op_sel:[0,1]
	v_add_u32_e32 v15, 1, v5
	v_cmp_lt_u32_e32 vcc, 11, v4
	v_mov_b32_e32 v70, 0
	v_pk_mov_b32 v[10:11], v[0:1], v[0:1] op_sel:[0,1]
	s_and_saveexec_b64 s[12:13], vcc
	s_cbranch_execz .LBB634_154
; %bb.151:
	v_pk_mov_b32 v[12:13], v[2:3], v[2:3] op_sel:[0,1]
	v_and_b32_e32 v16, 0x7ffffffc, v15
	v_lshlrev_b32_e32 v69, 1, v0
	s_mov_b32 s16, 0
	s_mov_b64 s[14:15], 0
	v_mov_b32_e32 v5, 0
	v_pk_mov_b32 v[10:11], v[0:1], v[0:1] op_sel:[0,1]
.LBB634_152:                            ; =>This Inner Loop Header: Depth=1
	v_mov_b32_e32 v4, v10
	v_lshlrev_b64 v[86:87], 1, v[4:5]
	v_add_u32_e32 v72, 0x400, v11
	v_mov_b32_e32 v73, v5
	v_add_co_u32_e64 v86, s[2:3], v7, v86
	v_lshlrev_b64 v[72:73], 1, v[72:73]
	v_addc_co_u32_e64 v87, s[2:3], v9, v87, s[2:3]
	v_add_u32_e32 v70, 0x400, v12
	v_mov_b32_e32 v71, v5
	v_add_co_u32_e64 v72, s[2:3], v7, v72
	v_lshlrev_b64 v[88:89], 1, v[70:71]
	v_addc_co_u32_e64 v73, s[2:3], v9, v73, s[2:3]
	v_add_u32_e32 v2, 0x400, v13
	v_mov_b32_e32 v3, v5
	v_add_co_u32_e64 v88, s[2:3], v7, v88
	v_add_u32_e32 v16, -4, v16
	v_mov_b32_e32 v4, v11
	v_lshlrev_b64 v[2:3], 1, v[2:3]
	v_addc_co_u32_e64 v89, s[2:3], v9, v89, s[2:3]
	v_add_u32_e32 v78, 0x800, v11
	v_mov_b32_e32 v79, v5
	s_add_i32 s16, s16, 16
	v_cmp_eq_u32_e32 vcc, 0, v16
	v_lshlrev_b64 v[90:91], 1, v[4:5]
	v_add_co_u32_e64 v2, s[2:3], v7, v2
	v_lshlrev_b64 v[78:79], 1, v[78:79]
	v_mov_b32_e32 v4, v12
	v_addc_co_u32_e64 v3, s[2:3], v9, v3, s[2:3]
	s_or_b64 s[14:15], vcc, s[14:15]
	v_add_co_u32_e32 v90, vcc, v7, v90
	v_add_u32_e32 v76, 0x800, v12
	v_mov_b32_e32 v77, v5
	v_add_co_u32_e64 v78, s[2:3], v7, v78
	v_addc_co_u32_e32 v91, vcc, v9, v91, vcc
	v_lshlrev_b64 v[92:93], 1, v[4:5]
	v_lshlrev_b64 v[76:77], 1, v[76:77]
	v_addc_co_u32_e64 v79, s[2:3], v9, v79, s[2:3]
	v_mov_b32_e32 v4, v13
	v_add_co_u32_e32 v92, vcc, v7, v92
	ds_read_u16 v1, v69
	ds_read_u16 v96, v69 offset:512
	ds_read_u16 v97, v69 offset:1024
	;; [unrolled: 1-line block ×7, first 2 shown]
	v_add_u32_e32 v74, 0x800, v13
	v_mov_b32_e32 v75, v5
	v_add_co_u32_e64 v76, s[2:3], v7, v76
	v_addc_co_u32_e32 v93, vcc, v9, v93, vcc
	v_lshlrev_b64 v[94:95], 1, v[4:5]
	v_lshlrev_b64 v[74:75], 1, v[74:75]
	v_addc_co_u32_e64 v77, s[2:3], v9, v77, s[2:3]
	v_add_u32_e32 v4, 0x400, v10
	v_add_co_u32_e32 v94, vcc, v7, v94
	v_add_u32_e32 v84, 0xc00, v11
	v_mov_b32_e32 v85, v5
	ds_read_u16 v103, v69 offset:4096
	ds_read_u16 v104, v69 offset:4608
	ds_read_u16 v105, v69 offset:5120
	ds_read_u16 v106, v69 offset:5632
	ds_read_u16 v107, v69 offset:6144
	ds_read_u16 v108, v69 offset:6656
	ds_read_u16 v109, v69 offset:7168
	ds_read_u16 v110, v69 offset:7680
	v_add_co_u32_e64 v74, s[2:3], v7, v74
	v_addc_co_u32_e32 v95, vcc, v9, v95, vcc
	s_waitcnt lgkmcnt(14)
	global_store_short v[86:87], v1, off
	global_store_short v[90:91], v96, off
	s_waitcnt lgkmcnt(13)
	global_store_short v[92:93], v97, off
	v_lshlrev_b64 v[86:87], 1, v[4:5]
	v_lshlrev_b64 v[84:85], 1, v[84:85]
	v_addc_co_u32_e64 v75, s[2:3], v9, v75, s[2:3]
	v_add_u32_e32 v4, 0x800, v10
	v_add_co_u32_e32 v86, vcc, v7, v86
	v_add_u32_e32 v82, 0xc00, v12
	v_mov_b32_e32 v83, v5
	v_add_co_u32_e64 v84, s[2:3], v7, v84
	v_addc_co_u32_e32 v87, vcc, v9, v87, vcc
	v_lshlrev_b64 v[90:91], 1, v[4:5]
	v_lshlrev_b64 v[82:83], 1, v[82:83]
	v_addc_co_u32_e64 v85, s[2:3], v9, v85, s[2:3]
	s_waitcnt lgkmcnt(12)
	global_store_short v[94:95], v98, off
	v_add_u32_e32 v4, 0xc00, v10
	s_waitcnt lgkmcnt(11)
	global_store_short v[86:87], v99, off
	s_waitcnt lgkmcnt(10)
	global_store_short v[72:73], v100, off
	;; [unrolled: 2-line block ×4, first 2 shown]
	v_add_co_u32_e32 v2, vcc, v7, v90
	v_add_u32_e32 v80, 0xc00, v13
	v_mov_b32_e32 v81, v5
	v_add_co_u32_e64 v82, s[2:3], v7, v82
	v_addc_co_u32_e32 v3, vcc, v9, v91, vcc
	v_lshlrev_b64 v[72:73], 1, v[4:5]
	v_lshlrev_b64 v[80:81], 1, v[80:81]
	v_addc_co_u32_e64 v83, s[2:3], v9, v83, s[2:3]
	s_waitcnt lgkmcnt(7)
	global_store_short v[2:3], v103, off
	s_waitcnt lgkmcnt(6)
	global_store_short v[78:79], v104, off
	;; [unrolled: 2-line block ×4, first 2 shown]
	v_add_co_u32_e32 v2, vcc, v7, v72
	v_add_u32_e32 v69, 0x2000, v69
	v_add_u32_e32 v11, 0x1000, v11
	v_mov_b32_e32 v70, s16
	v_add_co_u32_e64 v80, s[2:3], v7, v80
	v_add_u32_e32 v12, 0x1000, v12
	v_add_u32_e32 v13, 0x1000, v13
	;; [unrolled: 1-line block ×3, first 2 shown]
	v_addc_co_u32_e32 v3, vcc, v9, v73, vcc
	v_addc_co_u32_e64 v81, s[2:3], v9, v81, s[2:3]
	s_waitcnt lgkmcnt(3)
	global_store_short v[2:3], v107, off
	s_waitcnt lgkmcnt(2)
	global_store_short v[84:85], v108, off
	;; [unrolled: 2-line block ×4, first 2 shown]
	s_andn2_b64 exec, exec, s[14:15]
	s_cbranch_execnz .LBB634_152
; %bb.153:
	s_or_b64 exec, exec, s[14:15]
.LBB634_154:
	s_or_b64 exec, exec, s[12:13]
	v_and_b32_e32 v1, 3, v15
	v_cmp_ne_u32_e32 vcc, 0, v1
	s_and_saveexec_b64 s[12:13], vcc
	s_cbranch_execz .LBB634_157
; %bb.155:
	v_lshlrev_b32_e32 v2, 1, v0
	v_lshl_or_b32 v4, v70, 9, v2
	s_mov_b64 s[14:15], 0
	v_mov_b32_e32 v3, 0
.LBB634_156:                            ; =>This Inner Loop Header: Depth=1
	v_mov_b32_e32 v2, v10
	v_add_u32_e32 v1, -1, v1
	v_lshlrev_b64 v[70:71], 1, v[2:3]
	v_mov_b32_e32 v2, v11
	v_cmp_eq_u32_e32 vcc, 0, v1
	v_lshlrev_b64 v[72:73], 1, v[2:3]
	ds_read_u16 v5, v4
	ds_read_u16 v15, v4 offset:512
	ds_read_u16 v16, v4 offset:1024
	;; [unrolled: 1-line block ×3, first 2 shown]
	v_mov_b32_e32 v2, v12
	s_or_b64 s[14:15], vcc, s[14:15]
	v_add_co_u32_e32 v72, vcc, v7, v72
	v_addc_co_u32_e32 v73, vcc, v9, v73, vcc
	v_lshlrev_b64 v[74:75], 1, v[2:3]
	v_mov_b32_e32 v2, v13
	v_add_co_u32_e32 v74, vcc, v7, v74
	v_add_co_u32_e64 v70, s[2:3], v7, v70
	v_addc_co_u32_e32 v75, vcc, v9, v75, vcc
	v_lshlrev_b64 v[76:77], 1, v[2:3]
	v_add_u32_e32 v10, 0x400, v10
	v_add_u32_e32 v4, 0x800, v4
	;; [unrolled: 1-line block ×3, first 2 shown]
	v_addc_co_u32_e64 v71, s[2:3], v9, v71, s[2:3]
	v_add_u32_e32 v12, 0x400, v12
	v_add_u32_e32 v13, 0x400, v13
	v_add_co_u32_e32 v76, vcc, v7, v76
	v_addc_co_u32_e32 v77, vcc, v9, v77, vcc
	s_waitcnt lgkmcnt(3)
	global_store_short v[70:71], v5, off
	s_waitcnt lgkmcnt(2)
	global_store_short v[72:73], v15, off
	;; [unrolled: 2-line block ×4, first 2 shown]
	s_andn2_b64 exec, exec, s[14:15]
	s_cbranch_execnz .LBB634_156
.LBB634_157:
	s_or_b64 exec, exec, s[12:13]
	v_add_u32_e32 v1, 1, v14
	v_and_b32_e32 v3, 0x1fffffc, v1
	v_cmp_ne_u32_e32 vcc, v1, v3
	v_lshl_or_b32 v2, v3, 8, v0
	s_orn2_b64 s[2:3], vcc, exec
.LBB634_158:
	s_or_b64 exec, exec, s[10:11]
	s_andn2_b64 s[6:7], s[6:7], exec
	s_and_b64 s[2:3], s[2:3], exec
	s_or_b64 s[6:7], s[6:7], s[2:3]
.LBB634_159:
	s_or_b64 exec, exec, s[8:9]
	s_and_b64 exec, exec, s[6:7]
	s_cbranch_execz .LBB634_162
; %bb.160:
	v_lshlrev_b32_e32 v1, 1, v2
	s_mov_b64 s[2:3], 0
	v_mov_b32_e32 v3, 0
.LBB634_161:                            ; =>This Inner Loop Header: Depth=1
	v_lshlrev_b64 v[4:5], 1, v[2:3]
	ds_read_u16 v10, v1
	v_add_co_u32_e32 v4, vcc, v7, v4
	v_add_u32_e32 v2, 0x100, v2
	v_addc_co_u32_e32 v5, vcc, v9, v5, vcc
	v_cmp_ge_u32_e32 vcc, v2, v6
	v_add_u32_e32 v1, 0x200, v1
	s_or_b64 s[2:3], vcc, s[2:3]
	s_waitcnt lgkmcnt(0)
	global_store_short v[4:5], v10, off
	s_andn2_b64 exec, exec, s[2:3]
	s_cbranch_execnz .LBB634_161
.LBB634_162:
	s_or_b64 exec, exec, s[4:5]
.LBB634_163:
	s_cmpk_lg_i32 s33, 0xf00
	s_cselect_b64 s[2:3], -1, 0
	v_cndmask_b32_e64 v1, 0, 1, s[38:39]
	s_and_b64 s[2:3], s[2:3], s[36:37]
	v_sub_u32_e32 v3, v6, v1
	v_cndmask_b32_e64 v2, 0, 1, s[2:3]
	s_and_b64 s[0:1], s[0:1], s[38:39]
	v_add_u32_e32 v7, v3, v2
	v_cndmask_b32_e64 v3, v68, 0, s[0:1]
	s_mul_hi_u32 s0, s33, 0x88888889
	s_lshr_b32 s0, s0, 3
	v_mad_i32_i24 v4, v0, -15, s33
	v_cmp_eq_u32_e32 vcc, s0, v0
	v_cmp_ne_u32_e64 s[0:1], 0, v4
	v_cndmask_b32_e64 v5, 1, v3, s[0:1]
	v_cmp_ne_u32_e64 s[0:1], 1, v4
	v_cndmask_b32_e64 v9, 1, v66, s[0:1]
	;; [unrolled: 2-line block ×15, first 2 shown]
	s_and_b64 vcc, vcc, s[36:37]
	v_cndmask_b32_e32 v4, v17, v4, vcc
	v_cndmask_b32_e32 v17, v54, v72, vcc
	;; [unrolled: 1-line block ×15, first 2 shown]
	v_mov_b32_e32 v3, s53
	v_add_co_u32_e32 v9, vcc, s52, v50
	v_addc_co_u32_e32 v3, vcc, v3, v51, vcc
	v_add_co_u32_e32 v9, vcc, v9, v52
	v_addc_co_u32_e32 v14, vcc, v3, v53, vcc
	v_lshlrev_b32_e32 v3, 1, v1
	v_add_co_u32_e32 v3, vcc, v3, v9
	v_addc_co_u32_e32 v16, vcc, 0, v14, vcc
	v_add_co_u32_e32 v15, vcc, -2, v3
	v_addc_co_u32_e32 v16, vcc, -1, v16, vcc
	v_cmp_eq_u32_e32 vcc, 0, v5
	v_cmp_ne_u32_e64 s[28:29], 0, v5
	v_cndmask_b32_e64 v5, 1, 2, vcc
	v_cmp_eq_u32_e32 vcc, 0, v61
	v_cndmask_b32_e64 v50, 1, 2, vcc
	v_cmp_eq_u32_e32 vcc, 0, v10
	v_and_b32_e32 v5, v50, v5
	v_cmp_ne_u32_e64 s[24:25], 0, v10
	v_cndmask_b32_e64 v10, 1, 2, vcc
	v_cmp_eq_u32_e32 vcc, 0, v11
	v_and_b32_e32 v5, v5, v10
	v_cndmask_b32_e64 v10, 1, 2, vcc
	v_cmp_eq_u32_e32 vcc, 0, v12
	v_and_b32_e32 v5, v5, v10
	;; [unrolled: 3-line block ×12, first 2 shown]
	v_cmp_ne_u32_e64 s[0:1], 0, v4
	v_cndmask_b32_e64 v4, 1, 2, vcc
	s_movk_i32 s30, 0x100
	v_and_b32_e32 v4, v5, v4
	v_cmp_gt_u32_e32 vcc, s30, v7
	v_add_u32_e32 v3, v8, v1
	v_cmp_ne_u32_e64 s[26:27], 0, v61
	v_cmp_ne_u32_e64 s[22:23], 0, v11
	;; [unrolled: 1-line block ×12, first 2 shown]
	s_mov_b64 s[34:35], -1
	v_cmp_gt_i16_e64 s[30:31], 2, v4
	s_barrier
	s_cbranch_vccz .LBB634_170
; %bb.164:
	s_and_saveexec_b64 s[34:35], s[30:31]
	s_cbranch_execz .LBB634_169
; %bb.165:
	v_cmp_ne_u16_e32 vcc, 1, v4
	s_mov_b64 s[38:39], 0
	s_and_saveexec_b64 s[30:31], vcc
	s_xor_b64 s[30:31], exec, s[30:31]
	s_cbranch_execnz .LBB634_231
; %bb.166:
	s_andn2_saveexec_b64 s[30:31], s[30:31]
	s_cbranch_execnz .LBB634_247
.LBB634_167:
	s_or_b64 exec, exec, s[30:31]
	s_and_b64 exec, exec, s[38:39]
	s_cbranch_execz .LBB634_169
.LBB634_168:
	v_sub_u32_e32 v10, v20, v3
	v_mov_b32_e32 v11, 0
	v_lshlrev_b64 v[10:11], 1, v[10:11]
	v_add_co_u32_e32 v10, vcc, v15, v10
	v_addc_co_u32_e32 v11, vcc, v16, v11, vcc
	global_store_short v[10:11], v21, off
.LBB634_169:
	s_or_b64 exec, exec, s[34:35]
	s_mov_b64 s[34:35], 0
.LBB634_170:
	s_and_b64 vcc, exec, s[34:35]
	s_cbranch_vccz .LBB634_192
; %bb.171:
	v_cmp_gt_i16_e32 vcc, 2, v4
	s_and_saveexec_b64 s[30:31], vcc
	s_cbranch_execz .LBB634_176
; %bb.172:
	v_cmp_ne_u16_e32 vcc, 1, v4
	s_mov_b64 s[38:39], 0
	s_and_saveexec_b64 s[34:35], vcc
	s_xor_b64 s[34:35], exec, s[34:35]
	s_cbranch_execnz .LBB634_248
; %bb.173:
	s_andn2_saveexec_b64 s[0:1], s[34:35]
	s_cbranch_execnz .LBB634_264
.LBB634_174:
	s_or_b64 exec, exec, s[0:1]
	s_and_b64 exec, exec, s[38:39]
	s_cbranch_execz .LBB634_176
.LBB634_175:
	v_sub_u32_e32 v3, v20, v3
	v_lshlrev_b32_e32 v3, 1, v3
	ds_write_b16 v3, v21
.LBB634_176:
	s_or_b64 exec, exec, s[30:31]
	v_cmp_lt_u32_e32 vcc, v0, v7
	s_waitcnt lgkmcnt(0)
	s_barrier
	s_and_saveexec_b64 s[2:3], vcc
	s_cbranch_execz .LBB634_191
; %bb.177:
	v_add_u32_e32 v4, v6, v2
	v_xad_u32 v2, v0, -1, v4
	v_sub_u32_e32 v3, v2, v1
	s_movk_i32 s0, 0x1b00
	v_cmp_gt_u32_e64 s[4:5], s0, v3
	s_movk_i32 s0, 0x1aff
	v_cmp_lt_u32_e32 vcc, s0, v3
	v_mov_b32_e32 v2, v0
	s_and_saveexec_b64 s[6:7], vcc
	s_cbranch_execz .LBB634_188
; %bb.178:
	v_sub_u32_e32 v2, v0, v4
	v_add_u32_e32 v1, v2, v1
	v_or_b32_e32 v1, 0xff, v1
	v_cmp_ge_u32_e32 vcc, v1, v0
	s_mov_b64 s[0:1], -1
	v_mov_b32_e32 v2, v0
	s_and_saveexec_b64 s[8:9], vcc
	s_cbranch_execz .LBB634_187
; %bb.179:
	v_lshrrev_b32_e32 v17, 8, v3
	v_or_b32_e32 v3, 0x300, v0
	v_or_b32_e32 v2, 0x200, v0
	v_add_u32_e32 v4, -3, v17
	v_or_b32_e32 v1, 0x100, v0
	v_lshrrev_b32_e32 v5, 2, v4
	v_pk_mov_b32 v[12:13], v[2:3], v[2:3] op_sel:[0,1]
	v_add_u32_e32 v21, 1, v5
	v_cmp_lt_u32_e32 vcc, 11, v4
	v_mov_b32_e32 v24, 0
	v_lshlrev_b32_e32 v20, 1, v0
	v_pk_mov_b32 v[10:11], v[0:1], v[0:1] op_sel:[0,1]
	s_and_saveexec_b64 s[10:11], vcc
	s_cbranch_execz .LBB634_183
; %bb.180:
	v_pk_mov_b32 v[12:13], v[2:3], v[2:3] op_sel:[0,1]
	v_and_b32_e32 v22, 0x7ffffffc, v21
	s_mov_b32 s14, 0
	s_mov_b64 s[12:13], 0
	v_mov_b32_e32 v5, 0
	v_mov_b32_e32 v23, v20
	v_pk_mov_b32 v[10:11], v[0:1], v[0:1] op_sel:[0,1]
.LBB634_181:                            ; =>This Inner Loop Header: Depth=1
	v_mov_b32_e32 v4, v10
	v_lshlrev_b64 v[40:41], 1, v[4:5]
	v_add_u32_e32 v26, 0x400, v11
	v_mov_b32_e32 v27, v5
	v_add_co_u32_e64 v40, s[0:1], v15, v40
	v_lshlrev_b64 v[26:27], 1, v[26:27]
	v_addc_co_u32_e64 v41, s[0:1], v16, v41, s[0:1]
	v_add_u32_e32 v24, 0x400, v12
	v_mov_b32_e32 v25, v5
	v_add_co_u32_e64 v26, s[0:1], v15, v26
	v_lshlrev_b64 v[42:43], 1, v[24:25]
	v_addc_co_u32_e64 v27, s[0:1], v16, v27, s[0:1]
	v_add_u32_e32 v2, 0x400, v13
	v_mov_b32_e32 v3, v5
	v_add_co_u32_e64 v42, s[0:1], v15, v42
	v_add_u32_e32 v22, -4, v22
	v_mov_b32_e32 v4, v11
	v_lshlrev_b64 v[2:3], 1, v[2:3]
	v_addc_co_u32_e64 v43, s[0:1], v16, v43, s[0:1]
	v_add_u32_e32 v32, 0x800, v11
	v_mov_b32_e32 v33, v5
	s_add_i32 s14, s14, 16
	v_cmp_eq_u32_e32 vcc, 0, v22
	v_lshlrev_b64 v[44:45], 1, v[4:5]
	v_add_co_u32_e64 v2, s[0:1], v15, v2
	v_lshlrev_b64 v[32:33], 1, v[32:33]
	v_mov_b32_e32 v4, v12
	v_addc_co_u32_e64 v3, s[0:1], v16, v3, s[0:1]
	s_or_b64 s[12:13], vcc, s[12:13]
	v_add_co_u32_e32 v44, vcc, v15, v44
	v_add_u32_e32 v30, 0x800, v12
	v_mov_b32_e32 v31, v5
	v_add_co_u32_e64 v32, s[0:1], v15, v32
	v_addc_co_u32_e32 v45, vcc, v16, v45, vcc
	v_lshlrev_b64 v[46:47], 1, v[4:5]
	v_lshlrev_b64 v[30:31], 1, v[30:31]
	v_addc_co_u32_e64 v33, s[0:1], v16, v33, s[0:1]
	v_mov_b32_e32 v4, v13
	v_add_co_u32_e32 v46, vcc, v15, v46
	ds_read_u16 v1, v23
	ds_read_u16 v50, v23 offset:512
	ds_read_u16 v51, v23 offset:1024
	;; [unrolled: 1-line block ×7, first 2 shown]
	v_add_u32_e32 v28, 0x800, v13
	v_mov_b32_e32 v29, v5
	v_add_co_u32_e64 v30, s[0:1], v15, v30
	v_addc_co_u32_e32 v47, vcc, v16, v47, vcc
	v_lshlrev_b64 v[48:49], 1, v[4:5]
	v_lshlrev_b64 v[28:29], 1, v[28:29]
	v_addc_co_u32_e64 v31, s[0:1], v16, v31, s[0:1]
	v_add_u32_e32 v4, 0x400, v10
	v_add_co_u32_e32 v48, vcc, v15, v48
	v_add_u32_e32 v38, 0xc00, v11
	v_mov_b32_e32 v39, v5
	ds_read_u16 v57, v23 offset:4096
	ds_read_u16 v58, v23 offset:4608
	;; [unrolled: 1-line block ×8, first 2 shown]
	v_add_co_u32_e64 v28, s[0:1], v15, v28
	v_addc_co_u32_e32 v49, vcc, v16, v49, vcc
	s_waitcnt lgkmcnt(14)
	global_store_short v[40:41], v1, off
	global_store_short v[44:45], v50, off
	s_waitcnt lgkmcnt(13)
	global_store_short v[46:47], v51, off
	v_lshlrev_b64 v[40:41], 1, v[4:5]
	v_lshlrev_b64 v[38:39], 1, v[38:39]
	v_addc_co_u32_e64 v29, s[0:1], v16, v29, s[0:1]
	v_add_u32_e32 v4, 0x800, v10
	v_add_co_u32_e32 v40, vcc, v15, v40
	v_add_u32_e32 v36, 0xc00, v12
	v_mov_b32_e32 v37, v5
	v_add_co_u32_e64 v38, s[0:1], v15, v38
	v_addc_co_u32_e32 v41, vcc, v16, v41, vcc
	v_lshlrev_b64 v[44:45], 1, v[4:5]
	v_lshlrev_b64 v[36:37], 1, v[36:37]
	v_addc_co_u32_e64 v39, s[0:1], v16, v39, s[0:1]
	s_waitcnt lgkmcnt(12)
	global_store_short v[48:49], v52, off
	v_add_u32_e32 v4, 0xc00, v10
	s_waitcnt lgkmcnt(11)
	global_store_short v[40:41], v53, off
	s_waitcnt lgkmcnt(10)
	global_store_short v[26:27], v54, off
	;; [unrolled: 2-line block ×4, first 2 shown]
	v_add_co_u32_e32 v2, vcc, v15, v44
	v_add_u32_e32 v34, 0xc00, v13
	v_mov_b32_e32 v35, v5
	v_add_co_u32_e64 v36, s[0:1], v15, v36
	v_addc_co_u32_e32 v3, vcc, v16, v45, vcc
	v_lshlrev_b64 v[26:27], 1, v[4:5]
	v_lshlrev_b64 v[34:35], 1, v[34:35]
	v_addc_co_u32_e64 v37, s[0:1], v16, v37, s[0:1]
	s_waitcnt lgkmcnt(7)
	global_store_short v[2:3], v57, off
	s_waitcnt lgkmcnt(6)
	global_store_short v[32:33], v58, off
	;; [unrolled: 2-line block ×4, first 2 shown]
	v_add_co_u32_e32 v2, vcc, v15, v26
	v_add_u32_e32 v23, 0x2000, v23
	v_add_u32_e32 v11, 0x1000, v11
	v_mov_b32_e32 v24, s14
	v_add_co_u32_e64 v34, s[0:1], v15, v34
	v_add_u32_e32 v12, 0x1000, v12
	v_add_u32_e32 v13, 0x1000, v13
	;; [unrolled: 1-line block ×3, first 2 shown]
	v_addc_co_u32_e32 v3, vcc, v16, v27, vcc
	v_addc_co_u32_e64 v35, s[0:1], v16, v35, s[0:1]
	s_waitcnt lgkmcnt(3)
	global_store_short v[2:3], v61, off
	s_waitcnt lgkmcnt(2)
	global_store_short v[38:39], v62, off
	;; [unrolled: 2-line block ×4, first 2 shown]
	s_andn2_b64 exec, exec, s[12:13]
	s_cbranch_execnz .LBB634_181
; %bb.182:
	s_or_b64 exec, exec, s[12:13]
.LBB634_183:
	s_or_b64 exec, exec, s[10:11]
	v_and_b32_e32 v1, 3, v21
	v_cmp_ne_u32_e32 vcc, 0, v1
	s_and_saveexec_b64 s[10:11], vcc
	s_cbranch_execz .LBB634_186
; %bb.184:
	v_lshl_or_b32 v4, v24, 9, v20
	s_mov_b64 s[12:13], 0
	v_mov_b32_e32 v3, 0
.LBB634_185:                            ; =>This Inner Loop Header: Depth=1
	v_mov_b32_e32 v2, v10
	v_add_u32_e32 v1, -1, v1
	v_lshlrev_b64 v[20:21], 1, v[2:3]
	v_mov_b32_e32 v2, v11
	v_cmp_eq_u32_e32 vcc, 0, v1
	v_lshlrev_b64 v[22:23], 1, v[2:3]
	ds_read_u16 v5, v4
	ds_read_u16 v28, v4 offset:512
	ds_read_u16 v29, v4 offset:1024
	;; [unrolled: 1-line block ×3, first 2 shown]
	v_mov_b32_e32 v2, v12
	s_or_b64 s[12:13], vcc, s[12:13]
	v_add_co_u32_e32 v22, vcc, v15, v22
	v_addc_co_u32_e32 v23, vcc, v16, v23, vcc
	v_lshlrev_b64 v[24:25], 1, v[2:3]
	v_mov_b32_e32 v2, v13
	v_add_co_u32_e32 v24, vcc, v15, v24
	v_add_co_u32_e64 v20, s[0:1], v15, v20
	v_addc_co_u32_e32 v25, vcc, v16, v25, vcc
	v_lshlrev_b64 v[26:27], 1, v[2:3]
	v_add_u32_e32 v10, 0x400, v10
	v_add_u32_e32 v4, 0x800, v4
	v_add_u32_e32 v11, 0x400, v11
	v_addc_co_u32_e64 v21, s[0:1], v16, v21, s[0:1]
	v_add_u32_e32 v12, 0x400, v12
	v_add_u32_e32 v13, 0x400, v13
	v_add_co_u32_e32 v26, vcc, v15, v26
	v_addc_co_u32_e32 v27, vcc, v16, v27, vcc
	s_waitcnt lgkmcnt(3)
	global_store_short v[20:21], v5, off
	s_waitcnt lgkmcnt(2)
	global_store_short v[22:23], v28, off
	;; [unrolled: 2-line block ×4, first 2 shown]
	s_andn2_b64 exec, exec, s[12:13]
	s_cbranch_execnz .LBB634_185
.LBB634_186:
	s_or_b64 exec, exec, s[10:11]
	v_add_u32_e32 v1, 1, v17
	v_and_b32_e32 v3, 0x1fffffc, v1
	v_cmp_ne_u32_e32 vcc, v1, v3
	v_lshl_or_b32 v2, v3, 8, v0
	s_orn2_b64 s[0:1], vcc, exec
.LBB634_187:
	s_or_b64 exec, exec, s[8:9]
	s_andn2_b64 s[4:5], s[4:5], exec
	s_and_b64 s[0:1], s[0:1], exec
	s_or_b64 s[4:5], s[4:5], s[0:1]
.LBB634_188:
	s_or_b64 exec, exec, s[6:7]
	s_and_b64 exec, exec, s[4:5]
	s_cbranch_execz .LBB634_191
; %bb.189:
	v_lshlrev_b32_e32 v1, 1, v2
	s_mov_b64 s[0:1], 0
	v_mov_b32_e32 v3, 0
.LBB634_190:                            ; =>This Inner Loop Header: Depth=1
	v_lshlrev_b64 v[4:5], 1, v[2:3]
	ds_read_u16 v10, v1
	v_add_co_u32_e32 v4, vcc, v15, v4
	v_add_u32_e32 v2, 0x100, v2
	v_addc_co_u32_e32 v5, vcc, v16, v5, vcc
	v_cmp_ge_u32_e32 vcc, v2, v7
	v_add_u32_e32 v1, 0x200, v1
	s_or_b64 s[0:1], vcc, s[0:1]
	s_waitcnt lgkmcnt(0)
	global_store_short v[4:5], v10, off
	s_andn2_b64 exec, exec, s[0:1]
	s_cbranch_execnz .LBB634_190
.LBB634_191:
	s_or_b64 exec, exec, s[2:3]
.LBB634_192:
	s_movk_i32 s0, 0xff
	v_cmp_eq_u32_e32 vcc, s0, v0
	s_and_b64 s[0:1], vcc, s[36:37]
	s_and_saveexec_b64 s[2:3], s[0:1]
	s_cbranch_execz .LBB634_195
; %bb.193:
	v_add_co_u32_e32 v0, vcc, v6, v8
	v_addc_co_u32_e64 v1, s[0:1], 0, 0, vcc
	v_add_co_u32_e32 v0, vcc, v0, v18
	v_mov_b32_e32 v7, 0
	v_addc_co_u32_e32 v1, vcc, v1, v19, vcc
	s_cmpk_lg_i32 s33, 0xf00
	global_store_dwordx2 v7, v[0:1], s[54:55]
	s_cbranch_scc1 .LBB634_195
; %bb.194:
	v_lshlrev_b64 v[0:1], 1, v[6:7]
	v_add_co_u32_e32 v0, vcc, v9, v0
	v_addc_co_u32_e32 v1, vcc, v14, v1, vcc
	global_store_short v[0:1], v67, off offset:-2
.LBB634_195:
	s_endpgm
.LBB634_196:
	s_or_b64 exec, exec, s[8:9]
	v_mov_b32_e32 v68, s12
	s_and_saveexec_b64 s[2:3], s[6:7]
	s_cbranch_execnz .LBB634_88
	s_branch .LBB634_89
.LBB634_197:
	s_and_saveexec_b64 s[42:43], s[30:31]
	s_cbranch_execnz .LBB634_265
; %bb.198:
	s_or_b64 exec, exec, s[42:43]
	s_and_saveexec_b64 s[42:43], s[28:29]
	s_cbranch_execnz .LBB634_266
.LBB634_199:
	s_or_b64 exec, exec, s[42:43]
	s_and_saveexec_b64 s[42:43], s[26:27]
	s_cbranch_execnz .LBB634_267
.LBB634_200:
	s_or_b64 exec, exec, s[42:43]
	s_and_saveexec_b64 s[42:43], s[24:25]
	s_cbranch_execnz .LBB634_268
.LBB634_201:
	s_or_b64 exec, exec, s[42:43]
	s_and_saveexec_b64 s[42:43], s[22:23]
	s_cbranch_execnz .LBB634_269
.LBB634_202:
	s_or_b64 exec, exec, s[42:43]
	s_and_saveexec_b64 s[42:43], s[20:21]
	s_cbranch_execnz .LBB634_270
.LBB634_203:
	s_or_b64 exec, exec, s[42:43]
	s_and_saveexec_b64 s[42:43], s[18:19]
	s_cbranch_execnz .LBB634_271
.LBB634_204:
	s_or_b64 exec, exec, s[42:43]
	s_and_saveexec_b64 s[42:43], s[16:17]
	s_cbranch_execnz .LBB634_272
.LBB634_205:
	s_or_b64 exec, exec, s[42:43]
	s_and_saveexec_b64 s[42:43], s[14:15]
	s_cbranch_execnz .LBB634_273
.LBB634_206:
	s_or_b64 exec, exec, s[42:43]
	s_and_saveexec_b64 s[42:43], s[12:13]
	s_cbranch_execnz .LBB634_274
.LBB634_207:
	s_or_b64 exec, exec, s[42:43]
	s_and_saveexec_b64 s[42:43], s[10:11]
	s_cbranch_execnz .LBB634_275
.LBB634_208:
	s_or_b64 exec, exec, s[42:43]
	s_and_saveexec_b64 s[42:43], s[8:9]
	s_cbranch_execnz .LBB634_276
.LBB634_209:
	s_or_b64 exec, exec, s[42:43]
	s_and_saveexec_b64 s[42:43], s[6:7]
	s_cbranch_execnz .LBB634_277
.LBB634_210:
	s_or_b64 exec, exec, s[42:43]
	s_and_saveexec_b64 s[42:43], s[4:5]
	s_cbranch_execz .LBB634_212
.LBB634_211:
	v_sub_u32_e32 v12, v22, v8
	v_mov_b32_e32 v13, 0
	v_lshlrev_b64 v[12:13], 1, v[12:13]
	v_add_co_u32_e32 v12, vcc, v7, v12
	v_addc_co_u32_e32 v13, vcc, v9, v13, vcc
	global_store_short v[12:13], v16, off
.LBB634_212:
	s_or_b64 exec, exec, s[42:43]
	s_and_b64 s[42:43], s[2:3], exec
	s_andn2_saveexec_b64 s[34:35], s[34:35]
	s_cbranch_execz .LBB634_138
.LBB634_213:
	v_sub_u32_e32 v12, v48, v8
	v_mov_b32_e32 v13, 0
	v_lshlrev_b64 v[70:71], 1, v[12:13]
	v_add_co_u32_e32 v70, vcc, v7, v70
	v_addc_co_u32_e32 v71, vcc, v9, v71, vcc
	v_sub_u32_e32 v12, v46, v8
	global_store_short v[70:71], v1, off
	v_lshlrev_b64 v[70:71], 1, v[12:13]
	v_add_co_u32_e32 v70, vcc, v7, v70
	v_addc_co_u32_e32 v71, vcc, v9, v71, vcc
	v_sub_u32_e32 v12, v44, v8
	global_store_short v[70:71], v2, off
	v_lshlrev_b64 v[70:71], 1, v[12:13]
	v_add_co_u32_e32 v70, vcc, v7, v70
	v_addc_co_u32_e32 v71, vcc, v9, v71, vcc
	v_sub_u32_e32 v12, v42, v8
	global_store_short_d16_hi v[70:71], v2, off
	v_lshlrev_b64 v[70:71], 1, v[12:13]
	v_add_co_u32_e32 v70, vcc, v7, v70
	v_addc_co_u32_e32 v71, vcc, v9, v71, vcc
	v_sub_u32_e32 v12, v40, v8
	global_store_short v[70:71], v3, off
	v_lshlrev_b64 v[70:71], 1, v[12:13]
	v_add_co_u32_e32 v70, vcc, v7, v70
	v_addc_co_u32_e32 v71, vcc, v9, v71, vcc
	v_sub_u32_e32 v12, v38, v8
	global_store_short_d16_hi v[70:71], v3, off
	;; [unrolled: 10-line block ×5, first 2 shown]
	v_lshlrev_b64 v[70:71], 1, v[12:13]
	v_add_co_u32_e32 v70, vcc, v7, v70
	v_addc_co_u32_e32 v71, vcc, v9, v71, vcc
	v_sub_u32_e32 v12, v24, v8
	global_store_short v[70:71], v15, off
	v_lshlrev_b64 v[70:71], 1, v[12:13]
	v_add_co_u32_e32 v70, vcc, v7, v70
	v_sub_u32_e32 v12, v22, v8
	v_addc_co_u32_e32 v71, vcc, v9, v71, vcc
	v_lshlrev_b64 v[12:13], 1, v[12:13]
	v_add_co_u32_e32 v12, vcc, v7, v12
	v_addc_co_u32_e32 v13, vcc, v9, v13, vcc
	s_or_b64 s[42:43], s[42:43], exec
	global_store_short_d16_hi v[70:71], v15, off
	global_store_short v[12:13], v16, off
	s_or_b64 exec, exec, s[34:35]
	s_and_b64 exec, exec, s[42:43]
	s_cbranch_execnz .LBB634_139
	s_branch .LBB634_140
.LBB634_214:
	s_and_saveexec_b64 s[42:43], s[30:31]
	s_cbranch_execnz .LBB634_278
; %bb.215:
	s_or_b64 exec, exec, s[42:43]
	s_and_saveexec_b64 s[30:31], s[28:29]
	s_cbranch_execnz .LBB634_279
.LBB634_216:
	s_or_b64 exec, exec, s[30:31]
	s_and_saveexec_b64 s[28:29], s[26:27]
	s_cbranch_execnz .LBB634_280
.LBB634_217:
	s_or_b64 exec, exec, s[28:29]
	s_and_saveexec_b64 s[26:27], s[24:25]
	s_cbranch_execnz .LBB634_281
.LBB634_218:
	s_or_b64 exec, exec, s[26:27]
	s_and_saveexec_b64 s[24:25], s[22:23]
	s_cbranch_execnz .LBB634_282
.LBB634_219:
	s_or_b64 exec, exec, s[24:25]
	s_and_saveexec_b64 s[22:23], s[20:21]
	s_cbranch_execnz .LBB634_283
.LBB634_220:
	s_or_b64 exec, exec, s[22:23]
	s_and_saveexec_b64 s[20:21], s[18:19]
	s_cbranch_execnz .LBB634_284
.LBB634_221:
	s_or_b64 exec, exec, s[20:21]
	s_and_saveexec_b64 s[18:19], s[16:17]
	s_cbranch_execnz .LBB634_285
.LBB634_222:
	s_or_b64 exec, exec, s[18:19]
	s_and_saveexec_b64 s[16:17], s[14:15]
	s_cbranch_execnz .LBB634_286
.LBB634_223:
	s_or_b64 exec, exec, s[16:17]
	s_and_saveexec_b64 s[14:15], s[12:13]
	s_cbranch_execnz .LBB634_287
.LBB634_224:
	s_or_b64 exec, exec, s[14:15]
	s_and_saveexec_b64 s[12:13], s[10:11]
	s_cbranch_execnz .LBB634_288
.LBB634_225:
	s_or_b64 exec, exec, s[12:13]
	s_and_saveexec_b64 s[10:11], s[8:9]
	s_cbranch_execnz .LBB634_289
.LBB634_226:
	s_or_b64 exec, exec, s[10:11]
	s_and_saveexec_b64 s[8:9], s[6:7]
	s_cbranch_execnz .LBB634_290
.LBB634_227:
	s_or_b64 exec, exec, s[8:9]
	s_and_saveexec_b64 s[6:7], s[4:5]
	s_cbranch_execz .LBB634_229
.LBB634_228:
	v_sub_u32_e32 v1, v22, v8
	v_lshlrev_b32_e32 v1, 1, v1
	ds_write_b16 v1, v16
.LBB634_229:
	s_or_b64 exec, exec, s[6:7]
	s_and_b64 s[42:43], s[2:3], exec
                                        ; implicit-def: $vgpr1
                                        ; implicit-def: $vgpr2
	s_andn2_saveexec_b64 s[2:3], s[40:41]
	s_cbranch_execz .LBB634_145
.LBB634_230:
	v_sub_u32_e32 v10, v48, v8
	v_lshlrev_b32_e32 v10, 1, v10
	ds_write_b16 v10, v1
	v_sub_u32_e32 v1, v46, v8
	v_lshlrev_b32_e32 v1, 1, v1
	ds_write_b16 v1, v2
	v_sub_u32_e32 v1, v44, v8
	v_lshlrev_b32_e32 v1, 1, v1
	ds_write_b16_d16_hi v1, v2
	v_sub_u32_e32 v1, v42, v8
	v_lshlrev_b32_e32 v1, 1, v1
	ds_write_b16 v1, v3
	v_sub_u32_e32 v1, v40, v8
	v_lshlrev_b32_e32 v1, 1, v1
	ds_write_b16_d16_hi v1, v3
	;; [unrolled: 6-line block ×6, first 2 shown]
	v_sub_u32_e32 v1, v22, v8
	v_lshlrev_b32_e32 v1, 1, v1
	s_or_b64 s[42:43], s[42:43], exec
	ds_write_b16 v1, v16
	s_or_b64 exec, exec, s[2:3]
	s_and_b64 exec, exec, s[42:43]
	s_cbranch_execnz .LBB634_146
	s_branch .LBB634_147
.LBB634_231:
	s_and_saveexec_b64 s[38:39], s[28:29]
	s_cbranch_execnz .LBB634_291
; %bb.232:
	s_or_b64 exec, exec, s[38:39]
	s_and_saveexec_b64 s[38:39], s[26:27]
	s_cbranch_execnz .LBB634_292
.LBB634_233:
	s_or_b64 exec, exec, s[38:39]
	s_and_saveexec_b64 s[38:39], s[24:25]
	s_cbranch_execnz .LBB634_293
.LBB634_234:
	s_or_b64 exec, exec, s[38:39]
	s_and_saveexec_b64 s[38:39], s[22:23]
	s_cbranch_execnz .LBB634_294
.LBB634_235:
	s_or_b64 exec, exec, s[38:39]
	s_and_saveexec_b64 s[38:39], s[20:21]
	s_cbranch_execnz .LBB634_295
.LBB634_236:
	s_or_b64 exec, exec, s[38:39]
	s_and_saveexec_b64 s[38:39], s[18:19]
	s_cbranch_execnz .LBB634_296
.LBB634_237:
	s_or_b64 exec, exec, s[38:39]
	s_and_saveexec_b64 s[38:39], s[16:17]
	s_cbranch_execnz .LBB634_297
.LBB634_238:
	s_or_b64 exec, exec, s[38:39]
	s_and_saveexec_b64 s[38:39], s[14:15]
	s_cbranch_execnz .LBB634_298
.LBB634_239:
	s_or_b64 exec, exec, s[38:39]
	s_and_saveexec_b64 s[38:39], s[12:13]
	s_cbranch_execnz .LBB634_299
.LBB634_240:
	s_or_b64 exec, exec, s[38:39]
	s_and_saveexec_b64 s[38:39], s[10:11]
	s_cbranch_execnz .LBB634_300
.LBB634_241:
	s_or_b64 exec, exec, s[38:39]
	s_and_saveexec_b64 s[38:39], s[8:9]
	s_cbranch_execnz .LBB634_301
.LBB634_242:
	s_or_b64 exec, exec, s[38:39]
	s_and_saveexec_b64 s[38:39], s[6:7]
	s_cbranch_execnz .LBB634_302
.LBB634_243:
	s_or_b64 exec, exec, s[38:39]
	s_and_saveexec_b64 s[38:39], s[4:5]
	s_cbranch_execnz .LBB634_303
.LBB634_244:
	s_or_b64 exec, exec, s[38:39]
	s_and_saveexec_b64 s[38:39], s[2:3]
	s_cbranch_execz .LBB634_246
.LBB634_245:
	v_sub_u32_e32 v10, v22, v3
	v_mov_b32_e32 v11, 0
	v_lshlrev_b64 v[10:11], 1, v[10:11]
	v_add_co_u32_e32 v10, vcc, v15, v10
	v_addc_co_u32_e32 v11, vcc, v16, v11, vcc
	global_store_short v[10:11], v23, off
.LBB634_246:
	s_or_b64 exec, exec, s[38:39]
	s_and_b64 s[38:39], s[0:1], exec
	s_andn2_saveexec_b64 s[30:31], s[30:31]
	s_cbranch_execz .LBB634_167
.LBB634_247:
	v_sub_u32_e32 v10, v48, v3
	v_mov_b32_e32 v11, 0
	v_lshlrev_b64 v[12:13], 1, v[10:11]
	v_add_co_u32_e32 v12, vcc, v15, v12
	v_addc_co_u32_e32 v13, vcc, v16, v13, vcc
	v_sub_u32_e32 v10, v46, v3
	global_store_short v[12:13], v49, off
	v_lshlrev_b64 v[12:13], 1, v[10:11]
	v_add_co_u32_e32 v12, vcc, v15, v12
	v_addc_co_u32_e32 v13, vcc, v16, v13, vcc
	v_sub_u32_e32 v10, v44, v3
	global_store_short v[12:13], v47, off
	;; [unrolled: 5-line block ×12, first 2 shown]
	v_lshlrev_b64 v[12:13], 1, v[10:11]
	v_add_co_u32_e32 v12, vcc, v15, v12
	v_sub_u32_e32 v10, v22, v3
	v_addc_co_u32_e32 v13, vcc, v16, v13, vcc
	v_lshlrev_b64 v[10:11], 1, v[10:11]
	v_add_co_u32_e32 v10, vcc, v15, v10
	v_addc_co_u32_e32 v11, vcc, v16, v11, vcc
	s_or_b64 s[38:39], s[38:39], exec
	global_store_short v[12:13], v25, off
	global_store_short v[10:11], v23, off
	s_or_b64 exec, exec, s[30:31]
	s_and_b64 exec, exec, s[38:39]
	s_cbranch_execnz .LBB634_168
	s_branch .LBB634_169
.LBB634_248:
	s_and_saveexec_b64 s[38:39], s[28:29]
	s_cbranch_execnz .LBB634_304
; %bb.249:
	s_or_b64 exec, exec, s[38:39]
	s_and_saveexec_b64 s[28:29], s[26:27]
	s_cbranch_execnz .LBB634_305
.LBB634_250:
	s_or_b64 exec, exec, s[28:29]
	s_and_saveexec_b64 s[26:27], s[24:25]
	s_cbranch_execnz .LBB634_306
.LBB634_251:
	s_or_b64 exec, exec, s[26:27]
	s_and_saveexec_b64 s[24:25], s[22:23]
	s_cbranch_execnz .LBB634_307
.LBB634_252:
	s_or_b64 exec, exec, s[24:25]
	s_and_saveexec_b64 s[22:23], s[20:21]
	s_cbranch_execnz .LBB634_308
.LBB634_253:
	s_or_b64 exec, exec, s[22:23]
	s_and_saveexec_b64 s[20:21], s[18:19]
	s_cbranch_execnz .LBB634_309
.LBB634_254:
	s_or_b64 exec, exec, s[20:21]
	s_and_saveexec_b64 s[18:19], s[16:17]
	s_cbranch_execnz .LBB634_310
.LBB634_255:
	s_or_b64 exec, exec, s[18:19]
	s_and_saveexec_b64 s[16:17], s[14:15]
	s_cbranch_execnz .LBB634_311
.LBB634_256:
	s_or_b64 exec, exec, s[16:17]
	s_and_saveexec_b64 s[14:15], s[12:13]
	s_cbranch_execnz .LBB634_312
.LBB634_257:
	s_or_b64 exec, exec, s[14:15]
	s_and_saveexec_b64 s[12:13], s[10:11]
	s_cbranch_execnz .LBB634_313
.LBB634_258:
	s_or_b64 exec, exec, s[12:13]
	s_and_saveexec_b64 s[10:11], s[8:9]
	s_cbranch_execnz .LBB634_314
.LBB634_259:
	s_or_b64 exec, exec, s[10:11]
	s_and_saveexec_b64 s[8:9], s[6:7]
	s_cbranch_execnz .LBB634_315
.LBB634_260:
	s_or_b64 exec, exec, s[8:9]
	s_and_saveexec_b64 s[6:7], s[4:5]
	s_cbranch_execnz .LBB634_316
.LBB634_261:
	s_or_b64 exec, exec, s[6:7]
	s_and_saveexec_b64 s[4:5], s[2:3]
	s_cbranch_execz .LBB634_263
.LBB634_262:
	v_sub_u32_e32 v4, v22, v3
	v_lshlrev_b32_e32 v4, 1, v4
	ds_write_b16 v4, v23
.LBB634_263:
	s_or_b64 exec, exec, s[4:5]
	s_and_b64 s[38:39], s[0:1], exec
                                        ; implicit-def: $vgpr48_vgpr49
                                        ; implicit-def: $vgpr46_vgpr47
                                        ; implicit-def: $vgpr44_vgpr45
                                        ; implicit-def: $vgpr42_vgpr43
                                        ; implicit-def: $vgpr40_vgpr41
                                        ; implicit-def: $vgpr38_vgpr39
                                        ; implicit-def: $vgpr36_vgpr37
                                        ; implicit-def: $vgpr34_vgpr35
                                        ; implicit-def: $vgpr32_vgpr33
                                        ; implicit-def: $vgpr30_vgpr31
                                        ; implicit-def: $vgpr28_vgpr29
                                        ; implicit-def: $vgpr26_vgpr27
                                        ; implicit-def: $vgpr24_vgpr25
                                        ; implicit-def: $vgpr22_vgpr23
	s_andn2_saveexec_b64 s[0:1], s[34:35]
	s_cbranch_execz .LBB634_174
.LBB634_264:
	v_sub_u32_e32 v4, v48, v3
	v_lshlrev_b32_e32 v4, 1, v4
	ds_write_b16 v4, v49
	v_sub_u32_e32 v4, v46, v3
	v_lshlrev_b32_e32 v4, 1, v4
	ds_write_b16 v4, v47
	;; [unrolled: 3-line block ×13, first 2 shown]
	v_sub_u32_e32 v4, v22, v3
	v_lshlrev_b32_e32 v4, 1, v4
	s_or_b64 s[38:39], s[38:39], exec
	ds_write_b16 v4, v23
	s_or_b64 exec, exec, s[0:1]
	s_and_b64 exec, exec, s[38:39]
	s_cbranch_execnz .LBB634_175
	s_branch .LBB634_176
.LBB634_265:
	v_sub_u32_e32 v12, v48, v8
	v_mov_b32_e32 v13, 0
	v_lshlrev_b64 v[12:13], 1, v[12:13]
	v_add_co_u32_e32 v12, vcc, v7, v12
	v_addc_co_u32_e32 v13, vcc, v9, v13, vcc
	global_store_short v[12:13], v1, off
	s_or_b64 exec, exec, s[42:43]
	s_and_saveexec_b64 s[42:43], s[28:29]
	s_cbranch_execz .LBB634_199
.LBB634_266:
	v_sub_u32_e32 v12, v46, v8
	v_mov_b32_e32 v13, 0
	v_lshlrev_b64 v[12:13], 1, v[12:13]
	v_add_co_u32_e32 v12, vcc, v7, v12
	v_addc_co_u32_e32 v13, vcc, v9, v13, vcc
	global_store_short v[12:13], v2, off
	s_or_b64 exec, exec, s[42:43]
	s_and_saveexec_b64 s[42:43], s[26:27]
	s_cbranch_execz .LBB634_200
.LBB634_267:
	v_sub_u32_e32 v12, v44, v8
	v_mov_b32_e32 v13, 0
	v_lshlrev_b64 v[12:13], 1, v[12:13]
	v_add_co_u32_e32 v12, vcc, v7, v12
	v_addc_co_u32_e32 v13, vcc, v9, v13, vcc
	global_store_short_d16_hi v[12:13], v2, off
	s_or_b64 exec, exec, s[42:43]
	s_and_saveexec_b64 s[42:43], s[24:25]
	s_cbranch_execz .LBB634_201
.LBB634_268:
	v_sub_u32_e32 v12, v42, v8
	v_mov_b32_e32 v13, 0
	v_lshlrev_b64 v[12:13], 1, v[12:13]
	v_add_co_u32_e32 v12, vcc, v7, v12
	v_addc_co_u32_e32 v13, vcc, v9, v13, vcc
	global_store_short v[12:13], v3, off
	s_or_b64 exec, exec, s[42:43]
	s_and_saveexec_b64 s[42:43], s[22:23]
	s_cbranch_execz .LBB634_202
.LBB634_269:
	v_sub_u32_e32 v12, v40, v8
	v_mov_b32_e32 v13, 0
	v_lshlrev_b64 v[12:13], 1, v[12:13]
	v_add_co_u32_e32 v12, vcc, v7, v12
	v_addc_co_u32_e32 v13, vcc, v9, v13, vcc
	global_store_short_d16_hi v[12:13], v3, off
	s_or_b64 exec, exec, s[42:43]
	s_and_saveexec_b64 s[42:43], s[20:21]
	s_cbranch_execz .LBB634_203
.LBB634_270:
	v_sub_u32_e32 v12, v38, v8
	v_mov_b32_e32 v13, 0
	v_lshlrev_b64 v[12:13], 1, v[12:13]
	v_add_co_u32_e32 v12, vcc, v7, v12
	v_addc_co_u32_e32 v13, vcc, v9, v13, vcc
	global_store_short v[12:13], v4, off
	s_or_b64 exec, exec, s[42:43]
	s_and_saveexec_b64 s[42:43], s[18:19]
	s_cbranch_execz .LBB634_204
.LBB634_271:
	v_sub_u32_e32 v12, v36, v8
	v_mov_b32_e32 v13, 0
	v_lshlrev_b64 v[12:13], 1, v[12:13]
	v_add_co_u32_e32 v12, vcc, v7, v12
	v_addc_co_u32_e32 v13, vcc, v9, v13, vcc
	global_store_short_d16_hi v[12:13], v4, off
	s_or_b64 exec, exec, s[42:43]
	s_and_saveexec_b64 s[42:43], s[16:17]
	s_cbranch_execz .LBB634_205
.LBB634_272:
	v_sub_u32_e32 v12, v34, v8
	v_mov_b32_e32 v13, 0
	v_lshlrev_b64 v[12:13], 1, v[12:13]
	v_add_co_u32_e32 v12, vcc, v7, v12
	v_addc_co_u32_e32 v13, vcc, v9, v13, vcc
	global_store_short v[12:13], v5, off
	s_or_b64 exec, exec, s[42:43]
	s_and_saveexec_b64 s[42:43], s[14:15]
	s_cbranch_execz .LBB634_206
.LBB634_273:
	v_sub_u32_e32 v12, v32, v8
	v_mov_b32_e32 v13, 0
	v_lshlrev_b64 v[12:13], 1, v[12:13]
	v_add_co_u32_e32 v12, vcc, v7, v12
	v_addc_co_u32_e32 v13, vcc, v9, v13, vcc
	global_store_short_d16_hi v[12:13], v5, off
	s_or_b64 exec, exec, s[42:43]
	s_and_saveexec_b64 s[42:43], s[12:13]
	s_cbranch_execz .LBB634_207
.LBB634_274:
	v_sub_u32_e32 v12, v30, v8
	v_mov_b32_e32 v13, 0
	v_lshlrev_b64 v[12:13], 1, v[12:13]
	v_add_co_u32_e32 v12, vcc, v7, v12
	v_addc_co_u32_e32 v13, vcc, v9, v13, vcc
	global_store_short v[12:13], v14, off
	s_or_b64 exec, exec, s[42:43]
	s_and_saveexec_b64 s[42:43], s[10:11]
	s_cbranch_execz .LBB634_208
.LBB634_275:
	v_sub_u32_e32 v12, v28, v8
	v_mov_b32_e32 v13, 0
	v_lshlrev_b64 v[12:13], 1, v[12:13]
	v_add_co_u32_e32 v12, vcc, v7, v12
	v_addc_co_u32_e32 v13, vcc, v9, v13, vcc
	global_store_short_d16_hi v[12:13], v14, off
	s_or_b64 exec, exec, s[42:43]
	s_and_saveexec_b64 s[42:43], s[8:9]
	s_cbranch_execz .LBB634_209
.LBB634_276:
	v_sub_u32_e32 v12, v26, v8
	v_mov_b32_e32 v13, 0
	v_lshlrev_b64 v[12:13], 1, v[12:13]
	v_add_co_u32_e32 v12, vcc, v7, v12
	v_addc_co_u32_e32 v13, vcc, v9, v13, vcc
	global_store_short v[12:13], v15, off
	s_or_b64 exec, exec, s[42:43]
	s_and_saveexec_b64 s[42:43], s[6:7]
	s_cbranch_execz .LBB634_210
.LBB634_277:
	v_sub_u32_e32 v12, v24, v8
	v_mov_b32_e32 v13, 0
	v_lshlrev_b64 v[12:13], 1, v[12:13]
	v_add_co_u32_e32 v12, vcc, v7, v12
	v_addc_co_u32_e32 v13, vcc, v9, v13, vcc
	global_store_short_d16_hi v[12:13], v15, off
	s_or_b64 exec, exec, s[42:43]
	s_and_saveexec_b64 s[42:43], s[4:5]
	s_cbranch_execnz .LBB634_211
	s_branch .LBB634_212
.LBB634_278:
	v_sub_u32_e32 v10, v48, v8
	v_lshlrev_b32_e32 v10, 1, v10
	ds_write_b16 v10, v1
	s_or_b64 exec, exec, s[42:43]
	s_and_saveexec_b64 s[30:31], s[28:29]
	s_cbranch_execz .LBB634_216
.LBB634_279:
	v_sub_u32_e32 v1, v46, v8
	v_lshlrev_b32_e32 v1, 1, v1
	ds_write_b16 v1, v2
	s_or_b64 exec, exec, s[30:31]
	s_and_saveexec_b64 s[28:29], s[26:27]
	s_cbranch_execz .LBB634_217
.LBB634_280:
	v_sub_u32_e32 v1, v44, v8
	v_lshlrev_b32_e32 v1, 1, v1
	ds_write_b16_d16_hi v1, v2
	s_or_b64 exec, exec, s[28:29]
	s_and_saveexec_b64 s[26:27], s[24:25]
	s_cbranch_execz .LBB634_218
.LBB634_281:
	v_sub_u32_e32 v1, v42, v8
	v_lshlrev_b32_e32 v1, 1, v1
	ds_write_b16 v1, v3
	s_or_b64 exec, exec, s[26:27]
	s_and_saveexec_b64 s[24:25], s[22:23]
	s_cbranch_execz .LBB634_219
.LBB634_282:
	v_sub_u32_e32 v1, v40, v8
	v_lshlrev_b32_e32 v1, 1, v1
	ds_write_b16_d16_hi v1, v3
	s_or_b64 exec, exec, s[24:25]
	s_and_saveexec_b64 s[22:23], s[20:21]
	s_cbranch_execz .LBB634_220
.LBB634_283:
	v_sub_u32_e32 v1, v38, v8
	v_lshlrev_b32_e32 v1, 1, v1
	ds_write_b16 v1, v4
	s_or_b64 exec, exec, s[22:23]
	s_and_saveexec_b64 s[20:21], s[18:19]
	s_cbranch_execz .LBB634_221
.LBB634_284:
	v_sub_u32_e32 v1, v36, v8
	v_lshlrev_b32_e32 v1, 1, v1
	ds_write_b16_d16_hi v1, v4
	s_or_b64 exec, exec, s[20:21]
	s_and_saveexec_b64 s[18:19], s[16:17]
	s_cbranch_execz .LBB634_222
.LBB634_285:
	v_sub_u32_e32 v1, v34, v8
	v_lshlrev_b32_e32 v1, 1, v1
	ds_write_b16 v1, v5
	s_or_b64 exec, exec, s[18:19]
	s_and_saveexec_b64 s[16:17], s[14:15]
	s_cbranch_execz .LBB634_223
.LBB634_286:
	v_sub_u32_e32 v1, v32, v8
	v_lshlrev_b32_e32 v1, 1, v1
	ds_write_b16_d16_hi v1, v5
	s_or_b64 exec, exec, s[16:17]
	s_and_saveexec_b64 s[14:15], s[12:13]
	s_cbranch_execz .LBB634_224
.LBB634_287:
	v_sub_u32_e32 v1, v30, v8
	v_lshlrev_b32_e32 v1, 1, v1
	ds_write_b16 v1, v14
	s_or_b64 exec, exec, s[14:15]
	s_and_saveexec_b64 s[12:13], s[10:11]
	s_cbranch_execz .LBB634_225
.LBB634_288:
	v_sub_u32_e32 v1, v28, v8
	v_lshlrev_b32_e32 v1, 1, v1
	ds_write_b16_d16_hi v1, v14
	s_or_b64 exec, exec, s[12:13]
	s_and_saveexec_b64 s[10:11], s[8:9]
	s_cbranch_execz .LBB634_226
.LBB634_289:
	v_sub_u32_e32 v1, v26, v8
	v_lshlrev_b32_e32 v1, 1, v1
	ds_write_b16 v1, v15
	s_or_b64 exec, exec, s[10:11]
	s_and_saveexec_b64 s[8:9], s[6:7]
	s_cbranch_execz .LBB634_227
.LBB634_290:
	v_sub_u32_e32 v1, v24, v8
	v_lshlrev_b32_e32 v1, 1, v1
	ds_write_b16_d16_hi v1, v15
	s_or_b64 exec, exec, s[8:9]
	s_and_saveexec_b64 s[6:7], s[4:5]
	s_cbranch_execnz .LBB634_228
	s_branch .LBB634_229
.LBB634_291:
	v_sub_u32_e32 v10, v48, v3
	v_mov_b32_e32 v11, 0
	v_lshlrev_b64 v[10:11], 1, v[10:11]
	v_add_co_u32_e32 v10, vcc, v15, v10
	v_addc_co_u32_e32 v11, vcc, v16, v11, vcc
	global_store_short v[10:11], v49, off
	s_or_b64 exec, exec, s[38:39]
	s_and_saveexec_b64 s[38:39], s[26:27]
	s_cbranch_execz .LBB634_233
.LBB634_292:
	v_sub_u32_e32 v10, v46, v3
	v_mov_b32_e32 v11, 0
	v_lshlrev_b64 v[10:11], 1, v[10:11]
	v_add_co_u32_e32 v10, vcc, v15, v10
	v_addc_co_u32_e32 v11, vcc, v16, v11, vcc
	global_store_short v[10:11], v47, off
	s_or_b64 exec, exec, s[38:39]
	s_and_saveexec_b64 s[38:39], s[24:25]
	s_cbranch_execz .LBB634_234
.LBB634_293:
	v_sub_u32_e32 v10, v44, v3
	v_mov_b32_e32 v11, 0
	v_lshlrev_b64 v[10:11], 1, v[10:11]
	v_add_co_u32_e32 v10, vcc, v15, v10
	v_addc_co_u32_e32 v11, vcc, v16, v11, vcc
	global_store_short v[10:11], v45, off
	s_or_b64 exec, exec, s[38:39]
	s_and_saveexec_b64 s[38:39], s[22:23]
	s_cbranch_execz .LBB634_235
.LBB634_294:
	v_sub_u32_e32 v10, v42, v3
	v_mov_b32_e32 v11, 0
	v_lshlrev_b64 v[10:11], 1, v[10:11]
	v_add_co_u32_e32 v10, vcc, v15, v10
	v_addc_co_u32_e32 v11, vcc, v16, v11, vcc
	global_store_short v[10:11], v43, off
	s_or_b64 exec, exec, s[38:39]
	s_and_saveexec_b64 s[38:39], s[20:21]
	s_cbranch_execz .LBB634_236
.LBB634_295:
	v_sub_u32_e32 v10, v40, v3
	v_mov_b32_e32 v11, 0
	v_lshlrev_b64 v[10:11], 1, v[10:11]
	v_add_co_u32_e32 v10, vcc, v15, v10
	v_addc_co_u32_e32 v11, vcc, v16, v11, vcc
	global_store_short v[10:11], v41, off
	s_or_b64 exec, exec, s[38:39]
	s_and_saveexec_b64 s[38:39], s[18:19]
	s_cbranch_execz .LBB634_237
.LBB634_296:
	v_sub_u32_e32 v10, v38, v3
	v_mov_b32_e32 v11, 0
	v_lshlrev_b64 v[10:11], 1, v[10:11]
	v_add_co_u32_e32 v10, vcc, v15, v10
	v_addc_co_u32_e32 v11, vcc, v16, v11, vcc
	global_store_short v[10:11], v39, off
	s_or_b64 exec, exec, s[38:39]
	s_and_saveexec_b64 s[38:39], s[16:17]
	s_cbranch_execz .LBB634_238
.LBB634_297:
	v_sub_u32_e32 v10, v36, v3
	v_mov_b32_e32 v11, 0
	v_lshlrev_b64 v[10:11], 1, v[10:11]
	v_add_co_u32_e32 v10, vcc, v15, v10
	v_addc_co_u32_e32 v11, vcc, v16, v11, vcc
	global_store_short v[10:11], v37, off
	s_or_b64 exec, exec, s[38:39]
	s_and_saveexec_b64 s[38:39], s[14:15]
	s_cbranch_execz .LBB634_239
.LBB634_298:
	v_sub_u32_e32 v10, v34, v3
	v_mov_b32_e32 v11, 0
	v_lshlrev_b64 v[10:11], 1, v[10:11]
	v_add_co_u32_e32 v10, vcc, v15, v10
	v_addc_co_u32_e32 v11, vcc, v16, v11, vcc
	global_store_short v[10:11], v35, off
	s_or_b64 exec, exec, s[38:39]
	s_and_saveexec_b64 s[38:39], s[12:13]
	s_cbranch_execz .LBB634_240
.LBB634_299:
	v_sub_u32_e32 v10, v32, v3
	v_mov_b32_e32 v11, 0
	v_lshlrev_b64 v[10:11], 1, v[10:11]
	v_add_co_u32_e32 v10, vcc, v15, v10
	v_addc_co_u32_e32 v11, vcc, v16, v11, vcc
	global_store_short v[10:11], v33, off
	s_or_b64 exec, exec, s[38:39]
	s_and_saveexec_b64 s[38:39], s[10:11]
	s_cbranch_execz .LBB634_241
.LBB634_300:
	v_sub_u32_e32 v10, v30, v3
	v_mov_b32_e32 v11, 0
	v_lshlrev_b64 v[10:11], 1, v[10:11]
	v_add_co_u32_e32 v10, vcc, v15, v10
	v_addc_co_u32_e32 v11, vcc, v16, v11, vcc
	global_store_short v[10:11], v31, off
	s_or_b64 exec, exec, s[38:39]
	s_and_saveexec_b64 s[38:39], s[8:9]
	s_cbranch_execz .LBB634_242
.LBB634_301:
	v_sub_u32_e32 v10, v28, v3
	v_mov_b32_e32 v11, 0
	v_lshlrev_b64 v[10:11], 1, v[10:11]
	v_add_co_u32_e32 v10, vcc, v15, v10
	v_addc_co_u32_e32 v11, vcc, v16, v11, vcc
	global_store_short v[10:11], v29, off
	s_or_b64 exec, exec, s[38:39]
	s_and_saveexec_b64 s[38:39], s[6:7]
	s_cbranch_execz .LBB634_243
.LBB634_302:
	v_sub_u32_e32 v10, v26, v3
	v_mov_b32_e32 v11, 0
	v_lshlrev_b64 v[10:11], 1, v[10:11]
	v_add_co_u32_e32 v10, vcc, v15, v10
	v_addc_co_u32_e32 v11, vcc, v16, v11, vcc
	global_store_short v[10:11], v27, off
	s_or_b64 exec, exec, s[38:39]
	s_and_saveexec_b64 s[38:39], s[4:5]
	s_cbranch_execz .LBB634_244
.LBB634_303:
	v_sub_u32_e32 v10, v24, v3
	v_mov_b32_e32 v11, 0
	v_lshlrev_b64 v[10:11], 1, v[10:11]
	v_add_co_u32_e32 v10, vcc, v15, v10
	v_addc_co_u32_e32 v11, vcc, v16, v11, vcc
	global_store_short v[10:11], v25, off
	s_or_b64 exec, exec, s[38:39]
	s_and_saveexec_b64 s[38:39], s[2:3]
	s_cbranch_execnz .LBB634_245
	s_branch .LBB634_246
.LBB634_304:
	v_sub_u32_e32 v4, v48, v3
	v_lshlrev_b32_e32 v4, 1, v4
	ds_write_b16 v4, v49
	s_or_b64 exec, exec, s[38:39]
	s_and_saveexec_b64 s[28:29], s[26:27]
	s_cbranch_execz .LBB634_250
.LBB634_305:
	v_sub_u32_e32 v4, v46, v3
	v_lshlrev_b32_e32 v4, 1, v4
	ds_write_b16 v4, v47
	s_or_b64 exec, exec, s[28:29]
	s_and_saveexec_b64 s[26:27], s[24:25]
	s_cbranch_execz .LBB634_251
.LBB634_306:
	v_sub_u32_e32 v4, v44, v3
	v_lshlrev_b32_e32 v4, 1, v4
	ds_write_b16 v4, v45
	s_or_b64 exec, exec, s[26:27]
	s_and_saveexec_b64 s[24:25], s[22:23]
	s_cbranch_execz .LBB634_252
.LBB634_307:
	v_sub_u32_e32 v4, v42, v3
	v_lshlrev_b32_e32 v4, 1, v4
	ds_write_b16 v4, v43
	s_or_b64 exec, exec, s[24:25]
	s_and_saveexec_b64 s[22:23], s[20:21]
	s_cbranch_execz .LBB634_253
.LBB634_308:
	v_sub_u32_e32 v4, v40, v3
	v_lshlrev_b32_e32 v4, 1, v4
	ds_write_b16 v4, v41
	s_or_b64 exec, exec, s[22:23]
	s_and_saveexec_b64 s[20:21], s[18:19]
	s_cbranch_execz .LBB634_254
.LBB634_309:
	v_sub_u32_e32 v4, v38, v3
	v_lshlrev_b32_e32 v4, 1, v4
	ds_write_b16 v4, v39
	s_or_b64 exec, exec, s[20:21]
	s_and_saveexec_b64 s[18:19], s[16:17]
	s_cbranch_execz .LBB634_255
.LBB634_310:
	v_sub_u32_e32 v4, v36, v3
	v_lshlrev_b32_e32 v4, 1, v4
	ds_write_b16 v4, v37
	s_or_b64 exec, exec, s[18:19]
	s_and_saveexec_b64 s[16:17], s[14:15]
	s_cbranch_execz .LBB634_256
.LBB634_311:
	v_sub_u32_e32 v4, v34, v3
	v_lshlrev_b32_e32 v4, 1, v4
	ds_write_b16 v4, v35
	s_or_b64 exec, exec, s[16:17]
	s_and_saveexec_b64 s[14:15], s[12:13]
	s_cbranch_execz .LBB634_257
.LBB634_312:
	v_sub_u32_e32 v4, v32, v3
	v_lshlrev_b32_e32 v4, 1, v4
	ds_write_b16 v4, v33
	s_or_b64 exec, exec, s[14:15]
	s_and_saveexec_b64 s[12:13], s[10:11]
	s_cbranch_execz .LBB634_258
.LBB634_313:
	v_sub_u32_e32 v4, v30, v3
	v_lshlrev_b32_e32 v4, 1, v4
	ds_write_b16 v4, v31
	s_or_b64 exec, exec, s[12:13]
	s_and_saveexec_b64 s[10:11], s[8:9]
	s_cbranch_execz .LBB634_259
.LBB634_314:
	v_sub_u32_e32 v4, v28, v3
	v_lshlrev_b32_e32 v4, 1, v4
	ds_write_b16 v4, v29
	s_or_b64 exec, exec, s[10:11]
	s_and_saveexec_b64 s[8:9], s[6:7]
	s_cbranch_execz .LBB634_260
.LBB634_315:
	v_sub_u32_e32 v4, v26, v3
	v_lshlrev_b32_e32 v4, 1, v4
	ds_write_b16 v4, v27
	s_or_b64 exec, exec, s[8:9]
	s_and_saveexec_b64 s[6:7], s[4:5]
	s_cbranch_execz .LBB634_261
.LBB634_316:
	v_sub_u32_e32 v4, v24, v3
	v_lshlrev_b32_e32 v4, 1, v4
	ds_write_b16 v4, v25
	s_or_b64 exec, exec, s[6:7]
	s_and_saveexec_b64 s[4:5], s[2:3]
	s_cbranch_execnz .LBB634_262
	s_branch .LBB634_263
	.section	.rodata,"a",@progbits
	.p2align	6, 0x0
	.amdhsa_kernel _ZN7rocprim17ROCPRIM_400000_NS6detail17trampoline_kernelINS0_14default_configENS1_29reduce_by_key_config_selectorIssN6thrust23THRUST_200600_302600_NS4plusIsEEEEZZNS1_33reduce_by_key_impl_wrapped_configILNS1_25lookback_scan_determinismE0ES3_S9_NS6_6detail15normal_iteratorINS6_10device_ptrIsEEEESG_SG_SG_PmS8_NS6_8equal_toIsEEEE10hipError_tPvRmT2_T3_mT4_T5_T6_T7_T8_P12ihipStream_tbENKUlT_T0_E_clISt17integral_constantIbLb1EES11_EEDaSW_SX_EUlSW_E_NS1_11comp_targetILNS1_3genE4ELNS1_11target_archE910ELNS1_3gpuE8ELNS1_3repE0EEENS1_30default_config_static_selectorELNS0_4arch9wavefront6targetE1EEEvT1_
		.amdhsa_group_segment_fixed_size 7680
		.amdhsa_private_segment_fixed_size 0
		.amdhsa_kernarg_size 120
		.amdhsa_user_sgpr_count 6
		.amdhsa_user_sgpr_private_segment_buffer 1
		.amdhsa_user_sgpr_dispatch_ptr 0
		.amdhsa_user_sgpr_queue_ptr 0
		.amdhsa_user_sgpr_kernarg_segment_ptr 1
		.amdhsa_user_sgpr_dispatch_id 0
		.amdhsa_user_sgpr_flat_scratch_init 0
		.amdhsa_user_sgpr_kernarg_preload_length 0
		.amdhsa_user_sgpr_kernarg_preload_offset 0
		.amdhsa_user_sgpr_private_segment_size 0
		.amdhsa_uses_dynamic_stack 0
		.amdhsa_system_sgpr_private_segment_wavefront_offset 0
		.amdhsa_system_sgpr_workgroup_id_x 1
		.amdhsa_system_sgpr_workgroup_id_y 0
		.amdhsa_system_sgpr_workgroup_id_z 0
		.amdhsa_system_sgpr_workgroup_info 0
		.amdhsa_system_vgpr_workitem_id 0
		.amdhsa_next_free_vgpr 111
		.amdhsa_next_free_sgpr 66
		.amdhsa_accum_offset 112
		.amdhsa_reserve_vcc 1
		.amdhsa_reserve_flat_scratch 0
		.amdhsa_float_round_mode_32 0
		.amdhsa_float_round_mode_16_64 0
		.amdhsa_float_denorm_mode_32 3
		.amdhsa_float_denorm_mode_16_64 3
		.amdhsa_dx10_clamp 1
		.amdhsa_ieee_mode 1
		.amdhsa_fp16_overflow 0
		.amdhsa_tg_split 0
		.amdhsa_exception_fp_ieee_invalid_op 0
		.amdhsa_exception_fp_denorm_src 0
		.amdhsa_exception_fp_ieee_div_zero 0
		.amdhsa_exception_fp_ieee_overflow 0
		.amdhsa_exception_fp_ieee_underflow 0
		.amdhsa_exception_fp_ieee_inexact 0
		.amdhsa_exception_int_div_zero 0
	.end_amdhsa_kernel
	.section	.text._ZN7rocprim17ROCPRIM_400000_NS6detail17trampoline_kernelINS0_14default_configENS1_29reduce_by_key_config_selectorIssN6thrust23THRUST_200600_302600_NS4plusIsEEEEZZNS1_33reduce_by_key_impl_wrapped_configILNS1_25lookback_scan_determinismE0ES3_S9_NS6_6detail15normal_iteratorINS6_10device_ptrIsEEEESG_SG_SG_PmS8_NS6_8equal_toIsEEEE10hipError_tPvRmT2_T3_mT4_T5_T6_T7_T8_P12ihipStream_tbENKUlT_T0_E_clISt17integral_constantIbLb1EES11_EEDaSW_SX_EUlSW_E_NS1_11comp_targetILNS1_3genE4ELNS1_11target_archE910ELNS1_3gpuE8ELNS1_3repE0EEENS1_30default_config_static_selectorELNS0_4arch9wavefront6targetE1EEEvT1_,"axG",@progbits,_ZN7rocprim17ROCPRIM_400000_NS6detail17trampoline_kernelINS0_14default_configENS1_29reduce_by_key_config_selectorIssN6thrust23THRUST_200600_302600_NS4plusIsEEEEZZNS1_33reduce_by_key_impl_wrapped_configILNS1_25lookback_scan_determinismE0ES3_S9_NS6_6detail15normal_iteratorINS6_10device_ptrIsEEEESG_SG_SG_PmS8_NS6_8equal_toIsEEEE10hipError_tPvRmT2_T3_mT4_T5_T6_T7_T8_P12ihipStream_tbENKUlT_T0_E_clISt17integral_constantIbLb1EES11_EEDaSW_SX_EUlSW_E_NS1_11comp_targetILNS1_3genE4ELNS1_11target_archE910ELNS1_3gpuE8ELNS1_3repE0EEENS1_30default_config_static_selectorELNS0_4arch9wavefront6targetE1EEEvT1_,comdat
.Lfunc_end634:
	.size	_ZN7rocprim17ROCPRIM_400000_NS6detail17trampoline_kernelINS0_14default_configENS1_29reduce_by_key_config_selectorIssN6thrust23THRUST_200600_302600_NS4plusIsEEEEZZNS1_33reduce_by_key_impl_wrapped_configILNS1_25lookback_scan_determinismE0ES3_S9_NS6_6detail15normal_iteratorINS6_10device_ptrIsEEEESG_SG_SG_PmS8_NS6_8equal_toIsEEEE10hipError_tPvRmT2_T3_mT4_T5_T6_T7_T8_P12ihipStream_tbENKUlT_T0_E_clISt17integral_constantIbLb1EES11_EEDaSW_SX_EUlSW_E_NS1_11comp_targetILNS1_3genE4ELNS1_11target_archE910ELNS1_3gpuE8ELNS1_3repE0EEENS1_30default_config_static_selectorELNS0_4arch9wavefront6targetE1EEEvT1_, .Lfunc_end634-_ZN7rocprim17ROCPRIM_400000_NS6detail17trampoline_kernelINS0_14default_configENS1_29reduce_by_key_config_selectorIssN6thrust23THRUST_200600_302600_NS4plusIsEEEEZZNS1_33reduce_by_key_impl_wrapped_configILNS1_25lookback_scan_determinismE0ES3_S9_NS6_6detail15normal_iteratorINS6_10device_ptrIsEEEESG_SG_SG_PmS8_NS6_8equal_toIsEEEE10hipError_tPvRmT2_T3_mT4_T5_T6_T7_T8_P12ihipStream_tbENKUlT_T0_E_clISt17integral_constantIbLb1EES11_EEDaSW_SX_EUlSW_E_NS1_11comp_targetILNS1_3genE4ELNS1_11target_archE910ELNS1_3gpuE8ELNS1_3repE0EEENS1_30default_config_static_selectorELNS0_4arch9wavefront6targetE1EEEvT1_
                                        ; -- End function
	.section	.AMDGPU.csdata,"",@progbits
; Kernel info:
; codeLenInByte = 18048
; NumSgprs: 70
; NumVgprs: 111
; NumAgprs: 0
; TotalNumVgprs: 111
; ScratchSize: 0
; MemoryBound: 0
; FloatMode: 240
; IeeeMode: 1
; LDSByteSize: 7680 bytes/workgroup (compile time only)
; SGPRBlocks: 8
; VGPRBlocks: 13
; NumSGPRsForWavesPerEU: 70
; NumVGPRsForWavesPerEU: 111
; AccumOffset: 112
; Occupancy: 4
; WaveLimiterHint : 1
; COMPUTE_PGM_RSRC2:SCRATCH_EN: 0
; COMPUTE_PGM_RSRC2:USER_SGPR: 6
; COMPUTE_PGM_RSRC2:TRAP_HANDLER: 0
; COMPUTE_PGM_RSRC2:TGID_X_EN: 1
; COMPUTE_PGM_RSRC2:TGID_Y_EN: 0
; COMPUTE_PGM_RSRC2:TGID_Z_EN: 0
; COMPUTE_PGM_RSRC2:TIDIG_COMP_CNT: 0
; COMPUTE_PGM_RSRC3_GFX90A:ACCUM_OFFSET: 27
; COMPUTE_PGM_RSRC3_GFX90A:TG_SPLIT: 0
	.section	.text._ZN7rocprim17ROCPRIM_400000_NS6detail17trampoline_kernelINS0_14default_configENS1_29reduce_by_key_config_selectorIssN6thrust23THRUST_200600_302600_NS4plusIsEEEEZZNS1_33reduce_by_key_impl_wrapped_configILNS1_25lookback_scan_determinismE0ES3_S9_NS6_6detail15normal_iteratorINS6_10device_ptrIsEEEESG_SG_SG_PmS8_NS6_8equal_toIsEEEE10hipError_tPvRmT2_T3_mT4_T5_T6_T7_T8_P12ihipStream_tbENKUlT_T0_E_clISt17integral_constantIbLb1EES11_EEDaSW_SX_EUlSW_E_NS1_11comp_targetILNS1_3genE3ELNS1_11target_archE908ELNS1_3gpuE7ELNS1_3repE0EEENS1_30default_config_static_selectorELNS0_4arch9wavefront6targetE1EEEvT1_,"axG",@progbits,_ZN7rocprim17ROCPRIM_400000_NS6detail17trampoline_kernelINS0_14default_configENS1_29reduce_by_key_config_selectorIssN6thrust23THRUST_200600_302600_NS4plusIsEEEEZZNS1_33reduce_by_key_impl_wrapped_configILNS1_25lookback_scan_determinismE0ES3_S9_NS6_6detail15normal_iteratorINS6_10device_ptrIsEEEESG_SG_SG_PmS8_NS6_8equal_toIsEEEE10hipError_tPvRmT2_T3_mT4_T5_T6_T7_T8_P12ihipStream_tbENKUlT_T0_E_clISt17integral_constantIbLb1EES11_EEDaSW_SX_EUlSW_E_NS1_11comp_targetILNS1_3genE3ELNS1_11target_archE908ELNS1_3gpuE7ELNS1_3repE0EEENS1_30default_config_static_selectorELNS0_4arch9wavefront6targetE1EEEvT1_,comdat
	.protected	_ZN7rocprim17ROCPRIM_400000_NS6detail17trampoline_kernelINS0_14default_configENS1_29reduce_by_key_config_selectorIssN6thrust23THRUST_200600_302600_NS4plusIsEEEEZZNS1_33reduce_by_key_impl_wrapped_configILNS1_25lookback_scan_determinismE0ES3_S9_NS6_6detail15normal_iteratorINS6_10device_ptrIsEEEESG_SG_SG_PmS8_NS6_8equal_toIsEEEE10hipError_tPvRmT2_T3_mT4_T5_T6_T7_T8_P12ihipStream_tbENKUlT_T0_E_clISt17integral_constantIbLb1EES11_EEDaSW_SX_EUlSW_E_NS1_11comp_targetILNS1_3genE3ELNS1_11target_archE908ELNS1_3gpuE7ELNS1_3repE0EEENS1_30default_config_static_selectorELNS0_4arch9wavefront6targetE1EEEvT1_ ; -- Begin function _ZN7rocprim17ROCPRIM_400000_NS6detail17trampoline_kernelINS0_14default_configENS1_29reduce_by_key_config_selectorIssN6thrust23THRUST_200600_302600_NS4plusIsEEEEZZNS1_33reduce_by_key_impl_wrapped_configILNS1_25lookback_scan_determinismE0ES3_S9_NS6_6detail15normal_iteratorINS6_10device_ptrIsEEEESG_SG_SG_PmS8_NS6_8equal_toIsEEEE10hipError_tPvRmT2_T3_mT4_T5_T6_T7_T8_P12ihipStream_tbENKUlT_T0_E_clISt17integral_constantIbLb1EES11_EEDaSW_SX_EUlSW_E_NS1_11comp_targetILNS1_3genE3ELNS1_11target_archE908ELNS1_3gpuE7ELNS1_3repE0EEENS1_30default_config_static_selectorELNS0_4arch9wavefront6targetE1EEEvT1_
	.globl	_ZN7rocprim17ROCPRIM_400000_NS6detail17trampoline_kernelINS0_14default_configENS1_29reduce_by_key_config_selectorIssN6thrust23THRUST_200600_302600_NS4plusIsEEEEZZNS1_33reduce_by_key_impl_wrapped_configILNS1_25lookback_scan_determinismE0ES3_S9_NS6_6detail15normal_iteratorINS6_10device_ptrIsEEEESG_SG_SG_PmS8_NS6_8equal_toIsEEEE10hipError_tPvRmT2_T3_mT4_T5_T6_T7_T8_P12ihipStream_tbENKUlT_T0_E_clISt17integral_constantIbLb1EES11_EEDaSW_SX_EUlSW_E_NS1_11comp_targetILNS1_3genE3ELNS1_11target_archE908ELNS1_3gpuE7ELNS1_3repE0EEENS1_30default_config_static_selectorELNS0_4arch9wavefront6targetE1EEEvT1_
	.p2align	8
	.type	_ZN7rocprim17ROCPRIM_400000_NS6detail17trampoline_kernelINS0_14default_configENS1_29reduce_by_key_config_selectorIssN6thrust23THRUST_200600_302600_NS4plusIsEEEEZZNS1_33reduce_by_key_impl_wrapped_configILNS1_25lookback_scan_determinismE0ES3_S9_NS6_6detail15normal_iteratorINS6_10device_ptrIsEEEESG_SG_SG_PmS8_NS6_8equal_toIsEEEE10hipError_tPvRmT2_T3_mT4_T5_T6_T7_T8_P12ihipStream_tbENKUlT_T0_E_clISt17integral_constantIbLb1EES11_EEDaSW_SX_EUlSW_E_NS1_11comp_targetILNS1_3genE3ELNS1_11target_archE908ELNS1_3gpuE7ELNS1_3repE0EEENS1_30default_config_static_selectorELNS0_4arch9wavefront6targetE1EEEvT1_,@function
_ZN7rocprim17ROCPRIM_400000_NS6detail17trampoline_kernelINS0_14default_configENS1_29reduce_by_key_config_selectorIssN6thrust23THRUST_200600_302600_NS4plusIsEEEEZZNS1_33reduce_by_key_impl_wrapped_configILNS1_25lookback_scan_determinismE0ES3_S9_NS6_6detail15normal_iteratorINS6_10device_ptrIsEEEESG_SG_SG_PmS8_NS6_8equal_toIsEEEE10hipError_tPvRmT2_T3_mT4_T5_T6_T7_T8_P12ihipStream_tbENKUlT_T0_E_clISt17integral_constantIbLb1EES11_EEDaSW_SX_EUlSW_E_NS1_11comp_targetILNS1_3genE3ELNS1_11target_archE908ELNS1_3gpuE7ELNS1_3repE0EEENS1_30default_config_static_selectorELNS0_4arch9wavefront6targetE1EEEvT1_: ; @_ZN7rocprim17ROCPRIM_400000_NS6detail17trampoline_kernelINS0_14default_configENS1_29reduce_by_key_config_selectorIssN6thrust23THRUST_200600_302600_NS4plusIsEEEEZZNS1_33reduce_by_key_impl_wrapped_configILNS1_25lookback_scan_determinismE0ES3_S9_NS6_6detail15normal_iteratorINS6_10device_ptrIsEEEESG_SG_SG_PmS8_NS6_8equal_toIsEEEE10hipError_tPvRmT2_T3_mT4_T5_T6_T7_T8_P12ihipStream_tbENKUlT_T0_E_clISt17integral_constantIbLb1EES11_EEDaSW_SX_EUlSW_E_NS1_11comp_targetILNS1_3genE3ELNS1_11target_archE908ELNS1_3gpuE7ELNS1_3repE0EEENS1_30default_config_static_selectorELNS0_4arch9wavefront6targetE1EEEvT1_
; %bb.0:
	.section	.rodata,"a",@progbits
	.p2align	6, 0x0
	.amdhsa_kernel _ZN7rocprim17ROCPRIM_400000_NS6detail17trampoline_kernelINS0_14default_configENS1_29reduce_by_key_config_selectorIssN6thrust23THRUST_200600_302600_NS4plusIsEEEEZZNS1_33reduce_by_key_impl_wrapped_configILNS1_25lookback_scan_determinismE0ES3_S9_NS6_6detail15normal_iteratorINS6_10device_ptrIsEEEESG_SG_SG_PmS8_NS6_8equal_toIsEEEE10hipError_tPvRmT2_T3_mT4_T5_T6_T7_T8_P12ihipStream_tbENKUlT_T0_E_clISt17integral_constantIbLb1EES11_EEDaSW_SX_EUlSW_E_NS1_11comp_targetILNS1_3genE3ELNS1_11target_archE908ELNS1_3gpuE7ELNS1_3repE0EEENS1_30default_config_static_selectorELNS0_4arch9wavefront6targetE1EEEvT1_
		.amdhsa_group_segment_fixed_size 0
		.amdhsa_private_segment_fixed_size 0
		.amdhsa_kernarg_size 120
		.amdhsa_user_sgpr_count 6
		.amdhsa_user_sgpr_private_segment_buffer 1
		.amdhsa_user_sgpr_dispatch_ptr 0
		.amdhsa_user_sgpr_queue_ptr 0
		.amdhsa_user_sgpr_kernarg_segment_ptr 1
		.amdhsa_user_sgpr_dispatch_id 0
		.amdhsa_user_sgpr_flat_scratch_init 0
		.amdhsa_user_sgpr_kernarg_preload_length 0
		.amdhsa_user_sgpr_kernarg_preload_offset 0
		.amdhsa_user_sgpr_private_segment_size 0
		.amdhsa_uses_dynamic_stack 0
		.amdhsa_system_sgpr_private_segment_wavefront_offset 0
		.amdhsa_system_sgpr_workgroup_id_x 1
		.amdhsa_system_sgpr_workgroup_id_y 0
		.amdhsa_system_sgpr_workgroup_id_z 0
		.amdhsa_system_sgpr_workgroup_info 0
		.amdhsa_system_vgpr_workitem_id 0
		.amdhsa_next_free_vgpr 1
		.amdhsa_next_free_sgpr 0
		.amdhsa_accum_offset 4
		.amdhsa_reserve_vcc 0
		.amdhsa_reserve_flat_scratch 0
		.amdhsa_float_round_mode_32 0
		.amdhsa_float_round_mode_16_64 0
		.amdhsa_float_denorm_mode_32 3
		.amdhsa_float_denorm_mode_16_64 3
		.amdhsa_dx10_clamp 1
		.amdhsa_ieee_mode 1
		.amdhsa_fp16_overflow 0
		.amdhsa_tg_split 0
		.amdhsa_exception_fp_ieee_invalid_op 0
		.amdhsa_exception_fp_denorm_src 0
		.amdhsa_exception_fp_ieee_div_zero 0
		.amdhsa_exception_fp_ieee_overflow 0
		.amdhsa_exception_fp_ieee_underflow 0
		.amdhsa_exception_fp_ieee_inexact 0
		.amdhsa_exception_int_div_zero 0
	.end_amdhsa_kernel
	.section	.text._ZN7rocprim17ROCPRIM_400000_NS6detail17trampoline_kernelINS0_14default_configENS1_29reduce_by_key_config_selectorIssN6thrust23THRUST_200600_302600_NS4plusIsEEEEZZNS1_33reduce_by_key_impl_wrapped_configILNS1_25lookback_scan_determinismE0ES3_S9_NS6_6detail15normal_iteratorINS6_10device_ptrIsEEEESG_SG_SG_PmS8_NS6_8equal_toIsEEEE10hipError_tPvRmT2_T3_mT4_T5_T6_T7_T8_P12ihipStream_tbENKUlT_T0_E_clISt17integral_constantIbLb1EES11_EEDaSW_SX_EUlSW_E_NS1_11comp_targetILNS1_3genE3ELNS1_11target_archE908ELNS1_3gpuE7ELNS1_3repE0EEENS1_30default_config_static_selectorELNS0_4arch9wavefront6targetE1EEEvT1_,"axG",@progbits,_ZN7rocprim17ROCPRIM_400000_NS6detail17trampoline_kernelINS0_14default_configENS1_29reduce_by_key_config_selectorIssN6thrust23THRUST_200600_302600_NS4plusIsEEEEZZNS1_33reduce_by_key_impl_wrapped_configILNS1_25lookback_scan_determinismE0ES3_S9_NS6_6detail15normal_iteratorINS6_10device_ptrIsEEEESG_SG_SG_PmS8_NS6_8equal_toIsEEEE10hipError_tPvRmT2_T3_mT4_T5_T6_T7_T8_P12ihipStream_tbENKUlT_T0_E_clISt17integral_constantIbLb1EES11_EEDaSW_SX_EUlSW_E_NS1_11comp_targetILNS1_3genE3ELNS1_11target_archE908ELNS1_3gpuE7ELNS1_3repE0EEENS1_30default_config_static_selectorELNS0_4arch9wavefront6targetE1EEEvT1_,comdat
.Lfunc_end635:
	.size	_ZN7rocprim17ROCPRIM_400000_NS6detail17trampoline_kernelINS0_14default_configENS1_29reduce_by_key_config_selectorIssN6thrust23THRUST_200600_302600_NS4plusIsEEEEZZNS1_33reduce_by_key_impl_wrapped_configILNS1_25lookback_scan_determinismE0ES3_S9_NS6_6detail15normal_iteratorINS6_10device_ptrIsEEEESG_SG_SG_PmS8_NS6_8equal_toIsEEEE10hipError_tPvRmT2_T3_mT4_T5_T6_T7_T8_P12ihipStream_tbENKUlT_T0_E_clISt17integral_constantIbLb1EES11_EEDaSW_SX_EUlSW_E_NS1_11comp_targetILNS1_3genE3ELNS1_11target_archE908ELNS1_3gpuE7ELNS1_3repE0EEENS1_30default_config_static_selectorELNS0_4arch9wavefront6targetE1EEEvT1_, .Lfunc_end635-_ZN7rocprim17ROCPRIM_400000_NS6detail17trampoline_kernelINS0_14default_configENS1_29reduce_by_key_config_selectorIssN6thrust23THRUST_200600_302600_NS4plusIsEEEEZZNS1_33reduce_by_key_impl_wrapped_configILNS1_25lookback_scan_determinismE0ES3_S9_NS6_6detail15normal_iteratorINS6_10device_ptrIsEEEESG_SG_SG_PmS8_NS6_8equal_toIsEEEE10hipError_tPvRmT2_T3_mT4_T5_T6_T7_T8_P12ihipStream_tbENKUlT_T0_E_clISt17integral_constantIbLb1EES11_EEDaSW_SX_EUlSW_E_NS1_11comp_targetILNS1_3genE3ELNS1_11target_archE908ELNS1_3gpuE7ELNS1_3repE0EEENS1_30default_config_static_selectorELNS0_4arch9wavefront6targetE1EEEvT1_
                                        ; -- End function
	.section	.AMDGPU.csdata,"",@progbits
; Kernel info:
; codeLenInByte = 0
; NumSgprs: 4
; NumVgprs: 0
; NumAgprs: 0
; TotalNumVgprs: 0
; ScratchSize: 0
; MemoryBound: 0
; FloatMode: 240
; IeeeMode: 1
; LDSByteSize: 0 bytes/workgroup (compile time only)
; SGPRBlocks: 0
; VGPRBlocks: 0
; NumSGPRsForWavesPerEU: 4
; NumVGPRsForWavesPerEU: 1
; AccumOffset: 4
; Occupancy: 8
; WaveLimiterHint : 0
; COMPUTE_PGM_RSRC2:SCRATCH_EN: 0
; COMPUTE_PGM_RSRC2:USER_SGPR: 6
; COMPUTE_PGM_RSRC2:TRAP_HANDLER: 0
; COMPUTE_PGM_RSRC2:TGID_X_EN: 1
; COMPUTE_PGM_RSRC2:TGID_Y_EN: 0
; COMPUTE_PGM_RSRC2:TGID_Z_EN: 0
; COMPUTE_PGM_RSRC2:TIDIG_COMP_CNT: 0
; COMPUTE_PGM_RSRC3_GFX90A:ACCUM_OFFSET: 0
; COMPUTE_PGM_RSRC3_GFX90A:TG_SPLIT: 0
	.section	.text._ZN7rocprim17ROCPRIM_400000_NS6detail17trampoline_kernelINS0_14default_configENS1_29reduce_by_key_config_selectorIssN6thrust23THRUST_200600_302600_NS4plusIsEEEEZZNS1_33reduce_by_key_impl_wrapped_configILNS1_25lookback_scan_determinismE0ES3_S9_NS6_6detail15normal_iteratorINS6_10device_ptrIsEEEESG_SG_SG_PmS8_NS6_8equal_toIsEEEE10hipError_tPvRmT2_T3_mT4_T5_T6_T7_T8_P12ihipStream_tbENKUlT_T0_E_clISt17integral_constantIbLb1EES11_EEDaSW_SX_EUlSW_E_NS1_11comp_targetILNS1_3genE2ELNS1_11target_archE906ELNS1_3gpuE6ELNS1_3repE0EEENS1_30default_config_static_selectorELNS0_4arch9wavefront6targetE1EEEvT1_,"axG",@progbits,_ZN7rocprim17ROCPRIM_400000_NS6detail17trampoline_kernelINS0_14default_configENS1_29reduce_by_key_config_selectorIssN6thrust23THRUST_200600_302600_NS4plusIsEEEEZZNS1_33reduce_by_key_impl_wrapped_configILNS1_25lookback_scan_determinismE0ES3_S9_NS6_6detail15normal_iteratorINS6_10device_ptrIsEEEESG_SG_SG_PmS8_NS6_8equal_toIsEEEE10hipError_tPvRmT2_T3_mT4_T5_T6_T7_T8_P12ihipStream_tbENKUlT_T0_E_clISt17integral_constantIbLb1EES11_EEDaSW_SX_EUlSW_E_NS1_11comp_targetILNS1_3genE2ELNS1_11target_archE906ELNS1_3gpuE6ELNS1_3repE0EEENS1_30default_config_static_selectorELNS0_4arch9wavefront6targetE1EEEvT1_,comdat
	.protected	_ZN7rocprim17ROCPRIM_400000_NS6detail17trampoline_kernelINS0_14default_configENS1_29reduce_by_key_config_selectorIssN6thrust23THRUST_200600_302600_NS4plusIsEEEEZZNS1_33reduce_by_key_impl_wrapped_configILNS1_25lookback_scan_determinismE0ES3_S9_NS6_6detail15normal_iteratorINS6_10device_ptrIsEEEESG_SG_SG_PmS8_NS6_8equal_toIsEEEE10hipError_tPvRmT2_T3_mT4_T5_T6_T7_T8_P12ihipStream_tbENKUlT_T0_E_clISt17integral_constantIbLb1EES11_EEDaSW_SX_EUlSW_E_NS1_11comp_targetILNS1_3genE2ELNS1_11target_archE906ELNS1_3gpuE6ELNS1_3repE0EEENS1_30default_config_static_selectorELNS0_4arch9wavefront6targetE1EEEvT1_ ; -- Begin function _ZN7rocprim17ROCPRIM_400000_NS6detail17trampoline_kernelINS0_14default_configENS1_29reduce_by_key_config_selectorIssN6thrust23THRUST_200600_302600_NS4plusIsEEEEZZNS1_33reduce_by_key_impl_wrapped_configILNS1_25lookback_scan_determinismE0ES3_S9_NS6_6detail15normal_iteratorINS6_10device_ptrIsEEEESG_SG_SG_PmS8_NS6_8equal_toIsEEEE10hipError_tPvRmT2_T3_mT4_T5_T6_T7_T8_P12ihipStream_tbENKUlT_T0_E_clISt17integral_constantIbLb1EES11_EEDaSW_SX_EUlSW_E_NS1_11comp_targetILNS1_3genE2ELNS1_11target_archE906ELNS1_3gpuE6ELNS1_3repE0EEENS1_30default_config_static_selectorELNS0_4arch9wavefront6targetE1EEEvT1_
	.globl	_ZN7rocprim17ROCPRIM_400000_NS6detail17trampoline_kernelINS0_14default_configENS1_29reduce_by_key_config_selectorIssN6thrust23THRUST_200600_302600_NS4plusIsEEEEZZNS1_33reduce_by_key_impl_wrapped_configILNS1_25lookback_scan_determinismE0ES3_S9_NS6_6detail15normal_iteratorINS6_10device_ptrIsEEEESG_SG_SG_PmS8_NS6_8equal_toIsEEEE10hipError_tPvRmT2_T3_mT4_T5_T6_T7_T8_P12ihipStream_tbENKUlT_T0_E_clISt17integral_constantIbLb1EES11_EEDaSW_SX_EUlSW_E_NS1_11comp_targetILNS1_3genE2ELNS1_11target_archE906ELNS1_3gpuE6ELNS1_3repE0EEENS1_30default_config_static_selectorELNS0_4arch9wavefront6targetE1EEEvT1_
	.p2align	8
	.type	_ZN7rocprim17ROCPRIM_400000_NS6detail17trampoline_kernelINS0_14default_configENS1_29reduce_by_key_config_selectorIssN6thrust23THRUST_200600_302600_NS4plusIsEEEEZZNS1_33reduce_by_key_impl_wrapped_configILNS1_25lookback_scan_determinismE0ES3_S9_NS6_6detail15normal_iteratorINS6_10device_ptrIsEEEESG_SG_SG_PmS8_NS6_8equal_toIsEEEE10hipError_tPvRmT2_T3_mT4_T5_T6_T7_T8_P12ihipStream_tbENKUlT_T0_E_clISt17integral_constantIbLb1EES11_EEDaSW_SX_EUlSW_E_NS1_11comp_targetILNS1_3genE2ELNS1_11target_archE906ELNS1_3gpuE6ELNS1_3repE0EEENS1_30default_config_static_selectorELNS0_4arch9wavefront6targetE1EEEvT1_,@function
_ZN7rocprim17ROCPRIM_400000_NS6detail17trampoline_kernelINS0_14default_configENS1_29reduce_by_key_config_selectorIssN6thrust23THRUST_200600_302600_NS4plusIsEEEEZZNS1_33reduce_by_key_impl_wrapped_configILNS1_25lookback_scan_determinismE0ES3_S9_NS6_6detail15normal_iteratorINS6_10device_ptrIsEEEESG_SG_SG_PmS8_NS6_8equal_toIsEEEE10hipError_tPvRmT2_T3_mT4_T5_T6_T7_T8_P12ihipStream_tbENKUlT_T0_E_clISt17integral_constantIbLb1EES11_EEDaSW_SX_EUlSW_E_NS1_11comp_targetILNS1_3genE2ELNS1_11target_archE906ELNS1_3gpuE6ELNS1_3repE0EEENS1_30default_config_static_selectorELNS0_4arch9wavefront6targetE1EEEvT1_: ; @_ZN7rocprim17ROCPRIM_400000_NS6detail17trampoline_kernelINS0_14default_configENS1_29reduce_by_key_config_selectorIssN6thrust23THRUST_200600_302600_NS4plusIsEEEEZZNS1_33reduce_by_key_impl_wrapped_configILNS1_25lookback_scan_determinismE0ES3_S9_NS6_6detail15normal_iteratorINS6_10device_ptrIsEEEESG_SG_SG_PmS8_NS6_8equal_toIsEEEE10hipError_tPvRmT2_T3_mT4_T5_T6_T7_T8_P12ihipStream_tbENKUlT_T0_E_clISt17integral_constantIbLb1EES11_EEDaSW_SX_EUlSW_E_NS1_11comp_targetILNS1_3genE2ELNS1_11target_archE906ELNS1_3gpuE6ELNS1_3repE0EEENS1_30default_config_static_selectorELNS0_4arch9wavefront6targetE1EEEvT1_
; %bb.0:
	.section	.rodata,"a",@progbits
	.p2align	6, 0x0
	.amdhsa_kernel _ZN7rocprim17ROCPRIM_400000_NS6detail17trampoline_kernelINS0_14default_configENS1_29reduce_by_key_config_selectorIssN6thrust23THRUST_200600_302600_NS4plusIsEEEEZZNS1_33reduce_by_key_impl_wrapped_configILNS1_25lookback_scan_determinismE0ES3_S9_NS6_6detail15normal_iteratorINS6_10device_ptrIsEEEESG_SG_SG_PmS8_NS6_8equal_toIsEEEE10hipError_tPvRmT2_T3_mT4_T5_T6_T7_T8_P12ihipStream_tbENKUlT_T0_E_clISt17integral_constantIbLb1EES11_EEDaSW_SX_EUlSW_E_NS1_11comp_targetILNS1_3genE2ELNS1_11target_archE906ELNS1_3gpuE6ELNS1_3repE0EEENS1_30default_config_static_selectorELNS0_4arch9wavefront6targetE1EEEvT1_
		.amdhsa_group_segment_fixed_size 0
		.amdhsa_private_segment_fixed_size 0
		.amdhsa_kernarg_size 120
		.amdhsa_user_sgpr_count 6
		.amdhsa_user_sgpr_private_segment_buffer 1
		.amdhsa_user_sgpr_dispatch_ptr 0
		.amdhsa_user_sgpr_queue_ptr 0
		.amdhsa_user_sgpr_kernarg_segment_ptr 1
		.amdhsa_user_sgpr_dispatch_id 0
		.amdhsa_user_sgpr_flat_scratch_init 0
		.amdhsa_user_sgpr_kernarg_preload_length 0
		.amdhsa_user_sgpr_kernarg_preload_offset 0
		.amdhsa_user_sgpr_private_segment_size 0
		.amdhsa_uses_dynamic_stack 0
		.amdhsa_system_sgpr_private_segment_wavefront_offset 0
		.amdhsa_system_sgpr_workgroup_id_x 1
		.amdhsa_system_sgpr_workgroup_id_y 0
		.amdhsa_system_sgpr_workgroup_id_z 0
		.amdhsa_system_sgpr_workgroup_info 0
		.amdhsa_system_vgpr_workitem_id 0
		.amdhsa_next_free_vgpr 1
		.amdhsa_next_free_sgpr 0
		.amdhsa_accum_offset 4
		.amdhsa_reserve_vcc 0
		.amdhsa_reserve_flat_scratch 0
		.amdhsa_float_round_mode_32 0
		.amdhsa_float_round_mode_16_64 0
		.amdhsa_float_denorm_mode_32 3
		.amdhsa_float_denorm_mode_16_64 3
		.amdhsa_dx10_clamp 1
		.amdhsa_ieee_mode 1
		.amdhsa_fp16_overflow 0
		.amdhsa_tg_split 0
		.amdhsa_exception_fp_ieee_invalid_op 0
		.amdhsa_exception_fp_denorm_src 0
		.amdhsa_exception_fp_ieee_div_zero 0
		.amdhsa_exception_fp_ieee_overflow 0
		.amdhsa_exception_fp_ieee_underflow 0
		.amdhsa_exception_fp_ieee_inexact 0
		.amdhsa_exception_int_div_zero 0
	.end_amdhsa_kernel
	.section	.text._ZN7rocprim17ROCPRIM_400000_NS6detail17trampoline_kernelINS0_14default_configENS1_29reduce_by_key_config_selectorIssN6thrust23THRUST_200600_302600_NS4plusIsEEEEZZNS1_33reduce_by_key_impl_wrapped_configILNS1_25lookback_scan_determinismE0ES3_S9_NS6_6detail15normal_iteratorINS6_10device_ptrIsEEEESG_SG_SG_PmS8_NS6_8equal_toIsEEEE10hipError_tPvRmT2_T3_mT4_T5_T6_T7_T8_P12ihipStream_tbENKUlT_T0_E_clISt17integral_constantIbLb1EES11_EEDaSW_SX_EUlSW_E_NS1_11comp_targetILNS1_3genE2ELNS1_11target_archE906ELNS1_3gpuE6ELNS1_3repE0EEENS1_30default_config_static_selectorELNS0_4arch9wavefront6targetE1EEEvT1_,"axG",@progbits,_ZN7rocprim17ROCPRIM_400000_NS6detail17trampoline_kernelINS0_14default_configENS1_29reduce_by_key_config_selectorIssN6thrust23THRUST_200600_302600_NS4plusIsEEEEZZNS1_33reduce_by_key_impl_wrapped_configILNS1_25lookback_scan_determinismE0ES3_S9_NS6_6detail15normal_iteratorINS6_10device_ptrIsEEEESG_SG_SG_PmS8_NS6_8equal_toIsEEEE10hipError_tPvRmT2_T3_mT4_T5_T6_T7_T8_P12ihipStream_tbENKUlT_T0_E_clISt17integral_constantIbLb1EES11_EEDaSW_SX_EUlSW_E_NS1_11comp_targetILNS1_3genE2ELNS1_11target_archE906ELNS1_3gpuE6ELNS1_3repE0EEENS1_30default_config_static_selectorELNS0_4arch9wavefront6targetE1EEEvT1_,comdat
.Lfunc_end636:
	.size	_ZN7rocprim17ROCPRIM_400000_NS6detail17trampoline_kernelINS0_14default_configENS1_29reduce_by_key_config_selectorIssN6thrust23THRUST_200600_302600_NS4plusIsEEEEZZNS1_33reduce_by_key_impl_wrapped_configILNS1_25lookback_scan_determinismE0ES3_S9_NS6_6detail15normal_iteratorINS6_10device_ptrIsEEEESG_SG_SG_PmS8_NS6_8equal_toIsEEEE10hipError_tPvRmT2_T3_mT4_T5_T6_T7_T8_P12ihipStream_tbENKUlT_T0_E_clISt17integral_constantIbLb1EES11_EEDaSW_SX_EUlSW_E_NS1_11comp_targetILNS1_3genE2ELNS1_11target_archE906ELNS1_3gpuE6ELNS1_3repE0EEENS1_30default_config_static_selectorELNS0_4arch9wavefront6targetE1EEEvT1_, .Lfunc_end636-_ZN7rocprim17ROCPRIM_400000_NS6detail17trampoline_kernelINS0_14default_configENS1_29reduce_by_key_config_selectorIssN6thrust23THRUST_200600_302600_NS4plusIsEEEEZZNS1_33reduce_by_key_impl_wrapped_configILNS1_25lookback_scan_determinismE0ES3_S9_NS6_6detail15normal_iteratorINS6_10device_ptrIsEEEESG_SG_SG_PmS8_NS6_8equal_toIsEEEE10hipError_tPvRmT2_T3_mT4_T5_T6_T7_T8_P12ihipStream_tbENKUlT_T0_E_clISt17integral_constantIbLb1EES11_EEDaSW_SX_EUlSW_E_NS1_11comp_targetILNS1_3genE2ELNS1_11target_archE906ELNS1_3gpuE6ELNS1_3repE0EEENS1_30default_config_static_selectorELNS0_4arch9wavefront6targetE1EEEvT1_
                                        ; -- End function
	.section	.AMDGPU.csdata,"",@progbits
; Kernel info:
; codeLenInByte = 0
; NumSgprs: 4
; NumVgprs: 0
; NumAgprs: 0
; TotalNumVgprs: 0
; ScratchSize: 0
; MemoryBound: 0
; FloatMode: 240
; IeeeMode: 1
; LDSByteSize: 0 bytes/workgroup (compile time only)
; SGPRBlocks: 0
; VGPRBlocks: 0
; NumSGPRsForWavesPerEU: 4
; NumVGPRsForWavesPerEU: 1
; AccumOffset: 4
; Occupancy: 8
; WaveLimiterHint : 0
; COMPUTE_PGM_RSRC2:SCRATCH_EN: 0
; COMPUTE_PGM_RSRC2:USER_SGPR: 6
; COMPUTE_PGM_RSRC2:TRAP_HANDLER: 0
; COMPUTE_PGM_RSRC2:TGID_X_EN: 1
; COMPUTE_PGM_RSRC2:TGID_Y_EN: 0
; COMPUTE_PGM_RSRC2:TGID_Z_EN: 0
; COMPUTE_PGM_RSRC2:TIDIG_COMP_CNT: 0
; COMPUTE_PGM_RSRC3_GFX90A:ACCUM_OFFSET: 0
; COMPUTE_PGM_RSRC3_GFX90A:TG_SPLIT: 0
	.section	.text._ZN7rocprim17ROCPRIM_400000_NS6detail17trampoline_kernelINS0_14default_configENS1_29reduce_by_key_config_selectorIssN6thrust23THRUST_200600_302600_NS4plusIsEEEEZZNS1_33reduce_by_key_impl_wrapped_configILNS1_25lookback_scan_determinismE0ES3_S9_NS6_6detail15normal_iteratorINS6_10device_ptrIsEEEESG_SG_SG_PmS8_NS6_8equal_toIsEEEE10hipError_tPvRmT2_T3_mT4_T5_T6_T7_T8_P12ihipStream_tbENKUlT_T0_E_clISt17integral_constantIbLb1EES11_EEDaSW_SX_EUlSW_E_NS1_11comp_targetILNS1_3genE10ELNS1_11target_archE1201ELNS1_3gpuE5ELNS1_3repE0EEENS1_30default_config_static_selectorELNS0_4arch9wavefront6targetE1EEEvT1_,"axG",@progbits,_ZN7rocprim17ROCPRIM_400000_NS6detail17trampoline_kernelINS0_14default_configENS1_29reduce_by_key_config_selectorIssN6thrust23THRUST_200600_302600_NS4plusIsEEEEZZNS1_33reduce_by_key_impl_wrapped_configILNS1_25lookback_scan_determinismE0ES3_S9_NS6_6detail15normal_iteratorINS6_10device_ptrIsEEEESG_SG_SG_PmS8_NS6_8equal_toIsEEEE10hipError_tPvRmT2_T3_mT4_T5_T6_T7_T8_P12ihipStream_tbENKUlT_T0_E_clISt17integral_constantIbLb1EES11_EEDaSW_SX_EUlSW_E_NS1_11comp_targetILNS1_3genE10ELNS1_11target_archE1201ELNS1_3gpuE5ELNS1_3repE0EEENS1_30default_config_static_selectorELNS0_4arch9wavefront6targetE1EEEvT1_,comdat
	.protected	_ZN7rocprim17ROCPRIM_400000_NS6detail17trampoline_kernelINS0_14default_configENS1_29reduce_by_key_config_selectorIssN6thrust23THRUST_200600_302600_NS4plusIsEEEEZZNS1_33reduce_by_key_impl_wrapped_configILNS1_25lookback_scan_determinismE0ES3_S9_NS6_6detail15normal_iteratorINS6_10device_ptrIsEEEESG_SG_SG_PmS8_NS6_8equal_toIsEEEE10hipError_tPvRmT2_T3_mT4_T5_T6_T7_T8_P12ihipStream_tbENKUlT_T0_E_clISt17integral_constantIbLb1EES11_EEDaSW_SX_EUlSW_E_NS1_11comp_targetILNS1_3genE10ELNS1_11target_archE1201ELNS1_3gpuE5ELNS1_3repE0EEENS1_30default_config_static_selectorELNS0_4arch9wavefront6targetE1EEEvT1_ ; -- Begin function _ZN7rocprim17ROCPRIM_400000_NS6detail17trampoline_kernelINS0_14default_configENS1_29reduce_by_key_config_selectorIssN6thrust23THRUST_200600_302600_NS4plusIsEEEEZZNS1_33reduce_by_key_impl_wrapped_configILNS1_25lookback_scan_determinismE0ES3_S9_NS6_6detail15normal_iteratorINS6_10device_ptrIsEEEESG_SG_SG_PmS8_NS6_8equal_toIsEEEE10hipError_tPvRmT2_T3_mT4_T5_T6_T7_T8_P12ihipStream_tbENKUlT_T0_E_clISt17integral_constantIbLb1EES11_EEDaSW_SX_EUlSW_E_NS1_11comp_targetILNS1_3genE10ELNS1_11target_archE1201ELNS1_3gpuE5ELNS1_3repE0EEENS1_30default_config_static_selectorELNS0_4arch9wavefront6targetE1EEEvT1_
	.globl	_ZN7rocprim17ROCPRIM_400000_NS6detail17trampoline_kernelINS0_14default_configENS1_29reduce_by_key_config_selectorIssN6thrust23THRUST_200600_302600_NS4plusIsEEEEZZNS1_33reduce_by_key_impl_wrapped_configILNS1_25lookback_scan_determinismE0ES3_S9_NS6_6detail15normal_iteratorINS6_10device_ptrIsEEEESG_SG_SG_PmS8_NS6_8equal_toIsEEEE10hipError_tPvRmT2_T3_mT4_T5_T6_T7_T8_P12ihipStream_tbENKUlT_T0_E_clISt17integral_constantIbLb1EES11_EEDaSW_SX_EUlSW_E_NS1_11comp_targetILNS1_3genE10ELNS1_11target_archE1201ELNS1_3gpuE5ELNS1_3repE0EEENS1_30default_config_static_selectorELNS0_4arch9wavefront6targetE1EEEvT1_
	.p2align	8
	.type	_ZN7rocprim17ROCPRIM_400000_NS6detail17trampoline_kernelINS0_14default_configENS1_29reduce_by_key_config_selectorIssN6thrust23THRUST_200600_302600_NS4plusIsEEEEZZNS1_33reduce_by_key_impl_wrapped_configILNS1_25lookback_scan_determinismE0ES3_S9_NS6_6detail15normal_iteratorINS6_10device_ptrIsEEEESG_SG_SG_PmS8_NS6_8equal_toIsEEEE10hipError_tPvRmT2_T3_mT4_T5_T6_T7_T8_P12ihipStream_tbENKUlT_T0_E_clISt17integral_constantIbLb1EES11_EEDaSW_SX_EUlSW_E_NS1_11comp_targetILNS1_3genE10ELNS1_11target_archE1201ELNS1_3gpuE5ELNS1_3repE0EEENS1_30default_config_static_selectorELNS0_4arch9wavefront6targetE1EEEvT1_,@function
_ZN7rocprim17ROCPRIM_400000_NS6detail17trampoline_kernelINS0_14default_configENS1_29reduce_by_key_config_selectorIssN6thrust23THRUST_200600_302600_NS4plusIsEEEEZZNS1_33reduce_by_key_impl_wrapped_configILNS1_25lookback_scan_determinismE0ES3_S9_NS6_6detail15normal_iteratorINS6_10device_ptrIsEEEESG_SG_SG_PmS8_NS6_8equal_toIsEEEE10hipError_tPvRmT2_T3_mT4_T5_T6_T7_T8_P12ihipStream_tbENKUlT_T0_E_clISt17integral_constantIbLb1EES11_EEDaSW_SX_EUlSW_E_NS1_11comp_targetILNS1_3genE10ELNS1_11target_archE1201ELNS1_3gpuE5ELNS1_3repE0EEENS1_30default_config_static_selectorELNS0_4arch9wavefront6targetE1EEEvT1_: ; @_ZN7rocprim17ROCPRIM_400000_NS6detail17trampoline_kernelINS0_14default_configENS1_29reduce_by_key_config_selectorIssN6thrust23THRUST_200600_302600_NS4plusIsEEEEZZNS1_33reduce_by_key_impl_wrapped_configILNS1_25lookback_scan_determinismE0ES3_S9_NS6_6detail15normal_iteratorINS6_10device_ptrIsEEEESG_SG_SG_PmS8_NS6_8equal_toIsEEEE10hipError_tPvRmT2_T3_mT4_T5_T6_T7_T8_P12ihipStream_tbENKUlT_T0_E_clISt17integral_constantIbLb1EES11_EEDaSW_SX_EUlSW_E_NS1_11comp_targetILNS1_3genE10ELNS1_11target_archE1201ELNS1_3gpuE5ELNS1_3repE0EEENS1_30default_config_static_selectorELNS0_4arch9wavefront6targetE1EEEvT1_
; %bb.0:
	.section	.rodata,"a",@progbits
	.p2align	6, 0x0
	.amdhsa_kernel _ZN7rocprim17ROCPRIM_400000_NS6detail17trampoline_kernelINS0_14default_configENS1_29reduce_by_key_config_selectorIssN6thrust23THRUST_200600_302600_NS4plusIsEEEEZZNS1_33reduce_by_key_impl_wrapped_configILNS1_25lookback_scan_determinismE0ES3_S9_NS6_6detail15normal_iteratorINS6_10device_ptrIsEEEESG_SG_SG_PmS8_NS6_8equal_toIsEEEE10hipError_tPvRmT2_T3_mT4_T5_T6_T7_T8_P12ihipStream_tbENKUlT_T0_E_clISt17integral_constantIbLb1EES11_EEDaSW_SX_EUlSW_E_NS1_11comp_targetILNS1_3genE10ELNS1_11target_archE1201ELNS1_3gpuE5ELNS1_3repE0EEENS1_30default_config_static_selectorELNS0_4arch9wavefront6targetE1EEEvT1_
		.amdhsa_group_segment_fixed_size 0
		.amdhsa_private_segment_fixed_size 0
		.amdhsa_kernarg_size 120
		.amdhsa_user_sgpr_count 6
		.amdhsa_user_sgpr_private_segment_buffer 1
		.amdhsa_user_sgpr_dispatch_ptr 0
		.amdhsa_user_sgpr_queue_ptr 0
		.amdhsa_user_sgpr_kernarg_segment_ptr 1
		.amdhsa_user_sgpr_dispatch_id 0
		.amdhsa_user_sgpr_flat_scratch_init 0
		.amdhsa_user_sgpr_kernarg_preload_length 0
		.amdhsa_user_sgpr_kernarg_preload_offset 0
		.amdhsa_user_sgpr_private_segment_size 0
		.amdhsa_uses_dynamic_stack 0
		.amdhsa_system_sgpr_private_segment_wavefront_offset 0
		.amdhsa_system_sgpr_workgroup_id_x 1
		.amdhsa_system_sgpr_workgroup_id_y 0
		.amdhsa_system_sgpr_workgroup_id_z 0
		.amdhsa_system_sgpr_workgroup_info 0
		.amdhsa_system_vgpr_workitem_id 0
		.amdhsa_next_free_vgpr 1
		.amdhsa_next_free_sgpr 0
		.amdhsa_accum_offset 4
		.amdhsa_reserve_vcc 0
		.amdhsa_reserve_flat_scratch 0
		.amdhsa_float_round_mode_32 0
		.amdhsa_float_round_mode_16_64 0
		.amdhsa_float_denorm_mode_32 3
		.amdhsa_float_denorm_mode_16_64 3
		.amdhsa_dx10_clamp 1
		.amdhsa_ieee_mode 1
		.amdhsa_fp16_overflow 0
		.amdhsa_tg_split 0
		.amdhsa_exception_fp_ieee_invalid_op 0
		.amdhsa_exception_fp_denorm_src 0
		.amdhsa_exception_fp_ieee_div_zero 0
		.amdhsa_exception_fp_ieee_overflow 0
		.amdhsa_exception_fp_ieee_underflow 0
		.amdhsa_exception_fp_ieee_inexact 0
		.amdhsa_exception_int_div_zero 0
	.end_amdhsa_kernel
	.section	.text._ZN7rocprim17ROCPRIM_400000_NS6detail17trampoline_kernelINS0_14default_configENS1_29reduce_by_key_config_selectorIssN6thrust23THRUST_200600_302600_NS4plusIsEEEEZZNS1_33reduce_by_key_impl_wrapped_configILNS1_25lookback_scan_determinismE0ES3_S9_NS6_6detail15normal_iteratorINS6_10device_ptrIsEEEESG_SG_SG_PmS8_NS6_8equal_toIsEEEE10hipError_tPvRmT2_T3_mT4_T5_T6_T7_T8_P12ihipStream_tbENKUlT_T0_E_clISt17integral_constantIbLb1EES11_EEDaSW_SX_EUlSW_E_NS1_11comp_targetILNS1_3genE10ELNS1_11target_archE1201ELNS1_3gpuE5ELNS1_3repE0EEENS1_30default_config_static_selectorELNS0_4arch9wavefront6targetE1EEEvT1_,"axG",@progbits,_ZN7rocprim17ROCPRIM_400000_NS6detail17trampoline_kernelINS0_14default_configENS1_29reduce_by_key_config_selectorIssN6thrust23THRUST_200600_302600_NS4plusIsEEEEZZNS1_33reduce_by_key_impl_wrapped_configILNS1_25lookback_scan_determinismE0ES3_S9_NS6_6detail15normal_iteratorINS6_10device_ptrIsEEEESG_SG_SG_PmS8_NS6_8equal_toIsEEEE10hipError_tPvRmT2_T3_mT4_T5_T6_T7_T8_P12ihipStream_tbENKUlT_T0_E_clISt17integral_constantIbLb1EES11_EEDaSW_SX_EUlSW_E_NS1_11comp_targetILNS1_3genE10ELNS1_11target_archE1201ELNS1_3gpuE5ELNS1_3repE0EEENS1_30default_config_static_selectorELNS0_4arch9wavefront6targetE1EEEvT1_,comdat
.Lfunc_end637:
	.size	_ZN7rocprim17ROCPRIM_400000_NS6detail17trampoline_kernelINS0_14default_configENS1_29reduce_by_key_config_selectorIssN6thrust23THRUST_200600_302600_NS4plusIsEEEEZZNS1_33reduce_by_key_impl_wrapped_configILNS1_25lookback_scan_determinismE0ES3_S9_NS6_6detail15normal_iteratorINS6_10device_ptrIsEEEESG_SG_SG_PmS8_NS6_8equal_toIsEEEE10hipError_tPvRmT2_T3_mT4_T5_T6_T7_T8_P12ihipStream_tbENKUlT_T0_E_clISt17integral_constantIbLb1EES11_EEDaSW_SX_EUlSW_E_NS1_11comp_targetILNS1_3genE10ELNS1_11target_archE1201ELNS1_3gpuE5ELNS1_3repE0EEENS1_30default_config_static_selectorELNS0_4arch9wavefront6targetE1EEEvT1_, .Lfunc_end637-_ZN7rocprim17ROCPRIM_400000_NS6detail17trampoline_kernelINS0_14default_configENS1_29reduce_by_key_config_selectorIssN6thrust23THRUST_200600_302600_NS4plusIsEEEEZZNS1_33reduce_by_key_impl_wrapped_configILNS1_25lookback_scan_determinismE0ES3_S9_NS6_6detail15normal_iteratorINS6_10device_ptrIsEEEESG_SG_SG_PmS8_NS6_8equal_toIsEEEE10hipError_tPvRmT2_T3_mT4_T5_T6_T7_T8_P12ihipStream_tbENKUlT_T0_E_clISt17integral_constantIbLb1EES11_EEDaSW_SX_EUlSW_E_NS1_11comp_targetILNS1_3genE10ELNS1_11target_archE1201ELNS1_3gpuE5ELNS1_3repE0EEENS1_30default_config_static_selectorELNS0_4arch9wavefront6targetE1EEEvT1_
                                        ; -- End function
	.section	.AMDGPU.csdata,"",@progbits
; Kernel info:
; codeLenInByte = 0
; NumSgprs: 4
; NumVgprs: 0
; NumAgprs: 0
; TotalNumVgprs: 0
; ScratchSize: 0
; MemoryBound: 0
; FloatMode: 240
; IeeeMode: 1
; LDSByteSize: 0 bytes/workgroup (compile time only)
; SGPRBlocks: 0
; VGPRBlocks: 0
; NumSGPRsForWavesPerEU: 4
; NumVGPRsForWavesPerEU: 1
; AccumOffset: 4
; Occupancy: 8
; WaveLimiterHint : 0
; COMPUTE_PGM_RSRC2:SCRATCH_EN: 0
; COMPUTE_PGM_RSRC2:USER_SGPR: 6
; COMPUTE_PGM_RSRC2:TRAP_HANDLER: 0
; COMPUTE_PGM_RSRC2:TGID_X_EN: 1
; COMPUTE_PGM_RSRC2:TGID_Y_EN: 0
; COMPUTE_PGM_RSRC2:TGID_Z_EN: 0
; COMPUTE_PGM_RSRC2:TIDIG_COMP_CNT: 0
; COMPUTE_PGM_RSRC3_GFX90A:ACCUM_OFFSET: 0
; COMPUTE_PGM_RSRC3_GFX90A:TG_SPLIT: 0
	.section	.text._ZN7rocprim17ROCPRIM_400000_NS6detail17trampoline_kernelINS0_14default_configENS1_29reduce_by_key_config_selectorIssN6thrust23THRUST_200600_302600_NS4plusIsEEEEZZNS1_33reduce_by_key_impl_wrapped_configILNS1_25lookback_scan_determinismE0ES3_S9_NS6_6detail15normal_iteratorINS6_10device_ptrIsEEEESG_SG_SG_PmS8_NS6_8equal_toIsEEEE10hipError_tPvRmT2_T3_mT4_T5_T6_T7_T8_P12ihipStream_tbENKUlT_T0_E_clISt17integral_constantIbLb1EES11_EEDaSW_SX_EUlSW_E_NS1_11comp_targetILNS1_3genE10ELNS1_11target_archE1200ELNS1_3gpuE4ELNS1_3repE0EEENS1_30default_config_static_selectorELNS0_4arch9wavefront6targetE1EEEvT1_,"axG",@progbits,_ZN7rocprim17ROCPRIM_400000_NS6detail17trampoline_kernelINS0_14default_configENS1_29reduce_by_key_config_selectorIssN6thrust23THRUST_200600_302600_NS4plusIsEEEEZZNS1_33reduce_by_key_impl_wrapped_configILNS1_25lookback_scan_determinismE0ES3_S9_NS6_6detail15normal_iteratorINS6_10device_ptrIsEEEESG_SG_SG_PmS8_NS6_8equal_toIsEEEE10hipError_tPvRmT2_T3_mT4_T5_T6_T7_T8_P12ihipStream_tbENKUlT_T0_E_clISt17integral_constantIbLb1EES11_EEDaSW_SX_EUlSW_E_NS1_11comp_targetILNS1_3genE10ELNS1_11target_archE1200ELNS1_3gpuE4ELNS1_3repE0EEENS1_30default_config_static_selectorELNS0_4arch9wavefront6targetE1EEEvT1_,comdat
	.protected	_ZN7rocprim17ROCPRIM_400000_NS6detail17trampoline_kernelINS0_14default_configENS1_29reduce_by_key_config_selectorIssN6thrust23THRUST_200600_302600_NS4plusIsEEEEZZNS1_33reduce_by_key_impl_wrapped_configILNS1_25lookback_scan_determinismE0ES3_S9_NS6_6detail15normal_iteratorINS6_10device_ptrIsEEEESG_SG_SG_PmS8_NS6_8equal_toIsEEEE10hipError_tPvRmT2_T3_mT4_T5_T6_T7_T8_P12ihipStream_tbENKUlT_T0_E_clISt17integral_constantIbLb1EES11_EEDaSW_SX_EUlSW_E_NS1_11comp_targetILNS1_3genE10ELNS1_11target_archE1200ELNS1_3gpuE4ELNS1_3repE0EEENS1_30default_config_static_selectorELNS0_4arch9wavefront6targetE1EEEvT1_ ; -- Begin function _ZN7rocprim17ROCPRIM_400000_NS6detail17trampoline_kernelINS0_14default_configENS1_29reduce_by_key_config_selectorIssN6thrust23THRUST_200600_302600_NS4plusIsEEEEZZNS1_33reduce_by_key_impl_wrapped_configILNS1_25lookback_scan_determinismE0ES3_S9_NS6_6detail15normal_iteratorINS6_10device_ptrIsEEEESG_SG_SG_PmS8_NS6_8equal_toIsEEEE10hipError_tPvRmT2_T3_mT4_T5_T6_T7_T8_P12ihipStream_tbENKUlT_T0_E_clISt17integral_constantIbLb1EES11_EEDaSW_SX_EUlSW_E_NS1_11comp_targetILNS1_3genE10ELNS1_11target_archE1200ELNS1_3gpuE4ELNS1_3repE0EEENS1_30default_config_static_selectorELNS0_4arch9wavefront6targetE1EEEvT1_
	.globl	_ZN7rocprim17ROCPRIM_400000_NS6detail17trampoline_kernelINS0_14default_configENS1_29reduce_by_key_config_selectorIssN6thrust23THRUST_200600_302600_NS4plusIsEEEEZZNS1_33reduce_by_key_impl_wrapped_configILNS1_25lookback_scan_determinismE0ES3_S9_NS6_6detail15normal_iteratorINS6_10device_ptrIsEEEESG_SG_SG_PmS8_NS6_8equal_toIsEEEE10hipError_tPvRmT2_T3_mT4_T5_T6_T7_T8_P12ihipStream_tbENKUlT_T0_E_clISt17integral_constantIbLb1EES11_EEDaSW_SX_EUlSW_E_NS1_11comp_targetILNS1_3genE10ELNS1_11target_archE1200ELNS1_3gpuE4ELNS1_3repE0EEENS1_30default_config_static_selectorELNS0_4arch9wavefront6targetE1EEEvT1_
	.p2align	8
	.type	_ZN7rocprim17ROCPRIM_400000_NS6detail17trampoline_kernelINS0_14default_configENS1_29reduce_by_key_config_selectorIssN6thrust23THRUST_200600_302600_NS4plusIsEEEEZZNS1_33reduce_by_key_impl_wrapped_configILNS1_25lookback_scan_determinismE0ES3_S9_NS6_6detail15normal_iteratorINS6_10device_ptrIsEEEESG_SG_SG_PmS8_NS6_8equal_toIsEEEE10hipError_tPvRmT2_T3_mT4_T5_T6_T7_T8_P12ihipStream_tbENKUlT_T0_E_clISt17integral_constantIbLb1EES11_EEDaSW_SX_EUlSW_E_NS1_11comp_targetILNS1_3genE10ELNS1_11target_archE1200ELNS1_3gpuE4ELNS1_3repE0EEENS1_30default_config_static_selectorELNS0_4arch9wavefront6targetE1EEEvT1_,@function
_ZN7rocprim17ROCPRIM_400000_NS6detail17trampoline_kernelINS0_14default_configENS1_29reduce_by_key_config_selectorIssN6thrust23THRUST_200600_302600_NS4plusIsEEEEZZNS1_33reduce_by_key_impl_wrapped_configILNS1_25lookback_scan_determinismE0ES3_S9_NS6_6detail15normal_iteratorINS6_10device_ptrIsEEEESG_SG_SG_PmS8_NS6_8equal_toIsEEEE10hipError_tPvRmT2_T3_mT4_T5_T6_T7_T8_P12ihipStream_tbENKUlT_T0_E_clISt17integral_constantIbLb1EES11_EEDaSW_SX_EUlSW_E_NS1_11comp_targetILNS1_3genE10ELNS1_11target_archE1200ELNS1_3gpuE4ELNS1_3repE0EEENS1_30default_config_static_selectorELNS0_4arch9wavefront6targetE1EEEvT1_: ; @_ZN7rocprim17ROCPRIM_400000_NS6detail17trampoline_kernelINS0_14default_configENS1_29reduce_by_key_config_selectorIssN6thrust23THRUST_200600_302600_NS4plusIsEEEEZZNS1_33reduce_by_key_impl_wrapped_configILNS1_25lookback_scan_determinismE0ES3_S9_NS6_6detail15normal_iteratorINS6_10device_ptrIsEEEESG_SG_SG_PmS8_NS6_8equal_toIsEEEE10hipError_tPvRmT2_T3_mT4_T5_T6_T7_T8_P12ihipStream_tbENKUlT_T0_E_clISt17integral_constantIbLb1EES11_EEDaSW_SX_EUlSW_E_NS1_11comp_targetILNS1_3genE10ELNS1_11target_archE1200ELNS1_3gpuE4ELNS1_3repE0EEENS1_30default_config_static_selectorELNS0_4arch9wavefront6targetE1EEEvT1_
; %bb.0:
	.section	.rodata,"a",@progbits
	.p2align	6, 0x0
	.amdhsa_kernel _ZN7rocprim17ROCPRIM_400000_NS6detail17trampoline_kernelINS0_14default_configENS1_29reduce_by_key_config_selectorIssN6thrust23THRUST_200600_302600_NS4plusIsEEEEZZNS1_33reduce_by_key_impl_wrapped_configILNS1_25lookback_scan_determinismE0ES3_S9_NS6_6detail15normal_iteratorINS6_10device_ptrIsEEEESG_SG_SG_PmS8_NS6_8equal_toIsEEEE10hipError_tPvRmT2_T3_mT4_T5_T6_T7_T8_P12ihipStream_tbENKUlT_T0_E_clISt17integral_constantIbLb1EES11_EEDaSW_SX_EUlSW_E_NS1_11comp_targetILNS1_3genE10ELNS1_11target_archE1200ELNS1_3gpuE4ELNS1_3repE0EEENS1_30default_config_static_selectorELNS0_4arch9wavefront6targetE1EEEvT1_
		.amdhsa_group_segment_fixed_size 0
		.amdhsa_private_segment_fixed_size 0
		.amdhsa_kernarg_size 120
		.amdhsa_user_sgpr_count 6
		.amdhsa_user_sgpr_private_segment_buffer 1
		.amdhsa_user_sgpr_dispatch_ptr 0
		.amdhsa_user_sgpr_queue_ptr 0
		.amdhsa_user_sgpr_kernarg_segment_ptr 1
		.amdhsa_user_sgpr_dispatch_id 0
		.amdhsa_user_sgpr_flat_scratch_init 0
		.amdhsa_user_sgpr_kernarg_preload_length 0
		.amdhsa_user_sgpr_kernarg_preload_offset 0
		.amdhsa_user_sgpr_private_segment_size 0
		.amdhsa_uses_dynamic_stack 0
		.amdhsa_system_sgpr_private_segment_wavefront_offset 0
		.amdhsa_system_sgpr_workgroup_id_x 1
		.amdhsa_system_sgpr_workgroup_id_y 0
		.amdhsa_system_sgpr_workgroup_id_z 0
		.amdhsa_system_sgpr_workgroup_info 0
		.amdhsa_system_vgpr_workitem_id 0
		.amdhsa_next_free_vgpr 1
		.amdhsa_next_free_sgpr 0
		.amdhsa_accum_offset 4
		.amdhsa_reserve_vcc 0
		.amdhsa_reserve_flat_scratch 0
		.amdhsa_float_round_mode_32 0
		.amdhsa_float_round_mode_16_64 0
		.amdhsa_float_denorm_mode_32 3
		.amdhsa_float_denorm_mode_16_64 3
		.amdhsa_dx10_clamp 1
		.amdhsa_ieee_mode 1
		.amdhsa_fp16_overflow 0
		.amdhsa_tg_split 0
		.amdhsa_exception_fp_ieee_invalid_op 0
		.amdhsa_exception_fp_denorm_src 0
		.amdhsa_exception_fp_ieee_div_zero 0
		.amdhsa_exception_fp_ieee_overflow 0
		.amdhsa_exception_fp_ieee_underflow 0
		.amdhsa_exception_fp_ieee_inexact 0
		.amdhsa_exception_int_div_zero 0
	.end_amdhsa_kernel
	.section	.text._ZN7rocprim17ROCPRIM_400000_NS6detail17trampoline_kernelINS0_14default_configENS1_29reduce_by_key_config_selectorIssN6thrust23THRUST_200600_302600_NS4plusIsEEEEZZNS1_33reduce_by_key_impl_wrapped_configILNS1_25lookback_scan_determinismE0ES3_S9_NS6_6detail15normal_iteratorINS6_10device_ptrIsEEEESG_SG_SG_PmS8_NS6_8equal_toIsEEEE10hipError_tPvRmT2_T3_mT4_T5_T6_T7_T8_P12ihipStream_tbENKUlT_T0_E_clISt17integral_constantIbLb1EES11_EEDaSW_SX_EUlSW_E_NS1_11comp_targetILNS1_3genE10ELNS1_11target_archE1200ELNS1_3gpuE4ELNS1_3repE0EEENS1_30default_config_static_selectorELNS0_4arch9wavefront6targetE1EEEvT1_,"axG",@progbits,_ZN7rocprim17ROCPRIM_400000_NS6detail17trampoline_kernelINS0_14default_configENS1_29reduce_by_key_config_selectorIssN6thrust23THRUST_200600_302600_NS4plusIsEEEEZZNS1_33reduce_by_key_impl_wrapped_configILNS1_25lookback_scan_determinismE0ES3_S9_NS6_6detail15normal_iteratorINS6_10device_ptrIsEEEESG_SG_SG_PmS8_NS6_8equal_toIsEEEE10hipError_tPvRmT2_T3_mT4_T5_T6_T7_T8_P12ihipStream_tbENKUlT_T0_E_clISt17integral_constantIbLb1EES11_EEDaSW_SX_EUlSW_E_NS1_11comp_targetILNS1_3genE10ELNS1_11target_archE1200ELNS1_3gpuE4ELNS1_3repE0EEENS1_30default_config_static_selectorELNS0_4arch9wavefront6targetE1EEEvT1_,comdat
.Lfunc_end638:
	.size	_ZN7rocprim17ROCPRIM_400000_NS6detail17trampoline_kernelINS0_14default_configENS1_29reduce_by_key_config_selectorIssN6thrust23THRUST_200600_302600_NS4plusIsEEEEZZNS1_33reduce_by_key_impl_wrapped_configILNS1_25lookback_scan_determinismE0ES3_S9_NS6_6detail15normal_iteratorINS6_10device_ptrIsEEEESG_SG_SG_PmS8_NS6_8equal_toIsEEEE10hipError_tPvRmT2_T3_mT4_T5_T6_T7_T8_P12ihipStream_tbENKUlT_T0_E_clISt17integral_constantIbLb1EES11_EEDaSW_SX_EUlSW_E_NS1_11comp_targetILNS1_3genE10ELNS1_11target_archE1200ELNS1_3gpuE4ELNS1_3repE0EEENS1_30default_config_static_selectorELNS0_4arch9wavefront6targetE1EEEvT1_, .Lfunc_end638-_ZN7rocprim17ROCPRIM_400000_NS6detail17trampoline_kernelINS0_14default_configENS1_29reduce_by_key_config_selectorIssN6thrust23THRUST_200600_302600_NS4plusIsEEEEZZNS1_33reduce_by_key_impl_wrapped_configILNS1_25lookback_scan_determinismE0ES3_S9_NS6_6detail15normal_iteratorINS6_10device_ptrIsEEEESG_SG_SG_PmS8_NS6_8equal_toIsEEEE10hipError_tPvRmT2_T3_mT4_T5_T6_T7_T8_P12ihipStream_tbENKUlT_T0_E_clISt17integral_constantIbLb1EES11_EEDaSW_SX_EUlSW_E_NS1_11comp_targetILNS1_3genE10ELNS1_11target_archE1200ELNS1_3gpuE4ELNS1_3repE0EEENS1_30default_config_static_selectorELNS0_4arch9wavefront6targetE1EEEvT1_
                                        ; -- End function
	.section	.AMDGPU.csdata,"",@progbits
; Kernel info:
; codeLenInByte = 0
; NumSgprs: 4
; NumVgprs: 0
; NumAgprs: 0
; TotalNumVgprs: 0
; ScratchSize: 0
; MemoryBound: 0
; FloatMode: 240
; IeeeMode: 1
; LDSByteSize: 0 bytes/workgroup (compile time only)
; SGPRBlocks: 0
; VGPRBlocks: 0
; NumSGPRsForWavesPerEU: 4
; NumVGPRsForWavesPerEU: 1
; AccumOffset: 4
; Occupancy: 8
; WaveLimiterHint : 0
; COMPUTE_PGM_RSRC2:SCRATCH_EN: 0
; COMPUTE_PGM_RSRC2:USER_SGPR: 6
; COMPUTE_PGM_RSRC2:TRAP_HANDLER: 0
; COMPUTE_PGM_RSRC2:TGID_X_EN: 1
; COMPUTE_PGM_RSRC2:TGID_Y_EN: 0
; COMPUTE_PGM_RSRC2:TGID_Z_EN: 0
; COMPUTE_PGM_RSRC2:TIDIG_COMP_CNT: 0
; COMPUTE_PGM_RSRC3_GFX90A:ACCUM_OFFSET: 0
; COMPUTE_PGM_RSRC3_GFX90A:TG_SPLIT: 0
	.section	.text._ZN7rocprim17ROCPRIM_400000_NS6detail17trampoline_kernelINS0_14default_configENS1_29reduce_by_key_config_selectorIssN6thrust23THRUST_200600_302600_NS4plusIsEEEEZZNS1_33reduce_by_key_impl_wrapped_configILNS1_25lookback_scan_determinismE0ES3_S9_NS6_6detail15normal_iteratorINS6_10device_ptrIsEEEESG_SG_SG_PmS8_NS6_8equal_toIsEEEE10hipError_tPvRmT2_T3_mT4_T5_T6_T7_T8_P12ihipStream_tbENKUlT_T0_E_clISt17integral_constantIbLb1EES11_EEDaSW_SX_EUlSW_E_NS1_11comp_targetILNS1_3genE9ELNS1_11target_archE1100ELNS1_3gpuE3ELNS1_3repE0EEENS1_30default_config_static_selectorELNS0_4arch9wavefront6targetE1EEEvT1_,"axG",@progbits,_ZN7rocprim17ROCPRIM_400000_NS6detail17trampoline_kernelINS0_14default_configENS1_29reduce_by_key_config_selectorIssN6thrust23THRUST_200600_302600_NS4plusIsEEEEZZNS1_33reduce_by_key_impl_wrapped_configILNS1_25lookback_scan_determinismE0ES3_S9_NS6_6detail15normal_iteratorINS6_10device_ptrIsEEEESG_SG_SG_PmS8_NS6_8equal_toIsEEEE10hipError_tPvRmT2_T3_mT4_T5_T6_T7_T8_P12ihipStream_tbENKUlT_T0_E_clISt17integral_constantIbLb1EES11_EEDaSW_SX_EUlSW_E_NS1_11comp_targetILNS1_3genE9ELNS1_11target_archE1100ELNS1_3gpuE3ELNS1_3repE0EEENS1_30default_config_static_selectorELNS0_4arch9wavefront6targetE1EEEvT1_,comdat
	.protected	_ZN7rocprim17ROCPRIM_400000_NS6detail17trampoline_kernelINS0_14default_configENS1_29reduce_by_key_config_selectorIssN6thrust23THRUST_200600_302600_NS4plusIsEEEEZZNS1_33reduce_by_key_impl_wrapped_configILNS1_25lookback_scan_determinismE0ES3_S9_NS6_6detail15normal_iteratorINS6_10device_ptrIsEEEESG_SG_SG_PmS8_NS6_8equal_toIsEEEE10hipError_tPvRmT2_T3_mT4_T5_T6_T7_T8_P12ihipStream_tbENKUlT_T0_E_clISt17integral_constantIbLb1EES11_EEDaSW_SX_EUlSW_E_NS1_11comp_targetILNS1_3genE9ELNS1_11target_archE1100ELNS1_3gpuE3ELNS1_3repE0EEENS1_30default_config_static_selectorELNS0_4arch9wavefront6targetE1EEEvT1_ ; -- Begin function _ZN7rocprim17ROCPRIM_400000_NS6detail17trampoline_kernelINS0_14default_configENS1_29reduce_by_key_config_selectorIssN6thrust23THRUST_200600_302600_NS4plusIsEEEEZZNS1_33reduce_by_key_impl_wrapped_configILNS1_25lookback_scan_determinismE0ES3_S9_NS6_6detail15normal_iteratorINS6_10device_ptrIsEEEESG_SG_SG_PmS8_NS6_8equal_toIsEEEE10hipError_tPvRmT2_T3_mT4_T5_T6_T7_T8_P12ihipStream_tbENKUlT_T0_E_clISt17integral_constantIbLb1EES11_EEDaSW_SX_EUlSW_E_NS1_11comp_targetILNS1_3genE9ELNS1_11target_archE1100ELNS1_3gpuE3ELNS1_3repE0EEENS1_30default_config_static_selectorELNS0_4arch9wavefront6targetE1EEEvT1_
	.globl	_ZN7rocprim17ROCPRIM_400000_NS6detail17trampoline_kernelINS0_14default_configENS1_29reduce_by_key_config_selectorIssN6thrust23THRUST_200600_302600_NS4plusIsEEEEZZNS1_33reduce_by_key_impl_wrapped_configILNS1_25lookback_scan_determinismE0ES3_S9_NS6_6detail15normal_iteratorINS6_10device_ptrIsEEEESG_SG_SG_PmS8_NS6_8equal_toIsEEEE10hipError_tPvRmT2_T3_mT4_T5_T6_T7_T8_P12ihipStream_tbENKUlT_T0_E_clISt17integral_constantIbLb1EES11_EEDaSW_SX_EUlSW_E_NS1_11comp_targetILNS1_3genE9ELNS1_11target_archE1100ELNS1_3gpuE3ELNS1_3repE0EEENS1_30default_config_static_selectorELNS0_4arch9wavefront6targetE1EEEvT1_
	.p2align	8
	.type	_ZN7rocprim17ROCPRIM_400000_NS6detail17trampoline_kernelINS0_14default_configENS1_29reduce_by_key_config_selectorIssN6thrust23THRUST_200600_302600_NS4plusIsEEEEZZNS1_33reduce_by_key_impl_wrapped_configILNS1_25lookback_scan_determinismE0ES3_S9_NS6_6detail15normal_iteratorINS6_10device_ptrIsEEEESG_SG_SG_PmS8_NS6_8equal_toIsEEEE10hipError_tPvRmT2_T3_mT4_T5_T6_T7_T8_P12ihipStream_tbENKUlT_T0_E_clISt17integral_constantIbLb1EES11_EEDaSW_SX_EUlSW_E_NS1_11comp_targetILNS1_3genE9ELNS1_11target_archE1100ELNS1_3gpuE3ELNS1_3repE0EEENS1_30default_config_static_selectorELNS0_4arch9wavefront6targetE1EEEvT1_,@function
_ZN7rocprim17ROCPRIM_400000_NS6detail17trampoline_kernelINS0_14default_configENS1_29reduce_by_key_config_selectorIssN6thrust23THRUST_200600_302600_NS4plusIsEEEEZZNS1_33reduce_by_key_impl_wrapped_configILNS1_25lookback_scan_determinismE0ES3_S9_NS6_6detail15normal_iteratorINS6_10device_ptrIsEEEESG_SG_SG_PmS8_NS6_8equal_toIsEEEE10hipError_tPvRmT2_T3_mT4_T5_T6_T7_T8_P12ihipStream_tbENKUlT_T0_E_clISt17integral_constantIbLb1EES11_EEDaSW_SX_EUlSW_E_NS1_11comp_targetILNS1_3genE9ELNS1_11target_archE1100ELNS1_3gpuE3ELNS1_3repE0EEENS1_30default_config_static_selectorELNS0_4arch9wavefront6targetE1EEEvT1_: ; @_ZN7rocprim17ROCPRIM_400000_NS6detail17trampoline_kernelINS0_14default_configENS1_29reduce_by_key_config_selectorIssN6thrust23THRUST_200600_302600_NS4plusIsEEEEZZNS1_33reduce_by_key_impl_wrapped_configILNS1_25lookback_scan_determinismE0ES3_S9_NS6_6detail15normal_iteratorINS6_10device_ptrIsEEEESG_SG_SG_PmS8_NS6_8equal_toIsEEEE10hipError_tPvRmT2_T3_mT4_T5_T6_T7_T8_P12ihipStream_tbENKUlT_T0_E_clISt17integral_constantIbLb1EES11_EEDaSW_SX_EUlSW_E_NS1_11comp_targetILNS1_3genE9ELNS1_11target_archE1100ELNS1_3gpuE3ELNS1_3repE0EEENS1_30default_config_static_selectorELNS0_4arch9wavefront6targetE1EEEvT1_
; %bb.0:
	.section	.rodata,"a",@progbits
	.p2align	6, 0x0
	.amdhsa_kernel _ZN7rocprim17ROCPRIM_400000_NS6detail17trampoline_kernelINS0_14default_configENS1_29reduce_by_key_config_selectorIssN6thrust23THRUST_200600_302600_NS4plusIsEEEEZZNS1_33reduce_by_key_impl_wrapped_configILNS1_25lookback_scan_determinismE0ES3_S9_NS6_6detail15normal_iteratorINS6_10device_ptrIsEEEESG_SG_SG_PmS8_NS6_8equal_toIsEEEE10hipError_tPvRmT2_T3_mT4_T5_T6_T7_T8_P12ihipStream_tbENKUlT_T0_E_clISt17integral_constantIbLb1EES11_EEDaSW_SX_EUlSW_E_NS1_11comp_targetILNS1_3genE9ELNS1_11target_archE1100ELNS1_3gpuE3ELNS1_3repE0EEENS1_30default_config_static_selectorELNS0_4arch9wavefront6targetE1EEEvT1_
		.amdhsa_group_segment_fixed_size 0
		.amdhsa_private_segment_fixed_size 0
		.amdhsa_kernarg_size 120
		.amdhsa_user_sgpr_count 6
		.amdhsa_user_sgpr_private_segment_buffer 1
		.amdhsa_user_sgpr_dispatch_ptr 0
		.amdhsa_user_sgpr_queue_ptr 0
		.amdhsa_user_sgpr_kernarg_segment_ptr 1
		.amdhsa_user_sgpr_dispatch_id 0
		.amdhsa_user_sgpr_flat_scratch_init 0
		.amdhsa_user_sgpr_kernarg_preload_length 0
		.amdhsa_user_sgpr_kernarg_preload_offset 0
		.amdhsa_user_sgpr_private_segment_size 0
		.amdhsa_uses_dynamic_stack 0
		.amdhsa_system_sgpr_private_segment_wavefront_offset 0
		.amdhsa_system_sgpr_workgroup_id_x 1
		.amdhsa_system_sgpr_workgroup_id_y 0
		.amdhsa_system_sgpr_workgroup_id_z 0
		.amdhsa_system_sgpr_workgroup_info 0
		.amdhsa_system_vgpr_workitem_id 0
		.amdhsa_next_free_vgpr 1
		.amdhsa_next_free_sgpr 0
		.amdhsa_accum_offset 4
		.amdhsa_reserve_vcc 0
		.amdhsa_reserve_flat_scratch 0
		.amdhsa_float_round_mode_32 0
		.amdhsa_float_round_mode_16_64 0
		.amdhsa_float_denorm_mode_32 3
		.amdhsa_float_denorm_mode_16_64 3
		.amdhsa_dx10_clamp 1
		.amdhsa_ieee_mode 1
		.amdhsa_fp16_overflow 0
		.amdhsa_tg_split 0
		.amdhsa_exception_fp_ieee_invalid_op 0
		.amdhsa_exception_fp_denorm_src 0
		.amdhsa_exception_fp_ieee_div_zero 0
		.amdhsa_exception_fp_ieee_overflow 0
		.amdhsa_exception_fp_ieee_underflow 0
		.amdhsa_exception_fp_ieee_inexact 0
		.amdhsa_exception_int_div_zero 0
	.end_amdhsa_kernel
	.section	.text._ZN7rocprim17ROCPRIM_400000_NS6detail17trampoline_kernelINS0_14default_configENS1_29reduce_by_key_config_selectorIssN6thrust23THRUST_200600_302600_NS4plusIsEEEEZZNS1_33reduce_by_key_impl_wrapped_configILNS1_25lookback_scan_determinismE0ES3_S9_NS6_6detail15normal_iteratorINS6_10device_ptrIsEEEESG_SG_SG_PmS8_NS6_8equal_toIsEEEE10hipError_tPvRmT2_T3_mT4_T5_T6_T7_T8_P12ihipStream_tbENKUlT_T0_E_clISt17integral_constantIbLb1EES11_EEDaSW_SX_EUlSW_E_NS1_11comp_targetILNS1_3genE9ELNS1_11target_archE1100ELNS1_3gpuE3ELNS1_3repE0EEENS1_30default_config_static_selectorELNS0_4arch9wavefront6targetE1EEEvT1_,"axG",@progbits,_ZN7rocprim17ROCPRIM_400000_NS6detail17trampoline_kernelINS0_14default_configENS1_29reduce_by_key_config_selectorIssN6thrust23THRUST_200600_302600_NS4plusIsEEEEZZNS1_33reduce_by_key_impl_wrapped_configILNS1_25lookback_scan_determinismE0ES3_S9_NS6_6detail15normal_iteratorINS6_10device_ptrIsEEEESG_SG_SG_PmS8_NS6_8equal_toIsEEEE10hipError_tPvRmT2_T3_mT4_T5_T6_T7_T8_P12ihipStream_tbENKUlT_T0_E_clISt17integral_constantIbLb1EES11_EEDaSW_SX_EUlSW_E_NS1_11comp_targetILNS1_3genE9ELNS1_11target_archE1100ELNS1_3gpuE3ELNS1_3repE0EEENS1_30default_config_static_selectorELNS0_4arch9wavefront6targetE1EEEvT1_,comdat
.Lfunc_end639:
	.size	_ZN7rocprim17ROCPRIM_400000_NS6detail17trampoline_kernelINS0_14default_configENS1_29reduce_by_key_config_selectorIssN6thrust23THRUST_200600_302600_NS4plusIsEEEEZZNS1_33reduce_by_key_impl_wrapped_configILNS1_25lookback_scan_determinismE0ES3_S9_NS6_6detail15normal_iteratorINS6_10device_ptrIsEEEESG_SG_SG_PmS8_NS6_8equal_toIsEEEE10hipError_tPvRmT2_T3_mT4_T5_T6_T7_T8_P12ihipStream_tbENKUlT_T0_E_clISt17integral_constantIbLb1EES11_EEDaSW_SX_EUlSW_E_NS1_11comp_targetILNS1_3genE9ELNS1_11target_archE1100ELNS1_3gpuE3ELNS1_3repE0EEENS1_30default_config_static_selectorELNS0_4arch9wavefront6targetE1EEEvT1_, .Lfunc_end639-_ZN7rocprim17ROCPRIM_400000_NS6detail17trampoline_kernelINS0_14default_configENS1_29reduce_by_key_config_selectorIssN6thrust23THRUST_200600_302600_NS4plusIsEEEEZZNS1_33reduce_by_key_impl_wrapped_configILNS1_25lookback_scan_determinismE0ES3_S9_NS6_6detail15normal_iteratorINS6_10device_ptrIsEEEESG_SG_SG_PmS8_NS6_8equal_toIsEEEE10hipError_tPvRmT2_T3_mT4_T5_T6_T7_T8_P12ihipStream_tbENKUlT_T0_E_clISt17integral_constantIbLb1EES11_EEDaSW_SX_EUlSW_E_NS1_11comp_targetILNS1_3genE9ELNS1_11target_archE1100ELNS1_3gpuE3ELNS1_3repE0EEENS1_30default_config_static_selectorELNS0_4arch9wavefront6targetE1EEEvT1_
                                        ; -- End function
	.section	.AMDGPU.csdata,"",@progbits
; Kernel info:
; codeLenInByte = 0
; NumSgprs: 4
; NumVgprs: 0
; NumAgprs: 0
; TotalNumVgprs: 0
; ScratchSize: 0
; MemoryBound: 0
; FloatMode: 240
; IeeeMode: 1
; LDSByteSize: 0 bytes/workgroup (compile time only)
; SGPRBlocks: 0
; VGPRBlocks: 0
; NumSGPRsForWavesPerEU: 4
; NumVGPRsForWavesPerEU: 1
; AccumOffset: 4
; Occupancy: 8
; WaveLimiterHint : 0
; COMPUTE_PGM_RSRC2:SCRATCH_EN: 0
; COMPUTE_PGM_RSRC2:USER_SGPR: 6
; COMPUTE_PGM_RSRC2:TRAP_HANDLER: 0
; COMPUTE_PGM_RSRC2:TGID_X_EN: 1
; COMPUTE_PGM_RSRC2:TGID_Y_EN: 0
; COMPUTE_PGM_RSRC2:TGID_Z_EN: 0
; COMPUTE_PGM_RSRC2:TIDIG_COMP_CNT: 0
; COMPUTE_PGM_RSRC3_GFX90A:ACCUM_OFFSET: 0
; COMPUTE_PGM_RSRC3_GFX90A:TG_SPLIT: 0
	.section	.text._ZN7rocprim17ROCPRIM_400000_NS6detail17trampoline_kernelINS0_14default_configENS1_29reduce_by_key_config_selectorIssN6thrust23THRUST_200600_302600_NS4plusIsEEEEZZNS1_33reduce_by_key_impl_wrapped_configILNS1_25lookback_scan_determinismE0ES3_S9_NS6_6detail15normal_iteratorINS6_10device_ptrIsEEEESG_SG_SG_PmS8_NS6_8equal_toIsEEEE10hipError_tPvRmT2_T3_mT4_T5_T6_T7_T8_P12ihipStream_tbENKUlT_T0_E_clISt17integral_constantIbLb1EES11_EEDaSW_SX_EUlSW_E_NS1_11comp_targetILNS1_3genE8ELNS1_11target_archE1030ELNS1_3gpuE2ELNS1_3repE0EEENS1_30default_config_static_selectorELNS0_4arch9wavefront6targetE1EEEvT1_,"axG",@progbits,_ZN7rocprim17ROCPRIM_400000_NS6detail17trampoline_kernelINS0_14default_configENS1_29reduce_by_key_config_selectorIssN6thrust23THRUST_200600_302600_NS4plusIsEEEEZZNS1_33reduce_by_key_impl_wrapped_configILNS1_25lookback_scan_determinismE0ES3_S9_NS6_6detail15normal_iteratorINS6_10device_ptrIsEEEESG_SG_SG_PmS8_NS6_8equal_toIsEEEE10hipError_tPvRmT2_T3_mT4_T5_T6_T7_T8_P12ihipStream_tbENKUlT_T0_E_clISt17integral_constantIbLb1EES11_EEDaSW_SX_EUlSW_E_NS1_11comp_targetILNS1_3genE8ELNS1_11target_archE1030ELNS1_3gpuE2ELNS1_3repE0EEENS1_30default_config_static_selectorELNS0_4arch9wavefront6targetE1EEEvT1_,comdat
	.protected	_ZN7rocprim17ROCPRIM_400000_NS6detail17trampoline_kernelINS0_14default_configENS1_29reduce_by_key_config_selectorIssN6thrust23THRUST_200600_302600_NS4plusIsEEEEZZNS1_33reduce_by_key_impl_wrapped_configILNS1_25lookback_scan_determinismE0ES3_S9_NS6_6detail15normal_iteratorINS6_10device_ptrIsEEEESG_SG_SG_PmS8_NS6_8equal_toIsEEEE10hipError_tPvRmT2_T3_mT4_T5_T6_T7_T8_P12ihipStream_tbENKUlT_T0_E_clISt17integral_constantIbLb1EES11_EEDaSW_SX_EUlSW_E_NS1_11comp_targetILNS1_3genE8ELNS1_11target_archE1030ELNS1_3gpuE2ELNS1_3repE0EEENS1_30default_config_static_selectorELNS0_4arch9wavefront6targetE1EEEvT1_ ; -- Begin function _ZN7rocprim17ROCPRIM_400000_NS6detail17trampoline_kernelINS0_14default_configENS1_29reduce_by_key_config_selectorIssN6thrust23THRUST_200600_302600_NS4plusIsEEEEZZNS1_33reduce_by_key_impl_wrapped_configILNS1_25lookback_scan_determinismE0ES3_S9_NS6_6detail15normal_iteratorINS6_10device_ptrIsEEEESG_SG_SG_PmS8_NS6_8equal_toIsEEEE10hipError_tPvRmT2_T3_mT4_T5_T6_T7_T8_P12ihipStream_tbENKUlT_T0_E_clISt17integral_constantIbLb1EES11_EEDaSW_SX_EUlSW_E_NS1_11comp_targetILNS1_3genE8ELNS1_11target_archE1030ELNS1_3gpuE2ELNS1_3repE0EEENS1_30default_config_static_selectorELNS0_4arch9wavefront6targetE1EEEvT1_
	.globl	_ZN7rocprim17ROCPRIM_400000_NS6detail17trampoline_kernelINS0_14default_configENS1_29reduce_by_key_config_selectorIssN6thrust23THRUST_200600_302600_NS4plusIsEEEEZZNS1_33reduce_by_key_impl_wrapped_configILNS1_25lookback_scan_determinismE0ES3_S9_NS6_6detail15normal_iteratorINS6_10device_ptrIsEEEESG_SG_SG_PmS8_NS6_8equal_toIsEEEE10hipError_tPvRmT2_T3_mT4_T5_T6_T7_T8_P12ihipStream_tbENKUlT_T0_E_clISt17integral_constantIbLb1EES11_EEDaSW_SX_EUlSW_E_NS1_11comp_targetILNS1_3genE8ELNS1_11target_archE1030ELNS1_3gpuE2ELNS1_3repE0EEENS1_30default_config_static_selectorELNS0_4arch9wavefront6targetE1EEEvT1_
	.p2align	8
	.type	_ZN7rocprim17ROCPRIM_400000_NS6detail17trampoline_kernelINS0_14default_configENS1_29reduce_by_key_config_selectorIssN6thrust23THRUST_200600_302600_NS4plusIsEEEEZZNS1_33reduce_by_key_impl_wrapped_configILNS1_25lookback_scan_determinismE0ES3_S9_NS6_6detail15normal_iteratorINS6_10device_ptrIsEEEESG_SG_SG_PmS8_NS6_8equal_toIsEEEE10hipError_tPvRmT2_T3_mT4_T5_T6_T7_T8_P12ihipStream_tbENKUlT_T0_E_clISt17integral_constantIbLb1EES11_EEDaSW_SX_EUlSW_E_NS1_11comp_targetILNS1_3genE8ELNS1_11target_archE1030ELNS1_3gpuE2ELNS1_3repE0EEENS1_30default_config_static_selectorELNS0_4arch9wavefront6targetE1EEEvT1_,@function
_ZN7rocprim17ROCPRIM_400000_NS6detail17trampoline_kernelINS0_14default_configENS1_29reduce_by_key_config_selectorIssN6thrust23THRUST_200600_302600_NS4plusIsEEEEZZNS1_33reduce_by_key_impl_wrapped_configILNS1_25lookback_scan_determinismE0ES3_S9_NS6_6detail15normal_iteratorINS6_10device_ptrIsEEEESG_SG_SG_PmS8_NS6_8equal_toIsEEEE10hipError_tPvRmT2_T3_mT4_T5_T6_T7_T8_P12ihipStream_tbENKUlT_T0_E_clISt17integral_constantIbLb1EES11_EEDaSW_SX_EUlSW_E_NS1_11comp_targetILNS1_3genE8ELNS1_11target_archE1030ELNS1_3gpuE2ELNS1_3repE0EEENS1_30default_config_static_selectorELNS0_4arch9wavefront6targetE1EEEvT1_: ; @_ZN7rocprim17ROCPRIM_400000_NS6detail17trampoline_kernelINS0_14default_configENS1_29reduce_by_key_config_selectorIssN6thrust23THRUST_200600_302600_NS4plusIsEEEEZZNS1_33reduce_by_key_impl_wrapped_configILNS1_25lookback_scan_determinismE0ES3_S9_NS6_6detail15normal_iteratorINS6_10device_ptrIsEEEESG_SG_SG_PmS8_NS6_8equal_toIsEEEE10hipError_tPvRmT2_T3_mT4_T5_T6_T7_T8_P12ihipStream_tbENKUlT_T0_E_clISt17integral_constantIbLb1EES11_EEDaSW_SX_EUlSW_E_NS1_11comp_targetILNS1_3genE8ELNS1_11target_archE1030ELNS1_3gpuE2ELNS1_3repE0EEENS1_30default_config_static_selectorELNS0_4arch9wavefront6targetE1EEEvT1_
; %bb.0:
	.section	.rodata,"a",@progbits
	.p2align	6, 0x0
	.amdhsa_kernel _ZN7rocprim17ROCPRIM_400000_NS6detail17trampoline_kernelINS0_14default_configENS1_29reduce_by_key_config_selectorIssN6thrust23THRUST_200600_302600_NS4plusIsEEEEZZNS1_33reduce_by_key_impl_wrapped_configILNS1_25lookback_scan_determinismE0ES3_S9_NS6_6detail15normal_iteratorINS6_10device_ptrIsEEEESG_SG_SG_PmS8_NS6_8equal_toIsEEEE10hipError_tPvRmT2_T3_mT4_T5_T6_T7_T8_P12ihipStream_tbENKUlT_T0_E_clISt17integral_constantIbLb1EES11_EEDaSW_SX_EUlSW_E_NS1_11comp_targetILNS1_3genE8ELNS1_11target_archE1030ELNS1_3gpuE2ELNS1_3repE0EEENS1_30default_config_static_selectorELNS0_4arch9wavefront6targetE1EEEvT1_
		.amdhsa_group_segment_fixed_size 0
		.amdhsa_private_segment_fixed_size 0
		.amdhsa_kernarg_size 120
		.amdhsa_user_sgpr_count 6
		.amdhsa_user_sgpr_private_segment_buffer 1
		.amdhsa_user_sgpr_dispatch_ptr 0
		.amdhsa_user_sgpr_queue_ptr 0
		.amdhsa_user_sgpr_kernarg_segment_ptr 1
		.amdhsa_user_sgpr_dispatch_id 0
		.amdhsa_user_sgpr_flat_scratch_init 0
		.amdhsa_user_sgpr_kernarg_preload_length 0
		.amdhsa_user_sgpr_kernarg_preload_offset 0
		.amdhsa_user_sgpr_private_segment_size 0
		.amdhsa_uses_dynamic_stack 0
		.amdhsa_system_sgpr_private_segment_wavefront_offset 0
		.amdhsa_system_sgpr_workgroup_id_x 1
		.amdhsa_system_sgpr_workgroup_id_y 0
		.amdhsa_system_sgpr_workgroup_id_z 0
		.amdhsa_system_sgpr_workgroup_info 0
		.amdhsa_system_vgpr_workitem_id 0
		.amdhsa_next_free_vgpr 1
		.amdhsa_next_free_sgpr 0
		.amdhsa_accum_offset 4
		.amdhsa_reserve_vcc 0
		.amdhsa_reserve_flat_scratch 0
		.amdhsa_float_round_mode_32 0
		.amdhsa_float_round_mode_16_64 0
		.amdhsa_float_denorm_mode_32 3
		.amdhsa_float_denorm_mode_16_64 3
		.amdhsa_dx10_clamp 1
		.amdhsa_ieee_mode 1
		.amdhsa_fp16_overflow 0
		.amdhsa_tg_split 0
		.amdhsa_exception_fp_ieee_invalid_op 0
		.amdhsa_exception_fp_denorm_src 0
		.amdhsa_exception_fp_ieee_div_zero 0
		.amdhsa_exception_fp_ieee_overflow 0
		.amdhsa_exception_fp_ieee_underflow 0
		.amdhsa_exception_fp_ieee_inexact 0
		.amdhsa_exception_int_div_zero 0
	.end_amdhsa_kernel
	.section	.text._ZN7rocprim17ROCPRIM_400000_NS6detail17trampoline_kernelINS0_14default_configENS1_29reduce_by_key_config_selectorIssN6thrust23THRUST_200600_302600_NS4plusIsEEEEZZNS1_33reduce_by_key_impl_wrapped_configILNS1_25lookback_scan_determinismE0ES3_S9_NS6_6detail15normal_iteratorINS6_10device_ptrIsEEEESG_SG_SG_PmS8_NS6_8equal_toIsEEEE10hipError_tPvRmT2_T3_mT4_T5_T6_T7_T8_P12ihipStream_tbENKUlT_T0_E_clISt17integral_constantIbLb1EES11_EEDaSW_SX_EUlSW_E_NS1_11comp_targetILNS1_3genE8ELNS1_11target_archE1030ELNS1_3gpuE2ELNS1_3repE0EEENS1_30default_config_static_selectorELNS0_4arch9wavefront6targetE1EEEvT1_,"axG",@progbits,_ZN7rocprim17ROCPRIM_400000_NS6detail17trampoline_kernelINS0_14default_configENS1_29reduce_by_key_config_selectorIssN6thrust23THRUST_200600_302600_NS4plusIsEEEEZZNS1_33reduce_by_key_impl_wrapped_configILNS1_25lookback_scan_determinismE0ES3_S9_NS6_6detail15normal_iteratorINS6_10device_ptrIsEEEESG_SG_SG_PmS8_NS6_8equal_toIsEEEE10hipError_tPvRmT2_T3_mT4_T5_T6_T7_T8_P12ihipStream_tbENKUlT_T0_E_clISt17integral_constantIbLb1EES11_EEDaSW_SX_EUlSW_E_NS1_11comp_targetILNS1_3genE8ELNS1_11target_archE1030ELNS1_3gpuE2ELNS1_3repE0EEENS1_30default_config_static_selectorELNS0_4arch9wavefront6targetE1EEEvT1_,comdat
.Lfunc_end640:
	.size	_ZN7rocprim17ROCPRIM_400000_NS6detail17trampoline_kernelINS0_14default_configENS1_29reduce_by_key_config_selectorIssN6thrust23THRUST_200600_302600_NS4plusIsEEEEZZNS1_33reduce_by_key_impl_wrapped_configILNS1_25lookback_scan_determinismE0ES3_S9_NS6_6detail15normal_iteratorINS6_10device_ptrIsEEEESG_SG_SG_PmS8_NS6_8equal_toIsEEEE10hipError_tPvRmT2_T3_mT4_T5_T6_T7_T8_P12ihipStream_tbENKUlT_T0_E_clISt17integral_constantIbLb1EES11_EEDaSW_SX_EUlSW_E_NS1_11comp_targetILNS1_3genE8ELNS1_11target_archE1030ELNS1_3gpuE2ELNS1_3repE0EEENS1_30default_config_static_selectorELNS0_4arch9wavefront6targetE1EEEvT1_, .Lfunc_end640-_ZN7rocprim17ROCPRIM_400000_NS6detail17trampoline_kernelINS0_14default_configENS1_29reduce_by_key_config_selectorIssN6thrust23THRUST_200600_302600_NS4plusIsEEEEZZNS1_33reduce_by_key_impl_wrapped_configILNS1_25lookback_scan_determinismE0ES3_S9_NS6_6detail15normal_iteratorINS6_10device_ptrIsEEEESG_SG_SG_PmS8_NS6_8equal_toIsEEEE10hipError_tPvRmT2_T3_mT4_T5_T6_T7_T8_P12ihipStream_tbENKUlT_T0_E_clISt17integral_constantIbLb1EES11_EEDaSW_SX_EUlSW_E_NS1_11comp_targetILNS1_3genE8ELNS1_11target_archE1030ELNS1_3gpuE2ELNS1_3repE0EEENS1_30default_config_static_selectorELNS0_4arch9wavefront6targetE1EEEvT1_
                                        ; -- End function
	.section	.AMDGPU.csdata,"",@progbits
; Kernel info:
; codeLenInByte = 0
; NumSgprs: 4
; NumVgprs: 0
; NumAgprs: 0
; TotalNumVgprs: 0
; ScratchSize: 0
; MemoryBound: 0
; FloatMode: 240
; IeeeMode: 1
; LDSByteSize: 0 bytes/workgroup (compile time only)
; SGPRBlocks: 0
; VGPRBlocks: 0
; NumSGPRsForWavesPerEU: 4
; NumVGPRsForWavesPerEU: 1
; AccumOffset: 4
; Occupancy: 8
; WaveLimiterHint : 0
; COMPUTE_PGM_RSRC2:SCRATCH_EN: 0
; COMPUTE_PGM_RSRC2:USER_SGPR: 6
; COMPUTE_PGM_RSRC2:TRAP_HANDLER: 0
; COMPUTE_PGM_RSRC2:TGID_X_EN: 1
; COMPUTE_PGM_RSRC2:TGID_Y_EN: 0
; COMPUTE_PGM_RSRC2:TGID_Z_EN: 0
; COMPUTE_PGM_RSRC2:TIDIG_COMP_CNT: 0
; COMPUTE_PGM_RSRC3_GFX90A:ACCUM_OFFSET: 0
; COMPUTE_PGM_RSRC3_GFX90A:TG_SPLIT: 0
	.section	.text._ZN7rocprim17ROCPRIM_400000_NS6detail25reduce_by_key_init_kernelINS1_19lookback_scan_stateINS0_5tupleIJjsEEELb1ELb1EEEsNS1_16block_id_wrapperIjLb0EEEEEvT_jbjPmPT0_T1_,"axG",@progbits,_ZN7rocprim17ROCPRIM_400000_NS6detail25reduce_by_key_init_kernelINS1_19lookback_scan_stateINS0_5tupleIJjsEEELb1ELb1EEEsNS1_16block_id_wrapperIjLb0EEEEEvT_jbjPmPT0_T1_,comdat
	.protected	_ZN7rocprim17ROCPRIM_400000_NS6detail25reduce_by_key_init_kernelINS1_19lookback_scan_stateINS0_5tupleIJjsEEELb1ELb1EEEsNS1_16block_id_wrapperIjLb0EEEEEvT_jbjPmPT0_T1_ ; -- Begin function _ZN7rocprim17ROCPRIM_400000_NS6detail25reduce_by_key_init_kernelINS1_19lookback_scan_stateINS0_5tupleIJjsEEELb1ELb1EEEsNS1_16block_id_wrapperIjLb0EEEEEvT_jbjPmPT0_T1_
	.globl	_ZN7rocprim17ROCPRIM_400000_NS6detail25reduce_by_key_init_kernelINS1_19lookback_scan_stateINS0_5tupleIJjsEEELb1ELb1EEEsNS1_16block_id_wrapperIjLb0EEEEEvT_jbjPmPT0_T1_
	.p2align	8
	.type	_ZN7rocprim17ROCPRIM_400000_NS6detail25reduce_by_key_init_kernelINS1_19lookback_scan_stateINS0_5tupleIJjsEEELb1ELb1EEEsNS1_16block_id_wrapperIjLb0EEEEEvT_jbjPmPT0_T1_,@function
_ZN7rocprim17ROCPRIM_400000_NS6detail25reduce_by_key_init_kernelINS1_19lookback_scan_stateINS0_5tupleIJjsEEELb1ELb1EEEsNS1_16block_id_wrapperIjLb0EEEEEvT_jbjPmPT0_T1_: ; @_ZN7rocprim17ROCPRIM_400000_NS6detail25reduce_by_key_init_kernelINS1_19lookback_scan_stateINS0_5tupleIJjsEEELb1ELb1EEEsNS1_16block_id_wrapperIjLb0EEEEEvT_jbjPmPT0_T1_
; %bb.0:
	s_load_dwordx8 s[8:15], s[4:5], 0x8
	s_load_dword s2, s[4:5], 0x3c
	s_load_dwordx2 s[0:1], s[4:5], 0x0
	s_waitcnt lgkmcnt(0)
	s_and_b32 s3, s9, 1
	s_and_b32 s2, s2, 0xffff
	s_mul_i32 s6, s6, s2
	s_cmp_eq_u32 s3, 0
	v_add_u32_e32 v0, s6, v0
	s_mov_b64 s[2:3], -1
	s_cbranch_scc1 .LBB641_5
; %bb.1:
	s_andn2_b64 vcc, exec, s[2:3]
	s_cbranch_vccz .LBB641_14
.LBB641_2:
	v_cmp_gt_u32_e32 vcc, s8, v0
	s_and_saveexec_b64 s[2:3], vcc
	s_cbranch_execnz .LBB641_17
.LBB641_3:
	s_or_b64 exec, exec, s[2:3]
	v_cmp_gt_u32_e32 vcc, 64, v0
	s_and_saveexec_b64 s[2:3], vcc
	s_cbranch_execnz .LBB641_18
.LBB641_4:
	s_endpgm
.LBB641_5:
	s_cmp_lt_u32 s10, s8
	s_cselect_b32 s2, s10, 0
	v_cmp_eq_u32_e32 vcc, s2, v0
	s_and_saveexec_b64 s[2:3], vcc
	s_cbranch_execz .LBB641_13
; %bb.6:
	s_add_i32 s4, s10, 64
	s_mov_b32 s5, 0
	s_lshl_b64 s[4:5], s[4:5], 4
	s_add_u32 s10, s0, s4
	s_addc_u32 s11, s1, s5
	v_pk_mov_b32 v[2:3], s[10:11], s[10:11] op_sel:[0,1]
	;;#ASMSTART
	global_load_dwordx4 v[2:5], v[2:3] off glc	
s_waitcnt vmcnt(0)
	;;#ASMEND
	v_mov_b32_e32 v7, 0
	v_and_b32_e32 v6, 0xff, v4
	s_mov_b64 s[6:7], 0
	v_cmp_eq_u64_e32 vcc, 0, v[6:7]
	s_and_saveexec_b64 s[4:5], vcc
	s_cbranch_execz .LBB641_12
; %bb.7:
	s_mov_b32 s9, 1
	v_pk_mov_b32 v[8:9], s[10:11], s[10:11] op_sel:[0,1]
.LBB641_8:                              ; =>This Loop Header: Depth=1
                                        ;     Child Loop BB641_9 Depth 2
	s_max_u32 s10, s9, 1
.LBB641_9:                              ;   Parent Loop BB641_8 Depth=1
                                        ; =>  This Inner Loop Header: Depth=2
	s_add_i32 s10, s10, -1
	s_cmp_eq_u32 s10, 0
	s_sleep 1
	s_cbranch_scc0 .LBB641_9
; %bb.10:                               ;   in Loop: Header=BB641_8 Depth=1
	s_cmp_lt_u32 s9, 32
	s_cselect_b64 s[10:11], -1, 0
	s_cmp_lg_u64 s[10:11], 0
	;;#ASMSTART
	global_load_dwordx4 v[2:5], v[8:9] off glc	
s_waitcnt vmcnt(0)
	;;#ASMEND
	v_and_b32_e32 v6, 0xff, v4
	s_addc_u32 s9, s9, 0
	v_cmp_ne_u64_e32 vcc, 0, v[6:7]
	s_or_b64 s[6:7], vcc, s[6:7]
	s_andn2_b64 exec, exec, s[6:7]
	s_cbranch_execnz .LBB641_8
; %bb.11:
	s_or_b64 exec, exec, s[6:7]
.LBB641_12:
	s_or_b64 exec, exec, s[4:5]
	v_mov_b32_e32 v1, 0
	global_load_dwordx2 v[4:5], v1, s[12:13]
	s_waitcnt vmcnt(0)
	v_add_co_u32_e32 v4, vcc, v4, v2
	v_addc_co_u32_e32 v5, vcc, 0, v5, vcc
	global_store_dwordx2 v1, v[4:5], s[12:13]
	global_store_short v1, v3, s[14:15]
.LBB641_13:
	s_or_b64 exec, exec, s[2:3]
	s_cbranch_execnz .LBB641_2
.LBB641_14:
	s_cmp_lg_u64 s[12:13], 0
	s_cselect_b64 s[2:3], -1, 0
	v_cmp_eq_u32_e32 vcc, 0, v0
	s_and_b64 s[4:5], s[2:3], vcc
	s_and_saveexec_b64 s[2:3], s[4:5]
	s_cbranch_execz .LBB641_16
; %bb.15:
	v_mov_b32_e32 v2, 0
	v_mov_b32_e32 v3, v2
	global_store_dwordx2 v2, v[2:3], s[12:13]
.LBB641_16:
	s_or_b64 exec, exec, s[2:3]
	v_cmp_gt_u32_e32 vcc, s8, v0
	s_and_saveexec_b64 s[2:3], vcc
	s_cbranch_execz .LBB641_3
.LBB641_17:
	v_add_u32_e32 v2, 64, v0
	v_mov_b32_e32 v3, 0
	v_lshlrev_b64 v[4:5], 4, v[2:3]
	v_mov_b32_e32 v1, s1
	v_add_co_u32_e32 v6, vcc, s0, v4
	v_addc_co_u32_e32 v7, vcc, v1, v5, vcc
	v_mov_b32_e32 v2, v3
	v_mov_b32_e32 v4, v3
	;; [unrolled: 1-line block ×3, first 2 shown]
	global_store_dwordx4 v[6:7], v[2:5], off
	s_or_b64 exec, exec, s[2:3]
	v_cmp_gt_u32_e32 vcc, 64, v0
	s_and_saveexec_b64 s[2:3], vcc
	s_cbranch_execz .LBB641_4
.LBB641_18:
	v_mov_b32_e32 v1, 0
	v_lshlrev_b64 v[2:3], 4, v[0:1]
	v_mov_b32_e32 v0, s1
	v_add_co_u32_e32 v4, vcc, s0, v2
	v_addc_co_u32_e32 v5, vcc, v0, v3, vcc
	v_mov_b32_e32 v2, 0xff
	v_mov_b32_e32 v0, v1
	;; [unrolled: 1-line block ×3, first 2 shown]
	global_store_dwordx4 v[4:5], v[0:3], off
	s_endpgm
	.section	.rodata,"a",@progbits
	.p2align	6, 0x0
	.amdhsa_kernel _ZN7rocprim17ROCPRIM_400000_NS6detail25reduce_by_key_init_kernelINS1_19lookback_scan_stateINS0_5tupleIJjsEEELb1ELb1EEEsNS1_16block_id_wrapperIjLb0EEEEEvT_jbjPmPT0_T1_
		.amdhsa_group_segment_fixed_size 0
		.amdhsa_private_segment_fixed_size 0
		.amdhsa_kernarg_size 304
		.amdhsa_user_sgpr_count 6
		.amdhsa_user_sgpr_private_segment_buffer 1
		.amdhsa_user_sgpr_dispatch_ptr 0
		.amdhsa_user_sgpr_queue_ptr 0
		.amdhsa_user_sgpr_kernarg_segment_ptr 1
		.amdhsa_user_sgpr_dispatch_id 0
		.amdhsa_user_sgpr_flat_scratch_init 0
		.amdhsa_user_sgpr_kernarg_preload_length 0
		.amdhsa_user_sgpr_kernarg_preload_offset 0
		.amdhsa_user_sgpr_private_segment_size 0
		.amdhsa_uses_dynamic_stack 0
		.amdhsa_system_sgpr_private_segment_wavefront_offset 0
		.amdhsa_system_sgpr_workgroup_id_x 1
		.amdhsa_system_sgpr_workgroup_id_y 0
		.amdhsa_system_sgpr_workgroup_id_z 0
		.amdhsa_system_sgpr_workgroup_info 0
		.amdhsa_system_vgpr_workitem_id 0
		.amdhsa_next_free_vgpr 10
		.amdhsa_next_free_sgpr 16
		.amdhsa_accum_offset 12
		.amdhsa_reserve_vcc 1
		.amdhsa_reserve_flat_scratch 0
		.amdhsa_float_round_mode_32 0
		.amdhsa_float_round_mode_16_64 0
		.amdhsa_float_denorm_mode_32 3
		.amdhsa_float_denorm_mode_16_64 3
		.amdhsa_dx10_clamp 1
		.amdhsa_ieee_mode 1
		.amdhsa_fp16_overflow 0
		.amdhsa_tg_split 0
		.amdhsa_exception_fp_ieee_invalid_op 0
		.amdhsa_exception_fp_denorm_src 0
		.amdhsa_exception_fp_ieee_div_zero 0
		.amdhsa_exception_fp_ieee_overflow 0
		.amdhsa_exception_fp_ieee_underflow 0
		.amdhsa_exception_fp_ieee_inexact 0
		.amdhsa_exception_int_div_zero 0
	.end_amdhsa_kernel
	.section	.text._ZN7rocprim17ROCPRIM_400000_NS6detail25reduce_by_key_init_kernelINS1_19lookback_scan_stateINS0_5tupleIJjsEEELb1ELb1EEEsNS1_16block_id_wrapperIjLb0EEEEEvT_jbjPmPT0_T1_,"axG",@progbits,_ZN7rocprim17ROCPRIM_400000_NS6detail25reduce_by_key_init_kernelINS1_19lookback_scan_stateINS0_5tupleIJjsEEELb1ELb1EEEsNS1_16block_id_wrapperIjLb0EEEEEvT_jbjPmPT0_T1_,comdat
.Lfunc_end641:
	.size	_ZN7rocprim17ROCPRIM_400000_NS6detail25reduce_by_key_init_kernelINS1_19lookback_scan_stateINS0_5tupleIJjsEEELb1ELb1EEEsNS1_16block_id_wrapperIjLb0EEEEEvT_jbjPmPT0_T1_, .Lfunc_end641-_ZN7rocprim17ROCPRIM_400000_NS6detail25reduce_by_key_init_kernelINS1_19lookback_scan_stateINS0_5tupleIJjsEEELb1ELb1EEEsNS1_16block_id_wrapperIjLb0EEEEEvT_jbjPmPT0_T1_
                                        ; -- End function
	.section	.AMDGPU.csdata,"",@progbits
; Kernel info:
; codeLenInByte = 508
; NumSgprs: 20
; NumVgprs: 10
; NumAgprs: 0
; TotalNumVgprs: 10
; ScratchSize: 0
; MemoryBound: 0
; FloatMode: 240
; IeeeMode: 1
; LDSByteSize: 0 bytes/workgroup (compile time only)
; SGPRBlocks: 2
; VGPRBlocks: 1
; NumSGPRsForWavesPerEU: 20
; NumVGPRsForWavesPerEU: 10
; AccumOffset: 12
; Occupancy: 8
; WaveLimiterHint : 0
; COMPUTE_PGM_RSRC2:SCRATCH_EN: 0
; COMPUTE_PGM_RSRC2:USER_SGPR: 6
; COMPUTE_PGM_RSRC2:TRAP_HANDLER: 0
; COMPUTE_PGM_RSRC2:TGID_X_EN: 1
; COMPUTE_PGM_RSRC2:TGID_Y_EN: 0
; COMPUTE_PGM_RSRC2:TGID_Z_EN: 0
; COMPUTE_PGM_RSRC2:TIDIG_COMP_CNT: 0
; COMPUTE_PGM_RSRC3_GFX90A:ACCUM_OFFSET: 2
; COMPUTE_PGM_RSRC3_GFX90A:TG_SPLIT: 0
	.section	.text._ZN7rocprim17ROCPRIM_400000_NS6detail17trampoline_kernelINS0_14default_configENS1_29reduce_by_key_config_selectorIssN6thrust23THRUST_200600_302600_NS4plusIsEEEEZZNS1_33reduce_by_key_impl_wrapped_configILNS1_25lookback_scan_determinismE0ES3_S9_NS6_6detail15normal_iteratorINS6_10device_ptrIsEEEESG_SG_SG_PmS8_NS6_8equal_toIsEEEE10hipError_tPvRmT2_T3_mT4_T5_T6_T7_T8_P12ihipStream_tbENKUlT_T0_E_clISt17integral_constantIbLb1EES10_IbLb0EEEEDaSW_SX_EUlSW_E_NS1_11comp_targetILNS1_3genE0ELNS1_11target_archE4294967295ELNS1_3gpuE0ELNS1_3repE0EEENS1_30default_config_static_selectorELNS0_4arch9wavefront6targetE1EEEvT1_,"axG",@progbits,_ZN7rocprim17ROCPRIM_400000_NS6detail17trampoline_kernelINS0_14default_configENS1_29reduce_by_key_config_selectorIssN6thrust23THRUST_200600_302600_NS4plusIsEEEEZZNS1_33reduce_by_key_impl_wrapped_configILNS1_25lookback_scan_determinismE0ES3_S9_NS6_6detail15normal_iteratorINS6_10device_ptrIsEEEESG_SG_SG_PmS8_NS6_8equal_toIsEEEE10hipError_tPvRmT2_T3_mT4_T5_T6_T7_T8_P12ihipStream_tbENKUlT_T0_E_clISt17integral_constantIbLb1EES10_IbLb0EEEEDaSW_SX_EUlSW_E_NS1_11comp_targetILNS1_3genE0ELNS1_11target_archE4294967295ELNS1_3gpuE0ELNS1_3repE0EEENS1_30default_config_static_selectorELNS0_4arch9wavefront6targetE1EEEvT1_,comdat
	.protected	_ZN7rocprim17ROCPRIM_400000_NS6detail17trampoline_kernelINS0_14default_configENS1_29reduce_by_key_config_selectorIssN6thrust23THRUST_200600_302600_NS4plusIsEEEEZZNS1_33reduce_by_key_impl_wrapped_configILNS1_25lookback_scan_determinismE0ES3_S9_NS6_6detail15normal_iteratorINS6_10device_ptrIsEEEESG_SG_SG_PmS8_NS6_8equal_toIsEEEE10hipError_tPvRmT2_T3_mT4_T5_T6_T7_T8_P12ihipStream_tbENKUlT_T0_E_clISt17integral_constantIbLb1EES10_IbLb0EEEEDaSW_SX_EUlSW_E_NS1_11comp_targetILNS1_3genE0ELNS1_11target_archE4294967295ELNS1_3gpuE0ELNS1_3repE0EEENS1_30default_config_static_selectorELNS0_4arch9wavefront6targetE1EEEvT1_ ; -- Begin function _ZN7rocprim17ROCPRIM_400000_NS6detail17trampoline_kernelINS0_14default_configENS1_29reduce_by_key_config_selectorIssN6thrust23THRUST_200600_302600_NS4plusIsEEEEZZNS1_33reduce_by_key_impl_wrapped_configILNS1_25lookback_scan_determinismE0ES3_S9_NS6_6detail15normal_iteratorINS6_10device_ptrIsEEEESG_SG_SG_PmS8_NS6_8equal_toIsEEEE10hipError_tPvRmT2_T3_mT4_T5_T6_T7_T8_P12ihipStream_tbENKUlT_T0_E_clISt17integral_constantIbLb1EES10_IbLb0EEEEDaSW_SX_EUlSW_E_NS1_11comp_targetILNS1_3genE0ELNS1_11target_archE4294967295ELNS1_3gpuE0ELNS1_3repE0EEENS1_30default_config_static_selectorELNS0_4arch9wavefront6targetE1EEEvT1_
	.globl	_ZN7rocprim17ROCPRIM_400000_NS6detail17trampoline_kernelINS0_14default_configENS1_29reduce_by_key_config_selectorIssN6thrust23THRUST_200600_302600_NS4plusIsEEEEZZNS1_33reduce_by_key_impl_wrapped_configILNS1_25lookback_scan_determinismE0ES3_S9_NS6_6detail15normal_iteratorINS6_10device_ptrIsEEEESG_SG_SG_PmS8_NS6_8equal_toIsEEEE10hipError_tPvRmT2_T3_mT4_T5_T6_T7_T8_P12ihipStream_tbENKUlT_T0_E_clISt17integral_constantIbLb1EES10_IbLb0EEEEDaSW_SX_EUlSW_E_NS1_11comp_targetILNS1_3genE0ELNS1_11target_archE4294967295ELNS1_3gpuE0ELNS1_3repE0EEENS1_30default_config_static_selectorELNS0_4arch9wavefront6targetE1EEEvT1_
	.p2align	8
	.type	_ZN7rocprim17ROCPRIM_400000_NS6detail17trampoline_kernelINS0_14default_configENS1_29reduce_by_key_config_selectorIssN6thrust23THRUST_200600_302600_NS4plusIsEEEEZZNS1_33reduce_by_key_impl_wrapped_configILNS1_25lookback_scan_determinismE0ES3_S9_NS6_6detail15normal_iteratorINS6_10device_ptrIsEEEESG_SG_SG_PmS8_NS6_8equal_toIsEEEE10hipError_tPvRmT2_T3_mT4_T5_T6_T7_T8_P12ihipStream_tbENKUlT_T0_E_clISt17integral_constantIbLb1EES10_IbLb0EEEEDaSW_SX_EUlSW_E_NS1_11comp_targetILNS1_3genE0ELNS1_11target_archE4294967295ELNS1_3gpuE0ELNS1_3repE0EEENS1_30default_config_static_selectorELNS0_4arch9wavefront6targetE1EEEvT1_,@function
_ZN7rocprim17ROCPRIM_400000_NS6detail17trampoline_kernelINS0_14default_configENS1_29reduce_by_key_config_selectorIssN6thrust23THRUST_200600_302600_NS4plusIsEEEEZZNS1_33reduce_by_key_impl_wrapped_configILNS1_25lookback_scan_determinismE0ES3_S9_NS6_6detail15normal_iteratorINS6_10device_ptrIsEEEESG_SG_SG_PmS8_NS6_8equal_toIsEEEE10hipError_tPvRmT2_T3_mT4_T5_T6_T7_T8_P12ihipStream_tbENKUlT_T0_E_clISt17integral_constantIbLb1EES10_IbLb0EEEEDaSW_SX_EUlSW_E_NS1_11comp_targetILNS1_3genE0ELNS1_11target_archE4294967295ELNS1_3gpuE0ELNS1_3repE0EEENS1_30default_config_static_selectorELNS0_4arch9wavefront6targetE1EEEvT1_: ; @_ZN7rocprim17ROCPRIM_400000_NS6detail17trampoline_kernelINS0_14default_configENS1_29reduce_by_key_config_selectorIssN6thrust23THRUST_200600_302600_NS4plusIsEEEEZZNS1_33reduce_by_key_impl_wrapped_configILNS1_25lookback_scan_determinismE0ES3_S9_NS6_6detail15normal_iteratorINS6_10device_ptrIsEEEESG_SG_SG_PmS8_NS6_8equal_toIsEEEE10hipError_tPvRmT2_T3_mT4_T5_T6_T7_T8_P12ihipStream_tbENKUlT_T0_E_clISt17integral_constantIbLb1EES10_IbLb0EEEEDaSW_SX_EUlSW_E_NS1_11comp_targetILNS1_3genE0ELNS1_11target_archE4294967295ELNS1_3gpuE0ELNS1_3repE0EEENS1_30default_config_static_selectorELNS0_4arch9wavefront6targetE1EEEvT1_
; %bb.0:
	.section	.rodata,"a",@progbits
	.p2align	6, 0x0
	.amdhsa_kernel _ZN7rocprim17ROCPRIM_400000_NS6detail17trampoline_kernelINS0_14default_configENS1_29reduce_by_key_config_selectorIssN6thrust23THRUST_200600_302600_NS4plusIsEEEEZZNS1_33reduce_by_key_impl_wrapped_configILNS1_25lookback_scan_determinismE0ES3_S9_NS6_6detail15normal_iteratorINS6_10device_ptrIsEEEESG_SG_SG_PmS8_NS6_8equal_toIsEEEE10hipError_tPvRmT2_T3_mT4_T5_T6_T7_T8_P12ihipStream_tbENKUlT_T0_E_clISt17integral_constantIbLb1EES10_IbLb0EEEEDaSW_SX_EUlSW_E_NS1_11comp_targetILNS1_3genE0ELNS1_11target_archE4294967295ELNS1_3gpuE0ELNS1_3repE0EEENS1_30default_config_static_selectorELNS0_4arch9wavefront6targetE1EEEvT1_
		.amdhsa_group_segment_fixed_size 0
		.amdhsa_private_segment_fixed_size 0
		.amdhsa_kernarg_size 120
		.amdhsa_user_sgpr_count 6
		.amdhsa_user_sgpr_private_segment_buffer 1
		.amdhsa_user_sgpr_dispatch_ptr 0
		.amdhsa_user_sgpr_queue_ptr 0
		.amdhsa_user_sgpr_kernarg_segment_ptr 1
		.amdhsa_user_sgpr_dispatch_id 0
		.amdhsa_user_sgpr_flat_scratch_init 0
		.amdhsa_user_sgpr_kernarg_preload_length 0
		.amdhsa_user_sgpr_kernarg_preload_offset 0
		.amdhsa_user_sgpr_private_segment_size 0
		.amdhsa_uses_dynamic_stack 0
		.amdhsa_system_sgpr_private_segment_wavefront_offset 0
		.amdhsa_system_sgpr_workgroup_id_x 1
		.amdhsa_system_sgpr_workgroup_id_y 0
		.amdhsa_system_sgpr_workgroup_id_z 0
		.amdhsa_system_sgpr_workgroup_info 0
		.amdhsa_system_vgpr_workitem_id 0
		.amdhsa_next_free_vgpr 1
		.amdhsa_next_free_sgpr 0
		.amdhsa_accum_offset 4
		.amdhsa_reserve_vcc 0
		.amdhsa_reserve_flat_scratch 0
		.amdhsa_float_round_mode_32 0
		.amdhsa_float_round_mode_16_64 0
		.amdhsa_float_denorm_mode_32 3
		.amdhsa_float_denorm_mode_16_64 3
		.amdhsa_dx10_clamp 1
		.amdhsa_ieee_mode 1
		.amdhsa_fp16_overflow 0
		.amdhsa_tg_split 0
		.amdhsa_exception_fp_ieee_invalid_op 0
		.amdhsa_exception_fp_denorm_src 0
		.amdhsa_exception_fp_ieee_div_zero 0
		.amdhsa_exception_fp_ieee_overflow 0
		.amdhsa_exception_fp_ieee_underflow 0
		.amdhsa_exception_fp_ieee_inexact 0
		.amdhsa_exception_int_div_zero 0
	.end_amdhsa_kernel
	.section	.text._ZN7rocprim17ROCPRIM_400000_NS6detail17trampoline_kernelINS0_14default_configENS1_29reduce_by_key_config_selectorIssN6thrust23THRUST_200600_302600_NS4plusIsEEEEZZNS1_33reduce_by_key_impl_wrapped_configILNS1_25lookback_scan_determinismE0ES3_S9_NS6_6detail15normal_iteratorINS6_10device_ptrIsEEEESG_SG_SG_PmS8_NS6_8equal_toIsEEEE10hipError_tPvRmT2_T3_mT4_T5_T6_T7_T8_P12ihipStream_tbENKUlT_T0_E_clISt17integral_constantIbLb1EES10_IbLb0EEEEDaSW_SX_EUlSW_E_NS1_11comp_targetILNS1_3genE0ELNS1_11target_archE4294967295ELNS1_3gpuE0ELNS1_3repE0EEENS1_30default_config_static_selectorELNS0_4arch9wavefront6targetE1EEEvT1_,"axG",@progbits,_ZN7rocprim17ROCPRIM_400000_NS6detail17trampoline_kernelINS0_14default_configENS1_29reduce_by_key_config_selectorIssN6thrust23THRUST_200600_302600_NS4plusIsEEEEZZNS1_33reduce_by_key_impl_wrapped_configILNS1_25lookback_scan_determinismE0ES3_S9_NS6_6detail15normal_iteratorINS6_10device_ptrIsEEEESG_SG_SG_PmS8_NS6_8equal_toIsEEEE10hipError_tPvRmT2_T3_mT4_T5_T6_T7_T8_P12ihipStream_tbENKUlT_T0_E_clISt17integral_constantIbLb1EES10_IbLb0EEEEDaSW_SX_EUlSW_E_NS1_11comp_targetILNS1_3genE0ELNS1_11target_archE4294967295ELNS1_3gpuE0ELNS1_3repE0EEENS1_30default_config_static_selectorELNS0_4arch9wavefront6targetE1EEEvT1_,comdat
.Lfunc_end642:
	.size	_ZN7rocprim17ROCPRIM_400000_NS6detail17trampoline_kernelINS0_14default_configENS1_29reduce_by_key_config_selectorIssN6thrust23THRUST_200600_302600_NS4plusIsEEEEZZNS1_33reduce_by_key_impl_wrapped_configILNS1_25lookback_scan_determinismE0ES3_S9_NS6_6detail15normal_iteratorINS6_10device_ptrIsEEEESG_SG_SG_PmS8_NS6_8equal_toIsEEEE10hipError_tPvRmT2_T3_mT4_T5_T6_T7_T8_P12ihipStream_tbENKUlT_T0_E_clISt17integral_constantIbLb1EES10_IbLb0EEEEDaSW_SX_EUlSW_E_NS1_11comp_targetILNS1_3genE0ELNS1_11target_archE4294967295ELNS1_3gpuE0ELNS1_3repE0EEENS1_30default_config_static_selectorELNS0_4arch9wavefront6targetE1EEEvT1_, .Lfunc_end642-_ZN7rocprim17ROCPRIM_400000_NS6detail17trampoline_kernelINS0_14default_configENS1_29reduce_by_key_config_selectorIssN6thrust23THRUST_200600_302600_NS4plusIsEEEEZZNS1_33reduce_by_key_impl_wrapped_configILNS1_25lookback_scan_determinismE0ES3_S9_NS6_6detail15normal_iteratorINS6_10device_ptrIsEEEESG_SG_SG_PmS8_NS6_8equal_toIsEEEE10hipError_tPvRmT2_T3_mT4_T5_T6_T7_T8_P12ihipStream_tbENKUlT_T0_E_clISt17integral_constantIbLb1EES10_IbLb0EEEEDaSW_SX_EUlSW_E_NS1_11comp_targetILNS1_3genE0ELNS1_11target_archE4294967295ELNS1_3gpuE0ELNS1_3repE0EEENS1_30default_config_static_selectorELNS0_4arch9wavefront6targetE1EEEvT1_
                                        ; -- End function
	.section	.AMDGPU.csdata,"",@progbits
; Kernel info:
; codeLenInByte = 0
; NumSgprs: 4
; NumVgprs: 0
; NumAgprs: 0
; TotalNumVgprs: 0
; ScratchSize: 0
; MemoryBound: 0
; FloatMode: 240
; IeeeMode: 1
; LDSByteSize: 0 bytes/workgroup (compile time only)
; SGPRBlocks: 0
; VGPRBlocks: 0
; NumSGPRsForWavesPerEU: 4
; NumVGPRsForWavesPerEU: 1
; AccumOffset: 4
; Occupancy: 8
; WaveLimiterHint : 0
; COMPUTE_PGM_RSRC2:SCRATCH_EN: 0
; COMPUTE_PGM_RSRC2:USER_SGPR: 6
; COMPUTE_PGM_RSRC2:TRAP_HANDLER: 0
; COMPUTE_PGM_RSRC2:TGID_X_EN: 1
; COMPUTE_PGM_RSRC2:TGID_Y_EN: 0
; COMPUTE_PGM_RSRC2:TGID_Z_EN: 0
; COMPUTE_PGM_RSRC2:TIDIG_COMP_CNT: 0
; COMPUTE_PGM_RSRC3_GFX90A:ACCUM_OFFSET: 0
; COMPUTE_PGM_RSRC3_GFX90A:TG_SPLIT: 0
	.section	.text._ZN7rocprim17ROCPRIM_400000_NS6detail17trampoline_kernelINS0_14default_configENS1_29reduce_by_key_config_selectorIssN6thrust23THRUST_200600_302600_NS4plusIsEEEEZZNS1_33reduce_by_key_impl_wrapped_configILNS1_25lookback_scan_determinismE0ES3_S9_NS6_6detail15normal_iteratorINS6_10device_ptrIsEEEESG_SG_SG_PmS8_NS6_8equal_toIsEEEE10hipError_tPvRmT2_T3_mT4_T5_T6_T7_T8_P12ihipStream_tbENKUlT_T0_E_clISt17integral_constantIbLb1EES10_IbLb0EEEEDaSW_SX_EUlSW_E_NS1_11comp_targetILNS1_3genE5ELNS1_11target_archE942ELNS1_3gpuE9ELNS1_3repE0EEENS1_30default_config_static_selectorELNS0_4arch9wavefront6targetE1EEEvT1_,"axG",@progbits,_ZN7rocprim17ROCPRIM_400000_NS6detail17trampoline_kernelINS0_14default_configENS1_29reduce_by_key_config_selectorIssN6thrust23THRUST_200600_302600_NS4plusIsEEEEZZNS1_33reduce_by_key_impl_wrapped_configILNS1_25lookback_scan_determinismE0ES3_S9_NS6_6detail15normal_iteratorINS6_10device_ptrIsEEEESG_SG_SG_PmS8_NS6_8equal_toIsEEEE10hipError_tPvRmT2_T3_mT4_T5_T6_T7_T8_P12ihipStream_tbENKUlT_T0_E_clISt17integral_constantIbLb1EES10_IbLb0EEEEDaSW_SX_EUlSW_E_NS1_11comp_targetILNS1_3genE5ELNS1_11target_archE942ELNS1_3gpuE9ELNS1_3repE0EEENS1_30default_config_static_selectorELNS0_4arch9wavefront6targetE1EEEvT1_,comdat
	.protected	_ZN7rocprim17ROCPRIM_400000_NS6detail17trampoline_kernelINS0_14default_configENS1_29reduce_by_key_config_selectorIssN6thrust23THRUST_200600_302600_NS4plusIsEEEEZZNS1_33reduce_by_key_impl_wrapped_configILNS1_25lookback_scan_determinismE0ES3_S9_NS6_6detail15normal_iteratorINS6_10device_ptrIsEEEESG_SG_SG_PmS8_NS6_8equal_toIsEEEE10hipError_tPvRmT2_T3_mT4_T5_T6_T7_T8_P12ihipStream_tbENKUlT_T0_E_clISt17integral_constantIbLb1EES10_IbLb0EEEEDaSW_SX_EUlSW_E_NS1_11comp_targetILNS1_3genE5ELNS1_11target_archE942ELNS1_3gpuE9ELNS1_3repE0EEENS1_30default_config_static_selectorELNS0_4arch9wavefront6targetE1EEEvT1_ ; -- Begin function _ZN7rocprim17ROCPRIM_400000_NS6detail17trampoline_kernelINS0_14default_configENS1_29reduce_by_key_config_selectorIssN6thrust23THRUST_200600_302600_NS4plusIsEEEEZZNS1_33reduce_by_key_impl_wrapped_configILNS1_25lookback_scan_determinismE0ES3_S9_NS6_6detail15normal_iteratorINS6_10device_ptrIsEEEESG_SG_SG_PmS8_NS6_8equal_toIsEEEE10hipError_tPvRmT2_T3_mT4_T5_T6_T7_T8_P12ihipStream_tbENKUlT_T0_E_clISt17integral_constantIbLb1EES10_IbLb0EEEEDaSW_SX_EUlSW_E_NS1_11comp_targetILNS1_3genE5ELNS1_11target_archE942ELNS1_3gpuE9ELNS1_3repE0EEENS1_30default_config_static_selectorELNS0_4arch9wavefront6targetE1EEEvT1_
	.globl	_ZN7rocprim17ROCPRIM_400000_NS6detail17trampoline_kernelINS0_14default_configENS1_29reduce_by_key_config_selectorIssN6thrust23THRUST_200600_302600_NS4plusIsEEEEZZNS1_33reduce_by_key_impl_wrapped_configILNS1_25lookback_scan_determinismE0ES3_S9_NS6_6detail15normal_iteratorINS6_10device_ptrIsEEEESG_SG_SG_PmS8_NS6_8equal_toIsEEEE10hipError_tPvRmT2_T3_mT4_T5_T6_T7_T8_P12ihipStream_tbENKUlT_T0_E_clISt17integral_constantIbLb1EES10_IbLb0EEEEDaSW_SX_EUlSW_E_NS1_11comp_targetILNS1_3genE5ELNS1_11target_archE942ELNS1_3gpuE9ELNS1_3repE0EEENS1_30default_config_static_selectorELNS0_4arch9wavefront6targetE1EEEvT1_
	.p2align	8
	.type	_ZN7rocprim17ROCPRIM_400000_NS6detail17trampoline_kernelINS0_14default_configENS1_29reduce_by_key_config_selectorIssN6thrust23THRUST_200600_302600_NS4plusIsEEEEZZNS1_33reduce_by_key_impl_wrapped_configILNS1_25lookback_scan_determinismE0ES3_S9_NS6_6detail15normal_iteratorINS6_10device_ptrIsEEEESG_SG_SG_PmS8_NS6_8equal_toIsEEEE10hipError_tPvRmT2_T3_mT4_T5_T6_T7_T8_P12ihipStream_tbENKUlT_T0_E_clISt17integral_constantIbLb1EES10_IbLb0EEEEDaSW_SX_EUlSW_E_NS1_11comp_targetILNS1_3genE5ELNS1_11target_archE942ELNS1_3gpuE9ELNS1_3repE0EEENS1_30default_config_static_selectorELNS0_4arch9wavefront6targetE1EEEvT1_,@function
_ZN7rocprim17ROCPRIM_400000_NS6detail17trampoline_kernelINS0_14default_configENS1_29reduce_by_key_config_selectorIssN6thrust23THRUST_200600_302600_NS4plusIsEEEEZZNS1_33reduce_by_key_impl_wrapped_configILNS1_25lookback_scan_determinismE0ES3_S9_NS6_6detail15normal_iteratorINS6_10device_ptrIsEEEESG_SG_SG_PmS8_NS6_8equal_toIsEEEE10hipError_tPvRmT2_T3_mT4_T5_T6_T7_T8_P12ihipStream_tbENKUlT_T0_E_clISt17integral_constantIbLb1EES10_IbLb0EEEEDaSW_SX_EUlSW_E_NS1_11comp_targetILNS1_3genE5ELNS1_11target_archE942ELNS1_3gpuE9ELNS1_3repE0EEENS1_30default_config_static_selectorELNS0_4arch9wavefront6targetE1EEEvT1_: ; @_ZN7rocprim17ROCPRIM_400000_NS6detail17trampoline_kernelINS0_14default_configENS1_29reduce_by_key_config_selectorIssN6thrust23THRUST_200600_302600_NS4plusIsEEEEZZNS1_33reduce_by_key_impl_wrapped_configILNS1_25lookback_scan_determinismE0ES3_S9_NS6_6detail15normal_iteratorINS6_10device_ptrIsEEEESG_SG_SG_PmS8_NS6_8equal_toIsEEEE10hipError_tPvRmT2_T3_mT4_T5_T6_T7_T8_P12ihipStream_tbENKUlT_T0_E_clISt17integral_constantIbLb1EES10_IbLb0EEEEDaSW_SX_EUlSW_E_NS1_11comp_targetILNS1_3genE5ELNS1_11target_archE942ELNS1_3gpuE9ELNS1_3repE0EEENS1_30default_config_static_selectorELNS0_4arch9wavefront6targetE1EEEvT1_
; %bb.0:
	.section	.rodata,"a",@progbits
	.p2align	6, 0x0
	.amdhsa_kernel _ZN7rocprim17ROCPRIM_400000_NS6detail17trampoline_kernelINS0_14default_configENS1_29reduce_by_key_config_selectorIssN6thrust23THRUST_200600_302600_NS4plusIsEEEEZZNS1_33reduce_by_key_impl_wrapped_configILNS1_25lookback_scan_determinismE0ES3_S9_NS6_6detail15normal_iteratorINS6_10device_ptrIsEEEESG_SG_SG_PmS8_NS6_8equal_toIsEEEE10hipError_tPvRmT2_T3_mT4_T5_T6_T7_T8_P12ihipStream_tbENKUlT_T0_E_clISt17integral_constantIbLb1EES10_IbLb0EEEEDaSW_SX_EUlSW_E_NS1_11comp_targetILNS1_3genE5ELNS1_11target_archE942ELNS1_3gpuE9ELNS1_3repE0EEENS1_30default_config_static_selectorELNS0_4arch9wavefront6targetE1EEEvT1_
		.amdhsa_group_segment_fixed_size 0
		.amdhsa_private_segment_fixed_size 0
		.amdhsa_kernarg_size 120
		.amdhsa_user_sgpr_count 6
		.amdhsa_user_sgpr_private_segment_buffer 1
		.amdhsa_user_sgpr_dispatch_ptr 0
		.amdhsa_user_sgpr_queue_ptr 0
		.amdhsa_user_sgpr_kernarg_segment_ptr 1
		.amdhsa_user_sgpr_dispatch_id 0
		.amdhsa_user_sgpr_flat_scratch_init 0
		.amdhsa_user_sgpr_kernarg_preload_length 0
		.amdhsa_user_sgpr_kernarg_preload_offset 0
		.amdhsa_user_sgpr_private_segment_size 0
		.amdhsa_uses_dynamic_stack 0
		.amdhsa_system_sgpr_private_segment_wavefront_offset 0
		.amdhsa_system_sgpr_workgroup_id_x 1
		.amdhsa_system_sgpr_workgroup_id_y 0
		.amdhsa_system_sgpr_workgroup_id_z 0
		.amdhsa_system_sgpr_workgroup_info 0
		.amdhsa_system_vgpr_workitem_id 0
		.amdhsa_next_free_vgpr 1
		.amdhsa_next_free_sgpr 0
		.amdhsa_accum_offset 4
		.amdhsa_reserve_vcc 0
		.amdhsa_reserve_flat_scratch 0
		.amdhsa_float_round_mode_32 0
		.amdhsa_float_round_mode_16_64 0
		.amdhsa_float_denorm_mode_32 3
		.amdhsa_float_denorm_mode_16_64 3
		.amdhsa_dx10_clamp 1
		.amdhsa_ieee_mode 1
		.amdhsa_fp16_overflow 0
		.amdhsa_tg_split 0
		.amdhsa_exception_fp_ieee_invalid_op 0
		.amdhsa_exception_fp_denorm_src 0
		.amdhsa_exception_fp_ieee_div_zero 0
		.amdhsa_exception_fp_ieee_overflow 0
		.amdhsa_exception_fp_ieee_underflow 0
		.amdhsa_exception_fp_ieee_inexact 0
		.amdhsa_exception_int_div_zero 0
	.end_amdhsa_kernel
	.section	.text._ZN7rocprim17ROCPRIM_400000_NS6detail17trampoline_kernelINS0_14default_configENS1_29reduce_by_key_config_selectorIssN6thrust23THRUST_200600_302600_NS4plusIsEEEEZZNS1_33reduce_by_key_impl_wrapped_configILNS1_25lookback_scan_determinismE0ES3_S9_NS6_6detail15normal_iteratorINS6_10device_ptrIsEEEESG_SG_SG_PmS8_NS6_8equal_toIsEEEE10hipError_tPvRmT2_T3_mT4_T5_T6_T7_T8_P12ihipStream_tbENKUlT_T0_E_clISt17integral_constantIbLb1EES10_IbLb0EEEEDaSW_SX_EUlSW_E_NS1_11comp_targetILNS1_3genE5ELNS1_11target_archE942ELNS1_3gpuE9ELNS1_3repE0EEENS1_30default_config_static_selectorELNS0_4arch9wavefront6targetE1EEEvT1_,"axG",@progbits,_ZN7rocprim17ROCPRIM_400000_NS6detail17trampoline_kernelINS0_14default_configENS1_29reduce_by_key_config_selectorIssN6thrust23THRUST_200600_302600_NS4plusIsEEEEZZNS1_33reduce_by_key_impl_wrapped_configILNS1_25lookback_scan_determinismE0ES3_S9_NS6_6detail15normal_iteratorINS6_10device_ptrIsEEEESG_SG_SG_PmS8_NS6_8equal_toIsEEEE10hipError_tPvRmT2_T3_mT4_T5_T6_T7_T8_P12ihipStream_tbENKUlT_T0_E_clISt17integral_constantIbLb1EES10_IbLb0EEEEDaSW_SX_EUlSW_E_NS1_11comp_targetILNS1_3genE5ELNS1_11target_archE942ELNS1_3gpuE9ELNS1_3repE0EEENS1_30default_config_static_selectorELNS0_4arch9wavefront6targetE1EEEvT1_,comdat
.Lfunc_end643:
	.size	_ZN7rocprim17ROCPRIM_400000_NS6detail17trampoline_kernelINS0_14default_configENS1_29reduce_by_key_config_selectorIssN6thrust23THRUST_200600_302600_NS4plusIsEEEEZZNS1_33reduce_by_key_impl_wrapped_configILNS1_25lookback_scan_determinismE0ES3_S9_NS6_6detail15normal_iteratorINS6_10device_ptrIsEEEESG_SG_SG_PmS8_NS6_8equal_toIsEEEE10hipError_tPvRmT2_T3_mT4_T5_T6_T7_T8_P12ihipStream_tbENKUlT_T0_E_clISt17integral_constantIbLb1EES10_IbLb0EEEEDaSW_SX_EUlSW_E_NS1_11comp_targetILNS1_3genE5ELNS1_11target_archE942ELNS1_3gpuE9ELNS1_3repE0EEENS1_30default_config_static_selectorELNS0_4arch9wavefront6targetE1EEEvT1_, .Lfunc_end643-_ZN7rocprim17ROCPRIM_400000_NS6detail17trampoline_kernelINS0_14default_configENS1_29reduce_by_key_config_selectorIssN6thrust23THRUST_200600_302600_NS4plusIsEEEEZZNS1_33reduce_by_key_impl_wrapped_configILNS1_25lookback_scan_determinismE0ES3_S9_NS6_6detail15normal_iteratorINS6_10device_ptrIsEEEESG_SG_SG_PmS8_NS6_8equal_toIsEEEE10hipError_tPvRmT2_T3_mT4_T5_T6_T7_T8_P12ihipStream_tbENKUlT_T0_E_clISt17integral_constantIbLb1EES10_IbLb0EEEEDaSW_SX_EUlSW_E_NS1_11comp_targetILNS1_3genE5ELNS1_11target_archE942ELNS1_3gpuE9ELNS1_3repE0EEENS1_30default_config_static_selectorELNS0_4arch9wavefront6targetE1EEEvT1_
                                        ; -- End function
	.section	.AMDGPU.csdata,"",@progbits
; Kernel info:
; codeLenInByte = 0
; NumSgprs: 4
; NumVgprs: 0
; NumAgprs: 0
; TotalNumVgprs: 0
; ScratchSize: 0
; MemoryBound: 0
; FloatMode: 240
; IeeeMode: 1
; LDSByteSize: 0 bytes/workgroup (compile time only)
; SGPRBlocks: 0
; VGPRBlocks: 0
; NumSGPRsForWavesPerEU: 4
; NumVGPRsForWavesPerEU: 1
; AccumOffset: 4
; Occupancy: 8
; WaveLimiterHint : 0
; COMPUTE_PGM_RSRC2:SCRATCH_EN: 0
; COMPUTE_PGM_RSRC2:USER_SGPR: 6
; COMPUTE_PGM_RSRC2:TRAP_HANDLER: 0
; COMPUTE_PGM_RSRC2:TGID_X_EN: 1
; COMPUTE_PGM_RSRC2:TGID_Y_EN: 0
; COMPUTE_PGM_RSRC2:TGID_Z_EN: 0
; COMPUTE_PGM_RSRC2:TIDIG_COMP_CNT: 0
; COMPUTE_PGM_RSRC3_GFX90A:ACCUM_OFFSET: 0
; COMPUTE_PGM_RSRC3_GFX90A:TG_SPLIT: 0
	.section	.text._ZN7rocprim17ROCPRIM_400000_NS6detail17trampoline_kernelINS0_14default_configENS1_29reduce_by_key_config_selectorIssN6thrust23THRUST_200600_302600_NS4plusIsEEEEZZNS1_33reduce_by_key_impl_wrapped_configILNS1_25lookback_scan_determinismE0ES3_S9_NS6_6detail15normal_iteratorINS6_10device_ptrIsEEEESG_SG_SG_PmS8_NS6_8equal_toIsEEEE10hipError_tPvRmT2_T3_mT4_T5_T6_T7_T8_P12ihipStream_tbENKUlT_T0_E_clISt17integral_constantIbLb1EES10_IbLb0EEEEDaSW_SX_EUlSW_E_NS1_11comp_targetILNS1_3genE4ELNS1_11target_archE910ELNS1_3gpuE8ELNS1_3repE0EEENS1_30default_config_static_selectorELNS0_4arch9wavefront6targetE1EEEvT1_,"axG",@progbits,_ZN7rocprim17ROCPRIM_400000_NS6detail17trampoline_kernelINS0_14default_configENS1_29reduce_by_key_config_selectorIssN6thrust23THRUST_200600_302600_NS4plusIsEEEEZZNS1_33reduce_by_key_impl_wrapped_configILNS1_25lookback_scan_determinismE0ES3_S9_NS6_6detail15normal_iteratorINS6_10device_ptrIsEEEESG_SG_SG_PmS8_NS6_8equal_toIsEEEE10hipError_tPvRmT2_T3_mT4_T5_T6_T7_T8_P12ihipStream_tbENKUlT_T0_E_clISt17integral_constantIbLb1EES10_IbLb0EEEEDaSW_SX_EUlSW_E_NS1_11comp_targetILNS1_3genE4ELNS1_11target_archE910ELNS1_3gpuE8ELNS1_3repE0EEENS1_30default_config_static_selectorELNS0_4arch9wavefront6targetE1EEEvT1_,comdat
	.protected	_ZN7rocprim17ROCPRIM_400000_NS6detail17trampoline_kernelINS0_14default_configENS1_29reduce_by_key_config_selectorIssN6thrust23THRUST_200600_302600_NS4plusIsEEEEZZNS1_33reduce_by_key_impl_wrapped_configILNS1_25lookback_scan_determinismE0ES3_S9_NS6_6detail15normal_iteratorINS6_10device_ptrIsEEEESG_SG_SG_PmS8_NS6_8equal_toIsEEEE10hipError_tPvRmT2_T3_mT4_T5_T6_T7_T8_P12ihipStream_tbENKUlT_T0_E_clISt17integral_constantIbLb1EES10_IbLb0EEEEDaSW_SX_EUlSW_E_NS1_11comp_targetILNS1_3genE4ELNS1_11target_archE910ELNS1_3gpuE8ELNS1_3repE0EEENS1_30default_config_static_selectorELNS0_4arch9wavefront6targetE1EEEvT1_ ; -- Begin function _ZN7rocprim17ROCPRIM_400000_NS6detail17trampoline_kernelINS0_14default_configENS1_29reduce_by_key_config_selectorIssN6thrust23THRUST_200600_302600_NS4plusIsEEEEZZNS1_33reduce_by_key_impl_wrapped_configILNS1_25lookback_scan_determinismE0ES3_S9_NS6_6detail15normal_iteratorINS6_10device_ptrIsEEEESG_SG_SG_PmS8_NS6_8equal_toIsEEEE10hipError_tPvRmT2_T3_mT4_T5_T6_T7_T8_P12ihipStream_tbENKUlT_T0_E_clISt17integral_constantIbLb1EES10_IbLb0EEEEDaSW_SX_EUlSW_E_NS1_11comp_targetILNS1_3genE4ELNS1_11target_archE910ELNS1_3gpuE8ELNS1_3repE0EEENS1_30default_config_static_selectorELNS0_4arch9wavefront6targetE1EEEvT1_
	.globl	_ZN7rocprim17ROCPRIM_400000_NS6detail17trampoline_kernelINS0_14default_configENS1_29reduce_by_key_config_selectorIssN6thrust23THRUST_200600_302600_NS4plusIsEEEEZZNS1_33reduce_by_key_impl_wrapped_configILNS1_25lookback_scan_determinismE0ES3_S9_NS6_6detail15normal_iteratorINS6_10device_ptrIsEEEESG_SG_SG_PmS8_NS6_8equal_toIsEEEE10hipError_tPvRmT2_T3_mT4_T5_T6_T7_T8_P12ihipStream_tbENKUlT_T0_E_clISt17integral_constantIbLb1EES10_IbLb0EEEEDaSW_SX_EUlSW_E_NS1_11comp_targetILNS1_3genE4ELNS1_11target_archE910ELNS1_3gpuE8ELNS1_3repE0EEENS1_30default_config_static_selectorELNS0_4arch9wavefront6targetE1EEEvT1_
	.p2align	8
	.type	_ZN7rocprim17ROCPRIM_400000_NS6detail17trampoline_kernelINS0_14default_configENS1_29reduce_by_key_config_selectorIssN6thrust23THRUST_200600_302600_NS4plusIsEEEEZZNS1_33reduce_by_key_impl_wrapped_configILNS1_25lookback_scan_determinismE0ES3_S9_NS6_6detail15normal_iteratorINS6_10device_ptrIsEEEESG_SG_SG_PmS8_NS6_8equal_toIsEEEE10hipError_tPvRmT2_T3_mT4_T5_T6_T7_T8_P12ihipStream_tbENKUlT_T0_E_clISt17integral_constantIbLb1EES10_IbLb0EEEEDaSW_SX_EUlSW_E_NS1_11comp_targetILNS1_3genE4ELNS1_11target_archE910ELNS1_3gpuE8ELNS1_3repE0EEENS1_30default_config_static_selectorELNS0_4arch9wavefront6targetE1EEEvT1_,@function
_ZN7rocprim17ROCPRIM_400000_NS6detail17trampoline_kernelINS0_14default_configENS1_29reduce_by_key_config_selectorIssN6thrust23THRUST_200600_302600_NS4plusIsEEEEZZNS1_33reduce_by_key_impl_wrapped_configILNS1_25lookback_scan_determinismE0ES3_S9_NS6_6detail15normal_iteratorINS6_10device_ptrIsEEEESG_SG_SG_PmS8_NS6_8equal_toIsEEEE10hipError_tPvRmT2_T3_mT4_T5_T6_T7_T8_P12ihipStream_tbENKUlT_T0_E_clISt17integral_constantIbLb1EES10_IbLb0EEEEDaSW_SX_EUlSW_E_NS1_11comp_targetILNS1_3genE4ELNS1_11target_archE910ELNS1_3gpuE8ELNS1_3repE0EEENS1_30default_config_static_selectorELNS0_4arch9wavefront6targetE1EEEvT1_: ; @_ZN7rocprim17ROCPRIM_400000_NS6detail17trampoline_kernelINS0_14default_configENS1_29reduce_by_key_config_selectorIssN6thrust23THRUST_200600_302600_NS4plusIsEEEEZZNS1_33reduce_by_key_impl_wrapped_configILNS1_25lookback_scan_determinismE0ES3_S9_NS6_6detail15normal_iteratorINS6_10device_ptrIsEEEESG_SG_SG_PmS8_NS6_8equal_toIsEEEE10hipError_tPvRmT2_T3_mT4_T5_T6_T7_T8_P12ihipStream_tbENKUlT_T0_E_clISt17integral_constantIbLb1EES10_IbLb0EEEEDaSW_SX_EUlSW_E_NS1_11comp_targetILNS1_3genE4ELNS1_11target_archE910ELNS1_3gpuE8ELNS1_3repE0EEENS1_30default_config_static_selectorELNS0_4arch9wavefront6targetE1EEEvT1_
; %bb.0:
	s_load_dwordx8 s[36:43], s[4:5], 0x0
	s_load_dwordx4 s[52:55], s[4:5], 0x20
	s_load_dwordx8 s[44:51], s[4:5], 0x38
	s_load_dwordx2 s[60:61], s[4:5], 0x68
	s_load_dwordx4 s[56:59], s[4:5], 0x58
	s_waitcnt lgkmcnt(0)
	s_lshl_b64 s[0:1], s[38:39], 1
	s_add_u32 s2, s36, s0
	s_addc_u32 s3, s37, s1
	s_add_u32 s4, s40, s0
	s_addc_u32 s5, s41, s1
	s_mul_i32 s0, s48, s47
	s_mul_hi_u32 s1, s48, s46
	s_add_i32 s0, s1, s0
	s_mul_i32 s1, s49, s46
	s_add_i32 s8, s0, s1
	s_mul_i32 s0, s6, 0xf00
	s_mov_b32 s1, 0
	s_lshl_b64 s[0:1], s[0:1], 1
	s_add_u32 s7, s2, s0
	s_mul_i32 s9, s48, s46
	s_addc_u32 s48, s3, s1
	s_add_u32 s49, s4, s0
	s_addc_u32 s62, s5, s1
	s_add_u32 s38, s9, s6
	s_addc_u32 s39, s8, 0
	s_add_u32 s2, s50, -1
	s_addc_u32 s3, s51, -1
	s_cmp_eq_u64 s[38:39], s[2:3]
	s_cselect_b64 s[34:35], -1, 0
	s_cmp_lg_u64 s[38:39], s[2:3]
	s_mov_b64 s[0:1], -1
	s_cselect_b64 s[40:41], -1, 0
	s_mul_i32 s33, s2, 0xfffff100
	s_and_b64 vcc, exec, s[34:35]
	s_cbranch_vccnz .LBB644_2
; %bb.1:
	v_lshlrev_b32_e32 v7, 1, v0
	v_mov_b32_e32 v1, s48
	v_add_co_u32_e32 v2, vcc, s7, v7
	v_addc_co_u32_e32 v3, vcc, 0, v1, vcc
	flat_load_ushort v1, v[2:3]
	flat_load_ushort v4, v[2:3] offset:512
	flat_load_ushort v5, v[2:3] offset:1024
	;; [unrolled: 1-line block ×7, first 2 shown]
	v_add_co_u32_e32 v2, vcc, 0x1000, v2
	v_addc_co_u32_e32 v3, vcc, 0, v3, vcc
	flat_load_ushort v17, v[2:3]
	flat_load_ushort v18, v[2:3] offset:512
	flat_load_ushort v19, v[2:3] offset:1024
	;; [unrolled: 1-line block ×6, first 2 shown]
	v_mov_b32_e32 v2, s62
	v_add_co_u32_e32 v8, vcc, s49, v7
	s_movk_i32 s0, 0x1000
	v_addc_co_u32_e32 v9, vcc, 0, v2, vcc
	v_mad_u32_u24 v6, v0, 28, v7
	v_add_co_u32_e32 v10, vcc, s0, v8
	v_addc_co_u32_e32 v11, vcc, 0, v9, vcc
	s_waitcnt vmcnt(0) lgkmcnt(0)
	ds_write_b16 v7, v1
	ds_write_b16 v7, v4 offset:512
	ds_write_b16 v7, v5 offset:1024
	ds_write_b16 v7, v12 offset:1536
	ds_write_b16 v7, v13 offset:2048
	ds_write_b16 v7, v14 offset:2560
	ds_write_b16 v7, v15 offset:3072
	ds_write_b16 v7, v16 offset:3584
	ds_write_b16 v7, v17 offset:4096
	ds_write_b16 v7, v18 offset:4608
	ds_write_b16 v7, v19 offset:5120
	ds_write_b16 v7, v20 offset:5632
	ds_write_b16 v7, v21 offset:6144
	ds_write_b16 v7, v22 offset:6656
	ds_write_b16 v7, v23 offset:7168
	s_waitcnt lgkmcnt(0)
	s_barrier
	ds_read_u16 v1, v6
	ds_read_b128 v[2:5], v6 offset:2
	ds_read_b96 v[14:16], v6 offset:18
	s_waitcnt lgkmcnt(0)
	s_barrier
	flat_load_ushort v12, v[8:9]
	flat_load_ushort v13, v[8:9] offset:512
	flat_load_ushort v17, v[8:9] offset:1024
	;; [unrolled: 1-line block ×7, first 2 shown]
	flat_load_ushort v23, v[10:11]
	flat_load_ushort v24, v[10:11] offset:512
	flat_load_ushort v25, v[10:11] offset:1024
	;; [unrolled: 1-line block ×6, first 2 shown]
	v_mul_u32_u24_e32 v9, 15, v0
	s_waitcnt vmcnt(0) lgkmcnt(0)
	ds_write_b16 v7, v12
	ds_write_b16 v7, v13 offset:512
	ds_write_b16 v7, v17 offset:1024
	;; [unrolled: 1-line block ×14, first 2 shown]
	s_waitcnt lgkmcnt(0)
	s_barrier
	s_add_i32 s33, s33, s56
	s_cbranch_execz .LBB644_3
	s_branch .LBB644_50
.LBB644_2:
                                        ; implicit-def: $vgpr2
                                        ; implicit-def: $vgpr14
                                        ; implicit-def: $vgpr9
                                        ; implicit-def: $vgpr6
                                        ; implicit-def: $vgpr1
	s_andn2_b64 vcc, exec, s[0:1]
	s_add_i32 s33, s33, s56
	s_cbranch_vccnz .LBB644_50
.LBB644_3:
	v_cmp_gt_u32_e32 vcc, s33, v0
                                        ; implicit-def: $vgpr1
	s_and_saveexec_b64 s[2:3], vcc
	s_cbranch_execz .LBB644_5
; %bb.4:
	v_lshlrev_b32_e32 v1, 1, v0
	v_mov_b32_e32 v3, s48
	v_add_co_u32_e64 v2, s[0:1], s7, v1
	v_addc_co_u32_e64 v3, s[0:1], 0, v3, s[0:1]
	flat_load_ushort v1, v[2:3]
.LBB644_5:
	s_or_b64 exec, exec, s[2:3]
	v_or_b32_e32 v2, 0x100, v0
	v_cmp_gt_u32_e64 s[0:1], s33, v2
                                        ; implicit-def: $vgpr2
	s_and_saveexec_b64 s[4:5], s[0:1]
	s_cbranch_execz .LBB644_7
; %bb.6:
	v_lshlrev_b32_e32 v2, 1, v0
	v_mov_b32_e32 v3, s48
	v_add_co_u32_e64 v2, s[2:3], s7, v2
	v_addc_co_u32_e64 v3, s[2:3], 0, v3, s[2:3]
	flat_load_ushort v2, v[2:3] offset:512
.LBB644_7:
	s_or_b64 exec, exec, s[4:5]
	v_or_b32_e32 v3, 0x200, v0
	v_cmp_gt_u32_e64 s[2:3], s33, v3
                                        ; implicit-def: $vgpr3
	s_and_saveexec_b64 s[8:9], s[2:3]
	s_cbranch_execz .LBB644_9
; %bb.8:
	v_lshlrev_b32_e32 v3, 1, v0
	v_mov_b32_e32 v5, s48
	v_add_co_u32_e64 v4, s[4:5], s7, v3
	v_addc_co_u32_e64 v5, s[4:5], 0, v5, s[4:5]
	flat_load_ushort v3, v[4:5] offset:1024
.LBB644_9:
	s_or_b64 exec, exec, s[8:9]
	v_or_b32_e32 v4, 0x300, v0
	v_cmp_gt_u32_e64 s[4:5], s33, v4
                                        ; implicit-def: $vgpr4
	s_and_saveexec_b64 s[10:11], s[4:5]
	s_cbranch_execz .LBB644_11
; %bb.10:
	v_lshlrev_b32_e32 v4, 1, v0
	v_mov_b32_e32 v5, s48
	v_add_co_u32_e64 v4, s[8:9], s7, v4
	v_addc_co_u32_e64 v5, s[8:9], 0, v5, s[8:9]
	flat_load_ushort v4, v[4:5] offset:1536
.LBB644_11:
	s_or_b64 exec, exec, s[10:11]
	v_or_b32_e32 v5, 0x400, v0
	v_cmp_gt_u32_e64 s[28:29], s33, v5
                                        ; implicit-def: $vgpr5
	s_and_saveexec_b64 s[10:11], s[28:29]
	s_cbranch_execz .LBB644_13
; %bb.12:
	v_lshlrev_b32_e32 v5, 1, v0
	v_mov_b32_e32 v7, s48
	v_add_co_u32_e64 v6, s[8:9], s7, v5
	v_addc_co_u32_e64 v7, s[8:9], 0, v7, s[8:9]
	flat_load_ushort v5, v[6:7] offset:2048
.LBB644_13:
	s_or_b64 exec, exec, s[10:11]
	v_or_b32_e32 v6, 0x500, v0
	v_cmp_gt_u32_e64 s[8:9], s33, v6
                                        ; implicit-def: $vgpr6
	s_and_saveexec_b64 s[12:13], s[8:9]
	s_cbranch_execz .LBB644_15
; %bb.14:
	v_lshlrev_b32_e32 v6, 1, v0
	v_mov_b32_e32 v7, s48
	v_add_co_u32_e64 v6, s[10:11], s7, v6
	v_addc_co_u32_e64 v7, s[10:11], 0, v7, s[10:11]
	flat_load_ushort v6, v[6:7] offset:2560
.LBB644_15:
	s_or_b64 exec, exec, s[12:13]
	v_or_b32_e32 v7, 0x600, v0
	v_cmp_gt_u32_e64 s[10:11], s33, v7
                                        ; implicit-def: $vgpr14
	s_and_saveexec_b64 s[14:15], s[10:11]
	s_cbranch_execz .LBB644_17
; %bb.16:
	v_lshlrev_b32_e32 v7, 1, v0
	v_mov_b32_e32 v9, s48
	v_add_co_u32_e64 v8, s[12:13], s7, v7
	v_addc_co_u32_e64 v9, s[12:13], 0, v9, s[12:13]
	flat_load_ushort v14, v[8:9] offset:3072
.LBB644_17:
	s_or_b64 exec, exec, s[14:15]
	v_or_b32_e32 v7, 0x700, v0
	v_cmp_gt_u32_e64 s[12:13], s33, v7
                                        ; implicit-def: $vgpr15
	s_and_saveexec_b64 s[16:17], s[12:13]
	s_cbranch_execz .LBB644_19
; %bb.18:
	v_lshlrev_b32_e32 v7, 1, v0
	v_mov_b32_e32 v9, s48
	v_add_co_u32_e64 v8, s[14:15], s7, v7
	v_addc_co_u32_e64 v9, s[14:15], 0, v9, s[14:15]
	flat_load_ushort v15, v[8:9] offset:3584
.LBB644_19:
	s_or_b64 exec, exec, s[16:17]
	v_or_b32_e32 v8, 0x800, v0
	v_cmp_gt_u32_e64 s[14:15], s33, v8
                                        ; implicit-def: $vgpr16
	s_and_saveexec_b64 s[18:19], s[14:15]
	s_cbranch_execz .LBB644_21
; %bb.20:
	v_lshlrev_b32_e32 v7, 1, v8
	v_mov_b32_e32 v9, s48
	v_add_co_u32_e64 v10, s[16:17], s7, v7
	v_addc_co_u32_e64 v11, s[16:17], 0, v9, s[16:17]
	flat_load_ushort v16, v[10:11]
.LBB644_21:
	s_or_b64 exec, exec, s[18:19]
	v_or_b32_e32 v9, 0x900, v0
	v_cmp_gt_u32_e64 s[16:17], s33, v9
                                        ; implicit-def: $vgpr18
	s_and_saveexec_b64 s[20:21], s[16:17]
	s_cbranch_execz .LBB644_23
; %bb.22:
	v_lshlrev_b32_e32 v7, 1, v9
	v_mov_b32_e32 v11, s48
	v_add_co_u32_e64 v10, s[18:19], s7, v7
	v_addc_co_u32_e64 v11, s[18:19], 0, v11, s[18:19]
	flat_load_ushort v18, v[10:11]
.LBB644_23:
	s_or_b64 exec, exec, s[20:21]
	v_or_b32_e32 v10, 0xa00, v0
	v_cmp_gt_u32_e64 s[18:19], s33, v10
                                        ; implicit-def: $vgpr19
	s_and_saveexec_b64 s[22:23], s[18:19]
	s_cbranch_execz .LBB644_25
; %bb.24:
	v_lshlrev_b32_e32 v7, 1, v10
	v_mov_b32_e32 v11, s48
	v_add_co_u32_e64 v12, s[20:21], s7, v7
	v_addc_co_u32_e64 v13, s[20:21], 0, v11, s[20:21]
	flat_load_ushort v19, v[12:13]
.LBB644_25:
	s_or_b64 exec, exec, s[22:23]
	v_or_b32_e32 v11, 0xb00, v0
	v_cmp_gt_u32_e64 s[20:21], s33, v11
                                        ; implicit-def: $vgpr20
	s_and_saveexec_b64 s[24:25], s[20:21]
	s_cbranch_execz .LBB644_27
; %bb.26:
	v_lshlrev_b32_e32 v7, 1, v11
	v_mov_b32_e32 v13, s48
	v_add_co_u32_e64 v12, s[22:23], s7, v7
	v_addc_co_u32_e64 v13, s[22:23], 0, v13, s[22:23]
	flat_load_ushort v20, v[12:13]
.LBB644_27:
	s_or_b64 exec, exec, s[24:25]
	v_or_b32_e32 v12, 0xc00, v0
	v_cmp_gt_u32_e64 s[22:23], s33, v12
                                        ; implicit-def: $vgpr21
	s_and_saveexec_b64 s[26:27], s[22:23]
	s_cbranch_execz .LBB644_29
; %bb.28:
	v_lshlrev_b32_e32 v7, 1, v12
	v_mov_b32_e32 v13, s48
	v_add_co_u32_e64 v22, s[24:25], s7, v7
	v_addc_co_u32_e64 v23, s[24:25], 0, v13, s[24:25]
	flat_load_ushort v21, v[22:23]
.LBB644_29:
	s_or_b64 exec, exec, s[26:27]
	v_or_b32_e32 v13, 0xd00, v0
	v_cmp_gt_u32_e64 s[24:25], s33, v13
                                        ; implicit-def: $vgpr22
	s_and_saveexec_b64 s[30:31], s[24:25]
	s_cbranch_execz .LBB644_31
; %bb.30:
	v_lshlrev_b32_e32 v7, 1, v13
	v_mov_b32_e32 v17, s48
	v_add_co_u32_e64 v22, s[26:27], s7, v7
	v_addc_co_u32_e64 v23, s[26:27], 0, v17, s[26:27]
	flat_load_ushort v22, v[22:23]
.LBB644_31:
	s_or_b64 exec, exec, s[30:31]
	v_or_b32_e32 v17, 0xe00, v0
	v_cmp_gt_u32_e64 s[26:27], s33, v17
                                        ; implicit-def: $vgpr23
	s_and_saveexec_b64 s[36:37], s[26:27]
	s_cbranch_execz .LBB644_33
; %bb.32:
	v_lshlrev_b32_e32 v7, 1, v17
	v_mov_b32_e32 v23, s48
	v_add_co_u32_e64 v24, s[30:31], s7, v7
	v_addc_co_u32_e64 v25, s[30:31], 0, v23, s[30:31]
	flat_load_ushort v23, v[24:25]
.LBB644_33:
	s_or_b64 exec, exec, s[36:37]
	v_lshlrev_b32_e32 v7, 1, v0
	s_waitcnt vmcnt(0) lgkmcnt(0)
	ds_write_b16 v7, v1
	ds_write_b16 v7, v2 offset:512
	ds_write_b16 v7, v3 offset:1024
	;; [unrolled: 1-line block ×14, first 2 shown]
	v_mad_u32_u24 v6, v0, 28, v7
	s_waitcnt lgkmcnt(0)
	s_barrier
	ds_read_u16 v1, v6
	ds_read_b128 v[2:5], v6 offset:2
	ds_read_b96 v[14:16], v6 offset:18
	s_waitcnt lgkmcnt(0)
	s_barrier
	s_waitcnt lgkmcnt(0)
                                        ; implicit-def: $vgpr18
	s_and_saveexec_b64 s[30:31], vcc
	s_cbranch_execnz .LBB644_57
; %bb.34:
	s_or_b64 exec, exec, s[30:31]
                                        ; implicit-def: $vgpr19
	s_and_saveexec_b64 s[30:31], s[0:1]
	s_cbranch_execnz .LBB644_58
.LBB644_35:
	s_or_b64 exec, exec, s[30:31]
                                        ; implicit-def: $vgpr20
	s_and_saveexec_b64 s[0:1], s[2:3]
	s_cbranch_execnz .LBB644_59
.LBB644_36:
	s_or_b64 exec, exec, s[0:1]
                                        ; implicit-def: $vgpr21
	s_and_saveexec_b64 s[0:1], s[4:5]
	s_cbranch_execnz .LBB644_60
.LBB644_37:
	s_or_b64 exec, exec, s[0:1]
                                        ; implicit-def: $vgpr22
	s_and_saveexec_b64 s[0:1], s[28:29]
	s_cbranch_execnz .LBB644_61
.LBB644_38:
	s_or_b64 exec, exec, s[0:1]
                                        ; implicit-def: $vgpr23
	s_and_saveexec_b64 s[0:1], s[8:9]
	s_cbranch_execnz .LBB644_62
.LBB644_39:
	s_or_b64 exec, exec, s[0:1]
                                        ; implicit-def: $vgpr24
	s_and_saveexec_b64 s[0:1], s[10:11]
	s_cbranch_execnz .LBB644_63
.LBB644_40:
	s_or_b64 exec, exec, s[0:1]
                                        ; implicit-def: $vgpr25
	s_and_saveexec_b64 s[0:1], s[12:13]
	s_cbranch_execnz .LBB644_64
.LBB644_41:
	s_or_b64 exec, exec, s[0:1]
                                        ; implicit-def: $vgpr26
	s_and_saveexec_b64 s[0:1], s[14:15]
	s_cbranch_execnz .LBB644_65
.LBB644_42:
	s_or_b64 exec, exec, s[0:1]
                                        ; implicit-def: $vgpr8
	s_and_saveexec_b64 s[0:1], s[16:17]
	s_cbranch_execnz .LBB644_66
.LBB644_43:
	s_or_b64 exec, exec, s[0:1]
                                        ; implicit-def: $vgpr27
	s_and_saveexec_b64 s[0:1], s[18:19]
	s_cbranch_execnz .LBB644_67
.LBB644_44:
	s_or_b64 exec, exec, s[0:1]
                                        ; implicit-def: $vgpr10
	s_and_saveexec_b64 s[0:1], s[20:21]
	s_cbranch_execnz .LBB644_68
.LBB644_45:
	s_or_b64 exec, exec, s[0:1]
                                        ; implicit-def: $vgpr11
	s_and_saveexec_b64 s[0:1], s[22:23]
	s_cbranch_execnz .LBB644_69
.LBB644_46:
	s_or_b64 exec, exec, s[0:1]
                                        ; implicit-def: $vgpr12
	s_and_saveexec_b64 s[0:1], s[24:25]
	s_cbranch_execnz .LBB644_70
.LBB644_47:
	s_or_b64 exec, exec, s[0:1]
                                        ; implicit-def: $vgpr13
	s_and_saveexec_b64 s[0:1], s[26:27]
	s_cbranch_execz .LBB644_49
.LBB644_48:
	v_lshlrev_b32_e32 v9, 1, v17
	v_mov_b32_e32 v13, s62
	v_add_co_u32_e32 v28, vcc, s49, v9
	v_addc_co_u32_e32 v29, vcc, 0, v13, vcc
	flat_load_ushort v13, v[28:29]
.LBB644_49:
	s_or_b64 exec, exec, s[0:1]
	v_mul_u32_u24_e32 v9, 15, v0
	s_waitcnt vmcnt(0) lgkmcnt(0)
	ds_write_b16 v7, v18
	ds_write_b16 v7, v19 offset:512
	ds_write_b16 v7, v20 offset:1024
	;; [unrolled: 1-line block ×14, first 2 shown]
	s_waitcnt lgkmcnt(0)
	s_barrier
.LBB644_50:
	v_lshlrev_b32_e32 v7, 1, v9
	ds_read_u16 v77, v6
	ds_read_u16 v76, v6 offset:2
	ds_read_u16 v74, v6 offset:6
	;; [unrolled: 1-line block ×14, first 2 shown]
	s_cmp_eq_u64 s[38:39], 0
	s_cselect_b64 s[36:37], -1, 0
	s_cmp_lg_u64 s[38:39], 0
	s_mov_b64 s[2:3], 0
	s_cselect_b64 s[4:5], -1, 0
	s_and_b64 vcc, exec, s[40:41]
	s_waitcnt lgkmcnt(0)
	s_barrier
	s_cbranch_vccz .LBB644_56
; %bb.51:
	s_and_b64 vcc, exec, s[4:5]
	s_cbranch_vccz .LBB644_71
; %bb.52:
	v_mov_b32_e32 v7, s48
	v_add_co_u32_e64 v6, vcc, -2, s7
	v_addc_co_u32_e32 v7, vcc, -1, v7, vcc
	flat_load_ushort v6, v[6:7]
	v_lshrrev_b32_e32 v8, 16, v16
	v_lshlrev_b32_e32 v7, 1, v0
	v_cmp_ne_u16_e32 vcc, v16, v8
	v_cmp_ne_u16_sdwa s[8:9], v15, v16 src0_sel:WORD_1 src1_sel:DWORD
	v_cmp_ne_u16_sdwa s[10:11], v15, v15 src0_sel:DWORD src1_sel:WORD_1
	v_cmp_ne_u16_sdwa s[12:13], v14, v15 src0_sel:WORD_1 src1_sel:DWORD
	v_cmp_ne_u16_sdwa s[14:15], v14, v14 src0_sel:DWORD src1_sel:WORD_1
	;; [unrolled: 2-line block ×6, first 2 shown]
	v_cmp_ne_u16_e64 s[0:1], v1, v2
	v_cmp_ne_u32_e64 s[2:3], 0, v0
	ds_write_b16 v7, v8
	s_waitcnt lgkmcnt(0)
	s_barrier
	s_and_saveexec_b64 s[40:41], s[2:3]
	s_cbranch_execz .LBB644_54
; %bb.53:
	s_waitcnt vmcnt(0)
	v_add_u32_e32 v6, -2, v7
	ds_read_u16 v6, v6
.LBB644_54:
	s_or_b64 exec, exec, s[40:41]
	v_cndmask_b32_e64 v17, 0, 1, vcc
	v_cndmask_b32_e64 v54, 0, 1, s[8:9]
	v_cndmask_b32_e64 v55, 0, 1, s[10:11]
	;; [unrolled: 1-line block ×13, first 2 shown]
	s_waitcnt vmcnt(0) lgkmcnt(0)
	v_cmp_ne_u16_e64 s[0:1], v6, v1
	s_mov_b64 s[2:3], -1
.LBB644_55:
                                        ; implicit-def: $sgpr10
	s_branch .LBB644_83
.LBB644_56:
                                        ; implicit-def: $sgpr0_sgpr1
                                        ; implicit-def: $vgpr17
                                        ; implicit-def: $vgpr54
                                        ; implicit-def: $vgpr55
                                        ; implicit-def: $vgpr56
                                        ; implicit-def: $vgpr57
                                        ; implicit-def: $vgpr58
                                        ; implicit-def: $vgpr59
                                        ; implicit-def: $vgpr60
                                        ; implicit-def: $vgpr61
                                        ; implicit-def: $vgpr62
                                        ; implicit-def: $vgpr63
                                        ; implicit-def: $vgpr64
                                        ; implicit-def: $vgpr65
                                        ; implicit-def: $vgpr66
                                        ; implicit-def: $sgpr10
	s_cbranch_execnz .LBB644_75
	s_branch .LBB644_83
.LBB644_57:
	v_mov_b32_e32 v19, s62
	v_add_co_u32_e32 v18, vcc, s49, v7
	v_addc_co_u32_e32 v19, vcc, 0, v19, vcc
	flat_load_ushort v18, v[18:19]
	s_or_b64 exec, exec, s[30:31]
                                        ; implicit-def: $vgpr19
	s_and_saveexec_b64 s[30:31], s[0:1]
	s_cbranch_execz .LBB644_35
.LBB644_58:
	v_mov_b32_e32 v19, s62
	v_add_co_u32_e32 v20, vcc, s49, v7
	v_addc_co_u32_e32 v21, vcc, 0, v19, vcc
	flat_load_ushort v19, v[20:21] offset:512
	s_or_b64 exec, exec, s[30:31]
                                        ; implicit-def: $vgpr20
	s_and_saveexec_b64 s[0:1], s[2:3]
	s_cbranch_execz .LBB644_36
.LBB644_59:
	v_mov_b32_e32 v21, s62
	v_add_co_u32_e32 v20, vcc, s49, v7
	v_addc_co_u32_e32 v21, vcc, 0, v21, vcc
	flat_load_ushort v20, v[20:21] offset:1024
	s_or_b64 exec, exec, s[0:1]
                                        ; implicit-def: $vgpr21
	s_and_saveexec_b64 s[0:1], s[4:5]
	s_cbranch_execz .LBB644_37
.LBB644_60:
	v_mov_b32_e32 v21, s62
	v_add_co_u32_e32 v22, vcc, s49, v7
	v_addc_co_u32_e32 v23, vcc, 0, v21, vcc
	flat_load_ushort v21, v[22:23] offset:1536
	s_or_b64 exec, exec, s[0:1]
                                        ; implicit-def: $vgpr22
	s_and_saveexec_b64 s[0:1], s[28:29]
	s_cbranch_execz .LBB644_38
.LBB644_61:
	v_mov_b32_e32 v23, s62
	v_add_co_u32_e32 v22, vcc, s49, v7
	v_addc_co_u32_e32 v23, vcc, 0, v23, vcc
	flat_load_ushort v22, v[22:23] offset:2048
	s_or_b64 exec, exec, s[0:1]
                                        ; implicit-def: $vgpr23
	s_and_saveexec_b64 s[0:1], s[8:9]
	s_cbranch_execz .LBB644_39
.LBB644_62:
	v_mov_b32_e32 v23, s62
	v_add_co_u32_e32 v24, vcc, s49, v7
	v_addc_co_u32_e32 v25, vcc, 0, v23, vcc
	flat_load_ushort v23, v[24:25] offset:2560
	s_or_b64 exec, exec, s[0:1]
                                        ; implicit-def: $vgpr24
	s_and_saveexec_b64 s[0:1], s[10:11]
	s_cbranch_execz .LBB644_40
.LBB644_63:
	v_mov_b32_e32 v25, s62
	v_add_co_u32_e32 v24, vcc, s49, v7
	v_addc_co_u32_e32 v25, vcc, 0, v25, vcc
	flat_load_ushort v24, v[24:25] offset:3072
	s_or_b64 exec, exec, s[0:1]
                                        ; implicit-def: $vgpr25
	s_and_saveexec_b64 s[0:1], s[12:13]
	s_cbranch_execz .LBB644_41
.LBB644_64:
	v_mov_b32_e32 v25, s62
	v_add_co_u32_e32 v26, vcc, s49, v7
	v_addc_co_u32_e32 v27, vcc, 0, v25, vcc
	flat_load_ushort v25, v[26:27] offset:3584
	s_or_b64 exec, exec, s[0:1]
                                        ; implicit-def: $vgpr26
	s_and_saveexec_b64 s[0:1], s[14:15]
	s_cbranch_execz .LBB644_42
.LBB644_65:
	v_lshlrev_b32_e32 v8, 1, v8
	v_mov_b32_e32 v27, s62
	v_add_co_u32_e32 v26, vcc, s49, v8
	v_addc_co_u32_e32 v27, vcc, 0, v27, vcc
	flat_load_ushort v26, v[26:27]
	s_or_b64 exec, exec, s[0:1]
                                        ; implicit-def: $vgpr8
	s_and_saveexec_b64 s[0:1], s[16:17]
	s_cbranch_execz .LBB644_43
.LBB644_66:
	v_lshlrev_b32_e32 v8, 1, v9
	v_mov_b32_e32 v9, s62
	v_add_co_u32_e32 v8, vcc, s49, v8
	v_addc_co_u32_e32 v9, vcc, 0, v9, vcc
	flat_load_ushort v8, v[8:9]
	s_or_b64 exec, exec, s[0:1]
                                        ; implicit-def: $vgpr27
	s_and_saveexec_b64 s[0:1], s[18:19]
	s_cbranch_execz .LBB644_44
.LBB644_67:
	v_lshlrev_b32_e32 v9, 1, v10
	v_mov_b32_e32 v10, s62
	v_add_co_u32_e32 v28, vcc, s49, v9
	v_addc_co_u32_e32 v29, vcc, 0, v10, vcc
	flat_load_ushort v27, v[28:29]
	s_or_b64 exec, exec, s[0:1]
                                        ; implicit-def: $vgpr10
	s_and_saveexec_b64 s[0:1], s[20:21]
	s_cbranch_execz .LBB644_45
.LBB644_68:
	v_lshlrev_b32_e32 v9, 1, v11
	v_mov_b32_e32 v11, s62
	v_add_co_u32_e32 v10, vcc, s49, v9
	v_addc_co_u32_e32 v11, vcc, 0, v11, vcc
	flat_load_ushort v10, v[10:11]
	s_or_b64 exec, exec, s[0:1]
                                        ; implicit-def: $vgpr11
	s_and_saveexec_b64 s[0:1], s[22:23]
	s_cbranch_execz .LBB644_46
.LBB644_69:
	v_lshlrev_b32_e32 v9, 1, v12
	v_mov_b32_e32 v11, s62
	v_add_co_u32_e32 v28, vcc, s49, v9
	v_addc_co_u32_e32 v29, vcc, 0, v11, vcc
	flat_load_ushort v11, v[28:29]
	s_or_b64 exec, exec, s[0:1]
                                        ; implicit-def: $vgpr12
	s_and_saveexec_b64 s[0:1], s[24:25]
	s_cbranch_execz .LBB644_47
.LBB644_70:
	v_lshlrev_b32_e32 v9, 1, v13
	v_mov_b32_e32 v13, s62
	v_add_co_u32_e32 v12, vcc, s49, v9
	v_addc_co_u32_e32 v13, vcc, 0, v13, vcc
	flat_load_ushort v12, v[12:13]
	s_or_b64 exec, exec, s[0:1]
                                        ; implicit-def: $vgpr13
	s_and_saveexec_b64 s[0:1], s[26:27]
	s_cbranch_execnz .LBB644_48
	s_branch .LBB644_49
.LBB644_71:
                                        ; implicit-def: $sgpr0_sgpr1
                                        ; implicit-def: $vgpr17
                                        ; implicit-def: $vgpr54
                                        ; implicit-def: $vgpr55
                                        ; implicit-def: $vgpr56
                                        ; implicit-def: $vgpr57
                                        ; implicit-def: $vgpr58
                                        ; implicit-def: $vgpr59
                                        ; implicit-def: $vgpr60
                                        ; implicit-def: $vgpr61
                                        ; implicit-def: $vgpr62
                                        ; implicit-def: $vgpr63
                                        ; implicit-def: $vgpr64
                                        ; implicit-def: $vgpr65
                                        ; implicit-def: $vgpr66
	s_cbranch_execz .LBB644_55
; %bb.72:
	v_cmp_ne_u16_sdwa s[0:1], v15, v16 src0_sel:WORD_1 src1_sel:DWORD
	v_cndmask_b32_e64 v54, 0, 1, s[0:1]
	v_cmp_ne_u16_sdwa s[0:1], v15, v15 src0_sel:DWORD src1_sel:WORD_1
	v_cndmask_b32_e64 v55, 0, 1, s[0:1]
	v_cmp_ne_u16_sdwa s[0:1], v14, v15 src0_sel:WORD_1 src1_sel:DWORD
	v_cndmask_b32_e64 v56, 0, 1, s[0:1]
	v_cmp_ne_u16_sdwa s[0:1], v14, v14 src0_sel:DWORD src1_sel:WORD_1
	v_cndmask_b32_e64 v57, 0, 1, s[0:1]
	;; [unrolled: 4-line block ×4, first 2 shown]
	v_cmp_ne_u16_sdwa s[0:1], v3, v4 src0_sel:WORD_1 src1_sel:DWORD
	v_lshrrev_b32_e32 v7, 16, v16
	v_cndmask_b32_e64 v62, 0, 1, s[0:1]
	v_cmp_ne_u16_sdwa s[0:1], v3, v3 src0_sel:DWORD src1_sel:WORD_1
	v_cmp_ne_u16_e32 vcc, v16, v7
	v_cndmask_b32_e64 v63, 0, 1, s[0:1]
	v_cmp_ne_u16_sdwa s[0:1], v2, v3 src0_sel:WORD_1 src1_sel:DWORD
	v_cndmask_b32_e64 v17, 0, 1, vcc
	v_cndmask_b32_e64 v64, 0, 1, s[0:1]
	v_cmp_ne_u16_sdwa s[0:1], v2, v2 src0_sel:DWORD src1_sel:WORD_1
	v_cmp_ne_u16_e32 vcc, v1, v2
	s_mov_b32 s10, 1
	v_lshlrev_b32_e32 v6, 1, v0
	v_cndmask_b32_e64 v65, 0, 1, s[0:1]
	v_cndmask_b32_e64 v66, 0, 1, vcc
	v_cmp_ne_u32_e32 vcc, 0, v0
	ds_write_b16 v6, v7
	s_waitcnt lgkmcnt(0)
	s_barrier
	s_waitcnt lgkmcnt(0)
                                        ; implicit-def: $sgpr0_sgpr1
	s_and_saveexec_b64 s[8:9], vcc
	s_xor_b64 s[8:9], exec, s[8:9]
	s_cbranch_execz .LBB644_74
; %bb.73:
	v_add_u32_e32 v6, -2, v6
	ds_read_u16 v6, v6
	s_or_b64 s[2:3], s[2:3], exec
	s_waitcnt lgkmcnt(0)
	v_cmp_ne_u16_e32 vcc, v6, v1
	s_and_b64 s[0:1], vcc, exec
.LBB644_74:
	s_or_b64 exec, exec, s[8:9]
	s_branch .LBB644_83
.LBB644_75:
	s_mul_hi_u32 s1, s38, 0xfffff100
	s_mul_i32 s0, s39, 0xfffff100
	s_sub_i32 s1, s1, s38
	s_add_i32 s1, s1, s0
	s_mul_i32 s0, s38, 0xfffff100
	s_add_u32 s8, s0, s56
	s_addc_u32 s9, s1, s57
	s_and_b64 vcc, exec, s[4:5]
	s_cbranch_vccz .LBB644_80
; %bb.76:
	v_mov_b32_e32 v7, s48
	v_add_co_u32_e64 v6, vcc, -2, s7
	v_addc_co_u32_e32 v7, vcc, -1, v7, vcc
	flat_load_ushort v10, v[6:7]
	v_lshrrev_b32_e32 v11, 16, v16
	v_mad_u32_u24 v8, v0, 15, 14
	v_mov_b32_e32 v9, 0
	v_cmp_gt_u64_e32 vcc, s[8:9], v[8:9]
	v_cmp_ne_u16_e64 s[0:1], v16, v11
	v_mad_u32_u24 v8, v0, 15, 13
	s_and_b64 s[2:3], vcc, s[0:1]
	v_cmp_gt_u64_e32 vcc, s[8:9], v[8:9]
	v_cmp_ne_u16_sdwa s[0:1], v15, v16 src0_sel:WORD_1 src1_sel:DWORD
	v_mad_u32_u24 v8, v0, 15, 12
	s_and_b64 s[4:5], vcc, s[0:1]
	v_cmp_gt_u64_e32 vcc, s[8:9], v[8:9]
	v_cmp_ne_u16_sdwa s[0:1], v15, v15 src0_sel:DWORD src1_sel:WORD_1
	v_mad_u32_u24 v8, v0, 15, 11
	s_and_b64 s[10:11], vcc, s[0:1]
	v_cmp_gt_u64_e32 vcc, s[8:9], v[8:9]
	v_cmp_ne_u16_sdwa s[0:1], v14, v15 src0_sel:WORD_1 src1_sel:DWORD
	v_mad_u32_u24 v8, v0, 15, 10
	s_and_b64 s[12:13], vcc, s[0:1]
	v_cmp_gt_u64_e32 vcc, s[8:9], v[8:9]
	v_cmp_ne_u16_sdwa s[0:1], v14, v14 src0_sel:DWORD src1_sel:WORD_1
	;; [unrolled: 8-line block ×6, first 2 shown]
	v_mad_u32_u24 v8, v0, 15, 1
	s_and_b64 s[30:31], vcc, s[0:1]
	v_cmp_gt_u64_e32 vcc, s[8:9], v[8:9]
	v_cmp_ne_u16_e64 s[0:1], v1, v2
	v_lshlrev_b32_e32 v7, 1, v0
	v_mul_u32_u24_e32 v6, 15, v0
	s_and_b64 s[0:1], vcc, s[0:1]
	v_cmp_ne_u32_e32 vcc, 0, v0
	ds_write_b16 v7, v11
	s_waitcnt lgkmcnt(0)
	s_barrier
	s_and_saveexec_b64 s[38:39], vcc
	s_cbranch_execz .LBB644_78
; %bb.77:
	v_add_u32_e32 v7, -2, v7
	s_waitcnt vmcnt(0)
	ds_read_u16 v10, v7
.LBB644_78:
	s_or_b64 exec, exec, s[38:39]
	v_mov_b32_e32 v7, v9
	v_cndmask_b32_e64 v66, 0, 1, s[0:1]
	v_cmp_gt_u64_e32 vcc, s[8:9], v[6:7]
	s_waitcnt vmcnt(0) lgkmcnt(0)
	v_cmp_ne_u16_e64 s[0:1], v10, v1
	v_cndmask_b32_e64 v17, 0, 1, s[2:3]
	v_cndmask_b32_e64 v54, 0, 1, s[4:5]
	;; [unrolled: 1-line block ×13, first 2 shown]
	s_and_b64 s[0:1], vcc, s[0:1]
	s_mov_b64 s[2:3], -1
.LBB644_79:
                                        ; implicit-def: $sgpr10
	v_mov_b32_e32 v68, s10
	s_and_saveexec_b64 s[4:5], s[2:3]
	s_cbranch_execnz .LBB644_84
	s_branch .LBB644_85
.LBB644_80:
                                        ; implicit-def: $sgpr0_sgpr1
                                        ; implicit-def: $vgpr17
                                        ; implicit-def: $vgpr54
                                        ; implicit-def: $vgpr55
                                        ; implicit-def: $vgpr56
                                        ; implicit-def: $vgpr57
                                        ; implicit-def: $vgpr58
                                        ; implicit-def: $vgpr59
                                        ; implicit-def: $vgpr60
                                        ; implicit-def: $vgpr61
                                        ; implicit-def: $vgpr62
                                        ; implicit-def: $vgpr63
                                        ; implicit-def: $vgpr64
                                        ; implicit-def: $vgpr65
                                        ; implicit-def: $vgpr66
	s_cbranch_execz .LBB644_79
; %bb.81:
	v_lshrrev_b32_e32 v9, 16, v16
	v_mad_u32_u24 v6, v0, 15, 14
	v_mov_b32_e32 v7, 0
	v_cmp_gt_u64_e32 vcc, s[8:9], v[6:7]
	v_cmp_ne_u16_e64 s[0:1], v16, v9
	s_and_b64 s[0:1], vcc, s[0:1]
	v_mad_u32_u24 v6, v0, 15, 13
	v_cndmask_b32_e64 v17, 0, 1, s[0:1]
	v_cmp_gt_u64_e32 vcc, s[8:9], v[6:7]
	v_cmp_ne_u16_sdwa s[0:1], v15, v16 src0_sel:WORD_1 src1_sel:DWORD
	s_and_b64 s[0:1], vcc, s[0:1]
	v_mad_u32_u24 v6, v0, 15, 12
	v_cndmask_b32_e64 v54, 0, 1, s[0:1]
	v_cmp_gt_u64_e32 vcc, s[8:9], v[6:7]
	v_cmp_ne_u16_sdwa s[0:1], v15, v15 src0_sel:DWORD src1_sel:WORD_1
	s_and_b64 s[0:1], vcc, s[0:1]
	v_mad_u32_u24 v6, v0, 15, 11
	v_cndmask_b32_e64 v55, 0, 1, s[0:1]
	v_cmp_gt_u64_e32 vcc, s[8:9], v[6:7]
	v_cmp_ne_u16_sdwa s[0:1], v14, v15 src0_sel:WORD_1 src1_sel:DWORD
	s_and_b64 s[0:1], vcc, s[0:1]
	v_mad_u32_u24 v6, v0, 15, 10
	v_cndmask_b32_e64 v56, 0, 1, s[0:1]
	v_cmp_gt_u64_e32 vcc, s[8:9], v[6:7]
	v_cmp_ne_u16_sdwa s[0:1], v14, v14 src0_sel:DWORD src1_sel:WORD_1
	;; [unrolled: 10-line block ×6, first 2 shown]
	s_and_b64 s[0:1], vcc, s[0:1]
	v_mad_u32_u24 v6, v0, 15, 1
	v_cndmask_b32_e64 v65, 0, 1, s[0:1]
	v_cmp_gt_u64_e32 vcc, s[8:9], v[6:7]
	v_cmp_ne_u16_e64 s[0:1], v1, v2
	s_and_b64 s[0:1], vcc, s[0:1]
	s_mov_b32 s10, 1
	v_lshlrev_b32_e32 v8, 1, v0
	v_cndmask_b32_e64 v66, 0, 1, s[0:1]
	v_cmp_ne_u32_e32 vcc, 0, v0
	ds_write_b16 v8, v9
	s_waitcnt lgkmcnt(0)
	s_barrier
	s_waitcnt lgkmcnt(0)
                                        ; implicit-def: $sgpr0_sgpr1
	s_and_saveexec_b64 s[4:5], vcc
	s_cbranch_execz .LBB644_192
; %bb.82:
	v_add_u32_e32 v6, -2, v8
	ds_read_u16 v8, v6
	v_mul_u32_u24_e32 v6, 15, v0
	v_cmp_gt_u64_e32 vcc, s[8:9], v[6:7]
	s_or_b64 s[2:3], s[2:3], exec
	s_waitcnt lgkmcnt(0)
	v_cmp_ne_u16_e64 s[0:1], v8, v1
	s_and_b64 s[0:1], vcc, s[0:1]
	s_and_b64 s[0:1], s[0:1], exec
	s_or_b64 exec, exec, s[4:5]
.LBB644_83:
	v_mov_b32_e32 v68, s10
	s_and_saveexec_b64 s[4:5], s[2:3]
.LBB644_84:
	v_cndmask_b32_e64 v68, 0, 1, s[0:1]
.LBB644_85:
	s_or_b64 exec, exec, s[4:5]
	s_cmp_eq_u64 s[46:47], 0
	v_add3_u32 v6, v66, v68, v65
	s_cselect_b64 s[30:31], -1, 0
	s_cmp_lg_u32 s6, 0
	v_cmp_eq_u32_e64 s[24:25], 0, v66
	v_cmp_eq_u32_e64 s[22:23], 0, v65
	v_cmp_eq_u32_e64 s[20:21], 0, v64
	v_add3_u32 v83, v6, v64, v63
	v_cmp_eq_u32_e64 s[18:19], 0, v63
	v_cmp_eq_u32_e64 s[16:17], 0, v62
	;; [unrolled: 1-line block ×10, first 2 shown]
	v_cmp_eq_u32_e32 vcc, 0, v17
	v_mbcnt_lo_u32_b32 v82, -1, 0
	v_lshrrev_b32_e32 v80, 6, v0
	v_or_b32_e32 v81, 63, v0
	s_cbranch_scc0 .LBB644_116
; %bb.86:
	v_cndmask_b32_e64 v6, 0, v77, s[24:25]
	v_add_u16_e32 v6, v6, v76
	v_cndmask_b32_e64 v6, 0, v6, s[22:23]
	v_add_u16_e32 v6, v6, v78
	;; [unrolled: 2-line block ×11, first 2 shown]
	v_cndmask_b32_e64 v6, 0, v6, s[2:3]
	v_add3_u32 v7, v83, v62, v61
	v_add_u16_e32 v6, v6, v52
	v_add3_u32 v7, v7, v60, v59
	v_cndmask_b32_e64 v6, 0, v6, s[0:1]
	v_add3_u32 v7, v7, v58, v57
	v_add_u16_e32 v6, v6, v50
	v_add3_u32 v7, v7, v56, v55
	v_cndmask_b32_e32 v6, 0, v6, vcc
	v_add3_u32 v7, v7, v54, v17
	v_add_u16_e32 v6, v6, v79
	v_mbcnt_hi_u32_b32 v19, -1, v82
	v_and_b32_e32 v8, 15, v19
	v_mov_b32_dpp v10, v6 row_shr:1 row_mask:0xf bank_mask:0xf
	v_cmp_eq_u32_e32 vcc, 0, v7
	v_mov_b32_dpp v9, v7 row_shr:1 row_mask:0xf bank_mask:0xf
	v_cndmask_b32_e32 v10, 0, v10, vcc
	v_cmp_eq_u32_e32 vcc, 0, v8
	v_add_u16_e32 v10, v10, v6
	v_cndmask_b32_e64 v9, v9, 0, vcc
	v_add_u32_e32 v7, v9, v7
	v_cndmask_b32_e32 v6, v10, v6, vcc
	v_cmp_eq_u32_e32 vcc, 0, v7
	v_mov_b32_dpp v9, v7 row_shr:2 row_mask:0xf bank_mask:0xf
	v_mov_b32_dpp v10, v6 row_shr:2 row_mask:0xf bank_mask:0xf
	v_cndmask_b32_e32 v10, 0, v10, vcc
	v_cmp_lt_u32_e32 vcc, 1, v8
	v_add_u16_e32 v10, v10, v6
	v_cndmask_b32_e32 v9, 0, v9, vcc
	v_cndmask_b32_e32 v6, v6, v10, vcc
	v_add_u32_e32 v7, v7, v9
	v_cmp_eq_u32_e32 vcc, 0, v7
	v_mov_b32_dpp v10, v6 row_shr:4 row_mask:0xf bank_mask:0xf
	v_mov_b32_dpp v9, v7 row_shr:4 row_mask:0xf bank_mask:0xf
	v_cndmask_b32_e32 v10, 0, v10, vcc
	v_cmp_lt_u32_e32 vcc, 3, v8
	v_add_u16_e32 v10, v10, v6
	v_cndmask_b32_e32 v9, 0, v9, vcc
	v_cndmask_b32_e32 v6, v6, v10, vcc
	v_add_u32_e32 v7, v9, v7
	;; [unrolled: 9-line block ×3, first 2 shown]
	v_bfe_i32 v10, v19, 4, 1
	v_mov_b32_dpp v9, v6 row_bcast:15 row_mask:0xf bank_mask:0xf
	v_mov_b32_dpp v8, v7 row_bcast:15 row_mask:0xf bank_mask:0xf
	v_cmp_eq_u32_e32 vcc, 0, v7
	v_and_b32_e32 v11, 16, v19
	v_cndmask_b32_e32 v9, 0, v9, vcc
	v_and_b32_e32 v8, v10, v8
	v_add_u16_e32 v9, v9, v6
	v_add_u32_e32 v7, v8, v7
	v_cmp_eq_u32_e32 vcc, 0, v11
	v_cndmask_b32_e32 v8, v9, v6, vcc
	v_mov_b32_dpp v6, v7 row_bcast:31 row_mask:0xf bank_mask:0xf
	v_cmp_eq_u32_e32 vcc, 0, v7
	v_cmp_lt_u32_e64 s[26:27], 31, v19
	v_mov_b32_dpp v9, v8 row_bcast:31 row_mask:0xf bank_mask:0xf
	v_cndmask_b32_e64 v6, 0, v6, s[26:27]
	s_and_b64 vcc, s[26:27], vcc
	v_add_u32_e32 v6, v6, v7
	v_cndmask_b32_e32 v7, 0, v9, vcc
	v_add_u16_e32 v7, v7, v8
	v_cmp_eq_u32_e32 vcc, v81, v0
	v_lshlrev_b32_e32 v8, 3, v80
	s_and_saveexec_b64 s[26:27], vcc
	s_cbranch_execz .LBB644_88
; %bb.87:
	ds_write_b32 v8, v6 offset:1040
	ds_write_b16 v8, v7 offset:1044
.LBB644_88:
	s_or_b64 exec, exec, s[26:27]
	v_cmp_gt_u32_e32 vcc, 4, v0
	s_waitcnt lgkmcnt(0)
	s_barrier
	s_and_saveexec_b64 s[38:39], vcc
	s_cbranch_execz .LBB644_90
; %bb.89:
	v_lshlrev_b32_e32 v9, 3, v0
	ds_read_b64 v[10:11], v9 offset:1040
	v_and_b32_e32 v12, 3, v19
	s_mov_b32 s7, 0xffff0000
	v_cmp_lt_u32_e64 s[26:27], 1, v12
	s_waitcnt lgkmcnt(0)
	v_mov_b32_dpp v18, v11 row_shr:1 row_mask:0xf bank_mask:0xf
	v_cmp_eq_u32_e32 vcc, 0, v10
	v_mov_b32_dpp v13, v10 row_shr:1 row_mask:0xf bank_mask:0xf
	v_cndmask_b32_e32 v18, 0, v18, vcc
	v_cmp_eq_u32_e32 vcc, 0, v12
	v_add_u16_e32 v18, v18, v11
	v_cndmask_b32_e64 v13, v13, 0, vcc
	v_and_or_b32 v20, v11, s7, v18
	v_add_u32_e32 v10, v13, v10
	v_cndmask_b32_e32 v13, v18, v11, vcc
	v_cndmask_b32_e32 v11, v20, v11, vcc
	v_mov_b32_dpp v18, v10 row_shr:2 row_mask:0xf bank_mask:0xf
	v_cmp_eq_u32_e32 vcc, 0, v10
	v_mov_b32_dpp v11, v11 row_shr:2 row_mask:0xf bank_mask:0xf
	v_cndmask_b32_e64 v12, 0, v18, s[26:27]
	s_and_b64 vcc, s[26:27], vcc
	v_add_u32_e32 v10, v12, v10
	v_cndmask_b32_e32 v11, 0, v11, vcc
	v_add_u16_e32 v11, v13, v11
	ds_write_b32 v9, v10 offset:1040
	ds_write_b16 v9, v11 offset:1044
.LBB644_90:
	s_or_b64 exec, exec, s[38:39]
	v_cmp_gt_u32_e32 vcc, 64, v0
	v_cmp_lt_u32_e64 s[26:27], 63, v0
	v_mov_b32_e32 v22, 0
	v_mov_b32_e32 v23, 0
	s_waitcnt lgkmcnt(0)
	s_barrier
	s_and_saveexec_b64 s[38:39], s[26:27]
	s_cbranch_execz .LBB644_92
; %bb.91:
	ds_read_b32 v22, v8 offset:1032
	ds_read_u16 v23, v8 offset:1036
	v_cmp_eq_u32_e64 s[26:27], 0, v6
	s_waitcnt lgkmcnt(1)
	v_add_u32_e32 v8, v22, v6
	s_waitcnt lgkmcnt(0)
	v_cndmask_b32_e64 v6, 0, v23, s[26:27]
	v_add_u16_e32 v7, v6, v7
	v_mov_b32_e32 v6, v8
.LBB644_92:
	s_or_b64 exec, exec, s[38:39]
	v_add_u32_e32 v8, -1, v19
	v_and_b32_e32 v9, 64, v19
	v_cmp_lt_i32_e64 s[26:27], v8, v9
	v_cndmask_b32_e64 v8, v8, v19, s[26:27]
	v_and_b32_e32 v7, 0xffff, v7
	v_lshlrev_b32_e32 v8, 2, v8
	ds_bpermute_b32 v24, v8, v6
	ds_bpermute_b32 v25, v8, v7
	v_cmp_eq_u32_e64 s[26:27], 0, v19
	s_and_saveexec_b64 s[38:39], vcc
	s_cbranch_execz .LBB644_115
; %bb.93:
	v_mov_b32_e32 v9, 0
	ds_read_b64 v[6:7], v9 offset:1064
	s_waitcnt lgkmcnt(0)
	v_readfirstlane_b32 s7, v7
	s_and_saveexec_b64 s[40:41], s[26:27]
	s_cbranch_execz .LBB644_95
; %bb.94:
	s_add_i32 s46, s6, 64
	s_mov_b32 s47, 0
	s_lshl_b64 s[48:49], s[46:47], 4
	s_add_u32 s48, s44, s48
	s_addc_u32 s49, s45, s49
	s_and_b32 s51, s7, 0xff000000
	s_mov_b32 s50, s47
	s_and_b32 s57, s7, 0xff0000
	s_mov_b32 s56, s47
	s_or_b64 s[50:51], s[56:57], s[50:51]
	s_and_b32 s57, s7, 0xff00
	s_or_b64 s[50:51], s[50:51], s[56:57]
	s_and_b32 s57, s7, 0xff
	s_or_b64 s[46:47], s[50:51], s[56:57]
	v_mov_b32_e32 v7, s47
	v_mov_b32_e32 v8, 1
	v_pk_mov_b32 v[10:11], s[48:49], s[48:49] op_sel:[0,1]
	;;#ASMSTART
	global_store_dwordx4 v[10:11], v[6:9] off	
s_waitcnt vmcnt(0)
	;;#ASMEND
.LBB644_95:
	s_or_b64 exec, exec, s[40:41]
	v_xad_u32 v18, v19, -1, s6
	v_add_u32_e32 v8, 64, v18
	v_lshlrev_b64 v[10:11], 4, v[8:9]
	v_mov_b32_e32 v7, s45
	v_add_co_u32_e32 v20, vcc, s44, v10
	v_addc_co_u32_e32 v21, vcc, v7, v11, vcc
	;;#ASMSTART
	global_load_dwordx4 v[10:13], v[20:21] off glc	
s_waitcnt vmcnt(0)
	;;#ASMEND
	v_and_b32_e32 v7, 0xffffff, v10
	v_and_b32_e32 v8, 0xff000000, v10
	v_or_b32_e32 v7, v7, v8
	v_and_b32_e32 v8, 0xff, v11
	v_and_b32_e32 v10, 0xff00, v11
	v_or3_b32 v11, 0, v8, v10
	v_or3_b32 v10, v7, 0, 0
	v_cmp_eq_u16_sdwa s[46:47], v12, v9 src0_sel:BYTE_0 src1_sel:DWORD
	s_and_saveexec_b64 s[40:41], s[46:47]
	s_cbranch_execz .LBB644_101
; %bb.96:
	s_mov_b32 s48, 1
	s_mov_b64 s[46:47], 0
	v_mov_b32_e32 v7, 0
.LBB644_97:                             ; =>This Loop Header: Depth=1
                                        ;     Child Loop BB644_98 Depth 2
	s_max_u32 s49, s48, 1
.LBB644_98:                             ;   Parent Loop BB644_97 Depth=1
                                        ; =>  This Inner Loop Header: Depth=2
	s_add_i32 s49, s49, -1
	s_cmp_eq_u32 s49, 0
	s_sleep 1
	s_cbranch_scc0 .LBB644_98
; %bb.99:                               ;   in Loop: Header=BB644_97 Depth=1
	s_cmp_lt_u32 s48, 32
	s_cselect_b64 s[50:51], -1, 0
	s_cmp_lg_u64 s[50:51], 0
	s_addc_u32 s48, s48, 0
	;;#ASMSTART
	global_load_dwordx4 v[10:13], v[20:21] off glc	
s_waitcnt vmcnt(0)
	;;#ASMEND
	v_cmp_ne_u16_sdwa s[50:51], v12, v7 src0_sel:BYTE_0 src1_sel:DWORD
	s_or_b64 s[46:47], s[50:51], s[46:47]
	s_andn2_b64 exec, exec, s[46:47]
	s_cbranch_execnz .LBB644_97
; %bb.100:
	s_or_b64 exec, exec, s[46:47]
	v_and_b32_e32 v11, 0xffff, v11
.LBB644_101:
	s_or_b64 exec, exec, s[40:41]
	v_mov_b32_e32 v7, 2
	v_and_b32_e32 v26, 63, v19
	v_cmp_eq_u16_sdwa s[40:41], v12, v7 src0_sel:BYTE_0 src1_sel:DWORD
	v_lshlrev_b64 v[8:9], v19, -1
	v_cmp_ne_u32_e32 vcc, 63, v26
	v_and_b32_e32 v13, s41, v9
	v_addc_co_u32_e32 v21, vcc, 0, v19, vcc
	v_or_b32_e32 v13, 0x80000000, v13
	v_lshlrev_b32_e32 v27, 2, v21
	v_and_b32_e32 v20, s40, v8
	v_ffbl_b32_e32 v13, v13
	ds_bpermute_b32 v21, v27, v11
	v_add_u32_e32 v13, 32, v13
	v_ffbl_b32_e32 v20, v20
	v_min_u32_e32 v13, v20, v13
	ds_bpermute_b32 v20, v27, v10
	v_cmp_eq_u32_e32 vcc, 0, v10
	s_waitcnt lgkmcnt(1)
	v_cndmask_b32_e32 v21, 0, v21, vcc
	v_add_u16_e32 v21, v21, v11
	v_cmp_lt_u32_e32 vcc, v26, v13
	v_cndmask_b32_e32 v11, v11, v21, vcc
	s_waitcnt lgkmcnt(0)
	v_cndmask_b32_e32 v20, 0, v20, vcc
	v_cmp_gt_u32_e32 vcc, 62, v26
	v_cndmask_b32_e64 v21, 0, 1, vcc
	v_lshlrev_b32_e32 v21, 1, v21
	v_add_lshl_u32 v28, v21, v19, 2
	ds_bpermute_b32 v21, v28, v11
	v_add_u32_e32 v10, v20, v10
	ds_bpermute_b32 v20, v28, v10
	v_cmp_eq_u32_e32 vcc, 0, v10
	v_add_u32_e32 v29, 2, v26
	s_waitcnt lgkmcnt(1)
	v_cndmask_b32_e32 v21, 0, v21, vcc
	v_add_u16_e32 v21, v21, v11
	v_cmp_gt_u32_e32 vcc, v29, v13
	v_cndmask_b32_e32 v11, v21, v11, vcc
	s_waitcnt lgkmcnt(0)
	v_cndmask_b32_e64 v20, v20, 0, vcc
	v_cmp_gt_u32_e32 vcc, 60, v26
	v_cndmask_b32_e64 v21, 0, 1, vcc
	v_lshlrev_b32_e32 v21, 2, v21
	v_add_lshl_u32 v30, v21, v19, 2
	ds_bpermute_b32 v21, v30, v11
	v_add_u32_e32 v10, v10, v20
	ds_bpermute_b32 v20, v30, v10
	v_cmp_eq_u32_e32 vcc, 0, v10
	v_add_u32_e32 v31, 4, v26
	s_waitcnt lgkmcnt(1)
	v_cndmask_b32_e32 v21, 0, v21, vcc
	v_add_u16_e32 v21, v11, v21
	v_cmp_gt_u32_e32 vcc, v31, v13
	v_cndmask_b32_e32 v11, v21, v11, vcc
	s_waitcnt lgkmcnt(0)
	v_cndmask_b32_e64 v20, v20, 0, vcc
	;; [unrolled: 16-line block ×4, first 2 shown]
	v_cmp_gt_u32_e32 vcc, 32, v26
	v_cndmask_b32_e64 v21, 0, 1, vcc
	v_lshlrev_b32_e32 v21, 5, v21
	v_add_lshl_u32 v38, v21, v19, 2
	ds_bpermute_b32 v19, v38, v11
	v_add_u32_e32 v10, v10, v20
	ds_bpermute_b32 v20, v38, v10
	v_add_u32_e32 v39, 32, v26
	v_cmp_eq_u32_e32 vcc, 0, v10
	s_waitcnt lgkmcnt(1)
	v_cndmask_b32_e32 v19, 0, v19, vcc
	v_cmp_gt_u32_e32 vcc, v39, v13
	v_cndmask_b32_e64 v13, v19, 0, vcc
	v_add_u16_e32 v11, v11, v13
	s_waitcnt lgkmcnt(0)
	v_cndmask_b32_e64 v13, v20, 0, vcc
	v_add_u32_e32 v10, v13, v10
	v_mov_b32_e32 v19, 0
	s_branch .LBB644_103
.LBB644_102:                            ;   in Loop: Header=BB644_103 Depth=1
	s_or_b64 exec, exec, s[40:41]
	v_cmp_eq_u16_sdwa s[40:41], v12, v7 src0_sel:BYTE_0 src1_sel:DWORD
	ds_bpermute_b32 v21, v27, v11
	v_and_b32_e32 v13, s41, v9
	v_or_b32_e32 v13, 0x80000000, v13
	v_and_b32_e32 v20, s40, v8
	v_ffbl_b32_e32 v13, v13
	v_add_u32_e32 v13, 32, v13
	v_ffbl_b32_e32 v20, v20
	v_cmp_eq_u32_e32 vcc, 0, v10
	v_min_u32_e32 v13, v20, v13
	ds_bpermute_b32 v20, v27, v10
	s_waitcnt lgkmcnt(1)
	v_cndmask_b32_e32 v21, 0, v21, vcc
	v_add_u16_e32 v21, v21, v11
	v_cmp_lt_u32_e32 vcc, v26, v13
	v_cndmask_b32_e32 v11, v11, v21, vcc
	ds_bpermute_b32 v21, v28, v11
	s_waitcnt lgkmcnt(1)
	v_cndmask_b32_e32 v20, 0, v20, vcc
	v_add_u32_e32 v10, v20, v10
	v_cmp_eq_u32_e32 vcc, 0, v10
	ds_bpermute_b32 v20, v28, v10
	s_waitcnt lgkmcnt(1)
	v_cndmask_b32_e32 v21, 0, v21, vcc
	v_add_u16_e32 v21, v21, v11
	v_cmp_gt_u32_e32 vcc, v29, v13
	v_cndmask_b32_e32 v11, v21, v11, vcc
	ds_bpermute_b32 v21, v30, v11
	s_waitcnt lgkmcnt(1)
	v_cndmask_b32_e64 v20, v20, 0, vcc
	v_add_u32_e32 v10, v10, v20
	v_cmp_eq_u32_e32 vcc, 0, v10
	ds_bpermute_b32 v20, v30, v10
	s_waitcnt lgkmcnt(1)
	v_cndmask_b32_e32 v21, 0, v21, vcc
	v_add_u16_e32 v21, v11, v21
	v_cmp_gt_u32_e32 vcc, v31, v13
	v_cndmask_b32_e32 v11, v21, v11, vcc
	ds_bpermute_b32 v21, v32, v11
	s_waitcnt lgkmcnt(1)
	v_cndmask_b32_e64 v20, v20, 0, vcc
	v_add_u32_e32 v10, v10, v20
	ds_bpermute_b32 v20, v32, v10
	v_cmp_eq_u32_e32 vcc, 0, v10
	s_waitcnt lgkmcnt(1)
	v_cndmask_b32_e32 v21, 0, v21, vcc
	v_add_u16_e32 v21, v11, v21
	v_cmp_gt_u32_e32 vcc, v33, v13
	v_cndmask_b32_e32 v11, v21, v11, vcc
	ds_bpermute_b32 v21, v35, v11
	s_waitcnt lgkmcnt(1)
	v_cndmask_b32_e64 v20, v20, 0, vcc
	v_add_u32_e32 v10, v10, v20
	ds_bpermute_b32 v20, v35, v10
	v_cmp_eq_u32_e32 vcc, 0, v10
	;; [unrolled: 11-line block ×3, first 2 shown]
	s_waitcnt lgkmcnt(1)
	v_cndmask_b32_e32 v21, 0, v21, vcc
	v_cmp_gt_u32_e32 vcc, v39, v13
	v_cndmask_b32_e64 v13, v21, 0, vcc
	v_add_u16_e32 v11, v11, v13
	s_waitcnt lgkmcnt(0)
	v_cndmask_b32_e64 v13, v20, 0, vcc
	v_cmp_eq_u32_e32 vcc, 0, v36
	v_cndmask_b32_e32 v11, 0, v11, vcc
	v_subrev_u32_e32 v18, 64, v18
	v_add3_u32 v10, v10, v36, v13
	v_add_u16_e32 v11, v11, v34
.LBB644_103:                            ; =>This Loop Header: Depth=1
                                        ;     Child Loop BB644_106 Depth 2
                                        ;       Child Loop BB644_107 Depth 3
	v_cmp_ne_u16_sdwa s[40:41], v12, v7 src0_sel:BYTE_0 src1_sel:DWORD
	v_mov_b32_e32 v34, v11
	v_cndmask_b32_e64 v11, 0, 1, s[40:41]
	;;#ASMSTART
	;;#ASMEND
	v_cmp_ne_u32_e32 vcc, 0, v11
	s_cmp_lg_u64 vcc, exec
	v_mov_b32_e32 v36, v10
	s_cbranch_scc1 .LBB644_110
; %bb.104:                              ;   in Loop: Header=BB644_103 Depth=1
	v_lshlrev_b64 v[10:11], 4, v[18:19]
	v_mov_b32_e32 v12, s45
	v_add_co_u32_e32 v20, vcc, s44, v10
	v_addc_co_u32_e32 v21, vcc, v12, v11, vcc
	;;#ASMSTART
	global_load_dwordx4 v[10:13], v[20:21] off glc	
s_waitcnt vmcnt(0)
	;;#ASMEND
	v_and_b32_e32 v13, 0xffffff, v10
	v_and_b32_e32 v10, 0xff000000, v10
	v_or_b32_e32 v10, v13, v10
	v_and_b32_e32 v13, 0xff, v11
	v_and_b32_e32 v11, 0xff00, v11
	v_or3_b32 v11, 0, v13, v11
	v_or3_b32 v10, v10, 0, 0
	v_cmp_eq_u16_sdwa s[46:47], v12, v19 src0_sel:BYTE_0 src1_sel:DWORD
	s_and_saveexec_b64 s[40:41], s[46:47]
	s_cbranch_execz .LBB644_102
; %bb.105:                              ;   in Loop: Header=BB644_103 Depth=1
	s_mov_b32 s48, 1
	s_mov_b64 s[46:47], 0
.LBB644_106:                            ;   Parent Loop BB644_103 Depth=1
                                        ; =>  This Loop Header: Depth=2
                                        ;       Child Loop BB644_107 Depth 3
	s_max_u32 s49, s48, 1
.LBB644_107:                            ;   Parent Loop BB644_103 Depth=1
                                        ;     Parent Loop BB644_106 Depth=2
                                        ; =>    This Inner Loop Header: Depth=3
	s_add_i32 s49, s49, -1
	s_cmp_eq_u32 s49, 0
	s_sleep 1
	s_cbranch_scc0 .LBB644_107
; %bb.108:                              ;   in Loop: Header=BB644_106 Depth=2
	s_cmp_lt_u32 s48, 32
	s_cselect_b64 s[50:51], -1, 0
	s_cmp_lg_u64 s[50:51], 0
	s_addc_u32 s48, s48, 0
	;;#ASMSTART
	global_load_dwordx4 v[10:13], v[20:21] off glc	
s_waitcnt vmcnt(0)
	;;#ASMEND
	v_cmp_ne_u16_sdwa s[50:51], v12, v19 src0_sel:BYTE_0 src1_sel:DWORD
	s_or_b64 s[46:47], s[50:51], s[46:47]
	s_andn2_b64 exec, exec, s[46:47]
	s_cbranch_execnz .LBB644_106
; %bb.109:                              ;   in Loop: Header=BB644_103 Depth=1
	s_or_b64 exec, exec, s[46:47]
	v_and_b32_e32 v11, 0xffff, v11
	s_branch .LBB644_102
.LBB644_110:                            ;   in Loop: Header=BB644_103 Depth=1
                                        ; implicit-def: $vgpr11
                                        ; implicit-def: $vgpr10
                                        ; implicit-def: $vgpr12
	s_cbranch_execz .LBB644_103
; %bb.111:
	s_and_saveexec_b64 s[40:41], s[26:27]
	s_cbranch_execz .LBB644_113
; %bb.112:
	s_mov_b32 s47, 0
	v_cmp_eq_u32_e32 vcc, 0, v6
	s_add_i32 s46, s6, 64
	v_cndmask_b32_e32 v7, 0, v34, vcc
	s_lshl_b64 s[46:47], s[46:47], 4
	v_add_u16_e32 v7, s7, v7
	s_add_u32 s46, s44, s46
	s_addc_u32 s47, s45, s47
	v_and_b32_e32 v9, 0xff00, v7
	v_add_u32_e32 v8, v36, v6
	v_mov_b32_e32 v11, 0
	v_or_b32_sdwa v9, v9, v7 dst_sel:DWORD dst_unused:UNUSED_PAD src0_sel:DWORD src1_sel:BYTE_0
	v_mov_b32_e32 v10, 2
	v_pk_mov_b32 v[12:13], s[46:47], s[46:47] op_sel:[0,1]
	;;#ASMSTART
	global_store_dwordx4 v[12:13], v[8:11] off	
s_waitcnt vmcnt(0)
	;;#ASMEND
	v_mov_b32_e32 v7, s7
	s_movk_i32 s6, 0x400
	ds_write_b16 v11, v7 offset:1028
	v_add_u32_e64 v7, s6, 0
	ds_write2_b32 v7, v6, v36 offset1:2
	ds_write_b16 v11, v34 offset:1036
.LBB644_113:
	s_or_b64 exec, exec, s[40:41]
	v_cmp_eq_u32_e32 vcc, 0, v0
	s_and_b64 exec, exec, vcc
	s_cbranch_execz .LBB644_115
; %bb.114:
	v_mov_b32_e32 v6, 0
	ds_write_b32 v6, v36 offset:1064
	ds_write_b16 v6, v34 offset:1068
.LBB644_115:
	s_or_b64 exec, exec, s[38:39]
	v_mov_b32_e32 v8, 0
	s_waitcnt lgkmcnt(0)
	s_barrier
	ds_read_b64 v[6:7], v8 offset:1064
	v_cndmask_b32_e64 v10, v24, v22, s[26:27]
	v_cmp_eq_u32_e32 vcc, 0, v10
	v_cndmask_b32_e64 v9, v25, v23, s[26:27]
	s_waitcnt lgkmcnt(0)
	v_cndmask_b32_e32 v11, 0, v7, vcc
	v_add_u16_e32 v9, v11, v9
	v_cmp_eq_u32_e32 vcc, 0, v0
	v_cndmask_b32_e32 v7, v9, v7, vcc
	v_cndmask_b32_e64 v9, v10, 0, vcc
	v_cmp_eq_u32_e32 vcc, 0, v68
	v_add_u32_e32 v48, v6, v9
	v_cndmask_b32_e32 v6, 0, v7, vcc
	v_add_u16_e32 v47, v6, v77
	v_cndmask_b32_e64 v6, 0, v47, s[24:25]
	v_add_u16_e32 v45, v6, v76
	v_cndmask_b32_e64 v6, 0, v45, s[22:23]
	;; [unrolled: 2-line block ×8, first 2 shown]
	v_add_u32_e32 v46, v48, v68
	v_add_u16_e32 v31, v6, v71
	v_add_u32_e32 v44, v46, v66
	v_cndmask_b32_e64 v6, 0, v31, s[8:9]
	v_add_u32_e32 v42, v44, v65
	v_add_u16_e32 v29, v6, v53
	v_add_u32_e32 v40, v42, v64
	v_cndmask_b32_e64 v6, 0, v29, s[28:29]
	;; [unrolled: 4-line block ×3, first 2 shown]
	v_and_b32_e32 v49, 0xffff, v7
	v_add_u32_e32 v34, v36, v61
	v_add_u16_e32 v25, v6, v51
	s_barrier
	ds_read_b128 v[6:9], v8 offset:1024
	v_add_u32_e32 v32, v34, v60
	v_add_u32_e32 v30, v32, v59
	;; [unrolled: 1-line block ×4, first 2 shown]
	v_cndmask_b32_e64 v10, 0, v25, s[2:3]
	v_add_u32_e32 v24, v26, v56
	v_add_u16_e32 v23, v10, v52
	s_waitcnt lgkmcnt(0)
	v_cmp_eq_u32_e32 vcc, 0, v6
	v_add_u32_e32 v22, v24, v55
	v_cndmask_b32_e64 v10, 0, v23, s[0:1]
	v_cndmask_b32_e32 v9, 0, v9, vcc
	v_add_u32_e32 v20, v22, v54
	v_add_u16_e32 v21, v10, v50
	v_add_u32_e32 v67, v9, v7
	s_branch .LBB644_128
.LBB644_116:
                                        ; implicit-def: $vgpr6
                                        ; implicit-def: $vgpr67
                                        ; implicit-def: $vgpr48_vgpr49
                                        ; implicit-def: $vgpr46_vgpr47
                                        ; implicit-def: $vgpr44_vgpr45
                                        ; implicit-def: $vgpr42_vgpr43
                                        ; implicit-def: $vgpr40_vgpr41
                                        ; implicit-def: $vgpr38_vgpr39
                                        ; implicit-def: $vgpr36_vgpr37
                                        ; implicit-def: $vgpr34_vgpr35
                                        ; implicit-def: $vgpr32_vgpr33
                                        ; implicit-def: $vgpr30_vgpr31
                                        ; implicit-def: $vgpr28_vgpr29
                                        ; implicit-def: $vgpr26_vgpr27
                                        ; implicit-def: $vgpr24_vgpr25
                                        ; implicit-def: $vgpr22_vgpr23
                                        ; implicit-def: $vgpr20_vgpr21
	s_cbranch_execz .LBB644_128
; %bb.117:
	s_and_b64 s[0:1], s[30:31], exec
	s_cselect_b32 s1, 0, s61
	s_cselect_b32 s0, 0, s60
	s_cmp_eq_u64 s[0:1], 0
	v_mov_b32_e32 v7, v77
	s_cbranch_scc1 .LBB644_119
; %bb.118:
	v_mov_b32_e32 v6, 0
	global_load_ushort v7, v6, s[0:1]
.LBB644_119:
	v_cmp_eq_u32_e64 s[0:1], 0, v66
	v_cndmask_b32_e64 v6, 0, v77, s[0:1]
	v_add_u16_e32 v6, v6, v76
	v_cmp_eq_u32_e64 s[2:3], 0, v65
	v_cndmask_b32_e64 v6, 0, v6, s[2:3]
	v_add_u16_e32 v6, v6, v78
	;; [unrolled: 3-line block ×11, first 2 shown]
	v_cmp_eq_u32_e64 s[22:23], 0, v55
	v_cndmask_b32_e64 v6, 0, v6, s[22:23]
	v_add3_u32 v8, v83, v62, v61
	v_add_u16_e32 v6, v6, v52
	v_cmp_eq_u32_e32 vcc, 0, v54
	v_add3_u32 v8, v8, v60, v59
	v_cndmask_b32_e32 v6, 0, v6, vcc
	v_add3_u32 v8, v8, v58, v57
	v_add_u16_e32 v6, v6, v50
	v_cmp_eq_u32_e64 s[24:25], 0, v17
	v_add3_u32 v8, v8, v56, v55
	v_cndmask_b32_e64 v6, 0, v6, s[24:25]
	v_add3_u32 v8, v8, v54, v17
	v_add_u16_e32 v9, v6, v79
	v_mbcnt_hi_u32_b32 v6, -1, v82
	v_and_b32_e32 v10, 15, v6
	v_mov_b32_dpp v12, v9 row_shr:1 row_mask:0xf bank_mask:0xf
	v_cmp_eq_u32_e64 s[24:25], 0, v8
	v_mov_b32_dpp v11, v8 row_shr:1 row_mask:0xf bank_mask:0xf
	v_cndmask_b32_e64 v12, 0, v12, s[24:25]
	v_cmp_eq_u32_e64 s[24:25], 0, v10
	v_add_u16_e32 v12, v12, v9
	v_cndmask_b32_e64 v11, v11, 0, s[24:25]
	v_add_u32_e32 v8, v11, v8
	v_cndmask_b32_e64 v9, v12, v9, s[24:25]
	v_cmp_eq_u32_e64 s[24:25], 0, v8
	v_mov_b32_dpp v11, v8 row_shr:2 row_mask:0xf bank_mask:0xf
	v_mov_b32_dpp v12, v9 row_shr:2 row_mask:0xf bank_mask:0xf
	v_cndmask_b32_e64 v12, 0, v12, s[24:25]
	v_cmp_lt_u32_e64 s[24:25], 1, v10
	v_add_u16_e32 v12, v12, v9
	v_cndmask_b32_e64 v11, 0, v11, s[24:25]
	v_cndmask_b32_e64 v9, v9, v12, s[24:25]
	v_add_u32_e32 v8, v8, v11
	v_cmp_eq_u32_e64 s[24:25], 0, v8
	v_mov_b32_dpp v12, v9 row_shr:4 row_mask:0xf bank_mask:0xf
	v_mov_b32_dpp v11, v8 row_shr:4 row_mask:0xf bank_mask:0xf
	v_cndmask_b32_e64 v12, 0, v12, s[24:25]
	v_cmp_lt_u32_e64 s[24:25], 3, v10
	v_add_u16_e32 v12, v12, v9
	v_cndmask_b32_e64 v11, 0, v11, s[24:25]
	v_cndmask_b32_e64 v9, v9, v12, s[24:25]
	v_add_u32_e32 v8, v11, v8
	;; [unrolled: 9-line block ×3, first 2 shown]
	v_bfe_i32 v12, v6, 4, 1
	v_mov_b32_dpp v11, v9 row_bcast:15 row_mask:0xf bank_mask:0xf
	v_mov_b32_dpp v10, v8 row_bcast:15 row_mask:0xf bank_mask:0xf
	v_cmp_eq_u32_e64 s[24:25], 0, v8
	v_and_b32_e32 v13, 16, v6
	v_cndmask_b32_e64 v11, 0, v11, s[24:25]
	v_and_b32_e32 v10, v12, v10
	v_add_u16_e32 v11, v11, v9
	v_add_u32_e32 v8, v10, v8
	v_cmp_eq_u32_e64 s[24:25], 0, v13
	v_cndmask_b32_e64 v9, v11, v9, s[24:25]
	v_mov_b32_dpp v10, v8 row_bcast:31 row_mask:0xf bank_mask:0xf
	v_cmp_eq_u32_e64 s[24:25], 0, v8
	v_cmp_lt_u32_e64 s[26:27], 31, v6
	v_mov_b32_dpp v11, v9 row_bcast:31 row_mask:0xf bank_mask:0xf
	v_cndmask_b32_e64 v10, 0, v10, s[26:27]
	s_and_b64 s[24:25], s[26:27], s[24:25]
	v_add_u32_e32 v8, v10, v8
	v_cndmask_b32_e64 v10, 0, v11, s[24:25]
	v_add_u16_e32 v9, v10, v9
	v_cmp_eq_u32_e64 s[24:25], v81, v0
	s_and_saveexec_b64 s[26:27], s[24:25]
	s_cbranch_execz .LBB644_121
; %bb.120:
	v_lshlrev_b32_e32 v10, 3, v80
	ds_write_b32 v10, v8 offset:1040
	ds_write_b16 v10, v9 offset:1044
.LBB644_121:
	s_or_b64 exec, exec, s[26:27]
	v_cmp_gt_u32_e64 s[24:25], 4, v0
	s_waitcnt lgkmcnt(0)
	s_barrier
	s_and_saveexec_b64 s[28:29], s[24:25]
	s_cbranch_execz .LBB644_123
; %bb.122:
	v_lshlrev_b32_e32 v12, 3, v0
	ds_read_b64 v[10:11], v12 offset:1040
	v_and_b32_e32 v13, 3, v6
	s_mov_b32 s26, 0xffff0000
	s_waitcnt lgkmcnt(0)
	v_mov_b32_dpp v19, v11 row_shr:1 row_mask:0xf bank_mask:0xf
	v_cmp_eq_u32_e64 s[24:25], 0, v10
	v_mov_b32_dpp v18, v10 row_shr:1 row_mask:0xf bank_mask:0xf
	v_cndmask_b32_e64 v19, 0, v19, s[24:25]
	v_cmp_eq_u32_e64 s[24:25], 0, v13
	v_add_u16_e32 v19, v19, v11
	v_cndmask_b32_e64 v18, v18, 0, s[24:25]
	v_and_or_b32 v20, v11, s26, v19
	v_add_u32_e32 v10, v18, v10
	v_cndmask_b32_e64 v18, v19, v11, s[24:25]
	v_cndmask_b32_e64 v11, v20, v11, s[24:25]
	v_mov_b32_dpp v19, v10 row_shr:2 row_mask:0xf bank_mask:0xf
	v_cmp_eq_u32_e64 s[24:25], 0, v10
	v_cmp_lt_u32_e64 s[26:27], 1, v13
	v_mov_b32_dpp v11, v11 row_shr:2 row_mask:0xf bank_mask:0xf
	v_cndmask_b32_e64 v13, 0, v19, s[26:27]
	s_and_b64 s[24:25], s[26:27], s[24:25]
	v_add_u32_e32 v10, v13, v10
	v_cndmask_b32_e64 v11, 0, v11, s[24:25]
	v_add_u16_e32 v11, v18, v11
	ds_write_b32 v12, v10 offset:1040
	ds_write_b16 v12, v11 offset:1044
.LBB644_123:
	s_or_b64 exec, exec, s[28:29]
	v_cmp_lt_u32_e64 s[24:25], 63, v0
	v_mov_b32_e32 v10, 0
	v_mov_b32_e32 v11, 0
	s_waitcnt vmcnt(0)
	v_mov_b32_e32 v12, v7
	s_waitcnt lgkmcnt(0)
	s_barrier
	s_and_saveexec_b64 s[26:27], s[24:25]
	s_cbranch_execz .LBB644_125
; %bb.124:
	v_lshlrev_b32_e32 v12, 3, v80
	ds_read_b32 v11, v12 offset:1032
	ds_read_u16 v12, v12 offset:1036
	s_waitcnt lgkmcnt(1)
	v_cmp_eq_u32_e64 s[24:25], 0, v11
	v_cndmask_b32_e64 v13, 0, v7, s[24:25]
	s_waitcnt lgkmcnt(0)
	v_add_u16_e32 v12, v13, v12
.LBB644_125:
	s_or_b64 exec, exec, s[26:27]
	v_cmp_eq_u32_e64 s[24:25], 0, v8
	v_add_u32_e32 v13, v11, v8
	v_cndmask_b32_e64 v8, 0, v12, s[24:25]
	v_add_u16_e32 v8, v8, v9
	v_add_u32_e32 v9, -1, v6
	v_and_b32_e32 v18, 64, v6
	v_cmp_lt_i32_e64 s[24:25], v9, v18
	v_cndmask_b32_e64 v9, v9, v6, s[24:25]
	v_lshlrev_b32_e32 v9, 2, v9
	ds_bpermute_b32 v13, v9, v13
	ds_bpermute_b32 v8, v9, v8
	v_cmp_eq_u32_e64 s[24:25], 0, v6
	v_cmp_eq_u32_e64 s[26:27], 0, v68
	s_waitcnt lgkmcnt(1)
	v_cndmask_b32_e64 v6, v13, v11, s[24:25]
	s_waitcnt lgkmcnt(0)
	v_cndmask_b32_e64 v8, v8, v12, s[24:25]
	v_cmp_eq_u32_e64 s[24:25], 0, v0
	v_cndmask_b32_e64 v8, v8, v7, s[24:25]
	v_cndmask_b32_e64 v48, v6, 0, s[24:25]
	;; [unrolled: 1-line block ×3, first 2 shown]
	v_add_u16_e32 v47, v6, v77
	v_cndmask_b32_e64 v6, 0, v47, s[0:1]
	v_add_u16_e32 v45, v6, v76
	v_cndmask_b32_e64 v6, 0, v45, s[2:3]
	;; [unrolled: 2-line block ×9, first 2 shown]
	v_add_u32_e32 v46, v48, v68
	v_add_u16_e32 v29, v6, v53
	v_add_u32_e32 v44, v46, v66
	v_cndmask_b32_e64 v6, 0, v29, s[18:19]
	v_add_u32_e32 v42, v44, v65
	v_add_u16_e32 v27, v6, v69
	v_add_u32_e32 v40, v42, v64
	v_cndmask_b32_e64 v6, 0, v27, s[20:21]
	;; [unrolled: 4-line block ×3, first 2 shown]
	v_add_u32_e32 v34, v36, v61
	v_add_u16_e32 v23, v6, v52
	ds_read_b32 v6, v10 offset:1064
	v_add_u32_e32 v32, v34, v60
	v_and_b32_e32 v49, 0xffff, v8
	ds_read_u16 v8, v10 offset:1068
	v_add_u32_e32 v30, v32, v59
	v_add_u32_e32 v28, v30, v58
	v_add_u32_e32 v26, v28, v57
	v_add_u32_e32 v24, v26, v56
	v_cndmask_b32_e32 v9, 0, v23, vcc
	s_waitcnt lgkmcnt(1)
	v_cmp_eq_u32_e32 vcc, 0, v6
	v_add_u32_e32 v22, v24, v55
	v_cndmask_b32_e32 v7, 0, v7, vcc
	v_add_u32_e32 v20, v22, v54
	v_add_u16_e32 v21, v9, v50
	s_waitcnt lgkmcnt(0)
	v_add_u16_e32 v67, v7, v8
	s_and_saveexec_b64 s[0:1], s[24:25]
	s_cbranch_execz .LBB644_127
; %bb.126:
	s_add_u32 s2, s44, 0x400
	s_addc_u32 s3, s45, 0
	v_and_b32_e32 v7, 0xff00, v67
	v_mov_b32_e32 v9, 0
	v_or_b32_sdwa v7, v7, v67 dst_sel:DWORD dst_unused:UNUSED_PAD src0_sel:DWORD src1_sel:BYTE_0
	v_mov_b32_e32 v8, 2
	v_pk_mov_b32 v[10:11], s[2:3], s[2:3] op_sel:[0,1]
	;;#ASMSTART
	global_store_dwordx4 v[10:11], v[6:9] off	
s_waitcnt vmcnt(0)
	;;#ASMEND
.LBB644_127:
	s_or_b64 exec, exec, s[0:1]
	v_mov_b32_e32 v8, 0
.LBB644_128:
	s_and_b64 s[0:1], s[30:31], exec
	s_cselect_b32 s1, 0, s59
	s_cselect_b32 s0, 0, s58
	s_cmp_eq_u64 s[0:1], 0
	v_pk_mov_b32 v[18:19], 0, 0
	s_barrier
	s_cbranch_scc1 .LBB644_130
; %bb.129:
	v_mov_b32_e32 v7, 0
	global_load_dwordx2 v[18:19], v7, s[0:1]
.LBB644_130:
	s_waitcnt vmcnt(0)
	v_lshlrev_b64 v[50:51], 1, v[18:19]
	v_mov_b32_e32 v7, s43
	v_add_co_u32_e32 v10, vcc, s42, v50
	v_mov_b32_e32 v9, 0
	v_addc_co_u32_e32 v11, vcc, v7, v51, vcc
	v_lshlrev_b64 v[52:53], 1, v[8:9]
	v_add_co_u32_e32 v7, vcc, v10, v52
	v_addc_co_u32_e32 v9, vcc, v11, v53, vcc
	v_cmp_eq_u32_e32 vcc, 0, v68
	v_cndmask_b32_e64 v10, 1, 2, vcc
	v_cmp_eq_u32_e32 vcc, 0, v66
	v_cndmask_b32_e64 v11, 1, 2, vcc
	v_cmp_eq_u32_e32 vcc, 0, v65
	v_and_b32_e32 v10, v11, v10
	v_cndmask_b32_e64 v11, 1, 2, vcc
	v_cmp_eq_u32_e32 vcc, 0, v64
	v_and_b32_e32 v10, v10, v11
	;; [unrolled: 3-line block ×13, first 2 shown]
	v_cndmask_b32_e64 v11, 1, 2, vcc
	s_movk_i32 s30, 0x100
	v_and_b32_e32 v10, v10, v11
	v_cmp_gt_u32_e32 vcc, s30, v6
	v_cmp_ne_u32_e64 s[28:29], 0, v68
	v_cmp_ne_u32_e64 s[26:27], 0, v66
	;; [unrolled: 1-line block ×15, first 2 shown]
	s_mov_b64 s[38:39], -1
	v_cmp_gt_i16_e64 s[30:31], 2, v10
	s_cbranch_vccz .LBB644_137
; %bb.131:
	s_and_saveexec_b64 s[38:39], s[30:31]
	s_cbranch_execz .LBB644_136
; %bb.132:
	v_cmp_ne_u16_e32 vcc, 1, v10
	s_mov_b64 s[40:41], 0
	s_and_saveexec_b64 s[30:31], vcc
	s_xor_b64 s[30:31], exec, s[30:31]
	s_cbranch_execnz .LBB644_193
; %bb.133:
	s_andn2_saveexec_b64 s[30:31], s[30:31]
	s_cbranch_execnz .LBB644_209
.LBB644_134:
	s_or_b64 exec, exec, s[30:31]
	s_and_b64 exec, exec, s[40:41]
	s_cbranch_execz .LBB644_136
.LBB644_135:
	v_sub_u32_e32 v12, v20, v8
	v_mov_b32_e32 v13, 0
	v_lshlrev_b64 v[12:13], 1, v[12:13]
	v_add_co_u32_e32 v12, vcc, v7, v12
	v_addc_co_u32_e32 v13, vcc, v9, v13, vcc
	global_store_short_d16_hi v[12:13], v16, off
.LBB644_136:
	s_or_b64 exec, exec, s[38:39]
	s_mov_b64 s[38:39], 0
.LBB644_137:
	s_and_b64 vcc, exec, s[38:39]
	s_cbranch_vccz .LBB644_159
; %bb.138:
	v_cmp_gt_i16_e32 vcc, 2, v10
	s_and_saveexec_b64 s[30:31], vcc
	s_cbranch_execz .LBB644_143
; %bb.139:
	v_cmp_ne_u16_e32 vcc, 1, v10
	s_mov_b64 s[40:41], 0
	s_and_saveexec_b64 s[38:39], vcc
	s_xor_b64 s[38:39], exec, s[38:39]
	s_cbranch_execnz .LBB644_210
; %bb.140:
	s_andn2_saveexec_b64 s[0:1], s[38:39]
	s_cbranch_execnz .LBB644_226
.LBB644_141:
	s_or_b64 exec, exec, s[0:1]
	s_and_b64 exec, exec, s[40:41]
	s_cbranch_execz .LBB644_143
.LBB644_142:
	v_sub_u32_e32 v1, v20, v8
	v_lshlrev_b32_e32 v1, 1, v1
	ds_write_b16_d16_hi v1, v16
.LBB644_143:
	s_or_b64 exec, exec, s[30:31]
	v_cmp_lt_u32_e32 vcc, v0, v6
	s_waitcnt lgkmcnt(0)
	s_barrier
	s_and_saveexec_b64 s[2:3], vcc
	s_cbranch_execz .LBB644_158
; %bb.144:
	v_xad_u32 v1, v0, -1, v6
	s_movk_i32 s0, 0x1700
	v_cmp_gt_u32_e64 s[4:5], s0, v1
	s_movk_i32 s0, 0x16ff
	v_cmp_lt_u32_e32 vcc, s0, v1
	v_mov_b32_e32 v2, v0
	s_and_saveexec_b64 s[6:7], vcc
	s_cbranch_execz .LBB644_155
; %bb.145:
	v_sub_u32_e32 v2, v0, v6
	v_or_b32_e32 v2, 0xff, v2
	v_cmp_ge_u32_e32 vcc, v2, v0
	s_mov_b64 s[0:1], -1
	v_mov_b32_e32 v2, v0
	s_and_saveexec_b64 s[8:9], vcc
	s_cbranch_execz .LBB644_154
; %bb.146:
	v_lshrrev_b32_e32 v14, 8, v1
	v_or_b32_e32 v3, 0x300, v0
	v_or_b32_e32 v2, 0x200, v0
	v_add_u32_e32 v4, -3, v14
	v_or_b32_e32 v1, 0x100, v0
	v_lshrrev_b32_e32 v5, 2, v4
	v_pk_mov_b32 v[12:13], v[2:3], v[2:3] op_sel:[0,1]
	v_add_u32_e32 v15, 1, v5
	v_cmp_lt_u32_e32 vcc, 11, v4
	v_mov_b32_e32 v70, 0
	v_pk_mov_b32 v[10:11], v[0:1], v[0:1] op_sel:[0,1]
	s_and_saveexec_b64 s[10:11], vcc
	s_cbranch_execz .LBB644_150
; %bb.147:
	v_pk_mov_b32 v[12:13], v[2:3], v[2:3] op_sel:[0,1]
	v_and_b32_e32 v16, 0x7ffffffc, v15
	v_lshlrev_b32_e32 v69, 1, v0
	s_mov_b32 s14, 0
	s_mov_b64 s[12:13], 0
	v_mov_b32_e32 v5, 0
	v_pk_mov_b32 v[10:11], v[0:1], v[0:1] op_sel:[0,1]
.LBB644_148:                            ; =>This Inner Loop Header: Depth=1
	v_mov_b32_e32 v4, v10
	v_lshlrev_b64 v[86:87], 1, v[4:5]
	v_add_u32_e32 v72, 0x400, v11
	v_mov_b32_e32 v73, v5
	v_add_co_u32_e64 v86, s[0:1], v7, v86
	v_lshlrev_b64 v[72:73], 1, v[72:73]
	v_addc_co_u32_e64 v87, s[0:1], v9, v87, s[0:1]
	v_add_u32_e32 v70, 0x400, v12
	v_mov_b32_e32 v71, v5
	v_add_co_u32_e64 v72, s[0:1], v7, v72
	v_lshlrev_b64 v[88:89], 1, v[70:71]
	v_addc_co_u32_e64 v73, s[0:1], v9, v73, s[0:1]
	v_add_u32_e32 v2, 0x400, v13
	v_mov_b32_e32 v3, v5
	v_add_co_u32_e64 v88, s[0:1], v7, v88
	v_add_u32_e32 v16, -4, v16
	v_mov_b32_e32 v4, v11
	v_lshlrev_b64 v[2:3], 1, v[2:3]
	v_addc_co_u32_e64 v89, s[0:1], v9, v89, s[0:1]
	v_add_u32_e32 v78, 0x800, v11
	v_mov_b32_e32 v79, v5
	s_add_i32 s14, s14, 16
	v_cmp_eq_u32_e32 vcc, 0, v16
	v_lshlrev_b64 v[90:91], 1, v[4:5]
	v_add_co_u32_e64 v2, s[0:1], v7, v2
	v_lshlrev_b64 v[78:79], 1, v[78:79]
	v_mov_b32_e32 v4, v12
	v_addc_co_u32_e64 v3, s[0:1], v9, v3, s[0:1]
	s_or_b64 s[12:13], vcc, s[12:13]
	v_add_co_u32_e32 v90, vcc, v7, v90
	v_add_u32_e32 v76, 0x800, v12
	v_mov_b32_e32 v77, v5
	v_add_co_u32_e64 v78, s[0:1], v7, v78
	v_addc_co_u32_e32 v91, vcc, v9, v91, vcc
	v_lshlrev_b64 v[92:93], 1, v[4:5]
	v_lshlrev_b64 v[76:77], 1, v[76:77]
	v_addc_co_u32_e64 v79, s[0:1], v9, v79, s[0:1]
	v_mov_b32_e32 v4, v13
	v_add_co_u32_e32 v92, vcc, v7, v92
	ds_read_u16 v1, v69
	ds_read_u16 v96, v69 offset:512
	ds_read_u16 v97, v69 offset:1024
	;; [unrolled: 1-line block ×7, first 2 shown]
	v_add_u32_e32 v74, 0x800, v13
	v_mov_b32_e32 v75, v5
	v_add_co_u32_e64 v76, s[0:1], v7, v76
	v_addc_co_u32_e32 v93, vcc, v9, v93, vcc
	v_lshlrev_b64 v[94:95], 1, v[4:5]
	v_lshlrev_b64 v[74:75], 1, v[74:75]
	v_addc_co_u32_e64 v77, s[0:1], v9, v77, s[0:1]
	v_add_u32_e32 v4, 0x400, v10
	v_add_co_u32_e32 v94, vcc, v7, v94
	v_add_u32_e32 v84, 0xc00, v11
	v_mov_b32_e32 v85, v5
	ds_read_u16 v103, v69 offset:4096
	ds_read_u16 v104, v69 offset:4608
	ds_read_u16 v105, v69 offset:5120
	ds_read_u16 v106, v69 offset:5632
	ds_read_u16 v107, v69 offset:6144
	ds_read_u16 v108, v69 offset:6656
	ds_read_u16 v109, v69 offset:7168
	ds_read_u16 v110, v69 offset:7680
	v_add_co_u32_e64 v74, s[0:1], v7, v74
	v_addc_co_u32_e32 v95, vcc, v9, v95, vcc
	s_waitcnt lgkmcnt(14)
	global_store_short v[86:87], v1, off
	global_store_short v[90:91], v96, off
	s_waitcnt lgkmcnt(13)
	global_store_short v[92:93], v97, off
	v_lshlrev_b64 v[86:87], 1, v[4:5]
	v_lshlrev_b64 v[84:85], 1, v[84:85]
	v_addc_co_u32_e64 v75, s[0:1], v9, v75, s[0:1]
	v_add_u32_e32 v4, 0x800, v10
	v_add_co_u32_e32 v86, vcc, v7, v86
	v_add_u32_e32 v82, 0xc00, v12
	v_mov_b32_e32 v83, v5
	v_add_co_u32_e64 v84, s[0:1], v7, v84
	v_addc_co_u32_e32 v87, vcc, v9, v87, vcc
	v_lshlrev_b64 v[90:91], 1, v[4:5]
	v_lshlrev_b64 v[82:83], 1, v[82:83]
	v_addc_co_u32_e64 v85, s[0:1], v9, v85, s[0:1]
	s_waitcnt lgkmcnt(12)
	global_store_short v[94:95], v98, off
	v_add_u32_e32 v4, 0xc00, v10
	s_waitcnt lgkmcnt(11)
	global_store_short v[86:87], v99, off
	s_waitcnt lgkmcnt(10)
	global_store_short v[72:73], v100, off
	;; [unrolled: 2-line block ×4, first 2 shown]
	v_add_co_u32_e32 v2, vcc, v7, v90
	v_add_u32_e32 v80, 0xc00, v13
	v_mov_b32_e32 v81, v5
	v_add_co_u32_e64 v82, s[0:1], v7, v82
	v_addc_co_u32_e32 v3, vcc, v9, v91, vcc
	v_lshlrev_b64 v[72:73], 1, v[4:5]
	v_lshlrev_b64 v[80:81], 1, v[80:81]
	v_addc_co_u32_e64 v83, s[0:1], v9, v83, s[0:1]
	s_waitcnt lgkmcnt(7)
	global_store_short v[2:3], v103, off
	s_waitcnt lgkmcnt(6)
	global_store_short v[78:79], v104, off
	;; [unrolled: 2-line block ×4, first 2 shown]
	v_add_co_u32_e32 v2, vcc, v7, v72
	v_add_u32_e32 v69, 0x2000, v69
	v_add_u32_e32 v11, 0x1000, v11
	v_mov_b32_e32 v70, s14
	v_add_co_u32_e64 v80, s[0:1], v7, v80
	v_add_u32_e32 v12, 0x1000, v12
	v_add_u32_e32 v13, 0x1000, v13
	;; [unrolled: 1-line block ×3, first 2 shown]
	v_addc_co_u32_e32 v3, vcc, v9, v73, vcc
	v_addc_co_u32_e64 v81, s[0:1], v9, v81, s[0:1]
	s_waitcnt lgkmcnt(3)
	global_store_short v[2:3], v107, off
	s_waitcnt lgkmcnt(2)
	global_store_short v[84:85], v108, off
	;; [unrolled: 2-line block ×4, first 2 shown]
	s_andn2_b64 exec, exec, s[12:13]
	s_cbranch_execnz .LBB644_148
; %bb.149:
	s_or_b64 exec, exec, s[12:13]
.LBB644_150:
	s_or_b64 exec, exec, s[10:11]
	v_and_b32_e32 v1, 3, v15
	v_cmp_ne_u32_e32 vcc, 0, v1
	s_and_saveexec_b64 s[10:11], vcc
	s_cbranch_execz .LBB644_153
; %bb.151:
	v_lshlrev_b32_e32 v2, 1, v0
	v_lshl_or_b32 v4, v70, 9, v2
	s_mov_b64 s[12:13], 0
	v_mov_b32_e32 v3, 0
.LBB644_152:                            ; =>This Inner Loop Header: Depth=1
	v_mov_b32_e32 v2, v10
	v_add_u32_e32 v1, -1, v1
	v_lshlrev_b64 v[70:71], 1, v[2:3]
	v_mov_b32_e32 v2, v11
	v_cmp_eq_u32_e32 vcc, 0, v1
	v_lshlrev_b64 v[72:73], 1, v[2:3]
	ds_read_u16 v5, v4
	ds_read_u16 v15, v4 offset:512
	ds_read_u16 v16, v4 offset:1024
	;; [unrolled: 1-line block ×3, first 2 shown]
	v_mov_b32_e32 v2, v12
	s_or_b64 s[12:13], vcc, s[12:13]
	v_add_co_u32_e32 v72, vcc, v7, v72
	v_addc_co_u32_e32 v73, vcc, v9, v73, vcc
	v_lshlrev_b64 v[74:75], 1, v[2:3]
	v_mov_b32_e32 v2, v13
	v_add_co_u32_e32 v74, vcc, v7, v74
	v_add_co_u32_e64 v70, s[0:1], v7, v70
	v_addc_co_u32_e32 v75, vcc, v9, v75, vcc
	v_lshlrev_b64 v[76:77], 1, v[2:3]
	v_add_u32_e32 v10, 0x400, v10
	v_add_u32_e32 v4, 0x800, v4
	;; [unrolled: 1-line block ×3, first 2 shown]
	v_addc_co_u32_e64 v71, s[0:1], v9, v71, s[0:1]
	v_add_u32_e32 v12, 0x400, v12
	v_add_u32_e32 v13, 0x400, v13
	v_add_co_u32_e32 v76, vcc, v7, v76
	v_addc_co_u32_e32 v77, vcc, v9, v77, vcc
	s_waitcnt lgkmcnt(3)
	global_store_short v[70:71], v5, off
	s_waitcnt lgkmcnt(2)
	global_store_short v[72:73], v15, off
	;; [unrolled: 2-line block ×4, first 2 shown]
	s_andn2_b64 exec, exec, s[12:13]
	s_cbranch_execnz .LBB644_152
.LBB644_153:
	s_or_b64 exec, exec, s[10:11]
	v_add_u32_e32 v1, 1, v14
	v_and_b32_e32 v3, 0x1fffffc, v1
	v_cmp_ne_u32_e32 vcc, v1, v3
	v_lshl_or_b32 v2, v3, 8, v0
	s_orn2_b64 s[0:1], vcc, exec
.LBB644_154:
	s_or_b64 exec, exec, s[8:9]
	s_andn2_b64 s[4:5], s[4:5], exec
	s_and_b64 s[0:1], s[0:1], exec
	s_or_b64 s[4:5], s[4:5], s[0:1]
.LBB644_155:
	s_or_b64 exec, exec, s[6:7]
	s_and_b64 exec, exec, s[4:5]
	s_cbranch_execz .LBB644_158
; %bb.156:
	v_lshlrev_b32_e32 v1, 1, v2
	s_mov_b64 s[0:1], 0
	v_mov_b32_e32 v3, 0
.LBB644_157:                            ; =>This Inner Loop Header: Depth=1
	v_lshlrev_b64 v[4:5], 1, v[2:3]
	ds_read_u16 v10, v1
	v_add_co_u32_e32 v4, vcc, v7, v4
	v_add_u32_e32 v2, 0x100, v2
	v_addc_co_u32_e32 v5, vcc, v9, v5, vcc
	v_cmp_ge_u32_e32 vcc, v2, v6
	v_add_u32_e32 v1, 0x200, v1
	s_or_b64 s[0:1], vcc, s[0:1]
	s_waitcnt lgkmcnt(0)
	global_store_short v[4:5], v10, off
	s_andn2_b64 exec, exec, s[0:1]
	s_cbranch_execnz .LBB644_157
.LBB644_158:
	s_or_b64 exec, exec, s[2:3]
.LBB644_159:
	s_cmpk_lg_i32 s33, 0xf00
	s_cselect_b64 s[0:1], -1, 0
	v_cndmask_b32_e64 v1, 0, 1, s[36:37]
	s_and_b64 s[0:1], s[34:35], s[0:1]
	v_cmp_eq_u32_e32 vcc, 0, v0
	v_sub_u32_e32 v3, v6, v1
	v_cndmask_b32_e64 v2, 0, 1, s[0:1]
	s_and_b64 s[0:1], vcc, s[36:37]
	v_add_u32_e32 v7, v3, v2
	v_cndmask_b32_e64 v3, v68, 0, s[0:1]
	s_mul_hi_u32 s0, s33, 0x88888889
	s_lshr_b32 s0, s0, 3
	v_mad_i32_i24 v4, v0, -15, s33
	v_cmp_eq_u32_e32 vcc, s0, v0
	v_cmp_ne_u32_e64 s[0:1], 0, v4
	v_cndmask_b32_e64 v5, 1, v3, s[0:1]
	v_cmp_ne_u32_e64 s[0:1], 1, v4
	v_cndmask_b32_e64 v9, 1, v66, s[0:1]
	;; [unrolled: 2-line block ×15, first 2 shown]
	s_and_b64 vcc, s[34:35], vcc
	v_cndmask_b32_e32 v4, v17, v4, vcc
	v_cndmask_b32_e32 v17, v54, v72, vcc
	;; [unrolled: 1-line block ×15, first 2 shown]
	v_mov_b32_e32 v3, s53
	v_add_co_u32_e32 v9, vcc, s52, v50
	v_addc_co_u32_e32 v3, vcc, v3, v51, vcc
	v_add_co_u32_e32 v9, vcc, v9, v52
	v_addc_co_u32_e32 v14, vcc, v3, v53, vcc
	v_lshlrev_b32_e32 v3, 1, v1
	v_add_co_u32_e32 v3, vcc, v3, v9
	v_addc_co_u32_e32 v16, vcc, 0, v14, vcc
	v_add_co_u32_e32 v15, vcc, -2, v3
	v_addc_co_u32_e32 v16, vcc, -1, v16, vcc
	v_cmp_eq_u32_e32 vcc, 0, v5
	v_cmp_ne_u32_e64 s[28:29], 0, v5
	v_cndmask_b32_e64 v5, 1, 2, vcc
	v_cmp_eq_u32_e32 vcc, 0, v61
	v_cndmask_b32_e64 v50, 1, 2, vcc
	v_cmp_eq_u32_e32 vcc, 0, v10
	v_and_b32_e32 v5, v50, v5
	v_cmp_ne_u32_e64 s[24:25], 0, v10
	v_cndmask_b32_e64 v10, 1, 2, vcc
	v_cmp_eq_u32_e32 vcc, 0, v11
	v_and_b32_e32 v5, v5, v10
	v_cndmask_b32_e64 v10, 1, 2, vcc
	v_cmp_eq_u32_e32 vcc, 0, v12
	v_and_b32_e32 v5, v5, v10
	;; [unrolled: 3-line block ×12, first 2 shown]
	v_cmp_ne_u32_e64 s[0:1], 0, v4
	v_cndmask_b32_e64 v4, 1, 2, vcc
	s_movk_i32 s30, 0x100
	v_and_b32_e32 v4, v5, v4
	v_cmp_gt_u32_e32 vcc, s30, v7
	v_add_u32_e32 v3, v8, v1
	v_cmp_ne_u32_e64 s[26:27], 0, v61
	v_cmp_ne_u32_e64 s[22:23], 0, v11
	;; [unrolled: 1-line block ×12, first 2 shown]
	s_mov_b64 s[36:37], -1
	v_cmp_gt_i16_e64 s[30:31], 2, v4
	s_barrier
	s_cbranch_vccz .LBB644_166
; %bb.160:
	s_and_saveexec_b64 s[36:37], s[30:31]
	s_cbranch_execz .LBB644_165
; %bb.161:
	v_cmp_ne_u16_e32 vcc, 1, v4
	s_mov_b64 s[38:39], 0
	s_and_saveexec_b64 s[30:31], vcc
	s_xor_b64 s[30:31], exec, s[30:31]
	s_cbranch_execnz .LBB644_227
; %bb.162:
	s_andn2_saveexec_b64 s[30:31], s[30:31]
	s_cbranch_execnz .LBB644_243
.LBB644_163:
	s_or_b64 exec, exec, s[30:31]
	s_and_b64 exec, exec, s[38:39]
	s_cbranch_execz .LBB644_165
.LBB644_164:
	v_sub_u32_e32 v10, v20, v3
	v_mov_b32_e32 v11, 0
	v_lshlrev_b64 v[10:11], 1, v[10:11]
	v_add_co_u32_e32 v10, vcc, v15, v10
	v_addc_co_u32_e32 v11, vcc, v16, v11, vcc
	global_store_short v[10:11], v21, off
.LBB644_165:
	s_or_b64 exec, exec, s[36:37]
	s_mov_b64 s[36:37], 0
.LBB644_166:
	s_and_b64 vcc, exec, s[36:37]
	s_cbranch_vccz .LBB644_188
; %bb.167:
	v_cmp_gt_i16_e32 vcc, 2, v4
	s_and_saveexec_b64 s[30:31], vcc
	s_cbranch_execz .LBB644_172
; %bb.168:
	v_cmp_ne_u16_e32 vcc, 1, v4
	s_mov_b64 s[38:39], 0
	s_and_saveexec_b64 s[36:37], vcc
	s_xor_b64 s[36:37], exec, s[36:37]
	s_cbranch_execnz .LBB644_244
; %bb.169:
	s_andn2_saveexec_b64 s[0:1], s[36:37]
	s_cbranch_execnz .LBB644_260
.LBB644_170:
	s_or_b64 exec, exec, s[0:1]
	s_and_b64 exec, exec, s[38:39]
	s_cbranch_execz .LBB644_172
.LBB644_171:
	v_sub_u32_e32 v3, v20, v3
	v_lshlrev_b32_e32 v3, 1, v3
	ds_write_b16 v3, v21
.LBB644_172:
	s_or_b64 exec, exec, s[30:31]
	v_cmp_lt_u32_e32 vcc, v0, v7
	s_waitcnt lgkmcnt(0)
	s_barrier
	s_and_saveexec_b64 s[2:3], vcc
	s_cbranch_execz .LBB644_187
; %bb.173:
	v_add_u32_e32 v4, v6, v2
	v_xad_u32 v2, v0, -1, v4
	v_sub_u32_e32 v3, v2, v1
	s_movk_i32 s0, 0x1b00
	v_cmp_gt_u32_e64 s[4:5], s0, v3
	s_movk_i32 s0, 0x1aff
	v_cmp_lt_u32_e32 vcc, s0, v3
	v_mov_b32_e32 v2, v0
	s_and_saveexec_b64 s[6:7], vcc
	s_cbranch_execz .LBB644_184
; %bb.174:
	v_sub_u32_e32 v2, v0, v4
	v_add_u32_e32 v1, v2, v1
	v_or_b32_e32 v1, 0xff, v1
	v_cmp_ge_u32_e32 vcc, v1, v0
	s_mov_b64 s[0:1], -1
	v_mov_b32_e32 v2, v0
	s_and_saveexec_b64 s[8:9], vcc
	s_cbranch_execz .LBB644_183
; %bb.175:
	v_lshrrev_b32_e32 v17, 8, v3
	v_or_b32_e32 v3, 0x300, v0
	v_or_b32_e32 v2, 0x200, v0
	v_add_u32_e32 v4, -3, v17
	v_or_b32_e32 v1, 0x100, v0
	v_lshrrev_b32_e32 v5, 2, v4
	v_pk_mov_b32 v[12:13], v[2:3], v[2:3] op_sel:[0,1]
	v_add_u32_e32 v21, 1, v5
	v_cmp_lt_u32_e32 vcc, 11, v4
	v_mov_b32_e32 v24, 0
	v_lshlrev_b32_e32 v20, 1, v0
	v_pk_mov_b32 v[10:11], v[0:1], v[0:1] op_sel:[0,1]
	s_and_saveexec_b64 s[10:11], vcc
	s_cbranch_execz .LBB644_179
; %bb.176:
	v_pk_mov_b32 v[12:13], v[2:3], v[2:3] op_sel:[0,1]
	v_and_b32_e32 v22, 0x7ffffffc, v21
	s_mov_b32 s14, 0
	s_mov_b64 s[12:13], 0
	v_mov_b32_e32 v5, 0
	v_mov_b32_e32 v23, v20
	v_pk_mov_b32 v[10:11], v[0:1], v[0:1] op_sel:[0,1]
.LBB644_177:                            ; =>This Inner Loop Header: Depth=1
	v_mov_b32_e32 v4, v10
	v_lshlrev_b64 v[40:41], 1, v[4:5]
	v_add_u32_e32 v26, 0x400, v11
	v_mov_b32_e32 v27, v5
	v_add_co_u32_e64 v40, s[0:1], v15, v40
	v_lshlrev_b64 v[26:27], 1, v[26:27]
	v_addc_co_u32_e64 v41, s[0:1], v16, v41, s[0:1]
	v_add_u32_e32 v24, 0x400, v12
	v_mov_b32_e32 v25, v5
	v_add_co_u32_e64 v26, s[0:1], v15, v26
	v_lshlrev_b64 v[42:43], 1, v[24:25]
	v_addc_co_u32_e64 v27, s[0:1], v16, v27, s[0:1]
	v_add_u32_e32 v2, 0x400, v13
	v_mov_b32_e32 v3, v5
	v_add_co_u32_e64 v42, s[0:1], v15, v42
	v_add_u32_e32 v22, -4, v22
	v_mov_b32_e32 v4, v11
	v_lshlrev_b64 v[2:3], 1, v[2:3]
	v_addc_co_u32_e64 v43, s[0:1], v16, v43, s[0:1]
	v_add_u32_e32 v32, 0x800, v11
	v_mov_b32_e32 v33, v5
	s_add_i32 s14, s14, 16
	v_cmp_eq_u32_e32 vcc, 0, v22
	v_lshlrev_b64 v[44:45], 1, v[4:5]
	v_add_co_u32_e64 v2, s[0:1], v15, v2
	v_lshlrev_b64 v[32:33], 1, v[32:33]
	v_mov_b32_e32 v4, v12
	v_addc_co_u32_e64 v3, s[0:1], v16, v3, s[0:1]
	s_or_b64 s[12:13], vcc, s[12:13]
	v_add_co_u32_e32 v44, vcc, v15, v44
	v_add_u32_e32 v30, 0x800, v12
	v_mov_b32_e32 v31, v5
	v_add_co_u32_e64 v32, s[0:1], v15, v32
	v_addc_co_u32_e32 v45, vcc, v16, v45, vcc
	v_lshlrev_b64 v[46:47], 1, v[4:5]
	v_lshlrev_b64 v[30:31], 1, v[30:31]
	v_addc_co_u32_e64 v33, s[0:1], v16, v33, s[0:1]
	v_mov_b32_e32 v4, v13
	v_add_co_u32_e32 v46, vcc, v15, v46
	ds_read_u16 v1, v23
	ds_read_u16 v50, v23 offset:512
	ds_read_u16 v51, v23 offset:1024
	;; [unrolled: 1-line block ×7, first 2 shown]
	v_add_u32_e32 v28, 0x800, v13
	v_mov_b32_e32 v29, v5
	v_add_co_u32_e64 v30, s[0:1], v15, v30
	v_addc_co_u32_e32 v47, vcc, v16, v47, vcc
	v_lshlrev_b64 v[48:49], 1, v[4:5]
	v_lshlrev_b64 v[28:29], 1, v[28:29]
	v_addc_co_u32_e64 v31, s[0:1], v16, v31, s[0:1]
	v_add_u32_e32 v4, 0x400, v10
	v_add_co_u32_e32 v48, vcc, v15, v48
	v_add_u32_e32 v38, 0xc00, v11
	v_mov_b32_e32 v39, v5
	ds_read_u16 v57, v23 offset:4096
	ds_read_u16 v58, v23 offset:4608
	ds_read_u16 v59, v23 offset:5120
	ds_read_u16 v60, v23 offset:5632
	ds_read_u16 v61, v23 offset:6144
	ds_read_u16 v62, v23 offset:6656
	ds_read_u16 v63, v23 offset:7168
	ds_read_u16 v64, v23 offset:7680
	v_add_co_u32_e64 v28, s[0:1], v15, v28
	v_addc_co_u32_e32 v49, vcc, v16, v49, vcc
	s_waitcnt lgkmcnt(14)
	global_store_short v[40:41], v1, off
	global_store_short v[44:45], v50, off
	s_waitcnt lgkmcnt(13)
	global_store_short v[46:47], v51, off
	v_lshlrev_b64 v[40:41], 1, v[4:5]
	v_lshlrev_b64 v[38:39], 1, v[38:39]
	v_addc_co_u32_e64 v29, s[0:1], v16, v29, s[0:1]
	v_add_u32_e32 v4, 0x800, v10
	v_add_co_u32_e32 v40, vcc, v15, v40
	v_add_u32_e32 v36, 0xc00, v12
	v_mov_b32_e32 v37, v5
	v_add_co_u32_e64 v38, s[0:1], v15, v38
	v_addc_co_u32_e32 v41, vcc, v16, v41, vcc
	v_lshlrev_b64 v[44:45], 1, v[4:5]
	v_lshlrev_b64 v[36:37], 1, v[36:37]
	v_addc_co_u32_e64 v39, s[0:1], v16, v39, s[0:1]
	s_waitcnt lgkmcnt(12)
	global_store_short v[48:49], v52, off
	v_add_u32_e32 v4, 0xc00, v10
	s_waitcnt lgkmcnt(11)
	global_store_short v[40:41], v53, off
	s_waitcnt lgkmcnt(10)
	global_store_short v[26:27], v54, off
	;; [unrolled: 2-line block ×4, first 2 shown]
	v_add_co_u32_e32 v2, vcc, v15, v44
	v_add_u32_e32 v34, 0xc00, v13
	v_mov_b32_e32 v35, v5
	v_add_co_u32_e64 v36, s[0:1], v15, v36
	v_addc_co_u32_e32 v3, vcc, v16, v45, vcc
	v_lshlrev_b64 v[26:27], 1, v[4:5]
	v_lshlrev_b64 v[34:35], 1, v[34:35]
	v_addc_co_u32_e64 v37, s[0:1], v16, v37, s[0:1]
	s_waitcnt lgkmcnt(7)
	global_store_short v[2:3], v57, off
	s_waitcnt lgkmcnt(6)
	global_store_short v[32:33], v58, off
	;; [unrolled: 2-line block ×4, first 2 shown]
	v_add_co_u32_e32 v2, vcc, v15, v26
	v_add_u32_e32 v23, 0x2000, v23
	v_add_u32_e32 v11, 0x1000, v11
	v_mov_b32_e32 v24, s14
	v_add_co_u32_e64 v34, s[0:1], v15, v34
	v_add_u32_e32 v12, 0x1000, v12
	v_add_u32_e32 v13, 0x1000, v13
	;; [unrolled: 1-line block ×3, first 2 shown]
	v_addc_co_u32_e32 v3, vcc, v16, v27, vcc
	v_addc_co_u32_e64 v35, s[0:1], v16, v35, s[0:1]
	s_waitcnt lgkmcnt(3)
	global_store_short v[2:3], v61, off
	s_waitcnt lgkmcnt(2)
	global_store_short v[38:39], v62, off
	;; [unrolled: 2-line block ×4, first 2 shown]
	s_andn2_b64 exec, exec, s[12:13]
	s_cbranch_execnz .LBB644_177
; %bb.178:
	s_or_b64 exec, exec, s[12:13]
.LBB644_179:
	s_or_b64 exec, exec, s[10:11]
	v_and_b32_e32 v1, 3, v21
	v_cmp_ne_u32_e32 vcc, 0, v1
	s_and_saveexec_b64 s[10:11], vcc
	s_cbranch_execz .LBB644_182
; %bb.180:
	v_lshl_or_b32 v4, v24, 9, v20
	s_mov_b64 s[12:13], 0
	v_mov_b32_e32 v3, 0
.LBB644_181:                            ; =>This Inner Loop Header: Depth=1
	v_mov_b32_e32 v2, v10
	v_add_u32_e32 v1, -1, v1
	v_lshlrev_b64 v[20:21], 1, v[2:3]
	v_mov_b32_e32 v2, v11
	v_cmp_eq_u32_e32 vcc, 0, v1
	v_lshlrev_b64 v[22:23], 1, v[2:3]
	ds_read_u16 v5, v4
	ds_read_u16 v28, v4 offset:512
	ds_read_u16 v29, v4 offset:1024
	;; [unrolled: 1-line block ×3, first 2 shown]
	v_mov_b32_e32 v2, v12
	s_or_b64 s[12:13], vcc, s[12:13]
	v_add_co_u32_e32 v22, vcc, v15, v22
	v_addc_co_u32_e32 v23, vcc, v16, v23, vcc
	v_lshlrev_b64 v[24:25], 1, v[2:3]
	v_mov_b32_e32 v2, v13
	v_add_co_u32_e32 v24, vcc, v15, v24
	v_add_co_u32_e64 v20, s[0:1], v15, v20
	v_addc_co_u32_e32 v25, vcc, v16, v25, vcc
	v_lshlrev_b64 v[26:27], 1, v[2:3]
	v_add_u32_e32 v10, 0x400, v10
	v_add_u32_e32 v4, 0x800, v4
	;; [unrolled: 1-line block ×3, first 2 shown]
	v_addc_co_u32_e64 v21, s[0:1], v16, v21, s[0:1]
	v_add_u32_e32 v12, 0x400, v12
	v_add_u32_e32 v13, 0x400, v13
	v_add_co_u32_e32 v26, vcc, v15, v26
	v_addc_co_u32_e32 v27, vcc, v16, v27, vcc
	s_waitcnt lgkmcnt(3)
	global_store_short v[20:21], v5, off
	s_waitcnt lgkmcnt(2)
	global_store_short v[22:23], v28, off
	;; [unrolled: 2-line block ×4, first 2 shown]
	s_andn2_b64 exec, exec, s[12:13]
	s_cbranch_execnz .LBB644_181
.LBB644_182:
	s_or_b64 exec, exec, s[10:11]
	v_add_u32_e32 v1, 1, v17
	v_and_b32_e32 v3, 0x1fffffc, v1
	v_cmp_ne_u32_e32 vcc, v1, v3
	v_lshl_or_b32 v2, v3, 8, v0
	s_orn2_b64 s[0:1], vcc, exec
.LBB644_183:
	s_or_b64 exec, exec, s[8:9]
	s_andn2_b64 s[4:5], s[4:5], exec
	s_and_b64 s[0:1], s[0:1], exec
	s_or_b64 s[4:5], s[4:5], s[0:1]
.LBB644_184:
	s_or_b64 exec, exec, s[6:7]
	s_and_b64 exec, exec, s[4:5]
	s_cbranch_execz .LBB644_187
; %bb.185:
	v_lshlrev_b32_e32 v1, 1, v2
	s_mov_b64 s[0:1], 0
	v_mov_b32_e32 v3, 0
.LBB644_186:                            ; =>This Inner Loop Header: Depth=1
	v_lshlrev_b64 v[4:5], 1, v[2:3]
	ds_read_u16 v10, v1
	v_add_co_u32_e32 v4, vcc, v15, v4
	v_add_u32_e32 v2, 0x100, v2
	v_addc_co_u32_e32 v5, vcc, v16, v5, vcc
	v_cmp_ge_u32_e32 vcc, v2, v7
	v_add_u32_e32 v1, 0x200, v1
	s_or_b64 s[0:1], vcc, s[0:1]
	s_waitcnt lgkmcnt(0)
	global_store_short v[4:5], v10, off
	s_andn2_b64 exec, exec, s[0:1]
	s_cbranch_execnz .LBB644_186
.LBB644_187:
	s_or_b64 exec, exec, s[2:3]
.LBB644_188:
	s_movk_i32 s0, 0xff
	v_cmp_eq_u32_e32 vcc, s0, v0
	s_and_b64 s[0:1], vcc, s[34:35]
	s_and_saveexec_b64 s[2:3], s[0:1]
	s_cbranch_execz .LBB644_191
; %bb.189:
	v_add_co_u32_e32 v0, vcc, v6, v8
	v_addc_co_u32_e64 v1, s[0:1], 0, 0, vcc
	v_add_co_u32_e32 v0, vcc, v0, v18
	v_mov_b32_e32 v7, 0
	v_addc_co_u32_e32 v1, vcc, v1, v19, vcc
	s_cmpk_lg_i32 s33, 0xf00
	global_store_dwordx2 v7, v[0:1], s[54:55]
	s_cbranch_scc1 .LBB644_191
; %bb.190:
	v_lshlrev_b64 v[0:1], 1, v[6:7]
	v_add_co_u32_e32 v0, vcc, v9, v0
	v_addc_co_u32_e32 v1, vcc, v14, v1, vcc
	global_store_short v[0:1], v67, off offset:-2
.LBB644_191:
	s_endpgm
.LBB644_192:
	s_or_b64 exec, exec, s[4:5]
	v_mov_b32_e32 v68, s10
	s_and_saveexec_b64 s[4:5], s[2:3]
	s_cbranch_execnz .LBB644_84
	s_branch .LBB644_85
.LBB644_193:
	s_and_saveexec_b64 s[40:41], s[28:29]
	s_cbranch_execnz .LBB644_261
; %bb.194:
	s_or_b64 exec, exec, s[40:41]
	s_and_saveexec_b64 s[40:41], s[26:27]
	s_cbranch_execnz .LBB644_262
.LBB644_195:
	s_or_b64 exec, exec, s[40:41]
	s_and_saveexec_b64 s[40:41], s[24:25]
	s_cbranch_execnz .LBB644_263
.LBB644_196:
	s_or_b64 exec, exec, s[40:41]
	s_and_saveexec_b64 s[40:41], s[22:23]
	s_cbranch_execnz .LBB644_264
.LBB644_197:
	s_or_b64 exec, exec, s[40:41]
	s_and_saveexec_b64 s[40:41], s[20:21]
	s_cbranch_execnz .LBB644_265
.LBB644_198:
	s_or_b64 exec, exec, s[40:41]
	s_and_saveexec_b64 s[40:41], s[18:19]
	s_cbranch_execnz .LBB644_266
.LBB644_199:
	s_or_b64 exec, exec, s[40:41]
	s_and_saveexec_b64 s[40:41], s[16:17]
	s_cbranch_execnz .LBB644_267
.LBB644_200:
	s_or_b64 exec, exec, s[40:41]
	s_and_saveexec_b64 s[40:41], s[14:15]
	s_cbranch_execnz .LBB644_268
.LBB644_201:
	s_or_b64 exec, exec, s[40:41]
	s_and_saveexec_b64 s[40:41], s[12:13]
	s_cbranch_execnz .LBB644_269
.LBB644_202:
	s_or_b64 exec, exec, s[40:41]
	s_and_saveexec_b64 s[40:41], s[10:11]
	s_cbranch_execnz .LBB644_270
.LBB644_203:
	s_or_b64 exec, exec, s[40:41]
	s_and_saveexec_b64 s[40:41], s[8:9]
	s_cbranch_execnz .LBB644_271
.LBB644_204:
	s_or_b64 exec, exec, s[40:41]
	s_and_saveexec_b64 s[40:41], s[6:7]
	s_cbranch_execnz .LBB644_272
.LBB644_205:
	s_or_b64 exec, exec, s[40:41]
	s_and_saveexec_b64 s[40:41], s[4:5]
	s_cbranch_execnz .LBB644_273
.LBB644_206:
	s_or_b64 exec, exec, s[40:41]
	s_and_saveexec_b64 s[40:41], s[2:3]
	s_cbranch_execz .LBB644_208
.LBB644_207:
	v_sub_u32_e32 v12, v22, v8
	v_mov_b32_e32 v13, 0
	v_lshlrev_b64 v[12:13], 1, v[12:13]
	v_add_co_u32_e32 v12, vcc, v7, v12
	v_addc_co_u32_e32 v13, vcc, v9, v13, vcc
	global_store_short v[12:13], v16, off
.LBB644_208:
	s_or_b64 exec, exec, s[40:41]
	s_and_b64 s[40:41], s[0:1], exec
	s_andn2_saveexec_b64 s[30:31], s[30:31]
	s_cbranch_execz .LBB644_134
.LBB644_209:
	v_sub_u32_e32 v12, v48, v8
	v_mov_b32_e32 v13, 0
	v_lshlrev_b64 v[70:71], 1, v[12:13]
	v_add_co_u32_e32 v70, vcc, v7, v70
	v_addc_co_u32_e32 v71, vcc, v9, v71, vcc
	v_sub_u32_e32 v12, v46, v8
	global_store_short v[70:71], v1, off
	v_lshlrev_b64 v[70:71], 1, v[12:13]
	v_add_co_u32_e32 v70, vcc, v7, v70
	v_addc_co_u32_e32 v71, vcc, v9, v71, vcc
	v_sub_u32_e32 v12, v44, v8
	global_store_short v[70:71], v2, off
	v_lshlrev_b64 v[70:71], 1, v[12:13]
	v_add_co_u32_e32 v70, vcc, v7, v70
	v_addc_co_u32_e32 v71, vcc, v9, v71, vcc
	v_sub_u32_e32 v12, v42, v8
	global_store_short_d16_hi v[70:71], v2, off
	v_lshlrev_b64 v[70:71], 1, v[12:13]
	v_add_co_u32_e32 v70, vcc, v7, v70
	v_addc_co_u32_e32 v71, vcc, v9, v71, vcc
	v_sub_u32_e32 v12, v40, v8
	global_store_short v[70:71], v3, off
	v_lshlrev_b64 v[70:71], 1, v[12:13]
	v_add_co_u32_e32 v70, vcc, v7, v70
	v_addc_co_u32_e32 v71, vcc, v9, v71, vcc
	v_sub_u32_e32 v12, v38, v8
	global_store_short_d16_hi v[70:71], v3, off
	v_lshlrev_b64 v[70:71], 1, v[12:13]
	v_add_co_u32_e32 v70, vcc, v7, v70
	v_addc_co_u32_e32 v71, vcc, v9, v71, vcc
	v_sub_u32_e32 v12, v36, v8
	global_store_short v[70:71], v4, off
	v_lshlrev_b64 v[70:71], 1, v[12:13]
	v_add_co_u32_e32 v70, vcc, v7, v70
	v_addc_co_u32_e32 v71, vcc, v9, v71, vcc
	v_sub_u32_e32 v12, v34, v8
	global_store_short_d16_hi v[70:71], v4, off
	v_lshlrev_b64 v[70:71], 1, v[12:13]
	v_add_co_u32_e32 v70, vcc, v7, v70
	v_addc_co_u32_e32 v71, vcc, v9, v71, vcc
	v_sub_u32_e32 v12, v32, v8
	global_store_short v[70:71], v5, off
	v_lshlrev_b64 v[70:71], 1, v[12:13]
	v_add_co_u32_e32 v70, vcc, v7, v70
	v_addc_co_u32_e32 v71, vcc, v9, v71, vcc
	v_sub_u32_e32 v12, v30, v8
	global_store_short_d16_hi v[70:71], v5, off
	v_lshlrev_b64 v[70:71], 1, v[12:13]
	v_add_co_u32_e32 v70, vcc, v7, v70
	v_addc_co_u32_e32 v71, vcc, v9, v71, vcc
	v_sub_u32_e32 v12, v28, v8
	global_store_short v[70:71], v14, off
	v_lshlrev_b64 v[70:71], 1, v[12:13]
	v_add_co_u32_e32 v70, vcc, v7, v70
	v_addc_co_u32_e32 v71, vcc, v9, v71, vcc
	v_sub_u32_e32 v12, v26, v8
	global_store_short_d16_hi v[70:71], v14, off
	v_lshlrev_b64 v[70:71], 1, v[12:13]
	v_add_co_u32_e32 v70, vcc, v7, v70
	v_addc_co_u32_e32 v71, vcc, v9, v71, vcc
	v_sub_u32_e32 v12, v24, v8
	global_store_short v[70:71], v15, off
	v_lshlrev_b64 v[70:71], 1, v[12:13]
	v_add_co_u32_e32 v70, vcc, v7, v70
	v_sub_u32_e32 v12, v22, v8
	v_addc_co_u32_e32 v71, vcc, v9, v71, vcc
	v_lshlrev_b64 v[12:13], 1, v[12:13]
	v_add_co_u32_e32 v12, vcc, v7, v12
	v_addc_co_u32_e32 v13, vcc, v9, v13, vcc
	s_or_b64 s[40:41], s[40:41], exec
	global_store_short_d16_hi v[70:71], v15, off
	global_store_short v[12:13], v16, off
	s_or_b64 exec, exec, s[30:31]
	s_and_b64 exec, exec, s[40:41]
	s_cbranch_execnz .LBB644_135
	s_branch .LBB644_136
.LBB644_210:
	s_and_saveexec_b64 s[40:41], s[28:29]
	s_cbranch_execnz .LBB644_274
; %bb.211:
	s_or_b64 exec, exec, s[40:41]
	s_and_saveexec_b64 s[28:29], s[26:27]
	s_cbranch_execnz .LBB644_275
.LBB644_212:
	s_or_b64 exec, exec, s[28:29]
	s_and_saveexec_b64 s[26:27], s[24:25]
	s_cbranch_execnz .LBB644_276
.LBB644_213:
	s_or_b64 exec, exec, s[26:27]
	s_and_saveexec_b64 s[24:25], s[22:23]
	s_cbranch_execnz .LBB644_277
.LBB644_214:
	s_or_b64 exec, exec, s[24:25]
	s_and_saveexec_b64 s[22:23], s[20:21]
	s_cbranch_execnz .LBB644_278
.LBB644_215:
	s_or_b64 exec, exec, s[22:23]
	s_and_saveexec_b64 s[20:21], s[18:19]
	s_cbranch_execnz .LBB644_279
.LBB644_216:
	s_or_b64 exec, exec, s[20:21]
	s_and_saveexec_b64 s[18:19], s[16:17]
	s_cbranch_execnz .LBB644_280
.LBB644_217:
	s_or_b64 exec, exec, s[18:19]
	s_and_saveexec_b64 s[16:17], s[14:15]
	s_cbranch_execnz .LBB644_281
.LBB644_218:
	s_or_b64 exec, exec, s[16:17]
	s_and_saveexec_b64 s[14:15], s[12:13]
	s_cbranch_execnz .LBB644_282
.LBB644_219:
	s_or_b64 exec, exec, s[14:15]
	s_and_saveexec_b64 s[12:13], s[10:11]
	s_cbranch_execnz .LBB644_283
.LBB644_220:
	s_or_b64 exec, exec, s[12:13]
	s_and_saveexec_b64 s[10:11], s[8:9]
	s_cbranch_execnz .LBB644_284
.LBB644_221:
	s_or_b64 exec, exec, s[10:11]
	s_and_saveexec_b64 s[8:9], s[6:7]
	s_cbranch_execnz .LBB644_285
.LBB644_222:
	s_or_b64 exec, exec, s[8:9]
	s_and_saveexec_b64 s[6:7], s[4:5]
	s_cbranch_execnz .LBB644_286
.LBB644_223:
	s_or_b64 exec, exec, s[6:7]
	s_and_saveexec_b64 s[4:5], s[2:3]
	s_cbranch_execz .LBB644_225
.LBB644_224:
	v_sub_u32_e32 v1, v22, v8
	v_lshlrev_b32_e32 v1, 1, v1
	ds_write_b16 v1, v16
.LBB644_225:
	s_or_b64 exec, exec, s[4:5]
	s_and_b64 s[40:41], s[0:1], exec
                                        ; implicit-def: $vgpr1
                                        ; implicit-def: $vgpr2
	s_andn2_saveexec_b64 s[0:1], s[38:39]
	s_cbranch_execz .LBB644_141
.LBB644_226:
	v_sub_u32_e32 v10, v48, v8
	v_lshlrev_b32_e32 v10, 1, v10
	ds_write_b16 v10, v1
	v_sub_u32_e32 v1, v46, v8
	v_lshlrev_b32_e32 v1, 1, v1
	ds_write_b16 v1, v2
	v_sub_u32_e32 v1, v44, v8
	v_lshlrev_b32_e32 v1, 1, v1
	ds_write_b16_d16_hi v1, v2
	v_sub_u32_e32 v1, v42, v8
	v_lshlrev_b32_e32 v1, 1, v1
	ds_write_b16 v1, v3
	v_sub_u32_e32 v1, v40, v8
	v_lshlrev_b32_e32 v1, 1, v1
	ds_write_b16_d16_hi v1, v3
	;; [unrolled: 6-line block ×6, first 2 shown]
	v_sub_u32_e32 v1, v22, v8
	v_lshlrev_b32_e32 v1, 1, v1
	s_or_b64 s[40:41], s[40:41], exec
	ds_write_b16 v1, v16
	s_or_b64 exec, exec, s[0:1]
	s_and_b64 exec, exec, s[40:41]
	s_cbranch_execnz .LBB644_142
	s_branch .LBB644_143
.LBB644_227:
	s_and_saveexec_b64 s[38:39], s[28:29]
	s_cbranch_execnz .LBB644_287
; %bb.228:
	s_or_b64 exec, exec, s[38:39]
	s_and_saveexec_b64 s[38:39], s[26:27]
	s_cbranch_execnz .LBB644_288
.LBB644_229:
	s_or_b64 exec, exec, s[38:39]
	s_and_saveexec_b64 s[38:39], s[24:25]
	s_cbranch_execnz .LBB644_289
.LBB644_230:
	s_or_b64 exec, exec, s[38:39]
	s_and_saveexec_b64 s[38:39], s[22:23]
	s_cbranch_execnz .LBB644_290
.LBB644_231:
	s_or_b64 exec, exec, s[38:39]
	s_and_saveexec_b64 s[38:39], s[20:21]
	s_cbranch_execnz .LBB644_291
.LBB644_232:
	s_or_b64 exec, exec, s[38:39]
	s_and_saveexec_b64 s[38:39], s[18:19]
	s_cbranch_execnz .LBB644_292
.LBB644_233:
	s_or_b64 exec, exec, s[38:39]
	s_and_saveexec_b64 s[38:39], s[16:17]
	s_cbranch_execnz .LBB644_293
.LBB644_234:
	s_or_b64 exec, exec, s[38:39]
	s_and_saveexec_b64 s[38:39], s[14:15]
	s_cbranch_execnz .LBB644_294
.LBB644_235:
	s_or_b64 exec, exec, s[38:39]
	s_and_saveexec_b64 s[38:39], s[12:13]
	s_cbranch_execnz .LBB644_295
.LBB644_236:
	s_or_b64 exec, exec, s[38:39]
	s_and_saveexec_b64 s[38:39], s[10:11]
	s_cbranch_execnz .LBB644_296
.LBB644_237:
	s_or_b64 exec, exec, s[38:39]
	s_and_saveexec_b64 s[38:39], s[8:9]
	s_cbranch_execnz .LBB644_297
.LBB644_238:
	s_or_b64 exec, exec, s[38:39]
	s_and_saveexec_b64 s[38:39], s[6:7]
	s_cbranch_execnz .LBB644_298
.LBB644_239:
	s_or_b64 exec, exec, s[38:39]
	s_and_saveexec_b64 s[38:39], s[4:5]
	s_cbranch_execnz .LBB644_299
.LBB644_240:
	s_or_b64 exec, exec, s[38:39]
	s_and_saveexec_b64 s[38:39], s[2:3]
	s_cbranch_execz .LBB644_242
.LBB644_241:
	v_sub_u32_e32 v10, v22, v3
	v_mov_b32_e32 v11, 0
	v_lshlrev_b64 v[10:11], 1, v[10:11]
	v_add_co_u32_e32 v10, vcc, v15, v10
	v_addc_co_u32_e32 v11, vcc, v16, v11, vcc
	global_store_short v[10:11], v23, off
.LBB644_242:
	s_or_b64 exec, exec, s[38:39]
	s_and_b64 s[38:39], s[0:1], exec
	s_andn2_saveexec_b64 s[30:31], s[30:31]
	s_cbranch_execz .LBB644_163
.LBB644_243:
	v_sub_u32_e32 v10, v48, v3
	v_mov_b32_e32 v11, 0
	v_lshlrev_b64 v[12:13], 1, v[10:11]
	v_add_co_u32_e32 v12, vcc, v15, v12
	v_addc_co_u32_e32 v13, vcc, v16, v13, vcc
	v_sub_u32_e32 v10, v46, v3
	global_store_short v[12:13], v49, off
	v_lshlrev_b64 v[12:13], 1, v[10:11]
	v_add_co_u32_e32 v12, vcc, v15, v12
	v_addc_co_u32_e32 v13, vcc, v16, v13, vcc
	v_sub_u32_e32 v10, v44, v3
	global_store_short v[12:13], v47, off
	;; [unrolled: 5-line block ×12, first 2 shown]
	v_lshlrev_b64 v[12:13], 1, v[10:11]
	v_add_co_u32_e32 v12, vcc, v15, v12
	v_sub_u32_e32 v10, v22, v3
	v_addc_co_u32_e32 v13, vcc, v16, v13, vcc
	v_lshlrev_b64 v[10:11], 1, v[10:11]
	v_add_co_u32_e32 v10, vcc, v15, v10
	v_addc_co_u32_e32 v11, vcc, v16, v11, vcc
	s_or_b64 s[38:39], s[38:39], exec
	global_store_short v[12:13], v25, off
	global_store_short v[10:11], v23, off
	s_or_b64 exec, exec, s[30:31]
	s_and_b64 exec, exec, s[38:39]
	s_cbranch_execnz .LBB644_164
	s_branch .LBB644_165
.LBB644_244:
	s_and_saveexec_b64 s[38:39], s[28:29]
	s_cbranch_execnz .LBB644_300
; %bb.245:
	s_or_b64 exec, exec, s[38:39]
	s_and_saveexec_b64 s[28:29], s[26:27]
	s_cbranch_execnz .LBB644_301
.LBB644_246:
	s_or_b64 exec, exec, s[28:29]
	s_and_saveexec_b64 s[26:27], s[24:25]
	s_cbranch_execnz .LBB644_302
.LBB644_247:
	s_or_b64 exec, exec, s[26:27]
	s_and_saveexec_b64 s[24:25], s[22:23]
	s_cbranch_execnz .LBB644_303
.LBB644_248:
	s_or_b64 exec, exec, s[24:25]
	s_and_saveexec_b64 s[22:23], s[20:21]
	s_cbranch_execnz .LBB644_304
.LBB644_249:
	s_or_b64 exec, exec, s[22:23]
	s_and_saveexec_b64 s[20:21], s[18:19]
	s_cbranch_execnz .LBB644_305
.LBB644_250:
	s_or_b64 exec, exec, s[20:21]
	s_and_saveexec_b64 s[18:19], s[16:17]
	s_cbranch_execnz .LBB644_306
.LBB644_251:
	s_or_b64 exec, exec, s[18:19]
	s_and_saveexec_b64 s[16:17], s[14:15]
	s_cbranch_execnz .LBB644_307
.LBB644_252:
	s_or_b64 exec, exec, s[16:17]
	s_and_saveexec_b64 s[14:15], s[12:13]
	s_cbranch_execnz .LBB644_308
.LBB644_253:
	s_or_b64 exec, exec, s[14:15]
	s_and_saveexec_b64 s[12:13], s[10:11]
	s_cbranch_execnz .LBB644_309
.LBB644_254:
	s_or_b64 exec, exec, s[12:13]
	s_and_saveexec_b64 s[10:11], s[8:9]
	s_cbranch_execnz .LBB644_310
.LBB644_255:
	s_or_b64 exec, exec, s[10:11]
	s_and_saveexec_b64 s[8:9], s[6:7]
	s_cbranch_execnz .LBB644_311
.LBB644_256:
	s_or_b64 exec, exec, s[8:9]
	s_and_saveexec_b64 s[6:7], s[4:5]
	s_cbranch_execnz .LBB644_312
.LBB644_257:
	s_or_b64 exec, exec, s[6:7]
	s_and_saveexec_b64 s[4:5], s[2:3]
	s_cbranch_execz .LBB644_259
.LBB644_258:
	v_sub_u32_e32 v4, v22, v3
	v_lshlrev_b32_e32 v4, 1, v4
	ds_write_b16 v4, v23
.LBB644_259:
	s_or_b64 exec, exec, s[4:5]
	s_and_b64 s[38:39], s[0:1], exec
                                        ; implicit-def: $vgpr48_vgpr49
                                        ; implicit-def: $vgpr46_vgpr47
                                        ; implicit-def: $vgpr44_vgpr45
                                        ; implicit-def: $vgpr42_vgpr43
                                        ; implicit-def: $vgpr40_vgpr41
                                        ; implicit-def: $vgpr38_vgpr39
                                        ; implicit-def: $vgpr36_vgpr37
                                        ; implicit-def: $vgpr34_vgpr35
                                        ; implicit-def: $vgpr32_vgpr33
                                        ; implicit-def: $vgpr30_vgpr31
                                        ; implicit-def: $vgpr28_vgpr29
                                        ; implicit-def: $vgpr26_vgpr27
                                        ; implicit-def: $vgpr24_vgpr25
                                        ; implicit-def: $vgpr22_vgpr23
	s_andn2_saveexec_b64 s[0:1], s[36:37]
	s_cbranch_execz .LBB644_170
.LBB644_260:
	v_sub_u32_e32 v4, v48, v3
	v_lshlrev_b32_e32 v4, 1, v4
	ds_write_b16 v4, v49
	v_sub_u32_e32 v4, v46, v3
	v_lshlrev_b32_e32 v4, 1, v4
	ds_write_b16 v4, v47
	;; [unrolled: 3-line block ×13, first 2 shown]
	v_sub_u32_e32 v4, v22, v3
	v_lshlrev_b32_e32 v4, 1, v4
	s_or_b64 s[38:39], s[38:39], exec
	ds_write_b16 v4, v23
	s_or_b64 exec, exec, s[0:1]
	s_and_b64 exec, exec, s[38:39]
	s_cbranch_execnz .LBB644_171
	s_branch .LBB644_172
.LBB644_261:
	v_sub_u32_e32 v12, v48, v8
	v_mov_b32_e32 v13, 0
	v_lshlrev_b64 v[12:13], 1, v[12:13]
	v_add_co_u32_e32 v12, vcc, v7, v12
	v_addc_co_u32_e32 v13, vcc, v9, v13, vcc
	global_store_short v[12:13], v1, off
	s_or_b64 exec, exec, s[40:41]
	s_and_saveexec_b64 s[40:41], s[26:27]
	s_cbranch_execz .LBB644_195
.LBB644_262:
	v_sub_u32_e32 v12, v46, v8
	v_mov_b32_e32 v13, 0
	v_lshlrev_b64 v[12:13], 1, v[12:13]
	v_add_co_u32_e32 v12, vcc, v7, v12
	v_addc_co_u32_e32 v13, vcc, v9, v13, vcc
	global_store_short v[12:13], v2, off
	s_or_b64 exec, exec, s[40:41]
	s_and_saveexec_b64 s[40:41], s[24:25]
	s_cbranch_execz .LBB644_196
.LBB644_263:
	v_sub_u32_e32 v12, v44, v8
	v_mov_b32_e32 v13, 0
	v_lshlrev_b64 v[12:13], 1, v[12:13]
	v_add_co_u32_e32 v12, vcc, v7, v12
	v_addc_co_u32_e32 v13, vcc, v9, v13, vcc
	global_store_short_d16_hi v[12:13], v2, off
	s_or_b64 exec, exec, s[40:41]
	s_and_saveexec_b64 s[40:41], s[22:23]
	s_cbranch_execz .LBB644_197
.LBB644_264:
	v_sub_u32_e32 v12, v42, v8
	v_mov_b32_e32 v13, 0
	v_lshlrev_b64 v[12:13], 1, v[12:13]
	v_add_co_u32_e32 v12, vcc, v7, v12
	v_addc_co_u32_e32 v13, vcc, v9, v13, vcc
	global_store_short v[12:13], v3, off
	s_or_b64 exec, exec, s[40:41]
	s_and_saveexec_b64 s[40:41], s[20:21]
	s_cbranch_execz .LBB644_198
.LBB644_265:
	v_sub_u32_e32 v12, v40, v8
	v_mov_b32_e32 v13, 0
	v_lshlrev_b64 v[12:13], 1, v[12:13]
	v_add_co_u32_e32 v12, vcc, v7, v12
	v_addc_co_u32_e32 v13, vcc, v9, v13, vcc
	global_store_short_d16_hi v[12:13], v3, off
	s_or_b64 exec, exec, s[40:41]
	s_and_saveexec_b64 s[40:41], s[18:19]
	s_cbranch_execz .LBB644_199
.LBB644_266:
	v_sub_u32_e32 v12, v38, v8
	v_mov_b32_e32 v13, 0
	v_lshlrev_b64 v[12:13], 1, v[12:13]
	v_add_co_u32_e32 v12, vcc, v7, v12
	v_addc_co_u32_e32 v13, vcc, v9, v13, vcc
	global_store_short v[12:13], v4, off
	s_or_b64 exec, exec, s[40:41]
	s_and_saveexec_b64 s[40:41], s[16:17]
	s_cbranch_execz .LBB644_200
.LBB644_267:
	v_sub_u32_e32 v12, v36, v8
	v_mov_b32_e32 v13, 0
	v_lshlrev_b64 v[12:13], 1, v[12:13]
	v_add_co_u32_e32 v12, vcc, v7, v12
	v_addc_co_u32_e32 v13, vcc, v9, v13, vcc
	global_store_short_d16_hi v[12:13], v4, off
	s_or_b64 exec, exec, s[40:41]
	s_and_saveexec_b64 s[40:41], s[14:15]
	s_cbranch_execz .LBB644_201
.LBB644_268:
	v_sub_u32_e32 v12, v34, v8
	v_mov_b32_e32 v13, 0
	v_lshlrev_b64 v[12:13], 1, v[12:13]
	v_add_co_u32_e32 v12, vcc, v7, v12
	v_addc_co_u32_e32 v13, vcc, v9, v13, vcc
	global_store_short v[12:13], v5, off
	s_or_b64 exec, exec, s[40:41]
	s_and_saveexec_b64 s[40:41], s[12:13]
	s_cbranch_execz .LBB644_202
.LBB644_269:
	v_sub_u32_e32 v12, v32, v8
	v_mov_b32_e32 v13, 0
	v_lshlrev_b64 v[12:13], 1, v[12:13]
	v_add_co_u32_e32 v12, vcc, v7, v12
	v_addc_co_u32_e32 v13, vcc, v9, v13, vcc
	global_store_short_d16_hi v[12:13], v5, off
	s_or_b64 exec, exec, s[40:41]
	s_and_saveexec_b64 s[40:41], s[10:11]
	s_cbranch_execz .LBB644_203
.LBB644_270:
	v_sub_u32_e32 v12, v30, v8
	v_mov_b32_e32 v13, 0
	v_lshlrev_b64 v[12:13], 1, v[12:13]
	v_add_co_u32_e32 v12, vcc, v7, v12
	v_addc_co_u32_e32 v13, vcc, v9, v13, vcc
	global_store_short v[12:13], v14, off
	s_or_b64 exec, exec, s[40:41]
	s_and_saveexec_b64 s[40:41], s[8:9]
	s_cbranch_execz .LBB644_204
.LBB644_271:
	v_sub_u32_e32 v12, v28, v8
	v_mov_b32_e32 v13, 0
	v_lshlrev_b64 v[12:13], 1, v[12:13]
	v_add_co_u32_e32 v12, vcc, v7, v12
	v_addc_co_u32_e32 v13, vcc, v9, v13, vcc
	global_store_short_d16_hi v[12:13], v14, off
	s_or_b64 exec, exec, s[40:41]
	s_and_saveexec_b64 s[40:41], s[6:7]
	s_cbranch_execz .LBB644_205
.LBB644_272:
	v_sub_u32_e32 v12, v26, v8
	v_mov_b32_e32 v13, 0
	v_lshlrev_b64 v[12:13], 1, v[12:13]
	v_add_co_u32_e32 v12, vcc, v7, v12
	v_addc_co_u32_e32 v13, vcc, v9, v13, vcc
	global_store_short v[12:13], v15, off
	s_or_b64 exec, exec, s[40:41]
	s_and_saveexec_b64 s[40:41], s[4:5]
	s_cbranch_execz .LBB644_206
.LBB644_273:
	v_sub_u32_e32 v12, v24, v8
	v_mov_b32_e32 v13, 0
	v_lshlrev_b64 v[12:13], 1, v[12:13]
	v_add_co_u32_e32 v12, vcc, v7, v12
	v_addc_co_u32_e32 v13, vcc, v9, v13, vcc
	global_store_short_d16_hi v[12:13], v15, off
	s_or_b64 exec, exec, s[40:41]
	s_and_saveexec_b64 s[40:41], s[2:3]
	s_cbranch_execnz .LBB644_207
	s_branch .LBB644_208
.LBB644_274:
	v_sub_u32_e32 v10, v48, v8
	v_lshlrev_b32_e32 v10, 1, v10
	ds_write_b16 v10, v1
	s_or_b64 exec, exec, s[40:41]
	s_and_saveexec_b64 s[28:29], s[26:27]
	s_cbranch_execz .LBB644_212
.LBB644_275:
	v_sub_u32_e32 v1, v46, v8
	v_lshlrev_b32_e32 v1, 1, v1
	ds_write_b16 v1, v2
	s_or_b64 exec, exec, s[28:29]
	s_and_saveexec_b64 s[26:27], s[24:25]
	s_cbranch_execz .LBB644_213
.LBB644_276:
	v_sub_u32_e32 v1, v44, v8
	v_lshlrev_b32_e32 v1, 1, v1
	ds_write_b16_d16_hi v1, v2
	s_or_b64 exec, exec, s[26:27]
	s_and_saveexec_b64 s[24:25], s[22:23]
	s_cbranch_execz .LBB644_214
.LBB644_277:
	v_sub_u32_e32 v1, v42, v8
	v_lshlrev_b32_e32 v1, 1, v1
	ds_write_b16 v1, v3
	s_or_b64 exec, exec, s[24:25]
	s_and_saveexec_b64 s[22:23], s[20:21]
	s_cbranch_execz .LBB644_215
.LBB644_278:
	v_sub_u32_e32 v1, v40, v8
	v_lshlrev_b32_e32 v1, 1, v1
	ds_write_b16_d16_hi v1, v3
	s_or_b64 exec, exec, s[22:23]
	s_and_saveexec_b64 s[20:21], s[18:19]
	s_cbranch_execz .LBB644_216
.LBB644_279:
	v_sub_u32_e32 v1, v38, v8
	v_lshlrev_b32_e32 v1, 1, v1
	ds_write_b16 v1, v4
	s_or_b64 exec, exec, s[20:21]
	s_and_saveexec_b64 s[18:19], s[16:17]
	s_cbranch_execz .LBB644_217
.LBB644_280:
	v_sub_u32_e32 v1, v36, v8
	v_lshlrev_b32_e32 v1, 1, v1
	ds_write_b16_d16_hi v1, v4
	s_or_b64 exec, exec, s[18:19]
	s_and_saveexec_b64 s[16:17], s[14:15]
	s_cbranch_execz .LBB644_218
.LBB644_281:
	v_sub_u32_e32 v1, v34, v8
	v_lshlrev_b32_e32 v1, 1, v1
	ds_write_b16 v1, v5
	s_or_b64 exec, exec, s[16:17]
	s_and_saveexec_b64 s[14:15], s[12:13]
	s_cbranch_execz .LBB644_219
.LBB644_282:
	v_sub_u32_e32 v1, v32, v8
	v_lshlrev_b32_e32 v1, 1, v1
	ds_write_b16_d16_hi v1, v5
	s_or_b64 exec, exec, s[14:15]
	s_and_saveexec_b64 s[12:13], s[10:11]
	s_cbranch_execz .LBB644_220
.LBB644_283:
	v_sub_u32_e32 v1, v30, v8
	v_lshlrev_b32_e32 v1, 1, v1
	ds_write_b16 v1, v14
	s_or_b64 exec, exec, s[12:13]
	s_and_saveexec_b64 s[10:11], s[8:9]
	s_cbranch_execz .LBB644_221
.LBB644_284:
	v_sub_u32_e32 v1, v28, v8
	v_lshlrev_b32_e32 v1, 1, v1
	ds_write_b16_d16_hi v1, v14
	s_or_b64 exec, exec, s[10:11]
	s_and_saveexec_b64 s[8:9], s[6:7]
	s_cbranch_execz .LBB644_222
.LBB644_285:
	v_sub_u32_e32 v1, v26, v8
	v_lshlrev_b32_e32 v1, 1, v1
	ds_write_b16 v1, v15
	s_or_b64 exec, exec, s[8:9]
	s_and_saveexec_b64 s[6:7], s[4:5]
	s_cbranch_execz .LBB644_223
.LBB644_286:
	v_sub_u32_e32 v1, v24, v8
	v_lshlrev_b32_e32 v1, 1, v1
	ds_write_b16_d16_hi v1, v15
	s_or_b64 exec, exec, s[6:7]
	s_and_saveexec_b64 s[4:5], s[2:3]
	s_cbranch_execnz .LBB644_224
	s_branch .LBB644_225
.LBB644_287:
	v_sub_u32_e32 v10, v48, v3
	v_mov_b32_e32 v11, 0
	v_lshlrev_b64 v[10:11], 1, v[10:11]
	v_add_co_u32_e32 v10, vcc, v15, v10
	v_addc_co_u32_e32 v11, vcc, v16, v11, vcc
	global_store_short v[10:11], v49, off
	s_or_b64 exec, exec, s[38:39]
	s_and_saveexec_b64 s[38:39], s[26:27]
	s_cbranch_execz .LBB644_229
.LBB644_288:
	v_sub_u32_e32 v10, v46, v3
	v_mov_b32_e32 v11, 0
	v_lshlrev_b64 v[10:11], 1, v[10:11]
	v_add_co_u32_e32 v10, vcc, v15, v10
	v_addc_co_u32_e32 v11, vcc, v16, v11, vcc
	global_store_short v[10:11], v47, off
	s_or_b64 exec, exec, s[38:39]
	s_and_saveexec_b64 s[38:39], s[24:25]
	s_cbranch_execz .LBB644_230
.LBB644_289:
	v_sub_u32_e32 v10, v44, v3
	v_mov_b32_e32 v11, 0
	v_lshlrev_b64 v[10:11], 1, v[10:11]
	v_add_co_u32_e32 v10, vcc, v15, v10
	v_addc_co_u32_e32 v11, vcc, v16, v11, vcc
	global_store_short v[10:11], v45, off
	s_or_b64 exec, exec, s[38:39]
	s_and_saveexec_b64 s[38:39], s[22:23]
	s_cbranch_execz .LBB644_231
.LBB644_290:
	v_sub_u32_e32 v10, v42, v3
	v_mov_b32_e32 v11, 0
	v_lshlrev_b64 v[10:11], 1, v[10:11]
	v_add_co_u32_e32 v10, vcc, v15, v10
	v_addc_co_u32_e32 v11, vcc, v16, v11, vcc
	global_store_short v[10:11], v43, off
	s_or_b64 exec, exec, s[38:39]
	s_and_saveexec_b64 s[38:39], s[20:21]
	s_cbranch_execz .LBB644_232
.LBB644_291:
	v_sub_u32_e32 v10, v40, v3
	v_mov_b32_e32 v11, 0
	v_lshlrev_b64 v[10:11], 1, v[10:11]
	v_add_co_u32_e32 v10, vcc, v15, v10
	v_addc_co_u32_e32 v11, vcc, v16, v11, vcc
	global_store_short v[10:11], v41, off
	s_or_b64 exec, exec, s[38:39]
	s_and_saveexec_b64 s[38:39], s[18:19]
	s_cbranch_execz .LBB644_233
.LBB644_292:
	v_sub_u32_e32 v10, v38, v3
	v_mov_b32_e32 v11, 0
	v_lshlrev_b64 v[10:11], 1, v[10:11]
	v_add_co_u32_e32 v10, vcc, v15, v10
	v_addc_co_u32_e32 v11, vcc, v16, v11, vcc
	global_store_short v[10:11], v39, off
	s_or_b64 exec, exec, s[38:39]
	s_and_saveexec_b64 s[38:39], s[16:17]
	s_cbranch_execz .LBB644_234
.LBB644_293:
	v_sub_u32_e32 v10, v36, v3
	v_mov_b32_e32 v11, 0
	v_lshlrev_b64 v[10:11], 1, v[10:11]
	v_add_co_u32_e32 v10, vcc, v15, v10
	v_addc_co_u32_e32 v11, vcc, v16, v11, vcc
	global_store_short v[10:11], v37, off
	s_or_b64 exec, exec, s[38:39]
	s_and_saveexec_b64 s[38:39], s[14:15]
	s_cbranch_execz .LBB644_235
.LBB644_294:
	v_sub_u32_e32 v10, v34, v3
	v_mov_b32_e32 v11, 0
	v_lshlrev_b64 v[10:11], 1, v[10:11]
	v_add_co_u32_e32 v10, vcc, v15, v10
	v_addc_co_u32_e32 v11, vcc, v16, v11, vcc
	global_store_short v[10:11], v35, off
	s_or_b64 exec, exec, s[38:39]
	s_and_saveexec_b64 s[38:39], s[12:13]
	s_cbranch_execz .LBB644_236
.LBB644_295:
	v_sub_u32_e32 v10, v32, v3
	v_mov_b32_e32 v11, 0
	v_lshlrev_b64 v[10:11], 1, v[10:11]
	v_add_co_u32_e32 v10, vcc, v15, v10
	v_addc_co_u32_e32 v11, vcc, v16, v11, vcc
	global_store_short v[10:11], v33, off
	s_or_b64 exec, exec, s[38:39]
	s_and_saveexec_b64 s[38:39], s[10:11]
	s_cbranch_execz .LBB644_237
.LBB644_296:
	v_sub_u32_e32 v10, v30, v3
	v_mov_b32_e32 v11, 0
	v_lshlrev_b64 v[10:11], 1, v[10:11]
	v_add_co_u32_e32 v10, vcc, v15, v10
	v_addc_co_u32_e32 v11, vcc, v16, v11, vcc
	global_store_short v[10:11], v31, off
	s_or_b64 exec, exec, s[38:39]
	s_and_saveexec_b64 s[38:39], s[8:9]
	s_cbranch_execz .LBB644_238
.LBB644_297:
	v_sub_u32_e32 v10, v28, v3
	v_mov_b32_e32 v11, 0
	v_lshlrev_b64 v[10:11], 1, v[10:11]
	v_add_co_u32_e32 v10, vcc, v15, v10
	v_addc_co_u32_e32 v11, vcc, v16, v11, vcc
	global_store_short v[10:11], v29, off
	s_or_b64 exec, exec, s[38:39]
	s_and_saveexec_b64 s[38:39], s[6:7]
	s_cbranch_execz .LBB644_239
.LBB644_298:
	v_sub_u32_e32 v10, v26, v3
	v_mov_b32_e32 v11, 0
	v_lshlrev_b64 v[10:11], 1, v[10:11]
	v_add_co_u32_e32 v10, vcc, v15, v10
	v_addc_co_u32_e32 v11, vcc, v16, v11, vcc
	global_store_short v[10:11], v27, off
	s_or_b64 exec, exec, s[38:39]
	s_and_saveexec_b64 s[38:39], s[4:5]
	s_cbranch_execz .LBB644_240
.LBB644_299:
	v_sub_u32_e32 v10, v24, v3
	v_mov_b32_e32 v11, 0
	v_lshlrev_b64 v[10:11], 1, v[10:11]
	v_add_co_u32_e32 v10, vcc, v15, v10
	v_addc_co_u32_e32 v11, vcc, v16, v11, vcc
	global_store_short v[10:11], v25, off
	s_or_b64 exec, exec, s[38:39]
	s_and_saveexec_b64 s[38:39], s[2:3]
	s_cbranch_execnz .LBB644_241
	s_branch .LBB644_242
.LBB644_300:
	v_sub_u32_e32 v4, v48, v3
	v_lshlrev_b32_e32 v4, 1, v4
	ds_write_b16 v4, v49
	s_or_b64 exec, exec, s[38:39]
	s_and_saveexec_b64 s[28:29], s[26:27]
	s_cbranch_execz .LBB644_246
.LBB644_301:
	v_sub_u32_e32 v4, v46, v3
	v_lshlrev_b32_e32 v4, 1, v4
	ds_write_b16 v4, v47
	s_or_b64 exec, exec, s[28:29]
	s_and_saveexec_b64 s[26:27], s[24:25]
	s_cbranch_execz .LBB644_247
.LBB644_302:
	v_sub_u32_e32 v4, v44, v3
	v_lshlrev_b32_e32 v4, 1, v4
	ds_write_b16 v4, v45
	s_or_b64 exec, exec, s[26:27]
	s_and_saveexec_b64 s[24:25], s[22:23]
	s_cbranch_execz .LBB644_248
.LBB644_303:
	v_sub_u32_e32 v4, v42, v3
	v_lshlrev_b32_e32 v4, 1, v4
	ds_write_b16 v4, v43
	s_or_b64 exec, exec, s[24:25]
	s_and_saveexec_b64 s[22:23], s[20:21]
	s_cbranch_execz .LBB644_249
.LBB644_304:
	v_sub_u32_e32 v4, v40, v3
	v_lshlrev_b32_e32 v4, 1, v4
	ds_write_b16 v4, v41
	s_or_b64 exec, exec, s[22:23]
	s_and_saveexec_b64 s[20:21], s[18:19]
	s_cbranch_execz .LBB644_250
.LBB644_305:
	v_sub_u32_e32 v4, v38, v3
	v_lshlrev_b32_e32 v4, 1, v4
	ds_write_b16 v4, v39
	s_or_b64 exec, exec, s[20:21]
	s_and_saveexec_b64 s[18:19], s[16:17]
	s_cbranch_execz .LBB644_251
.LBB644_306:
	v_sub_u32_e32 v4, v36, v3
	v_lshlrev_b32_e32 v4, 1, v4
	ds_write_b16 v4, v37
	s_or_b64 exec, exec, s[18:19]
	s_and_saveexec_b64 s[16:17], s[14:15]
	s_cbranch_execz .LBB644_252
.LBB644_307:
	v_sub_u32_e32 v4, v34, v3
	v_lshlrev_b32_e32 v4, 1, v4
	ds_write_b16 v4, v35
	s_or_b64 exec, exec, s[16:17]
	s_and_saveexec_b64 s[14:15], s[12:13]
	s_cbranch_execz .LBB644_253
.LBB644_308:
	v_sub_u32_e32 v4, v32, v3
	v_lshlrev_b32_e32 v4, 1, v4
	ds_write_b16 v4, v33
	s_or_b64 exec, exec, s[14:15]
	s_and_saveexec_b64 s[12:13], s[10:11]
	s_cbranch_execz .LBB644_254
.LBB644_309:
	v_sub_u32_e32 v4, v30, v3
	v_lshlrev_b32_e32 v4, 1, v4
	ds_write_b16 v4, v31
	s_or_b64 exec, exec, s[12:13]
	s_and_saveexec_b64 s[10:11], s[8:9]
	s_cbranch_execz .LBB644_255
.LBB644_310:
	v_sub_u32_e32 v4, v28, v3
	v_lshlrev_b32_e32 v4, 1, v4
	ds_write_b16 v4, v29
	s_or_b64 exec, exec, s[10:11]
	s_and_saveexec_b64 s[8:9], s[6:7]
	s_cbranch_execz .LBB644_256
.LBB644_311:
	v_sub_u32_e32 v4, v26, v3
	v_lshlrev_b32_e32 v4, 1, v4
	ds_write_b16 v4, v27
	s_or_b64 exec, exec, s[8:9]
	s_and_saveexec_b64 s[6:7], s[4:5]
	s_cbranch_execz .LBB644_257
.LBB644_312:
	v_sub_u32_e32 v4, v24, v3
	v_lshlrev_b32_e32 v4, 1, v4
	ds_write_b16 v4, v25
	s_or_b64 exec, exec, s[6:7]
	s_and_saveexec_b64 s[4:5], s[2:3]
	s_cbranch_execnz .LBB644_258
	s_branch .LBB644_259
	.section	.rodata,"a",@progbits
	.p2align	6, 0x0
	.amdhsa_kernel _ZN7rocprim17ROCPRIM_400000_NS6detail17trampoline_kernelINS0_14default_configENS1_29reduce_by_key_config_selectorIssN6thrust23THRUST_200600_302600_NS4plusIsEEEEZZNS1_33reduce_by_key_impl_wrapped_configILNS1_25lookback_scan_determinismE0ES3_S9_NS6_6detail15normal_iteratorINS6_10device_ptrIsEEEESG_SG_SG_PmS8_NS6_8equal_toIsEEEE10hipError_tPvRmT2_T3_mT4_T5_T6_T7_T8_P12ihipStream_tbENKUlT_T0_E_clISt17integral_constantIbLb1EES10_IbLb0EEEEDaSW_SX_EUlSW_E_NS1_11comp_targetILNS1_3genE4ELNS1_11target_archE910ELNS1_3gpuE8ELNS1_3repE0EEENS1_30default_config_static_selectorELNS0_4arch9wavefront6targetE1EEEvT1_
		.amdhsa_group_segment_fixed_size 7680
		.amdhsa_private_segment_fixed_size 0
		.amdhsa_kernarg_size 120
		.amdhsa_user_sgpr_count 6
		.amdhsa_user_sgpr_private_segment_buffer 1
		.amdhsa_user_sgpr_dispatch_ptr 0
		.amdhsa_user_sgpr_queue_ptr 0
		.amdhsa_user_sgpr_kernarg_segment_ptr 1
		.amdhsa_user_sgpr_dispatch_id 0
		.amdhsa_user_sgpr_flat_scratch_init 0
		.amdhsa_user_sgpr_kernarg_preload_length 0
		.amdhsa_user_sgpr_kernarg_preload_offset 0
		.amdhsa_user_sgpr_private_segment_size 0
		.amdhsa_uses_dynamic_stack 0
		.amdhsa_system_sgpr_private_segment_wavefront_offset 0
		.amdhsa_system_sgpr_workgroup_id_x 1
		.amdhsa_system_sgpr_workgroup_id_y 0
		.amdhsa_system_sgpr_workgroup_id_z 0
		.amdhsa_system_sgpr_workgroup_info 0
		.amdhsa_system_vgpr_workitem_id 0
		.amdhsa_next_free_vgpr 111
		.amdhsa_next_free_sgpr 63
		.amdhsa_accum_offset 112
		.amdhsa_reserve_vcc 1
		.amdhsa_reserve_flat_scratch 0
		.amdhsa_float_round_mode_32 0
		.amdhsa_float_round_mode_16_64 0
		.amdhsa_float_denorm_mode_32 3
		.amdhsa_float_denorm_mode_16_64 3
		.amdhsa_dx10_clamp 1
		.amdhsa_ieee_mode 1
		.amdhsa_fp16_overflow 0
		.amdhsa_tg_split 0
		.amdhsa_exception_fp_ieee_invalid_op 0
		.amdhsa_exception_fp_denorm_src 0
		.amdhsa_exception_fp_ieee_div_zero 0
		.amdhsa_exception_fp_ieee_overflow 0
		.amdhsa_exception_fp_ieee_underflow 0
		.amdhsa_exception_fp_ieee_inexact 0
		.amdhsa_exception_int_div_zero 0
	.end_amdhsa_kernel
	.section	.text._ZN7rocprim17ROCPRIM_400000_NS6detail17trampoline_kernelINS0_14default_configENS1_29reduce_by_key_config_selectorIssN6thrust23THRUST_200600_302600_NS4plusIsEEEEZZNS1_33reduce_by_key_impl_wrapped_configILNS1_25lookback_scan_determinismE0ES3_S9_NS6_6detail15normal_iteratorINS6_10device_ptrIsEEEESG_SG_SG_PmS8_NS6_8equal_toIsEEEE10hipError_tPvRmT2_T3_mT4_T5_T6_T7_T8_P12ihipStream_tbENKUlT_T0_E_clISt17integral_constantIbLb1EES10_IbLb0EEEEDaSW_SX_EUlSW_E_NS1_11comp_targetILNS1_3genE4ELNS1_11target_archE910ELNS1_3gpuE8ELNS1_3repE0EEENS1_30default_config_static_selectorELNS0_4arch9wavefront6targetE1EEEvT1_,"axG",@progbits,_ZN7rocprim17ROCPRIM_400000_NS6detail17trampoline_kernelINS0_14default_configENS1_29reduce_by_key_config_selectorIssN6thrust23THRUST_200600_302600_NS4plusIsEEEEZZNS1_33reduce_by_key_impl_wrapped_configILNS1_25lookback_scan_determinismE0ES3_S9_NS6_6detail15normal_iteratorINS6_10device_ptrIsEEEESG_SG_SG_PmS8_NS6_8equal_toIsEEEE10hipError_tPvRmT2_T3_mT4_T5_T6_T7_T8_P12ihipStream_tbENKUlT_T0_E_clISt17integral_constantIbLb1EES10_IbLb0EEEEDaSW_SX_EUlSW_E_NS1_11comp_targetILNS1_3genE4ELNS1_11target_archE910ELNS1_3gpuE8ELNS1_3repE0EEENS1_30default_config_static_selectorELNS0_4arch9wavefront6targetE1EEEvT1_,comdat
.Lfunc_end644:
	.size	_ZN7rocprim17ROCPRIM_400000_NS6detail17trampoline_kernelINS0_14default_configENS1_29reduce_by_key_config_selectorIssN6thrust23THRUST_200600_302600_NS4plusIsEEEEZZNS1_33reduce_by_key_impl_wrapped_configILNS1_25lookback_scan_determinismE0ES3_S9_NS6_6detail15normal_iteratorINS6_10device_ptrIsEEEESG_SG_SG_PmS8_NS6_8equal_toIsEEEE10hipError_tPvRmT2_T3_mT4_T5_T6_T7_T8_P12ihipStream_tbENKUlT_T0_E_clISt17integral_constantIbLb1EES10_IbLb0EEEEDaSW_SX_EUlSW_E_NS1_11comp_targetILNS1_3genE4ELNS1_11target_archE910ELNS1_3gpuE8ELNS1_3repE0EEENS1_30default_config_static_selectorELNS0_4arch9wavefront6targetE1EEEvT1_, .Lfunc_end644-_ZN7rocprim17ROCPRIM_400000_NS6detail17trampoline_kernelINS0_14default_configENS1_29reduce_by_key_config_selectorIssN6thrust23THRUST_200600_302600_NS4plusIsEEEEZZNS1_33reduce_by_key_impl_wrapped_configILNS1_25lookback_scan_determinismE0ES3_S9_NS6_6detail15normal_iteratorINS6_10device_ptrIsEEEESG_SG_SG_PmS8_NS6_8equal_toIsEEEE10hipError_tPvRmT2_T3_mT4_T5_T6_T7_T8_P12ihipStream_tbENKUlT_T0_E_clISt17integral_constantIbLb1EES10_IbLb0EEEEDaSW_SX_EUlSW_E_NS1_11comp_targetILNS1_3genE4ELNS1_11target_archE910ELNS1_3gpuE8ELNS1_3repE0EEENS1_30default_config_static_selectorELNS0_4arch9wavefront6targetE1EEEvT1_
                                        ; -- End function
	.section	.AMDGPU.csdata,"",@progbits
; Kernel info:
; codeLenInByte = 18068
; NumSgprs: 67
; NumVgprs: 111
; NumAgprs: 0
; TotalNumVgprs: 111
; ScratchSize: 0
; MemoryBound: 0
; FloatMode: 240
; IeeeMode: 1
; LDSByteSize: 7680 bytes/workgroup (compile time only)
; SGPRBlocks: 8
; VGPRBlocks: 13
; NumSGPRsForWavesPerEU: 67
; NumVGPRsForWavesPerEU: 111
; AccumOffset: 112
; Occupancy: 4
; WaveLimiterHint : 1
; COMPUTE_PGM_RSRC2:SCRATCH_EN: 0
; COMPUTE_PGM_RSRC2:USER_SGPR: 6
; COMPUTE_PGM_RSRC2:TRAP_HANDLER: 0
; COMPUTE_PGM_RSRC2:TGID_X_EN: 1
; COMPUTE_PGM_RSRC2:TGID_Y_EN: 0
; COMPUTE_PGM_RSRC2:TGID_Z_EN: 0
; COMPUTE_PGM_RSRC2:TIDIG_COMP_CNT: 0
; COMPUTE_PGM_RSRC3_GFX90A:ACCUM_OFFSET: 27
; COMPUTE_PGM_RSRC3_GFX90A:TG_SPLIT: 0
	.section	.text._ZN7rocprim17ROCPRIM_400000_NS6detail17trampoline_kernelINS0_14default_configENS1_29reduce_by_key_config_selectorIssN6thrust23THRUST_200600_302600_NS4plusIsEEEEZZNS1_33reduce_by_key_impl_wrapped_configILNS1_25lookback_scan_determinismE0ES3_S9_NS6_6detail15normal_iteratorINS6_10device_ptrIsEEEESG_SG_SG_PmS8_NS6_8equal_toIsEEEE10hipError_tPvRmT2_T3_mT4_T5_T6_T7_T8_P12ihipStream_tbENKUlT_T0_E_clISt17integral_constantIbLb1EES10_IbLb0EEEEDaSW_SX_EUlSW_E_NS1_11comp_targetILNS1_3genE3ELNS1_11target_archE908ELNS1_3gpuE7ELNS1_3repE0EEENS1_30default_config_static_selectorELNS0_4arch9wavefront6targetE1EEEvT1_,"axG",@progbits,_ZN7rocprim17ROCPRIM_400000_NS6detail17trampoline_kernelINS0_14default_configENS1_29reduce_by_key_config_selectorIssN6thrust23THRUST_200600_302600_NS4plusIsEEEEZZNS1_33reduce_by_key_impl_wrapped_configILNS1_25lookback_scan_determinismE0ES3_S9_NS6_6detail15normal_iteratorINS6_10device_ptrIsEEEESG_SG_SG_PmS8_NS6_8equal_toIsEEEE10hipError_tPvRmT2_T3_mT4_T5_T6_T7_T8_P12ihipStream_tbENKUlT_T0_E_clISt17integral_constantIbLb1EES10_IbLb0EEEEDaSW_SX_EUlSW_E_NS1_11comp_targetILNS1_3genE3ELNS1_11target_archE908ELNS1_3gpuE7ELNS1_3repE0EEENS1_30default_config_static_selectorELNS0_4arch9wavefront6targetE1EEEvT1_,comdat
	.protected	_ZN7rocprim17ROCPRIM_400000_NS6detail17trampoline_kernelINS0_14default_configENS1_29reduce_by_key_config_selectorIssN6thrust23THRUST_200600_302600_NS4plusIsEEEEZZNS1_33reduce_by_key_impl_wrapped_configILNS1_25lookback_scan_determinismE0ES3_S9_NS6_6detail15normal_iteratorINS6_10device_ptrIsEEEESG_SG_SG_PmS8_NS6_8equal_toIsEEEE10hipError_tPvRmT2_T3_mT4_T5_T6_T7_T8_P12ihipStream_tbENKUlT_T0_E_clISt17integral_constantIbLb1EES10_IbLb0EEEEDaSW_SX_EUlSW_E_NS1_11comp_targetILNS1_3genE3ELNS1_11target_archE908ELNS1_3gpuE7ELNS1_3repE0EEENS1_30default_config_static_selectorELNS0_4arch9wavefront6targetE1EEEvT1_ ; -- Begin function _ZN7rocprim17ROCPRIM_400000_NS6detail17trampoline_kernelINS0_14default_configENS1_29reduce_by_key_config_selectorIssN6thrust23THRUST_200600_302600_NS4plusIsEEEEZZNS1_33reduce_by_key_impl_wrapped_configILNS1_25lookback_scan_determinismE0ES3_S9_NS6_6detail15normal_iteratorINS6_10device_ptrIsEEEESG_SG_SG_PmS8_NS6_8equal_toIsEEEE10hipError_tPvRmT2_T3_mT4_T5_T6_T7_T8_P12ihipStream_tbENKUlT_T0_E_clISt17integral_constantIbLb1EES10_IbLb0EEEEDaSW_SX_EUlSW_E_NS1_11comp_targetILNS1_3genE3ELNS1_11target_archE908ELNS1_3gpuE7ELNS1_3repE0EEENS1_30default_config_static_selectorELNS0_4arch9wavefront6targetE1EEEvT1_
	.globl	_ZN7rocprim17ROCPRIM_400000_NS6detail17trampoline_kernelINS0_14default_configENS1_29reduce_by_key_config_selectorIssN6thrust23THRUST_200600_302600_NS4plusIsEEEEZZNS1_33reduce_by_key_impl_wrapped_configILNS1_25lookback_scan_determinismE0ES3_S9_NS6_6detail15normal_iteratorINS6_10device_ptrIsEEEESG_SG_SG_PmS8_NS6_8equal_toIsEEEE10hipError_tPvRmT2_T3_mT4_T5_T6_T7_T8_P12ihipStream_tbENKUlT_T0_E_clISt17integral_constantIbLb1EES10_IbLb0EEEEDaSW_SX_EUlSW_E_NS1_11comp_targetILNS1_3genE3ELNS1_11target_archE908ELNS1_3gpuE7ELNS1_3repE0EEENS1_30default_config_static_selectorELNS0_4arch9wavefront6targetE1EEEvT1_
	.p2align	8
	.type	_ZN7rocprim17ROCPRIM_400000_NS6detail17trampoline_kernelINS0_14default_configENS1_29reduce_by_key_config_selectorIssN6thrust23THRUST_200600_302600_NS4plusIsEEEEZZNS1_33reduce_by_key_impl_wrapped_configILNS1_25lookback_scan_determinismE0ES3_S9_NS6_6detail15normal_iteratorINS6_10device_ptrIsEEEESG_SG_SG_PmS8_NS6_8equal_toIsEEEE10hipError_tPvRmT2_T3_mT4_T5_T6_T7_T8_P12ihipStream_tbENKUlT_T0_E_clISt17integral_constantIbLb1EES10_IbLb0EEEEDaSW_SX_EUlSW_E_NS1_11comp_targetILNS1_3genE3ELNS1_11target_archE908ELNS1_3gpuE7ELNS1_3repE0EEENS1_30default_config_static_selectorELNS0_4arch9wavefront6targetE1EEEvT1_,@function
_ZN7rocprim17ROCPRIM_400000_NS6detail17trampoline_kernelINS0_14default_configENS1_29reduce_by_key_config_selectorIssN6thrust23THRUST_200600_302600_NS4plusIsEEEEZZNS1_33reduce_by_key_impl_wrapped_configILNS1_25lookback_scan_determinismE0ES3_S9_NS6_6detail15normal_iteratorINS6_10device_ptrIsEEEESG_SG_SG_PmS8_NS6_8equal_toIsEEEE10hipError_tPvRmT2_T3_mT4_T5_T6_T7_T8_P12ihipStream_tbENKUlT_T0_E_clISt17integral_constantIbLb1EES10_IbLb0EEEEDaSW_SX_EUlSW_E_NS1_11comp_targetILNS1_3genE3ELNS1_11target_archE908ELNS1_3gpuE7ELNS1_3repE0EEENS1_30default_config_static_selectorELNS0_4arch9wavefront6targetE1EEEvT1_: ; @_ZN7rocprim17ROCPRIM_400000_NS6detail17trampoline_kernelINS0_14default_configENS1_29reduce_by_key_config_selectorIssN6thrust23THRUST_200600_302600_NS4plusIsEEEEZZNS1_33reduce_by_key_impl_wrapped_configILNS1_25lookback_scan_determinismE0ES3_S9_NS6_6detail15normal_iteratorINS6_10device_ptrIsEEEESG_SG_SG_PmS8_NS6_8equal_toIsEEEE10hipError_tPvRmT2_T3_mT4_T5_T6_T7_T8_P12ihipStream_tbENKUlT_T0_E_clISt17integral_constantIbLb1EES10_IbLb0EEEEDaSW_SX_EUlSW_E_NS1_11comp_targetILNS1_3genE3ELNS1_11target_archE908ELNS1_3gpuE7ELNS1_3repE0EEENS1_30default_config_static_selectorELNS0_4arch9wavefront6targetE1EEEvT1_
; %bb.0:
	.section	.rodata,"a",@progbits
	.p2align	6, 0x0
	.amdhsa_kernel _ZN7rocprim17ROCPRIM_400000_NS6detail17trampoline_kernelINS0_14default_configENS1_29reduce_by_key_config_selectorIssN6thrust23THRUST_200600_302600_NS4plusIsEEEEZZNS1_33reduce_by_key_impl_wrapped_configILNS1_25lookback_scan_determinismE0ES3_S9_NS6_6detail15normal_iteratorINS6_10device_ptrIsEEEESG_SG_SG_PmS8_NS6_8equal_toIsEEEE10hipError_tPvRmT2_T3_mT4_T5_T6_T7_T8_P12ihipStream_tbENKUlT_T0_E_clISt17integral_constantIbLb1EES10_IbLb0EEEEDaSW_SX_EUlSW_E_NS1_11comp_targetILNS1_3genE3ELNS1_11target_archE908ELNS1_3gpuE7ELNS1_3repE0EEENS1_30default_config_static_selectorELNS0_4arch9wavefront6targetE1EEEvT1_
		.amdhsa_group_segment_fixed_size 0
		.amdhsa_private_segment_fixed_size 0
		.amdhsa_kernarg_size 120
		.amdhsa_user_sgpr_count 6
		.amdhsa_user_sgpr_private_segment_buffer 1
		.amdhsa_user_sgpr_dispatch_ptr 0
		.amdhsa_user_sgpr_queue_ptr 0
		.amdhsa_user_sgpr_kernarg_segment_ptr 1
		.amdhsa_user_sgpr_dispatch_id 0
		.amdhsa_user_sgpr_flat_scratch_init 0
		.amdhsa_user_sgpr_kernarg_preload_length 0
		.amdhsa_user_sgpr_kernarg_preload_offset 0
		.amdhsa_user_sgpr_private_segment_size 0
		.amdhsa_uses_dynamic_stack 0
		.amdhsa_system_sgpr_private_segment_wavefront_offset 0
		.amdhsa_system_sgpr_workgroup_id_x 1
		.amdhsa_system_sgpr_workgroup_id_y 0
		.amdhsa_system_sgpr_workgroup_id_z 0
		.amdhsa_system_sgpr_workgroup_info 0
		.amdhsa_system_vgpr_workitem_id 0
		.amdhsa_next_free_vgpr 1
		.amdhsa_next_free_sgpr 0
		.amdhsa_accum_offset 4
		.amdhsa_reserve_vcc 0
		.amdhsa_reserve_flat_scratch 0
		.amdhsa_float_round_mode_32 0
		.amdhsa_float_round_mode_16_64 0
		.amdhsa_float_denorm_mode_32 3
		.amdhsa_float_denorm_mode_16_64 3
		.amdhsa_dx10_clamp 1
		.amdhsa_ieee_mode 1
		.amdhsa_fp16_overflow 0
		.amdhsa_tg_split 0
		.amdhsa_exception_fp_ieee_invalid_op 0
		.amdhsa_exception_fp_denorm_src 0
		.amdhsa_exception_fp_ieee_div_zero 0
		.amdhsa_exception_fp_ieee_overflow 0
		.amdhsa_exception_fp_ieee_underflow 0
		.amdhsa_exception_fp_ieee_inexact 0
		.amdhsa_exception_int_div_zero 0
	.end_amdhsa_kernel
	.section	.text._ZN7rocprim17ROCPRIM_400000_NS6detail17trampoline_kernelINS0_14default_configENS1_29reduce_by_key_config_selectorIssN6thrust23THRUST_200600_302600_NS4plusIsEEEEZZNS1_33reduce_by_key_impl_wrapped_configILNS1_25lookback_scan_determinismE0ES3_S9_NS6_6detail15normal_iteratorINS6_10device_ptrIsEEEESG_SG_SG_PmS8_NS6_8equal_toIsEEEE10hipError_tPvRmT2_T3_mT4_T5_T6_T7_T8_P12ihipStream_tbENKUlT_T0_E_clISt17integral_constantIbLb1EES10_IbLb0EEEEDaSW_SX_EUlSW_E_NS1_11comp_targetILNS1_3genE3ELNS1_11target_archE908ELNS1_3gpuE7ELNS1_3repE0EEENS1_30default_config_static_selectorELNS0_4arch9wavefront6targetE1EEEvT1_,"axG",@progbits,_ZN7rocprim17ROCPRIM_400000_NS6detail17trampoline_kernelINS0_14default_configENS1_29reduce_by_key_config_selectorIssN6thrust23THRUST_200600_302600_NS4plusIsEEEEZZNS1_33reduce_by_key_impl_wrapped_configILNS1_25lookback_scan_determinismE0ES3_S9_NS6_6detail15normal_iteratorINS6_10device_ptrIsEEEESG_SG_SG_PmS8_NS6_8equal_toIsEEEE10hipError_tPvRmT2_T3_mT4_T5_T6_T7_T8_P12ihipStream_tbENKUlT_T0_E_clISt17integral_constantIbLb1EES10_IbLb0EEEEDaSW_SX_EUlSW_E_NS1_11comp_targetILNS1_3genE3ELNS1_11target_archE908ELNS1_3gpuE7ELNS1_3repE0EEENS1_30default_config_static_selectorELNS0_4arch9wavefront6targetE1EEEvT1_,comdat
.Lfunc_end645:
	.size	_ZN7rocprim17ROCPRIM_400000_NS6detail17trampoline_kernelINS0_14default_configENS1_29reduce_by_key_config_selectorIssN6thrust23THRUST_200600_302600_NS4plusIsEEEEZZNS1_33reduce_by_key_impl_wrapped_configILNS1_25lookback_scan_determinismE0ES3_S9_NS6_6detail15normal_iteratorINS6_10device_ptrIsEEEESG_SG_SG_PmS8_NS6_8equal_toIsEEEE10hipError_tPvRmT2_T3_mT4_T5_T6_T7_T8_P12ihipStream_tbENKUlT_T0_E_clISt17integral_constantIbLb1EES10_IbLb0EEEEDaSW_SX_EUlSW_E_NS1_11comp_targetILNS1_3genE3ELNS1_11target_archE908ELNS1_3gpuE7ELNS1_3repE0EEENS1_30default_config_static_selectorELNS0_4arch9wavefront6targetE1EEEvT1_, .Lfunc_end645-_ZN7rocprim17ROCPRIM_400000_NS6detail17trampoline_kernelINS0_14default_configENS1_29reduce_by_key_config_selectorIssN6thrust23THRUST_200600_302600_NS4plusIsEEEEZZNS1_33reduce_by_key_impl_wrapped_configILNS1_25lookback_scan_determinismE0ES3_S9_NS6_6detail15normal_iteratorINS6_10device_ptrIsEEEESG_SG_SG_PmS8_NS6_8equal_toIsEEEE10hipError_tPvRmT2_T3_mT4_T5_T6_T7_T8_P12ihipStream_tbENKUlT_T0_E_clISt17integral_constantIbLb1EES10_IbLb0EEEEDaSW_SX_EUlSW_E_NS1_11comp_targetILNS1_3genE3ELNS1_11target_archE908ELNS1_3gpuE7ELNS1_3repE0EEENS1_30default_config_static_selectorELNS0_4arch9wavefront6targetE1EEEvT1_
                                        ; -- End function
	.section	.AMDGPU.csdata,"",@progbits
; Kernel info:
; codeLenInByte = 0
; NumSgprs: 4
; NumVgprs: 0
; NumAgprs: 0
; TotalNumVgprs: 0
; ScratchSize: 0
; MemoryBound: 0
; FloatMode: 240
; IeeeMode: 1
; LDSByteSize: 0 bytes/workgroup (compile time only)
; SGPRBlocks: 0
; VGPRBlocks: 0
; NumSGPRsForWavesPerEU: 4
; NumVGPRsForWavesPerEU: 1
; AccumOffset: 4
; Occupancy: 8
; WaveLimiterHint : 0
; COMPUTE_PGM_RSRC2:SCRATCH_EN: 0
; COMPUTE_PGM_RSRC2:USER_SGPR: 6
; COMPUTE_PGM_RSRC2:TRAP_HANDLER: 0
; COMPUTE_PGM_RSRC2:TGID_X_EN: 1
; COMPUTE_PGM_RSRC2:TGID_Y_EN: 0
; COMPUTE_PGM_RSRC2:TGID_Z_EN: 0
; COMPUTE_PGM_RSRC2:TIDIG_COMP_CNT: 0
; COMPUTE_PGM_RSRC3_GFX90A:ACCUM_OFFSET: 0
; COMPUTE_PGM_RSRC3_GFX90A:TG_SPLIT: 0
	.section	.text._ZN7rocprim17ROCPRIM_400000_NS6detail17trampoline_kernelINS0_14default_configENS1_29reduce_by_key_config_selectorIssN6thrust23THRUST_200600_302600_NS4plusIsEEEEZZNS1_33reduce_by_key_impl_wrapped_configILNS1_25lookback_scan_determinismE0ES3_S9_NS6_6detail15normal_iteratorINS6_10device_ptrIsEEEESG_SG_SG_PmS8_NS6_8equal_toIsEEEE10hipError_tPvRmT2_T3_mT4_T5_T6_T7_T8_P12ihipStream_tbENKUlT_T0_E_clISt17integral_constantIbLb1EES10_IbLb0EEEEDaSW_SX_EUlSW_E_NS1_11comp_targetILNS1_3genE2ELNS1_11target_archE906ELNS1_3gpuE6ELNS1_3repE0EEENS1_30default_config_static_selectorELNS0_4arch9wavefront6targetE1EEEvT1_,"axG",@progbits,_ZN7rocprim17ROCPRIM_400000_NS6detail17trampoline_kernelINS0_14default_configENS1_29reduce_by_key_config_selectorIssN6thrust23THRUST_200600_302600_NS4plusIsEEEEZZNS1_33reduce_by_key_impl_wrapped_configILNS1_25lookback_scan_determinismE0ES3_S9_NS6_6detail15normal_iteratorINS6_10device_ptrIsEEEESG_SG_SG_PmS8_NS6_8equal_toIsEEEE10hipError_tPvRmT2_T3_mT4_T5_T6_T7_T8_P12ihipStream_tbENKUlT_T0_E_clISt17integral_constantIbLb1EES10_IbLb0EEEEDaSW_SX_EUlSW_E_NS1_11comp_targetILNS1_3genE2ELNS1_11target_archE906ELNS1_3gpuE6ELNS1_3repE0EEENS1_30default_config_static_selectorELNS0_4arch9wavefront6targetE1EEEvT1_,comdat
	.protected	_ZN7rocprim17ROCPRIM_400000_NS6detail17trampoline_kernelINS0_14default_configENS1_29reduce_by_key_config_selectorIssN6thrust23THRUST_200600_302600_NS4plusIsEEEEZZNS1_33reduce_by_key_impl_wrapped_configILNS1_25lookback_scan_determinismE0ES3_S9_NS6_6detail15normal_iteratorINS6_10device_ptrIsEEEESG_SG_SG_PmS8_NS6_8equal_toIsEEEE10hipError_tPvRmT2_T3_mT4_T5_T6_T7_T8_P12ihipStream_tbENKUlT_T0_E_clISt17integral_constantIbLb1EES10_IbLb0EEEEDaSW_SX_EUlSW_E_NS1_11comp_targetILNS1_3genE2ELNS1_11target_archE906ELNS1_3gpuE6ELNS1_3repE0EEENS1_30default_config_static_selectorELNS0_4arch9wavefront6targetE1EEEvT1_ ; -- Begin function _ZN7rocprim17ROCPRIM_400000_NS6detail17trampoline_kernelINS0_14default_configENS1_29reduce_by_key_config_selectorIssN6thrust23THRUST_200600_302600_NS4plusIsEEEEZZNS1_33reduce_by_key_impl_wrapped_configILNS1_25lookback_scan_determinismE0ES3_S9_NS6_6detail15normal_iteratorINS6_10device_ptrIsEEEESG_SG_SG_PmS8_NS6_8equal_toIsEEEE10hipError_tPvRmT2_T3_mT4_T5_T6_T7_T8_P12ihipStream_tbENKUlT_T0_E_clISt17integral_constantIbLb1EES10_IbLb0EEEEDaSW_SX_EUlSW_E_NS1_11comp_targetILNS1_3genE2ELNS1_11target_archE906ELNS1_3gpuE6ELNS1_3repE0EEENS1_30default_config_static_selectorELNS0_4arch9wavefront6targetE1EEEvT1_
	.globl	_ZN7rocprim17ROCPRIM_400000_NS6detail17trampoline_kernelINS0_14default_configENS1_29reduce_by_key_config_selectorIssN6thrust23THRUST_200600_302600_NS4plusIsEEEEZZNS1_33reduce_by_key_impl_wrapped_configILNS1_25lookback_scan_determinismE0ES3_S9_NS6_6detail15normal_iteratorINS6_10device_ptrIsEEEESG_SG_SG_PmS8_NS6_8equal_toIsEEEE10hipError_tPvRmT2_T3_mT4_T5_T6_T7_T8_P12ihipStream_tbENKUlT_T0_E_clISt17integral_constantIbLb1EES10_IbLb0EEEEDaSW_SX_EUlSW_E_NS1_11comp_targetILNS1_3genE2ELNS1_11target_archE906ELNS1_3gpuE6ELNS1_3repE0EEENS1_30default_config_static_selectorELNS0_4arch9wavefront6targetE1EEEvT1_
	.p2align	8
	.type	_ZN7rocprim17ROCPRIM_400000_NS6detail17trampoline_kernelINS0_14default_configENS1_29reduce_by_key_config_selectorIssN6thrust23THRUST_200600_302600_NS4plusIsEEEEZZNS1_33reduce_by_key_impl_wrapped_configILNS1_25lookback_scan_determinismE0ES3_S9_NS6_6detail15normal_iteratorINS6_10device_ptrIsEEEESG_SG_SG_PmS8_NS6_8equal_toIsEEEE10hipError_tPvRmT2_T3_mT4_T5_T6_T7_T8_P12ihipStream_tbENKUlT_T0_E_clISt17integral_constantIbLb1EES10_IbLb0EEEEDaSW_SX_EUlSW_E_NS1_11comp_targetILNS1_3genE2ELNS1_11target_archE906ELNS1_3gpuE6ELNS1_3repE0EEENS1_30default_config_static_selectorELNS0_4arch9wavefront6targetE1EEEvT1_,@function
_ZN7rocprim17ROCPRIM_400000_NS6detail17trampoline_kernelINS0_14default_configENS1_29reduce_by_key_config_selectorIssN6thrust23THRUST_200600_302600_NS4plusIsEEEEZZNS1_33reduce_by_key_impl_wrapped_configILNS1_25lookback_scan_determinismE0ES3_S9_NS6_6detail15normal_iteratorINS6_10device_ptrIsEEEESG_SG_SG_PmS8_NS6_8equal_toIsEEEE10hipError_tPvRmT2_T3_mT4_T5_T6_T7_T8_P12ihipStream_tbENKUlT_T0_E_clISt17integral_constantIbLb1EES10_IbLb0EEEEDaSW_SX_EUlSW_E_NS1_11comp_targetILNS1_3genE2ELNS1_11target_archE906ELNS1_3gpuE6ELNS1_3repE0EEENS1_30default_config_static_selectorELNS0_4arch9wavefront6targetE1EEEvT1_: ; @_ZN7rocprim17ROCPRIM_400000_NS6detail17trampoline_kernelINS0_14default_configENS1_29reduce_by_key_config_selectorIssN6thrust23THRUST_200600_302600_NS4plusIsEEEEZZNS1_33reduce_by_key_impl_wrapped_configILNS1_25lookback_scan_determinismE0ES3_S9_NS6_6detail15normal_iteratorINS6_10device_ptrIsEEEESG_SG_SG_PmS8_NS6_8equal_toIsEEEE10hipError_tPvRmT2_T3_mT4_T5_T6_T7_T8_P12ihipStream_tbENKUlT_T0_E_clISt17integral_constantIbLb1EES10_IbLb0EEEEDaSW_SX_EUlSW_E_NS1_11comp_targetILNS1_3genE2ELNS1_11target_archE906ELNS1_3gpuE6ELNS1_3repE0EEENS1_30default_config_static_selectorELNS0_4arch9wavefront6targetE1EEEvT1_
; %bb.0:
	.section	.rodata,"a",@progbits
	.p2align	6, 0x0
	.amdhsa_kernel _ZN7rocprim17ROCPRIM_400000_NS6detail17trampoline_kernelINS0_14default_configENS1_29reduce_by_key_config_selectorIssN6thrust23THRUST_200600_302600_NS4plusIsEEEEZZNS1_33reduce_by_key_impl_wrapped_configILNS1_25lookback_scan_determinismE0ES3_S9_NS6_6detail15normal_iteratorINS6_10device_ptrIsEEEESG_SG_SG_PmS8_NS6_8equal_toIsEEEE10hipError_tPvRmT2_T3_mT4_T5_T6_T7_T8_P12ihipStream_tbENKUlT_T0_E_clISt17integral_constantIbLb1EES10_IbLb0EEEEDaSW_SX_EUlSW_E_NS1_11comp_targetILNS1_3genE2ELNS1_11target_archE906ELNS1_3gpuE6ELNS1_3repE0EEENS1_30default_config_static_selectorELNS0_4arch9wavefront6targetE1EEEvT1_
		.amdhsa_group_segment_fixed_size 0
		.amdhsa_private_segment_fixed_size 0
		.amdhsa_kernarg_size 120
		.amdhsa_user_sgpr_count 6
		.amdhsa_user_sgpr_private_segment_buffer 1
		.amdhsa_user_sgpr_dispatch_ptr 0
		.amdhsa_user_sgpr_queue_ptr 0
		.amdhsa_user_sgpr_kernarg_segment_ptr 1
		.amdhsa_user_sgpr_dispatch_id 0
		.amdhsa_user_sgpr_flat_scratch_init 0
		.amdhsa_user_sgpr_kernarg_preload_length 0
		.amdhsa_user_sgpr_kernarg_preload_offset 0
		.amdhsa_user_sgpr_private_segment_size 0
		.amdhsa_uses_dynamic_stack 0
		.amdhsa_system_sgpr_private_segment_wavefront_offset 0
		.amdhsa_system_sgpr_workgroup_id_x 1
		.amdhsa_system_sgpr_workgroup_id_y 0
		.amdhsa_system_sgpr_workgroup_id_z 0
		.amdhsa_system_sgpr_workgroup_info 0
		.amdhsa_system_vgpr_workitem_id 0
		.amdhsa_next_free_vgpr 1
		.amdhsa_next_free_sgpr 0
		.amdhsa_accum_offset 4
		.amdhsa_reserve_vcc 0
		.amdhsa_reserve_flat_scratch 0
		.amdhsa_float_round_mode_32 0
		.amdhsa_float_round_mode_16_64 0
		.amdhsa_float_denorm_mode_32 3
		.amdhsa_float_denorm_mode_16_64 3
		.amdhsa_dx10_clamp 1
		.amdhsa_ieee_mode 1
		.amdhsa_fp16_overflow 0
		.amdhsa_tg_split 0
		.amdhsa_exception_fp_ieee_invalid_op 0
		.amdhsa_exception_fp_denorm_src 0
		.amdhsa_exception_fp_ieee_div_zero 0
		.amdhsa_exception_fp_ieee_overflow 0
		.amdhsa_exception_fp_ieee_underflow 0
		.amdhsa_exception_fp_ieee_inexact 0
		.amdhsa_exception_int_div_zero 0
	.end_amdhsa_kernel
	.section	.text._ZN7rocprim17ROCPRIM_400000_NS6detail17trampoline_kernelINS0_14default_configENS1_29reduce_by_key_config_selectorIssN6thrust23THRUST_200600_302600_NS4plusIsEEEEZZNS1_33reduce_by_key_impl_wrapped_configILNS1_25lookback_scan_determinismE0ES3_S9_NS6_6detail15normal_iteratorINS6_10device_ptrIsEEEESG_SG_SG_PmS8_NS6_8equal_toIsEEEE10hipError_tPvRmT2_T3_mT4_T5_T6_T7_T8_P12ihipStream_tbENKUlT_T0_E_clISt17integral_constantIbLb1EES10_IbLb0EEEEDaSW_SX_EUlSW_E_NS1_11comp_targetILNS1_3genE2ELNS1_11target_archE906ELNS1_3gpuE6ELNS1_3repE0EEENS1_30default_config_static_selectorELNS0_4arch9wavefront6targetE1EEEvT1_,"axG",@progbits,_ZN7rocprim17ROCPRIM_400000_NS6detail17trampoline_kernelINS0_14default_configENS1_29reduce_by_key_config_selectorIssN6thrust23THRUST_200600_302600_NS4plusIsEEEEZZNS1_33reduce_by_key_impl_wrapped_configILNS1_25lookback_scan_determinismE0ES3_S9_NS6_6detail15normal_iteratorINS6_10device_ptrIsEEEESG_SG_SG_PmS8_NS6_8equal_toIsEEEE10hipError_tPvRmT2_T3_mT4_T5_T6_T7_T8_P12ihipStream_tbENKUlT_T0_E_clISt17integral_constantIbLb1EES10_IbLb0EEEEDaSW_SX_EUlSW_E_NS1_11comp_targetILNS1_3genE2ELNS1_11target_archE906ELNS1_3gpuE6ELNS1_3repE0EEENS1_30default_config_static_selectorELNS0_4arch9wavefront6targetE1EEEvT1_,comdat
.Lfunc_end646:
	.size	_ZN7rocprim17ROCPRIM_400000_NS6detail17trampoline_kernelINS0_14default_configENS1_29reduce_by_key_config_selectorIssN6thrust23THRUST_200600_302600_NS4plusIsEEEEZZNS1_33reduce_by_key_impl_wrapped_configILNS1_25lookback_scan_determinismE0ES3_S9_NS6_6detail15normal_iteratorINS6_10device_ptrIsEEEESG_SG_SG_PmS8_NS6_8equal_toIsEEEE10hipError_tPvRmT2_T3_mT4_T5_T6_T7_T8_P12ihipStream_tbENKUlT_T0_E_clISt17integral_constantIbLb1EES10_IbLb0EEEEDaSW_SX_EUlSW_E_NS1_11comp_targetILNS1_3genE2ELNS1_11target_archE906ELNS1_3gpuE6ELNS1_3repE0EEENS1_30default_config_static_selectorELNS0_4arch9wavefront6targetE1EEEvT1_, .Lfunc_end646-_ZN7rocprim17ROCPRIM_400000_NS6detail17trampoline_kernelINS0_14default_configENS1_29reduce_by_key_config_selectorIssN6thrust23THRUST_200600_302600_NS4plusIsEEEEZZNS1_33reduce_by_key_impl_wrapped_configILNS1_25lookback_scan_determinismE0ES3_S9_NS6_6detail15normal_iteratorINS6_10device_ptrIsEEEESG_SG_SG_PmS8_NS6_8equal_toIsEEEE10hipError_tPvRmT2_T3_mT4_T5_T6_T7_T8_P12ihipStream_tbENKUlT_T0_E_clISt17integral_constantIbLb1EES10_IbLb0EEEEDaSW_SX_EUlSW_E_NS1_11comp_targetILNS1_3genE2ELNS1_11target_archE906ELNS1_3gpuE6ELNS1_3repE0EEENS1_30default_config_static_selectorELNS0_4arch9wavefront6targetE1EEEvT1_
                                        ; -- End function
	.section	.AMDGPU.csdata,"",@progbits
; Kernel info:
; codeLenInByte = 0
; NumSgprs: 4
; NumVgprs: 0
; NumAgprs: 0
; TotalNumVgprs: 0
; ScratchSize: 0
; MemoryBound: 0
; FloatMode: 240
; IeeeMode: 1
; LDSByteSize: 0 bytes/workgroup (compile time only)
; SGPRBlocks: 0
; VGPRBlocks: 0
; NumSGPRsForWavesPerEU: 4
; NumVGPRsForWavesPerEU: 1
; AccumOffset: 4
; Occupancy: 8
; WaveLimiterHint : 0
; COMPUTE_PGM_RSRC2:SCRATCH_EN: 0
; COMPUTE_PGM_RSRC2:USER_SGPR: 6
; COMPUTE_PGM_RSRC2:TRAP_HANDLER: 0
; COMPUTE_PGM_RSRC2:TGID_X_EN: 1
; COMPUTE_PGM_RSRC2:TGID_Y_EN: 0
; COMPUTE_PGM_RSRC2:TGID_Z_EN: 0
; COMPUTE_PGM_RSRC2:TIDIG_COMP_CNT: 0
; COMPUTE_PGM_RSRC3_GFX90A:ACCUM_OFFSET: 0
; COMPUTE_PGM_RSRC3_GFX90A:TG_SPLIT: 0
	.section	.text._ZN7rocprim17ROCPRIM_400000_NS6detail17trampoline_kernelINS0_14default_configENS1_29reduce_by_key_config_selectorIssN6thrust23THRUST_200600_302600_NS4plusIsEEEEZZNS1_33reduce_by_key_impl_wrapped_configILNS1_25lookback_scan_determinismE0ES3_S9_NS6_6detail15normal_iteratorINS6_10device_ptrIsEEEESG_SG_SG_PmS8_NS6_8equal_toIsEEEE10hipError_tPvRmT2_T3_mT4_T5_T6_T7_T8_P12ihipStream_tbENKUlT_T0_E_clISt17integral_constantIbLb1EES10_IbLb0EEEEDaSW_SX_EUlSW_E_NS1_11comp_targetILNS1_3genE10ELNS1_11target_archE1201ELNS1_3gpuE5ELNS1_3repE0EEENS1_30default_config_static_selectorELNS0_4arch9wavefront6targetE1EEEvT1_,"axG",@progbits,_ZN7rocprim17ROCPRIM_400000_NS6detail17trampoline_kernelINS0_14default_configENS1_29reduce_by_key_config_selectorIssN6thrust23THRUST_200600_302600_NS4plusIsEEEEZZNS1_33reduce_by_key_impl_wrapped_configILNS1_25lookback_scan_determinismE0ES3_S9_NS6_6detail15normal_iteratorINS6_10device_ptrIsEEEESG_SG_SG_PmS8_NS6_8equal_toIsEEEE10hipError_tPvRmT2_T3_mT4_T5_T6_T7_T8_P12ihipStream_tbENKUlT_T0_E_clISt17integral_constantIbLb1EES10_IbLb0EEEEDaSW_SX_EUlSW_E_NS1_11comp_targetILNS1_3genE10ELNS1_11target_archE1201ELNS1_3gpuE5ELNS1_3repE0EEENS1_30default_config_static_selectorELNS0_4arch9wavefront6targetE1EEEvT1_,comdat
	.protected	_ZN7rocprim17ROCPRIM_400000_NS6detail17trampoline_kernelINS0_14default_configENS1_29reduce_by_key_config_selectorIssN6thrust23THRUST_200600_302600_NS4plusIsEEEEZZNS1_33reduce_by_key_impl_wrapped_configILNS1_25lookback_scan_determinismE0ES3_S9_NS6_6detail15normal_iteratorINS6_10device_ptrIsEEEESG_SG_SG_PmS8_NS6_8equal_toIsEEEE10hipError_tPvRmT2_T3_mT4_T5_T6_T7_T8_P12ihipStream_tbENKUlT_T0_E_clISt17integral_constantIbLb1EES10_IbLb0EEEEDaSW_SX_EUlSW_E_NS1_11comp_targetILNS1_3genE10ELNS1_11target_archE1201ELNS1_3gpuE5ELNS1_3repE0EEENS1_30default_config_static_selectorELNS0_4arch9wavefront6targetE1EEEvT1_ ; -- Begin function _ZN7rocprim17ROCPRIM_400000_NS6detail17trampoline_kernelINS0_14default_configENS1_29reduce_by_key_config_selectorIssN6thrust23THRUST_200600_302600_NS4plusIsEEEEZZNS1_33reduce_by_key_impl_wrapped_configILNS1_25lookback_scan_determinismE0ES3_S9_NS6_6detail15normal_iteratorINS6_10device_ptrIsEEEESG_SG_SG_PmS8_NS6_8equal_toIsEEEE10hipError_tPvRmT2_T3_mT4_T5_T6_T7_T8_P12ihipStream_tbENKUlT_T0_E_clISt17integral_constantIbLb1EES10_IbLb0EEEEDaSW_SX_EUlSW_E_NS1_11comp_targetILNS1_3genE10ELNS1_11target_archE1201ELNS1_3gpuE5ELNS1_3repE0EEENS1_30default_config_static_selectorELNS0_4arch9wavefront6targetE1EEEvT1_
	.globl	_ZN7rocprim17ROCPRIM_400000_NS6detail17trampoline_kernelINS0_14default_configENS1_29reduce_by_key_config_selectorIssN6thrust23THRUST_200600_302600_NS4plusIsEEEEZZNS1_33reduce_by_key_impl_wrapped_configILNS1_25lookback_scan_determinismE0ES3_S9_NS6_6detail15normal_iteratorINS6_10device_ptrIsEEEESG_SG_SG_PmS8_NS6_8equal_toIsEEEE10hipError_tPvRmT2_T3_mT4_T5_T6_T7_T8_P12ihipStream_tbENKUlT_T0_E_clISt17integral_constantIbLb1EES10_IbLb0EEEEDaSW_SX_EUlSW_E_NS1_11comp_targetILNS1_3genE10ELNS1_11target_archE1201ELNS1_3gpuE5ELNS1_3repE0EEENS1_30default_config_static_selectorELNS0_4arch9wavefront6targetE1EEEvT1_
	.p2align	8
	.type	_ZN7rocprim17ROCPRIM_400000_NS6detail17trampoline_kernelINS0_14default_configENS1_29reduce_by_key_config_selectorIssN6thrust23THRUST_200600_302600_NS4plusIsEEEEZZNS1_33reduce_by_key_impl_wrapped_configILNS1_25lookback_scan_determinismE0ES3_S9_NS6_6detail15normal_iteratorINS6_10device_ptrIsEEEESG_SG_SG_PmS8_NS6_8equal_toIsEEEE10hipError_tPvRmT2_T3_mT4_T5_T6_T7_T8_P12ihipStream_tbENKUlT_T0_E_clISt17integral_constantIbLb1EES10_IbLb0EEEEDaSW_SX_EUlSW_E_NS1_11comp_targetILNS1_3genE10ELNS1_11target_archE1201ELNS1_3gpuE5ELNS1_3repE0EEENS1_30default_config_static_selectorELNS0_4arch9wavefront6targetE1EEEvT1_,@function
_ZN7rocprim17ROCPRIM_400000_NS6detail17trampoline_kernelINS0_14default_configENS1_29reduce_by_key_config_selectorIssN6thrust23THRUST_200600_302600_NS4plusIsEEEEZZNS1_33reduce_by_key_impl_wrapped_configILNS1_25lookback_scan_determinismE0ES3_S9_NS6_6detail15normal_iteratorINS6_10device_ptrIsEEEESG_SG_SG_PmS8_NS6_8equal_toIsEEEE10hipError_tPvRmT2_T3_mT4_T5_T6_T7_T8_P12ihipStream_tbENKUlT_T0_E_clISt17integral_constantIbLb1EES10_IbLb0EEEEDaSW_SX_EUlSW_E_NS1_11comp_targetILNS1_3genE10ELNS1_11target_archE1201ELNS1_3gpuE5ELNS1_3repE0EEENS1_30default_config_static_selectorELNS0_4arch9wavefront6targetE1EEEvT1_: ; @_ZN7rocprim17ROCPRIM_400000_NS6detail17trampoline_kernelINS0_14default_configENS1_29reduce_by_key_config_selectorIssN6thrust23THRUST_200600_302600_NS4plusIsEEEEZZNS1_33reduce_by_key_impl_wrapped_configILNS1_25lookback_scan_determinismE0ES3_S9_NS6_6detail15normal_iteratorINS6_10device_ptrIsEEEESG_SG_SG_PmS8_NS6_8equal_toIsEEEE10hipError_tPvRmT2_T3_mT4_T5_T6_T7_T8_P12ihipStream_tbENKUlT_T0_E_clISt17integral_constantIbLb1EES10_IbLb0EEEEDaSW_SX_EUlSW_E_NS1_11comp_targetILNS1_3genE10ELNS1_11target_archE1201ELNS1_3gpuE5ELNS1_3repE0EEENS1_30default_config_static_selectorELNS0_4arch9wavefront6targetE1EEEvT1_
; %bb.0:
	.section	.rodata,"a",@progbits
	.p2align	6, 0x0
	.amdhsa_kernel _ZN7rocprim17ROCPRIM_400000_NS6detail17trampoline_kernelINS0_14default_configENS1_29reduce_by_key_config_selectorIssN6thrust23THRUST_200600_302600_NS4plusIsEEEEZZNS1_33reduce_by_key_impl_wrapped_configILNS1_25lookback_scan_determinismE0ES3_S9_NS6_6detail15normal_iteratorINS6_10device_ptrIsEEEESG_SG_SG_PmS8_NS6_8equal_toIsEEEE10hipError_tPvRmT2_T3_mT4_T5_T6_T7_T8_P12ihipStream_tbENKUlT_T0_E_clISt17integral_constantIbLb1EES10_IbLb0EEEEDaSW_SX_EUlSW_E_NS1_11comp_targetILNS1_3genE10ELNS1_11target_archE1201ELNS1_3gpuE5ELNS1_3repE0EEENS1_30default_config_static_selectorELNS0_4arch9wavefront6targetE1EEEvT1_
		.amdhsa_group_segment_fixed_size 0
		.amdhsa_private_segment_fixed_size 0
		.amdhsa_kernarg_size 120
		.amdhsa_user_sgpr_count 6
		.amdhsa_user_sgpr_private_segment_buffer 1
		.amdhsa_user_sgpr_dispatch_ptr 0
		.amdhsa_user_sgpr_queue_ptr 0
		.amdhsa_user_sgpr_kernarg_segment_ptr 1
		.amdhsa_user_sgpr_dispatch_id 0
		.amdhsa_user_sgpr_flat_scratch_init 0
		.amdhsa_user_sgpr_kernarg_preload_length 0
		.amdhsa_user_sgpr_kernarg_preload_offset 0
		.amdhsa_user_sgpr_private_segment_size 0
		.amdhsa_uses_dynamic_stack 0
		.amdhsa_system_sgpr_private_segment_wavefront_offset 0
		.amdhsa_system_sgpr_workgroup_id_x 1
		.amdhsa_system_sgpr_workgroup_id_y 0
		.amdhsa_system_sgpr_workgroup_id_z 0
		.amdhsa_system_sgpr_workgroup_info 0
		.amdhsa_system_vgpr_workitem_id 0
		.amdhsa_next_free_vgpr 1
		.amdhsa_next_free_sgpr 0
		.amdhsa_accum_offset 4
		.amdhsa_reserve_vcc 0
		.amdhsa_reserve_flat_scratch 0
		.amdhsa_float_round_mode_32 0
		.amdhsa_float_round_mode_16_64 0
		.amdhsa_float_denorm_mode_32 3
		.amdhsa_float_denorm_mode_16_64 3
		.amdhsa_dx10_clamp 1
		.amdhsa_ieee_mode 1
		.amdhsa_fp16_overflow 0
		.amdhsa_tg_split 0
		.amdhsa_exception_fp_ieee_invalid_op 0
		.amdhsa_exception_fp_denorm_src 0
		.amdhsa_exception_fp_ieee_div_zero 0
		.amdhsa_exception_fp_ieee_overflow 0
		.amdhsa_exception_fp_ieee_underflow 0
		.amdhsa_exception_fp_ieee_inexact 0
		.amdhsa_exception_int_div_zero 0
	.end_amdhsa_kernel
	.section	.text._ZN7rocprim17ROCPRIM_400000_NS6detail17trampoline_kernelINS0_14default_configENS1_29reduce_by_key_config_selectorIssN6thrust23THRUST_200600_302600_NS4plusIsEEEEZZNS1_33reduce_by_key_impl_wrapped_configILNS1_25lookback_scan_determinismE0ES3_S9_NS6_6detail15normal_iteratorINS6_10device_ptrIsEEEESG_SG_SG_PmS8_NS6_8equal_toIsEEEE10hipError_tPvRmT2_T3_mT4_T5_T6_T7_T8_P12ihipStream_tbENKUlT_T0_E_clISt17integral_constantIbLb1EES10_IbLb0EEEEDaSW_SX_EUlSW_E_NS1_11comp_targetILNS1_3genE10ELNS1_11target_archE1201ELNS1_3gpuE5ELNS1_3repE0EEENS1_30default_config_static_selectorELNS0_4arch9wavefront6targetE1EEEvT1_,"axG",@progbits,_ZN7rocprim17ROCPRIM_400000_NS6detail17trampoline_kernelINS0_14default_configENS1_29reduce_by_key_config_selectorIssN6thrust23THRUST_200600_302600_NS4plusIsEEEEZZNS1_33reduce_by_key_impl_wrapped_configILNS1_25lookback_scan_determinismE0ES3_S9_NS6_6detail15normal_iteratorINS6_10device_ptrIsEEEESG_SG_SG_PmS8_NS6_8equal_toIsEEEE10hipError_tPvRmT2_T3_mT4_T5_T6_T7_T8_P12ihipStream_tbENKUlT_T0_E_clISt17integral_constantIbLb1EES10_IbLb0EEEEDaSW_SX_EUlSW_E_NS1_11comp_targetILNS1_3genE10ELNS1_11target_archE1201ELNS1_3gpuE5ELNS1_3repE0EEENS1_30default_config_static_selectorELNS0_4arch9wavefront6targetE1EEEvT1_,comdat
.Lfunc_end647:
	.size	_ZN7rocprim17ROCPRIM_400000_NS6detail17trampoline_kernelINS0_14default_configENS1_29reduce_by_key_config_selectorIssN6thrust23THRUST_200600_302600_NS4plusIsEEEEZZNS1_33reduce_by_key_impl_wrapped_configILNS1_25lookback_scan_determinismE0ES3_S9_NS6_6detail15normal_iteratorINS6_10device_ptrIsEEEESG_SG_SG_PmS8_NS6_8equal_toIsEEEE10hipError_tPvRmT2_T3_mT4_T5_T6_T7_T8_P12ihipStream_tbENKUlT_T0_E_clISt17integral_constantIbLb1EES10_IbLb0EEEEDaSW_SX_EUlSW_E_NS1_11comp_targetILNS1_3genE10ELNS1_11target_archE1201ELNS1_3gpuE5ELNS1_3repE0EEENS1_30default_config_static_selectorELNS0_4arch9wavefront6targetE1EEEvT1_, .Lfunc_end647-_ZN7rocprim17ROCPRIM_400000_NS6detail17trampoline_kernelINS0_14default_configENS1_29reduce_by_key_config_selectorIssN6thrust23THRUST_200600_302600_NS4plusIsEEEEZZNS1_33reduce_by_key_impl_wrapped_configILNS1_25lookback_scan_determinismE0ES3_S9_NS6_6detail15normal_iteratorINS6_10device_ptrIsEEEESG_SG_SG_PmS8_NS6_8equal_toIsEEEE10hipError_tPvRmT2_T3_mT4_T5_T6_T7_T8_P12ihipStream_tbENKUlT_T0_E_clISt17integral_constantIbLb1EES10_IbLb0EEEEDaSW_SX_EUlSW_E_NS1_11comp_targetILNS1_3genE10ELNS1_11target_archE1201ELNS1_3gpuE5ELNS1_3repE0EEENS1_30default_config_static_selectorELNS0_4arch9wavefront6targetE1EEEvT1_
                                        ; -- End function
	.section	.AMDGPU.csdata,"",@progbits
; Kernel info:
; codeLenInByte = 0
; NumSgprs: 4
; NumVgprs: 0
; NumAgprs: 0
; TotalNumVgprs: 0
; ScratchSize: 0
; MemoryBound: 0
; FloatMode: 240
; IeeeMode: 1
; LDSByteSize: 0 bytes/workgroup (compile time only)
; SGPRBlocks: 0
; VGPRBlocks: 0
; NumSGPRsForWavesPerEU: 4
; NumVGPRsForWavesPerEU: 1
; AccumOffset: 4
; Occupancy: 8
; WaveLimiterHint : 0
; COMPUTE_PGM_RSRC2:SCRATCH_EN: 0
; COMPUTE_PGM_RSRC2:USER_SGPR: 6
; COMPUTE_PGM_RSRC2:TRAP_HANDLER: 0
; COMPUTE_PGM_RSRC2:TGID_X_EN: 1
; COMPUTE_PGM_RSRC2:TGID_Y_EN: 0
; COMPUTE_PGM_RSRC2:TGID_Z_EN: 0
; COMPUTE_PGM_RSRC2:TIDIG_COMP_CNT: 0
; COMPUTE_PGM_RSRC3_GFX90A:ACCUM_OFFSET: 0
; COMPUTE_PGM_RSRC3_GFX90A:TG_SPLIT: 0
	.section	.text._ZN7rocprim17ROCPRIM_400000_NS6detail17trampoline_kernelINS0_14default_configENS1_29reduce_by_key_config_selectorIssN6thrust23THRUST_200600_302600_NS4plusIsEEEEZZNS1_33reduce_by_key_impl_wrapped_configILNS1_25lookback_scan_determinismE0ES3_S9_NS6_6detail15normal_iteratorINS6_10device_ptrIsEEEESG_SG_SG_PmS8_NS6_8equal_toIsEEEE10hipError_tPvRmT2_T3_mT4_T5_T6_T7_T8_P12ihipStream_tbENKUlT_T0_E_clISt17integral_constantIbLb1EES10_IbLb0EEEEDaSW_SX_EUlSW_E_NS1_11comp_targetILNS1_3genE10ELNS1_11target_archE1200ELNS1_3gpuE4ELNS1_3repE0EEENS1_30default_config_static_selectorELNS0_4arch9wavefront6targetE1EEEvT1_,"axG",@progbits,_ZN7rocprim17ROCPRIM_400000_NS6detail17trampoline_kernelINS0_14default_configENS1_29reduce_by_key_config_selectorIssN6thrust23THRUST_200600_302600_NS4plusIsEEEEZZNS1_33reduce_by_key_impl_wrapped_configILNS1_25lookback_scan_determinismE0ES3_S9_NS6_6detail15normal_iteratorINS6_10device_ptrIsEEEESG_SG_SG_PmS8_NS6_8equal_toIsEEEE10hipError_tPvRmT2_T3_mT4_T5_T6_T7_T8_P12ihipStream_tbENKUlT_T0_E_clISt17integral_constantIbLb1EES10_IbLb0EEEEDaSW_SX_EUlSW_E_NS1_11comp_targetILNS1_3genE10ELNS1_11target_archE1200ELNS1_3gpuE4ELNS1_3repE0EEENS1_30default_config_static_selectorELNS0_4arch9wavefront6targetE1EEEvT1_,comdat
	.protected	_ZN7rocprim17ROCPRIM_400000_NS6detail17trampoline_kernelINS0_14default_configENS1_29reduce_by_key_config_selectorIssN6thrust23THRUST_200600_302600_NS4plusIsEEEEZZNS1_33reduce_by_key_impl_wrapped_configILNS1_25lookback_scan_determinismE0ES3_S9_NS6_6detail15normal_iteratorINS6_10device_ptrIsEEEESG_SG_SG_PmS8_NS6_8equal_toIsEEEE10hipError_tPvRmT2_T3_mT4_T5_T6_T7_T8_P12ihipStream_tbENKUlT_T0_E_clISt17integral_constantIbLb1EES10_IbLb0EEEEDaSW_SX_EUlSW_E_NS1_11comp_targetILNS1_3genE10ELNS1_11target_archE1200ELNS1_3gpuE4ELNS1_3repE0EEENS1_30default_config_static_selectorELNS0_4arch9wavefront6targetE1EEEvT1_ ; -- Begin function _ZN7rocprim17ROCPRIM_400000_NS6detail17trampoline_kernelINS0_14default_configENS1_29reduce_by_key_config_selectorIssN6thrust23THRUST_200600_302600_NS4plusIsEEEEZZNS1_33reduce_by_key_impl_wrapped_configILNS1_25lookback_scan_determinismE0ES3_S9_NS6_6detail15normal_iteratorINS6_10device_ptrIsEEEESG_SG_SG_PmS8_NS6_8equal_toIsEEEE10hipError_tPvRmT2_T3_mT4_T5_T6_T7_T8_P12ihipStream_tbENKUlT_T0_E_clISt17integral_constantIbLb1EES10_IbLb0EEEEDaSW_SX_EUlSW_E_NS1_11comp_targetILNS1_3genE10ELNS1_11target_archE1200ELNS1_3gpuE4ELNS1_3repE0EEENS1_30default_config_static_selectorELNS0_4arch9wavefront6targetE1EEEvT1_
	.globl	_ZN7rocprim17ROCPRIM_400000_NS6detail17trampoline_kernelINS0_14default_configENS1_29reduce_by_key_config_selectorIssN6thrust23THRUST_200600_302600_NS4plusIsEEEEZZNS1_33reduce_by_key_impl_wrapped_configILNS1_25lookback_scan_determinismE0ES3_S9_NS6_6detail15normal_iteratorINS6_10device_ptrIsEEEESG_SG_SG_PmS8_NS6_8equal_toIsEEEE10hipError_tPvRmT2_T3_mT4_T5_T6_T7_T8_P12ihipStream_tbENKUlT_T0_E_clISt17integral_constantIbLb1EES10_IbLb0EEEEDaSW_SX_EUlSW_E_NS1_11comp_targetILNS1_3genE10ELNS1_11target_archE1200ELNS1_3gpuE4ELNS1_3repE0EEENS1_30default_config_static_selectorELNS0_4arch9wavefront6targetE1EEEvT1_
	.p2align	8
	.type	_ZN7rocprim17ROCPRIM_400000_NS6detail17trampoline_kernelINS0_14default_configENS1_29reduce_by_key_config_selectorIssN6thrust23THRUST_200600_302600_NS4plusIsEEEEZZNS1_33reduce_by_key_impl_wrapped_configILNS1_25lookback_scan_determinismE0ES3_S9_NS6_6detail15normal_iteratorINS6_10device_ptrIsEEEESG_SG_SG_PmS8_NS6_8equal_toIsEEEE10hipError_tPvRmT2_T3_mT4_T5_T6_T7_T8_P12ihipStream_tbENKUlT_T0_E_clISt17integral_constantIbLb1EES10_IbLb0EEEEDaSW_SX_EUlSW_E_NS1_11comp_targetILNS1_3genE10ELNS1_11target_archE1200ELNS1_3gpuE4ELNS1_3repE0EEENS1_30default_config_static_selectorELNS0_4arch9wavefront6targetE1EEEvT1_,@function
_ZN7rocprim17ROCPRIM_400000_NS6detail17trampoline_kernelINS0_14default_configENS1_29reduce_by_key_config_selectorIssN6thrust23THRUST_200600_302600_NS4plusIsEEEEZZNS1_33reduce_by_key_impl_wrapped_configILNS1_25lookback_scan_determinismE0ES3_S9_NS6_6detail15normal_iteratorINS6_10device_ptrIsEEEESG_SG_SG_PmS8_NS6_8equal_toIsEEEE10hipError_tPvRmT2_T3_mT4_T5_T6_T7_T8_P12ihipStream_tbENKUlT_T0_E_clISt17integral_constantIbLb1EES10_IbLb0EEEEDaSW_SX_EUlSW_E_NS1_11comp_targetILNS1_3genE10ELNS1_11target_archE1200ELNS1_3gpuE4ELNS1_3repE0EEENS1_30default_config_static_selectorELNS0_4arch9wavefront6targetE1EEEvT1_: ; @_ZN7rocprim17ROCPRIM_400000_NS6detail17trampoline_kernelINS0_14default_configENS1_29reduce_by_key_config_selectorIssN6thrust23THRUST_200600_302600_NS4plusIsEEEEZZNS1_33reduce_by_key_impl_wrapped_configILNS1_25lookback_scan_determinismE0ES3_S9_NS6_6detail15normal_iteratorINS6_10device_ptrIsEEEESG_SG_SG_PmS8_NS6_8equal_toIsEEEE10hipError_tPvRmT2_T3_mT4_T5_T6_T7_T8_P12ihipStream_tbENKUlT_T0_E_clISt17integral_constantIbLb1EES10_IbLb0EEEEDaSW_SX_EUlSW_E_NS1_11comp_targetILNS1_3genE10ELNS1_11target_archE1200ELNS1_3gpuE4ELNS1_3repE0EEENS1_30default_config_static_selectorELNS0_4arch9wavefront6targetE1EEEvT1_
; %bb.0:
	.section	.rodata,"a",@progbits
	.p2align	6, 0x0
	.amdhsa_kernel _ZN7rocprim17ROCPRIM_400000_NS6detail17trampoline_kernelINS0_14default_configENS1_29reduce_by_key_config_selectorIssN6thrust23THRUST_200600_302600_NS4plusIsEEEEZZNS1_33reduce_by_key_impl_wrapped_configILNS1_25lookback_scan_determinismE0ES3_S9_NS6_6detail15normal_iteratorINS6_10device_ptrIsEEEESG_SG_SG_PmS8_NS6_8equal_toIsEEEE10hipError_tPvRmT2_T3_mT4_T5_T6_T7_T8_P12ihipStream_tbENKUlT_T0_E_clISt17integral_constantIbLb1EES10_IbLb0EEEEDaSW_SX_EUlSW_E_NS1_11comp_targetILNS1_3genE10ELNS1_11target_archE1200ELNS1_3gpuE4ELNS1_3repE0EEENS1_30default_config_static_selectorELNS0_4arch9wavefront6targetE1EEEvT1_
		.amdhsa_group_segment_fixed_size 0
		.amdhsa_private_segment_fixed_size 0
		.amdhsa_kernarg_size 120
		.amdhsa_user_sgpr_count 6
		.amdhsa_user_sgpr_private_segment_buffer 1
		.amdhsa_user_sgpr_dispatch_ptr 0
		.amdhsa_user_sgpr_queue_ptr 0
		.amdhsa_user_sgpr_kernarg_segment_ptr 1
		.amdhsa_user_sgpr_dispatch_id 0
		.amdhsa_user_sgpr_flat_scratch_init 0
		.amdhsa_user_sgpr_kernarg_preload_length 0
		.amdhsa_user_sgpr_kernarg_preload_offset 0
		.amdhsa_user_sgpr_private_segment_size 0
		.amdhsa_uses_dynamic_stack 0
		.amdhsa_system_sgpr_private_segment_wavefront_offset 0
		.amdhsa_system_sgpr_workgroup_id_x 1
		.amdhsa_system_sgpr_workgroup_id_y 0
		.amdhsa_system_sgpr_workgroup_id_z 0
		.amdhsa_system_sgpr_workgroup_info 0
		.amdhsa_system_vgpr_workitem_id 0
		.amdhsa_next_free_vgpr 1
		.amdhsa_next_free_sgpr 0
		.amdhsa_accum_offset 4
		.amdhsa_reserve_vcc 0
		.amdhsa_reserve_flat_scratch 0
		.amdhsa_float_round_mode_32 0
		.amdhsa_float_round_mode_16_64 0
		.amdhsa_float_denorm_mode_32 3
		.amdhsa_float_denorm_mode_16_64 3
		.amdhsa_dx10_clamp 1
		.amdhsa_ieee_mode 1
		.amdhsa_fp16_overflow 0
		.amdhsa_tg_split 0
		.amdhsa_exception_fp_ieee_invalid_op 0
		.amdhsa_exception_fp_denorm_src 0
		.amdhsa_exception_fp_ieee_div_zero 0
		.amdhsa_exception_fp_ieee_overflow 0
		.amdhsa_exception_fp_ieee_underflow 0
		.amdhsa_exception_fp_ieee_inexact 0
		.amdhsa_exception_int_div_zero 0
	.end_amdhsa_kernel
	.section	.text._ZN7rocprim17ROCPRIM_400000_NS6detail17trampoline_kernelINS0_14default_configENS1_29reduce_by_key_config_selectorIssN6thrust23THRUST_200600_302600_NS4plusIsEEEEZZNS1_33reduce_by_key_impl_wrapped_configILNS1_25lookback_scan_determinismE0ES3_S9_NS6_6detail15normal_iteratorINS6_10device_ptrIsEEEESG_SG_SG_PmS8_NS6_8equal_toIsEEEE10hipError_tPvRmT2_T3_mT4_T5_T6_T7_T8_P12ihipStream_tbENKUlT_T0_E_clISt17integral_constantIbLb1EES10_IbLb0EEEEDaSW_SX_EUlSW_E_NS1_11comp_targetILNS1_3genE10ELNS1_11target_archE1200ELNS1_3gpuE4ELNS1_3repE0EEENS1_30default_config_static_selectorELNS0_4arch9wavefront6targetE1EEEvT1_,"axG",@progbits,_ZN7rocprim17ROCPRIM_400000_NS6detail17trampoline_kernelINS0_14default_configENS1_29reduce_by_key_config_selectorIssN6thrust23THRUST_200600_302600_NS4plusIsEEEEZZNS1_33reduce_by_key_impl_wrapped_configILNS1_25lookback_scan_determinismE0ES3_S9_NS6_6detail15normal_iteratorINS6_10device_ptrIsEEEESG_SG_SG_PmS8_NS6_8equal_toIsEEEE10hipError_tPvRmT2_T3_mT4_T5_T6_T7_T8_P12ihipStream_tbENKUlT_T0_E_clISt17integral_constantIbLb1EES10_IbLb0EEEEDaSW_SX_EUlSW_E_NS1_11comp_targetILNS1_3genE10ELNS1_11target_archE1200ELNS1_3gpuE4ELNS1_3repE0EEENS1_30default_config_static_selectorELNS0_4arch9wavefront6targetE1EEEvT1_,comdat
.Lfunc_end648:
	.size	_ZN7rocprim17ROCPRIM_400000_NS6detail17trampoline_kernelINS0_14default_configENS1_29reduce_by_key_config_selectorIssN6thrust23THRUST_200600_302600_NS4plusIsEEEEZZNS1_33reduce_by_key_impl_wrapped_configILNS1_25lookback_scan_determinismE0ES3_S9_NS6_6detail15normal_iteratorINS6_10device_ptrIsEEEESG_SG_SG_PmS8_NS6_8equal_toIsEEEE10hipError_tPvRmT2_T3_mT4_T5_T6_T7_T8_P12ihipStream_tbENKUlT_T0_E_clISt17integral_constantIbLb1EES10_IbLb0EEEEDaSW_SX_EUlSW_E_NS1_11comp_targetILNS1_3genE10ELNS1_11target_archE1200ELNS1_3gpuE4ELNS1_3repE0EEENS1_30default_config_static_selectorELNS0_4arch9wavefront6targetE1EEEvT1_, .Lfunc_end648-_ZN7rocprim17ROCPRIM_400000_NS6detail17trampoline_kernelINS0_14default_configENS1_29reduce_by_key_config_selectorIssN6thrust23THRUST_200600_302600_NS4plusIsEEEEZZNS1_33reduce_by_key_impl_wrapped_configILNS1_25lookback_scan_determinismE0ES3_S9_NS6_6detail15normal_iteratorINS6_10device_ptrIsEEEESG_SG_SG_PmS8_NS6_8equal_toIsEEEE10hipError_tPvRmT2_T3_mT4_T5_T6_T7_T8_P12ihipStream_tbENKUlT_T0_E_clISt17integral_constantIbLb1EES10_IbLb0EEEEDaSW_SX_EUlSW_E_NS1_11comp_targetILNS1_3genE10ELNS1_11target_archE1200ELNS1_3gpuE4ELNS1_3repE0EEENS1_30default_config_static_selectorELNS0_4arch9wavefront6targetE1EEEvT1_
                                        ; -- End function
	.section	.AMDGPU.csdata,"",@progbits
; Kernel info:
; codeLenInByte = 0
; NumSgprs: 4
; NumVgprs: 0
; NumAgprs: 0
; TotalNumVgprs: 0
; ScratchSize: 0
; MemoryBound: 0
; FloatMode: 240
; IeeeMode: 1
; LDSByteSize: 0 bytes/workgroup (compile time only)
; SGPRBlocks: 0
; VGPRBlocks: 0
; NumSGPRsForWavesPerEU: 4
; NumVGPRsForWavesPerEU: 1
; AccumOffset: 4
; Occupancy: 8
; WaveLimiterHint : 0
; COMPUTE_PGM_RSRC2:SCRATCH_EN: 0
; COMPUTE_PGM_RSRC2:USER_SGPR: 6
; COMPUTE_PGM_RSRC2:TRAP_HANDLER: 0
; COMPUTE_PGM_RSRC2:TGID_X_EN: 1
; COMPUTE_PGM_RSRC2:TGID_Y_EN: 0
; COMPUTE_PGM_RSRC2:TGID_Z_EN: 0
; COMPUTE_PGM_RSRC2:TIDIG_COMP_CNT: 0
; COMPUTE_PGM_RSRC3_GFX90A:ACCUM_OFFSET: 0
; COMPUTE_PGM_RSRC3_GFX90A:TG_SPLIT: 0
	.section	.text._ZN7rocprim17ROCPRIM_400000_NS6detail17trampoline_kernelINS0_14default_configENS1_29reduce_by_key_config_selectorIssN6thrust23THRUST_200600_302600_NS4plusIsEEEEZZNS1_33reduce_by_key_impl_wrapped_configILNS1_25lookback_scan_determinismE0ES3_S9_NS6_6detail15normal_iteratorINS6_10device_ptrIsEEEESG_SG_SG_PmS8_NS6_8equal_toIsEEEE10hipError_tPvRmT2_T3_mT4_T5_T6_T7_T8_P12ihipStream_tbENKUlT_T0_E_clISt17integral_constantIbLb1EES10_IbLb0EEEEDaSW_SX_EUlSW_E_NS1_11comp_targetILNS1_3genE9ELNS1_11target_archE1100ELNS1_3gpuE3ELNS1_3repE0EEENS1_30default_config_static_selectorELNS0_4arch9wavefront6targetE1EEEvT1_,"axG",@progbits,_ZN7rocprim17ROCPRIM_400000_NS6detail17trampoline_kernelINS0_14default_configENS1_29reduce_by_key_config_selectorIssN6thrust23THRUST_200600_302600_NS4plusIsEEEEZZNS1_33reduce_by_key_impl_wrapped_configILNS1_25lookback_scan_determinismE0ES3_S9_NS6_6detail15normal_iteratorINS6_10device_ptrIsEEEESG_SG_SG_PmS8_NS6_8equal_toIsEEEE10hipError_tPvRmT2_T3_mT4_T5_T6_T7_T8_P12ihipStream_tbENKUlT_T0_E_clISt17integral_constantIbLb1EES10_IbLb0EEEEDaSW_SX_EUlSW_E_NS1_11comp_targetILNS1_3genE9ELNS1_11target_archE1100ELNS1_3gpuE3ELNS1_3repE0EEENS1_30default_config_static_selectorELNS0_4arch9wavefront6targetE1EEEvT1_,comdat
	.protected	_ZN7rocprim17ROCPRIM_400000_NS6detail17trampoline_kernelINS0_14default_configENS1_29reduce_by_key_config_selectorIssN6thrust23THRUST_200600_302600_NS4plusIsEEEEZZNS1_33reduce_by_key_impl_wrapped_configILNS1_25lookback_scan_determinismE0ES3_S9_NS6_6detail15normal_iteratorINS6_10device_ptrIsEEEESG_SG_SG_PmS8_NS6_8equal_toIsEEEE10hipError_tPvRmT2_T3_mT4_T5_T6_T7_T8_P12ihipStream_tbENKUlT_T0_E_clISt17integral_constantIbLb1EES10_IbLb0EEEEDaSW_SX_EUlSW_E_NS1_11comp_targetILNS1_3genE9ELNS1_11target_archE1100ELNS1_3gpuE3ELNS1_3repE0EEENS1_30default_config_static_selectorELNS0_4arch9wavefront6targetE1EEEvT1_ ; -- Begin function _ZN7rocprim17ROCPRIM_400000_NS6detail17trampoline_kernelINS0_14default_configENS1_29reduce_by_key_config_selectorIssN6thrust23THRUST_200600_302600_NS4plusIsEEEEZZNS1_33reduce_by_key_impl_wrapped_configILNS1_25lookback_scan_determinismE0ES3_S9_NS6_6detail15normal_iteratorINS6_10device_ptrIsEEEESG_SG_SG_PmS8_NS6_8equal_toIsEEEE10hipError_tPvRmT2_T3_mT4_T5_T6_T7_T8_P12ihipStream_tbENKUlT_T0_E_clISt17integral_constantIbLb1EES10_IbLb0EEEEDaSW_SX_EUlSW_E_NS1_11comp_targetILNS1_3genE9ELNS1_11target_archE1100ELNS1_3gpuE3ELNS1_3repE0EEENS1_30default_config_static_selectorELNS0_4arch9wavefront6targetE1EEEvT1_
	.globl	_ZN7rocprim17ROCPRIM_400000_NS6detail17trampoline_kernelINS0_14default_configENS1_29reduce_by_key_config_selectorIssN6thrust23THRUST_200600_302600_NS4plusIsEEEEZZNS1_33reduce_by_key_impl_wrapped_configILNS1_25lookback_scan_determinismE0ES3_S9_NS6_6detail15normal_iteratorINS6_10device_ptrIsEEEESG_SG_SG_PmS8_NS6_8equal_toIsEEEE10hipError_tPvRmT2_T3_mT4_T5_T6_T7_T8_P12ihipStream_tbENKUlT_T0_E_clISt17integral_constantIbLb1EES10_IbLb0EEEEDaSW_SX_EUlSW_E_NS1_11comp_targetILNS1_3genE9ELNS1_11target_archE1100ELNS1_3gpuE3ELNS1_3repE0EEENS1_30default_config_static_selectorELNS0_4arch9wavefront6targetE1EEEvT1_
	.p2align	8
	.type	_ZN7rocprim17ROCPRIM_400000_NS6detail17trampoline_kernelINS0_14default_configENS1_29reduce_by_key_config_selectorIssN6thrust23THRUST_200600_302600_NS4plusIsEEEEZZNS1_33reduce_by_key_impl_wrapped_configILNS1_25lookback_scan_determinismE0ES3_S9_NS6_6detail15normal_iteratorINS6_10device_ptrIsEEEESG_SG_SG_PmS8_NS6_8equal_toIsEEEE10hipError_tPvRmT2_T3_mT4_T5_T6_T7_T8_P12ihipStream_tbENKUlT_T0_E_clISt17integral_constantIbLb1EES10_IbLb0EEEEDaSW_SX_EUlSW_E_NS1_11comp_targetILNS1_3genE9ELNS1_11target_archE1100ELNS1_3gpuE3ELNS1_3repE0EEENS1_30default_config_static_selectorELNS0_4arch9wavefront6targetE1EEEvT1_,@function
_ZN7rocprim17ROCPRIM_400000_NS6detail17trampoline_kernelINS0_14default_configENS1_29reduce_by_key_config_selectorIssN6thrust23THRUST_200600_302600_NS4plusIsEEEEZZNS1_33reduce_by_key_impl_wrapped_configILNS1_25lookback_scan_determinismE0ES3_S9_NS6_6detail15normal_iteratorINS6_10device_ptrIsEEEESG_SG_SG_PmS8_NS6_8equal_toIsEEEE10hipError_tPvRmT2_T3_mT4_T5_T6_T7_T8_P12ihipStream_tbENKUlT_T0_E_clISt17integral_constantIbLb1EES10_IbLb0EEEEDaSW_SX_EUlSW_E_NS1_11comp_targetILNS1_3genE9ELNS1_11target_archE1100ELNS1_3gpuE3ELNS1_3repE0EEENS1_30default_config_static_selectorELNS0_4arch9wavefront6targetE1EEEvT1_: ; @_ZN7rocprim17ROCPRIM_400000_NS6detail17trampoline_kernelINS0_14default_configENS1_29reduce_by_key_config_selectorIssN6thrust23THRUST_200600_302600_NS4plusIsEEEEZZNS1_33reduce_by_key_impl_wrapped_configILNS1_25lookback_scan_determinismE0ES3_S9_NS6_6detail15normal_iteratorINS6_10device_ptrIsEEEESG_SG_SG_PmS8_NS6_8equal_toIsEEEE10hipError_tPvRmT2_T3_mT4_T5_T6_T7_T8_P12ihipStream_tbENKUlT_T0_E_clISt17integral_constantIbLb1EES10_IbLb0EEEEDaSW_SX_EUlSW_E_NS1_11comp_targetILNS1_3genE9ELNS1_11target_archE1100ELNS1_3gpuE3ELNS1_3repE0EEENS1_30default_config_static_selectorELNS0_4arch9wavefront6targetE1EEEvT1_
; %bb.0:
	.section	.rodata,"a",@progbits
	.p2align	6, 0x0
	.amdhsa_kernel _ZN7rocprim17ROCPRIM_400000_NS6detail17trampoline_kernelINS0_14default_configENS1_29reduce_by_key_config_selectorIssN6thrust23THRUST_200600_302600_NS4plusIsEEEEZZNS1_33reduce_by_key_impl_wrapped_configILNS1_25lookback_scan_determinismE0ES3_S9_NS6_6detail15normal_iteratorINS6_10device_ptrIsEEEESG_SG_SG_PmS8_NS6_8equal_toIsEEEE10hipError_tPvRmT2_T3_mT4_T5_T6_T7_T8_P12ihipStream_tbENKUlT_T0_E_clISt17integral_constantIbLb1EES10_IbLb0EEEEDaSW_SX_EUlSW_E_NS1_11comp_targetILNS1_3genE9ELNS1_11target_archE1100ELNS1_3gpuE3ELNS1_3repE0EEENS1_30default_config_static_selectorELNS0_4arch9wavefront6targetE1EEEvT1_
		.amdhsa_group_segment_fixed_size 0
		.amdhsa_private_segment_fixed_size 0
		.amdhsa_kernarg_size 120
		.amdhsa_user_sgpr_count 6
		.amdhsa_user_sgpr_private_segment_buffer 1
		.amdhsa_user_sgpr_dispatch_ptr 0
		.amdhsa_user_sgpr_queue_ptr 0
		.amdhsa_user_sgpr_kernarg_segment_ptr 1
		.amdhsa_user_sgpr_dispatch_id 0
		.amdhsa_user_sgpr_flat_scratch_init 0
		.amdhsa_user_sgpr_kernarg_preload_length 0
		.amdhsa_user_sgpr_kernarg_preload_offset 0
		.amdhsa_user_sgpr_private_segment_size 0
		.amdhsa_uses_dynamic_stack 0
		.amdhsa_system_sgpr_private_segment_wavefront_offset 0
		.amdhsa_system_sgpr_workgroup_id_x 1
		.amdhsa_system_sgpr_workgroup_id_y 0
		.amdhsa_system_sgpr_workgroup_id_z 0
		.amdhsa_system_sgpr_workgroup_info 0
		.amdhsa_system_vgpr_workitem_id 0
		.amdhsa_next_free_vgpr 1
		.amdhsa_next_free_sgpr 0
		.amdhsa_accum_offset 4
		.amdhsa_reserve_vcc 0
		.amdhsa_reserve_flat_scratch 0
		.amdhsa_float_round_mode_32 0
		.amdhsa_float_round_mode_16_64 0
		.amdhsa_float_denorm_mode_32 3
		.amdhsa_float_denorm_mode_16_64 3
		.amdhsa_dx10_clamp 1
		.amdhsa_ieee_mode 1
		.amdhsa_fp16_overflow 0
		.amdhsa_tg_split 0
		.amdhsa_exception_fp_ieee_invalid_op 0
		.amdhsa_exception_fp_denorm_src 0
		.amdhsa_exception_fp_ieee_div_zero 0
		.amdhsa_exception_fp_ieee_overflow 0
		.amdhsa_exception_fp_ieee_underflow 0
		.amdhsa_exception_fp_ieee_inexact 0
		.amdhsa_exception_int_div_zero 0
	.end_amdhsa_kernel
	.section	.text._ZN7rocprim17ROCPRIM_400000_NS6detail17trampoline_kernelINS0_14default_configENS1_29reduce_by_key_config_selectorIssN6thrust23THRUST_200600_302600_NS4plusIsEEEEZZNS1_33reduce_by_key_impl_wrapped_configILNS1_25lookback_scan_determinismE0ES3_S9_NS6_6detail15normal_iteratorINS6_10device_ptrIsEEEESG_SG_SG_PmS8_NS6_8equal_toIsEEEE10hipError_tPvRmT2_T3_mT4_T5_T6_T7_T8_P12ihipStream_tbENKUlT_T0_E_clISt17integral_constantIbLb1EES10_IbLb0EEEEDaSW_SX_EUlSW_E_NS1_11comp_targetILNS1_3genE9ELNS1_11target_archE1100ELNS1_3gpuE3ELNS1_3repE0EEENS1_30default_config_static_selectorELNS0_4arch9wavefront6targetE1EEEvT1_,"axG",@progbits,_ZN7rocprim17ROCPRIM_400000_NS6detail17trampoline_kernelINS0_14default_configENS1_29reduce_by_key_config_selectorIssN6thrust23THRUST_200600_302600_NS4plusIsEEEEZZNS1_33reduce_by_key_impl_wrapped_configILNS1_25lookback_scan_determinismE0ES3_S9_NS6_6detail15normal_iteratorINS6_10device_ptrIsEEEESG_SG_SG_PmS8_NS6_8equal_toIsEEEE10hipError_tPvRmT2_T3_mT4_T5_T6_T7_T8_P12ihipStream_tbENKUlT_T0_E_clISt17integral_constantIbLb1EES10_IbLb0EEEEDaSW_SX_EUlSW_E_NS1_11comp_targetILNS1_3genE9ELNS1_11target_archE1100ELNS1_3gpuE3ELNS1_3repE0EEENS1_30default_config_static_selectorELNS0_4arch9wavefront6targetE1EEEvT1_,comdat
.Lfunc_end649:
	.size	_ZN7rocprim17ROCPRIM_400000_NS6detail17trampoline_kernelINS0_14default_configENS1_29reduce_by_key_config_selectorIssN6thrust23THRUST_200600_302600_NS4plusIsEEEEZZNS1_33reduce_by_key_impl_wrapped_configILNS1_25lookback_scan_determinismE0ES3_S9_NS6_6detail15normal_iteratorINS6_10device_ptrIsEEEESG_SG_SG_PmS8_NS6_8equal_toIsEEEE10hipError_tPvRmT2_T3_mT4_T5_T6_T7_T8_P12ihipStream_tbENKUlT_T0_E_clISt17integral_constantIbLb1EES10_IbLb0EEEEDaSW_SX_EUlSW_E_NS1_11comp_targetILNS1_3genE9ELNS1_11target_archE1100ELNS1_3gpuE3ELNS1_3repE0EEENS1_30default_config_static_selectorELNS0_4arch9wavefront6targetE1EEEvT1_, .Lfunc_end649-_ZN7rocprim17ROCPRIM_400000_NS6detail17trampoline_kernelINS0_14default_configENS1_29reduce_by_key_config_selectorIssN6thrust23THRUST_200600_302600_NS4plusIsEEEEZZNS1_33reduce_by_key_impl_wrapped_configILNS1_25lookback_scan_determinismE0ES3_S9_NS6_6detail15normal_iteratorINS6_10device_ptrIsEEEESG_SG_SG_PmS8_NS6_8equal_toIsEEEE10hipError_tPvRmT2_T3_mT4_T5_T6_T7_T8_P12ihipStream_tbENKUlT_T0_E_clISt17integral_constantIbLb1EES10_IbLb0EEEEDaSW_SX_EUlSW_E_NS1_11comp_targetILNS1_3genE9ELNS1_11target_archE1100ELNS1_3gpuE3ELNS1_3repE0EEENS1_30default_config_static_selectorELNS0_4arch9wavefront6targetE1EEEvT1_
                                        ; -- End function
	.section	.AMDGPU.csdata,"",@progbits
; Kernel info:
; codeLenInByte = 0
; NumSgprs: 4
; NumVgprs: 0
; NumAgprs: 0
; TotalNumVgprs: 0
; ScratchSize: 0
; MemoryBound: 0
; FloatMode: 240
; IeeeMode: 1
; LDSByteSize: 0 bytes/workgroup (compile time only)
; SGPRBlocks: 0
; VGPRBlocks: 0
; NumSGPRsForWavesPerEU: 4
; NumVGPRsForWavesPerEU: 1
; AccumOffset: 4
; Occupancy: 8
; WaveLimiterHint : 0
; COMPUTE_PGM_RSRC2:SCRATCH_EN: 0
; COMPUTE_PGM_RSRC2:USER_SGPR: 6
; COMPUTE_PGM_RSRC2:TRAP_HANDLER: 0
; COMPUTE_PGM_RSRC2:TGID_X_EN: 1
; COMPUTE_PGM_RSRC2:TGID_Y_EN: 0
; COMPUTE_PGM_RSRC2:TGID_Z_EN: 0
; COMPUTE_PGM_RSRC2:TIDIG_COMP_CNT: 0
; COMPUTE_PGM_RSRC3_GFX90A:ACCUM_OFFSET: 0
; COMPUTE_PGM_RSRC3_GFX90A:TG_SPLIT: 0
	.section	.text._ZN7rocprim17ROCPRIM_400000_NS6detail17trampoline_kernelINS0_14default_configENS1_29reduce_by_key_config_selectorIssN6thrust23THRUST_200600_302600_NS4plusIsEEEEZZNS1_33reduce_by_key_impl_wrapped_configILNS1_25lookback_scan_determinismE0ES3_S9_NS6_6detail15normal_iteratorINS6_10device_ptrIsEEEESG_SG_SG_PmS8_NS6_8equal_toIsEEEE10hipError_tPvRmT2_T3_mT4_T5_T6_T7_T8_P12ihipStream_tbENKUlT_T0_E_clISt17integral_constantIbLb1EES10_IbLb0EEEEDaSW_SX_EUlSW_E_NS1_11comp_targetILNS1_3genE8ELNS1_11target_archE1030ELNS1_3gpuE2ELNS1_3repE0EEENS1_30default_config_static_selectorELNS0_4arch9wavefront6targetE1EEEvT1_,"axG",@progbits,_ZN7rocprim17ROCPRIM_400000_NS6detail17trampoline_kernelINS0_14default_configENS1_29reduce_by_key_config_selectorIssN6thrust23THRUST_200600_302600_NS4plusIsEEEEZZNS1_33reduce_by_key_impl_wrapped_configILNS1_25lookback_scan_determinismE0ES3_S9_NS6_6detail15normal_iteratorINS6_10device_ptrIsEEEESG_SG_SG_PmS8_NS6_8equal_toIsEEEE10hipError_tPvRmT2_T3_mT4_T5_T6_T7_T8_P12ihipStream_tbENKUlT_T0_E_clISt17integral_constantIbLb1EES10_IbLb0EEEEDaSW_SX_EUlSW_E_NS1_11comp_targetILNS1_3genE8ELNS1_11target_archE1030ELNS1_3gpuE2ELNS1_3repE0EEENS1_30default_config_static_selectorELNS0_4arch9wavefront6targetE1EEEvT1_,comdat
	.protected	_ZN7rocprim17ROCPRIM_400000_NS6detail17trampoline_kernelINS0_14default_configENS1_29reduce_by_key_config_selectorIssN6thrust23THRUST_200600_302600_NS4plusIsEEEEZZNS1_33reduce_by_key_impl_wrapped_configILNS1_25lookback_scan_determinismE0ES3_S9_NS6_6detail15normal_iteratorINS6_10device_ptrIsEEEESG_SG_SG_PmS8_NS6_8equal_toIsEEEE10hipError_tPvRmT2_T3_mT4_T5_T6_T7_T8_P12ihipStream_tbENKUlT_T0_E_clISt17integral_constantIbLb1EES10_IbLb0EEEEDaSW_SX_EUlSW_E_NS1_11comp_targetILNS1_3genE8ELNS1_11target_archE1030ELNS1_3gpuE2ELNS1_3repE0EEENS1_30default_config_static_selectorELNS0_4arch9wavefront6targetE1EEEvT1_ ; -- Begin function _ZN7rocprim17ROCPRIM_400000_NS6detail17trampoline_kernelINS0_14default_configENS1_29reduce_by_key_config_selectorIssN6thrust23THRUST_200600_302600_NS4plusIsEEEEZZNS1_33reduce_by_key_impl_wrapped_configILNS1_25lookback_scan_determinismE0ES3_S9_NS6_6detail15normal_iteratorINS6_10device_ptrIsEEEESG_SG_SG_PmS8_NS6_8equal_toIsEEEE10hipError_tPvRmT2_T3_mT4_T5_T6_T7_T8_P12ihipStream_tbENKUlT_T0_E_clISt17integral_constantIbLb1EES10_IbLb0EEEEDaSW_SX_EUlSW_E_NS1_11comp_targetILNS1_3genE8ELNS1_11target_archE1030ELNS1_3gpuE2ELNS1_3repE0EEENS1_30default_config_static_selectorELNS0_4arch9wavefront6targetE1EEEvT1_
	.globl	_ZN7rocprim17ROCPRIM_400000_NS6detail17trampoline_kernelINS0_14default_configENS1_29reduce_by_key_config_selectorIssN6thrust23THRUST_200600_302600_NS4plusIsEEEEZZNS1_33reduce_by_key_impl_wrapped_configILNS1_25lookback_scan_determinismE0ES3_S9_NS6_6detail15normal_iteratorINS6_10device_ptrIsEEEESG_SG_SG_PmS8_NS6_8equal_toIsEEEE10hipError_tPvRmT2_T3_mT4_T5_T6_T7_T8_P12ihipStream_tbENKUlT_T0_E_clISt17integral_constantIbLb1EES10_IbLb0EEEEDaSW_SX_EUlSW_E_NS1_11comp_targetILNS1_3genE8ELNS1_11target_archE1030ELNS1_3gpuE2ELNS1_3repE0EEENS1_30default_config_static_selectorELNS0_4arch9wavefront6targetE1EEEvT1_
	.p2align	8
	.type	_ZN7rocprim17ROCPRIM_400000_NS6detail17trampoline_kernelINS0_14default_configENS1_29reduce_by_key_config_selectorIssN6thrust23THRUST_200600_302600_NS4plusIsEEEEZZNS1_33reduce_by_key_impl_wrapped_configILNS1_25lookback_scan_determinismE0ES3_S9_NS6_6detail15normal_iteratorINS6_10device_ptrIsEEEESG_SG_SG_PmS8_NS6_8equal_toIsEEEE10hipError_tPvRmT2_T3_mT4_T5_T6_T7_T8_P12ihipStream_tbENKUlT_T0_E_clISt17integral_constantIbLb1EES10_IbLb0EEEEDaSW_SX_EUlSW_E_NS1_11comp_targetILNS1_3genE8ELNS1_11target_archE1030ELNS1_3gpuE2ELNS1_3repE0EEENS1_30default_config_static_selectorELNS0_4arch9wavefront6targetE1EEEvT1_,@function
_ZN7rocprim17ROCPRIM_400000_NS6detail17trampoline_kernelINS0_14default_configENS1_29reduce_by_key_config_selectorIssN6thrust23THRUST_200600_302600_NS4plusIsEEEEZZNS1_33reduce_by_key_impl_wrapped_configILNS1_25lookback_scan_determinismE0ES3_S9_NS6_6detail15normal_iteratorINS6_10device_ptrIsEEEESG_SG_SG_PmS8_NS6_8equal_toIsEEEE10hipError_tPvRmT2_T3_mT4_T5_T6_T7_T8_P12ihipStream_tbENKUlT_T0_E_clISt17integral_constantIbLb1EES10_IbLb0EEEEDaSW_SX_EUlSW_E_NS1_11comp_targetILNS1_3genE8ELNS1_11target_archE1030ELNS1_3gpuE2ELNS1_3repE0EEENS1_30default_config_static_selectorELNS0_4arch9wavefront6targetE1EEEvT1_: ; @_ZN7rocprim17ROCPRIM_400000_NS6detail17trampoline_kernelINS0_14default_configENS1_29reduce_by_key_config_selectorIssN6thrust23THRUST_200600_302600_NS4plusIsEEEEZZNS1_33reduce_by_key_impl_wrapped_configILNS1_25lookback_scan_determinismE0ES3_S9_NS6_6detail15normal_iteratorINS6_10device_ptrIsEEEESG_SG_SG_PmS8_NS6_8equal_toIsEEEE10hipError_tPvRmT2_T3_mT4_T5_T6_T7_T8_P12ihipStream_tbENKUlT_T0_E_clISt17integral_constantIbLb1EES10_IbLb0EEEEDaSW_SX_EUlSW_E_NS1_11comp_targetILNS1_3genE8ELNS1_11target_archE1030ELNS1_3gpuE2ELNS1_3repE0EEENS1_30default_config_static_selectorELNS0_4arch9wavefront6targetE1EEEvT1_
; %bb.0:
	.section	.rodata,"a",@progbits
	.p2align	6, 0x0
	.amdhsa_kernel _ZN7rocprim17ROCPRIM_400000_NS6detail17trampoline_kernelINS0_14default_configENS1_29reduce_by_key_config_selectorIssN6thrust23THRUST_200600_302600_NS4plusIsEEEEZZNS1_33reduce_by_key_impl_wrapped_configILNS1_25lookback_scan_determinismE0ES3_S9_NS6_6detail15normal_iteratorINS6_10device_ptrIsEEEESG_SG_SG_PmS8_NS6_8equal_toIsEEEE10hipError_tPvRmT2_T3_mT4_T5_T6_T7_T8_P12ihipStream_tbENKUlT_T0_E_clISt17integral_constantIbLb1EES10_IbLb0EEEEDaSW_SX_EUlSW_E_NS1_11comp_targetILNS1_3genE8ELNS1_11target_archE1030ELNS1_3gpuE2ELNS1_3repE0EEENS1_30default_config_static_selectorELNS0_4arch9wavefront6targetE1EEEvT1_
		.amdhsa_group_segment_fixed_size 0
		.amdhsa_private_segment_fixed_size 0
		.amdhsa_kernarg_size 120
		.amdhsa_user_sgpr_count 6
		.amdhsa_user_sgpr_private_segment_buffer 1
		.amdhsa_user_sgpr_dispatch_ptr 0
		.amdhsa_user_sgpr_queue_ptr 0
		.amdhsa_user_sgpr_kernarg_segment_ptr 1
		.amdhsa_user_sgpr_dispatch_id 0
		.amdhsa_user_sgpr_flat_scratch_init 0
		.amdhsa_user_sgpr_kernarg_preload_length 0
		.amdhsa_user_sgpr_kernarg_preload_offset 0
		.amdhsa_user_sgpr_private_segment_size 0
		.amdhsa_uses_dynamic_stack 0
		.amdhsa_system_sgpr_private_segment_wavefront_offset 0
		.amdhsa_system_sgpr_workgroup_id_x 1
		.amdhsa_system_sgpr_workgroup_id_y 0
		.amdhsa_system_sgpr_workgroup_id_z 0
		.amdhsa_system_sgpr_workgroup_info 0
		.amdhsa_system_vgpr_workitem_id 0
		.amdhsa_next_free_vgpr 1
		.amdhsa_next_free_sgpr 0
		.amdhsa_accum_offset 4
		.amdhsa_reserve_vcc 0
		.amdhsa_reserve_flat_scratch 0
		.amdhsa_float_round_mode_32 0
		.amdhsa_float_round_mode_16_64 0
		.amdhsa_float_denorm_mode_32 3
		.amdhsa_float_denorm_mode_16_64 3
		.amdhsa_dx10_clamp 1
		.amdhsa_ieee_mode 1
		.amdhsa_fp16_overflow 0
		.amdhsa_tg_split 0
		.amdhsa_exception_fp_ieee_invalid_op 0
		.amdhsa_exception_fp_denorm_src 0
		.amdhsa_exception_fp_ieee_div_zero 0
		.amdhsa_exception_fp_ieee_overflow 0
		.amdhsa_exception_fp_ieee_underflow 0
		.amdhsa_exception_fp_ieee_inexact 0
		.amdhsa_exception_int_div_zero 0
	.end_amdhsa_kernel
	.section	.text._ZN7rocprim17ROCPRIM_400000_NS6detail17trampoline_kernelINS0_14default_configENS1_29reduce_by_key_config_selectorIssN6thrust23THRUST_200600_302600_NS4plusIsEEEEZZNS1_33reduce_by_key_impl_wrapped_configILNS1_25lookback_scan_determinismE0ES3_S9_NS6_6detail15normal_iteratorINS6_10device_ptrIsEEEESG_SG_SG_PmS8_NS6_8equal_toIsEEEE10hipError_tPvRmT2_T3_mT4_T5_T6_T7_T8_P12ihipStream_tbENKUlT_T0_E_clISt17integral_constantIbLb1EES10_IbLb0EEEEDaSW_SX_EUlSW_E_NS1_11comp_targetILNS1_3genE8ELNS1_11target_archE1030ELNS1_3gpuE2ELNS1_3repE0EEENS1_30default_config_static_selectorELNS0_4arch9wavefront6targetE1EEEvT1_,"axG",@progbits,_ZN7rocprim17ROCPRIM_400000_NS6detail17trampoline_kernelINS0_14default_configENS1_29reduce_by_key_config_selectorIssN6thrust23THRUST_200600_302600_NS4plusIsEEEEZZNS1_33reduce_by_key_impl_wrapped_configILNS1_25lookback_scan_determinismE0ES3_S9_NS6_6detail15normal_iteratorINS6_10device_ptrIsEEEESG_SG_SG_PmS8_NS6_8equal_toIsEEEE10hipError_tPvRmT2_T3_mT4_T5_T6_T7_T8_P12ihipStream_tbENKUlT_T0_E_clISt17integral_constantIbLb1EES10_IbLb0EEEEDaSW_SX_EUlSW_E_NS1_11comp_targetILNS1_3genE8ELNS1_11target_archE1030ELNS1_3gpuE2ELNS1_3repE0EEENS1_30default_config_static_selectorELNS0_4arch9wavefront6targetE1EEEvT1_,comdat
.Lfunc_end650:
	.size	_ZN7rocprim17ROCPRIM_400000_NS6detail17trampoline_kernelINS0_14default_configENS1_29reduce_by_key_config_selectorIssN6thrust23THRUST_200600_302600_NS4plusIsEEEEZZNS1_33reduce_by_key_impl_wrapped_configILNS1_25lookback_scan_determinismE0ES3_S9_NS6_6detail15normal_iteratorINS6_10device_ptrIsEEEESG_SG_SG_PmS8_NS6_8equal_toIsEEEE10hipError_tPvRmT2_T3_mT4_T5_T6_T7_T8_P12ihipStream_tbENKUlT_T0_E_clISt17integral_constantIbLb1EES10_IbLb0EEEEDaSW_SX_EUlSW_E_NS1_11comp_targetILNS1_3genE8ELNS1_11target_archE1030ELNS1_3gpuE2ELNS1_3repE0EEENS1_30default_config_static_selectorELNS0_4arch9wavefront6targetE1EEEvT1_, .Lfunc_end650-_ZN7rocprim17ROCPRIM_400000_NS6detail17trampoline_kernelINS0_14default_configENS1_29reduce_by_key_config_selectorIssN6thrust23THRUST_200600_302600_NS4plusIsEEEEZZNS1_33reduce_by_key_impl_wrapped_configILNS1_25lookback_scan_determinismE0ES3_S9_NS6_6detail15normal_iteratorINS6_10device_ptrIsEEEESG_SG_SG_PmS8_NS6_8equal_toIsEEEE10hipError_tPvRmT2_T3_mT4_T5_T6_T7_T8_P12ihipStream_tbENKUlT_T0_E_clISt17integral_constantIbLb1EES10_IbLb0EEEEDaSW_SX_EUlSW_E_NS1_11comp_targetILNS1_3genE8ELNS1_11target_archE1030ELNS1_3gpuE2ELNS1_3repE0EEENS1_30default_config_static_selectorELNS0_4arch9wavefront6targetE1EEEvT1_
                                        ; -- End function
	.section	.AMDGPU.csdata,"",@progbits
; Kernel info:
; codeLenInByte = 0
; NumSgprs: 4
; NumVgprs: 0
; NumAgprs: 0
; TotalNumVgprs: 0
; ScratchSize: 0
; MemoryBound: 0
; FloatMode: 240
; IeeeMode: 1
; LDSByteSize: 0 bytes/workgroup (compile time only)
; SGPRBlocks: 0
; VGPRBlocks: 0
; NumSGPRsForWavesPerEU: 4
; NumVGPRsForWavesPerEU: 1
; AccumOffset: 4
; Occupancy: 8
; WaveLimiterHint : 0
; COMPUTE_PGM_RSRC2:SCRATCH_EN: 0
; COMPUTE_PGM_RSRC2:USER_SGPR: 6
; COMPUTE_PGM_RSRC2:TRAP_HANDLER: 0
; COMPUTE_PGM_RSRC2:TGID_X_EN: 1
; COMPUTE_PGM_RSRC2:TGID_Y_EN: 0
; COMPUTE_PGM_RSRC2:TGID_Z_EN: 0
; COMPUTE_PGM_RSRC2:TIDIG_COMP_CNT: 0
; COMPUTE_PGM_RSRC3_GFX90A:ACCUM_OFFSET: 0
; COMPUTE_PGM_RSRC3_GFX90A:TG_SPLIT: 0
	.section	.text._ZN7rocprim17ROCPRIM_400000_NS6detail25reduce_by_key_init_kernelINS1_19lookback_scan_stateINS0_5tupleIJjsEEELb0ELb1EEEsNS1_16block_id_wrapperIjLb1EEEEEvT_jbjPmPT0_T1_,"axG",@progbits,_ZN7rocprim17ROCPRIM_400000_NS6detail25reduce_by_key_init_kernelINS1_19lookback_scan_stateINS0_5tupleIJjsEEELb0ELb1EEEsNS1_16block_id_wrapperIjLb1EEEEEvT_jbjPmPT0_T1_,comdat
	.protected	_ZN7rocprim17ROCPRIM_400000_NS6detail25reduce_by_key_init_kernelINS1_19lookback_scan_stateINS0_5tupleIJjsEEELb0ELb1EEEsNS1_16block_id_wrapperIjLb1EEEEEvT_jbjPmPT0_T1_ ; -- Begin function _ZN7rocprim17ROCPRIM_400000_NS6detail25reduce_by_key_init_kernelINS1_19lookback_scan_stateINS0_5tupleIJjsEEELb0ELb1EEEsNS1_16block_id_wrapperIjLb1EEEEEvT_jbjPmPT0_T1_
	.globl	_ZN7rocprim17ROCPRIM_400000_NS6detail25reduce_by_key_init_kernelINS1_19lookback_scan_stateINS0_5tupleIJjsEEELb0ELb1EEEsNS1_16block_id_wrapperIjLb1EEEEEvT_jbjPmPT0_T1_
	.p2align	8
	.type	_ZN7rocprim17ROCPRIM_400000_NS6detail25reduce_by_key_init_kernelINS1_19lookback_scan_stateINS0_5tupleIJjsEEELb0ELb1EEEsNS1_16block_id_wrapperIjLb1EEEEEvT_jbjPmPT0_T1_,@function
_ZN7rocprim17ROCPRIM_400000_NS6detail25reduce_by_key_init_kernelINS1_19lookback_scan_stateINS0_5tupleIJjsEEELb0ELb1EEEsNS1_16block_id_wrapperIjLb1EEEEEvT_jbjPmPT0_T1_: ; @_ZN7rocprim17ROCPRIM_400000_NS6detail25reduce_by_key_init_kernelINS1_19lookback_scan_stateINS0_5tupleIJjsEEELb0ELb1EEEsNS1_16block_id_wrapperIjLb1EEEEEvT_jbjPmPT0_T1_
; %bb.0:
	s_load_dwordx8 s[8:15], s[4:5], 0x8
	s_load_dword s0, s[4:5], 0x3c
	s_load_dwordx2 s[16:17], s[4:5], 0x28
	s_load_dwordx2 s[2:3], s[4:5], 0x0
	s_waitcnt lgkmcnt(0)
	s_and_b32 s1, s9, 1
	s_and_b32 s0, s0, 0xffff
	s_mul_i32 s6, s6, s0
	s_cmp_eq_u32 s1, 0
	v_add_u32_e32 v0, s6, v0
	s_mov_b64 s[0:1], -1
	s_cbranch_scc1 .LBB651_6
; %bb.1:
	s_andn2_b64 vcc, exec, s[0:1]
	v_cmp_eq_u32_e64 s[0:1], 0, v0
	s_cbranch_vccz .LBB651_13
.LBB651_2:
	v_cmp_eq_u32_e32 vcc, 0, v0
	s_and_saveexec_b64 s[0:1], vcc
	s_cbranch_execnz .LBB651_16
.LBB651_3:
	s_or_b64 exec, exec, s[0:1]
	v_cmp_gt_u32_e32 vcc, s8, v0
	s_and_saveexec_b64 s[0:1], vcc
	s_cbranch_execnz .LBB651_17
.LBB651_4:
	s_or_b64 exec, exec, s[0:1]
	v_cmp_gt_u32_e32 vcc, 64, v0
	s_and_saveexec_b64 s[0:1], vcc
	s_cbranch_execnz .LBB651_18
.LBB651_5:
	s_endpgm
.LBB651_6:
	s_cmp_lt_u32 s10, s8
	s_cselect_b32 s0, s10, 0
	v_cmp_eq_u32_e32 vcc, s0, v0
	s_and_saveexec_b64 s[0:1], vcc
	s_cbranch_execz .LBB651_12
; %bb.7:
	s_add_i32 s4, s10, 64
	s_mov_b32 s5, 0
	s_lshl_b64 s[4:5], s[4:5], 4
	s_add_u32 s10, s2, s4
	s_addc_u32 s11, s3, s5
	v_pk_mov_b32 v[2:3], s[10:11], s[10:11] op_sel:[0,1]
	;;#ASMSTART
	global_load_dwordx4 v[2:5], v[2:3] off glc	
s_waitcnt vmcnt(0)
	;;#ASMEND
	v_mov_b32_e32 v7, 0
	v_and_b32_e32 v6, 0xff, v4
	s_mov_b64 s[6:7], 0
	v_cmp_eq_u64_e32 vcc, 0, v[6:7]
	s_and_saveexec_b64 s[4:5], vcc
	s_cbranch_execz .LBB651_11
; %bb.8:
	v_pk_mov_b32 v[8:9], s[10:11], s[10:11] op_sel:[0,1]
.LBB651_9:                              ; =>This Inner Loop Header: Depth=1
	;;#ASMSTART
	global_load_dwordx4 v[2:5], v[8:9] off glc	
s_waitcnt vmcnt(0)
	;;#ASMEND
	v_and_b32_e32 v6, 0xff, v4
	v_cmp_ne_u64_e32 vcc, 0, v[6:7]
	s_or_b64 s[6:7], vcc, s[6:7]
	s_andn2_b64 exec, exec, s[6:7]
	s_cbranch_execnz .LBB651_9
; %bb.10:
	s_or_b64 exec, exec, s[6:7]
.LBB651_11:
	s_or_b64 exec, exec, s[4:5]
	v_mov_b32_e32 v1, 0
	global_load_dwordx2 v[4:5], v1, s[12:13]
	s_waitcnt vmcnt(0)
	v_add_co_u32_e32 v4, vcc, v4, v2
	v_addc_co_u32_e32 v5, vcc, 0, v5, vcc
	global_store_dwordx2 v1, v[4:5], s[12:13]
	global_store_short v1, v3, s[14:15]
.LBB651_12:
	s_or_b64 exec, exec, s[0:1]
	v_cmp_eq_u32_e64 s[0:1], 0, v0
	s_cbranch_execnz .LBB651_2
.LBB651_13:
	s_cmp_lg_u64 s[12:13], 0
	s_cselect_b64 s[4:5], -1, 0
	s_and_b64 s[4:5], s[4:5], s[0:1]
	s_and_saveexec_b64 s[0:1], s[4:5]
	s_cbranch_execz .LBB651_15
; %bb.14:
	v_mov_b32_e32 v2, 0
	v_mov_b32_e32 v3, v2
	global_store_dwordx2 v2, v[2:3], s[12:13]
.LBB651_15:
	s_or_b64 exec, exec, s[0:1]
	v_cmp_eq_u32_e32 vcc, 0, v0
	s_and_saveexec_b64 s[0:1], vcc
	s_cbranch_execz .LBB651_3
.LBB651_16:
	v_mov_b32_e32 v1, 0
	global_store_dword v1, v1, s[16:17]
	s_or_b64 exec, exec, s[0:1]
	v_cmp_gt_u32_e32 vcc, s8, v0
	s_and_saveexec_b64 s[0:1], vcc
	s_cbranch_execz .LBB651_4
.LBB651_17:
	v_add_u32_e32 v2, 64, v0
	v_mov_b32_e32 v3, 0
	v_lshlrev_b64 v[4:5], 4, v[2:3]
	v_mov_b32_e32 v1, s3
	v_add_co_u32_e32 v6, vcc, s2, v4
	v_addc_co_u32_e32 v7, vcc, v1, v5, vcc
	v_mov_b32_e32 v2, v3
	v_mov_b32_e32 v4, v3
	v_mov_b32_e32 v5, v3
	global_store_dwordx4 v[6:7], v[2:5], off
	s_or_b64 exec, exec, s[0:1]
	v_cmp_gt_u32_e32 vcc, 64, v0
	s_and_saveexec_b64 s[0:1], vcc
	s_cbranch_execz .LBB651_5
.LBB651_18:
	v_mov_b32_e32 v1, 0
	v_lshlrev_b64 v[2:3], 4, v[0:1]
	v_mov_b32_e32 v0, s3
	v_add_co_u32_e32 v4, vcc, s2, v2
	v_addc_co_u32_e32 v5, vcc, v0, v3, vcc
	v_mov_b32_e32 v2, 0xff
	v_mov_b32_e32 v0, v1
	;; [unrolled: 1-line block ×3, first 2 shown]
	global_store_dwordx4 v[4:5], v[0:3], off
	s_endpgm
	.section	.rodata,"a",@progbits
	.p2align	6, 0x0
	.amdhsa_kernel _ZN7rocprim17ROCPRIM_400000_NS6detail25reduce_by_key_init_kernelINS1_19lookback_scan_stateINS0_5tupleIJjsEEELb0ELb1EEEsNS1_16block_id_wrapperIjLb1EEEEEvT_jbjPmPT0_T1_
		.amdhsa_group_segment_fixed_size 0
		.amdhsa_private_segment_fixed_size 0
		.amdhsa_kernarg_size 304
		.amdhsa_user_sgpr_count 6
		.amdhsa_user_sgpr_private_segment_buffer 1
		.amdhsa_user_sgpr_dispatch_ptr 0
		.amdhsa_user_sgpr_queue_ptr 0
		.amdhsa_user_sgpr_kernarg_segment_ptr 1
		.amdhsa_user_sgpr_dispatch_id 0
		.amdhsa_user_sgpr_flat_scratch_init 0
		.amdhsa_user_sgpr_kernarg_preload_length 0
		.amdhsa_user_sgpr_kernarg_preload_offset 0
		.amdhsa_user_sgpr_private_segment_size 0
		.amdhsa_uses_dynamic_stack 0
		.amdhsa_system_sgpr_private_segment_wavefront_offset 0
		.amdhsa_system_sgpr_workgroup_id_x 1
		.amdhsa_system_sgpr_workgroup_id_y 0
		.amdhsa_system_sgpr_workgroup_id_z 0
		.amdhsa_system_sgpr_workgroup_info 0
		.amdhsa_system_vgpr_workitem_id 0
		.amdhsa_next_free_vgpr 10
		.amdhsa_next_free_sgpr 18
		.amdhsa_accum_offset 12
		.amdhsa_reserve_vcc 1
		.amdhsa_reserve_flat_scratch 0
		.amdhsa_float_round_mode_32 0
		.amdhsa_float_round_mode_16_64 0
		.amdhsa_float_denorm_mode_32 3
		.amdhsa_float_denorm_mode_16_64 3
		.amdhsa_dx10_clamp 1
		.amdhsa_ieee_mode 1
		.amdhsa_fp16_overflow 0
		.amdhsa_tg_split 0
		.amdhsa_exception_fp_ieee_invalid_op 0
		.amdhsa_exception_fp_denorm_src 0
		.amdhsa_exception_fp_ieee_div_zero 0
		.amdhsa_exception_fp_ieee_overflow 0
		.amdhsa_exception_fp_ieee_underflow 0
		.amdhsa_exception_fp_ieee_inexact 0
		.amdhsa_exception_int_div_zero 0
	.end_amdhsa_kernel
	.section	.text._ZN7rocprim17ROCPRIM_400000_NS6detail25reduce_by_key_init_kernelINS1_19lookback_scan_stateINS0_5tupleIJjsEEELb0ELb1EEEsNS1_16block_id_wrapperIjLb1EEEEEvT_jbjPmPT0_T1_,"axG",@progbits,_ZN7rocprim17ROCPRIM_400000_NS6detail25reduce_by_key_init_kernelINS1_19lookback_scan_stateINS0_5tupleIJjsEEELb0ELb1EEEsNS1_16block_id_wrapperIjLb1EEEEEvT_jbjPmPT0_T1_,comdat
.Lfunc_end651:
	.size	_ZN7rocprim17ROCPRIM_400000_NS6detail25reduce_by_key_init_kernelINS1_19lookback_scan_stateINS0_5tupleIJjsEEELb0ELb1EEEsNS1_16block_id_wrapperIjLb1EEEEEvT_jbjPmPT0_T1_, .Lfunc_end651-_ZN7rocprim17ROCPRIM_400000_NS6detail25reduce_by_key_init_kernelINS1_19lookback_scan_stateINS0_5tupleIJjsEEELb0ELb1EEEsNS1_16block_id_wrapperIjLb1EEEEEvT_jbjPmPT0_T1_
                                        ; -- End function
	.section	.AMDGPU.csdata,"",@progbits
; Kernel info:
; codeLenInByte = 532
; NumSgprs: 22
; NumVgprs: 10
; NumAgprs: 0
; TotalNumVgprs: 10
; ScratchSize: 0
; MemoryBound: 0
; FloatMode: 240
; IeeeMode: 1
; LDSByteSize: 0 bytes/workgroup (compile time only)
; SGPRBlocks: 2
; VGPRBlocks: 1
; NumSGPRsForWavesPerEU: 22
; NumVGPRsForWavesPerEU: 10
; AccumOffset: 12
; Occupancy: 8
; WaveLimiterHint : 0
; COMPUTE_PGM_RSRC2:SCRATCH_EN: 0
; COMPUTE_PGM_RSRC2:USER_SGPR: 6
; COMPUTE_PGM_RSRC2:TRAP_HANDLER: 0
; COMPUTE_PGM_RSRC2:TGID_X_EN: 1
; COMPUTE_PGM_RSRC2:TGID_Y_EN: 0
; COMPUTE_PGM_RSRC2:TGID_Z_EN: 0
; COMPUTE_PGM_RSRC2:TIDIG_COMP_CNT: 0
; COMPUTE_PGM_RSRC3_GFX90A:ACCUM_OFFSET: 2
; COMPUTE_PGM_RSRC3_GFX90A:TG_SPLIT: 0
	.section	.text._ZN7rocprim17ROCPRIM_400000_NS6detail17trampoline_kernelINS0_14default_configENS1_29reduce_by_key_config_selectorIssN6thrust23THRUST_200600_302600_NS4plusIsEEEEZZNS1_33reduce_by_key_impl_wrapped_configILNS1_25lookback_scan_determinismE0ES3_S9_NS6_6detail15normal_iteratorINS6_10device_ptrIsEEEESG_SG_SG_PmS8_NS6_8equal_toIsEEEE10hipError_tPvRmT2_T3_mT4_T5_T6_T7_T8_P12ihipStream_tbENKUlT_T0_E_clISt17integral_constantIbLb0EES10_IbLb1EEEEDaSW_SX_EUlSW_E_NS1_11comp_targetILNS1_3genE0ELNS1_11target_archE4294967295ELNS1_3gpuE0ELNS1_3repE0EEENS1_30default_config_static_selectorELNS0_4arch9wavefront6targetE1EEEvT1_,"axG",@progbits,_ZN7rocprim17ROCPRIM_400000_NS6detail17trampoline_kernelINS0_14default_configENS1_29reduce_by_key_config_selectorIssN6thrust23THRUST_200600_302600_NS4plusIsEEEEZZNS1_33reduce_by_key_impl_wrapped_configILNS1_25lookback_scan_determinismE0ES3_S9_NS6_6detail15normal_iteratorINS6_10device_ptrIsEEEESG_SG_SG_PmS8_NS6_8equal_toIsEEEE10hipError_tPvRmT2_T3_mT4_T5_T6_T7_T8_P12ihipStream_tbENKUlT_T0_E_clISt17integral_constantIbLb0EES10_IbLb1EEEEDaSW_SX_EUlSW_E_NS1_11comp_targetILNS1_3genE0ELNS1_11target_archE4294967295ELNS1_3gpuE0ELNS1_3repE0EEENS1_30default_config_static_selectorELNS0_4arch9wavefront6targetE1EEEvT1_,comdat
	.protected	_ZN7rocprim17ROCPRIM_400000_NS6detail17trampoline_kernelINS0_14default_configENS1_29reduce_by_key_config_selectorIssN6thrust23THRUST_200600_302600_NS4plusIsEEEEZZNS1_33reduce_by_key_impl_wrapped_configILNS1_25lookback_scan_determinismE0ES3_S9_NS6_6detail15normal_iteratorINS6_10device_ptrIsEEEESG_SG_SG_PmS8_NS6_8equal_toIsEEEE10hipError_tPvRmT2_T3_mT4_T5_T6_T7_T8_P12ihipStream_tbENKUlT_T0_E_clISt17integral_constantIbLb0EES10_IbLb1EEEEDaSW_SX_EUlSW_E_NS1_11comp_targetILNS1_3genE0ELNS1_11target_archE4294967295ELNS1_3gpuE0ELNS1_3repE0EEENS1_30default_config_static_selectorELNS0_4arch9wavefront6targetE1EEEvT1_ ; -- Begin function _ZN7rocprim17ROCPRIM_400000_NS6detail17trampoline_kernelINS0_14default_configENS1_29reduce_by_key_config_selectorIssN6thrust23THRUST_200600_302600_NS4plusIsEEEEZZNS1_33reduce_by_key_impl_wrapped_configILNS1_25lookback_scan_determinismE0ES3_S9_NS6_6detail15normal_iteratorINS6_10device_ptrIsEEEESG_SG_SG_PmS8_NS6_8equal_toIsEEEE10hipError_tPvRmT2_T3_mT4_T5_T6_T7_T8_P12ihipStream_tbENKUlT_T0_E_clISt17integral_constantIbLb0EES10_IbLb1EEEEDaSW_SX_EUlSW_E_NS1_11comp_targetILNS1_3genE0ELNS1_11target_archE4294967295ELNS1_3gpuE0ELNS1_3repE0EEENS1_30default_config_static_selectorELNS0_4arch9wavefront6targetE1EEEvT1_
	.globl	_ZN7rocprim17ROCPRIM_400000_NS6detail17trampoline_kernelINS0_14default_configENS1_29reduce_by_key_config_selectorIssN6thrust23THRUST_200600_302600_NS4plusIsEEEEZZNS1_33reduce_by_key_impl_wrapped_configILNS1_25lookback_scan_determinismE0ES3_S9_NS6_6detail15normal_iteratorINS6_10device_ptrIsEEEESG_SG_SG_PmS8_NS6_8equal_toIsEEEE10hipError_tPvRmT2_T3_mT4_T5_T6_T7_T8_P12ihipStream_tbENKUlT_T0_E_clISt17integral_constantIbLb0EES10_IbLb1EEEEDaSW_SX_EUlSW_E_NS1_11comp_targetILNS1_3genE0ELNS1_11target_archE4294967295ELNS1_3gpuE0ELNS1_3repE0EEENS1_30default_config_static_selectorELNS0_4arch9wavefront6targetE1EEEvT1_
	.p2align	8
	.type	_ZN7rocprim17ROCPRIM_400000_NS6detail17trampoline_kernelINS0_14default_configENS1_29reduce_by_key_config_selectorIssN6thrust23THRUST_200600_302600_NS4plusIsEEEEZZNS1_33reduce_by_key_impl_wrapped_configILNS1_25lookback_scan_determinismE0ES3_S9_NS6_6detail15normal_iteratorINS6_10device_ptrIsEEEESG_SG_SG_PmS8_NS6_8equal_toIsEEEE10hipError_tPvRmT2_T3_mT4_T5_T6_T7_T8_P12ihipStream_tbENKUlT_T0_E_clISt17integral_constantIbLb0EES10_IbLb1EEEEDaSW_SX_EUlSW_E_NS1_11comp_targetILNS1_3genE0ELNS1_11target_archE4294967295ELNS1_3gpuE0ELNS1_3repE0EEENS1_30default_config_static_selectorELNS0_4arch9wavefront6targetE1EEEvT1_,@function
_ZN7rocprim17ROCPRIM_400000_NS6detail17trampoline_kernelINS0_14default_configENS1_29reduce_by_key_config_selectorIssN6thrust23THRUST_200600_302600_NS4plusIsEEEEZZNS1_33reduce_by_key_impl_wrapped_configILNS1_25lookback_scan_determinismE0ES3_S9_NS6_6detail15normal_iteratorINS6_10device_ptrIsEEEESG_SG_SG_PmS8_NS6_8equal_toIsEEEE10hipError_tPvRmT2_T3_mT4_T5_T6_T7_T8_P12ihipStream_tbENKUlT_T0_E_clISt17integral_constantIbLb0EES10_IbLb1EEEEDaSW_SX_EUlSW_E_NS1_11comp_targetILNS1_3genE0ELNS1_11target_archE4294967295ELNS1_3gpuE0ELNS1_3repE0EEENS1_30default_config_static_selectorELNS0_4arch9wavefront6targetE1EEEvT1_: ; @_ZN7rocprim17ROCPRIM_400000_NS6detail17trampoline_kernelINS0_14default_configENS1_29reduce_by_key_config_selectorIssN6thrust23THRUST_200600_302600_NS4plusIsEEEEZZNS1_33reduce_by_key_impl_wrapped_configILNS1_25lookback_scan_determinismE0ES3_S9_NS6_6detail15normal_iteratorINS6_10device_ptrIsEEEESG_SG_SG_PmS8_NS6_8equal_toIsEEEE10hipError_tPvRmT2_T3_mT4_T5_T6_T7_T8_P12ihipStream_tbENKUlT_T0_E_clISt17integral_constantIbLb0EES10_IbLb1EEEEDaSW_SX_EUlSW_E_NS1_11comp_targetILNS1_3genE0ELNS1_11target_archE4294967295ELNS1_3gpuE0ELNS1_3repE0EEENS1_30default_config_static_selectorELNS0_4arch9wavefront6targetE1EEEvT1_
; %bb.0:
	.section	.rodata,"a",@progbits
	.p2align	6, 0x0
	.amdhsa_kernel _ZN7rocprim17ROCPRIM_400000_NS6detail17trampoline_kernelINS0_14default_configENS1_29reduce_by_key_config_selectorIssN6thrust23THRUST_200600_302600_NS4plusIsEEEEZZNS1_33reduce_by_key_impl_wrapped_configILNS1_25lookback_scan_determinismE0ES3_S9_NS6_6detail15normal_iteratorINS6_10device_ptrIsEEEESG_SG_SG_PmS8_NS6_8equal_toIsEEEE10hipError_tPvRmT2_T3_mT4_T5_T6_T7_T8_P12ihipStream_tbENKUlT_T0_E_clISt17integral_constantIbLb0EES10_IbLb1EEEEDaSW_SX_EUlSW_E_NS1_11comp_targetILNS1_3genE0ELNS1_11target_archE4294967295ELNS1_3gpuE0ELNS1_3repE0EEENS1_30default_config_static_selectorELNS0_4arch9wavefront6targetE1EEEvT1_
		.amdhsa_group_segment_fixed_size 0
		.amdhsa_private_segment_fixed_size 0
		.amdhsa_kernarg_size 120
		.amdhsa_user_sgpr_count 6
		.amdhsa_user_sgpr_private_segment_buffer 1
		.amdhsa_user_sgpr_dispatch_ptr 0
		.amdhsa_user_sgpr_queue_ptr 0
		.amdhsa_user_sgpr_kernarg_segment_ptr 1
		.amdhsa_user_sgpr_dispatch_id 0
		.amdhsa_user_sgpr_flat_scratch_init 0
		.amdhsa_user_sgpr_kernarg_preload_length 0
		.amdhsa_user_sgpr_kernarg_preload_offset 0
		.amdhsa_user_sgpr_private_segment_size 0
		.amdhsa_uses_dynamic_stack 0
		.amdhsa_system_sgpr_private_segment_wavefront_offset 0
		.amdhsa_system_sgpr_workgroup_id_x 1
		.amdhsa_system_sgpr_workgroup_id_y 0
		.amdhsa_system_sgpr_workgroup_id_z 0
		.amdhsa_system_sgpr_workgroup_info 0
		.amdhsa_system_vgpr_workitem_id 0
		.amdhsa_next_free_vgpr 1
		.amdhsa_next_free_sgpr 0
		.amdhsa_accum_offset 4
		.amdhsa_reserve_vcc 0
		.amdhsa_reserve_flat_scratch 0
		.amdhsa_float_round_mode_32 0
		.amdhsa_float_round_mode_16_64 0
		.amdhsa_float_denorm_mode_32 3
		.amdhsa_float_denorm_mode_16_64 3
		.amdhsa_dx10_clamp 1
		.amdhsa_ieee_mode 1
		.amdhsa_fp16_overflow 0
		.amdhsa_tg_split 0
		.amdhsa_exception_fp_ieee_invalid_op 0
		.amdhsa_exception_fp_denorm_src 0
		.amdhsa_exception_fp_ieee_div_zero 0
		.amdhsa_exception_fp_ieee_overflow 0
		.amdhsa_exception_fp_ieee_underflow 0
		.amdhsa_exception_fp_ieee_inexact 0
		.amdhsa_exception_int_div_zero 0
	.end_amdhsa_kernel
	.section	.text._ZN7rocprim17ROCPRIM_400000_NS6detail17trampoline_kernelINS0_14default_configENS1_29reduce_by_key_config_selectorIssN6thrust23THRUST_200600_302600_NS4plusIsEEEEZZNS1_33reduce_by_key_impl_wrapped_configILNS1_25lookback_scan_determinismE0ES3_S9_NS6_6detail15normal_iteratorINS6_10device_ptrIsEEEESG_SG_SG_PmS8_NS6_8equal_toIsEEEE10hipError_tPvRmT2_T3_mT4_T5_T6_T7_T8_P12ihipStream_tbENKUlT_T0_E_clISt17integral_constantIbLb0EES10_IbLb1EEEEDaSW_SX_EUlSW_E_NS1_11comp_targetILNS1_3genE0ELNS1_11target_archE4294967295ELNS1_3gpuE0ELNS1_3repE0EEENS1_30default_config_static_selectorELNS0_4arch9wavefront6targetE1EEEvT1_,"axG",@progbits,_ZN7rocprim17ROCPRIM_400000_NS6detail17trampoline_kernelINS0_14default_configENS1_29reduce_by_key_config_selectorIssN6thrust23THRUST_200600_302600_NS4plusIsEEEEZZNS1_33reduce_by_key_impl_wrapped_configILNS1_25lookback_scan_determinismE0ES3_S9_NS6_6detail15normal_iteratorINS6_10device_ptrIsEEEESG_SG_SG_PmS8_NS6_8equal_toIsEEEE10hipError_tPvRmT2_T3_mT4_T5_T6_T7_T8_P12ihipStream_tbENKUlT_T0_E_clISt17integral_constantIbLb0EES10_IbLb1EEEEDaSW_SX_EUlSW_E_NS1_11comp_targetILNS1_3genE0ELNS1_11target_archE4294967295ELNS1_3gpuE0ELNS1_3repE0EEENS1_30default_config_static_selectorELNS0_4arch9wavefront6targetE1EEEvT1_,comdat
.Lfunc_end652:
	.size	_ZN7rocprim17ROCPRIM_400000_NS6detail17trampoline_kernelINS0_14default_configENS1_29reduce_by_key_config_selectorIssN6thrust23THRUST_200600_302600_NS4plusIsEEEEZZNS1_33reduce_by_key_impl_wrapped_configILNS1_25lookback_scan_determinismE0ES3_S9_NS6_6detail15normal_iteratorINS6_10device_ptrIsEEEESG_SG_SG_PmS8_NS6_8equal_toIsEEEE10hipError_tPvRmT2_T3_mT4_T5_T6_T7_T8_P12ihipStream_tbENKUlT_T0_E_clISt17integral_constantIbLb0EES10_IbLb1EEEEDaSW_SX_EUlSW_E_NS1_11comp_targetILNS1_3genE0ELNS1_11target_archE4294967295ELNS1_3gpuE0ELNS1_3repE0EEENS1_30default_config_static_selectorELNS0_4arch9wavefront6targetE1EEEvT1_, .Lfunc_end652-_ZN7rocprim17ROCPRIM_400000_NS6detail17trampoline_kernelINS0_14default_configENS1_29reduce_by_key_config_selectorIssN6thrust23THRUST_200600_302600_NS4plusIsEEEEZZNS1_33reduce_by_key_impl_wrapped_configILNS1_25lookback_scan_determinismE0ES3_S9_NS6_6detail15normal_iteratorINS6_10device_ptrIsEEEESG_SG_SG_PmS8_NS6_8equal_toIsEEEE10hipError_tPvRmT2_T3_mT4_T5_T6_T7_T8_P12ihipStream_tbENKUlT_T0_E_clISt17integral_constantIbLb0EES10_IbLb1EEEEDaSW_SX_EUlSW_E_NS1_11comp_targetILNS1_3genE0ELNS1_11target_archE4294967295ELNS1_3gpuE0ELNS1_3repE0EEENS1_30default_config_static_selectorELNS0_4arch9wavefront6targetE1EEEvT1_
                                        ; -- End function
	.section	.AMDGPU.csdata,"",@progbits
; Kernel info:
; codeLenInByte = 0
; NumSgprs: 4
; NumVgprs: 0
; NumAgprs: 0
; TotalNumVgprs: 0
; ScratchSize: 0
; MemoryBound: 0
; FloatMode: 240
; IeeeMode: 1
; LDSByteSize: 0 bytes/workgroup (compile time only)
; SGPRBlocks: 0
; VGPRBlocks: 0
; NumSGPRsForWavesPerEU: 4
; NumVGPRsForWavesPerEU: 1
; AccumOffset: 4
; Occupancy: 8
; WaveLimiterHint : 0
; COMPUTE_PGM_RSRC2:SCRATCH_EN: 0
; COMPUTE_PGM_RSRC2:USER_SGPR: 6
; COMPUTE_PGM_RSRC2:TRAP_HANDLER: 0
; COMPUTE_PGM_RSRC2:TGID_X_EN: 1
; COMPUTE_PGM_RSRC2:TGID_Y_EN: 0
; COMPUTE_PGM_RSRC2:TGID_Z_EN: 0
; COMPUTE_PGM_RSRC2:TIDIG_COMP_CNT: 0
; COMPUTE_PGM_RSRC3_GFX90A:ACCUM_OFFSET: 0
; COMPUTE_PGM_RSRC3_GFX90A:TG_SPLIT: 0
	.section	.text._ZN7rocprim17ROCPRIM_400000_NS6detail17trampoline_kernelINS0_14default_configENS1_29reduce_by_key_config_selectorIssN6thrust23THRUST_200600_302600_NS4plusIsEEEEZZNS1_33reduce_by_key_impl_wrapped_configILNS1_25lookback_scan_determinismE0ES3_S9_NS6_6detail15normal_iteratorINS6_10device_ptrIsEEEESG_SG_SG_PmS8_NS6_8equal_toIsEEEE10hipError_tPvRmT2_T3_mT4_T5_T6_T7_T8_P12ihipStream_tbENKUlT_T0_E_clISt17integral_constantIbLb0EES10_IbLb1EEEEDaSW_SX_EUlSW_E_NS1_11comp_targetILNS1_3genE5ELNS1_11target_archE942ELNS1_3gpuE9ELNS1_3repE0EEENS1_30default_config_static_selectorELNS0_4arch9wavefront6targetE1EEEvT1_,"axG",@progbits,_ZN7rocprim17ROCPRIM_400000_NS6detail17trampoline_kernelINS0_14default_configENS1_29reduce_by_key_config_selectorIssN6thrust23THRUST_200600_302600_NS4plusIsEEEEZZNS1_33reduce_by_key_impl_wrapped_configILNS1_25lookback_scan_determinismE0ES3_S9_NS6_6detail15normal_iteratorINS6_10device_ptrIsEEEESG_SG_SG_PmS8_NS6_8equal_toIsEEEE10hipError_tPvRmT2_T3_mT4_T5_T6_T7_T8_P12ihipStream_tbENKUlT_T0_E_clISt17integral_constantIbLb0EES10_IbLb1EEEEDaSW_SX_EUlSW_E_NS1_11comp_targetILNS1_3genE5ELNS1_11target_archE942ELNS1_3gpuE9ELNS1_3repE0EEENS1_30default_config_static_selectorELNS0_4arch9wavefront6targetE1EEEvT1_,comdat
	.protected	_ZN7rocprim17ROCPRIM_400000_NS6detail17trampoline_kernelINS0_14default_configENS1_29reduce_by_key_config_selectorIssN6thrust23THRUST_200600_302600_NS4plusIsEEEEZZNS1_33reduce_by_key_impl_wrapped_configILNS1_25lookback_scan_determinismE0ES3_S9_NS6_6detail15normal_iteratorINS6_10device_ptrIsEEEESG_SG_SG_PmS8_NS6_8equal_toIsEEEE10hipError_tPvRmT2_T3_mT4_T5_T6_T7_T8_P12ihipStream_tbENKUlT_T0_E_clISt17integral_constantIbLb0EES10_IbLb1EEEEDaSW_SX_EUlSW_E_NS1_11comp_targetILNS1_3genE5ELNS1_11target_archE942ELNS1_3gpuE9ELNS1_3repE0EEENS1_30default_config_static_selectorELNS0_4arch9wavefront6targetE1EEEvT1_ ; -- Begin function _ZN7rocprim17ROCPRIM_400000_NS6detail17trampoline_kernelINS0_14default_configENS1_29reduce_by_key_config_selectorIssN6thrust23THRUST_200600_302600_NS4plusIsEEEEZZNS1_33reduce_by_key_impl_wrapped_configILNS1_25lookback_scan_determinismE0ES3_S9_NS6_6detail15normal_iteratorINS6_10device_ptrIsEEEESG_SG_SG_PmS8_NS6_8equal_toIsEEEE10hipError_tPvRmT2_T3_mT4_T5_T6_T7_T8_P12ihipStream_tbENKUlT_T0_E_clISt17integral_constantIbLb0EES10_IbLb1EEEEDaSW_SX_EUlSW_E_NS1_11comp_targetILNS1_3genE5ELNS1_11target_archE942ELNS1_3gpuE9ELNS1_3repE0EEENS1_30default_config_static_selectorELNS0_4arch9wavefront6targetE1EEEvT1_
	.globl	_ZN7rocprim17ROCPRIM_400000_NS6detail17trampoline_kernelINS0_14default_configENS1_29reduce_by_key_config_selectorIssN6thrust23THRUST_200600_302600_NS4plusIsEEEEZZNS1_33reduce_by_key_impl_wrapped_configILNS1_25lookback_scan_determinismE0ES3_S9_NS6_6detail15normal_iteratorINS6_10device_ptrIsEEEESG_SG_SG_PmS8_NS6_8equal_toIsEEEE10hipError_tPvRmT2_T3_mT4_T5_T6_T7_T8_P12ihipStream_tbENKUlT_T0_E_clISt17integral_constantIbLb0EES10_IbLb1EEEEDaSW_SX_EUlSW_E_NS1_11comp_targetILNS1_3genE5ELNS1_11target_archE942ELNS1_3gpuE9ELNS1_3repE0EEENS1_30default_config_static_selectorELNS0_4arch9wavefront6targetE1EEEvT1_
	.p2align	8
	.type	_ZN7rocprim17ROCPRIM_400000_NS6detail17trampoline_kernelINS0_14default_configENS1_29reduce_by_key_config_selectorIssN6thrust23THRUST_200600_302600_NS4plusIsEEEEZZNS1_33reduce_by_key_impl_wrapped_configILNS1_25lookback_scan_determinismE0ES3_S9_NS6_6detail15normal_iteratorINS6_10device_ptrIsEEEESG_SG_SG_PmS8_NS6_8equal_toIsEEEE10hipError_tPvRmT2_T3_mT4_T5_T6_T7_T8_P12ihipStream_tbENKUlT_T0_E_clISt17integral_constantIbLb0EES10_IbLb1EEEEDaSW_SX_EUlSW_E_NS1_11comp_targetILNS1_3genE5ELNS1_11target_archE942ELNS1_3gpuE9ELNS1_3repE0EEENS1_30default_config_static_selectorELNS0_4arch9wavefront6targetE1EEEvT1_,@function
_ZN7rocprim17ROCPRIM_400000_NS6detail17trampoline_kernelINS0_14default_configENS1_29reduce_by_key_config_selectorIssN6thrust23THRUST_200600_302600_NS4plusIsEEEEZZNS1_33reduce_by_key_impl_wrapped_configILNS1_25lookback_scan_determinismE0ES3_S9_NS6_6detail15normal_iteratorINS6_10device_ptrIsEEEESG_SG_SG_PmS8_NS6_8equal_toIsEEEE10hipError_tPvRmT2_T3_mT4_T5_T6_T7_T8_P12ihipStream_tbENKUlT_T0_E_clISt17integral_constantIbLb0EES10_IbLb1EEEEDaSW_SX_EUlSW_E_NS1_11comp_targetILNS1_3genE5ELNS1_11target_archE942ELNS1_3gpuE9ELNS1_3repE0EEENS1_30default_config_static_selectorELNS0_4arch9wavefront6targetE1EEEvT1_: ; @_ZN7rocprim17ROCPRIM_400000_NS6detail17trampoline_kernelINS0_14default_configENS1_29reduce_by_key_config_selectorIssN6thrust23THRUST_200600_302600_NS4plusIsEEEEZZNS1_33reduce_by_key_impl_wrapped_configILNS1_25lookback_scan_determinismE0ES3_S9_NS6_6detail15normal_iteratorINS6_10device_ptrIsEEEESG_SG_SG_PmS8_NS6_8equal_toIsEEEE10hipError_tPvRmT2_T3_mT4_T5_T6_T7_T8_P12ihipStream_tbENKUlT_T0_E_clISt17integral_constantIbLb0EES10_IbLb1EEEEDaSW_SX_EUlSW_E_NS1_11comp_targetILNS1_3genE5ELNS1_11target_archE942ELNS1_3gpuE9ELNS1_3repE0EEENS1_30default_config_static_selectorELNS0_4arch9wavefront6targetE1EEEvT1_
; %bb.0:
	.section	.rodata,"a",@progbits
	.p2align	6, 0x0
	.amdhsa_kernel _ZN7rocprim17ROCPRIM_400000_NS6detail17trampoline_kernelINS0_14default_configENS1_29reduce_by_key_config_selectorIssN6thrust23THRUST_200600_302600_NS4plusIsEEEEZZNS1_33reduce_by_key_impl_wrapped_configILNS1_25lookback_scan_determinismE0ES3_S9_NS6_6detail15normal_iteratorINS6_10device_ptrIsEEEESG_SG_SG_PmS8_NS6_8equal_toIsEEEE10hipError_tPvRmT2_T3_mT4_T5_T6_T7_T8_P12ihipStream_tbENKUlT_T0_E_clISt17integral_constantIbLb0EES10_IbLb1EEEEDaSW_SX_EUlSW_E_NS1_11comp_targetILNS1_3genE5ELNS1_11target_archE942ELNS1_3gpuE9ELNS1_3repE0EEENS1_30default_config_static_selectorELNS0_4arch9wavefront6targetE1EEEvT1_
		.amdhsa_group_segment_fixed_size 0
		.amdhsa_private_segment_fixed_size 0
		.amdhsa_kernarg_size 120
		.amdhsa_user_sgpr_count 6
		.amdhsa_user_sgpr_private_segment_buffer 1
		.amdhsa_user_sgpr_dispatch_ptr 0
		.amdhsa_user_sgpr_queue_ptr 0
		.amdhsa_user_sgpr_kernarg_segment_ptr 1
		.amdhsa_user_sgpr_dispatch_id 0
		.amdhsa_user_sgpr_flat_scratch_init 0
		.amdhsa_user_sgpr_kernarg_preload_length 0
		.amdhsa_user_sgpr_kernarg_preload_offset 0
		.amdhsa_user_sgpr_private_segment_size 0
		.amdhsa_uses_dynamic_stack 0
		.amdhsa_system_sgpr_private_segment_wavefront_offset 0
		.amdhsa_system_sgpr_workgroup_id_x 1
		.amdhsa_system_sgpr_workgroup_id_y 0
		.amdhsa_system_sgpr_workgroup_id_z 0
		.amdhsa_system_sgpr_workgroup_info 0
		.amdhsa_system_vgpr_workitem_id 0
		.amdhsa_next_free_vgpr 1
		.amdhsa_next_free_sgpr 0
		.amdhsa_accum_offset 4
		.amdhsa_reserve_vcc 0
		.amdhsa_reserve_flat_scratch 0
		.amdhsa_float_round_mode_32 0
		.amdhsa_float_round_mode_16_64 0
		.amdhsa_float_denorm_mode_32 3
		.amdhsa_float_denorm_mode_16_64 3
		.amdhsa_dx10_clamp 1
		.amdhsa_ieee_mode 1
		.amdhsa_fp16_overflow 0
		.amdhsa_tg_split 0
		.amdhsa_exception_fp_ieee_invalid_op 0
		.amdhsa_exception_fp_denorm_src 0
		.amdhsa_exception_fp_ieee_div_zero 0
		.amdhsa_exception_fp_ieee_overflow 0
		.amdhsa_exception_fp_ieee_underflow 0
		.amdhsa_exception_fp_ieee_inexact 0
		.amdhsa_exception_int_div_zero 0
	.end_amdhsa_kernel
	.section	.text._ZN7rocprim17ROCPRIM_400000_NS6detail17trampoline_kernelINS0_14default_configENS1_29reduce_by_key_config_selectorIssN6thrust23THRUST_200600_302600_NS4plusIsEEEEZZNS1_33reduce_by_key_impl_wrapped_configILNS1_25lookback_scan_determinismE0ES3_S9_NS6_6detail15normal_iteratorINS6_10device_ptrIsEEEESG_SG_SG_PmS8_NS6_8equal_toIsEEEE10hipError_tPvRmT2_T3_mT4_T5_T6_T7_T8_P12ihipStream_tbENKUlT_T0_E_clISt17integral_constantIbLb0EES10_IbLb1EEEEDaSW_SX_EUlSW_E_NS1_11comp_targetILNS1_3genE5ELNS1_11target_archE942ELNS1_3gpuE9ELNS1_3repE0EEENS1_30default_config_static_selectorELNS0_4arch9wavefront6targetE1EEEvT1_,"axG",@progbits,_ZN7rocprim17ROCPRIM_400000_NS6detail17trampoline_kernelINS0_14default_configENS1_29reduce_by_key_config_selectorIssN6thrust23THRUST_200600_302600_NS4plusIsEEEEZZNS1_33reduce_by_key_impl_wrapped_configILNS1_25lookback_scan_determinismE0ES3_S9_NS6_6detail15normal_iteratorINS6_10device_ptrIsEEEESG_SG_SG_PmS8_NS6_8equal_toIsEEEE10hipError_tPvRmT2_T3_mT4_T5_T6_T7_T8_P12ihipStream_tbENKUlT_T0_E_clISt17integral_constantIbLb0EES10_IbLb1EEEEDaSW_SX_EUlSW_E_NS1_11comp_targetILNS1_3genE5ELNS1_11target_archE942ELNS1_3gpuE9ELNS1_3repE0EEENS1_30default_config_static_selectorELNS0_4arch9wavefront6targetE1EEEvT1_,comdat
.Lfunc_end653:
	.size	_ZN7rocprim17ROCPRIM_400000_NS6detail17trampoline_kernelINS0_14default_configENS1_29reduce_by_key_config_selectorIssN6thrust23THRUST_200600_302600_NS4plusIsEEEEZZNS1_33reduce_by_key_impl_wrapped_configILNS1_25lookback_scan_determinismE0ES3_S9_NS6_6detail15normal_iteratorINS6_10device_ptrIsEEEESG_SG_SG_PmS8_NS6_8equal_toIsEEEE10hipError_tPvRmT2_T3_mT4_T5_T6_T7_T8_P12ihipStream_tbENKUlT_T0_E_clISt17integral_constantIbLb0EES10_IbLb1EEEEDaSW_SX_EUlSW_E_NS1_11comp_targetILNS1_3genE5ELNS1_11target_archE942ELNS1_3gpuE9ELNS1_3repE0EEENS1_30default_config_static_selectorELNS0_4arch9wavefront6targetE1EEEvT1_, .Lfunc_end653-_ZN7rocprim17ROCPRIM_400000_NS6detail17trampoline_kernelINS0_14default_configENS1_29reduce_by_key_config_selectorIssN6thrust23THRUST_200600_302600_NS4plusIsEEEEZZNS1_33reduce_by_key_impl_wrapped_configILNS1_25lookback_scan_determinismE0ES3_S9_NS6_6detail15normal_iteratorINS6_10device_ptrIsEEEESG_SG_SG_PmS8_NS6_8equal_toIsEEEE10hipError_tPvRmT2_T3_mT4_T5_T6_T7_T8_P12ihipStream_tbENKUlT_T0_E_clISt17integral_constantIbLb0EES10_IbLb1EEEEDaSW_SX_EUlSW_E_NS1_11comp_targetILNS1_3genE5ELNS1_11target_archE942ELNS1_3gpuE9ELNS1_3repE0EEENS1_30default_config_static_selectorELNS0_4arch9wavefront6targetE1EEEvT1_
                                        ; -- End function
	.section	.AMDGPU.csdata,"",@progbits
; Kernel info:
; codeLenInByte = 0
; NumSgprs: 4
; NumVgprs: 0
; NumAgprs: 0
; TotalNumVgprs: 0
; ScratchSize: 0
; MemoryBound: 0
; FloatMode: 240
; IeeeMode: 1
; LDSByteSize: 0 bytes/workgroup (compile time only)
; SGPRBlocks: 0
; VGPRBlocks: 0
; NumSGPRsForWavesPerEU: 4
; NumVGPRsForWavesPerEU: 1
; AccumOffset: 4
; Occupancy: 8
; WaveLimiterHint : 0
; COMPUTE_PGM_RSRC2:SCRATCH_EN: 0
; COMPUTE_PGM_RSRC2:USER_SGPR: 6
; COMPUTE_PGM_RSRC2:TRAP_HANDLER: 0
; COMPUTE_PGM_RSRC2:TGID_X_EN: 1
; COMPUTE_PGM_RSRC2:TGID_Y_EN: 0
; COMPUTE_PGM_RSRC2:TGID_Z_EN: 0
; COMPUTE_PGM_RSRC2:TIDIG_COMP_CNT: 0
; COMPUTE_PGM_RSRC3_GFX90A:ACCUM_OFFSET: 0
; COMPUTE_PGM_RSRC3_GFX90A:TG_SPLIT: 0
	.section	.text._ZN7rocprim17ROCPRIM_400000_NS6detail17trampoline_kernelINS0_14default_configENS1_29reduce_by_key_config_selectorIssN6thrust23THRUST_200600_302600_NS4plusIsEEEEZZNS1_33reduce_by_key_impl_wrapped_configILNS1_25lookback_scan_determinismE0ES3_S9_NS6_6detail15normal_iteratorINS6_10device_ptrIsEEEESG_SG_SG_PmS8_NS6_8equal_toIsEEEE10hipError_tPvRmT2_T3_mT4_T5_T6_T7_T8_P12ihipStream_tbENKUlT_T0_E_clISt17integral_constantIbLb0EES10_IbLb1EEEEDaSW_SX_EUlSW_E_NS1_11comp_targetILNS1_3genE4ELNS1_11target_archE910ELNS1_3gpuE8ELNS1_3repE0EEENS1_30default_config_static_selectorELNS0_4arch9wavefront6targetE1EEEvT1_,"axG",@progbits,_ZN7rocprim17ROCPRIM_400000_NS6detail17trampoline_kernelINS0_14default_configENS1_29reduce_by_key_config_selectorIssN6thrust23THRUST_200600_302600_NS4plusIsEEEEZZNS1_33reduce_by_key_impl_wrapped_configILNS1_25lookback_scan_determinismE0ES3_S9_NS6_6detail15normal_iteratorINS6_10device_ptrIsEEEESG_SG_SG_PmS8_NS6_8equal_toIsEEEE10hipError_tPvRmT2_T3_mT4_T5_T6_T7_T8_P12ihipStream_tbENKUlT_T0_E_clISt17integral_constantIbLb0EES10_IbLb1EEEEDaSW_SX_EUlSW_E_NS1_11comp_targetILNS1_3genE4ELNS1_11target_archE910ELNS1_3gpuE8ELNS1_3repE0EEENS1_30default_config_static_selectorELNS0_4arch9wavefront6targetE1EEEvT1_,comdat
	.protected	_ZN7rocprim17ROCPRIM_400000_NS6detail17trampoline_kernelINS0_14default_configENS1_29reduce_by_key_config_selectorIssN6thrust23THRUST_200600_302600_NS4plusIsEEEEZZNS1_33reduce_by_key_impl_wrapped_configILNS1_25lookback_scan_determinismE0ES3_S9_NS6_6detail15normal_iteratorINS6_10device_ptrIsEEEESG_SG_SG_PmS8_NS6_8equal_toIsEEEE10hipError_tPvRmT2_T3_mT4_T5_T6_T7_T8_P12ihipStream_tbENKUlT_T0_E_clISt17integral_constantIbLb0EES10_IbLb1EEEEDaSW_SX_EUlSW_E_NS1_11comp_targetILNS1_3genE4ELNS1_11target_archE910ELNS1_3gpuE8ELNS1_3repE0EEENS1_30default_config_static_selectorELNS0_4arch9wavefront6targetE1EEEvT1_ ; -- Begin function _ZN7rocprim17ROCPRIM_400000_NS6detail17trampoline_kernelINS0_14default_configENS1_29reduce_by_key_config_selectorIssN6thrust23THRUST_200600_302600_NS4plusIsEEEEZZNS1_33reduce_by_key_impl_wrapped_configILNS1_25lookback_scan_determinismE0ES3_S9_NS6_6detail15normal_iteratorINS6_10device_ptrIsEEEESG_SG_SG_PmS8_NS6_8equal_toIsEEEE10hipError_tPvRmT2_T3_mT4_T5_T6_T7_T8_P12ihipStream_tbENKUlT_T0_E_clISt17integral_constantIbLb0EES10_IbLb1EEEEDaSW_SX_EUlSW_E_NS1_11comp_targetILNS1_3genE4ELNS1_11target_archE910ELNS1_3gpuE8ELNS1_3repE0EEENS1_30default_config_static_selectorELNS0_4arch9wavefront6targetE1EEEvT1_
	.globl	_ZN7rocprim17ROCPRIM_400000_NS6detail17trampoline_kernelINS0_14default_configENS1_29reduce_by_key_config_selectorIssN6thrust23THRUST_200600_302600_NS4plusIsEEEEZZNS1_33reduce_by_key_impl_wrapped_configILNS1_25lookback_scan_determinismE0ES3_S9_NS6_6detail15normal_iteratorINS6_10device_ptrIsEEEESG_SG_SG_PmS8_NS6_8equal_toIsEEEE10hipError_tPvRmT2_T3_mT4_T5_T6_T7_T8_P12ihipStream_tbENKUlT_T0_E_clISt17integral_constantIbLb0EES10_IbLb1EEEEDaSW_SX_EUlSW_E_NS1_11comp_targetILNS1_3genE4ELNS1_11target_archE910ELNS1_3gpuE8ELNS1_3repE0EEENS1_30default_config_static_selectorELNS0_4arch9wavefront6targetE1EEEvT1_
	.p2align	8
	.type	_ZN7rocprim17ROCPRIM_400000_NS6detail17trampoline_kernelINS0_14default_configENS1_29reduce_by_key_config_selectorIssN6thrust23THRUST_200600_302600_NS4plusIsEEEEZZNS1_33reduce_by_key_impl_wrapped_configILNS1_25lookback_scan_determinismE0ES3_S9_NS6_6detail15normal_iteratorINS6_10device_ptrIsEEEESG_SG_SG_PmS8_NS6_8equal_toIsEEEE10hipError_tPvRmT2_T3_mT4_T5_T6_T7_T8_P12ihipStream_tbENKUlT_T0_E_clISt17integral_constantIbLb0EES10_IbLb1EEEEDaSW_SX_EUlSW_E_NS1_11comp_targetILNS1_3genE4ELNS1_11target_archE910ELNS1_3gpuE8ELNS1_3repE0EEENS1_30default_config_static_selectorELNS0_4arch9wavefront6targetE1EEEvT1_,@function
_ZN7rocprim17ROCPRIM_400000_NS6detail17trampoline_kernelINS0_14default_configENS1_29reduce_by_key_config_selectorIssN6thrust23THRUST_200600_302600_NS4plusIsEEEEZZNS1_33reduce_by_key_impl_wrapped_configILNS1_25lookback_scan_determinismE0ES3_S9_NS6_6detail15normal_iteratorINS6_10device_ptrIsEEEESG_SG_SG_PmS8_NS6_8equal_toIsEEEE10hipError_tPvRmT2_T3_mT4_T5_T6_T7_T8_P12ihipStream_tbENKUlT_T0_E_clISt17integral_constantIbLb0EES10_IbLb1EEEEDaSW_SX_EUlSW_E_NS1_11comp_targetILNS1_3genE4ELNS1_11target_archE910ELNS1_3gpuE8ELNS1_3repE0EEENS1_30default_config_static_selectorELNS0_4arch9wavefront6targetE1EEEvT1_: ; @_ZN7rocprim17ROCPRIM_400000_NS6detail17trampoline_kernelINS0_14default_configENS1_29reduce_by_key_config_selectorIssN6thrust23THRUST_200600_302600_NS4plusIsEEEEZZNS1_33reduce_by_key_impl_wrapped_configILNS1_25lookback_scan_determinismE0ES3_S9_NS6_6detail15normal_iteratorINS6_10device_ptrIsEEEESG_SG_SG_PmS8_NS6_8equal_toIsEEEE10hipError_tPvRmT2_T3_mT4_T5_T6_T7_T8_P12ihipStream_tbENKUlT_T0_E_clISt17integral_constantIbLb0EES10_IbLb1EEEEDaSW_SX_EUlSW_E_NS1_11comp_targetILNS1_3genE4ELNS1_11target_archE910ELNS1_3gpuE8ELNS1_3repE0EEENS1_30default_config_static_selectorELNS0_4arch9wavefront6targetE1EEEvT1_
; %bb.0:
	s_load_dwordx8 s[36:43], s[4:5], 0x0
	s_load_dwordx4 s[52:55], s[4:5], 0x20
	s_load_dwordx8 s[44:51], s[4:5], 0x38
	s_load_dwordx2 s[60:61], s[4:5], 0x68
	s_load_dwordx4 s[56:59], s[4:5], 0x58
	v_cmp_ne_u32_e64 s[2:3], 0, v0
	v_cmp_eq_u32_e64 s[0:1], 0, v0
	s_and_saveexec_b64 s[6:7], s[0:1]
	s_cbranch_execz .LBB654_4
; %bb.1:
	s_mov_b64 s[10:11], exec
	v_mbcnt_lo_u32_b32 v1, s10, 0
	v_mbcnt_hi_u32_b32 v1, s11, v1
	v_cmp_eq_u32_e32 vcc, 0, v1
                                        ; implicit-def: $vgpr2
	s_and_saveexec_b64 s[8:9], vcc
	s_cbranch_execz .LBB654_3
; %bb.2:
	s_load_dwordx2 s[4:5], s[4:5], 0x70
	s_bcnt1_i32_b64 s10, s[10:11]
	v_mov_b32_e32 v2, 0
	v_mov_b32_e32 v3, s10
	s_waitcnt lgkmcnt(0)
	global_atomic_add v2, v2, v3, s[4:5] glc
.LBB654_3:
	s_or_b64 exec, exec, s[8:9]
	s_waitcnt vmcnt(0)
	v_readfirstlane_b32 s4, v2
	v_add_u32_e32 v1, s4, v1
	v_mov_b32_e32 v2, 0
	ds_write_b32 v2, v1
.LBB654_4:
	s_or_b64 exec, exec, s[6:7]
	v_mov_b32_e32 v3, 0
	s_waitcnt lgkmcnt(0)
	s_lshl_b64 s[4:5], s[38:39], 1
	s_barrier
	ds_read_b32 v1, v3
	s_add_u32 s6, s36, s4
	s_addc_u32 s7, s37, s5
	s_add_u32 s4, s40, s4
	s_mul_i32 s8, s48, s47
	s_mul_hi_u32 s9, s48, s46
	s_addc_u32 s5, s41, s5
	s_add_i32 s8, s9, s8
	s_mul_i32 s9, s49, s46
	s_add_i32 s8, s8, s9
	s_mul_i32 s9, s48, s46
	s_waitcnt lgkmcnt(0)
	v_readfirstlane_b32 s62, v1
	s_movk_i32 s10, 0xf00
	v_mul_lo_u32 v2, v1, s10
	s_add_u32 s40, s9, s62
	v_lshlrev_b64 v[2:3], 1, v[2:3]
	s_addc_u32 s41, s8, 0
	v_mov_b32_e32 v1, s7
	v_add_co_u32_e32 v7, vcc, s6, v2
	s_add_u32 s6, s50, -1
	v_addc_co_u32_e32 v9, vcc, v1, v3, vcc
	s_addc_u32 s7, s51, -1
	v_mov_b32_e32 v1, s5
	v_add_co_u32_e32 v6, vcc, s4, v2
	s_cmp_eq_u64 s[40:41], s[6:7]
	v_addc_co_u32_e32 v8, vcc, v1, v3, vcc
	s_cselect_b64 s[36:37], -1, 0
	s_cmp_lg_u64 s[40:41], s[6:7]
	s_mov_b64 s[4:5], -1
	s_cselect_b64 s[48:49], -1, 0
	s_mul_i32 s33, s6, 0xfffff100
	s_and_b64 vcc, exec, s[36:37]
	s_barrier
	s_cbranch_vccnz .LBB654_6
; %bb.5:
	v_lshlrev_b32_e32 v17, 1, v0
	v_add_co_u32_e32 v2, vcc, v7, v17
	v_addc_co_u32_e32 v3, vcc, 0, v9, vcc
	flat_load_ushort v1, v[2:3]
	flat_load_ushort v4, v[2:3] offset:512
	flat_load_ushort v5, v[2:3] offset:1024
	;; [unrolled: 1-line block ×7, first 2 shown]
	v_add_co_u32_e32 v2, vcc, 0x1000, v2
	v_addc_co_u32_e32 v3, vcc, 0, v3, vcc
	flat_load_ushort v21, v[2:3]
	flat_load_ushort v22, v[2:3] offset:512
	flat_load_ushort v23, v[2:3] offset:1024
	;; [unrolled: 1-line block ×6, first 2 shown]
	v_add_co_u32_e32 v12, vcc, v6, v17
	s_movk_i32 s4, 0x1000
	v_addc_co_u32_e32 v13, vcc, 0, v8, vcc
	v_mad_u32_u24 v10, v0, 28, v17
	v_add_co_u32_e32 v18, vcc, s4, v12
	v_addc_co_u32_e32 v19, vcc, 0, v13, vcc
	s_waitcnt vmcnt(0) lgkmcnt(0)
	ds_write_b16 v17, v1
	ds_write_b16 v17, v4 offset:512
	ds_write_b16 v17, v5 offset:1024
	;; [unrolled: 1-line block ×14, first 2 shown]
	s_waitcnt lgkmcnt(0)
	s_barrier
	ds_read_u16 v1, v10
	ds_read_b128 v[2:5], v10 offset:2
	ds_read_b96 v[14:16], v10 offset:18
	s_waitcnt lgkmcnt(0)
	s_barrier
	flat_load_ushort v20, v[12:13]
	flat_load_ushort v21, v[12:13] offset:512
	flat_load_ushort v22, v[12:13] offset:1024
	;; [unrolled: 1-line block ×7, first 2 shown]
	flat_load_ushort v28, v[18:19]
	flat_load_ushort v29, v[18:19] offset:512
	flat_load_ushort v30, v[18:19] offset:1024
	;; [unrolled: 1-line block ×6, first 2 shown]
	v_mul_u32_u24_e32 v11, 15, v0
	s_waitcnt vmcnt(0) lgkmcnt(0)
	ds_write_b16 v17, v20
	ds_write_b16 v17, v21 offset:512
	ds_write_b16 v17, v22 offset:1024
	;; [unrolled: 1-line block ×14, first 2 shown]
	s_waitcnt lgkmcnt(0)
	s_barrier
	s_add_i32 s33, s33, s56
	s_cbranch_execz .LBB654_7
	s_branch .LBB654_54
.LBB654_6:
                                        ; implicit-def: $vgpr2
                                        ; implicit-def: $vgpr14
                                        ; implicit-def: $vgpr11
                                        ; implicit-def: $vgpr10
                                        ; implicit-def: $vgpr1
	s_andn2_b64 vcc, exec, s[4:5]
	s_add_i32 s33, s33, s56
	s_cbranch_vccnz .LBB654_54
.LBB654_7:
	v_cmp_gt_u32_e32 vcc, s33, v0
                                        ; implicit-def: $vgpr1
	s_and_saveexec_b64 s[6:7], vcc
	s_cbranch_execz .LBB654_9
; %bb.8:
	v_lshlrev_b32_e32 v1, 1, v0
	v_add_co_u32_e64 v2, s[4:5], v7, v1
	v_addc_co_u32_e64 v3, s[4:5], 0, v9, s[4:5]
	flat_load_ushort v1, v[2:3]
.LBB654_9:
	s_or_b64 exec, exec, s[6:7]
	v_or_b32_e32 v2, 0x100, v0
	v_cmp_gt_u32_e64 s[4:5], s33, v2
                                        ; implicit-def: $vgpr2
	s_and_saveexec_b64 s[8:9], s[4:5]
	s_cbranch_execz .LBB654_11
; %bb.10:
	v_lshlrev_b32_e32 v2, 1, v0
	v_add_co_u32_e64 v2, s[6:7], v7, v2
	v_addc_co_u32_e64 v3, s[6:7], 0, v9, s[6:7]
	flat_load_ushort v2, v[2:3] offset:512
.LBB654_11:
	s_or_b64 exec, exec, s[8:9]
	v_or_b32_e32 v3, 0x200, v0
	v_cmp_gt_u32_e64 s[6:7], s33, v3
                                        ; implicit-def: $vgpr3
	s_and_saveexec_b64 s[10:11], s[6:7]
	s_cbranch_execz .LBB654_13
; %bb.12:
	v_lshlrev_b32_e32 v3, 1, v0
	v_add_co_u32_e64 v4, s[8:9], v7, v3
	v_addc_co_u32_e64 v5, s[8:9], 0, v9, s[8:9]
	flat_load_ushort v3, v[4:5] offset:1024
.LBB654_13:
	s_or_b64 exec, exec, s[10:11]
	v_or_b32_e32 v4, 0x300, v0
	v_cmp_gt_u32_e64 s[8:9], s33, v4
                                        ; implicit-def: $vgpr4
	s_and_saveexec_b64 s[12:13], s[8:9]
	s_cbranch_execz .LBB654_15
; %bb.14:
	v_lshlrev_b32_e32 v4, 1, v0
	v_add_co_u32_e64 v4, s[10:11], v7, v4
	v_addc_co_u32_e64 v5, s[10:11], 0, v9, s[10:11]
	flat_load_ushort v4, v[4:5] offset:1536
.LBB654_15:
	s_or_b64 exec, exec, s[12:13]
	v_or_b32_e32 v5, 0x400, v0
	v_cmp_gt_u32_e64 s[10:11], s33, v5
                                        ; implicit-def: $vgpr5
	s_and_saveexec_b64 s[14:15], s[10:11]
	s_cbranch_execz .LBB654_17
; %bb.16:
	v_lshlrev_b32_e32 v5, 1, v0
	v_add_co_u32_e64 v10, s[12:13], v7, v5
	v_addc_co_u32_e64 v11, s[12:13], 0, v9, s[12:13]
	flat_load_ushort v5, v[10:11] offset:2048
.LBB654_17:
	s_or_b64 exec, exec, s[14:15]
	v_or_b32_e32 v10, 0x500, v0
	v_cmp_gt_u32_e64 s[12:13], s33, v10
                                        ; implicit-def: $vgpr10
	s_and_saveexec_b64 s[16:17], s[12:13]
	s_cbranch_execz .LBB654_19
; %bb.18:
	v_lshlrev_b32_e32 v10, 1, v0
	v_add_co_u32_e64 v10, s[14:15], v7, v10
	v_addc_co_u32_e64 v11, s[14:15], 0, v9, s[14:15]
	flat_load_ushort v10, v[10:11] offset:2560
.LBB654_19:
	s_or_b64 exec, exec, s[16:17]
	v_or_b32_e32 v11, 0x600, v0
	v_cmp_gt_u32_e64 s[14:15], s33, v11
                                        ; implicit-def: $vgpr14
	s_and_saveexec_b64 s[18:19], s[14:15]
	s_cbranch_execz .LBB654_21
; %bb.20:
	v_lshlrev_b32_e32 v11, 1, v0
	v_add_co_u32_e64 v12, s[16:17], v7, v11
	v_addc_co_u32_e64 v13, s[16:17], 0, v9, s[16:17]
	flat_load_ushort v14, v[12:13] offset:3072
.LBB654_21:
	s_or_b64 exec, exec, s[18:19]
	v_or_b32_e32 v11, 0x700, v0
	v_cmp_gt_u32_e64 s[16:17], s33, v11
                                        ; implicit-def: $vgpr15
	s_and_saveexec_b64 s[20:21], s[16:17]
	s_cbranch_execz .LBB654_23
; %bb.22:
	v_lshlrev_b32_e32 v11, 1, v0
	v_add_co_u32_e64 v12, s[18:19], v7, v11
	v_addc_co_u32_e64 v13, s[18:19], 0, v9, s[18:19]
	flat_load_ushort v15, v[12:13] offset:3584
.LBB654_23:
	s_or_b64 exec, exec, s[20:21]
	v_or_b32_e32 v11, 0x800, v0
	v_cmp_gt_u32_e64 s[18:19], s33, v11
	v_lshlrev_b32_e32 v11, 1, v11
                                        ; implicit-def: $vgpr16
	s_and_saveexec_b64 s[22:23], s[18:19]
	s_cbranch_execz .LBB654_25
; %bb.24:
	v_add_co_u32_e64 v12, s[20:21], v7, v11
	v_addc_co_u32_e64 v13, s[20:21], 0, v9, s[20:21]
	flat_load_ushort v16, v[12:13]
.LBB654_25:
	s_or_b64 exec, exec, s[22:23]
	v_or_b32_e32 v12, 0x900, v0
	v_cmp_gt_u32_e64 s[20:21], s33, v12
	v_lshlrev_b32_e32 v12, 1, v12
                                        ; implicit-def: $vgpr22
	s_and_saveexec_b64 s[24:25], s[20:21]
	s_cbranch_execz .LBB654_27
; %bb.26:
	v_add_co_u32_e64 v18, s[22:23], v7, v12
	v_addc_co_u32_e64 v19, s[22:23], 0, v9, s[22:23]
	flat_load_ushort v22, v[18:19]
.LBB654_27:
	s_or_b64 exec, exec, s[24:25]
	v_or_b32_e32 v13, 0xa00, v0
	v_cmp_gt_u32_e64 s[22:23], s33, v13
	v_lshlrev_b32_e32 v17, 1, v13
                                        ; implicit-def: $vgpr23
	s_and_saveexec_b64 s[26:27], s[22:23]
	s_cbranch_execz .LBB654_29
; %bb.28:
	v_add_co_u32_e64 v18, s[24:25], v7, v17
	v_addc_co_u32_e64 v19, s[24:25], 0, v9, s[24:25]
	flat_load_ushort v23, v[18:19]
.LBB654_29:
	s_or_b64 exec, exec, s[26:27]
	v_or_b32_e32 v13, 0xb00, v0
	v_cmp_gt_u32_e64 s[24:25], s33, v13
	v_lshlrev_b32_e32 v18, 1, v13
                                        ; implicit-def: $vgpr24
	s_and_saveexec_b64 s[28:29], s[24:25]
	s_cbranch_execz .LBB654_31
; %bb.30:
	v_add_co_u32_e64 v20, s[26:27], v7, v18
	v_addc_co_u32_e64 v21, s[26:27], 0, v9, s[26:27]
	flat_load_ushort v24, v[20:21]
.LBB654_31:
	s_or_b64 exec, exec, s[28:29]
	v_or_b32_e32 v13, 0xc00, v0
	v_cmp_gt_u32_e64 s[26:27], s33, v13
	v_lshlrev_b32_e32 v19, 1, v13
                                        ; implicit-def: $vgpr25
	s_and_saveexec_b64 s[30:31], s[26:27]
	s_cbranch_execz .LBB654_33
; %bb.32:
	v_add_co_u32_e64 v20, s[28:29], v7, v19
	v_addc_co_u32_e64 v21, s[28:29], 0, v9, s[28:29]
	flat_load_ushort v25, v[20:21]
.LBB654_33:
	s_or_b64 exec, exec, s[30:31]
	v_or_b32_e32 v13, 0xd00, v0
	v_cmp_gt_u32_e64 s[28:29], s33, v13
	v_lshlrev_b32_e32 v20, 1, v13
                                        ; implicit-def: $vgpr26
	s_and_saveexec_b64 s[34:35], s[28:29]
	s_cbranch_execz .LBB654_35
; %bb.34:
	v_add_co_u32_e64 v26, s[30:31], v7, v20
	v_addc_co_u32_e64 v27, s[30:31], 0, v9, s[30:31]
	flat_load_ushort v26, v[26:27]
.LBB654_35:
	s_or_b64 exec, exec, s[34:35]
	v_or_b32_e32 v13, 0xe00, v0
	v_cmp_gt_u32_e64 s[30:31], s33, v13
	v_lshlrev_b32_e32 v21, 1, v13
                                        ; implicit-def: $vgpr27
	s_and_saveexec_b64 s[38:39], s[30:31]
	s_cbranch_execz .LBB654_37
; %bb.36:
	v_add_co_u32_e64 v28, s[34:35], v7, v21
	v_addc_co_u32_e64 v29, s[34:35], 0, v9, s[34:35]
	flat_load_ushort v27, v[28:29]
.LBB654_37:
	s_or_b64 exec, exec, s[38:39]
	v_lshlrev_b32_e32 v13, 1, v0
	s_waitcnt vmcnt(0) lgkmcnt(0)
	ds_write_b16 v13, v1
	ds_write_b16 v13, v2 offset:512
	ds_write_b16 v13, v3 offset:1024
	;; [unrolled: 1-line block ×14, first 2 shown]
	v_mad_u32_u24 v10, v0, 28, v13
	s_waitcnt lgkmcnt(0)
	s_barrier
	ds_read_u16 v1, v10
	ds_read_b128 v[2:5], v10 offset:2
	ds_read_b96 v[14:16], v10 offset:18
	s_waitcnt lgkmcnt(0)
	s_barrier
	s_waitcnt lgkmcnt(0)
                                        ; implicit-def: $vgpr22
	s_and_saveexec_b64 s[34:35], vcc
	s_cbranch_execnz .LBB654_61
; %bb.38:
	s_or_b64 exec, exec, s[34:35]
                                        ; implicit-def: $vgpr23
	s_and_saveexec_b64 s[34:35], s[4:5]
	s_cbranch_execnz .LBB654_62
.LBB654_39:
	s_or_b64 exec, exec, s[34:35]
                                        ; implicit-def: $vgpr24
	s_and_saveexec_b64 s[4:5], s[6:7]
	s_cbranch_execnz .LBB654_63
.LBB654_40:
	s_or_b64 exec, exec, s[4:5]
                                        ; implicit-def: $vgpr25
	s_and_saveexec_b64 s[4:5], s[8:9]
	s_cbranch_execnz .LBB654_64
.LBB654_41:
	s_or_b64 exec, exec, s[4:5]
                                        ; implicit-def: $vgpr26
	s_and_saveexec_b64 s[4:5], s[10:11]
	s_cbranch_execnz .LBB654_65
.LBB654_42:
	s_or_b64 exec, exec, s[4:5]
                                        ; implicit-def: $vgpr27
	s_and_saveexec_b64 s[4:5], s[12:13]
	s_cbranch_execnz .LBB654_66
.LBB654_43:
	s_or_b64 exec, exec, s[4:5]
                                        ; implicit-def: $vgpr28
	s_and_saveexec_b64 s[4:5], s[14:15]
	s_cbranch_execnz .LBB654_67
.LBB654_44:
	s_or_b64 exec, exec, s[4:5]
                                        ; implicit-def: $vgpr29
	s_and_saveexec_b64 s[4:5], s[16:17]
	s_cbranch_execnz .LBB654_68
.LBB654_45:
	s_or_b64 exec, exec, s[4:5]
                                        ; implicit-def: $vgpr30
	s_and_saveexec_b64 s[4:5], s[18:19]
	s_cbranch_execnz .LBB654_69
.LBB654_46:
	s_or_b64 exec, exec, s[4:5]
                                        ; implicit-def: $vgpr31
	s_and_saveexec_b64 s[4:5], s[20:21]
	s_cbranch_execnz .LBB654_70
.LBB654_47:
	s_or_b64 exec, exec, s[4:5]
                                        ; implicit-def: $vgpr12
	s_and_saveexec_b64 s[4:5], s[22:23]
	s_cbranch_execnz .LBB654_71
.LBB654_48:
	s_or_b64 exec, exec, s[4:5]
                                        ; implicit-def: $vgpr17
	s_and_saveexec_b64 s[4:5], s[24:25]
	s_cbranch_execnz .LBB654_72
.LBB654_49:
	s_or_b64 exec, exec, s[4:5]
                                        ; implicit-def: $vgpr18
	s_and_saveexec_b64 s[4:5], s[26:27]
	s_cbranch_execnz .LBB654_73
.LBB654_50:
	s_or_b64 exec, exec, s[4:5]
                                        ; implicit-def: $vgpr19
	s_and_saveexec_b64 s[4:5], s[28:29]
	s_cbranch_execnz .LBB654_74
.LBB654_51:
	s_or_b64 exec, exec, s[4:5]
                                        ; implicit-def: $vgpr20
	s_and_saveexec_b64 s[4:5], s[30:31]
	s_cbranch_execz .LBB654_53
.LBB654_52:
	v_add_co_u32_e32 v20, vcc, v6, v21
	v_addc_co_u32_e32 v21, vcc, 0, v8, vcc
	flat_load_ushort v20, v[20:21]
.LBB654_53:
	s_or_b64 exec, exec, s[4:5]
	v_mul_u32_u24_e32 v11, 15, v0
	s_waitcnt vmcnt(0) lgkmcnt(0)
	ds_write_b16 v13, v22
	ds_write_b16 v13, v23 offset:512
	ds_write_b16 v13, v24 offset:1024
	;; [unrolled: 1-line block ×14, first 2 shown]
	s_waitcnt lgkmcnt(0)
	s_barrier
.LBB654_54:
	v_lshlrev_b32_e32 v6, 1, v11
	ds_read_u16 v77, v10
	ds_read_u16 v76, v10 offset:2
	ds_read_u16 v74, v10 offset:6
	;; [unrolled: 1-line block ×14, first 2 shown]
	s_cmp_eq_u64 s[40:41], 0
	s_cselect_b64 s[38:39], -1, 0
	s_cmp_lg_u64 s[40:41], 0
	s_mov_b64 s[6:7], 0
	s_cselect_b64 s[8:9], -1, 0
	s_and_b64 vcc, exec, s[48:49]
	s_waitcnt lgkmcnt(0)
	s_barrier
	s_cbranch_vccz .LBB654_60
; %bb.55:
	s_and_b64 vcc, exec, s[8:9]
	s_cbranch_vccz .LBB654_75
; %bb.56:
	v_add_co_u32_e32 v10, vcc, -2, v7
	v_addc_co_u32_e32 v11, vcc, -1, v9, vcc
	flat_load_ushort v6, v[10:11]
	v_lshrrev_b32_e32 v10, 16, v16
	v_lshlrev_b32_e32 v8, 1, v0
	v_cmp_ne_u16_e32 vcc, v16, v10
	v_cmp_ne_u16_sdwa s[6:7], v15, v16 src0_sel:WORD_1 src1_sel:DWORD
	v_cmp_ne_u16_sdwa s[10:11], v15, v15 src0_sel:DWORD src1_sel:WORD_1
	v_cmp_ne_u16_sdwa s[12:13], v14, v15 src0_sel:WORD_1 src1_sel:DWORD
	v_cmp_ne_u16_sdwa s[14:15], v14, v14 src0_sel:DWORD src1_sel:WORD_1
	;; [unrolled: 2-line block ×6, first 2 shown]
	v_cmp_ne_u16_e64 s[4:5], v1, v2
	ds_write_b16 v8, v10
	s_waitcnt lgkmcnt(0)
	s_barrier
	s_and_saveexec_b64 s[34:35], s[2:3]
	s_cbranch_execz .LBB654_58
; %bb.57:
	s_waitcnt vmcnt(0)
	v_add_u32_e32 v6, -2, v8
	ds_read_u16 v6, v6
.LBB654_58:
	s_or_b64 exec, exec, s[34:35]
	v_cndmask_b32_e64 v17, 0, 1, vcc
	v_cndmask_b32_e64 v54, 0, 1, s[6:7]
	v_cndmask_b32_e64 v55, 0, 1, s[10:11]
	;; [unrolled: 1-line block ×13, first 2 shown]
	s_waitcnt vmcnt(0) lgkmcnt(0)
	v_cmp_ne_u16_e64 s[4:5], v6, v1
	s_mov_b64 s[6:7], -1
.LBB654_59:
                                        ; implicit-def: $sgpr12
	s_branch .LBB654_87
.LBB654_60:
                                        ; implicit-def: $sgpr4_sgpr5
                                        ; implicit-def: $vgpr17
                                        ; implicit-def: $vgpr54
                                        ; implicit-def: $vgpr55
                                        ; implicit-def: $vgpr56
                                        ; implicit-def: $vgpr57
                                        ; implicit-def: $vgpr58
                                        ; implicit-def: $vgpr59
                                        ; implicit-def: $vgpr60
                                        ; implicit-def: $vgpr61
                                        ; implicit-def: $vgpr62
                                        ; implicit-def: $vgpr63
                                        ; implicit-def: $vgpr64
                                        ; implicit-def: $vgpr65
                                        ; implicit-def: $vgpr66
                                        ; implicit-def: $sgpr12
	s_cbranch_execnz .LBB654_79
	s_branch .LBB654_87
.LBB654_61:
	v_add_co_u32_e32 v22, vcc, v6, v13
	v_addc_co_u32_e32 v23, vcc, 0, v8, vcc
	flat_load_ushort v22, v[22:23]
	s_or_b64 exec, exec, s[34:35]
                                        ; implicit-def: $vgpr23
	s_and_saveexec_b64 s[34:35], s[4:5]
	s_cbranch_execz .LBB654_39
.LBB654_62:
	v_add_co_u32_e32 v24, vcc, v6, v13
	v_addc_co_u32_e32 v25, vcc, 0, v8, vcc
	flat_load_ushort v23, v[24:25] offset:512
	s_or_b64 exec, exec, s[34:35]
                                        ; implicit-def: $vgpr24
	s_and_saveexec_b64 s[4:5], s[6:7]
	s_cbranch_execz .LBB654_40
.LBB654_63:
	v_add_co_u32_e32 v24, vcc, v6, v13
	v_addc_co_u32_e32 v25, vcc, 0, v8, vcc
	flat_load_ushort v24, v[24:25] offset:1024
	s_or_b64 exec, exec, s[4:5]
                                        ; implicit-def: $vgpr25
	s_and_saveexec_b64 s[4:5], s[8:9]
	s_cbranch_execz .LBB654_41
.LBB654_64:
	v_add_co_u32_e32 v26, vcc, v6, v13
	v_addc_co_u32_e32 v27, vcc, 0, v8, vcc
	flat_load_ushort v25, v[26:27] offset:1536
	s_or_b64 exec, exec, s[4:5]
                                        ; implicit-def: $vgpr26
	s_and_saveexec_b64 s[4:5], s[10:11]
	s_cbranch_execz .LBB654_42
.LBB654_65:
	v_add_co_u32_e32 v26, vcc, v6, v13
	v_addc_co_u32_e32 v27, vcc, 0, v8, vcc
	flat_load_ushort v26, v[26:27] offset:2048
	s_or_b64 exec, exec, s[4:5]
                                        ; implicit-def: $vgpr27
	s_and_saveexec_b64 s[4:5], s[12:13]
	s_cbranch_execz .LBB654_43
.LBB654_66:
	v_add_co_u32_e32 v28, vcc, v6, v13
	v_addc_co_u32_e32 v29, vcc, 0, v8, vcc
	flat_load_ushort v27, v[28:29] offset:2560
	s_or_b64 exec, exec, s[4:5]
                                        ; implicit-def: $vgpr28
	s_and_saveexec_b64 s[4:5], s[14:15]
	s_cbranch_execz .LBB654_44
.LBB654_67:
	v_add_co_u32_e32 v28, vcc, v6, v13
	v_addc_co_u32_e32 v29, vcc, 0, v8, vcc
	flat_load_ushort v28, v[28:29] offset:3072
	s_or_b64 exec, exec, s[4:5]
                                        ; implicit-def: $vgpr29
	s_and_saveexec_b64 s[4:5], s[16:17]
	s_cbranch_execz .LBB654_45
.LBB654_68:
	v_add_co_u32_e32 v30, vcc, v6, v13
	v_addc_co_u32_e32 v31, vcc, 0, v8, vcc
	flat_load_ushort v29, v[30:31] offset:3584
	s_or_b64 exec, exec, s[4:5]
                                        ; implicit-def: $vgpr30
	s_and_saveexec_b64 s[4:5], s[18:19]
	s_cbranch_execz .LBB654_46
.LBB654_69:
	v_add_co_u32_e32 v30, vcc, v6, v11
	v_addc_co_u32_e32 v31, vcc, 0, v8, vcc
	flat_load_ushort v30, v[30:31]
	s_or_b64 exec, exec, s[4:5]
                                        ; implicit-def: $vgpr31
	s_and_saveexec_b64 s[4:5], s[20:21]
	s_cbranch_execz .LBB654_47
.LBB654_70:
	v_add_co_u32_e32 v32, vcc, v6, v12
	v_addc_co_u32_e32 v33, vcc, 0, v8, vcc
	flat_load_ushort v31, v[32:33]
	s_or_b64 exec, exec, s[4:5]
                                        ; implicit-def: $vgpr12
	s_and_saveexec_b64 s[4:5], s[22:23]
	s_cbranch_execz .LBB654_48
.LBB654_71:
	v_add_co_u32_e32 v32, vcc, v6, v17
	v_addc_co_u32_e32 v33, vcc, 0, v8, vcc
	flat_load_ushort v12, v[32:33]
	s_or_b64 exec, exec, s[4:5]
                                        ; implicit-def: $vgpr17
	s_and_saveexec_b64 s[4:5], s[24:25]
	s_cbranch_execz .LBB654_49
.LBB654_72:
	v_add_co_u32_e32 v32, vcc, v6, v18
	v_addc_co_u32_e32 v33, vcc, 0, v8, vcc
	flat_load_ushort v17, v[32:33]
	s_or_b64 exec, exec, s[4:5]
                                        ; implicit-def: $vgpr18
	s_and_saveexec_b64 s[4:5], s[26:27]
	s_cbranch_execz .LBB654_50
.LBB654_73:
	v_add_co_u32_e32 v18, vcc, v6, v19
	v_addc_co_u32_e32 v19, vcc, 0, v8, vcc
	flat_load_ushort v18, v[18:19]
	s_or_b64 exec, exec, s[4:5]
                                        ; implicit-def: $vgpr19
	s_and_saveexec_b64 s[4:5], s[28:29]
	s_cbranch_execz .LBB654_51
.LBB654_74:
	v_add_co_u32_e32 v32, vcc, v6, v20
	v_addc_co_u32_e32 v33, vcc, 0, v8, vcc
	flat_load_ushort v19, v[32:33]
	s_or_b64 exec, exec, s[4:5]
                                        ; implicit-def: $vgpr20
	s_and_saveexec_b64 s[4:5], s[30:31]
	s_cbranch_execnz .LBB654_52
	s_branch .LBB654_53
.LBB654_75:
                                        ; implicit-def: $sgpr4_sgpr5
                                        ; implicit-def: $vgpr17
                                        ; implicit-def: $vgpr54
                                        ; implicit-def: $vgpr55
                                        ; implicit-def: $vgpr56
                                        ; implicit-def: $vgpr57
                                        ; implicit-def: $vgpr58
                                        ; implicit-def: $vgpr59
                                        ; implicit-def: $vgpr60
                                        ; implicit-def: $vgpr61
                                        ; implicit-def: $vgpr62
                                        ; implicit-def: $vgpr63
                                        ; implicit-def: $vgpr64
                                        ; implicit-def: $vgpr65
                                        ; implicit-def: $vgpr66
	s_cbranch_execz .LBB654_59
; %bb.76:
	v_cmp_ne_u16_sdwa s[4:5], v15, v16 src0_sel:WORD_1 src1_sel:DWORD
	v_cndmask_b32_e64 v54, 0, 1, s[4:5]
	v_cmp_ne_u16_sdwa s[4:5], v15, v15 src0_sel:DWORD src1_sel:WORD_1
	v_cndmask_b32_e64 v55, 0, 1, s[4:5]
	v_cmp_ne_u16_sdwa s[4:5], v14, v15 src0_sel:WORD_1 src1_sel:DWORD
	v_cndmask_b32_e64 v56, 0, 1, s[4:5]
	v_cmp_ne_u16_sdwa s[4:5], v14, v14 src0_sel:DWORD src1_sel:WORD_1
	v_cndmask_b32_e64 v57, 0, 1, s[4:5]
	;; [unrolled: 4-line block ×4, first 2 shown]
	v_cmp_ne_u16_sdwa s[4:5], v3, v4 src0_sel:WORD_1 src1_sel:DWORD
	v_lshrrev_b32_e32 v8, 16, v16
	v_cndmask_b32_e64 v62, 0, 1, s[4:5]
	v_cmp_ne_u16_sdwa s[4:5], v3, v3 src0_sel:DWORD src1_sel:WORD_1
	v_cmp_ne_u16_e32 vcc, v16, v8
	v_cndmask_b32_e64 v63, 0, 1, s[4:5]
	v_cmp_ne_u16_sdwa s[4:5], v2, v3 src0_sel:WORD_1 src1_sel:DWORD
	v_cndmask_b32_e64 v17, 0, 1, vcc
	v_cndmask_b32_e64 v64, 0, 1, s[4:5]
	v_cmp_ne_u16_sdwa s[4:5], v2, v2 src0_sel:DWORD src1_sel:WORD_1
	v_cmp_ne_u16_e32 vcc, v1, v2
	s_mov_b32 s12, 1
	v_lshlrev_b32_e32 v6, 1, v0
	v_cndmask_b32_e64 v65, 0, 1, s[4:5]
	v_cndmask_b32_e64 v66, 0, 1, vcc
	ds_write_b16 v6, v8
	s_waitcnt lgkmcnt(0)
	s_barrier
	s_waitcnt lgkmcnt(0)
                                        ; implicit-def: $sgpr4_sgpr5
	s_and_saveexec_b64 s[10:11], s[2:3]
	s_xor_b64 s[10:11], exec, s[10:11]
	s_cbranch_execz .LBB654_78
; %bb.77:
	v_add_u32_e32 v6, -2, v6
	ds_read_u16 v6, v6
	s_or_b64 s[6:7], s[6:7], exec
	s_waitcnt lgkmcnt(0)
	v_cmp_ne_u16_e32 vcc, v6, v1
	s_and_b64 s[4:5], vcc, exec
.LBB654_78:
	s_or_b64 exec, exec, s[10:11]
	s_branch .LBB654_87
.LBB654_79:
	s_mul_hi_u32 s5, s40, 0xfffff100
	s_mul_i32 s4, s41, 0xfffff100
	s_sub_i32 s5, s5, s40
	s_add_i32 s5, s5, s4
	s_mul_i32 s4, s40, 0xfffff100
	s_add_u32 s10, s4, s56
	s_addc_u32 s11, s5, s57
	s_and_b64 vcc, exec, s[8:9]
	v_lshrrev_b32_e32 v40, 16, v16
	v_mad_u32_u24 v6, v0, 15, 14
	v_mad_u32_u24 v36, v0, 15, 13
	v_cmp_ne_u16_sdwa s[8:9], v15, v16 src0_sel:WORD_1 src1_sel:DWORD
	v_mad_u32_u24 v34, v0, 15, 12
	v_cmp_ne_u16_sdwa s[16:17], v15, v15 src0_sel:DWORD src1_sel:WORD_1
	v_mad_u32_u24 v32, v0, 15, 11
	v_cmp_ne_u16_sdwa s[20:21], v14, v15 src0_sel:WORD_1 src1_sel:DWORD
	v_mad_u32_u24 v30, v0, 15, 10
	v_cmp_ne_u16_sdwa s[26:27], v14, v14 src0_sel:DWORD src1_sel:WORD_1
	;; [unrolled: 4-line block ×6, first 2 shown]
	v_mad_u32_u24 v8, v0, 15, 1
	v_cmp_ne_u16_e64 s[4:5], v1, v2
	s_cbranch_vccz .LBB654_84
; %bb.80:
	v_add_co_u32_e32 v38, vcc, -2, v7
	v_addc_co_u32_e32 v39, vcc, -1, v9, vcc
	flat_load_ushort v41, v[38:39]
	v_mov_b32_e32 v7, 0
	v_cmp_gt_u64_e32 vcc, s[10:11], v[6:7]
	v_cmp_ne_u16_e64 s[6:7], v16, v40
	v_mov_b32_e32 v37, v7
	s_and_b64 s[6:7], vcc, s[6:7]
	v_cmp_gt_u64_e32 vcc, s[10:11], v[36:37]
	v_mov_b32_e32 v35, v7
	s_and_b64 s[8:9], vcc, s[8:9]
	v_cmp_gt_u64_e32 vcc, s[10:11], v[34:35]
	;; [unrolled: 3-line block ×13, first 2 shown]
	v_lshlrev_b32_e32 v17, 1, v0
	v_mul_u32_u24_e32 v38, 15, v0
	s_and_b64 s[4:5], vcc, s[4:5]
	ds_write_b16 v17, v40
	s_waitcnt lgkmcnt(0)
	s_barrier
	s_and_saveexec_b64 s[40:41], s[2:3]
	s_cbranch_execz .LBB654_82
; %bb.81:
	v_add_u32_e32 v9, -2, v17
	s_waitcnt vmcnt(0)
	ds_read_u16 v41, v9
.LBB654_82:
	s_or_b64 exec, exec, s[40:41]
	v_mov_b32_e32 v39, v7
	v_cndmask_b32_e64 v66, 0, 1, s[4:5]
	v_cmp_gt_u64_e32 vcc, s[10:11], v[38:39]
	s_waitcnt vmcnt(0) lgkmcnt(0)
	v_cmp_ne_u16_e64 s[4:5], v41, v1
	v_cndmask_b32_e64 v17, 0, 1, s[6:7]
	v_cndmask_b32_e64 v54, 0, 1, s[8:9]
	;; [unrolled: 1-line block ×13, first 2 shown]
	s_and_b64 s[4:5], vcc, s[4:5]
	s_mov_b64 s[6:7], -1
.LBB654_83:
                                        ; implicit-def: $sgpr12
	v_mov_b32_e32 v68, s12
	s_and_saveexec_b64 s[2:3], s[6:7]
	s_cbranch_execnz .LBB654_88
	s_branch .LBB654_89
.LBB654_84:
                                        ; implicit-def: $sgpr4_sgpr5
                                        ; implicit-def: $vgpr17
                                        ; implicit-def: $vgpr54
                                        ; implicit-def: $vgpr55
                                        ; implicit-def: $vgpr56
                                        ; implicit-def: $vgpr57
                                        ; implicit-def: $vgpr58
                                        ; implicit-def: $vgpr59
                                        ; implicit-def: $vgpr60
                                        ; implicit-def: $vgpr61
                                        ; implicit-def: $vgpr62
                                        ; implicit-def: $vgpr63
                                        ; implicit-def: $vgpr64
                                        ; implicit-def: $vgpr65
                                        ; implicit-def: $vgpr66
	s_cbranch_execz .LBB654_83
; %bb.85:
	v_mov_b32_e32 v7, 0
	v_cmp_gt_u64_e32 vcc, s[10:11], v[6:7]
	v_cmp_ne_u16_e64 s[4:5], v16, v40
	s_and_b64 s[4:5], vcc, s[4:5]
	v_mov_b32_e32 v37, v7
	v_cndmask_b32_e64 v17, 0, 1, s[4:5]
	v_cmp_gt_u64_e32 vcc, s[10:11], v[36:37]
	v_cmp_ne_u16_sdwa s[4:5], v15, v16 src0_sel:WORD_1 src1_sel:DWORD
	s_and_b64 s[4:5], vcc, s[4:5]
	v_mov_b32_e32 v35, v7
	v_cndmask_b32_e64 v54, 0, 1, s[4:5]
	v_cmp_gt_u64_e32 vcc, s[10:11], v[34:35]
	v_cmp_ne_u16_sdwa s[4:5], v15, v15 src0_sel:DWORD src1_sel:WORD_1
	s_and_b64 s[4:5], vcc, s[4:5]
	v_mov_b32_e32 v33, v7
	v_cndmask_b32_e64 v55, 0, 1, s[4:5]
	v_cmp_gt_u64_e32 vcc, s[10:11], v[32:33]
	v_cmp_ne_u16_sdwa s[4:5], v14, v15 src0_sel:WORD_1 src1_sel:DWORD
	s_and_b64 s[4:5], vcc, s[4:5]
	v_mov_b32_e32 v31, v7
	v_cndmask_b32_e64 v56, 0, 1, s[4:5]
	v_cmp_gt_u64_e32 vcc, s[10:11], v[30:31]
	v_cmp_ne_u16_sdwa s[4:5], v14, v14 src0_sel:DWORD src1_sel:WORD_1
	;; [unrolled: 10-line block ×6, first 2 shown]
	s_and_b64 s[4:5], vcc, s[4:5]
	v_mov_b32_e32 v9, v7
	v_cndmask_b32_e64 v65, 0, 1, s[4:5]
	v_cmp_gt_u64_e32 vcc, s[10:11], v[8:9]
	v_cmp_ne_u16_e64 s[4:5], v1, v2
	s_and_b64 s[4:5], vcc, s[4:5]
	s_mov_b32 s12, 1
	v_lshlrev_b32_e32 v38, 1, v0
	v_cndmask_b32_e64 v66, 0, 1, s[4:5]
	ds_write_b16 v38, v40
	s_waitcnt lgkmcnt(0)
	s_barrier
	s_waitcnt lgkmcnt(0)
                                        ; implicit-def: $sgpr4_sgpr5
	s_and_saveexec_b64 s[8:9], s[2:3]
	s_cbranch_execz .LBB654_192
; %bb.86:
	v_add_u32_e32 v6, -2, v38
	ds_read_u16 v8, v6
	v_mul_u32_u24_e32 v6, 15, v0
	v_cmp_gt_u64_e32 vcc, s[10:11], v[6:7]
	s_or_b64 s[6:7], s[6:7], exec
	s_waitcnt lgkmcnt(0)
	v_cmp_ne_u16_e64 s[2:3], v8, v1
	s_and_b64 s[2:3], vcc, s[2:3]
	s_and_b64 s[4:5], s[2:3], exec
	s_or_b64 exec, exec, s[8:9]
.LBB654_87:
	v_mov_b32_e32 v68, s12
	s_and_saveexec_b64 s[2:3], s[6:7]
.LBB654_88:
	v_cndmask_b32_e64 v68, 0, 1, s[4:5]
.LBB654_89:
	s_or_b64 exec, exec, s[2:3]
	s_cmp_eq_u64 s[46:47], 0
	v_add3_u32 v6, v66, v68, v65
	s_cselect_b64 s[30:31], -1, 0
	s_cmp_lg_u32 s62, 0
	v_cmp_eq_u32_e64 s[26:27], 0, v66
	v_cmp_eq_u32_e64 s[24:25], 0, v65
	v_cmp_eq_u32_e64 s[22:23], 0, v64
	v_add3_u32 v83, v6, v64, v63
	v_cmp_eq_u32_e64 s[20:21], 0, v63
	v_cmp_eq_u32_e64 s[18:19], 0, v62
	;; [unrolled: 1-line block ×10, first 2 shown]
	v_cmp_eq_u32_e32 vcc, 0, v17
	v_mbcnt_lo_u32_b32 v82, -1, 0
	v_lshrrev_b32_e32 v80, 6, v0
	v_or_b32_e32 v81, 63, v0
	s_cbranch_scc0 .LBB654_116
; %bb.90:
	v_cndmask_b32_e64 v6, 0, v77, s[26:27]
	v_add_u16_e32 v6, v6, v76
	v_cndmask_b32_e64 v6, 0, v6, s[24:25]
	v_add_u16_e32 v6, v6, v78
	;; [unrolled: 2-line block ×11, first 2 shown]
	v_cndmask_b32_e64 v6, 0, v6, s[4:5]
	v_add3_u32 v7, v83, v62, v61
	v_add_u16_e32 v6, v6, v52
	v_add3_u32 v7, v7, v60, v59
	v_cndmask_b32_e64 v6, 0, v6, s[2:3]
	v_add3_u32 v7, v7, v58, v57
	v_add_u16_e32 v6, v6, v50
	v_add3_u32 v7, v7, v56, v55
	v_cndmask_b32_e32 v6, 0, v6, vcc
	v_add3_u32 v7, v7, v54, v17
	v_add_u16_e32 v6, v6, v79
	v_mbcnt_hi_u32_b32 v19, -1, v82
	v_and_b32_e32 v8, 15, v19
	v_mov_b32_dpp v10, v6 row_shr:1 row_mask:0xf bank_mask:0xf
	v_cmp_eq_u32_e32 vcc, 0, v7
	v_mov_b32_dpp v9, v7 row_shr:1 row_mask:0xf bank_mask:0xf
	v_cndmask_b32_e32 v10, 0, v10, vcc
	v_cmp_eq_u32_e32 vcc, 0, v8
	v_add_u16_e32 v10, v10, v6
	v_cndmask_b32_e64 v9, v9, 0, vcc
	v_add_u32_e32 v7, v9, v7
	v_cndmask_b32_e32 v6, v10, v6, vcc
	v_cmp_eq_u32_e32 vcc, 0, v7
	v_mov_b32_dpp v9, v7 row_shr:2 row_mask:0xf bank_mask:0xf
	v_mov_b32_dpp v10, v6 row_shr:2 row_mask:0xf bank_mask:0xf
	v_cndmask_b32_e32 v10, 0, v10, vcc
	v_cmp_lt_u32_e32 vcc, 1, v8
	v_add_u16_e32 v10, v10, v6
	v_cndmask_b32_e32 v9, 0, v9, vcc
	v_cndmask_b32_e32 v6, v6, v10, vcc
	v_add_u32_e32 v7, v7, v9
	v_cmp_eq_u32_e32 vcc, 0, v7
	v_mov_b32_dpp v10, v6 row_shr:4 row_mask:0xf bank_mask:0xf
	v_mov_b32_dpp v9, v7 row_shr:4 row_mask:0xf bank_mask:0xf
	v_cndmask_b32_e32 v10, 0, v10, vcc
	v_cmp_lt_u32_e32 vcc, 3, v8
	v_add_u16_e32 v10, v10, v6
	v_cndmask_b32_e32 v9, 0, v9, vcc
	v_cndmask_b32_e32 v6, v6, v10, vcc
	v_add_u32_e32 v7, v9, v7
	;; [unrolled: 9-line block ×3, first 2 shown]
	v_bfe_i32 v10, v19, 4, 1
	v_mov_b32_dpp v9, v6 row_bcast:15 row_mask:0xf bank_mask:0xf
	v_mov_b32_dpp v8, v7 row_bcast:15 row_mask:0xf bank_mask:0xf
	v_cmp_eq_u32_e32 vcc, 0, v7
	v_and_b32_e32 v11, 16, v19
	v_cndmask_b32_e32 v9, 0, v9, vcc
	v_and_b32_e32 v8, v10, v8
	v_add_u16_e32 v9, v9, v6
	v_add_u32_e32 v7, v8, v7
	v_cmp_eq_u32_e32 vcc, 0, v11
	v_cndmask_b32_e32 v8, v9, v6, vcc
	v_mov_b32_dpp v6, v7 row_bcast:31 row_mask:0xf bank_mask:0xf
	v_cmp_eq_u32_e32 vcc, 0, v7
	v_cmp_lt_u32_e64 s[28:29], 31, v19
	v_mov_b32_dpp v9, v8 row_bcast:31 row_mask:0xf bank_mask:0xf
	v_cndmask_b32_e64 v6, 0, v6, s[28:29]
	s_and_b64 vcc, s[28:29], vcc
	v_add_u32_e32 v6, v6, v7
	v_cndmask_b32_e32 v7, 0, v9, vcc
	v_add_u16_e32 v7, v7, v8
	v_cmp_eq_u32_e32 vcc, v81, v0
	v_lshlrev_b32_e32 v8, 3, v80
	s_and_saveexec_b64 s[28:29], vcc
	s_cbranch_execz .LBB654_92
; %bb.91:
	ds_write_b32 v8, v6 offset:1040
	ds_write_b16 v8, v7 offset:1044
.LBB654_92:
	s_or_b64 exec, exec, s[28:29]
	v_cmp_gt_u32_e32 vcc, 4, v0
	s_waitcnt lgkmcnt(0)
	s_barrier
	s_and_saveexec_b64 s[34:35], vcc
	s_cbranch_execz .LBB654_94
; %bb.93:
	v_lshlrev_b32_e32 v9, 3, v0
	ds_read_b64 v[10:11], v9 offset:1040
	v_and_b32_e32 v12, 3, v19
	s_mov_b32 s28, 0xffff0000
	s_waitcnt lgkmcnt(0)
	v_mov_b32_dpp v18, v11 row_shr:1 row_mask:0xf bank_mask:0xf
	v_cmp_eq_u32_e32 vcc, 0, v10
	v_mov_b32_dpp v13, v10 row_shr:1 row_mask:0xf bank_mask:0xf
	v_cndmask_b32_e32 v18, 0, v18, vcc
	v_cmp_eq_u32_e32 vcc, 0, v12
	v_add_u16_e32 v18, v18, v11
	v_cndmask_b32_e64 v13, v13, 0, vcc
	v_and_or_b32 v20, v11, s28, v18
	v_add_u32_e32 v10, v13, v10
	v_cndmask_b32_e32 v13, v18, v11, vcc
	v_cndmask_b32_e32 v11, v20, v11, vcc
	v_mov_b32_dpp v18, v10 row_shr:2 row_mask:0xf bank_mask:0xf
	v_cmp_eq_u32_e32 vcc, 0, v10
	v_cmp_lt_u32_e64 s[28:29], 1, v12
	v_mov_b32_dpp v11, v11 row_shr:2 row_mask:0xf bank_mask:0xf
	v_cndmask_b32_e64 v12, 0, v18, s[28:29]
	s_and_b64 vcc, s[28:29], vcc
	v_add_u32_e32 v10, v12, v10
	v_cndmask_b32_e32 v11, 0, v11, vcc
	v_add_u16_e32 v11, v13, v11
	ds_write_b32 v9, v10 offset:1040
	ds_write_b16 v9, v11 offset:1044
.LBB654_94:
	s_or_b64 exec, exec, s[34:35]
	v_cmp_gt_u32_e32 vcc, 64, v0
	v_cmp_lt_u32_e64 s[28:29], 63, v0
	v_mov_b32_e32 v22, 0
	v_mov_b32_e32 v23, 0
	s_waitcnt lgkmcnt(0)
	s_barrier
	s_and_saveexec_b64 s[34:35], s[28:29]
	s_cbranch_execz .LBB654_96
; %bb.95:
	ds_read_b32 v22, v8 offset:1032
	ds_read_u16 v23, v8 offset:1036
	v_cmp_eq_u32_e64 s[28:29], 0, v6
	s_waitcnt lgkmcnt(1)
	v_add_u32_e32 v8, v22, v6
	s_waitcnt lgkmcnt(0)
	v_cndmask_b32_e64 v6, 0, v23, s[28:29]
	v_add_u16_e32 v7, v6, v7
	v_mov_b32_e32 v6, v8
.LBB654_96:
	s_or_b64 exec, exec, s[34:35]
	v_add_u32_e32 v8, -1, v19
	v_and_b32_e32 v9, 64, v19
	v_cmp_lt_i32_e64 s[28:29], v8, v9
	v_cndmask_b32_e64 v8, v8, v19, s[28:29]
	v_and_b32_e32 v7, 0xffff, v7
	v_lshlrev_b32_e32 v8, 2, v8
	ds_bpermute_b32 v24, v8, v6
	ds_bpermute_b32 v25, v8, v7
	v_cmp_eq_u32_e64 s[28:29], 0, v19
	s_and_saveexec_b64 s[34:35], vcc
	s_cbranch_execz .LBB654_115
; %bb.97:
	v_mov_b32_e32 v9, 0
	ds_read_b64 v[6:7], v9 offset:1064
	s_waitcnt lgkmcnt(0)
	v_readfirstlane_b32 s48, v7
	s_and_saveexec_b64 s[40:41], s[28:29]
	s_cbranch_execz .LBB654_99
; %bb.98:
	s_add_i32 s46, s62, 64
	s_mov_b32 s47, 0
	s_lshl_b64 s[50:51], s[46:47], 4
	s_add_u32 s50, s44, s50
	s_addc_u32 s51, s45, s51
	s_and_b32 s57, s48, 0xff000000
	s_mov_b32 s56, s47
	s_and_b32 s65, s48, 0xff0000
	s_mov_b32 s64, s47
	s_or_b64 s[56:57], s[64:65], s[56:57]
	s_and_b32 s65, s48, 0xff00
	s_or_b64 s[56:57], s[56:57], s[64:65]
	s_and_b32 s65, s48, 0xff
	s_or_b64 s[46:47], s[56:57], s[64:65]
	v_mov_b32_e32 v7, s47
	v_mov_b32_e32 v8, 1
	v_pk_mov_b32 v[10:11], s[50:51], s[50:51] op_sel:[0,1]
	;;#ASMSTART
	global_store_dwordx4 v[10:11], v[6:9] off	
s_waitcnt vmcnt(0)
	;;#ASMEND
.LBB654_99:
	s_or_b64 exec, exec, s[40:41]
	v_xad_u32 v18, v19, -1, s62
	v_add_u32_e32 v8, 64, v18
	v_lshlrev_b64 v[10:11], 4, v[8:9]
	v_mov_b32_e32 v7, s45
	v_add_co_u32_e32 v20, vcc, s44, v10
	v_addc_co_u32_e32 v21, vcc, v7, v11, vcc
	;;#ASMSTART
	global_load_dwordx4 v[10:13], v[20:21] off glc	
s_waitcnt vmcnt(0)
	;;#ASMEND
	v_and_b32_e32 v7, 0xffffff, v10
	v_and_b32_e32 v8, 0xff000000, v10
	v_or_b32_e32 v7, v7, v8
	v_and_b32_e32 v8, 0xff, v11
	v_and_b32_e32 v10, 0xff00, v11
	v_or3_b32 v11, 0, v8, v10
	v_or3_b32 v10, v7, 0, 0
	v_cmp_eq_u16_sdwa s[46:47], v12, v9 src0_sel:BYTE_0 src1_sel:DWORD
	s_and_saveexec_b64 s[40:41], s[46:47]
	s_cbranch_execz .LBB654_103
; %bb.100:
	s_mov_b64 s[46:47], 0
	v_mov_b32_e32 v7, 0
.LBB654_101:                            ; =>This Inner Loop Header: Depth=1
	;;#ASMSTART
	global_load_dwordx4 v[10:13], v[20:21] off glc	
s_waitcnt vmcnt(0)
	;;#ASMEND
	v_cmp_ne_u16_sdwa s[50:51], v12, v7 src0_sel:BYTE_0 src1_sel:DWORD
	s_or_b64 s[46:47], s[50:51], s[46:47]
	s_andn2_b64 exec, exec, s[46:47]
	s_cbranch_execnz .LBB654_101
; %bb.102:
	s_or_b64 exec, exec, s[46:47]
	v_and_b32_e32 v11, 0xffff, v11
.LBB654_103:
	s_or_b64 exec, exec, s[40:41]
	v_mov_b32_e32 v7, 2
	v_and_b32_e32 v26, 63, v19
	v_cmp_eq_u16_sdwa s[40:41], v12, v7 src0_sel:BYTE_0 src1_sel:DWORD
	v_lshlrev_b64 v[8:9], v19, -1
	v_cmp_ne_u32_e32 vcc, 63, v26
	v_and_b32_e32 v13, s41, v9
	v_addc_co_u32_e32 v21, vcc, 0, v19, vcc
	v_or_b32_e32 v13, 0x80000000, v13
	v_lshlrev_b32_e32 v27, 2, v21
	v_and_b32_e32 v20, s40, v8
	v_ffbl_b32_e32 v13, v13
	ds_bpermute_b32 v21, v27, v11
	v_add_u32_e32 v13, 32, v13
	v_ffbl_b32_e32 v20, v20
	v_min_u32_e32 v13, v20, v13
	ds_bpermute_b32 v20, v27, v10
	v_cmp_eq_u32_e32 vcc, 0, v10
	s_waitcnt lgkmcnt(1)
	v_cndmask_b32_e32 v21, 0, v21, vcc
	v_add_u16_e32 v21, v21, v11
	v_cmp_lt_u32_e32 vcc, v26, v13
	v_cndmask_b32_e32 v11, v11, v21, vcc
	s_waitcnt lgkmcnt(0)
	v_cndmask_b32_e32 v20, 0, v20, vcc
	v_cmp_gt_u32_e32 vcc, 62, v26
	v_cndmask_b32_e64 v21, 0, 1, vcc
	v_lshlrev_b32_e32 v21, 1, v21
	v_add_lshl_u32 v28, v21, v19, 2
	ds_bpermute_b32 v21, v28, v11
	v_add_u32_e32 v10, v20, v10
	ds_bpermute_b32 v20, v28, v10
	v_cmp_eq_u32_e32 vcc, 0, v10
	v_add_u32_e32 v29, 2, v26
	s_waitcnt lgkmcnt(1)
	v_cndmask_b32_e32 v21, 0, v21, vcc
	v_add_u16_e32 v21, v21, v11
	v_cmp_gt_u32_e32 vcc, v29, v13
	v_cndmask_b32_e32 v11, v21, v11, vcc
	s_waitcnt lgkmcnt(0)
	v_cndmask_b32_e64 v20, v20, 0, vcc
	v_cmp_gt_u32_e32 vcc, 60, v26
	v_cndmask_b32_e64 v21, 0, 1, vcc
	v_lshlrev_b32_e32 v21, 2, v21
	v_add_lshl_u32 v30, v21, v19, 2
	ds_bpermute_b32 v21, v30, v11
	v_add_u32_e32 v10, v10, v20
	ds_bpermute_b32 v20, v30, v10
	v_cmp_eq_u32_e32 vcc, 0, v10
	v_add_u32_e32 v31, 4, v26
	s_waitcnt lgkmcnt(1)
	v_cndmask_b32_e32 v21, 0, v21, vcc
	v_add_u16_e32 v21, v11, v21
	v_cmp_gt_u32_e32 vcc, v31, v13
	v_cndmask_b32_e32 v11, v21, v11, vcc
	s_waitcnt lgkmcnt(0)
	v_cndmask_b32_e64 v20, v20, 0, vcc
	;; [unrolled: 16-line block ×4, first 2 shown]
	v_cmp_gt_u32_e32 vcc, 32, v26
	v_cndmask_b32_e64 v21, 0, 1, vcc
	v_lshlrev_b32_e32 v21, 5, v21
	v_add_lshl_u32 v38, v21, v19, 2
	ds_bpermute_b32 v19, v38, v11
	v_add_u32_e32 v10, v10, v20
	ds_bpermute_b32 v20, v38, v10
	v_add_u32_e32 v39, 32, v26
	v_cmp_eq_u32_e32 vcc, 0, v10
	s_waitcnt lgkmcnt(1)
	v_cndmask_b32_e32 v19, 0, v19, vcc
	v_cmp_gt_u32_e32 vcc, v39, v13
	v_cndmask_b32_e64 v13, v19, 0, vcc
	v_add_u16_e32 v11, v11, v13
	s_waitcnt lgkmcnt(0)
	v_cndmask_b32_e64 v13, v20, 0, vcc
	v_add_u32_e32 v10, v13, v10
	v_mov_b32_e32 v19, 0
	s_branch .LBB654_105
.LBB654_104:                            ;   in Loop: Header=BB654_105 Depth=1
	s_or_b64 exec, exec, s[40:41]
	v_cmp_eq_u16_sdwa s[40:41], v12, v7 src0_sel:BYTE_0 src1_sel:DWORD
	ds_bpermute_b32 v21, v27, v11
	v_and_b32_e32 v13, s41, v9
	v_or_b32_e32 v13, 0x80000000, v13
	v_and_b32_e32 v20, s40, v8
	v_ffbl_b32_e32 v13, v13
	v_add_u32_e32 v13, 32, v13
	v_ffbl_b32_e32 v20, v20
	v_cmp_eq_u32_e32 vcc, 0, v10
	v_min_u32_e32 v13, v20, v13
	ds_bpermute_b32 v20, v27, v10
	s_waitcnt lgkmcnt(1)
	v_cndmask_b32_e32 v21, 0, v21, vcc
	v_add_u16_e32 v21, v21, v11
	v_cmp_lt_u32_e32 vcc, v26, v13
	v_cndmask_b32_e32 v11, v11, v21, vcc
	ds_bpermute_b32 v21, v28, v11
	s_waitcnt lgkmcnt(1)
	v_cndmask_b32_e32 v20, 0, v20, vcc
	v_add_u32_e32 v10, v20, v10
	v_cmp_eq_u32_e32 vcc, 0, v10
	ds_bpermute_b32 v20, v28, v10
	s_waitcnt lgkmcnt(1)
	v_cndmask_b32_e32 v21, 0, v21, vcc
	v_add_u16_e32 v21, v21, v11
	v_cmp_gt_u32_e32 vcc, v29, v13
	v_cndmask_b32_e32 v11, v21, v11, vcc
	ds_bpermute_b32 v21, v30, v11
	s_waitcnt lgkmcnt(1)
	v_cndmask_b32_e64 v20, v20, 0, vcc
	v_add_u32_e32 v10, v10, v20
	v_cmp_eq_u32_e32 vcc, 0, v10
	ds_bpermute_b32 v20, v30, v10
	s_waitcnt lgkmcnt(1)
	v_cndmask_b32_e32 v21, 0, v21, vcc
	v_add_u16_e32 v21, v11, v21
	v_cmp_gt_u32_e32 vcc, v31, v13
	v_cndmask_b32_e32 v11, v21, v11, vcc
	ds_bpermute_b32 v21, v32, v11
	s_waitcnt lgkmcnt(1)
	v_cndmask_b32_e64 v20, v20, 0, vcc
	v_add_u32_e32 v10, v10, v20
	ds_bpermute_b32 v20, v32, v10
	v_cmp_eq_u32_e32 vcc, 0, v10
	s_waitcnt lgkmcnt(1)
	v_cndmask_b32_e32 v21, 0, v21, vcc
	v_add_u16_e32 v21, v11, v21
	v_cmp_gt_u32_e32 vcc, v33, v13
	v_cndmask_b32_e32 v11, v21, v11, vcc
	ds_bpermute_b32 v21, v35, v11
	s_waitcnt lgkmcnt(1)
	v_cndmask_b32_e64 v20, v20, 0, vcc
	v_add_u32_e32 v10, v10, v20
	ds_bpermute_b32 v20, v35, v10
	v_cmp_eq_u32_e32 vcc, 0, v10
	;; [unrolled: 11-line block ×3, first 2 shown]
	s_waitcnt lgkmcnt(1)
	v_cndmask_b32_e32 v21, 0, v21, vcc
	v_cmp_gt_u32_e32 vcc, v39, v13
	v_cndmask_b32_e64 v13, v21, 0, vcc
	v_add_u16_e32 v11, v11, v13
	s_waitcnt lgkmcnt(0)
	v_cndmask_b32_e64 v13, v20, 0, vcc
	v_cmp_eq_u32_e32 vcc, 0, v36
	v_cndmask_b32_e32 v11, 0, v11, vcc
	v_subrev_u32_e32 v18, 64, v18
	v_add3_u32 v10, v10, v36, v13
	v_add_u16_e32 v11, v11, v34
.LBB654_105:                            ; =>This Loop Header: Depth=1
                                        ;     Child Loop BB654_108 Depth 2
	v_cmp_ne_u16_sdwa s[40:41], v12, v7 src0_sel:BYTE_0 src1_sel:DWORD
	v_mov_b32_e32 v34, v11
	v_cndmask_b32_e64 v11, 0, 1, s[40:41]
	;;#ASMSTART
	;;#ASMEND
	v_cmp_ne_u32_e32 vcc, 0, v11
	s_cmp_lg_u64 vcc, exec
	v_mov_b32_e32 v36, v10
	s_cbranch_scc1 .LBB654_110
; %bb.106:                              ;   in Loop: Header=BB654_105 Depth=1
	v_lshlrev_b64 v[10:11], 4, v[18:19]
	v_mov_b32_e32 v12, s45
	v_add_co_u32_e32 v20, vcc, s44, v10
	v_addc_co_u32_e32 v21, vcc, v12, v11, vcc
	;;#ASMSTART
	global_load_dwordx4 v[10:13], v[20:21] off glc	
s_waitcnt vmcnt(0)
	;;#ASMEND
	v_and_b32_e32 v13, 0xffffff, v10
	v_and_b32_e32 v10, 0xff000000, v10
	v_or_b32_e32 v10, v13, v10
	v_and_b32_e32 v13, 0xff, v11
	v_and_b32_e32 v11, 0xff00, v11
	v_or3_b32 v11, 0, v13, v11
	v_or3_b32 v10, v10, 0, 0
	v_cmp_eq_u16_sdwa s[46:47], v12, v19 src0_sel:BYTE_0 src1_sel:DWORD
	s_and_saveexec_b64 s[40:41], s[46:47]
	s_cbranch_execz .LBB654_104
; %bb.107:                              ;   in Loop: Header=BB654_105 Depth=1
	s_mov_b64 s[46:47], 0
.LBB654_108:                            ;   Parent Loop BB654_105 Depth=1
                                        ; =>  This Inner Loop Header: Depth=2
	;;#ASMSTART
	global_load_dwordx4 v[10:13], v[20:21] off glc	
s_waitcnt vmcnt(0)
	;;#ASMEND
	v_cmp_ne_u16_sdwa s[50:51], v12, v19 src0_sel:BYTE_0 src1_sel:DWORD
	s_or_b64 s[46:47], s[50:51], s[46:47]
	s_andn2_b64 exec, exec, s[46:47]
	s_cbranch_execnz .LBB654_108
; %bb.109:                              ;   in Loop: Header=BB654_105 Depth=1
	s_or_b64 exec, exec, s[46:47]
	v_and_b32_e32 v11, 0xffff, v11
	s_branch .LBB654_104
.LBB654_110:                            ;   in Loop: Header=BB654_105 Depth=1
                                        ; implicit-def: $vgpr11
                                        ; implicit-def: $vgpr10
                                        ; implicit-def: $vgpr12
	s_cbranch_execz .LBB654_105
; %bb.111:
	s_and_saveexec_b64 s[40:41], s[28:29]
	s_cbranch_execz .LBB654_113
; %bb.112:
	s_mov_b32 s47, 0
	v_cmp_eq_u32_e32 vcc, 0, v6
	s_add_i32 s46, s62, 64
	v_cndmask_b32_e32 v7, 0, v34, vcc
	s_lshl_b64 s[46:47], s[46:47], 4
	v_add_u16_e32 v7, s48, v7
	s_add_u32 s46, s44, s46
	s_addc_u32 s47, s45, s47
	v_and_b32_e32 v9, 0xff00, v7
	v_add_u32_e32 v8, v36, v6
	v_mov_b32_e32 v11, 0
	v_or_b32_sdwa v9, v9, v7 dst_sel:DWORD dst_unused:UNUSED_PAD src0_sel:DWORD src1_sel:BYTE_0
	v_mov_b32_e32 v10, 2
	v_pk_mov_b32 v[12:13], s[46:47], s[46:47] op_sel:[0,1]
	;;#ASMSTART
	global_store_dwordx4 v[12:13], v[8:11] off	
s_waitcnt vmcnt(0)
	;;#ASMEND
	v_mov_b32_e32 v7, s48
	s_movk_i32 s46, 0x400
	ds_write_b16 v11, v7 offset:1028
	v_add_u32_e64 v7, s46, 0
	ds_write2_b32 v7, v6, v36 offset1:2
	ds_write_b16 v11, v34 offset:1036
.LBB654_113:
	s_or_b64 exec, exec, s[40:41]
	s_and_b64 exec, exec, s[0:1]
	s_cbranch_execz .LBB654_115
; %bb.114:
	v_mov_b32_e32 v6, 0
	ds_write_b32 v6, v36 offset:1064
	ds_write_b16 v6, v34 offset:1068
.LBB654_115:
	s_or_b64 exec, exec, s[34:35]
	v_mov_b32_e32 v8, 0
	s_waitcnt lgkmcnt(0)
	s_barrier
	ds_read_b64 v[6:7], v8 offset:1064
	v_cndmask_b32_e64 v10, v24, v22, s[28:29]
	v_cmp_eq_u32_e32 vcc, 0, v10
	v_cndmask_b32_e64 v9, v25, v23, s[28:29]
	s_waitcnt lgkmcnt(0)
	v_cndmask_b32_e32 v11, 0, v7, vcc
	v_add_u16_e32 v9, v11, v9
	v_cndmask_b32_e64 v7, v9, v7, s[0:1]
	v_cndmask_b32_e64 v9, v10, 0, s[0:1]
	v_cmp_eq_u32_e32 vcc, 0, v68
	v_add_u32_e32 v48, v6, v9
	v_cndmask_b32_e32 v6, 0, v7, vcc
	v_add_u16_e32 v47, v6, v77
	v_cndmask_b32_e64 v6, 0, v47, s[26:27]
	v_add_u16_e32 v45, v6, v76
	v_cndmask_b32_e64 v6, 0, v45, s[24:25]
	;; [unrolled: 2-line block ×8, first 2 shown]
	v_add_u32_e32 v46, v48, v68
	v_add_u16_e32 v31, v6, v71
	v_add_u32_e32 v44, v46, v66
	v_cndmask_b32_e64 v6, 0, v31, s[10:11]
	v_add_u32_e32 v42, v44, v65
	v_add_u16_e32 v29, v6, v53
	v_add_u32_e32 v40, v42, v64
	v_cndmask_b32_e64 v6, 0, v29, s[8:9]
	;; [unrolled: 4-line block ×3, first 2 shown]
	v_and_b32_e32 v49, 0xffff, v7
	v_add_u32_e32 v34, v36, v61
	v_add_u16_e32 v25, v6, v51
	s_barrier
	ds_read_b128 v[6:9], v8 offset:1024
	v_add_u32_e32 v32, v34, v60
	v_add_u32_e32 v30, v32, v59
	;; [unrolled: 1-line block ×4, first 2 shown]
	v_cndmask_b32_e64 v10, 0, v25, s[4:5]
	v_add_u32_e32 v24, v26, v56
	v_add_u16_e32 v23, v10, v52
	s_waitcnt lgkmcnt(0)
	v_cmp_eq_u32_e32 vcc, 0, v6
	v_add_u32_e32 v22, v24, v55
	v_cndmask_b32_e64 v10, 0, v23, s[2:3]
	v_cndmask_b32_e32 v9, 0, v9, vcc
	v_add_u32_e32 v20, v22, v54
	v_add_u16_e32 v21, v10, v50
	v_add_u32_e32 v67, v9, v7
	s_branch .LBB654_128
.LBB654_116:
                                        ; implicit-def: $vgpr6
                                        ; implicit-def: $vgpr67
                                        ; implicit-def: $vgpr48_vgpr49
                                        ; implicit-def: $vgpr46_vgpr47
                                        ; implicit-def: $vgpr44_vgpr45
                                        ; implicit-def: $vgpr42_vgpr43
                                        ; implicit-def: $vgpr40_vgpr41
                                        ; implicit-def: $vgpr38_vgpr39
                                        ; implicit-def: $vgpr36_vgpr37
                                        ; implicit-def: $vgpr34_vgpr35
                                        ; implicit-def: $vgpr32_vgpr33
                                        ; implicit-def: $vgpr30_vgpr31
                                        ; implicit-def: $vgpr28_vgpr29
                                        ; implicit-def: $vgpr26_vgpr27
                                        ; implicit-def: $vgpr24_vgpr25
                                        ; implicit-def: $vgpr22_vgpr23
                                        ; implicit-def: $vgpr20_vgpr21
	s_cbranch_execz .LBB654_128
; %bb.117:
	s_and_b64 s[2:3], s[30:31], exec
	s_cselect_b32 s3, 0, s61
	s_cselect_b32 s2, 0, s60
	s_cmp_eq_u64 s[2:3], 0
	v_mov_b32_e32 v7, v77
	s_cbranch_scc1 .LBB654_119
; %bb.118:
	v_mov_b32_e32 v6, 0
	global_load_ushort v7, v6, s[2:3]
.LBB654_119:
	v_cmp_eq_u32_e64 s[2:3], 0, v66
	v_cndmask_b32_e64 v6, 0, v77, s[2:3]
	v_add_u16_e32 v6, v6, v76
	v_cmp_eq_u32_e64 s[4:5], 0, v65
	v_cndmask_b32_e64 v6, 0, v6, s[4:5]
	v_add_u16_e32 v6, v6, v78
	;; [unrolled: 3-line block ×11, first 2 shown]
	v_cmp_eq_u32_e64 s[24:25], 0, v55
	v_cndmask_b32_e64 v6, 0, v6, s[24:25]
	v_add3_u32 v8, v83, v62, v61
	v_add_u16_e32 v6, v6, v52
	v_cmp_eq_u32_e32 vcc, 0, v54
	v_add3_u32 v8, v8, v60, v59
	v_cndmask_b32_e32 v6, 0, v6, vcc
	v_add3_u32 v8, v8, v58, v57
	v_add_u16_e32 v6, v6, v50
	v_cmp_eq_u32_e64 s[26:27], 0, v17
	v_add3_u32 v8, v8, v56, v55
	v_cndmask_b32_e64 v6, 0, v6, s[26:27]
	v_add3_u32 v8, v8, v54, v17
	v_add_u16_e32 v9, v6, v79
	v_mbcnt_hi_u32_b32 v6, -1, v82
	v_and_b32_e32 v10, 15, v6
	v_mov_b32_dpp v12, v9 row_shr:1 row_mask:0xf bank_mask:0xf
	v_cmp_eq_u32_e64 s[26:27], 0, v8
	v_mov_b32_dpp v11, v8 row_shr:1 row_mask:0xf bank_mask:0xf
	v_cndmask_b32_e64 v12, 0, v12, s[26:27]
	v_cmp_eq_u32_e64 s[26:27], 0, v10
	v_add_u16_e32 v12, v12, v9
	v_cndmask_b32_e64 v11, v11, 0, s[26:27]
	v_add_u32_e32 v8, v11, v8
	v_cndmask_b32_e64 v9, v12, v9, s[26:27]
	v_cmp_eq_u32_e64 s[26:27], 0, v8
	v_mov_b32_dpp v11, v8 row_shr:2 row_mask:0xf bank_mask:0xf
	v_mov_b32_dpp v12, v9 row_shr:2 row_mask:0xf bank_mask:0xf
	v_cndmask_b32_e64 v12, 0, v12, s[26:27]
	v_cmp_lt_u32_e64 s[26:27], 1, v10
	v_add_u16_e32 v12, v12, v9
	v_cndmask_b32_e64 v11, 0, v11, s[26:27]
	v_cndmask_b32_e64 v9, v9, v12, s[26:27]
	v_add_u32_e32 v8, v8, v11
	v_cmp_eq_u32_e64 s[26:27], 0, v8
	v_mov_b32_dpp v12, v9 row_shr:4 row_mask:0xf bank_mask:0xf
	v_mov_b32_dpp v11, v8 row_shr:4 row_mask:0xf bank_mask:0xf
	v_cndmask_b32_e64 v12, 0, v12, s[26:27]
	v_cmp_lt_u32_e64 s[26:27], 3, v10
	v_add_u16_e32 v12, v12, v9
	v_cndmask_b32_e64 v11, 0, v11, s[26:27]
	v_cndmask_b32_e64 v9, v9, v12, s[26:27]
	v_add_u32_e32 v8, v11, v8
	;; [unrolled: 9-line block ×3, first 2 shown]
	v_bfe_i32 v12, v6, 4, 1
	v_mov_b32_dpp v11, v9 row_bcast:15 row_mask:0xf bank_mask:0xf
	v_mov_b32_dpp v10, v8 row_bcast:15 row_mask:0xf bank_mask:0xf
	v_cmp_eq_u32_e64 s[26:27], 0, v8
	v_and_b32_e32 v13, 16, v6
	v_cndmask_b32_e64 v11, 0, v11, s[26:27]
	v_and_b32_e32 v10, v12, v10
	v_add_u16_e32 v11, v11, v9
	v_add_u32_e32 v8, v10, v8
	v_cmp_eq_u32_e64 s[26:27], 0, v13
	v_cndmask_b32_e64 v9, v11, v9, s[26:27]
	v_mov_b32_dpp v10, v8 row_bcast:31 row_mask:0xf bank_mask:0xf
	v_cmp_eq_u32_e64 s[26:27], 0, v8
	v_cmp_lt_u32_e64 s[28:29], 31, v6
	v_mov_b32_dpp v11, v9 row_bcast:31 row_mask:0xf bank_mask:0xf
	v_cndmask_b32_e64 v10, 0, v10, s[28:29]
	s_and_b64 s[26:27], s[28:29], s[26:27]
	v_add_u32_e32 v8, v10, v8
	v_cndmask_b32_e64 v10, 0, v11, s[26:27]
	v_add_u16_e32 v9, v10, v9
	v_cmp_eq_u32_e64 s[26:27], v81, v0
	v_lshlrev_b32_e32 v11, 3, v80
	s_and_saveexec_b64 s[28:29], s[26:27]
	s_cbranch_execz .LBB654_121
; %bb.120:
	ds_write_b32 v11, v8 offset:1040
	ds_write_b16 v11, v9 offset:1044
.LBB654_121:
	s_or_b64 exec, exec, s[28:29]
	v_cmp_gt_u32_e64 s[26:27], 4, v0
	s_waitcnt lgkmcnt(0)
	s_barrier
	s_and_saveexec_b64 s[34:35], s[26:27]
	s_cbranch_execz .LBB654_123
; %bb.122:
	v_lshlrev_b32_e32 v10, 3, v0
	ds_read_b64 v[12:13], v10 offset:1040
	v_and_b32_e32 v18, 3, v6
	s_mov_b32 s28, 0xffff0000
	s_waitcnt lgkmcnt(0)
	v_mov_b32_dpp v20, v13 row_shr:1 row_mask:0xf bank_mask:0xf
	v_cmp_eq_u32_e64 s[26:27], 0, v12
	v_mov_b32_dpp v19, v12 row_shr:1 row_mask:0xf bank_mask:0xf
	v_cndmask_b32_e64 v20, 0, v20, s[26:27]
	v_cmp_eq_u32_e64 s[26:27], 0, v18
	v_add_u16_e32 v20, v20, v13
	v_cndmask_b32_e64 v19, v19, 0, s[26:27]
	v_and_or_b32 v21, v13, s28, v20
	v_add_u32_e32 v12, v19, v12
	v_cndmask_b32_e64 v19, v20, v13, s[26:27]
	v_cndmask_b32_e64 v13, v21, v13, s[26:27]
	v_mov_b32_dpp v20, v12 row_shr:2 row_mask:0xf bank_mask:0xf
	v_cmp_eq_u32_e64 s[26:27], 0, v12
	v_cmp_lt_u32_e64 s[28:29], 1, v18
	v_mov_b32_dpp v13, v13 row_shr:2 row_mask:0xf bank_mask:0xf
	v_cndmask_b32_e64 v18, 0, v20, s[28:29]
	s_and_b64 s[26:27], s[28:29], s[26:27]
	v_add_u32_e32 v12, v18, v12
	v_cndmask_b32_e64 v13, 0, v13, s[26:27]
	v_add_u16_e32 v13, v19, v13
	ds_write_b32 v10, v12 offset:1040
	ds_write_b16 v10, v13 offset:1044
.LBB654_123:
	s_or_b64 exec, exec, s[34:35]
	v_cmp_lt_u32_e64 s[26:27], 63, v0
	v_mov_b32_e32 v10, 0
	v_mov_b32_e32 v12, 0
	s_waitcnt vmcnt(0)
	v_mov_b32_e32 v13, v7
	s_waitcnt lgkmcnt(0)
	s_barrier
	s_and_saveexec_b64 s[28:29], s[26:27]
	s_cbranch_execz .LBB654_125
; %bb.124:
	ds_read_b32 v12, v11 offset:1032
	ds_read_u16 v11, v11 offset:1036
	s_waitcnt lgkmcnt(1)
	v_cmp_eq_u32_e64 s[26:27], 0, v12
	v_cndmask_b32_e64 v13, 0, v7, s[26:27]
	s_waitcnt lgkmcnt(0)
	v_add_u16_e32 v13, v13, v11
.LBB654_125:
	s_or_b64 exec, exec, s[28:29]
	v_cmp_eq_u32_e64 s[26:27], 0, v8
	v_add_u32_e32 v11, v12, v8
	v_cndmask_b32_e64 v8, 0, v13, s[26:27]
	v_add_u16_e32 v8, v8, v9
	v_add_u32_e32 v9, -1, v6
	v_and_b32_e32 v18, 64, v6
	v_cmp_lt_i32_e64 s[26:27], v9, v18
	v_cndmask_b32_e64 v9, v9, v6, s[26:27]
	v_lshlrev_b32_e32 v9, 2, v9
	ds_bpermute_b32 v8, v9, v8
	ds_bpermute_b32 v11, v9, v11
	v_cmp_eq_u32_e64 s[26:27], 0, v6
	s_waitcnt lgkmcnt(1)
	v_cndmask_b32_e64 v8, v8, v13, s[26:27]
	s_waitcnt lgkmcnt(0)
	v_cndmask_b32_e64 v6, v11, v12, s[26:27]
	v_cndmask_b32_e64 v8, v8, v7, s[0:1]
	v_cmp_eq_u32_e64 s[26:27], 0, v68
	v_cndmask_b32_e64 v48, v6, 0, s[0:1]
	v_cndmask_b32_e64 v6, 0, v8, s[26:27]
	v_add_u16_e32 v47, v6, v77
	v_cndmask_b32_e64 v6, 0, v47, s[2:3]
	v_add_u16_e32 v45, v6, v76
	;; [unrolled: 2-line block ×9, first 2 shown]
	v_cndmask_b32_e64 v6, 0, v31, s[18:19]
	v_add_u32_e32 v46, v48, v68
	v_add_u16_e32 v29, v6, v53
	v_add_u32_e32 v44, v46, v66
	v_cndmask_b32_e64 v6, 0, v29, s[20:21]
	v_add_u32_e32 v42, v44, v65
	v_add_u16_e32 v27, v6, v69
	v_add_u32_e32 v40, v42, v64
	;; [unrolled: 4-line block ×3, first 2 shown]
	v_cndmask_b32_e64 v6, 0, v25, s[24:25]
	v_add_u32_e32 v34, v36, v61
	v_add_u16_e32 v23, v6, v52
	ds_read_b32 v6, v10 offset:1064
	v_add_u32_e32 v32, v34, v60
	v_and_b32_e32 v49, 0xffff, v8
	ds_read_u16 v8, v10 offset:1068
	v_add_u32_e32 v30, v32, v59
	v_add_u32_e32 v28, v30, v58
	;; [unrolled: 1-line block ×4, first 2 shown]
	v_cndmask_b32_e32 v9, 0, v23, vcc
	s_waitcnt lgkmcnt(1)
	v_cmp_eq_u32_e32 vcc, 0, v6
	v_add_u32_e32 v22, v24, v55
	v_cndmask_b32_e32 v7, 0, v7, vcc
	v_add_u32_e32 v20, v22, v54
	v_add_u16_e32 v21, v9, v50
	s_waitcnt lgkmcnt(0)
	v_add_u16_e32 v67, v7, v8
	s_and_saveexec_b64 s[2:3], s[0:1]
	s_cbranch_execz .LBB654_127
; %bb.126:
	s_add_u32 s4, s44, 0x400
	s_addc_u32 s5, s45, 0
	v_and_b32_e32 v7, 0xff00, v67
	v_mov_b32_e32 v9, 0
	v_or_b32_sdwa v7, v7, v67 dst_sel:DWORD dst_unused:UNUSED_PAD src0_sel:DWORD src1_sel:BYTE_0
	v_mov_b32_e32 v8, 2
	v_pk_mov_b32 v[10:11], s[4:5], s[4:5] op_sel:[0,1]
	;;#ASMSTART
	global_store_dwordx4 v[10:11], v[6:9] off	
s_waitcnt vmcnt(0)
	;;#ASMEND
.LBB654_127:
	s_or_b64 exec, exec, s[2:3]
	v_mov_b32_e32 v8, 0
.LBB654_128:
	s_and_b64 s[2:3], s[30:31], exec
	s_cselect_b32 s3, 0, s59
	s_cselect_b32 s2, 0, s58
	s_cmp_eq_u64 s[2:3], 0
	v_pk_mov_b32 v[18:19], 0, 0
	s_barrier
	s_cbranch_scc1 .LBB654_130
; %bb.129:
	v_mov_b32_e32 v7, 0
	global_load_dwordx2 v[18:19], v7, s[2:3]
.LBB654_130:
	s_waitcnt vmcnt(0)
	v_lshlrev_b64 v[50:51], 1, v[18:19]
	v_mov_b32_e32 v7, s43
	v_add_co_u32_e32 v10, vcc, s42, v50
	v_mov_b32_e32 v9, 0
	v_addc_co_u32_e32 v11, vcc, v7, v51, vcc
	v_lshlrev_b64 v[52:53], 1, v[8:9]
	v_add_co_u32_e32 v7, vcc, v10, v52
	v_addc_co_u32_e32 v9, vcc, v11, v53, vcc
	v_cmp_eq_u32_e32 vcc, 0, v68
	v_cndmask_b32_e64 v10, 1, 2, vcc
	v_cmp_eq_u32_e32 vcc, 0, v66
	v_cndmask_b32_e64 v11, 1, 2, vcc
	v_cmp_eq_u32_e32 vcc, 0, v65
	v_and_b32_e32 v10, v11, v10
	v_cndmask_b32_e64 v11, 1, 2, vcc
	v_cmp_eq_u32_e32 vcc, 0, v64
	v_and_b32_e32 v10, v10, v11
	;; [unrolled: 3-line block ×13, first 2 shown]
	v_cndmask_b32_e64 v11, 1, 2, vcc
	s_movk_i32 s34, 0x100
	v_and_b32_e32 v10, v10, v11
	v_cmp_gt_u32_e32 vcc, s34, v6
	v_cmp_ne_u32_e64 s[30:31], 0, v68
	v_cmp_ne_u32_e64 s[28:29], 0, v66
	;; [unrolled: 1-line block ×15, first 2 shown]
	s_mov_b64 s[40:41], -1
	v_cmp_gt_i16_e64 s[34:35], 2, v10
	s_cbranch_vccz .LBB654_137
; %bb.131:
	s_and_saveexec_b64 s[40:41], s[34:35]
	s_cbranch_execz .LBB654_136
; %bb.132:
	v_cmp_ne_u16_e32 vcc, 1, v10
	s_mov_b64 s[42:43], 0
	s_and_saveexec_b64 s[34:35], vcc
	s_xor_b64 s[34:35], exec, s[34:35]
	s_cbranch_execnz .LBB654_193
; %bb.133:
	s_andn2_saveexec_b64 s[34:35], s[34:35]
	s_cbranch_execnz .LBB654_209
.LBB654_134:
	s_or_b64 exec, exec, s[34:35]
	s_and_b64 exec, exec, s[42:43]
	s_cbranch_execz .LBB654_136
.LBB654_135:
	v_sub_u32_e32 v12, v20, v8
	v_mov_b32_e32 v13, 0
	v_lshlrev_b64 v[12:13], 1, v[12:13]
	v_add_co_u32_e32 v12, vcc, v7, v12
	v_addc_co_u32_e32 v13, vcc, v9, v13, vcc
	global_store_short_d16_hi v[12:13], v16, off
.LBB654_136:
	s_or_b64 exec, exec, s[40:41]
	s_mov_b64 s[40:41], 0
.LBB654_137:
	s_and_b64 vcc, exec, s[40:41]
	s_cbranch_vccz .LBB654_159
; %bb.138:
	v_cmp_gt_i16_e32 vcc, 2, v10
	s_and_saveexec_b64 s[34:35], vcc
	s_cbranch_execz .LBB654_143
; %bb.139:
	v_cmp_ne_u16_e32 vcc, 1, v10
	s_mov_b64 s[42:43], 0
	s_and_saveexec_b64 s[40:41], vcc
	s_xor_b64 s[40:41], exec, s[40:41]
	s_cbranch_execnz .LBB654_210
; %bb.140:
	s_andn2_saveexec_b64 s[2:3], s[40:41]
	s_cbranch_execnz .LBB654_226
.LBB654_141:
	s_or_b64 exec, exec, s[2:3]
	s_and_b64 exec, exec, s[42:43]
	s_cbranch_execz .LBB654_143
.LBB654_142:
	v_sub_u32_e32 v1, v20, v8
	v_lshlrev_b32_e32 v1, 1, v1
	ds_write_b16_d16_hi v1, v16
.LBB654_143:
	s_or_b64 exec, exec, s[34:35]
	v_cmp_lt_u32_e32 vcc, v0, v6
	s_waitcnt lgkmcnt(0)
	s_barrier
	s_and_saveexec_b64 s[4:5], vcc
	s_cbranch_execz .LBB654_158
; %bb.144:
	v_xad_u32 v1, v0, -1, v6
	s_movk_i32 s2, 0x1700
	v_cmp_gt_u32_e64 s[6:7], s2, v1
	s_movk_i32 s2, 0x16ff
	v_cmp_lt_u32_e32 vcc, s2, v1
	v_mov_b32_e32 v2, v0
	s_and_saveexec_b64 s[8:9], vcc
	s_cbranch_execz .LBB654_155
; %bb.145:
	v_sub_u32_e32 v2, v0, v6
	v_or_b32_e32 v2, 0xff, v2
	v_cmp_ge_u32_e32 vcc, v2, v0
	s_mov_b64 s[2:3], -1
	v_mov_b32_e32 v2, v0
	s_and_saveexec_b64 s[10:11], vcc
	s_cbranch_execz .LBB654_154
; %bb.146:
	v_lshrrev_b32_e32 v14, 8, v1
	v_or_b32_e32 v3, 0x300, v0
	v_or_b32_e32 v2, 0x200, v0
	v_add_u32_e32 v4, -3, v14
	v_or_b32_e32 v1, 0x100, v0
	v_lshrrev_b32_e32 v5, 2, v4
	v_pk_mov_b32 v[12:13], v[2:3], v[2:3] op_sel:[0,1]
	v_add_u32_e32 v15, 1, v5
	v_cmp_lt_u32_e32 vcc, 11, v4
	v_mov_b32_e32 v70, 0
	v_pk_mov_b32 v[10:11], v[0:1], v[0:1] op_sel:[0,1]
	s_and_saveexec_b64 s[12:13], vcc
	s_cbranch_execz .LBB654_150
; %bb.147:
	v_pk_mov_b32 v[12:13], v[2:3], v[2:3] op_sel:[0,1]
	v_and_b32_e32 v16, 0x7ffffffc, v15
	v_lshlrev_b32_e32 v69, 1, v0
	s_mov_b32 s16, 0
	s_mov_b64 s[14:15], 0
	v_mov_b32_e32 v5, 0
	v_pk_mov_b32 v[10:11], v[0:1], v[0:1] op_sel:[0,1]
.LBB654_148:                            ; =>This Inner Loop Header: Depth=1
	v_mov_b32_e32 v4, v10
	v_lshlrev_b64 v[86:87], 1, v[4:5]
	v_add_u32_e32 v72, 0x400, v11
	v_mov_b32_e32 v73, v5
	v_add_co_u32_e64 v86, s[2:3], v7, v86
	v_lshlrev_b64 v[72:73], 1, v[72:73]
	v_addc_co_u32_e64 v87, s[2:3], v9, v87, s[2:3]
	v_add_u32_e32 v70, 0x400, v12
	v_mov_b32_e32 v71, v5
	v_add_co_u32_e64 v72, s[2:3], v7, v72
	v_lshlrev_b64 v[88:89], 1, v[70:71]
	v_addc_co_u32_e64 v73, s[2:3], v9, v73, s[2:3]
	v_add_u32_e32 v2, 0x400, v13
	v_mov_b32_e32 v3, v5
	v_add_co_u32_e64 v88, s[2:3], v7, v88
	v_add_u32_e32 v16, -4, v16
	v_mov_b32_e32 v4, v11
	v_lshlrev_b64 v[2:3], 1, v[2:3]
	v_addc_co_u32_e64 v89, s[2:3], v9, v89, s[2:3]
	v_add_u32_e32 v78, 0x800, v11
	v_mov_b32_e32 v79, v5
	s_add_i32 s16, s16, 16
	v_cmp_eq_u32_e32 vcc, 0, v16
	v_lshlrev_b64 v[90:91], 1, v[4:5]
	v_add_co_u32_e64 v2, s[2:3], v7, v2
	v_lshlrev_b64 v[78:79], 1, v[78:79]
	v_mov_b32_e32 v4, v12
	v_addc_co_u32_e64 v3, s[2:3], v9, v3, s[2:3]
	s_or_b64 s[14:15], vcc, s[14:15]
	v_add_co_u32_e32 v90, vcc, v7, v90
	v_add_u32_e32 v76, 0x800, v12
	v_mov_b32_e32 v77, v5
	v_add_co_u32_e64 v78, s[2:3], v7, v78
	v_addc_co_u32_e32 v91, vcc, v9, v91, vcc
	v_lshlrev_b64 v[92:93], 1, v[4:5]
	v_lshlrev_b64 v[76:77], 1, v[76:77]
	v_addc_co_u32_e64 v79, s[2:3], v9, v79, s[2:3]
	v_mov_b32_e32 v4, v13
	v_add_co_u32_e32 v92, vcc, v7, v92
	ds_read_u16 v1, v69
	ds_read_u16 v96, v69 offset:512
	ds_read_u16 v97, v69 offset:1024
	;; [unrolled: 1-line block ×7, first 2 shown]
	v_add_u32_e32 v74, 0x800, v13
	v_mov_b32_e32 v75, v5
	v_add_co_u32_e64 v76, s[2:3], v7, v76
	v_addc_co_u32_e32 v93, vcc, v9, v93, vcc
	v_lshlrev_b64 v[94:95], 1, v[4:5]
	v_lshlrev_b64 v[74:75], 1, v[74:75]
	v_addc_co_u32_e64 v77, s[2:3], v9, v77, s[2:3]
	v_add_u32_e32 v4, 0x400, v10
	v_add_co_u32_e32 v94, vcc, v7, v94
	v_add_u32_e32 v84, 0xc00, v11
	v_mov_b32_e32 v85, v5
	ds_read_u16 v103, v69 offset:4096
	ds_read_u16 v104, v69 offset:4608
	;; [unrolled: 1-line block ×8, first 2 shown]
	v_add_co_u32_e64 v74, s[2:3], v7, v74
	v_addc_co_u32_e32 v95, vcc, v9, v95, vcc
	s_waitcnt lgkmcnt(14)
	global_store_short v[86:87], v1, off
	global_store_short v[90:91], v96, off
	s_waitcnt lgkmcnt(13)
	global_store_short v[92:93], v97, off
	v_lshlrev_b64 v[86:87], 1, v[4:5]
	v_lshlrev_b64 v[84:85], 1, v[84:85]
	v_addc_co_u32_e64 v75, s[2:3], v9, v75, s[2:3]
	v_add_u32_e32 v4, 0x800, v10
	v_add_co_u32_e32 v86, vcc, v7, v86
	v_add_u32_e32 v82, 0xc00, v12
	v_mov_b32_e32 v83, v5
	v_add_co_u32_e64 v84, s[2:3], v7, v84
	v_addc_co_u32_e32 v87, vcc, v9, v87, vcc
	v_lshlrev_b64 v[90:91], 1, v[4:5]
	v_lshlrev_b64 v[82:83], 1, v[82:83]
	v_addc_co_u32_e64 v85, s[2:3], v9, v85, s[2:3]
	s_waitcnt lgkmcnt(12)
	global_store_short v[94:95], v98, off
	v_add_u32_e32 v4, 0xc00, v10
	s_waitcnt lgkmcnt(11)
	global_store_short v[86:87], v99, off
	s_waitcnt lgkmcnt(10)
	global_store_short v[72:73], v100, off
	;; [unrolled: 2-line block ×4, first 2 shown]
	v_add_co_u32_e32 v2, vcc, v7, v90
	v_add_u32_e32 v80, 0xc00, v13
	v_mov_b32_e32 v81, v5
	v_add_co_u32_e64 v82, s[2:3], v7, v82
	v_addc_co_u32_e32 v3, vcc, v9, v91, vcc
	v_lshlrev_b64 v[72:73], 1, v[4:5]
	v_lshlrev_b64 v[80:81], 1, v[80:81]
	v_addc_co_u32_e64 v83, s[2:3], v9, v83, s[2:3]
	s_waitcnt lgkmcnt(7)
	global_store_short v[2:3], v103, off
	s_waitcnt lgkmcnt(6)
	global_store_short v[78:79], v104, off
	;; [unrolled: 2-line block ×4, first 2 shown]
	v_add_co_u32_e32 v2, vcc, v7, v72
	v_add_u32_e32 v69, 0x2000, v69
	v_add_u32_e32 v11, 0x1000, v11
	v_mov_b32_e32 v70, s16
	v_add_co_u32_e64 v80, s[2:3], v7, v80
	v_add_u32_e32 v12, 0x1000, v12
	v_add_u32_e32 v13, 0x1000, v13
	v_add_u32_e32 v10, 0x1000, v10
	v_addc_co_u32_e32 v3, vcc, v9, v73, vcc
	v_addc_co_u32_e64 v81, s[2:3], v9, v81, s[2:3]
	s_waitcnt lgkmcnt(3)
	global_store_short v[2:3], v107, off
	s_waitcnt lgkmcnt(2)
	global_store_short v[84:85], v108, off
	;; [unrolled: 2-line block ×4, first 2 shown]
	s_andn2_b64 exec, exec, s[14:15]
	s_cbranch_execnz .LBB654_148
; %bb.149:
	s_or_b64 exec, exec, s[14:15]
.LBB654_150:
	s_or_b64 exec, exec, s[12:13]
	v_and_b32_e32 v1, 3, v15
	v_cmp_ne_u32_e32 vcc, 0, v1
	s_and_saveexec_b64 s[12:13], vcc
	s_cbranch_execz .LBB654_153
; %bb.151:
	v_lshlrev_b32_e32 v2, 1, v0
	v_lshl_or_b32 v4, v70, 9, v2
	s_mov_b64 s[14:15], 0
	v_mov_b32_e32 v3, 0
.LBB654_152:                            ; =>This Inner Loop Header: Depth=1
	v_mov_b32_e32 v2, v10
	v_add_u32_e32 v1, -1, v1
	v_lshlrev_b64 v[70:71], 1, v[2:3]
	v_mov_b32_e32 v2, v11
	v_cmp_eq_u32_e32 vcc, 0, v1
	v_lshlrev_b64 v[72:73], 1, v[2:3]
	ds_read_u16 v5, v4
	ds_read_u16 v15, v4 offset:512
	ds_read_u16 v16, v4 offset:1024
	;; [unrolled: 1-line block ×3, first 2 shown]
	v_mov_b32_e32 v2, v12
	s_or_b64 s[14:15], vcc, s[14:15]
	v_add_co_u32_e32 v72, vcc, v7, v72
	v_addc_co_u32_e32 v73, vcc, v9, v73, vcc
	v_lshlrev_b64 v[74:75], 1, v[2:3]
	v_mov_b32_e32 v2, v13
	v_add_co_u32_e32 v74, vcc, v7, v74
	v_add_co_u32_e64 v70, s[2:3], v7, v70
	v_addc_co_u32_e32 v75, vcc, v9, v75, vcc
	v_lshlrev_b64 v[76:77], 1, v[2:3]
	v_add_u32_e32 v10, 0x400, v10
	v_add_u32_e32 v4, 0x800, v4
	;; [unrolled: 1-line block ×3, first 2 shown]
	v_addc_co_u32_e64 v71, s[2:3], v9, v71, s[2:3]
	v_add_u32_e32 v12, 0x400, v12
	v_add_u32_e32 v13, 0x400, v13
	v_add_co_u32_e32 v76, vcc, v7, v76
	v_addc_co_u32_e32 v77, vcc, v9, v77, vcc
	s_waitcnt lgkmcnt(3)
	global_store_short v[70:71], v5, off
	s_waitcnt lgkmcnt(2)
	global_store_short v[72:73], v15, off
	;; [unrolled: 2-line block ×4, first 2 shown]
	s_andn2_b64 exec, exec, s[14:15]
	s_cbranch_execnz .LBB654_152
.LBB654_153:
	s_or_b64 exec, exec, s[12:13]
	v_add_u32_e32 v1, 1, v14
	v_and_b32_e32 v3, 0x1fffffc, v1
	v_cmp_ne_u32_e32 vcc, v1, v3
	v_lshl_or_b32 v2, v3, 8, v0
	s_orn2_b64 s[2:3], vcc, exec
.LBB654_154:
	s_or_b64 exec, exec, s[10:11]
	s_andn2_b64 s[6:7], s[6:7], exec
	s_and_b64 s[2:3], s[2:3], exec
	s_or_b64 s[6:7], s[6:7], s[2:3]
.LBB654_155:
	s_or_b64 exec, exec, s[8:9]
	s_and_b64 exec, exec, s[6:7]
	s_cbranch_execz .LBB654_158
; %bb.156:
	v_lshlrev_b32_e32 v1, 1, v2
	s_mov_b64 s[2:3], 0
	v_mov_b32_e32 v3, 0
.LBB654_157:                            ; =>This Inner Loop Header: Depth=1
	v_lshlrev_b64 v[4:5], 1, v[2:3]
	ds_read_u16 v10, v1
	v_add_co_u32_e32 v4, vcc, v7, v4
	v_add_u32_e32 v2, 0x100, v2
	v_addc_co_u32_e32 v5, vcc, v9, v5, vcc
	v_cmp_ge_u32_e32 vcc, v2, v6
	v_add_u32_e32 v1, 0x200, v1
	s_or_b64 s[2:3], vcc, s[2:3]
	s_waitcnt lgkmcnt(0)
	global_store_short v[4:5], v10, off
	s_andn2_b64 exec, exec, s[2:3]
	s_cbranch_execnz .LBB654_157
.LBB654_158:
	s_or_b64 exec, exec, s[4:5]
.LBB654_159:
	s_cmpk_lg_i32 s33, 0xf00
	s_cselect_b64 s[2:3], -1, 0
	v_cndmask_b32_e64 v1, 0, 1, s[38:39]
	s_and_b64 s[2:3], s[2:3], s[36:37]
	v_sub_u32_e32 v3, v6, v1
	v_cndmask_b32_e64 v2, 0, 1, s[2:3]
	s_and_b64 s[0:1], s[0:1], s[38:39]
	v_add_u32_e32 v7, v3, v2
	v_cndmask_b32_e64 v3, v68, 0, s[0:1]
	s_mul_hi_u32 s0, s33, 0x88888889
	s_lshr_b32 s0, s0, 3
	v_mad_i32_i24 v4, v0, -15, s33
	v_cmp_eq_u32_e32 vcc, s0, v0
	v_cmp_ne_u32_e64 s[0:1], 0, v4
	v_cndmask_b32_e64 v5, 1, v3, s[0:1]
	v_cmp_ne_u32_e64 s[0:1], 1, v4
	v_cndmask_b32_e64 v9, 1, v66, s[0:1]
	;; [unrolled: 2-line block ×15, first 2 shown]
	s_and_b64 vcc, vcc, s[36:37]
	v_cndmask_b32_e32 v4, v17, v4, vcc
	v_cndmask_b32_e32 v17, v54, v72, vcc
	;; [unrolled: 1-line block ×15, first 2 shown]
	v_mov_b32_e32 v3, s53
	v_add_co_u32_e32 v9, vcc, s52, v50
	v_addc_co_u32_e32 v3, vcc, v3, v51, vcc
	v_add_co_u32_e32 v9, vcc, v9, v52
	v_addc_co_u32_e32 v14, vcc, v3, v53, vcc
	v_lshlrev_b32_e32 v3, 1, v1
	v_add_co_u32_e32 v3, vcc, v3, v9
	v_addc_co_u32_e32 v16, vcc, 0, v14, vcc
	v_add_co_u32_e32 v15, vcc, -2, v3
	v_addc_co_u32_e32 v16, vcc, -1, v16, vcc
	v_cmp_eq_u32_e32 vcc, 0, v5
	v_cmp_ne_u32_e64 s[28:29], 0, v5
	v_cndmask_b32_e64 v5, 1, 2, vcc
	v_cmp_eq_u32_e32 vcc, 0, v61
	v_cndmask_b32_e64 v50, 1, 2, vcc
	v_cmp_eq_u32_e32 vcc, 0, v10
	v_and_b32_e32 v5, v50, v5
	v_cmp_ne_u32_e64 s[24:25], 0, v10
	v_cndmask_b32_e64 v10, 1, 2, vcc
	v_cmp_eq_u32_e32 vcc, 0, v11
	v_and_b32_e32 v5, v5, v10
	v_cndmask_b32_e64 v10, 1, 2, vcc
	v_cmp_eq_u32_e32 vcc, 0, v12
	v_and_b32_e32 v5, v5, v10
	;; [unrolled: 3-line block ×12, first 2 shown]
	v_cmp_ne_u32_e64 s[0:1], 0, v4
	v_cndmask_b32_e64 v4, 1, 2, vcc
	s_movk_i32 s30, 0x100
	v_and_b32_e32 v4, v5, v4
	v_cmp_gt_u32_e32 vcc, s30, v7
	v_add_u32_e32 v3, v8, v1
	v_cmp_ne_u32_e64 s[26:27], 0, v61
	v_cmp_ne_u32_e64 s[22:23], 0, v11
	v_cmp_ne_u32_e64 s[20:21], 0, v12
	v_cmp_ne_u32_e64 s[18:19], 0, v13
	v_cmp_ne_u32_e64 s[16:17], 0, v60
	v_cmp_ne_u32_e64 s[14:15], 0, v59
	v_cmp_ne_u32_e64 s[12:13], 0, v58
	v_cmp_ne_u32_e64 s[10:11], 0, v57
	v_cmp_ne_u32_e64 s[8:9], 0, v56
	v_cmp_ne_u32_e64 s[6:7], 0, v55
	v_cmp_ne_u32_e64 s[4:5], 0, v54
	v_cmp_ne_u32_e64 s[2:3], 0, v17
	s_mov_b64 s[34:35], -1
	v_cmp_gt_i16_e64 s[30:31], 2, v4
	s_barrier
	s_cbranch_vccz .LBB654_166
; %bb.160:
	s_and_saveexec_b64 s[34:35], s[30:31]
	s_cbranch_execz .LBB654_165
; %bb.161:
	v_cmp_ne_u16_e32 vcc, 1, v4
	s_mov_b64 s[38:39], 0
	s_and_saveexec_b64 s[30:31], vcc
	s_xor_b64 s[30:31], exec, s[30:31]
	s_cbranch_execnz .LBB654_227
; %bb.162:
	s_andn2_saveexec_b64 s[30:31], s[30:31]
	s_cbranch_execnz .LBB654_243
.LBB654_163:
	s_or_b64 exec, exec, s[30:31]
	s_and_b64 exec, exec, s[38:39]
	s_cbranch_execz .LBB654_165
.LBB654_164:
	v_sub_u32_e32 v10, v20, v3
	v_mov_b32_e32 v11, 0
	v_lshlrev_b64 v[10:11], 1, v[10:11]
	v_add_co_u32_e32 v10, vcc, v15, v10
	v_addc_co_u32_e32 v11, vcc, v16, v11, vcc
	global_store_short v[10:11], v21, off
.LBB654_165:
	s_or_b64 exec, exec, s[34:35]
	s_mov_b64 s[34:35], 0
.LBB654_166:
	s_and_b64 vcc, exec, s[34:35]
	s_cbranch_vccz .LBB654_188
; %bb.167:
	v_cmp_gt_i16_e32 vcc, 2, v4
	s_and_saveexec_b64 s[30:31], vcc
	s_cbranch_execz .LBB654_172
; %bb.168:
	v_cmp_ne_u16_e32 vcc, 1, v4
	s_mov_b64 s[38:39], 0
	s_and_saveexec_b64 s[34:35], vcc
	s_xor_b64 s[34:35], exec, s[34:35]
	s_cbranch_execnz .LBB654_244
; %bb.169:
	s_andn2_saveexec_b64 s[0:1], s[34:35]
	s_cbranch_execnz .LBB654_260
.LBB654_170:
	s_or_b64 exec, exec, s[0:1]
	s_and_b64 exec, exec, s[38:39]
	s_cbranch_execz .LBB654_172
.LBB654_171:
	v_sub_u32_e32 v3, v20, v3
	v_lshlrev_b32_e32 v3, 1, v3
	ds_write_b16 v3, v21
.LBB654_172:
	s_or_b64 exec, exec, s[30:31]
	v_cmp_lt_u32_e32 vcc, v0, v7
	s_waitcnt lgkmcnt(0)
	s_barrier
	s_and_saveexec_b64 s[2:3], vcc
	s_cbranch_execz .LBB654_187
; %bb.173:
	v_add_u32_e32 v4, v6, v2
	v_xad_u32 v2, v0, -1, v4
	v_sub_u32_e32 v3, v2, v1
	s_movk_i32 s0, 0x1b00
	v_cmp_gt_u32_e64 s[4:5], s0, v3
	s_movk_i32 s0, 0x1aff
	v_cmp_lt_u32_e32 vcc, s0, v3
	v_mov_b32_e32 v2, v0
	s_and_saveexec_b64 s[6:7], vcc
	s_cbranch_execz .LBB654_184
; %bb.174:
	v_sub_u32_e32 v2, v0, v4
	v_add_u32_e32 v1, v2, v1
	v_or_b32_e32 v1, 0xff, v1
	v_cmp_ge_u32_e32 vcc, v1, v0
	s_mov_b64 s[0:1], -1
	v_mov_b32_e32 v2, v0
	s_and_saveexec_b64 s[8:9], vcc
	s_cbranch_execz .LBB654_183
; %bb.175:
	v_lshrrev_b32_e32 v17, 8, v3
	v_or_b32_e32 v3, 0x300, v0
	v_or_b32_e32 v2, 0x200, v0
	v_add_u32_e32 v4, -3, v17
	v_or_b32_e32 v1, 0x100, v0
	v_lshrrev_b32_e32 v5, 2, v4
	v_pk_mov_b32 v[12:13], v[2:3], v[2:3] op_sel:[0,1]
	v_add_u32_e32 v21, 1, v5
	v_cmp_lt_u32_e32 vcc, 11, v4
	v_mov_b32_e32 v24, 0
	v_lshlrev_b32_e32 v20, 1, v0
	v_pk_mov_b32 v[10:11], v[0:1], v[0:1] op_sel:[0,1]
	s_and_saveexec_b64 s[10:11], vcc
	s_cbranch_execz .LBB654_179
; %bb.176:
	v_pk_mov_b32 v[12:13], v[2:3], v[2:3] op_sel:[0,1]
	v_and_b32_e32 v22, 0x7ffffffc, v21
	s_mov_b32 s14, 0
	s_mov_b64 s[12:13], 0
	v_mov_b32_e32 v5, 0
	v_mov_b32_e32 v23, v20
	v_pk_mov_b32 v[10:11], v[0:1], v[0:1] op_sel:[0,1]
.LBB654_177:                            ; =>This Inner Loop Header: Depth=1
	v_mov_b32_e32 v4, v10
	v_lshlrev_b64 v[40:41], 1, v[4:5]
	v_add_u32_e32 v26, 0x400, v11
	v_mov_b32_e32 v27, v5
	v_add_co_u32_e64 v40, s[0:1], v15, v40
	v_lshlrev_b64 v[26:27], 1, v[26:27]
	v_addc_co_u32_e64 v41, s[0:1], v16, v41, s[0:1]
	v_add_u32_e32 v24, 0x400, v12
	v_mov_b32_e32 v25, v5
	v_add_co_u32_e64 v26, s[0:1], v15, v26
	v_lshlrev_b64 v[42:43], 1, v[24:25]
	v_addc_co_u32_e64 v27, s[0:1], v16, v27, s[0:1]
	v_add_u32_e32 v2, 0x400, v13
	v_mov_b32_e32 v3, v5
	v_add_co_u32_e64 v42, s[0:1], v15, v42
	v_add_u32_e32 v22, -4, v22
	v_mov_b32_e32 v4, v11
	v_lshlrev_b64 v[2:3], 1, v[2:3]
	v_addc_co_u32_e64 v43, s[0:1], v16, v43, s[0:1]
	v_add_u32_e32 v32, 0x800, v11
	v_mov_b32_e32 v33, v5
	s_add_i32 s14, s14, 16
	v_cmp_eq_u32_e32 vcc, 0, v22
	v_lshlrev_b64 v[44:45], 1, v[4:5]
	v_add_co_u32_e64 v2, s[0:1], v15, v2
	v_lshlrev_b64 v[32:33], 1, v[32:33]
	v_mov_b32_e32 v4, v12
	v_addc_co_u32_e64 v3, s[0:1], v16, v3, s[0:1]
	s_or_b64 s[12:13], vcc, s[12:13]
	v_add_co_u32_e32 v44, vcc, v15, v44
	v_add_u32_e32 v30, 0x800, v12
	v_mov_b32_e32 v31, v5
	v_add_co_u32_e64 v32, s[0:1], v15, v32
	v_addc_co_u32_e32 v45, vcc, v16, v45, vcc
	v_lshlrev_b64 v[46:47], 1, v[4:5]
	v_lshlrev_b64 v[30:31], 1, v[30:31]
	v_addc_co_u32_e64 v33, s[0:1], v16, v33, s[0:1]
	v_mov_b32_e32 v4, v13
	v_add_co_u32_e32 v46, vcc, v15, v46
	ds_read_u16 v1, v23
	ds_read_u16 v50, v23 offset:512
	ds_read_u16 v51, v23 offset:1024
	;; [unrolled: 1-line block ×7, first 2 shown]
	v_add_u32_e32 v28, 0x800, v13
	v_mov_b32_e32 v29, v5
	v_add_co_u32_e64 v30, s[0:1], v15, v30
	v_addc_co_u32_e32 v47, vcc, v16, v47, vcc
	v_lshlrev_b64 v[48:49], 1, v[4:5]
	v_lshlrev_b64 v[28:29], 1, v[28:29]
	v_addc_co_u32_e64 v31, s[0:1], v16, v31, s[0:1]
	v_add_u32_e32 v4, 0x400, v10
	v_add_co_u32_e32 v48, vcc, v15, v48
	v_add_u32_e32 v38, 0xc00, v11
	v_mov_b32_e32 v39, v5
	ds_read_u16 v57, v23 offset:4096
	ds_read_u16 v58, v23 offset:4608
	;; [unrolled: 1-line block ×8, first 2 shown]
	v_add_co_u32_e64 v28, s[0:1], v15, v28
	v_addc_co_u32_e32 v49, vcc, v16, v49, vcc
	s_waitcnt lgkmcnt(14)
	global_store_short v[40:41], v1, off
	global_store_short v[44:45], v50, off
	s_waitcnt lgkmcnt(13)
	global_store_short v[46:47], v51, off
	v_lshlrev_b64 v[40:41], 1, v[4:5]
	v_lshlrev_b64 v[38:39], 1, v[38:39]
	v_addc_co_u32_e64 v29, s[0:1], v16, v29, s[0:1]
	v_add_u32_e32 v4, 0x800, v10
	v_add_co_u32_e32 v40, vcc, v15, v40
	v_add_u32_e32 v36, 0xc00, v12
	v_mov_b32_e32 v37, v5
	v_add_co_u32_e64 v38, s[0:1], v15, v38
	v_addc_co_u32_e32 v41, vcc, v16, v41, vcc
	v_lshlrev_b64 v[44:45], 1, v[4:5]
	v_lshlrev_b64 v[36:37], 1, v[36:37]
	v_addc_co_u32_e64 v39, s[0:1], v16, v39, s[0:1]
	s_waitcnt lgkmcnt(12)
	global_store_short v[48:49], v52, off
	v_add_u32_e32 v4, 0xc00, v10
	s_waitcnt lgkmcnt(11)
	global_store_short v[40:41], v53, off
	s_waitcnt lgkmcnt(10)
	global_store_short v[26:27], v54, off
	;; [unrolled: 2-line block ×4, first 2 shown]
	v_add_co_u32_e32 v2, vcc, v15, v44
	v_add_u32_e32 v34, 0xc00, v13
	v_mov_b32_e32 v35, v5
	v_add_co_u32_e64 v36, s[0:1], v15, v36
	v_addc_co_u32_e32 v3, vcc, v16, v45, vcc
	v_lshlrev_b64 v[26:27], 1, v[4:5]
	v_lshlrev_b64 v[34:35], 1, v[34:35]
	v_addc_co_u32_e64 v37, s[0:1], v16, v37, s[0:1]
	s_waitcnt lgkmcnt(7)
	global_store_short v[2:3], v57, off
	s_waitcnt lgkmcnt(6)
	global_store_short v[32:33], v58, off
	;; [unrolled: 2-line block ×4, first 2 shown]
	v_add_co_u32_e32 v2, vcc, v15, v26
	v_add_u32_e32 v23, 0x2000, v23
	v_add_u32_e32 v11, 0x1000, v11
	v_mov_b32_e32 v24, s14
	v_add_co_u32_e64 v34, s[0:1], v15, v34
	v_add_u32_e32 v12, 0x1000, v12
	v_add_u32_e32 v13, 0x1000, v13
	;; [unrolled: 1-line block ×3, first 2 shown]
	v_addc_co_u32_e32 v3, vcc, v16, v27, vcc
	v_addc_co_u32_e64 v35, s[0:1], v16, v35, s[0:1]
	s_waitcnt lgkmcnt(3)
	global_store_short v[2:3], v61, off
	s_waitcnt lgkmcnt(2)
	global_store_short v[38:39], v62, off
	;; [unrolled: 2-line block ×4, first 2 shown]
	s_andn2_b64 exec, exec, s[12:13]
	s_cbranch_execnz .LBB654_177
; %bb.178:
	s_or_b64 exec, exec, s[12:13]
.LBB654_179:
	s_or_b64 exec, exec, s[10:11]
	v_and_b32_e32 v1, 3, v21
	v_cmp_ne_u32_e32 vcc, 0, v1
	s_and_saveexec_b64 s[10:11], vcc
	s_cbranch_execz .LBB654_182
; %bb.180:
	v_lshl_or_b32 v4, v24, 9, v20
	s_mov_b64 s[12:13], 0
	v_mov_b32_e32 v3, 0
.LBB654_181:                            ; =>This Inner Loop Header: Depth=1
	v_mov_b32_e32 v2, v10
	v_add_u32_e32 v1, -1, v1
	v_lshlrev_b64 v[20:21], 1, v[2:3]
	v_mov_b32_e32 v2, v11
	v_cmp_eq_u32_e32 vcc, 0, v1
	v_lshlrev_b64 v[22:23], 1, v[2:3]
	ds_read_u16 v5, v4
	ds_read_u16 v28, v4 offset:512
	ds_read_u16 v29, v4 offset:1024
	;; [unrolled: 1-line block ×3, first 2 shown]
	v_mov_b32_e32 v2, v12
	s_or_b64 s[12:13], vcc, s[12:13]
	v_add_co_u32_e32 v22, vcc, v15, v22
	v_addc_co_u32_e32 v23, vcc, v16, v23, vcc
	v_lshlrev_b64 v[24:25], 1, v[2:3]
	v_mov_b32_e32 v2, v13
	v_add_co_u32_e32 v24, vcc, v15, v24
	v_add_co_u32_e64 v20, s[0:1], v15, v20
	v_addc_co_u32_e32 v25, vcc, v16, v25, vcc
	v_lshlrev_b64 v[26:27], 1, v[2:3]
	v_add_u32_e32 v10, 0x400, v10
	v_add_u32_e32 v4, 0x800, v4
	;; [unrolled: 1-line block ×3, first 2 shown]
	v_addc_co_u32_e64 v21, s[0:1], v16, v21, s[0:1]
	v_add_u32_e32 v12, 0x400, v12
	v_add_u32_e32 v13, 0x400, v13
	v_add_co_u32_e32 v26, vcc, v15, v26
	v_addc_co_u32_e32 v27, vcc, v16, v27, vcc
	s_waitcnt lgkmcnt(3)
	global_store_short v[20:21], v5, off
	s_waitcnt lgkmcnt(2)
	global_store_short v[22:23], v28, off
	;; [unrolled: 2-line block ×4, first 2 shown]
	s_andn2_b64 exec, exec, s[12:13]
	s_cbranch_execnz .LBB654_181
.LBB654_182:
	s_or_b64 exec, exec, s[10:11]
	v_add_u32_e32 v1, 1, v17
	v_and_b32_e32 v3, 0x1fffffc, v1
	v_cmp_ne_u32_e32 vcc, v1, v3
	v_lshl_or_b32 v2, v3, 8, v0
	s_orn2_b64 s[0:1], vcc, exec
.LBB654_183:
	s_or_b64 exec, exec, s[8:9]
	s_andn2_b64 s[4:5], s[4:5], exec
	s_and_b64 s[0:1], s[0:1], exec
	s_or_b64 s[4:5], s[4:5], s[0:1]
.LBB654_184:
	s_or_b64 exec, exec, s[6:7]
	s_and_b64 exec, exec, s[4:5]
	s_cbranch_execz .LBB654_187
; %bb.185:
	v_lshlrev_b32_e32 v1, 1, v2
	s_mov_b64 s[0:1], 0
	v_mov_b32_e32 v3, 0
.LBB654_186:                            ; =>This Inner Loop Header: Depth=1
	v_lshlrev_b64 v[4:5], 1, v[2:3]
	ds_read_u16 v10, v1
	v_add_co_u32_e32 v4, vcc, v15, v4
	v_add_u32_e32 v2, 0x100, v2
	v_addc_co_u32_e32 v5, vcc, v16, v5, vcc
	v_cmp_ge_u32_e32 vcc, v2, v7
	v_add_u32_e32 v1, 0x200, v1
	s_or_b64 s[0:1], vcc, s[0:1]
	s_waitcnt lgkmcnt(0)
	global_store_short v[4:5], v10, off
	s_andn2_b64 exec, exec, s[0:1]
	s_cbranch_execnz .LBB654_186
.LBB654_187:
	s_or_b64 exec, exec, s[2:3]
.LBB654_188:
	s_movk_i32 s0, 0xff
	v_cmp_eq_u32_e32 vcc, s0, v0
	s_and_b64 s[0:1], vcc, s[36:37]
	s_and_saveexec_b64 s[2:3], s[0:1]
	s_cbranch_execz .LBB654_191
; %bb.189:
	v_add_co_u32_e32 v0, vcc, v6, v8
	v_addc_co_u32_e64 v1, s[0:1], 0, 0, vcc
	v_add_co_u32_e32 v0, vcc, v0, v18
	v_mov_b32_e32 v7, 0
	v_addc_co_u32_e32 v1, vcc, v1, v19, vcc
	s_cmpk_lg_i32 s33, 0xf00
	global_store_dwordx2 v7, v[0:1], s[54:55]
	s_cbranch_scc1 .LBB654_191
; %bb.190:
	v_lshlrev_b64 v[0:1], 1, v[6:7]
	v_add_co_u32_e32 v0, vcc, v9, v0
	v_addc_co_u32_e32 v1, vcc, v14, v1, vcc
	global_store_short v[0:1], v67, off offset:-2
.LBB654_191:
	s_endpgm
.LBB654_192:
	s_or_b64 exec, exec, s[8:9]
	v_mov_b32_e32 v68, s12
	s_and_saveexec_b64 s[2:3], s[6:7]
	s_cbranch_execnz .LBB654_88
	s_branch .LBB654_89
.LBB654_193:
	s_and_saveexec_b64 s[42:43], s[30:31]
	s_cbranch_execnz .LBB654_261
; %bb.194:
	s_or_b64 exec, exec, s[42:43]
	s_and_saveexec_b64 s[42:43], s[28:29]
	s_cbranch_execnz .LBB654_262
.LBB654_195:
	s_or_b64 exec, exec, s[42:43]
	s_and_saveexec_b64 s[42:43], s[26:27]
	s_cbranch_execnz .LBB654_263
.LBB654_196:
	s_or_b64 exec, exec, s[42:43]
	s_and_saveexec_b64 s[42:43], s[24:25]
	s_cbranch_execnz .LBB654_264
.LBB654_197:
	s_or_b64 exec, exec, s[42:43]
	s_and_saveexec_b64 s[42:43], s[22:23]
	s_cbranch_execnz .LBB654_265
.LBB654_198:
	s_or_b64 exec, exec, s[42:43]
	s_and_saveexec_b64 s[42:43], s[20:21]
	s_cbranch_execnz .LBB654_266
.LBB654_199:
	s_or_b64 exec, exec, s[42:43]
	s_and_saveexec_b64 s[42:43], s[18:19]
	s_cbranch_execnz .LBB654_267
.LBB654_200:
	s_or_b64 exec, exec, s[42:43]
	s_and_saveexec_b64 s[42:43], s[16:17]
	s_cbranch_execnz .LBB654_268
.LBB654_201:
	s_or_b64 exec, exec, s[42:43]
	s_and_saveexec_b64 s[42:43], s[14:15]
	s_cbranch_execnz .LBB654_269
.LBB654_202:
	s_or_b64 exec, exec, s[42:43]
	s_and_saveexec_b64 s[42:43], s[12:13]
	s_cbranch_execnz .LBB654_270
.LBB654_203:
	s_or_b64 exec, exec, s[42:43]
	s_and_saveexec_b64 s[42:43], s[10:11]
	s_cbranch_execnz .LBB654_271
.LBB654_204:
	s_or_b64 exec, exec, s[42:43]
	s_and_saveexec_b64 s[42:43], s[8:9]
	s_cbranch_execnz .LBB654_272
.LBB654_205:
	s_or_b64 exec, exec, s[42:43]
	s_and_saveexec_b64 s[42:43], s[6:7]
	s_cbranch_execnz .LBB654_273
.LBB654_206:
	s_or_b64 exec, exec, s[42:43]
	s_and_saveexec_b64 s[42:43], s[4:5]
	s_cbranch_execz .LBB654_208
.LBB654_207:
	v_sub_u32_e32 v12, v22, v8
	v_mov_b32_e32 v13, 0
	v_lshlrev_b64 v[12:13], 1, v[12:13]
	v_add_co_u32_e32 v12, vcc, v7, v12
	v_addc_co_u32_e32 v13, vcc, v9, v13, vcc
	global_store_short v[12:13], v16, off
.LBB654_208:
	s_or_b64 exec, exec, s[42:43]
	s_and_b64 s[42:43], s[2:3], exec
	s_andn2_saveexec_b64 s[34:35], s[34:35]
	s_cbranch_execz .LBB654_134
.LBB654_209:
	v_sub_u32_e32 v12, v48, v8
	v_mov_b32_e32 v13, 0
	v_lshlrev_b64 v[70:71], 1, v[12:13]
	v_add_co_u32_e32 v70, vcc, v7, v70
	v_addc_co_u32_e32 v71, vcc, v9, v71, vcc
	v_sub_u32_e32 v12, v46, v8
	global_store_short v[70:71], v1, off
	v_lshlrev_b64 v[70:71], 1, v[12:13]
	v_add_co_u32_e32 v70, vcc, v7, v70
	v_addc_co_u32_e32 v71, vcc, v9, v71, vcc
	v_sub_u32_e32 v12, v44, v8
	global_store_short v[70:71], v2, off
	v_lshlrev_b64 v[70:71], 1, v[12:13]
	v_add_co_u32_e32 v70, vcc, v7, v70
	v_addc_co_u32_e32 v71, vcc, v9, v71, vcc
	v_sub_u32_e32 v12, v42, v8
	global_store_short_d16_hi v[70:71], v2, off
	v_lshlrev_b64 v[70:71], 1, v[12:13]
	v_add_co_u32_e32 v70, vcc, v7, v70
	v_addc_co_u32_e32 v71, vcc, v9, v71, vcc
	v_sub_u32_e32 v12, v40, v8
	global_store_short v[70:71], v3, off
	v_lshlrev_b64 v[70:71], 1, v[12:13]
	v_add_co_u32_e32 v70, vcc, v7, v70
	v_addc_co_u32_e32 v71, vcc, v9, v71, vcc
	v_sub_u32_e32 v12, v38, v8
	global_store_short_d16_hi v[70:71], v3, off
	;; [unrolled: 10-line block ×5, first 2 shown]
	v_lshlrev_b64 v[70:71], 1, v[12:13]
	v_add_co_u32_e32 v70, vcc, v7, v70
	v_addc_co_u32_e32 v71, vcc, v9, v71, vcc
	v_sub_u32_e32 v12, v24, v8
	global_store_short v[70:71], v15, off
	v_lshlrev_b64 v[70:71], 1, v[12:13]
	v_add_co_u32_e32 v70, vcc, v7, v70
	v_sub_u32_e32 v12, v22, v8
	v_addc_co_u32_e32 v71, vcc, v9, v71, vcc
	v_lshlrev_b64 v[12:13], 1, v[12:13]
	v_add_co_u32_e32 v12, vcc, v7, v12
	v_addc_co_u32_e32 v13, vcc, v9, v13, vcc
	s_or_b64 s[42:43], s[42:43], exec
	global_store_short_d16_hi v[70:71], v15, off
	global_store_short v[12:13], v16, off
	s_or_b64 exec, exec, s[34:35]
	s_and_b64 exec, exec, s[42:43]
	s_cbranch_execnz .LBB654_135
	s_branch .LBB654_136
.LBB654_210:
	s_and_saveexec_b64 s[42:43], s[30:31]
	s_cbranch_execnz .LBB654_274
; %bb.211:
	s_or_b64 exec, exec, s[42:43]
	s_and_saveexec_b64 s[30:31], s[28:29]
	s_cbranch_execnz .LBB654_275
.LBB654_212:
	s_or_b64 exec, exec, s[30:31]
	s_and_saveexec_b64 s[28:29], s[26:27]
	s_cbranch_execnz .LBB654_276
.LBB654_213:
	s_or_b64 exec, exec, s[28:29]
	s_and_saveexec_b64 s[26:27], s[24:25]
	s_cbranch_execnz .LBB654_277
.LBB654_214:
	s_or_b64 exec, exec, s[26:27]
	s_and_saveexec_b64 s[24:25], s[22:23]
	s_cbranch_execnz .LBB654_278
.LBB654_215:
	s_or_b64 exec, exec, s[24:25]
	s_and_saveexec_b64 s[22:23], s[20:21]
	s_cbranch_execnz .LBB654_279
.LBB654_216:
	s_or_b64 exec, exec, s[22:23]
	s_and_saveexec_b64 s[20:21], s[18:19]
	s_cbranch_execnz .LBB654_280
.LBB654_217:
	s_or_b64 exec, exec, s[20:21]
	s_and_saveexec_b64 s[18:19], s[16:17]
	s_cbranch_execnz .LBB654_281
.LBB654_218:
	s_or_b64 exec, exec, s[18:19]
	s_and_saveexec_b64 s[16:17], s[14:15]
	s_cbranch_execnz .LBB654_282
.LBB654_219:
	s_or_b64 exec, exec, s[16:17]
	s_and_saveexec_b64 s[14:15], s[12:13]
	s_cbranch_execnz .LBB654_283
.LBB654_220:
	s_or_b64 exec, exec, s[14:15]
	s_and_saveexec_b64 s[12:13], s[10:11]
	s_cbranch_execnz .LBB654_284
.LBB654_221:
	s_or_b64 exec, exec, s[12:13]
	s_and_saveexec_b64 s[10:11], s[8:9]
	s_cbranch_execnz .LBB654_285
.LBB654_222:
	s_or_b64 exec, exec, s[10:11]
	s_and_saveexec_b64 s[8:9], s[6:7]
	s_cbranch_execnz .LBB654_286
.LBB654_223:
	s_or_b64 exec, exec, s[8:9]
	s_and_saveexec_b64 s[6:7], s[4:5]
	s_cbranch_execz .LBB654_225
.LBB654_224:
	v_sub_u32_e32 v1, v22, v8
	v_lshlrev_b32_e32 v1, 1, v1
	ds_write_b16 v1, v16
.LBB654_225:
	s_or_b64 exec, exec, s[6:7]
	s_and_b64 s[42:43], s[2:3], exec
                                        ; implicit-def: $vgpr1
                                        ; implicit-def: $vgpr2
	s_andn2_saveexec_b64 s[2:3], s[40:41]
	s_cbranch_execz .LBB654_141
.LBB654_226:
	v_sub_u32_e32 v10, v48, v8
	v_lshlrev_b32_e32 v10, 1, v10
	ds_write_b16 v10, v1
	v_sub_u32_e32 v1, v46, v8
	v_lshlrev_b32_e32 v1, 1, v1
	ds_write_b16 v1, v2
	v_sub_u32_e32 v1, v44, v8
	v_lshlrev_b32_e32 v1, 1, v1
	ds_write_b16_d16_hi v1, v2
	v_sub_u32_e32 v1, v42, v8
	v_lshlrev_b32_e32 v1, 1, v1
	ds_write_b16 v1, v3
	v_sub_u32_e32 v1, v40, v8
	v_lshlrev_b32_e32 v1, 1, v1
	ds_write_b16_d16_hi v1, v3
	;; [unrolled: 6-line block ×6, first 2 shown]
	v_sub_u32_e32 v1, v22, v8
	v_lshlrev_b32_e32 v1, 1, v1
	s_or_b64 s[42:43], s[42:43], exec
	ds_write_b16 v1, v16
	s_or_b64 exec, exec, s[2:3]
	s_and_b64 exec, exec, s[42:43]
	s_cbranch_execnz .LBB654_142
	s_branch .LBB654_143
.LBB654_227:
	s_and_saveexec_b64 s[38:39], s[28:29]
	s_cbranch_execnz .LBB654_287
; %bb.228:
	s_or_b64 exec, exec, s[38:39]
	s_and_saveexec_b64 s[38:39], s[26:27]
	s_cbranch_execnz .LBB654_288
.LBB654_229:
	s_or_b64 exec, exec, s[38:39]
	s_and_saveexec_b64 s[38:39], s[24:25]
	s_cbranch_execnz .LBB654_289
.LBB654_230:
	s_or_b64 exec, exec, s[38:39]
	s_and_saveexec_b64 s[38:39], s[22:23]
	s_cbranch_execnz .LBB654_290
.LBB654_231:
	s_or_b64 exec, exec, s[38:39]
	s_and_saveexec_b64 s[38:39], s[20:21]
	s_cbranch_execnz .LBB654_291
.LBB654_232:
	s_or_b64 exec, exec, s[38:39]
	s_and_saveexec_b64 s[38:39], s[18:19]
	s_cbranch_execnz .LBB654_292
.LBB654_233:
	s_or_b64 exec, exec, s[38:39]
	s_and_saveexec_b64 s[38:39], s[16:17]
	s_cbranch_execnz .LBB654_293
.LBB654_234:
	s_or_b64 exec, exec, s[38:39]
	s_and_saveexec_b64 s[38:39], s[14:15]
	s_cbranch_execnz .LBB654_294
.LBB654_235:
	s_or_b64 exec, exec, s[38:39]
	s_and_saveexec_b64 s[38:39], s[12:13]
	s_cbranch_execnz .LBB654_295
.LBB654_236:
	s_or_b64 exec, exec, s[38:39]
	s_and_saveexec_b64 s[38:39], s[10:11]
	s_cbranch_execnz .LBB654_296
.LBB654_237:
	s_or_b64 exec, exec, s[38:39]
	s_and_saveexec_b64 s[38:39], s[8:9]
	s_cbranch_execnz .LBB654_297
.LBB654_238:
	s_or_b64 exec, exec, s[38:39]
	s_and_saveexec_b64 s[38:39], s[6:7]
	s_cbranch_execnz .LBB654_298
.LBB654_239:
	s_or_b64 exec, exec, s[38:39]
	s_and_saveexec_b64 s[38:39], s[4:5]
	s_cbranch_execnz .LBB654_299
.LBB654_240:
	s_or_b64 exec, exec, s[38:39]
	s_and_saveexec_b64 s[38:39], s[2:3]
	s_cbranch_execz .LBB654_242
.LBB654_241:
	v_sub_u32_e32 v10, v22, v3
	v_mov_b32_e32 v11, 0
	v_lshlrev_b64 v[10:11], 1, v[10:11]
	v_add_co_u32_e32 v10, vcc, v15, v10
	v_addc_co_u32_e32 v11, vcc, v16, v11, vcc
	global_store_short v[10:11], v23, off
.LBB654_242:
	s_or_b64 exec, exec, s[38:39]
	s_and_b64 s[38:39], s[0:1], exec
	s_andn2_saveexec_b64 s[30:31], s[30:31]
	s_cbranch_execz .LBB654_163
.LBB654_243:
	v_sub_u32_e32 v10, v48, v3
	v_mov_b32_e32 v11, 0
	v_lshlrev_b64 v[12:13], 1, v[10:11]
	v_add_co_u32_e32 v12, vcc, v15, v12
	v_addc_co_u32_e32 v13, vcc, v16, v13, vcc
	v_sub_u32_e32 v10, v46, v3
	global_store_short v[12:13], v49, off
	v_lshlrev_b64 v[12:13], 1, v[10:11]
	v_add_co_u32_e32 v12, vcc, v15, v12
	v_addc_co_u32_e32 v13, vcc, v16, v13, vcc
	v_sub_u32_e32 v10, v44, v3
	global_store_short v[12:13], v47, off
	;; [unrolled: 5-line block ×12, first 2 shown]
	v_lshlrev_b64 v[12:13], 1, v[10:11]
	v_add_co_u32_e32 v12, vcc, v15, v12
	v_sub_u32_e32 v10, v22, v3
	v_addc_co_u32_e32 v13, vcc, v16, v13, vcc
	v_lshlrev_b64 v[10:11], 1, v[10:11]
	v_add_co_u32_e32 v10, vcc, v15, v10
	v_addc_co_u32_e32 v11, vcc, v16, v11, vcc
	s_or_b64 s[38:39], s[38:39], exec
	global_store_short v[12:13], v25, off
	global_store_short v[10:11], v23, off
	s_or_b64 exec, exec, s[30:31]
	s_and_b64 exec, exec, s[38:39]
	s_cbranch_execnz .LBB654_164
	s_branch .LBB654_165
.LBB654_244:
	s_and_saveexec_b64 s[38:39], s[28:29]
	s_cbranch_execnz .LBB654_300
; %bb.245:
	s_or_b64 exec, exec, s[38:39]
	s_and_saveexec_b64 s[28:29], s[26:27]
	s_cbranch_execnz .LBB654_301
.LBB654_246:
	s_or_b64 exec, exec, s[28:29]
	s_and_saveexec_b64 s[26:27], s[24:25]
	s_cbranch_execnz .LBB654_302
.LBB654_247:
	s_or_b64 exec, exec, s[26:27]
	s_and_saveexec_b64 s[24:25], s[22:23]
	s_cbranch_execnz .LBB654_303
.LBB654_248:
	s_or_b64 exec, exec, s[24:25]
	s_and_saveexec_b64 s[22:23], s[20:21]
	s_cbranch_execnz .LBB654_304
.LBB654_249:
	s_or_b64 exec, exec, s[22:23]
	s_and_saveexec_b64 s[20:21], s[18:19]
	s_cbranch_execnz .LBB654_305
.LBB654_250:
	s_or_b64 exec, exec, s[20:21]
	s_and_saveexec_b64 s[18:19], s[16:17]
	s_cbranch_execnz .LBB654_306
.LBB654_251:
	s_or_b64 exec, exec, s[18:19]
	s_and_saveexec_b64 s[16:17], s[14:15]
	s_cbranch_execnz .LBB654_307
.LBB654_252:
	s_or_b64 exec, exec, s[16:17]
	s_and_saveexec_b64 s[14:15], s[12:13]
	s_cbranch_execnz .LBB654_308
.LBB654_253:
	s_or_b64 exec, exec, s[14:15]
	s_and_saveexec_b64 s[12:13], s[10:11]
	s_cbranch_execnz .LBB654_309
.LBB654_254:
	s_or_b64 exec, exec, s[12:13]
	s_and_saveexec_b64 s[10:11], s[8:9]
	s_cbranch_execnz .LBB654_310
.LBB654_255:
	s_or_b64 exec, exec, s[10:11]
	s_and_saveexec_b64 s[8:9], s[6:7]
	s_cbranch_execnz .LBB654_311
.LBB654_256:
	s_or_b64 exec, exec, s[8:9]
	s_and_saveexec_b64 s[6:7], s[4:5]
	s_cbranch_execnz .LBB654_312
.LBB654_257:
	s_or_b64 exec, exec, s[6:7]
	s_and_saveexec_b64 s[4:5], s[2:3]
	s_cbranch_execz .LBB654_259
.LBB654_258:
	v_sub_u32_e32 v4, v22, v3
	v_lshlrev_b32_e32 v4, 1, v4
	ds_write_b16 v4, v23
.LBB654_259:
	s_or_b64 exec, exec, s[4:5]
	s_and_b64 s[38:39], s[0:1], exec
                                        ; implicit-def: $vgpr48_vgpr49
                                        ; implicit-def: $vgpr46_vgpr47
                                        ; implicit-def: $vgpr44_vgpr45
                                        ; implicit-def: $vgpr42_vgpr43
                                        ; implicit-def: $vgpr40_vgpr41
                                        ; implicit-def: $vgpr38_vgpr39
                                        ; implicit-def: $vgpr36_vgpr37
                                        ; implicit-def: $vgpr34_vgpr35
                                        ; implicit-def: $vgpr32_vgpr33
                                        ; implicit-def: $vgpr30_vgpr31
                                        ; implicit-def: $vgpr28_vgpr29
                                        ; implicit-def: $vgpr26_vgpr27
                                        ; implicit-def: $vgpr24_vgpr25
                                        ; implicit-def: $vgpr22_vgpr23
	s_andn2_saveexec_b64 s[0:1], s[34:35]
	s_cbranch_execz .LBB654_170
.LBB654_260:
	v_sub_u32_e32 v4, v48, v3
	v_lshlrev_b32_e32 v4, 1, v4
	ds_write_b16 v4, v49
	v_sub_u32_e32 v4, v46, v3
	v_lshlrev_b32_e32 v4, 1, v4
	ds_write_b16 v4, v47
	;; [unrolled: 3-line block ×13, first 2 shown]
	v_sub_u32_e32 v4, v22, v3
	v_lshlrev_b32_e32 v4, 1, v4
	s_or_b64 s[38:39], s[38:39], exec
	ds_write_b16 v4, v23
	s_or_b64 exec, exec, s[0:1]
	s_and_b64 exec, exec, s[38:39]
	s_cbranch_execnz .LBB654_171
	s_branch .LBB654_172
.LBB654_261:
	v_sub_u32_e32 v12, v48, v8
	v_mov_b32_e32 v13, 0
	v_lshlrev_b64 v[12:13], 1, v[12:13]
	v_add_co_u32_e32 v12, vcc, v7, v12
	v_addc_co_u32_e32 v13, vcc, v9, v13, vcc
	global_store_short v[12:13], v1, off
	s_or_b64 exec, exec, s[42:43]
	s_and_saveexec_b64 s[42:43], s[28:29]
	s_cbranch_execz .LBB654_195
.LBB654_262:
	v_sub_u32_e32 v12, v46, v8
	v_mov_b32_e32 v13, 0
	v_lshlrev_b64 v[12:13], 1, v[12:13]
	v_add_co_u32_e32 v12, vcc, v7, v12
	v_addc_co_u32_e32 v13, vcc, v9, v13, vcc
	global_store_short v[12:13], v2, off
	s_or_b64 exec, exec, s[42:43]
	s_and_saveexec_b64 s[42:43], s[26:27]
	s_cbranch_execz .LBB654_196
.LBB654_263:
	v_sub_u32_e32 v12, v44, v8
	v_mov_b32_e32 v13, 0
	v_lshlrev_b64 v[12:13], 1, v[12:13]
	v_add_co_u32_e32 v12, vcc, v7, v12
	v_addc_co_u32_e32 v13, vcc, v9, v13, vcc
	global_store_short_d16_hi v[12:13], v2, off
	s_or_b64 exec, exec, s[42:43]
	s_and_saveexec_b64 s[42:43], s[24:25]
	s_cbranch_execz .LBB654_197
.LBB654_264:
	v_sub_u32_e32 v12, v42, v8
	v_mov_b32_e32 v13, 0
	v_lshlrev_b64 v[12:13], 1, v[12:13]
	v_add_co_u32_e32 v12, vcc, v7, v12
	v_addc_co_u32_e32 v13, vcc, v9, v13, vcc
	global_store_short v[12:13], v3, off
	s_or_b64 exec, exec, s[42:43]
	s_and_saveexec_b64 s[42:43], s[22:23]
	s_cbranch_execz .LBB654_198
.LBB654_265:
	v_sub_u32_e32 v12, v40, v8
	v_mov_b32_e32 v13, 0
	v_lshlrev_b64 v[12:13], 1, v[12:13]
	v_add_co_u32_e32 v12, vcc, v7, v12
	v_addc_co_u32_e32 v13, vcc, v9, v13, vcc
	global_store_short_d16_hi v[12:13], v3, off
	s_or_b64 exec, exec, s[42:43]
	s_and_saveexec_b64 s[42:43], s[20:21]
	s_cbranch_execz .LBB654_199
.LBB654_266:
	v_sub_u32_e32 v12, v38, v8
	v_mov_b32_e32 v13, 0
	v_lshlrev_b64 v[12:13], 1, v[12:13]
	v_add_co_u32_e32 v12, vcc, v7, v12
	v_addc_co_u32_e32 v13, vcc, v9, v13, vcc
	global_store_short v[12:13], v4, off
	s_or_b64 exec, exec, s[42:43]
	s_and_saveexec_b64 s[42:43], s[18:19]
	s_cbranch_execz .LBB654_200
.LBB654_267:
	v_sub_u32_e32 v12, v36, v8
	v_mov_b32_e32 v13, 0
	v_lshlrev_b64 v[12:13], 1, v[12:13]
	v_add_co_u32_e32 v12, vcc, v7, v12
	v_addc_co_u32_e32 v13, vcc, v9, v13, vcc
	global_store_short_d16_hi v[12:13], v4, off
	s_or_b64 exec, exec, s[42:43]
	s_and_saveexec_b64 s[42:43], s[16:17]
	s_cbranch_execz .LBB654_201
.LBB654_268:
	v_sub_u32_e32 v12, v34, v8
	v_mov_b32_e32 v13, 0
	v_lshlrev_b64 v[12:13], 1, v[12:13]
	v_add_co_u32_e32 v12, vcc, v7, v12
	v_addc_co_u32_e32 v13, vcc, v9, v13, vcc
	global_store_short v[12:13], v5, off
	s_or_b64 exec, exec, s[42:43]
	s_and_saveexec_b64 s[42:43], s[14:15]
	s_cbranch_execz .LBB654_202
.LBB654_269:
	v_sub_u32_e32 v12, v32, v8
	v_mov_b32_e32 v13, 0
	v_lshlrev_b64 v[12:13], 1, v[12:13]
	v_add_co_u32_e32 v12, vcc, v7, v12
	v_addc_co_u32_e32 v13, vcc, v9, v13, vcc
	global_store_short_d16_hi v[12:13], v5, off
	s_or_b64 exec, exec, s[42:43]
	s_and_saveexec_b64 s[42:43], s[12:13]
	s_cbranch_execz .LBB654_203
.LBB654_270:
	v_sub_u32_e32 v12, v30, v8
	v_mov_b32_e32 v13, 0
	v_lshlrev_b64 v[12:13], 1, v[12:13]
	v_add_co_u32_e32 v12, vcc, v7, v12
	v_addc_co_u32_e32 v13, vcc, v9, v13, vcc
	global_store_short v[12:13], v14, off
	s_or_b64 exec, exec, s[42:43]
	s_and_saveexec_b64 s[42:43], s[10:11]
	s_cbranch_execz .LBB654_204
.LBB654_271:
	v_sub_u32_e32 v12, v28, v8
	v_mov_b32_e32 v13, 0
	v_lshlrev_b64 v[12:13], 1, v[12:13]
	v_add_co_u32_e32 v12, vcc, v7, v12
	v_addc_co_u32_e32 v13, vcc, v9, v13, vcc
	global_store_short_d16_hi v[12:13], v14, off
	s_or_b64 exec, exec, s[42:43]
	s_and_saveexec_b64 s[42:43], s[8:9]
	s_cbranch_execz .LBB654_205
.LBB654_272:
	v_sub_u32_e32 v12, v26, v8
	v_mov_b32_e32 v13, 0
	v_lshlrev_b64 v[12:13], 1, v[12:13]
	v_add_co_u32_e32 v12, vcc, v7, v12
	v_addc_co_u32_e32 v13, vcc, v9, v13, vcc
	global_store_short v[12:13], v15, off
	s_or_b64 exec, exec, s[42:43]
	s_and_saveexec_b64 s[42:43], s[6:7]
	s_cbranch_execz .LBB654_206
.LBB654_273:
	v_sub_u32_e32 v12, v24, v8
	v_mov_b32_e32 v13, 0
	v_lshlrev_b64 v[12:13], 1, v[12:13]
	v_add_co_u32_e32 v12, vcc, v7, v12
	v_addc_co_u32_e32 v13, vcc, v9, v13, vcc
	global_store_short_d16_hi v[12:13], v15, off
	s_or_b64 exec, exec, s[42:43]
	s_and_saveexec_b64 s[42:43], s[4:5]
	s_cbranch_execnz .LBB654_207
	s_branch .LBB654_208
.LBB654_274:
	v_sub_u32_e32 v10, v48, v8
	v_lshlrev_b32_e32 v10, 1, v10
	ds_write_b16 v10, v1
	s_or_b64 exec, exec, s[42:43]
	s_and_saveexec_b64 s[30:31], s[28:29]
	s_cbranch_execz .LBB654_212
.LBB654_275:
	v_sub_u32_e32 v1, v46, v8
	v_lshlrev_b32_e32 v1, 1, v1
	ds_write_b16 v1, v2
	s_or_b64 exec, exec, s[30:31]
	s_and_saveexec_b64 s[28:29], s[26:27]
	s_cbranch_execz .LBB654_213
.LBB654_276:
	v_sub_u32_e32 v1, v44, v8
	v_lshlrev_b32_e32 v1, 1, v1
	ds_write_b16_d16_hi v1, v2
	s_or_b64 exec, exec, s[28:29]
	s_and_saveexec_b64 s[26:27], s[24:25]
	s_cbranch_execz .LBB654_214
.LBB654_277:
	v_sub_u32_e32 v1, v42, v8
	v_lshlrev_b32_e32 v1, 1, v1
	ds_write_b16 v1, v3
	s_or_b64 exec, exec, s[26:27]
	s_and_saveexec_b64 s[24:25], s[22:23]
	s_cbranch_execz .LBB654_215
.LBB654_278:
	v_sub_u32_e32 v1, v40, v8
	v_lshlrev_b32_e32 v1, 1, v1
	ds_write_b16_d16_hi v1, v3
	s_or_b64 exec, exec, s[24:25]
	s_and_saveexec_b64 s[22:23], s[20:21]
	s_cbranch_execz .LBB654_216
.LBB654_279:
	v_sub_u32_e32 v1, v38, v8
	v_lshlrev_b32_e32 v1, 1, v1
	ds_write_b16 v1, v4
	s_or_b64 exec, exec, s[22:23]
	s_and_saveexec_b64 s[20:21], s[18:19]
	s_cbranch_execz .LBB654_217
.LBB654_280:
	v_sub_u32_e32 v1, v36, v8
	v_lshlrev_b32_e32 v1, 1, v1
	ds_write_b16_d16_hi v1, v4
	s_or_b64 exec, exec, s[20:21]
	s_and_saveexec_b64 s[18:19], s[16:17]
	s_cbranch_execz .LBB654_218
.LBB654_281:
	v_sub_u32_e32 v1, v34, v8
	v_lshlrev_b32_e32 v1, 1, v1
	ds_write_b16 v1, v5
	s_or_b64 exec, exec, s[18:19]
	s_and_saveexec_b64 s[16:17], s[14:15]
	s_cbranch_execz .LBB654_219
.LBB654_282:
	v_sub_u32_e32 v1, v32, v8
	v_lshlrev_b32_e32 v1, 1, v1
	ds_write_b16_d16_hi v1, v5
	s_or_b64 exec, exec, s[16:17]
	s_and_saveexec_b64 s[14:15], s[12:13]
	s_cbranch_execz .LBB654_220
.LBB654_283:
	v_sub_u32_e32 v1, v30, v8
	v_lshlrev_b32_e32 v1, 1, v1
	ds_write_b16 v1, v14
	s_or_b64 exec, exec, s[14:15]
	s_and_saveexec_b64 s[12:13], s[10:11]
	s_cbranch_execz .LBB654_221
.LBB654_284:
	v_sub_u32_e32 v1, v28, v8
	v_lshlrev_b32_e32 v1, 1, v1
	ds_write_b16_d16_hi v1, v14
	s_or_b64 exec, exec, s[12:13]
	s_and_saveexec_b64 s[10:11], s[8:9]
	s_cbranch_execz .LBB654_222
.LBB654_285:
	v_sub_u32_e32 v1, v26, v8
	v_lshlrev_b32_e32 v1, 1, v1
	ds_write_b16 v1, v15
	s_or_b64 exec, exec, s[10:11]
	s_and_saveexec_b64 s[8:9], s[6:7]
	s_cbranch_execz .LBB654_223
.LBB654_286:
	v_sub_u32_e32 v1, v24, v8
	v_lshlrev_b32_e32 v1, 1, v1
	ds_write_b16_d16_hi v1, v15
	s_or_b64 exec, exec, s[8:9]
	s_and_saveexec_b64 s[6:7], s[4:5]
	s_cbranch_execnz .LBB654_224
	s_branch .LBB654_225
.LBB654_287:
	v_sub_u32_e32 v10, v48, v3
	v_mov_b32_e32 v11, 0
	v_lshlrev_b64 v[10:11], 1, v[10:11]
	v_add_co_u32_e32 v10, vcc, v15, v10
	v_addc_co_u32_e32 v11, vcc, v16, v11, vcc
	global_store_short v[10:11], v49, off
	s_or_b64 exec, exec, s[38:39]
	s_and_saveexec_b64 s[38:39], s[26:27]
	s_cbranch_execz .LBB654_229
.LBB654_288:
	v_sub_u32_e32 v10, v46, v3
	v_mov_b32_e32 v11, 0
	v_lshlrev_b64 v[10:11], 1, v[10:11]
	v_add_co_u32_e32 v10, vcc, v15, v10
	v_addc_co_u32_e32 v11, vcc, v16, v11, vcc
	global_store_short v[10:11], v47, off
	s_or_b64 exec, exec, s[38:39]
	s_and_saveexec_b64 s[38:39], s[24:25]
	s_cbranch_execz .LBB654_230
.LBB654_289:
	v_sub_u32_e32 v10, v44, v3
	v_mov_b32_e32 v11, 0
	v_lshlrev_b64 v[10:11], 1, v[10:11]
	v_add_co_u32_e32 v10, vcc, v15, v10
	v_addc_co_u32_e32 v11, vcc, v16, v11, vcc
	global_store_short v[10:11], v45, off
	s_or_b64 exec, exec, s[38:39]
	s_and_saveexec_b64 s[38:39], s[22:23]
	s_cbranch_execz .LBB654_231
.LBB654_290:
	v_sub_u32_e32 v10, v42, v3
	v_mov_b32_e32 v11, 0
	v_lshlrev_b64 v[10:11], 1, v[10:11]
	v_add_co_u32_e32 v10, vcc, v15, v10
	v_addc_co_u32_e32 v11, vcc, v16, v11, vcc
	global_store_short v[10:11], v43, off
	s_or_b64 exec, exec, s[38:39]
	s_and_saveexec_b64 s[38:39], s[20:21]
	s_cbranch_execz .LBB654_232
.LBB654_291:
	v_sub_u32_e32 v10, v40, v3
	v_mov_b32_e32 v11, 0
	v_lshlrev_b64 v[10:11], 1, v[10:11]
	v_add_co_u32_e32 v10, vcc, v15, v10
	v_addc_co_u32_e32 v11, vcc, v16, v11, vcc
	global_store_short v[10:11], v41, off
	s_or_b64 exec, exec, s[38:39]
	s_and_saveexec_b64 s[38:39], s[18:19]
	s_cbranch_execz .LBB654_233
.LBB654_292:
	v_sub_u32_e32 v10, v38, v3
	v_mov_b32_e32 v11, 0
	v_lshlrev_b64 v[10:11], 1, v[10:11]
	v_add_co_u32_e32 v10, vcc, v15, v10
	v_addc_co_u32_e32 v11, vcc, v16, v11, vcc
	global_store_short v[10:11], v39, off
	s_or_b64 exec, exec, s[38:39]
	s_and_saveexec_b64 s[38:39], s[16:17]
	s_cbranch_execz .LBB654_234
.LBB654_293:
	v_sub_u32_e32 v10, v36, v3
	v_mov_b32_e32 v11, 0
	v_lshlrev_b64 v[10:11], 1, v[10:11]
	v_add_co_u32_e32 v10, vcc, v15, v10
	v_addc_co_u32_e32 v11, vcc, v16, v11, vcc
	global_store_short v[10:11], v37, off
	s_or_b64 exec, exec, s[38:39]
	s_and_saveexec_b64 s[38:39], s[14:15]
	s_cbranch_execz .LBB654_235
.LBB654_294:
	v_sub_u32_e32 v10, v34, v3
	v_mov_b32_e32 v11, 0
	v_lshlrev_b64 v[10:11], 1, v[10:11]
	v_add_co_u32_e32 v10, vcc, v15, v10
	v_addc_co_u32_e32 v11, vcc, v16, v11, vcc
	global_store_short v[10:11], v35, off
	s_or_b64 exec, exec, s[38:39]
	s_and_saveexec_b64 s[38:39], s[12:13]
	s_cbranch_execz .LBB654_236
.LBB654_295:
	v_sub_u32_e32 v10, v32, v3
	v_mov_b32_e32 v11, 0
	v_lshlrev_b64 v[10:11], 1, v[10:11]
	v_add_co_u32_e32 v10, vcc, v15, v10
	v_addc_co_u32_e32 v11, vcc, v16, v11, vcc
	global_store_short v[10:11], v33, off
	s_or_b64 exec, exec, s[38:39]
	s_and_saveexec_b64 s[38:39], s[10:11]
	s_cbranch_execz .LBB654_237
.LBB654_296:
	v_sub_u32_e32 v10, v30, v3
	v_mov_b32_e32 v11, 0
	v_lshlrev_b64 v[10:11], 1, v[10:11]
	v_add_co_u32_e32 v10, vcc, v15, v10
	v_addc_co_u32_e32 v11, vcc, v16, v11, vcc
	global_store_short v[10:11], v31, off
	s_or_b64 exec, exec, s[38:39]
	s_and_saveexec_b64 s[38:39], s[8:9]
	s_cbranch_execz .LBB654_238
.LBB654_297:
	v_sub_u32_e32 v10, v28, v3
	v_mov_b32_e32 v11, 0
	v_lshlrev_b64 v[10:11], 1, v[10:11]
	v_add_co_u32_e32 v10, vcc, v15, v10
	v_addc_co_u32_e32 v11, vcc, v16, v11, vcc
	global_store_short v[10:11], v29, off
	s_or_b64 exec, exec, s[38:39]
	s_and_saveexec_b64 s[38:39], s[6:7]
	s_cbranch_execz .LBB654_239
.LBB654_298:
	v_sub_u32_e32 v10, v26, v3
	v_mov_b32_e32 v11, 0
	v_lshlrev_b64 v[10:11], 1, v[10:11]
	v_add_co_u32_e32 v10, vcc, v15, v10
	v_addc_co_u32_e32 v11, vcc, v16, v11, vcc
	global_store_short v[10:11], v27, off
	s_or_b64 exec, exec, s[38:39]
	s_and_saveexec_b64 s[38:39], s[4:5]
	s_cbranch_execz .LBB654_240
.LBB654_299:
	v_sub_u32_e32 v10, v24, v3
	v_mov_b32_e32 v11, 0
	v_lshlrev_b64 v[10:11], 1, v[10:11]
	v_add_co_u32_e32 v10, vcc, v15, v10
	v_addc_co_u32_e32 v11, vcc, v16, v11, vcc
	global_store_short v[10:11], v25, off
	s_or_b64 exec, exec, s[38:39]
	s_and_saveexec_b64 s[38:39], s[2:3]
	s_cbranch_execnz .LBB654_241
	s_branch .LBB654_242
.LBB654_300:
	v_sub_u32_e32 v4, v48, v3
	v_lshlrev_b32_e32 v4, 1, v4
	ds_write_b16 v4, v49
	s_or_b64 exec, exec, s[38:39]
	s_and_saveexec_b64 s[28:29], s[26:27]
	s_cbranch_execz .LBB654_246
.LBB654_301:
	v_sub_u32_e32 v4, v46, v3
	v_lshlrev_b32_e32 v4, 1, v4
	ds_write_b16 v4, v47
	s_or_b64 exec, exec, s[28:29]
	s_and_saveexec_b64 s[26:27], s[24:25]
	s_cbranch_execz .LBB654_247
.LBB654_302:
	v_sub_u32_e32 v4, v44, v3
	v_lshlrev_b32_e32 v4, 1, v4
	ds_write_b16 v4, v45
	s_or_b64 exec, exec, s[26:27]
	s_and_saveexec_b64 s[24:25], s[22:23]
	s_cbranch_execz .LBB654_248
.LBB654_303:
	v_sub_u32_e32 v4, v42, v3
	v_lshlrev_b32_e32 v4, 1, v4
	ds_write_b16 v4, v43
	s_or_b64 exec, exec, s[24:25]
	s_and_saveexec_b64 s[22:23], s[20:21]
	s_cbranch_execz .LBB654_249
.LBB654_304:
	v_sub_u32_e32 v4, v40, v3
	v_lshlrev_b32_e32 v4, 1, v4
	ds_write_b16 v4, v41
	s_or_b64 exec, exec, s[22:23]
	s_and_saveexec_b64 s[20:21], s[18:19]
	s_cbranch_execz .LBB654_250
.LBB654_305:
	v_sub_u32_e32 v4, v38, v3
	v_lshlrev_b32_e32 v4, 1, v4
	ds_write_b16 v4, v39
	s_or_b64 exec, exec, s[20:21]
	s_and_saveexec_b64 s[18:19], s[16:17]
	s_cbranch_execz .LBB654_251
.LBB654_306:
	v_sub_u32_e32 v4, v36, v3
	v_lshlrev_b32_e32 v4, 1, v4
	ds_write_b16 v4, v37
	s_or_b64 exec, exec, s[18:19]
	s_and_saveexec_b64 s[16:17], s[14:15]
	s_cbranch_execz .LBB654_252
.LBB654_307:
	v_sub_u32_e32 v4, v34, v3
	v_lshlrev_b32_e32 v4, 1, v4
	ds_write_b16 v4, v35
	s_or_b64 exec, exec, s[16:17]
	s_and_saveexec_b64 s[14:15], s[12:13]
	s_cbranch_execz .LBB654_253
.LBB654_308:
	v_sub_u32_e32 v4, v32, v3
	v_lshlrev_b32_e32 v4, 1, v4
	ds_write_b16 v4, v33
	s_or_b64 exec, exec, s[14:15]
	s_and_saveexec_b64 s[12:13], s[10:11]
	s_cbranch_execz .LBB654_254
.LBB654_309:
	v_sub_u32_e32 v4, v30, v3
	v_lshlrev_b32_e32 v4, 1, v4
	ds_write_b16 v4, v31
	s_or_b64 exec, exec, s[12:13]
	s_and_saveexec_b64 s[10:11], s[8:9]
	s_cbranch_execz .LBB654_255
.LBB654_310:
	v_sub_u32_e32 v4, v28, v3
	v_lshlrev_b32_e32 v4, 1, v4
	ds_write_b16 v4, v29
	s_or_b64 exec, exec, s[10:11]
	s_and_saveexec_b64 s[8:9], s[6:7]
	s_cbranch_execz .LBB654_256
.LBB654_311:
	v_sub_u32_e32 v4, v26, v3
	v_lshlrev_b32_e32 v4, 1, v4
	ds_write_b16 v4, v27
	s_or_b64 exec, exec, s[8:9]
	s_and_saveexec_b64 s[6:7], s[4:5]
	s_cbranch_execz .LBB654_257
.LBB654_312:
	v_sub_u32_e32 v4, v24, v3
	v_lshlrev_b32_e32 v4, 1, v4
	ds_write_b16 v4, v25
	s_or_b64 exec, exec, s[6:7]
	s_and_saveexec_b64 s[4:5], s[2:3]
	s_cbranch_execnz .LBB654_258
	s_branch .LBB654_259
	.section	.rodata,"a",@progbits
	.p2align	6, 0x0
	.amdhsa_kernel _ZN7rocprim17ROCPRIM_400000_NS6detail17trampoline_kernelINS0_14default_configENS1_29reduce_by_key_config_selectorIssN6thrust23THRUST_200600_302600_NS4plusIsEEEEZZNS1_33reduce_by_key_impl_wrapped_configILNS1_25lookback_scan_determinismE0ES3_S9_NS6_6detail15normal_iteratorINS6_10device_ptrIsEEEESG_SG_SG_PmS8_NS6_8equal_toIsEEEE10hipError_tPvRmT2_T3_mT4_T5_T6_T7_T8_P12ihipStream_tbENKUlT_T0_E_clISt17integral_constantIbLb0EES10_IbLb1EEEEDaSW_SX_EUlSW_E_NS1_11comp_targetILNS1_3genE4ELNS1_11target_archE910ELNS1_3gpuE8ELNS1_3repE0EEENS1_30default_config_static_selectorELNS0_4arch9wavefront6targetE1EEEvT1_
		.amdhsa_group_segment_fixed_size 7680
		.amdhsa_private_segment_fixed_size 0
		.amdhsa_kernarg_size 120
		.amdhsa_user_sgpr_count 6
		.amdhsa_user_sgpr_private_segment_buffer 1
		.amdhsa_user_sgpr_dispatch_ptr 0
		.amdhsa_user_sgpr_queue_ptr 0
		.amdhsa_user_sgpr_kernarg_segment_ptr 1
		.amdhsa_user_sgpr_dispatch_id 0
		.amdhsa_user_sgpr_flat_scratch_init 0
		.amdhsa_user_sgpr_kernarg_preload_length 0
		.amdhsa_user_sgpr_kernarg_preload_offset 0
		.amdhsa_user_sgpr_private_segment_size 0
		.amdhsa_uses_dynamic_stack 0
		.amdhsa_system_sgpr_private_segment_wavefront_offset 0
		.amdhsa_system_sgpr_workgroup_id_x 1
		.amdhsa_system_sgpr_workgroup_id_y 0
		.amdhsa_system_sgpr_workgroup_id_z 0
		.amdhsa_system_sgpr_workgroup_info 0
		.amdhsa_system_vgpr_workitem_id 0
		.amdhsa_next_free_vgpr 111
		.amdhsa_next_free_sgpr 66
		.amdhsa_accum_offset 112
		.amdhsa_reserve_vcc 1
		.amdhsa_reserve_flat_scratch 0
		.amdhsa_float_round_mode_32 0
		.amdhsa_float_round_mode_16_64 0
		.amdhsa_float_denorm_mode_32 3
		.amdhsa_float_denorm_mode_16_64 3
		.amdhsa_dx10_clamp 1
		.amdhsa_ieee_mode 1
		.amdhsa_fp16_overflow 0
		.amdhsa_tg_split 0
		.amdhsa_exception_fp_ieee_invalid_op 0
		.amdhsa_exception_fp_denorm_src 0
		.amdhsa_exception_fp_ieee_div_zero 0
		.amdhsa_exception_fp_ieee_overflow 0
		.amdhsa_exception_fp_ieee_underflow 0
		.amdhsa_exception_fp_ieee_inexact 0
		.amdhsa_exception_int_div_zero 0
	.end_amdhsa_kernel
	.section	.text._ZN7rocprim17ROCPRIM_400000_NS6detail17trampoline_kernelINS0_14default_configENS1_29reduce_by_key_config_selectorIssN6thrust23THRUST_200600_302600_NS4plusIsEEEEZZNS1_33reduce_by_key_impl_wrapped_configILNS1_25lookback_scan_determinismE0ES3_S9_NS6_6detail15normal_iteratorINS6_10device_ptrIsEEEESG_SG_SG_PmS8_NS6_8equal_toIsEEEE10hipError_tPvRmT2_T3_mT4_T5_T6_T7_T8_P12ihipStream_tbENKUlT_T0_E_clISt17integral_constantIbLb0EES10_IbLb1EEEEDaSW_SX_EUlSW_E_NS1_11comp_targetILNS1_3genE4ELNS1_11target_archE910ELNS1_3gpuE8ELNS1_3repE0EEENS1_30default_config_static_selectorELNS0_4arch9wavefront6targetE1EEEvT1_,"axG",@progbits,_ZN7rocprim17ROCPRIM_400000_NS6detail17trampoline_kernelINS0_14default_configENS1_29reduce_by_key_config_selectorIssN6thrust23THRUST_200600_302600_NS4plusIsEEEEZZNS1_33reduce_by_key_impl_wrapped_configILNS1_25lookback_scan_determinismE0ES3_S9_NS6_6detail15normal_iteratorINS6_10device_ptrIsEEEESG_SG_SG_PmS8_NS6_8equal_toIsEEEE10hipError_tPvRmT2_T3_mT4_T5_T6_T7_T8_P12ihipStream_tbENKUlT_T0_E_clISt17integral_constantIbLb0EES10_IbLb1EEEEDaSW_SX_EUlSW_E_NS1_11comp_targetILNS1_3genE4ELNS1_11target_archE910ELNS1_3gpuE8ELNS1_3repE0EEENS1_30default_config_static_selectorELNS0_4arch9wavefront6targetE1EEEvT1_,comdat
.Lfunc_end654:
	.size	_ZN7rocprim17ROCPRIM_400000_NS6detail17trampoline_kernelINS0_14default_configENS1_29reduce_by_key_config_selectorIssN6thrust23THRUST_200600_302600_NS4plusIsEEEEZZNS1_33reduce_by_key_impl_wrapped_configILNS1_25lookback_scan_determinismE0ES3_S9_NS6_6detail15normal_iteratorINS6_10device_ptrIsEEEESG_SG_SG_PmS8_NS6_8equal_toIsEEEE10hipError_tPvRmT2_T3_mT4_T5_T6_T7_T8_P12ihipStream_tbENKUlT_T0_E_clISt17integral_constantIbLb0EES10_IbLb1EEEEDaSW_SX_EUlSW_E_NS1_11comp_targetILNS1_3genE4ELNS1_11target_archE910ELNS1_3gpuE8ELNS1_3repE0EEENS1_30default_config_static_selectorELNS0_4arch9wavefront6targetE1EEEvT1_, .Lfunc_end654-_ZN7rocprim17ROCPRIM_400000_NS6detail17trampoline_kernelINS0_14default_configENS1_29reduce_by_key_config_selectorIssN6thrust23THRUST_200600_302600_NS4plusIsEEEEZZNS1_33reduce_by_key_impl_wrapped_configILNS1_25lookback_scan_determinismE0ES3_S9_NS6_6detail15normal_iteratorINS6_10device_ptrIsEEEESG_SG_SG_PmS8_NS6_8equal_toIsEEEE10hipError_tPvRmT2_T3_mT4_T5_T6_T7_T8_P12ihipStream_tbENKUlT_T0_E_clISt17integral_constantIbLb0EES10_IbLb1EEEEDaSW_SX_EUlSW_E_NS1_11comp_targetILNS1_3genE4ELNS1_11target_archE910ELNS1_3gpuE8ELNS1_3repE0EEENS1_30default_config_static_selectorELNS0_4arch9wavefront6targetE1EEEvT1_
                                        ; -- End function
	.section	.AMDGPU.csdata,"",@progbits
; Kernel info:
; codeLenInByte = 17924
; NumSgprs: 70
; NumVgprs: 111
; NumAgprs: 0
; TotalNumVgprs: 111
; ScratchSize: 0
; MemoryBound: 0
; FloatMode: 240
; IeeeMode: 1
; LDSByteSize: 7680 bytes/workgroup (compile time only)
; SGPRBlocks: 8
; VGPRBlocks: 13
; NumSGPRsForWavesPerEU: 70
; NumVGPRsForWavesPerEU: 111
; AccumOffset: 112
; Occupancy: 4
; WaveLimiterHint : 1
; COMPUTE_PGM_RSRC2:SCRATCH_EN: 0
; COMPUTE_PGM_RSRC2:USER_SGPR: 6
; COMPUTE_PGM_RSRC2:TRAP_HANDLER: 0
; COMPUTE_PGM_RSRC2:TGID_X_EN: 1
; COMPUTE_PGM_RSRC2:TGID_Y_EN: 0
; COMPUTE_PGM_RSRC2:TGID_Z_EN: 0
; COMPUTE_PGM_RSRC2:TIDIG_COMP_CNT: 0
; COMPUTE_PGM_RSRC3_GFX90A:ACCUM_OFFSET: 27
; COMPUTE_PGM_RSRC3_GFX90A:TG_SPLIT: 0
	.section	.text._ZN7rocprim17ROCPRIM_400000_NS6detail17trampoline_kernelINS0_14default_configENS1_29reduce_by_key_config_selectorIssN6thrust23THRUST_200600_302600_NS4plusIsEEEEZZNS1_33reduce_by_key_impl_wrapped_configILNS1_25lookback_scan_determinismE0ES3_S9_NS6_6detail15normal_iteratorINS6_10device_ptrIsEEEESG_SG_SG_PmS8_NS6_8equal_toIsEEEE10hipError_tPvRmT2_T3_mT4_T5_T6_T7_T8_P12ihipStream_tbENKUlT_T0_E_clISt17integral_constantIbLb0EES10_IbLb1EEEEDaSW_SX_EUlSW_E_NS1_11comp_targetILNS1_3genE3ELNS1_11target_archE908ELNS1_3gpuE7ELNS1_3repE0EEENS1_30default_config_static_selectorELNS0_4arch9wavefront6targetE1EEEvT1_,"axG",@progbits,_ZN7rocprim17ROCPRIM_400000_NS6detail17trampoline_kernelINS0_14default_configENS1_29reduce_by_key_config_selectorIssN6thrust23THRUST_200600_302600_NS4plusIsEEEEZZNS1_33reduce_by_key_impl_wrapped_configILNS1_25lookback_scan_determinismE0ES3_S9_NS6_6detail15normal_iteratorINS6_10device_ptrIsEEEESG_SG_SG_PmS8_NS6_8equal_toIsEEEE10hipError_tPvRmT2_T3_mT4_T5_T6_T7_T8_P12ihipStream_tbENKUlT_T0_E_clISt17integral_constantIbLb0EES10_IbLb1EEEEDaSW_SX_EUlSW_E_NS1_11comp_targetILNS1_3genE3ELNS1_11target_archE908ELNS1_3gpuE7ELNS1_3repE0EEENS1_30default_config_static_selectorELNS0_4arch9wavefront6targetE1EEEvT1_,comdat
	.protected	_ZN7rocprim17ROCPRIM_400000_NS6detail17trampoline_kernelINS0_14default_configENS1_29reduce_by_key_config_selectorIssN6thrust23THRUST_200600_302600_NS4plusIsEEEEZZNS1_33reduce_by_key_impl_wrapped_configILNS1_25lookback_scan_determinismE0ES3_S9_NS6_6detail15normal_iteratorINS6_10device_ptrIsEEEESG_SG_SG_PmS8_NS6_8equal_toIsEEEE10hipError_tPvRmT2_T3_mT4_T5_T6_T7_T8_P12ihipStream_tbENKUlT_T0_E_clISt17integral_constantIbLb0EES10_IbLb1EEEEDaSW_SX_EUlSW_E_NS1_11comp_targetILNS1_3genE3ELNS1_11target_archE908ELNS1_3gpuE7ELNS1_3repE0EEENS1_30default_config_static_selectorELNS0_4arch9wavefront6targetE1EEEvT1_ ; -- Begin function _ZN7rocprim17ROCPRIM_400000_NS6detail17trampoline_kernelINS0_14default_configENS1_29reduce_by_key_config_selectorIssN6thrust23THRUST_200600_302600_NS4plusIsEEEEZZNS1_33reduce_by_key_impl_wrapped_configILNS1_25lookback_scan_determinismE0ES3_S9_NS6_6detail15normal_iteratorINS6_10device_ptrIsEEEESG_SG_SG_PmS8_NS6_8equal_toIsEEEE10hipError_tPvRmT2_T3_mT4_T5_T6_T7_T8_P12ihipStream_tbENKUlT_T0_E_clISt17integral_constantIbLb0EES10_IbLb1EEEEDaSW_SX_EUlSW_E_NS1_11comp_targetILNS1_3genE3ELNS1_11target_archE908ELNS1_3gpuE7ELNS1_3repE0EEENS1_30default_config_static_selectorELNS0_4arch9wavefront6targetE1EEEvT1_
	.globl	_ZN7rocprim17ROCPRIM_400000_NS6detail17trampoline_kernelINS0_14default_configENS1_29reduce_by_key_config_selectorIssN6thrust23THRUST_200600_302600_NS4plusIsEEEEZZNS1_33reduce_by_key_impl_wrapped_configILNS1_25lookback_scan_determinismE0ES3_S9_NS6_6detail15normal_iteratorINS6_10device_ptrIsEEEESG_SG_SG_PmS8_NS6_8equal_toIsEEEE10hipError_tPvRmT2_T3_mT4_T5_T6_T7_T8_P12ihipStream_tbENKUlT_T0_E_clISt17integral_constantIbLb0EES10_IbLb1EEEEDaSW_SX_EUlSW_E_NS1_11comp_targetILNS1_3genE3ELNS1_11target_archE908ELNS1_3gpuE7ELNS1_3repE0EEENS1_30default_config_static_selectorELNS0_4arch9wavefront6targetE1EEEvT1_
	.p2align	8
	.type	_ZN7rocprim17ROCPRIM_400000_NS6detail17trampoline_kernelINS0_14default_configENS1_29reduce_by_key_config_selectorIssN6thrust23THRUST_200600_302600_NS4plusIsEEEEZZNS1_33reduce_by_key_impl_wrapped_configILNS1_25lookback_scan_determinismE0ES3_S9_NS6_6detail15normal_iteratorINS6_10device_ptrIsEEEESG_SG_SG_PmS8_NS6_8equal_toIsEEEE10hipError_tPvRmT2_T3_mT4_T5_T6_T7_T8_P12ihipStream_tbENKUlT_T0_E_clISt17integral_constantIbLb0EES10_IbLb1EEEEDaSW_SX_EUlSW_E_NS1_11comp_targetILNS1_3genE3ELNS1_11target_archE908ELNS1_3gpuE7ELNS1_3repE0EEENS1_30default_config_static_selectorELNS0_4arch9wavefront6targetE1EEEvT1_,@function
_ZN7rocprim17ROCPRIM_400000_NS6detail17trampoline_kernelINS0_14default_configENS1_29reduce_by_key_config_selectorIssN6thrust23THRUST_200600_302600_NS4plusIsEEEEZZNS1_33reduce_by_key_impl_wrapped_configILNS1_25lookback_scan_determinismE0ES3_S9_NS6_6detail15normal_iteratorINS6_10device_ptrIsEEEESG_SG_SG_PmS8_NS6_8equal_toIsEEEE10hipError_tPvRmT2_T3_mT4_T5_T6_T7_T8_P12ihipStream_tbENKUlT_T0_E_clISt17integral_constantIbLb0EES10_IbLb1EEEEDaSW_SX_EUlSW_E_NS1_11comp_targetILNS1_3genE3ELNS1_11target_archE908ELNS1_3gpuE7ELNS1_3repE0EEENS1_30default_config_static_selectorELNS0_4arch9wavefront6targetE1EEEvT1_: ; @_ZN7rocprim17ROCPRIM_400000_NS6detail17trampoline_kernelINS0_14default_configENS1_29reduce_by_key_config_selectorIssN6thrust23THRUST_200600_302600_NS4plusIsEEEEZZNS1_33reduce_by_key_impl_wrapped_configILNS1_25lookback_scan_determinismE0ES3_S9_NS6_6detail15normal_iteratorINS6_10device_ptrIsEEEESG_SG_SG_PmS8_NS6_8equal_toIsEEEE10hipError_tPvRmT2_T3_mT4_T5_T6_T7_T8_P12ihipStream_tbENKUlT_T0_E_clISt17integral_constantIbLb0EES10_IbLb1EEEEDaSW_SX_EUlSW_E_NS1_11comp_targetILNS1_3genE3ELNS1_11target_archE908ELNS1_3gpuE7ELNS1_3repE0EEENS1_30default_config_static_selectorELNS0_4arch9wavefront6targetE1EEEvT1_
; %bb.0:
	.section	.rodata,"a",@progbits
	.p2align	6, 0x0
	.amdhsa_kernel _ZN7rocprim17ROCPRIM_400000_NS6detail17trampoline_kernelINS0_14default_configENS1_29reduce_by_key_config_selectorIssN6thrust23THRUST_200600_302600_NS4plusIsEEEEZZNS1_33reduce_by_key_impl_wrapped_configILNS1_25lookback_scan_determinismE0ES3_S9_NS6_6detail15normal_iteratorINS6_10device_ptrIsEEEESG_SG_SG_PmS8_NS6_8equal_toIsEEEE10hipError_tPvRmT2_T3_mT4_T5_T6_T7_T8_P12ihipStream_tbENKUlT_T0_E_clISt17integral_constantIbLb0EES10_IbLb1EEEEDaSW_SX_EUlSW_E_NS1_11comp_targetILNS1_3genE3ELNS1_11target_archE908ELNS1_3gpuE7ELNS1_3repE0EEENS1_30default_config_static_selectorELNS0_4arch9wavefront6targetE1EEEvT1_
		.amdhsa_group_segment_fixed_size 0
		.amdhsa_private_segment_fixed_size 0
		.amdhsa_kernarg_size 120
		.amdhsa_user_sgpr_count 6
		.amdhsa_user_sgpr_private_segment_buffer 1
		.amdhsa_user_sgpr_dispatch_ptr 0
		.amdhsa_user_sgpr_queue_ptr 0
		.amdhsa_user_sgpr_kernarg_segment_ptr 1
		.amdhsa_user_sgpr_dispatch_id 0
		.amdhsa_user_sgpr_flat_scratch_init 0
		.amdhsa_user_sgpr_kernarg_preload_length 0
		.amdhsa_user_sgpr_kernarg_preload_offset 0
		.amdhsa_user_sgpr_private_segment_size 0
		.amdhsa_uses_dynamic_stack 0
		.amdhsa_system_sgpr_private_segment_wavefront_offset 0
		.amdhsa_system_sgpr_workgroup_id_x 1
		.amdhsa_system_sgpr_workgroup_id_y 0
		.amdhsa_system_sgpr_workgroup_id_z 0
		.amdhsa_system_sgpr_workgroup_info 0
		.amdhsa_system_vgpr_workitem_id 0
		.amdhsa_next_free_vgpr 1
		.amdhsa_next_free_sgpr 0
		.amdhsa_accum_offset 4
		.amdhsa_reserve_vcc 0
		.amdhsa_reserve_flat_scratch 0
		.amdhsa_float_round_mode_32 0
		.amdhsa_float_round_mode_16_64 0
		.amdhsa_float_denorm_mode_32 3
		.amdhsa_float_denorm_mode_16_64 3
		.amdhsa_dx10_clamp 1
		.amdhsa_ieee_mode 1
		.amdhsa_fp16_overflow 0
		.amdhsa_tg_split 0
		.amdhsa_exception_fp_ieee_invalid_op 0
		.amdhsa_exception_fp_denorm_src 0
		.amdhsa_exception_fp_ieee_div_zero 0
		.amdhsa_exception_fp_ieee_overflow 0
		.amdhsa_exception_fp_ieee_underflow 0
		.amdhsa_exception_fp_ieee_inexact 0
		.amdhsa_exception_int_div_zero 0
	.end_amdhsa_kernel
	.section	.text._ZN7rocprim17ROCPRIM_400000_NS6detail17trampoline_kernelINS0_14default_configENS1_29reduce_by_key_config_selectorIssN6thrust23THRUST_200600_302600_NS4plusIsEEEEZZNS1_33reduce_by_key_impl_wrapped_configILNS1_25lookback_scan_determinismE0ES3_S9_NS6_6detail15normal_iteratorINS6_10device_ptrIsEEEESG_SG_SG_PmS8_NS6_8equal_toIsEEEE10hipError_tPvRmT2_T3_mT4_T5_T6_T7_T8_P12ihipStream_tbENKUlT_T0_E_clISt17integral_constantIbLb0EES10_IbLb1EEEEDaSW_SX_EUlSW_E_NS1_11comp_targetILNS1_3genE3ELNS1_11target_archE908ELNS1_3gpuE7ELNS1_3repE0EEENS1_30default_config_static_selectorELNS0_4arch9wavefront6targetE1EEEvT1_,"axG",@progbits,_ZN7rocprim17ROCPRIM_400000_NS6detail17trampoline_kernelINS0_14default_configENS1_29reduce_by_key_config_selectorIssN6thrust23THRUST_200600_302600_NS4plusIsEEEEZZNS1_33reduce_by_key_impl_wrapped_configILNS1_25lookback_scan_determinismE0ES3_S9_NS6_6detail15normal_iteratorINS6_10device_ptrIsEEEESG_SG_SG_PmS8_NS6_8equal_toIsEEEE10hipError_tPvRmT2_T3_mT4_T5_T6_T7_T8_P12ihipStream_tbENKUlT_T0_E_clISt17integral_constantIbLb0EES10_IbLb1EEEEDaSW_SX_EUlSW_E_NS1_11comp_targetILNS1_3genE3ELNS1_11target_archE908ELNS1_3gpuE7ELNS1_3repE0EEENS1_30default_config_static_selectorELNS0_4arch9wavefront6targetE1EEEvT1_,comdat
.Lfunc_end655:
	.size	_ZN7rocprim17ROCPRIM_400000_NS6detail17trampoline_kernelINS0_14default_configENS1_29reduce_by_key_config_selectorIssN6thrust23THRUST_200600_302600_NS4plusIsEEEEZZNS1_33reduce_by_key_impl_wrapped_configILNS1_25lookback_scan_determinismE0ES3_S9_NS6_6detail15normal_iteratorINS6_10device_ptrIsEEEESG_SG_SG_PmS8_NS6_8equal_toIsEEEE10hipError_tPvRmT2_T3_mT4_T5_T6_T7_T8_P12ihipStream_tbENKUlT_T0_E_clISt17integral_constantIbLb0EES10_IbLb1EEEEDaSW_SX_EUlSW_E_NS1_11comp_targetILNS1_3genE3ELNS1_11target_archE908ELNS1_3gpuE7ELNS1_3repE0EEENS1_30default_config_static_selectorELNS0_4arch9wavefront6targetE1EEEvT1_, .Lfunc_end655-_ZN7rocprim17ROCPRIM_400000_NS6detail17trampoline_kernelINS0_14default_configENS1_29reduce_by_key_config_selectorIssN6thrust23THRUST_200600_302600_NS4plusIsEEEEZZNS1_33reduce_by_key_impl_wrapped_configILNS1_25lookback_scan_determinismE0ES3_S9_NS6_6detail15normal_iteratorINS6_10device_ptrIsEEEESG_SG_SG_PmS8_NS6_8equal_toIsEEEE10hipError_tPvRmT2_T3_mT4_T5_T6_T7_T8_P12ihipStream_tbENKUlT_T0_E_clISt17integral_constantIbLb0EES10_IbLb1EEEEDaSW_SX_EUlSW_E_NS1_11comp_targetILNS1_3genE3ELNS1_11target_archE908ELNS1_3gpuE7ELNS1_3repE0EEENS1_30default_config_static_selectorELNS0_4arch9wavefront6targetE1EEEvT1_
                                        ; -- End function
	.section	.AMDGPU.csdata,"",@progbits
; Kernel info:
; codeLenInByte = 0
; NumSgprs: 4
; NumVgprs: 0
; NumAgprs: 0
; TotalNumVgprs: 0
; ScratchSize: 0
; MemoryBound: 0
; FloatMode: 240
; IeeeMode: 1
; LDSByteSize: 0 bytes/workgroup (compile time only)
; SGPRBlocks: 0
; VGPRBlocks: 0
; NumSGPRsForWavesPerEU: 4
; NumVGPRsForWavesPerEU: 1
; AccumOffset: 4
; Occupancy: 8
; WaveLimiterHint : 0
; COMPUTE_PGM_RSRC2:SCRATCH_EN: 0
; COMPUTE_PGM_RSRC2:USER_SGPR: 6
; COMPUTE_PGM_RSRC2:TRAP_HANDLER: 0
; COMPUTE_PGM_RSRC2:TGID_X_EN: 1
; COMPUTE_PGM_RSRC2:TGID_Y_EN: 0
; COMPUTE_PGM_RSRC2:TGID_Z_EN: 0
; COMPUTE_PGM_RSRC2:TIDIG_COMP_CNT: 0
; COMPUTE_PGM_RSRC3_GFX90A:ACCUM_OFFSET: 0
; COMPUTE_PGM_RSRC3_GFX90A:TG_SPLIT: 0
	.section	.text._ZN7rocprim17ROCPRIM_400000_NS6detail17trampoline_kernelINS0_14default_configENS1_29reduce_by_key_config_selectorIssN6thrust23THRUST_200600_302600_NS4plusIsEEEEZZNS1_33reduce_by_key_impl_wrapped_configILNS1_25lookback_scan_determinismE0ES3_S9_NS6_6detail15normal_iteratorINS6_10device_ptrIsEEEESG_SG_SG_PmS8_NS6_8equal_toIsEEEE10hipError_tPvRmT2_T3_mT4_T5_T6_T7_T8_P12ihipStream_tbENKUlT_T0_E_clISt17integral_constantIbLb0EES10_IbLb1EEEEDaSW_SX_EUlSW_E_NS1_11comp_targetILNS1_3genE2ELNS1_11target_archE906ELNS1_3gpuE6ELNS1_3repE0EEENS1_30default_config_static_selectorELNS0_4arch9wavefront6targetE1EEEvT1_,"axG",@progbits,_ZN7rocprim17ROCPRIM_400000_NS6detail17trampoline_kernelINS0_14default_configENS1_29reduce_by_key_config_selectorIssN6thrust23THRUST_200600_302600_NS4plusIsEEEEZZNS1_33reduce_by_key_impl_wrapped_configILNS1_25lookback_scan_determinismE0ES3_S9_NS6_6detail15normal_iteratorINS6_10device_ptrIsEEEESG_SG_SG_PmS8_NS6_8equal_toIsEEEE10hipError_tPvRmT2_T3_mT4_T5_T6_T7_T8_P12ihipStream_tbENKUlT_T0_E_clISt17integral_constantIbLb0EES10_IbLb1EEEEDaSW_SX_EUlSW_E_NS1_11comp_targetILNS1_3genE2ELNS1_11target_archE906ELNS1_3gpuE6ELNS1_3repE0EEENS1_30default_config_static_selectorELNS0_4arch9wavefront6targetE1EEEvT1_,comdat
	.protected	_ZN7rocprim17ROCPRIM_400000_NS6detail17trampoline_kernelINS0_14default_configENS1_29reduce_by_key_config_selectorIssN6thrust23THRUST_200600_302600_NS4plusIsEEEEZZNS1_33reduce_by_key_impl_wrapped_configILNS1_25lookback_scan_determinismE0ES3_S9_NS6_6detail15normal_iteratorINS6_10device_ptrIsEEEESG_SG_SG_PmS8_NS6_8equal_toIsEEEE10hipError_tPvRmT2_T3_mT4_T5_T6_T7_T8_P12ihipStream_tbENKUlT_T0_E_clISt17integral_constantIbLb0EES10_IbLb1EEEEDaSW_SX_EUlSW_E_NS1_11comp_targetILNS1_3genE2ELNS1_11target_archE906ELNS1_3gpuE6ELNS1_3repE0EEENS1_30default_config_static_selectorELNS0_4arch9wavefront6targetE1EEEvT1_ ; -- Begin function _ZN7rocprim17ROCPRIM_400000_NS6detail17trampoline_kernelINS0_14default_configENS1_29reduce_by_key_config_selectorIssN6thrust23THRUST_200600_302600_NS4plusIsEEEEZZNS1_33reduce_by_key_impl_wrapped_configILNS1_25lookback_scan_determinismE0ES3_S9_NS6_6detail15normal_iteratorINS6_10device_ptrIsEEEESG_SG_SG_PmS8_NS6_8equal_toIsEEEE10hipError_tPvRmT2_T3_mT4_T5_T6_T7_T8_P12ihipStream_tbENKUlT_T0_E_clISt17integral_constantIbLb0EES10_IbLb1EEEEDaSW_SX_EUlSW_E_NS1_11comp_targetILNS1_3genE2ELNS1_11target_archE906ELNS1_3gpuE6ELNS1_3repE0EEENS1_30default_config_static_selectorELNS0_4arch9wavefront6targetE1EEEvT1_
	.globl	_ZN7rocprim17ROCPRIM_400000_NS6detail17trampoline_kernelINS0_14default_configENS1_29reduce_by_key_config_selectorIssN6thrust23THRUST_200600_302600_NS4plusIsEEEEZZNS1_33reduce_by_key_impl_wrapped_configILNS1_25lookback_scan_determinismE0ES3_S9_NS6_6detail15normal_iteratorINS6_10device_ptrIsEEEESG_SG_SG_PmS8_NS6_8equal_toIsEEEE10hipError_tPvRmT2_T3_mT4_T5_T6_T7_T8_P12ihipStream_tbENKUlT_T0_E_clISt17integral_constantIbLb0EES10_IbLb1EEEEDaSW_SX_EUlSW_E_NS1_11comp_targetILNS1_3genE2ELNS1_11target_archE906ELNS1_3gpuE6ELNS1_3repE0EEENS1_30default_config_static_selectorELNS0_4arch9wavefront6targetE1EEEvT1_
	.p2align	8
	.type	_ZN7rocprim17ROCPRIM_400000_NS6detail17trampoline_kernelINS0_14default_configENS1_29reduce_by_key_config_selectorIssN6thrust23THRUST_200600_302600_NS4plusIsEEEEZZNS1_33reduce_by_key_impl_wrapped_configILNS1_25lookback_scan_determinismE0ES3_S9_NS6_6detail15normal_iteratorINS6_10device_ptrIsEEEESG_SG_SG_PmS8_NS6_8equal_toIsEEEE10hipError_tPvRmT2_T3_mT4_T5_T6_T7_T8_P12ihipStream_tbENKUlT_T0_E_clISt17integral_constantIbLb0EES10_IbLb1EEEEDaSW_SX_EUlSW_E_NS1_11comp_targetILNS1_3genE2ELNS1_11target_archE906ELNS1_3gpuE6ELNS1_3repE0EEENS1_30default_config_static_selectorELNS0_4arch9wavefront6targetE1EEEvT1_,@function
_ZN7rocprim17ROCPRIM_400000_NS6detail17trampoline_kernelINS0_14default_configENS1_29reduce_by_key_config_selectorIssN6thrust23THRUST_200600_302600_NS4plusIsEEEEZZNS1_33reduce_by_key_impl_wrapped_configILNS1_25lookback_scan_determinismE0ES3_S9_NS6_6detail15normal_iteratorINS6_10device_ptrIsEEEESG_SG_SG_PmS8_NS6_8equal_toIsEEEE10hipError_tPvRmT2_T3_mT4_T5_T6_T7_T8_P12ihipStream_tbENKUlT_T0_E_clISt17integral_constantIbLb0EES10_IbLb1EEEEDaSW_SX_EUlSW_E_NS1_11comp_targetILNS1_3genE2ELNS1_11target_archE906ELNS1_3gpuE6ELNS1_3repE0EEENS1_30default_config_static_selectorELNS0_4arch9wavefront6targetE1EEEvT1_: ; @_ZN7rocprim17ROCPRIM_400000_NS6detail17trampoline_kernelINS0_14default_configENS1_29reduce_by_key_config_selectorIssN6thrust23THRUST_200600_302600_NS4plusIsEEEEZZNS1_33reduce_by_key_impl_wrapped_configILNS1_25lookback_scan_determinismE0ES3_S9_NS6_6detail15normal_iteratorINS6_10device_ptrIsEEEESG_SG_SG_PmS8_NS6_8equal_toIsEEEE10hipError_tPvRmT2_T3_mT4_T5_T6_T7_T8_P12ihipStream_tbENKUlT_T0_E_clISt17integral_constantIbLb0EES10_IbLb1EEEEDaSW_SX_EUlSW_E_NS1_11comp_targetILNS1_3genE2ELNS1_11target_archE906ELNS1_3gpuE6ELNS1_3repE0EEENS1_30default_config_static_selectorELNS0_4arch9wavefront6targetE1EEEvT1_
; %bb.0:
	.section	.rodata,"a",@progbits
	.p2align	6, 0x0
	.amdhsa_kernel _ZN7rocprim17ROCPRIM_400000_NS6detail17trampoline_kernelINS0_14default_configENS1_29reduce_by_key_config_selectorIssN6thrust23THRUST_200600_302600_NS4plusIsEEEEZZNS1_33reduce_by_key_impl_wrapped_configILNS1_25lookback_scan_determinismE0ES3_S9_NS6_6detail15normal_iteratorINS6_10device_ptrIsEEEESG_SG_SG_PmS8_NS6_8equal_toIsEEEE10hipError_tPvRmT2_T3_mT4_T5_T6_T7_T8_P12ihipStream_tbENKUlT_T0_E_clISt17integral_constantIbLb0EES10_IbLb1EEEEDaSW_SX_EUlSW_E_NS1_11comp_targetILNS1_3genE2ELNS1_11target_archE906ELNS1_3gpuE6ELNS1_3repE0EEENS1_30default_config_static_selectorELNS0_4arch9wavefront6targetE1EEEvT1_
		.amdhsa_group_segment_fixed_size 0
		.amdhsa_private_segment_fixed_size 0
		.amdhsa_kernarg_size 120
		.amdhsa_user_sgpr_count 6
		.amdhsa_user_sgpr_private_segment_buffer 1
		.amdhsa_user_sgpr_dispatch_ptr 0
		.amdhsa_user_sgpr_queue_ptr 0
		.amdhsa_user_sgpr_kernarg_segment_ptr 1
		.amdhsa_user_sgpr_dispatch_id 0
		.amdhsa_user_sgpr_flat_scratch_init 0
		.amdhsa_user_sgpr_kernarg_preload_length 0
		.amdhsa_user_sgpr_kernarg_preload_offset 0
		.amdhsa_user_sgpr_private_segment_size 0
		.amdhsa_uses_dynamic_stack 0
		.amdhsa_system_sgpr_private_segment_wavefront_offset 0
		.amdhsa_system_sgpr_workgroup_id_x 1
		.amdhsa_system_sgpr_workgroup_id_y 0
		.amdhsa_system_sgpr_workgroup_id_z 0
		.amdhsa_system_sgpr_workgroup_info 0
		.amdhsa_system_vgpr_workitem_id 0
		.amdhsa_next_free_vgpr 1
		.amdhsa_next_free_sgpr 0
		.amdhsa_accum_offset 4
		.amdhsa_reserve_vcc 0
		.amdhsa_reserve_flat_scratch 0
		.amdhsa_float_round_mode_32 0
		.amdhsa_float_round_mode_16_64 0
		.amdhsa_float_denorm_mode_32 3
		.amdhsa_float_denorm_mode_16_64 3
		.amdhsa_dx10_clamp 1
		.amdhsa_ieee_mode 1
		.amdhsa_fp16_overflow 0
		.amdhsa_tg_split 0
		.amdhsa_exception_fp_ieee_invalid_op 0
		.amdhsa_exception_fp_denorm_src 0
		.amdhsa_exception_fp_ieee_div_zero 0
		.amdhsa_exception_fp_ieee_overflow 0
		.amdhsa_exception_fp_ieee_underflow 0
		.amdhsa_exception_fp_ieee_inexact 0
		.amdhsa_exception_int_div_zero 0
	.end_amdhsa_kernel
	.section	.text._ZN7rocprim17ROCPRIM_400000_NS6detail17trampoline_kernelINS0_14default_configENS1_29reduce_by_key_config_selectorIssN6thrust23THRUST_200600_302600_NS4plusIsEEEEZZNS1_33reduce_by_key_impl_wrapped_configILNS1_25lookback_scan_determinismE0ES3_S9_NS6_6detail15normal_iteratorINS6_10device_ptrIsEEEESG_SG_SG_PmS8_NS6_8equal_toIsEEEE10hipError_tPvRmT2_T3_mT4_T5_T6_T7_T8_P12ihipStream_tbENKUlT_T0_E_clISt17integral_constantIbLb0EES10_IbLb1EEEEDaSW_SX_EUlSW_E_NS1_11comp_targetILNS1_3genE2ELNS1_11target_archE906ELNS1_3gpuE6ELNS1_3repE0EEENS1_30default_config_static_selectorELNS0_4arch9wavefront6targetE1EEEvT1_,"axG",@progbits,_ZN7rocprim17ROCPRIM_400000_NS6detail17trampoline_kernelINS0_14default_configENS1_29reduce_by_key_config_selectorIssN6thrust23THRUST_200600_302600_NS4plusIsEEEEZZNS1_33reduce_by_key_impl_wrapped_configILNS1_25lookback_scan_determinismE0ES3_S9_NS6_6detail15normal_iteratorINS6_10device_ptrIsEEEESG_SG_SG_PmS8_NS6_8equal_toIsEEEE10hipError_tPvRmT2_T3_mT4_T5_T6_T7_T8_P12ihipStream_tbENKUlT_T0_E_clISt17integral_constantIbLb0EES10_IbLb1EEEEDaSW_SX_EUlSW_E_NS1_11comp_targetILNS1_3genE2ELNS1_11target_archE906ELNS1_3gpuE6ELNS1_3repE0EEENS1_30default_config_static_selectorELNS0_4arch9wavefront6targetE1EEEvT1_,comdat
.Lfunc_end656:
	.size	_ZN7rocprim17ROCPRIM_400000_NS6detail17trampoline_kernelINS0_14default_configENS1_29reduce_by_key_config_selectorIssN6thrust23THRUST_200600_302600_NS4plusIsEEEEZZNS1_33reduce_by_key_impl_wrapped_configILNS1_25lookback_scan_determinismE0ES3_S9_NS6_6detail15normal_iteratorINS6_10device_ptrIsEEEESG_SG_SG_PmS8_NS6_8equal_toIsEEEE10hipError_tPvRmT2_T3_mT4_T5_T6_T7_T8_P12ihipStream_tbENKUlT_T0_E_clISt17integral_constantIbLb0EES10_IbLb1EEEEDaSW_SX_EUlSW_E_NS1_11comp_targetILNS1_3genE2ELNS1_11target_archE906ELNS1_3gpuE6ELNS1_3repE0EEENS1_30default_config_static_selectorELNS0_4arch9wavefront6targetE1EEEvT1_, .Lfunc_end656-_ZN7rocprim17ROCPRIM_400000_NS6detail17trampoline_kernelINS0_14default_configENS1_29reduce_by_key_config_selectorIssN6thrust23THRUST_200600_302600_NS4plusIsEEEEZZNS1_33reduce_by_key_impl_wrapped_configILNS1_25lookback_scan_determinismE0ES3_S9_NS6_6detail15normal_iteratorINS6_10device_ptrIsEEEESG_SG_SG_PmS8_NS6_8equal_toIsEEEE10hipError_tPvRmT2_T3_mT4_T5_T6_T7_T8_P12ihipStream_tbENKUlT_T0_E_clISt17integral_constantIbLb0EES10_IbLb1EEEEDaSW_SX_EUlSW_E_NS1_11comp_targetILNS1_3genE2ELNS1_11target_archE906ELNS1_3gpuE6ELNS1_3repE0EEENS1_30default_config_static_selectorELNS0_4arch9wavefront6targetE1EEEvT1_
                                        ; -- End function
	.section	.AMDGPU.csdata,"",@progbits
; Kernel info:
; codeLenInByte = 0
; NumSgprs: 4
; NumVgprs: 0
; NumAgprs: 0
; TotalNumVgprs: 0
; ScratchSize: 0
; MemoryBound: 0
; FloatMode: 240
; IeeeMode: 1
; LDSByteSize: 0 bytes/workgroup (compile time only)
; SGPRBlocks: 0
; VGPRBlocks: 0
; NumSGPRsForWavesPerEU: 4
; NumVGPRsForWavesPerEU: 1
; AccumOffset: 4
; Occupancy: 8
; WaveLimiterHint : 0
; COMPUTE_PGM_RSRC2:SCRATCH_EN: 0
; COMPUTE_PGM_RSRC2:USER_SGPR: 6
; COMPUTE_PGM_RSRC2:TRAP_HANDLER: 0
; COMPUTE_PGM_RSRC2:TGID_X_EN: 1
; COMPUTE_PGM_RSRC2:TGID_Y_EN: 0
; COMPUTE_PGM_RSRC2:TGID_Z_EN: 0
; COMPUTE_PGM_RSRC2:TIDIG_COMP_CNT: 0
; COMPUTE_PGM_RSRC3_GFX90A:ACCUM_OFFSET: 0
; COMPUTE_PGM_RSRC3_GFX90A:TG_SPLIT: 0
	.section	.text._ZN7rocprim17ROCPRIM_400000_NS6detail17trampoline_kernelINS0_14default_configENS1_29reduce_by_key_config_selectorIssN6thrust23THRUST_200600_302600_NS4plusIsEEEEZZNS1_33reduce_by_key_impl_wrapped_configILNS1_25lookback_scan_determinismE0ES3_S9_NS6_6detail15normal_iteratorINS6_10device_ptrIsEEEESG_SG_SG_PmS8_NS6_8equal_toIsEEEE10hipError_tPvRmT2_T3_mT4_T5_T6_T7_T8_P12ihipStream_tbENKUlT_T0_E_clISt17integral_constantIbLb0EES10_IbLb1EEEEDaSW_SX_EUlSW_E_NS1_11comp_targetILNS1_3genE10ELNS1_11target_archE1201ELNS1_3gpuE5ELNS1_3repE0EEENS1_30default_config_static_selectorELNS0_4arch9wavefront6targetE1EEEvT1_,"axG",@progbits,_ZN7rocprim17ROCPRIM_400000_NS6detail17trampoline_kernelINS0_14default_configENS1_29reduce_by_key_config_selectorIssN6thrust23THRUST_200600_302600_NS4plusIsEEEEZZNS1_33reduce_by_key_impl_wrapped_configILNS1_25lookback_scan_determinismE0ES3_S9_NS6_6detail15normal_iteratorINS6_10device_ptrIsEEEESG_SG_SG_PmS8_NS6_8equal_toIsEEEE10hipError_tPvRmT2_T3_mT4_T5_T6_T7_T8_P12ihipStream_tbENKUlT_T0_E_clISt17integral_constantIbLb0EES10_IbLb1EEEEDaSW_SX_EUlSW_E_NS1_11comp_targetILNS1_3genE10ELNS1_11target_archE1201ELNS1_3gpuE5ELNS1_3repE0EEENS1_30default_config_static_selectorELNS0_4arch9wavefront6targetE1EEEvT1_,comdat
	.protected	_ZN7rocprim17ROCPRIM_400000_NS6detail17trampoline_kernelINS0_14default_configENS1_29reduce_by_key_config_selectorIssN6thrust23THRUST_200600_302600_NS4plusIsEEEEZZNS1_33reduce_by_key_impl_wrapped_configILNS1_25lookback_scan_determinismE0ES3_S9_NS6_6detail15normal_iteratorINS6_10device_ptrIsEEEESG_SG_SG_PmS8_NS6_8equal_toIsEEEE10hipError_tPvRmT2_T3_mT4_T5_T6_T7_T8_P12ihipStream_tbENKUlT_T0_E_clISt17integral_constantIbLb0EES10_IbLb1EEEEDaSW_SX_EUlSW_E_NS1_11comp_targetILNS1_3genE10ELNS1_11target_archE1201ELNS1_3gpuE5ELNS1_3repE0EEENS1_30default_config_static_selectorELNS0_4arch9wavefront6targetE1EEEvT1_ ; -- Begin function _ZN7rocprim17ROCPRIM_400000_NS6detail17trampoline_kernelINS0_14default_configENS1_29reduce_by_key_config_selectorIssN6thrust23THRUST_200600_302600_NS4plusIsEEEEZZNS1_33reduce_by_key_impl_wrapped_configILNS1_25lookback_scan_determinismE0ES3_S9_NS6_6detail15normal_iteratorINS6_10device_ptrIsEEEESG_SG_SG_PmS8_NS6_8equal_toIsEEEE10hipError_tPvRmT2_T3_mT4_T5_T6_T7_T8_P12ihipStream_tbENKUlT_T0_E_clISt17integral_constantIbLb0EES10_IbLb1EEEEDaSW_SX_EUlSW_E_NS1_11comp_targetILNS1_3genE10ELNS1_11target_archE1201ELNS1_3gpuE5ELNS1_3repE0EEENS1_30default_config_static_selectorELNS0_4arch9wavefront6targetE1EEEvT1_
	.globl	_ZN7rocprim17ROCPRIM_400000_NS6detail17trampoline_kernelINS0_14default_configENS1_29reduce_by_key_config_selectorIssN6thrust23THRUST_200600_302600_NS4plusIsEEEEZZNS1_33reduce_by_key_impl_wrapped_configILNS1_25lookback_scan_determinismE0ES3_S9_NS6_6detail15normal_iteratorINS6_10device_ptrIsEEEESG_SG_SG_PmS8_NS6_8equal_toIsEEEE10hipError_tPvRmT2_T3_mT4_T5_T6_T7_T8_P12ihipStream_tbENKUlT_T0_E_clISt17integral_constantIbLb0EES10_IbLb1EEEEDaSW_SX_EUlSW_E_NS1_11comp_targetILNS1_3genE10ELNS1_11target_archE1201ELNS1_3gpuE5ELNS1_3repE0EEENS1_30default_config_static_selectorELNS0_4arch9wavefront6targetE1EEEvT1_
	.p2align	8
	.type	_ZN7rocprim17ROCPRIM_400000_NS6detail17trampoline_kernelINS0_14default_configENS1_29reduce_by_key_config_selectorIssN6thrust23THRUST_200600_302600_NS4plusIsEEEEZZNS1_33reduce_by_key_impl_wrapped_configILNS1_25lookback_scan_determinismE0ES3_S9_NS6_6detail15normal_iteratorINS6_10device_ptrIsEEEESG_SG_SG_PmS8_NS6_8equal_toIsEEEE10hipError_tPvRmT2_T3_mT4_T5_T6_T7_T8_P12ihipStream_tbENKUlT_T0_E_clISt17integral_constantIbLb0EES10_IbLb1EEEEDaSW_SX_EUlSW_E_NS1_11comp_targetILNS1_3genE10ELNS1_11target_archE1201ELNS1_3gpuE5ELNS1_3repE0EEENS1_30default_config_static_selectorELNS0_4arch9wavefront6targetE1EEEvT1_,@function
_ZN7rocprim17ROCPRIM_400000_NS6detail17trampoline_kernelINS0_14default_configENS1_29reduce_by_key_config_selectorIssN6thrust23THRUST_200600_302600_NS4plusIsEEEEZZNS1_33reduce_by_key_impl_wrapped_configILNS1_25lookback_scan_determinismE0ES3_S9_NS6_6detail15normal_iteratorINS6_10device_ptrIsEEEESG_SG_SG_PmS8_NS6_8equal_toIsEEEE10hipError_tPvRmT2_T3_mT4_T5_T6_T7_T8_P12ihipStream_tbENKUlT_T0_E_clISt17integral_constantIbLb0EES10_IbLb1EEEEDaSW_SX_EUlSW_E_NS1_11comp_targetILNS1_3genE10ELNS1_11target_archE1201ELNS1_3gpuE5ELNS1_3repE0EEENS1_30default_config_static_selectorELNS0_4arch9wavefront6targetE1EEEvT1_: ; @_ZN7rocprim17ROCPRIM_400000_NS6detail17trampoline_kernelINS0_14default_configENS1_29reduce_by_key_config_selectorIssN6thrust23THRUST_200600_302600_NS4plusIsEEEEZZNS1_33reduce_by_key_impl_wrapped_configILNS1_25lookback_scan_determinismE0ES3_S9_NS6_6detail15normal_iteratorINS6_10device_ptrIsEEEESG_SG_SG_PmS8_NS6_8equal_toIsEEEE10hipError_tPvRmT2_T3_mT4_T5_T6_T7_T8_P12ihipStream_tbENKUlT_T0_E_clISt17integral_constantIbLb0EES10_IbLb1EEEEDaSW_SX_EUlSW_E_NS1_11comp_targetILNS1_3genE10ELNS1_11target_archE1201ELNS1_3gpuE5ELNS1_3repE0EEENS1_30default_config_static_selectorELNS0_4arch9wavefront6targetE1EEEvT1_
; %bb.0:
	.section	.rodata,"a",@progbits
	.p2align	6, 0x0
	.amdhsa_kernel _ZN7rocprim17ROCPRIM_400000_NS6detail17trampoline_kernelINS0_14default_configENS1_29reduce_by_key_config_selectorIssN6thrust23THRUST_200600_302600_NS4plusIsEEEEZZNS1_33reduce_by_key_impl_wrapped_configILNS1_25lookback_scan_determinismE0ES3_S9_NS6_6detail15normal_iteratorINS6_10device_ptrIsEEEESG_SG_SG_PmS8_NS6_8equal_toIsEEEE10hipError_tPvRmT2_T3_mT4_T5_T6_T7_T8_P12ihipStream_tbENKUlT_T0_E_clISt17integral_constantIbLb0EES10_IbLb1EEEEDaSW_SX_EUlSW_E_NS1_11comp_targetILNS1_3genE10ELNS1_11target_archE1201ELNS1_3gpuE5ELNS1_3repE0EEENS1_30default_config_static_selectorELNS0_4arch9wavefront6targetE1EEEvT1_
		.amdhsa_group_segment_fixed_size 0
		.amdhsa_private_segment_fixed_size 0
		.amdhsa_kernarg_size 120
		.amdhsa_user_sgpr_count 6
		.amdhsa_user_sgpr_private_segment_buffer 1
		.amdhsa_user_sgpr_dispatch_ptr 0
		.amdhsa_user_sgpr_queue_ptr 0
		.amdhsa_user_sgpr_kernarg_segment_ptr 1
		.amdhsa_user_sgpr_dispatch_id 0
		.amdhsa_user_sgpr_flat_scratch_init 0
		.amdhsa_user_sgpr_kernarg_preload_length 0
		.amdhsa_user_sgpr_kernarg_preload_offset 0
		.amdhsa_user_sgpr_private_segment_size 0
		.amdhsa_uses_dynamic_stack 0
		.amdhsa_system_sgpr_private_segment_wavefront_offset 0
		.amdhsa_system_sgpr_workgroup_id_x 1
		.amdhsa_system_sgpr_workgroup_id_y 0
		.amdhsa_system_sgpr_workgroup_id_z 0
		.amdhsa_system_sgpr_workgroup_info 0
		.amdhsa_system_vgpr_workitem_id 0
		.amdhsa_next_free_vgpr 1
		.amdhsa_next_free_sgpr 0
		.amdhsa_accum_offset 4
		.amdhsa_reserve_vcc 0
		.amdhsa_reserve_flat_scratch 0
		.amdhsa_float_round_mode_32 0
		.amdhsa_float_round_mode_16_64 0
		.amdhsa_float_denorm_mode_32 3
		.amdhsa_float_denorm_mode_16_64 3
		.amdhsa_dx10_clamp 1
		.amdhsa_ieee_mode 1
		.amdhsa_fp16_overflow 0
		.amdhsa_tg_split 0
		.amdhsa_exception_fp_ieee_invalid_op 0
		.amdhsa_exception_fp_denorm_src 0
		.amdhsa_exception_fp_ieee_div_zero 0
		.amdhsa_exception_fp_ieee_overflow 0
		.amdhsa_exception_fp_ieee_underflow 0
		.amdhsa_exception_fp_ieee_inexact 0
		.amdhsa_exception_int_div_zero 0
	.end_amdhsa_kernel
	.section	.text._ZN7rocprim17ROCPRIM_400000_NS6detail17trampoline_kernelINS0_14default_configENS1_29reduce_by_key_config_selectorIssN6thrust23THRUST_200600_302600_NS4plusIsEEEEZZNS1_33reduce_by_key_impl_wrapped_configILNS1_25lookback_scan_determinismE0ES3_S9_NS6_6detail15normal_iteratorINS6_10device_ptrIsEEEESG_SG_SG_PmS8_NS6_8equal_toIsEEEE10hipError_tPvRmT2_T3_mT4_T5_T6_T7_T8_P12ihipStream_tbENKUlT_T0_E_clISt17integral_constantIbLb0EES10_IbLb1EEEEDaSW_SX_EUlSW_E_NS1_11comp_targetILNS1_3genE10ELNS1_11target_archE1201ELNS1_3gpuE5ELNS1_3repE0EEENS1_30default_config_static_selectorELNS0_4arch9wavefront6targetE1EEEvT1_,"axG",@progbits,_ZN7rocprim17ROCPRIM_400000_NS6detail17trampoline_kernelINS0_14default_configENS1_29reduce_by_key_config_selectorIssN6thrust23THRUST_200600_302600_NS4plusIsEEEEZZNS1_33reduce_by_key_impl_wrapped_configILNS1_25lookback_scan_determinismE0ES3_S9_NS6_6detail15normal_iteratorINS6_10device_ptrIsEEEESG_SG_SG_PmS8_NS6_8equal_toIsEEEE10hipError_tPvRmT2_T3_mT4_T5_T6_T7_T8_P12ihipStream_tbENKUlT_T0_E_clISt17integral_constantIbLb0EES10_IbLb1EEEEDaSW_SX_EUlSW_E_NS1_11comp_targetILNS1_3genE10ELNS1_11target_archE1201ELNS1_3gpuE5ELNS1_3repE0EEENS1_30default_config_static_selectorELNS0_4arch9wavefront6targetE1EEEvT1_,comdat
.Lfunc_end657:
	.size	_ZN7rocprim17ROCPRIM_400000_NS6detail17trampoline_kernelINS0_14default_configENS1_29reduce_by_key_config_selectorIssN6thrust23THRUST_200600_302600_NS4plusIsEEEEZZNS1_33reduce_by_key_impl_wrapped_configILNS1_25lookback_scan_determinismE0ES3_S9_NS6_6detail15normal_iteratorINS6_10device_ptrIsEEEESG_SG_SG_PmS8_NS6_8equal_toIsEEEE10hipError_tPvRmT2_T3_mT4_T5_T6_T7_T8_P12ihipStream_tbENKUlT_T0_E_clISt17integral_constantIbLb0EES10_IbLb1EEEEDaSW_SX_EUlSW_E_NS1_11comp_targetILNS1_3genE10ELNS1_11target_archE1201ELNS1_3gpuE5ELNS1_3repE0EEENS1_30default_config_static_selectorELNS0_4arch9wavefront6targetE1EEEvT1_, .Lfunc_end657-_ZN7rocprim17ROCPRIM_400000_NS6detail17trampoline_kernelINS0_14default_configENS1_29reduce_by_key_config_selectorIssN6thrust23THRUST_200600_302600_NS4plusIsEEEEZZNS1_33reduce_by_key_impl_wrapped_configILNS1_25lookback_scan_determinismE0ES3_S9_NS6_6detail15normal_iteratorINS6_10device_ptrIsEEEESG_SG_SG_PmS8_NS6_8equal_toIsEEEE10hipError_tPvRmT2_T3_mT4_T5_T6_T7_T8_P12ihipStream_tbENKUlT_T0_E_clISt17integral_constantIbLb0EES10_IbLb1EEEEDaSW_SX_EUlSW_E_NS1_11comp_targetILNS1_3genE10ELNS1_11target_archE1201ELNS1_3gpuE5ELNS1_3repE0EEENS1_30default_config_static_selectorELNS0_4arch9wavefront6targetE1EEEvT1_
                                        ; -- End function
	.section	.AMDGPU.csdata,"",@progbits
; Kernel info:
; codeLenInByte = 0
; NumSgprs: 4
; NumVgprs: 0
; NumAgprs: 0
; TotalNumVgprs: 0
; ScratchSize: 0
; MemoryBound: 0
; FloatMode: 240
; IeeeMode: 1
; LDSByteSize: 0 bytes/workgroup (compile time only)
; SGPRBlocks: 0
; VGPRBlocks: 0
; NumSGPRsForWavesPerEU: 4
; NumVGPRsForWavesPerEU: 1
; AccumOffset: 4
; Occupancy: 8
; WaveLimiterHint : 0
; COMPUTE_PGM_RSRC2:SCRATCH_EN: 0
; COMPUTE_PGM_RSRC2:USER_SGPR: 6
; COMPUTE_PGM_RSRC2:TRAP_HANDLER: 0
; COMPUTE_PGM_RSRC2:TGID_X_EN: 1
; COMPUTE_PGM_RSRC2:TGID_Y_EN: 0
; COMPUTE_PGM_RSRC2:TGID_Z_EN: 0
; COMPUTE_PGM_RSRC2:TIDIG_COMP_CNT: 0
; COMPUTE_PGM_RSRC3_GFX90A:ACCUM_OFFSET: 0
; COMPUTE_PGM_RSRC3_GFX90A:TG_SPLIT: 0
	.section	.text._ZN7rocprim17ROCPRIM_400000_NS6detail17trampoline_kernelINS0_14default_configENS1_29reduce_by_key_config_selectorIssN6thrust23THRUST_200600_302600_NS4plusIsEEEEZZNS1_33reduce_by_key_impl_wrapped_configILNS1_25lookback_scan_determinismE0ES3_S9_NS6_6detail15normal_iteratorINS6_10device_ptrIsEEEESG_SG_SG_PmS8_NS6_8equal_toIsEEEE10hipError_tPvRmT2_T3_mT4_T5_T6_T7_T8_P12ihipStream_tbENKUlT_T0_E_clISt17integral_constantIbLb0EES10_IbLb1EEEEDaSW_SX_EUlSW_E_NS1_11comp_targetILNS1_3genE10ELNS1_11target_archE1200ELNS1_3gpuE4ELNS1_3repE0EEENS1_30default_config_static_selectorELNS0_4arch9wavefront6targetE1EEEvT1_,"axG",@progbits,_ZN7rocprim17ROCPRIM_400000_NS6detail17trampoline_kernelINS0_14default_configENS1_29reduce_by_key_config_selectorIssN6thrust23THRUST_200600_302600_NS4plusIsEEEEZZNS1_33reduce_by_key_impl_wrapped_configILNS1_25lookback_scan_determinismE0ES3_S9_NS6_6detail15normal_iteratorINS6_10device_ptrIsEEEESG_SG_SG_PmS8_NS6_8equal_toIsEEEE10hipError_tPvRmT2_T3_mT4_T5_T6_T7_T8_P12ihipStream_tbENKUlT_T0_E_clISt17integral_constantIbLb0EES10_IbLb1EEEEDaSW_SX_EUlSW_E_NS1_11comp_targetILNS1_3genE10ELNS1_11target_archE1200ELNS1_3gpuE4ELNS1_3repE0EEENS1_30default_config_static_selectorELNS0_4arch9wavefront6targetE1EEEvT1_,comdat
	.protected	_ZN7rocprim17ROCPRIM_400000_NS6detail17trampoline_kernelINS0_14default_configENS1_29reduce_by_key_config_selectorIssN6thrust23THRUST_200600_302600_NS4plusIsEEEEZZNS1_33reduce_by_key_impl_wrapped_configILNS1_25lookback_scan_determinismE0ES3_S9_NS6_6detail15normal_iteratorINS6_10device_ptrIsEEEESG_SG_SG_PmS8_NS6_8equal_toIsEEEE10hipError_tPvRmT2_T3_mT4_T5_T6_T7_T8_P12ihipStream_tbENKUlT_T0_E_clISt17integral_constantIbLb0EES10_IbLb1EEEEDaSW_SX_EUlSW_E_NS1_11comp_targetILNS1_3genE10ELNS1_11target_archE1200ELNS1_3gpuE4ELNS1_3repE0EEENS1_30default_config_static_selectorELNS0_4arch9wavefront6targetE1EEEvT1_ ; -- Begin function _ZN7rocprim17ROCPRIM_400000_NS6detail17trampoline_kernelINS0_14default_configENS1_29reduce_by_key_config_selectorIssN6thrust23THRUST_200600_302600_NS4plusIsEEEEZZNS1_33reduce_by_key_impl_wrapped_configILNS1_25lookback_scan_determinismE0ES3_S9_NS6_6detail15normal_iteratorINS6_10device_ptrIsEEEESG_SG_SG_PmS8_NS6_8equal_toIsEEEE10hipError_tPvRmT2_T3_mT4_T5_T6_T7_T8_P12ihipStream_tbENKUlT_T0_E_clISt17integral_constantIbLb0EES10_IbLb1EEEEDaSW_SX_EUlSW_E_NS1_11comp_targetILNS1_3genE10ELNS1_11target_archE1200ELNS1_3gpuE4ELNS1_3repE0EEENS1_30default_config_static_selectorELNS0_4arch9wavefront6targetE1EEEvT1_
	.globl	_ZN7rocprim17ROCPRIM_400000_NS6detail17trampoline_kernelINS0_14default_configENS1_29reduce_by_key_config_selectorIssN6thrust23THRUST_200600_302600_NS4plusIsEEEEZZNS1_33reduce_by_key_impl_wrapped_configILNS1_25lookback_scan_determinismE0ES3_S9_NS6_6detail15normal_iteratorINS6_10device_ptrIsEEEESG_SG_SG_PmS8_NS6_8equal_toIsEEEE10hipError_tPvRmT2_T3_mT4_T5_T6_T7_T8_P12ihipStream_tbENKUlT_T0_E_clISt17integral_constantIbLb0EES10_IbLb1EEEEDaSW_SX_EUlSW_E_NS1_11comp_targetILNS1_3genE10ELNS1_11target_archE1200ELNS1_3gpuE4ELNS1_3repE0EEENS1_30default_config_static_selectorELNS0_4arch9wavefront6targetE1EEEvT1_
	.p2align	8
	.type	_ZN7rocprim17ROCPRIM_400000_NS6detail17trampoline_kernelINS0_14default_configENS1_29reduce_by_key_config_selectorIssN6thrust23THRUST_200600_302600_NS4plusIsEEEEZZNS1_33reduce_by_key_impl_wrapped_configILNS1_25lookback_scan_determinismE0ES3_S9_NS6_6detail15normal_iteratorINS6_10device_ptrIsEEEESG_SG_SG_PmS8_NS6_8equal_toIsEEEE10hipError_tPvRmT2_T3_mT4_T5_T6_T7_T8_P12ihipStream_tbENKUlT_T0_E_clISt17integral_constantIbLb0EES10_IbLb1EEEEDaSW_SX_EUlSW_E_NS1_11comp_targetILNS1_3genE10ELNS1_11target_archE1200ELNS1_3gpuE4ELNS1_3repE0EEENS1_30default_config_static_selectorELNS0_4arch9wavefront6targetE1EEEvT1_,@function
_ZN7rocprim17ROCPRIM_400000_NS6detail17trampoline_kernelINS0_14default_configENS1_29reduce_by_key_config_selectorIssN6thrust23THRUST_200600_302600_NS4plusIsEEEEZZNS1_33reduce_by_key_impl_wrapped_configILNS1_25lookback_scan_determinismE0ES3_S9_NS6_6detail15normal_iteratorINS6_10device_ptrIsEEEESG_SG_SG_PmS8_NS6_8equal_toIsEEEE10hipError_tPvRmT2_T3_mT4_T5_T6_T7_T8_P12ihipStream_tbENKUlT_T0_E_clISt17integral_constantIbLb0EES10_IbLb1EEEEDaSW_SX_EUlSW_E_NS1_11comp_targetILNS1_3genE10ELNS1_11target_archE1200ELNS1_3gpuE4ELNS1_3repE0EEENS1_30default_config_static_selectorELNS0_4arch9wavefront6targetE1EEEvT1_: ; @_ZN7rocprim17ROCPRIM_400000_NS6detail17trampoline_kernelINS0_14default_configENS1_29reduce_by_key_config_selectorIssN6thrust23THRUST_200600_302600_NS4plusIsEEEEZZNS1_33reduce_by_key_impl_wrapped_configILNS1_25lookback_scan_determinismE0ES3_S9_NS6_6detail15normal_iteratorINS6_10device_ptrIsEEEESG_SG_SG_PmS8_NS6_8equal_toIsEEEE10hipError_tPvRmT2_T3_mT4_T5_T6_T7_T8_P12ihipStream_tbENKUlT_T0_E_clISt17integral_constantIbLb0EES10_IbLb1EEEEDaSW_SX_EUlSW_E_NS1_11comp_targetILNS1_3genE10ELNS1_11target_archE1200ELNS1_3gpuE4ELNS1_3repE0EEENS1_30default_config_static_selectorELNS0_4arch9wavefront6targetE1EEEvT1_
; %bb.0:
	.section	.rodata,"a",@progbits
	.p2align	6, 0x0
	.amdhsa_kernel _ZN7rocprim17ROCPRIM_400000_NS6detail17trampoline_kernelINS0_14default_configENS1_29reduce_by_key_config_selectorIssN6thrust23THRUST_200600_302600_NS4plusIsEEEEZZNS1_33reduce_by_key_impl_wrapped_configILNS1_25lookback_scan_determinismE0ES3_S9_NS6_6detail15normal_iteratorINS6_10device_ptrIsEEEESG_SG_SG_PmS8_NS6_8equal_toIsEEEE10hipError_tPvRmT2_T3_mT4_T5_T6_T7_T8_P12ihipStream_tbENKUlT_T0_E_clISt17integral_constantIbLb0EES10_IbLb1EEEEDaSW_SX_EUlSW_E_NS1_11comp_targetILNS1_3genE10ELNS1_11target_archE1200ELNS1_3gpuE4ELNS1_3repE0EEENS1_30default_config_static_selectorELNS0_4arch9wavefront6targetE1EEEvT1_
		.amdhsa_group_segment_fixed_size 0
		.amdhsa_private_segment_fixed_size 0
		.amdhsa_kernarg_size 120
		.amdhsa_user_sgpr_count 6
		.amdhsa_user_sgpr_private_segment_buffer 1
		.amdhsa_user_sgpr_dispatch_ptr 0
		.amdhsa_user_sgpr_queue_ptr 0
		.amdhsa_user_sgpr_kernarg_segment_ptr 1
		.amdhsa_user_sgpr_dispatch_id 0
		.amdhsa_user_sgpr_flat_scratch_init 0
		.amdhsa_user_sgpr_kernarg_preload_length 0
		.amdhsa_user_sgpr_kernarg_preload_offset 0
		.amdhsa_user_sgpr_private_segment_size 0
		.amdhsa_uses_dynamic_stack 0
		.amdhsa_system_sgpr_private_segment_wavefront_offset 0
		.amdhsa_system_sgpr_workgroup_id_x 1
		.amdhsa_system_sgpr_workgroup_id_y 0
		.amdhsa_system_sgpr_workgroup_id_z 0
		.amdhsa_system_sgpr_workgroup_info 0
		.amdhsa_system_vgpr_workitem_id 0
		.amdhsa_next_free_vgpr 1
		.amdhsa_next_free_sgpr 0
		.amdhsa_accum_offset 4
		.amdhsa_reserve_vcc 0
		.amdhsa_reserve_flat_scratch 0
		.amdhsa_float_round_mode_32 0
		.amdhsa_float_round_mode_16_64 0
		.amdhsa_float_denorm_mode_32 3
		.amdhsa_float_denorm_mode_16_64 3
		.amdhsa_dx10_clamp 1
		.amdhsa_ieee_mode 1
		.amdhsa_fp16_overflow 0
		.amdhsa_tg_split 0
		.amdhsa_exception_fp_ieee_invalid_op 0
		.amdhsa_exception_fp_denorm_src 0
		.amdhsa_exception_fp_ieee_div_zero 0
		.amdhsa_exception_fp_ieee_overflow 0
		.amdhsa_exception_fp_ieee_underflow 0
		.amdhsa_exception_fp_ieee_inexact 0
		.amdhsa_exception_int_div_zero 0
	.end_amdhsa_kernel
	.section	.text._ZN7rocprim17ROCPRIM_400000_NS6detail17trampoline_kernelINS0_14default_configENS1_29reduce_by_key_config_selectorIssN6thrust23THRUST_200600_302600_NS4plusIsEEEEZZNS1_33reduce_by_key_impl_wrapped_configILNS1_25lookback_scan_determinismE0ES3_S9_NS6_6detail15normal_iteratorINS6_10device_ptrIsEEEESG_SG_SG_PmS8_NS6_8equal_toIsEEEE10hipError_tPvRmT2_T3_mT4_T5_T6_T7_T8_P12ihipStream_tbENKUlT_T0_E_clISt17integral_constantIbLb0EES10_IbLb1EEEEDaSW_SX_EUlSW_E_NS1_11comp_targetILNS1_3genE10ELNS1_11target_archE1200ELNS1_3gpuE4ELNS1_3repE0EEENS1_30default_config_static_selectorELNS0_4arch9wavefront6targetE1EEEvT1_,"axG",@progbits,_ZN7rocprim17ROCPRIM_400000_NS6detail17trampoline_kernelINS0_14default_configENS1_29reduce_by_key_config_selectorIssN6thrust23THRUST_200600_302600_NS4plusIsEEEEZZNS1_33reduce_by_key_impl_wrapped_configILNS1_25lookback_scan_determinismE0ES3_S9_NS6_6detail15normal_iteratorINS6_10device_ptrIsEEEESG_SG_SG_PmS8_NS6_8equal_toIsEEEE10hipError_tPvRmT2_T3_mT4_T5_T6_T7_T8_P12ihipStream_tbENKUlT_T0_E_clISt17integral_constantIbLb0EES10_IbLb1EEEEDaSW_SX_EUlSW_E_NS1_11comp_targetILNS1_3genE10ELNS1_11target_archE1200ELNS1_3gpuE4ELNS1_3repE0EEENS1_30default_config_static_selectorELNS0_4arch9wavefront6targetE1EEEvT1_,comdat
.Lfunc_end658:
	.size	_ZN7rocprim17ROCPRIM_400000_NS6detail17trampoline_kernelINS0_14default_configENS1_29reduce_by_key_config_selectorIssN6thrust23THRUST_200600_302600_NS4plusIsEEEEZZNS1_33reduce_by_key_impl_wrapped_configILNS1_25lookback_scan_determinismE0ES3_S9_NS6_6detail15normal_iteratorINS6_10device_ptrIsEEEESG_SG_SG_PmS8_NS6_8equal_toIsEEEE10hipError_tPvRmT2_T3_mT4_T5_T6_T7_T8_P12ihipStream_tbENKUlT_T0_E_clISt17integral_constantIbLb0EES10_IbLb1EEEEDaSW_SX_EUlSW_E_NS1_11comp_targetILNS1_3genE10ELNS1_11target_archE1200ELNS1_3gpuE4ELNS1_3repE0EEENS1_30default_config_static_selectorELNS0_4arch9wavefront6targetE1EEEvT1_, .Lfunc_end658-_ZN7rocprim17ROCPRIM_400000_NS6detail17trampoline_kernelINS0_14default_configENS1_29reduce_by_key_config_selectorIssN6thrust23THRUST_200600_302600_NS4plusIsEEEEZZNS1_33reduce_by_key_impl_wrapped_configILNS1_25lookback_scan_determinismE0ES3_S9_NS6_6detail15normal_iteratorINS6_10device_ptrIsEEEESG_SG_SG_PmS8_NS6_8equal_toIsEEEE10hipError_tPvRmT2_T3_mT4_T5_T6_T7_T8_P12ihipStream_tbENKUlT_T0_E_clISt17integral_constantIbLb0EES10_IbLb1EEEEDaSW_SX_EUlSW_E_NS1_11comp_targetILNS1_3genE10ELNS1_11target_archE1200ELNS1_3gpuE4ELNS1_3repE0EEENS1_30default_config_static_selectorELNS0_4arch9wavefront6targetE1EEEvT1_
                                        ; -- End function
	.section	.AMDGPU.csdata,"",@progbits
; Kernel info:
; codeLenInByte = 0
; NumSgprs: 4
; NumVgprs: 0
; NumAgprs: 0
; TotalNumVgprs: 0
; ScratchSize: 0
; MemoryBound: 0
; FloatMode: 240
; IeeeMode: 1
; LDSByteSize: 0 bytes/workgroup (compile time only)
; SGPRBlocks: 0
; VGPRBlocks: 0
; NumSGPRsForWavesPerEU: 4
; NumVGPRsForWavesPerEU: 1
; AccumOffset: 4
; Occupancy: 8
; WaveLimiterHint : 0
; COMPUTE_PGM_RSRC2:SCRATCH_EN: 0
; COMPUTE_PGM_RSRC2:USER_SGPR: 6
; COMPUTE_PGM_RSRC2:TRAP_HANDLER: 0
; COMPUTE_PGM_RSRC2:TGID_X_EN: 1
; COMPUTE_PGM_RSRC2:TGID_Y_EN: 0
; COMPUTE_PGM_RSRC2:TGID_Z_EN: 0
; COMPUTE_PGM_RSRC2:TIDIG_COMP_CNT: 0
; COMPUTE_PGM_RSRC3_GFX90A:ACCUM_OFFSET: 0
; COMPUTE_PGM_RSRC3_GFX90A:TG_SPLIT: 0
	.section	.text._ZN7rocprim17ROCPRIM_400000_NS6detail17trampoline_kernelINS0_14default_configENS1_29reduce_by_key_config_selectorIssN6thrust23THRUST_200600_302600_NS4plusIsEEEEZZNS1_33reduce_by_key_impl_wrapped_configILNS1_25lookback_scan_determinismE0ES3_S9_NS6_6detail15normal_iteratorINS6_10device_ptrIsEEEESG_SG_SG_PmS8_NS6_8equal_toIsEEEE10hipError_tPvRmT2_T3_mT4_T5_T6_T7_T8_P12ihipStream_tbENKUlT_T0_E_clISt17integral_constantIbLb0EES10_IbLb1EEEEDaSW_SX_EUlSW_E_NS1_11comp_targetILNS1_3genE9ELNS1_11target_archE1100ELNS1_3gpuE3ELNS1_3repE0EEENS1_30default_config_static_selectorELNS0_4arch9wavefront6targetE1EEEvT1_,"axG",@progbits,_ZN7rocprim17ROCPRIM_400000_NS6detail17trampoline_kernelINS0_14default_configENS1_29reduce_by_key_config_selectorIssN6thrust23THRUST_200600_302600_NS4plusIsEEEEZZNS1_33reduce_by_key_impl_wrapped_configILNS1_25lookback_scan_determinismE0ES3_S9_NS6_6detail15normal_iteratorINS6_10device_ptrIsEEEESG_SG_SG_PmS8_NS6_8equal_toIsEEEE10hipError_tPvRmT2_T3_mT4_T5_T6_T7_T8_P12ihipStream_tbENKUlT_T0_E_clISt17integral_constantIbLb0EES10_IbLb1EEEEDaSW_SX_EUlSW_E_NS1_11comp_targetILNS1_3genE9ELNS1_11target_archE1100ELNS1_3gpuE3ELNS1_3repE0EEENS1_30default_config_static_selectorELNS0_4arch9wavefront6targetE1EEEvT1_,comdat
	.protected	_ZN7rocprim17ROCPRIM_400000_NS6detail17trampoline_kernelINS0_14default_configENS1_29reduce_by_key_config_selectorIssN6thrust23THRUST_200600_302600_NS4plusIsEEEEZZNS1_33reduce_by_key_impl_wrapped_configILNS1_25lookback_scan_determinismE0ES3_S9_NS6_6detail15normal_iteratorINS6_10device_ptrIsEEEESG_SG_SG_PmS8_NS6_8equal_toIsEEEE10hipError_tPvRmT2_T3_mT4_T5_T6_T7_T8_P12ihipStream_tbENKUlT_T0_E_clISt17integral_constantIbLb0EES10_IbLb1EEEEDaSW_SX_EUlSW_E_NS1_11comp_targetILNS1_3genE9ELNS1_11target_archE1100ELNS1_3gpuE3ELNS1_3repE0EEENS1_30default_config_static_selectorELNS0_4arch9wavefront6targetE1EEEvT1_ ; -- Begin function _ZN7rocprim17ROCPRIM_400000_NS6detail17trampoline_kernelINS0_14default_configENS1_29reduce_by_key_config_selectorIssN6thrust23THRUST_200600_302600_NS4plusIsEEEEZZNS1_33reduce_by_key_impl_wrapped_configILNS1_25lookback_scan_determinismE0ES3_S9_NS6_6detail15normal_iteratorINS6_10device_ptrIsEEEESG_SG_SG_PmS8_NS6_8equal_toIsEEEE10hipError_tPvRmT2_T3_mT4_T5_T6_T7_T8_P12ihipStream_tbENKUlT_T0_E_clISt17integral_constantIbLb0EES10_IbLb1EEEEDaSW_SX_EUlSW_E_NS1_11comp_targetILNS1_3genE9ELNS1_11target_archE1100ELNS1_3gpuE3ELNS1_3repE0EEENS1_30default_config_static_selectorELNS0_4arch9wavefront6targetE1EEEvT1_
	.globl	_ZN7rocprim17ROCPRIM_400000_NS6detail17trampoline_kernelINS0_14default_configENS1_29reduce_by_key_config_selectorIssN6thrust23THRUST_200600_302600_NS4plusIsEEEEZZNS1_33reduce_by_key_impl_wrapped_configILNS1_25lookback_scan_determinismE0ES3_S9_NS6_6detail15normal_iteratorINS6_10device_ptrIsEEEESG_SG_SG_PmS8_NS6_8equal_toIsEEEE10hipError_tPvRmT2_T3_mT4_T5_T6_T7_T8_P12ihipStream_tbENKUlT_T0_E_clISt17integral_constantIbLb0EES10_IbLb1EEEEDaSW_SX_EUlSW_E_NS1_11comp_targetILNS1_3genE9ELNS1_11target_archE1100ELNS1_3gpuE3ELNS1_3repE0EEENS1_30default_config_static_selectorELNS0_4arch9wavefront6targetE1EEEvT1_
	.p2align	8
	.type	_ZN7rocprim17ROCPRIM_400000_NS6detail17trampoline_kernelINS0_14default_configENS1_29reduce_by_key_config_selectorIssN6thrust23THRUST_200600_302600_NS4plusIsEEEEZZNS1_33reduce_by_key_impl_wrapped_configILNS1_25lookback_scan_determinismE0ES3_S9_NS6_6detail15normal_iteratorINS6_10device_ptrIsEEEESG_SG_SG_PmS8_NS6_8equal_toIsEEEE10hipError_tPvRmT2_T3_mT4_T5_T6_T7_T8_P12ihipStream_tbENKUlT_T0_E_clISt17integral_constantIbLb0EES10_IbLb1EEEEDaSW_SX_EUlSW_E_NS1_11comp_targetILNS1_3genE9ELNS1_11target_archE1100ELNS1_3gpuE3ELNS1_3repE0EEENS1_30default_config_static_selectorELNS0_4arch9wavefront6targetE1EEEvT1_,@function
_ZN7rocprim17ROCPRIM_400000_NS6detail17trampoline_kernelINS0_14default_configENS1_29reduce_by_key_config_selectorIssN6thrust23THRUST_200600_302600_NS4plusIsEEEEZZNS1_33reduce_by_key_impl_wrapped_configILNS1_25lookback_scan_determinismE0ES3_S9_NS6_6detail15normal_iteratorINS6_10device_ptrIsEEEESG_SG_SG_PmS8_NS6_8equal_toIsEEEE10hipError_tPvRmT2_T3_mT4_T5_T6_T7_T8_P12ihipStream_tbENKUlT_T0_E_clISt17integral_constantIbLb0EES10_IbLb1EEEEDaSW_SX_EUlSW_E_NS1_11comp_targetILNS1_3genE9ELNS1_11target_archE1100ELNS1_3gpuE3ELNS1_3repE0EEENS1_30default_config_static_selectorELNS0_4arch9wavefront6targetE1EEEvT1_: ; @_ZN7rocprim17ROCPRIM_400000_NS6detail17trampoline_kernelINS0_14default_configENS1_29reduce_by_key_config_selectorIssN6thrust23THRUST_200600_302600_NS4plusIsEEEEZZNS1_33reduce_by_key_impl_wrapped_configILNS1_25lookback_scan_determinismE0ES3_S9_NS6_6detail15normal_iteratorINS6_10device_ptrIsEEEESG_SG_SG_PmS8_NS6_8equal_toIsEEEE10hipError_tPvRmT2_T3_mT4_T5_T6_T7_T8_P12ihipStream_tbENKUlT_T0_E_clISt17integral_constantIbLb0EES10_IbLb1EEEEDaSW_SX_EUlSW_E_NS1_11comp_targetILNS1_3genE9ELNS1_11target_archE1100ELNS1_3gpuE3ELNS1_3repE0EEENS1_30default_config_static_selectorELNS0_4arch9wavefront6targetE1EEEvT1_
; %bb.0:
	.section	.rodata,"a",@progbits
	.p2align	6, 0x0
	.amdhsa_kernel _ZN7rocprim17ROCPRIM_400000_NS6detail17trampoline_kernelINS0_14default_configENS1_29reduce_by_key_config_selectorIssN6thrust23THRUST_200600_302600_NS4plusIsEEEEZZNS1_33reduce_by_key_impl_wrapped_configILNS1_25lookback_scan_determinismE0ES3_S9_NS6_6detail15normal_iteratorINS6_10device_ptrIsEEEESG_SG_SG_PmS8_NS6_8equal_toIsEEEE10hipError_tPvRmT2_T3_mT4_T5_T6_T7_T8_P12ihipStream_tbENKUlT_T0_E_clISt17integral_constantIbLb0EES10_IbLb1EEEEDaSW_SX_EUlSW_E_NS1_11comp_targetILNS1_3genE9ELNS1_11target_archE1100ELNS1_3gpuE3ELNS1_3repE0EEENS1_30default_config_static_selectorELNS0_4arch9wavefront6targetE1EEEvT1_
		.amdhsa_group_segment_fixed_size 0
		.amdhsa_private_segment_fixed_size 0
		.amdhsa_kernarg_size 120
		.amdhsa_user_sgpr_count 6
		.amdhsa_user_sgpr_private_segment_buffer 1
		.amdhsa_user_sgpr_dispatch_ptr 0
		.amdhsa_user_sgpr_queue_ptr 0
		.amdhsa_user_sgpr_kernarg_segment_ptr 1
		.amdhsa_user_sgpr_dispatch_id 0
		.amdhsa_user_sgpr_flat_scratch_init 0
		.amdhsa_user_sgpr_kernarg_preload_length 0
		.amdhsa_user_sgpr_kernarg_preload_offset 0
		.amdhsa_user_sgpr_private_segment_size 0
		.amdhsa_uses_dynamic_stack 0
		.amdhsa_system_sgpr_private_segment_wavefront_offset 0
		.amdhsa_system_sgpr_workgroup_id_x 1
		.amdhsa_system_sgpr_workgroup_id_y 0
		.amdhsa_system_sgpr_workgroup_id_z 0
		.amdhsa_system_sgpr_workgroup_info 0
		.amdhsa_system_vgpr_workitem_id 0
		.amdhsa_next_free_vgpr 1
		.amdhsa_next_free_sgpr 0
		.amdhsa_accum_offset 4
		.amdhsa_reserve_vcc 0
		.amdhsa_reserve_flat_scratch 0
		.amdhsa_float_round_mode_32 0
		.amdhsa_float_round_mode_16_64 0
		.amdhsa_float_denorm_mode_32 3
		.amdhsa_float_denorm_mode_16_64 3
		.amdhsa_dx10_clamp 1
		.amdhsa_ieee_mode 1
		.amdhsa_fp16_overflow 0
		.amdhsa_tg_split 0
		.amdhsa_exception_fp_ieee_invalid_op 0
		.amdhsa_exception_fp_denorm_src 0
		.amdhsa_exception_fp_ieee_div_zero 0
		.amdhsa_exception_fp_ieee_overflow 0
		.amdhsa_exception_fp_ieee_underflow 0
		.amdhsa_exception_fp_ieee_inexact 0
		.amdhsa_exception_int_div_zero 0
	.end_amdhsa_kernel
	.section	.text._ZN7rocprim17ROCPRIM_400000_NS6detail17trampoline_kernelINS0_14default_configENS1_29reduce_by_key_config_selectorIssN6thrust23THRUST_200600_302600_NS4plusIsEEEEZZNS1_33reduce_by_key_impl_wrapped_configILNS1_25lookback_scan_determinismE0ES3_S9_NS6_6detail15normal_iteratorINS6_10device_ptrIsEEEESG_SG_SG_PmS8_NS6_8equal_toIsEEEE10hipError_tPvRmT2_T3_mT4_T5_T6_T7_T8_P12ihipStream_tbENKUlT_T0_E_clISt17integral_constantIbLb0EES10_IbLb1EEEEDaSW_SX_EUlSW_E_NS1_11comp_targetILNS1_3genE9ELNS1_11target_archE1100ELNS1_3gpuE3ELNS1_3repE0EEENS1_30default_config_static_selectorELNS0_4arch9wavefront6targetE1EEEvT1_,"axG",@progbits,_ZN7rocprim17ROCPRIM_400000_NS6detail17trampoline_kernelINS0_14default_configENS1_29reduce_by_key_config_selectorIssN6thrust23THRUST_200600_302600_NS4plusIsEEEEZZNS1_33reduce_by_key_impl_wrapped_configILNS1_25lookback_scan_determinismE0ES3_S9_NS6_6detail15normal_iteratorINS6_10device_ptrIsEEEESG_SG_SG_PmS8_NS6_8equal_toIsEEEE10hipError_tPvRmT2_T3_mT4_T5_T6_T7_T8_P12ihipStream_tbENKUlT_T0_E_clISt17integral_constantIbLb0EES10_IbLb1EEEEDaSW_SX_EUlSW_E_NS1_11comp_targetILNS1_3genE9ELNS1_11target_archE1100ELNS1_3gpuE3ELNS1_3repE0EEENS1_30default_config_static_selectorELNS0_4arch9wavefront6targetE1EEEvT1_,comdat
.Lfunc_end659:
	.size	_ZN7rocprim17ROCPRIM_400000_NS6detail17trampoline_kernelINS0_14default_configENS1_29reduce_by_key_config_selectorIssN6thrust23THRUST_200600_302600_NS4plusIsEEEEZZNS1_33reduce_by_key_impl_wrapped_configILNS1_25lookback_scan_determinismE0ES3_S9_NS6_6detail15normal_iteratorINS6_10device_ptrIsEEEESG_SG_SG_PmS8_NS6_8equal_toIsEEEE10hipError_tPvRmT2_T3_mT4_T5_T6_T7_T8_P12ihipStream_tbENKUlT_T0_E_clISt17integral_constantIbLb0EES10_IbLb1EEEEDaSW_SX_EUlSW_E_NS1_11comp_targetILNS1_3genE9ELNS1_11target_archE1100ELNS1_3gpuE3ELNS1_3repE0EEENS1_30default_config_static_selectorELNS0_4arch9wavefront6targetE1EEEvT1_, .Lfunc_end659-_ZN7rocprim17ROCPRIM_400000_NS6detail17trampoline_kernelINS0_14default_configENS1_29reduce_by_key_config_selectorIssN6thrust23THRUST_200600_302600_NS4plusIsEEEEZZNS1_33reduce_by_key_impl_wrapped_configILNS1_25lookback_scan_determinismE0ES3_S9_NS6_6detail15normal_iteratorINS6_10device_ptrIsEEEESG_SG_SG_PmS8_NS6_8equal_toIsEEEE10hipError_tPvRmT2_T3_mT4_T5_T6_T7_T8_P12ihipStream_tbENKUlT_T0_E_clISt17integral_constantIbLb0EES10_IbLb1EEEEDaSW_SX_EUlSW_E_NS1_11comp_targetILNS1_3genE9ELNS1_11target_archE1100ELNS1_3gpuE3ELNS1_3repE0EEENS1_30default_config_static_selectorELNS0_4arch9wavefront6targetE1EEEvT1_
                                        ; -- End function
	.section	.AMDGPU.csdata,"",@progbits
; Kernel info:
; codeLenInByte = 0
; NumSgprs: 4
; NumVgprs: 0
; NumAgprs: 0
; TotalNumVgprs: 0
; ScratchSize: 0
; MemoryBound: 0
; FloatMode: 240
; IeeeMode: 1
; LDSByteSize: 0 bytes/workgroup (compile time only)
; SGPRBlocks: 0
; VGPRBlocks: 0
; NumSGPRsForWavesPerEU: 4
; NumVGPRsForWavesPerEU: 1
; AccumOffset: 4
; Occupancy: 8
; WaveLimiterHint : 0
; COMPUTE_PGM_RSRC2:SCRATCH_EN: 0
; COMPUTE_PGM_RSRC2:USER_SGPR: 6
; COMPUTE_PGM_RSRC2:TRAP_HANDLER: 0
; COMPUTE_PGM_RSRC2:TGID_X_EN: 1
; COMPUTE_PGM_RSRC2:TGID_Y_EN: 0
; COMPUTE_PGM_RSRC2:TGID_Z_EN: 0
; COMPUTE_PGM_RSRC2:TIDIG_COMP_CNT: 0
; COMPUTE_PGM_RSRC3_GFX90A:ACCUM_OFFSET: 0
; COMPUTE_PGM_RSRC3_GFX90A:TG_SPLIT: 0
	.section	.text._ZN7rocprim17ROCPRIM_400000_NS6detail17trampoline_kernelINS0_14default_configENS1_29reduce_by_key_config_selectorIssN6thrust23THRUST_200600_302600_NS4plusIsEEEEZZNS1_33reduce_by_key_impl_wrapped_configILNS1_25lookback_scan_determinismE0ES3_S9_NS6_6detail15normal_iteratorINS6_10device_ptrIsEEEESG_SG_SG_PmS8_NS6_8equal_toIsEEEE10hipError_tPvRmT2_T3_mT4_T5_T6_T7_T8_P12ihipStream_tbENKUlT_T0_E_clISt17integral_constantIbLb0EES10_IbLb1EEEEDaSW_SX_EUlSW_E_NS1_11comp_targetILNS1_3genE8ELNS1_11target_archE1030ELNS1_3gpuE2ELNS1_3repE0EEENS1_30default_config_static_selectorELNS0_4arch9wavefront6targetE1EEEvT1_,"axG",@progbits,_ZN7rocprim17ROCPRIM_400000_NS6detail17trampoline_kernelINS0_14default_configENS1_29reduce_by_key_config_selectorIssN6thrust23THRUST_200600_302600_NS4plusIsEEEEZZNS1_33reduce_by_key_impl_wrapped_configILNS1_25lookback_scan_determinismE0ES3_S9_NS6_6detail15normal_iteratorINS6_10device_ptrIsEEEESG_SG_SG_PmS8_NS6_8equal_toIsEEEE10hipError_tPvRmT2_T3_mT4_T5_T6_T7_T8_P12ihipStream_tbENKUlT_T0_E_clISt17integral_constantIbLb0EES10_IbLb1EEEEDaSW_SX_EUlSW_E_NS1_11comp_targetILNS1_3genE8ELNS1_11target_archE1030ELNS1_3gpuE2ELNS1_3repE0EEENS1_30default_config_static_selectorELNS0_4arch9wavefront6targetE1EEEvT1_,comdat
	.protected	_ZN7rocprim17ROCPRIM_400000_NS6detail17trampoline_kernelINS0_14default_configENS1_29reduce_by_key_config_selectorIssN6thrust23THRUST_200600_302600_NS4plusIsEEEEZZNS1_33reduce_by_key_impl_wrapped_configILNS1_25lookback_scan_determinismE0ES3_S9_NS6_6detail15normal_iteratorINS6_10device_ptrIsEEEESG_SG_SG_PmS8_NS6_8equal_toIsEEEE10hipError_tPvRmT2_T3_mT4_T5_T6_T7_T8_P12ihipStream_tbENKUlT_T0_E_clISt17integral_constantIbLb0EES10_IbLb1EEEEDaSW_SX_EUlSW_E_NS1_11comp_targetILNS1_3genE8ELNS1_11target_archE1030ELNS1_3gpuE2ELNS1_3repE0EEENS1_30default_config_static_selectorELNS0_4arch9wavefront6targetE1EEEvT1_ ; -- Begin function _ZN7rocprim17ROCPRIM_400000_NS6detail17trampoline_kernelINS0_14default_configENS1_29reduce_by_key_config_selectorIssN6thrust23THRUST_200600_302600_NS4plusIsEEEEZZNS1_33reduce_by_key_impl_wrapped_configILNS1_25lookback_scan_determinismE0ES3_S9_NS6_6detail15normal_iteratorINS6_10device_ptrIsEEEESG_SG_SG_PmS8_NS6_8equal_toIsEEEE10hipError_tPvRmT2_T3_mT4_T5_T6_T7_T8_P12ihipStream_tbENKUlT_T0_E_clISt17integral_constantIbLb0EES10_IbLb1EEEEDaSW_SX_EUlSW_E_NS1_11comp_targetILNS1_3genE8ELNS1_11target_archE1030ELNS1_3gpuE2ELNS1_3repE0EEENS1_30default_config_static_selectorELNS0_4arch9wavefront6targetE1EEEvT1_
	.globl	_ZN7rocprim17ROCPRIM_400000_NS6detail17trampoline_kernelINS0_14default_configENS1_29reduce_by_key_config_selectorIssN6thrust23THRUST_200600_302600_NS4plusIsEEEEZZNS1_33reduce_by_key_impl_wrapped_configILNS1_25lookback_scan_determinismE0ES3_S9_NS6_6detail15normal_iteratorINS6_10device_ptrIsEEEESG_SG_SG_PmS8_NS6_8equal_toIsEEEE10hipError_tPvRmT2_T3_mT4_T5_T6_T7_T8_P12ihipStream_tbENKUlT_T0_E_clISt17integral_constantIbLb0EES10_IbLb1EEEEDaSW_SX_EUlSW_E_NS1_11comp_targetILNS1_3genE8ELNS1_11target_archE1030ELNS1_3gpuE2ELNS1_3repE0EEENS1_30default_config_static_selectorELNS0_4arch9wavefront6targetE1EEEvT1_
	.p2align	8
	.type	_ZN7rocprim17ROCPRIM_400000_NS6detail17trampoline_kernelINS0_14default_configENS1_29reduce_by_key_config_selectorIssN6thrust23THRUST_200600_302600_NS4plusIsEEEEZZNS1_33reduce_by_key_impl_wrapped_configILNS1_25lookback_scan_determinismE0ES3_S9_NS6_6detail15normal_iteratorINS6_10device_ptrIsEEEESG_SG_SG_PmS8_NS6_8equal_toIsEEEE10hipError_tPvRmT2_T3_mT4_T5_T6_T7_T8_P12ihipStream_tbENKUlT_T0_E_clISt17integral_constantIbLb0EES10_IbLb1EEEEDaSW_SX_EUlSW_E_NS1_11comp_targetILNS1_3genE8ELNS1_11target_archE1030ELNS1_3gpuE2ELNS1_3repE0EEENS1_30default_config_static_selectorELNS0_4arch9wavefront6targetE1EEEvT1_,@function
_ZN7rocprim17ROCPRIM_400000_NS6detail17trampoline_kernelINS0_14default_configENS1_29reduce_by_key_config_selectorIssN6thrust23THRUST_200600_302600_NS4plusIsEEEEZZNS1_33reduce_by_key_impl_wrapped_configILNS1_25lookback_scan_determinismE0ES3_S9_NS6_6detail15normal_iteratorINS6_10device_ptrIsEEEESG_SG_SG_PmS8_NS6_8equal_toIsEEEE10hipError_tPvRmT2_T3_mT4_T5_T6_T7_T8_P12ihipStream_tbENKUlT_T0_E_clISt17integral_constantIbLb0EES10_IbLb1EEEEDaSW_SX_EUlSW_E_NS1_11comp_targetILNS1_3genE8ELNS1_11target_archE1030ELNS1_3gpuE2ELNS1_3repE0EEENS1_30default_config_static_selectorELNS0_4arch9wavefront6targetE1EEEvT1_: ; @_ZN7rocprim17ROCPRIM_400000_NS6detail17trampoline_kernelINS0_14default_configENS1_29reduce_by_key_config_selectorIssN6thrust23THRUST_200600_302600_NS4plusIsEEEEZZNS1_33reduce_by_key_impl_wrapped_configILNS1_25lookback_scan_determinismE0ES3_S9_NS6_6detail15normal_iteratorINS6_10device_ptrIsEEEESG_SG_SG_PmS8_NS6_8equal_toIsEEEE10hipError_tPvRmT2_T3_mT4_T5_T6_T7_T8_P12ihipStream_tbENKUlT_T0_E_clISt17integral_constantIbLb0EES10_IbLb1EEEEDaSW_SX_EUlSW_E_NS1_11comp_targetILNS1_3genE8ELNS1_11target_archE1030ELNS1_3gpuE2ELNS1_3repE0EEENS1_30default_config_static_selectorELNS0_4arch9wavefront6targetE1EEEvT1_
; %bb.0:
	.section	.rodata,"a",@progbits
	.p2align	6, 0x0
	.amdhsa_kernel _ZN7rocprim17ROCPRIM_400000_NS6detail17trampoline_kernelINS0_14default_configENS1_29reduce_by_key_config_selectorIssN6thrust23THRUST_200600_302600_NS4plusIsEEEEZZNS1_33reduce_by_key_impl_wrapped_configILNS1_25lookback_scan_determinismE0ES3_S9_NS6_6detail15normal_iteratorINS6_10device_ptrIsEEEESG_SG_SG_PmS8_NS6_8equal_toIsEEEE10hipError_tPvRmT2_T3_mT4_T5_T6_T7_T8_P12ihipStream_tbENKUlT_T0_E_clISt17integral_constantIbLb0EES10_IbLb1EEEEDaSW_SX_EUlSW_E_NS1_11comp_targetILNS1_3genE8ELNS1_11target_archE1030ELNS1_3gpuE2ELNS1_3repE0EEENS1_30default_config_static_selectorELNS0_4arch9wavefront6targetE1EEEvT1_
		.amdhsa_group_segment_fixed_size 0
		.amdhsa_private_segment_fixed_size 0
		.amdhsa_kernarg_size 120
		.amdhsa_user_sgpr_count 6
		.amdhsa_user_sgpr_private_segment_buffer 1
		.amdhsa_user_sgpr_dispatch_ptr 0
		.amdhsa_user_sgpr_queue_ptr 0
		.amdhsa_user_sgpr_kernarg_segment_ptr 1
		.amdhsa_user_sgpr_dispatch_id 0
		.amdhsa_user_sgpr_flat_scratch_init 0
		.amdhsa_user_sgpr_kernarg_preload_length 0
		.amdhsa_user_sgpr_kernarg_preload_offset 0
		.amdhsa_user_sgpr_private_segment_size 0
		.amdhsa_uses_dynamic_stack 0
		.amdhsa_system_sgpr_private_segment_wavefront_offset 0
		.amdhsa_system_sgpr_workgroup_id_x 1
		.amdhsa_system_sgpr_workgroup_id_y 0
		.amdhsa_system_sgpr_workgroup_id_z 0
		.amdhsa_system_sgpr_workgroup_info 0
		.amdhsa_system_vgpr_workitem_id 0
		.amdhsa_next_free_vgpr 1
		.amdhsa_next_free_sgpr 0
		.amdhsa_accum_offset 4
		.amdhsa_reserve_vcc 0
		.amdhsa_reserve_flat_scratch 0
		.amdhsa_float_round_mode_32 0
		.amdhsa_float_round_mode_16_64 0
		.amdhsa_float_denorm_mode_32 3
		.amdhsa_float_denorm_mode_16_64 3
		.amdhsa_dx10_clamp 1
		.amdhsa_ieee_mode 1
		.amdhsa_fp16_overflow 0
		.amdhsa_tg_split 0
		.amdhsa_exception_fp_ieee_invalid_op 0
		.amdhsa_exception_fp_denorm_src 0
		.amdhsa_exception_fp_ieee_div_zero 0
		.amdhsa_exception_fp_ieee_overflow 0
		.amdhsa_exception_fp_ieee_underflow 0
		.amdhsa_exception_fp_ieee_inexact 0
		.amdhsa_exception_int_div_zero 0
	.end_amdhsa_kernel
	.section	.text._ZN7rocprim17ROCPRIM_400000_NS6detail17trampoline_kernelINS0_14default_configENS1_29reduce_by_key_config_selectorIssN6thrust23THRUST_200600_302600_NS4plusIsEEEEZZNS1_33reduce_by_key_impl_wrapped_configILNS1_25lookback_scan_determinismE0ES3_S9_NS6_6detail15normal_iteratorINS6_10device_ptrIsEEEESG_SG_SG_PmS8_NS6_8equal_toIsEEEE10hipError_tPvRmT2_T3_mT4_T5_T6_T7_T8_P12ihipStream_tbENKUlT_T0_E_clISt17integral_constantIbLb0EES10_IbLb1EEEEDaSW_SX_EUlSW_E_NS1_11comp_targetILNS1_3genE8ELNS1_11target_archE1030ELNS1_3gpuE2ELNS1_3repE0EEENS1_30default_config_static_selectorELNS0_4arch9wavefront6targetE1EEEvT1_,"axG",@progbits,_ZN7rocprim17ROCPRIM_400000_NS6detail17trampoline_kernelINS0_14default_configENS1_29reduce_by_key_config_selectorIssN6thrust23THRUST_200600_302600_NS4plusIsEEEEZZNS1_33reduce_by_key_impl_wrapped_configILNS1_25lookback_scan_determinismE0ES3_S9_NS6_6detail15normal_iteratorINS6_10device_ptrIsEEEESG_SG_SG_PmS8_NS6_8equal_toIsEEEE10hipError_tPvRmT2_T3_mT4_T5_T6_T7_T8_P12ihipStream_tbENKUlT_T0_E_clISt17integral_constantIbLb0EES10_IbLb1EEEEDaSW_SX_EUlSW_E_NS1_11comp_targetILNS1_3genE8ELNS1_11target_archE1030ELNS1_3gpuE2ELNS1_3repE0EEENS1_30default_config_static_selectorELNS0_4arch9wavefront6targetE1EEEvT1_,comdat
.Lfunc_end660:
	.size	_ZN7rocprim17ROCPRIM_400000_NS6detail17trampoline_kernelINS0_14default_configENS1_29reduce_by_key_config_selectorIssN6thrust23THRUST_200600_302600_NS4plusIsEEEEZZNS1_33reduce_by_key_impl_wrapped_configILNS1_25lookback_scan_determinismE0ES3_S9_NS6_6detail15normal_iteratorINS6_10device_ptrIsEEEESG_SG_SG_PmS8_NS6_8equal_toIsEEEE10hipError_tPvRmT2_T3_mT4_T5_T6_T7_T8_P12ihipStream_tbENKUlT_T0_E_clISt17integral_constantIbLb0EES10_IbLb1EEEEDaSW_SX_EUlSW_E_NS1_11comp_targetILNS1_3genE8ELNS1_11target_archE1030ELNS1_3gpuE2ELNS1_3repE0EEENS1_30default_config_static_selectorELNS0_4arch9wavefront6targetE1EEEvT1_, .Lfunc_end660-_ZN7rocprim17ROCPRIM_400000_NS6detail17trampoline_kernelINS0_14default_configENS1_29reduce_by_key_config_selectorIssN6thrust23THRUST_200600_302600_NS4plusIsEEEEZZNS1_33reduce_by_key_impl_wrapped_configILNS1_25lookback_scan_determinismE0ES3_S9_NS6_6detail15normal_iteratorINS6_10device_ptrIsEEEESG_SG_SG_PmS8_NS6_8equal_toIsEEEE10hipError_tPvRmT2_T3_mT4_T5_T6_T7_T8_P12ihipStream_tbENKUlT_T0_E_clISt17integral_constantIbLb0EES10_IbLb1EEEEDaSW_SX_EUlSW_E_NS1_11comp_targetILNS1_3genE8ELNS1_11target_archE1030ELNS1_3gpuE2ELNS1_3repE0EEENS1_30default_config_static_selectorELNS0_4arch9wavefront6targetE1EEEvT1_
                                        ; -- End function
	.section	.AMDGPU.csdata,"",@progbits
; Kernel info:
; codeLenInByte = 0
; NumSgprs: 4
; NumVgprs: 0
; NumAgprs: 0
; TotalNumVgprs: 0
; ScratchSize: 0
; MemoryBound: 0
; FloatMode: 240
; IeeeMode: 1
; LDSByteSize: 0 bytes/workgroup (compile time only)
; SGPRBlocks: 0
; VGPRBlocks: 0
; NumSGPRsForWavesPerEU: 4
; NumVGPRsForWavesPerEU: 1
; AccumOffset: 4
; Occupancy: 8
; WaveLimiterHint : 0
; COMPUTE_PGM_RSRC2:SCRATCH_EN: 0
; COMPUTE_PGM_RSRC2:USER_SGPR: 6
; COMPUTE_PGM_RSRC2:TRAP_HANDLER: 0
; COMPUTE_PGM_RSRC2:TGID_X_EN: 1
; COMPUTE_PGM_RSRC2:TGID_Y_EN: 0
; COMPUTE_PGM_RSRC2:TGID_Z_EN: 0
; COMPUTE_PGM_RSRC2:TIDIG_COMP_CNT: 0
; COMPUTE_PGM_RSRC3_GFX90A:ACCUM_OFFSET: 0
; COMPUTE_PGM_RSRC3_GFX90A:TG_SPLIT: 0
	.section	.text._ZN7rocprim17ROCPRIM_400000_NS6detail17trampoline_kernelINS0_14default_configENS1_29reduce_by_key_config_selectorIssN6thrust23THRUST_200600_302600_NS4plusIsEEEEZZNS1_33reduce_by_key_impl_wrapped_configILNS1_25lookback_scan_determinismE0ES3_S9_NS6_6detail15normal_iteratorINS6_10device_ptrIsEEEESG_SG_SG_PmS8_22is_equal_div_10_reduceIsEEE10hipError_tPvRmT2_T3_mT4_T5_T6_T7_T8_P12ihipStream_tbENKUlT_T0_E_clISt17integral_constantIbLb0EES11_EEDaSW_SX_EUlSW_E_NS1_11comp_targetILNS1_3genE0ELNS1_11target_archE4294967295ELNS1_3gpuE0ELNS1_3repE0EEENS1_30default_config_static_selectorELNS0_4arch9wavefront6targetE1EEEvT1_,"axG",@progbits,_ZN7rocprim17ROCPRIM_400000_NS6detail17trampoline_kernelINS0_14default_configENS1_29reduce_by_key_config_selectorIssN6thrust23THRUST_200600_302600_NS4plusIsEEEEZZNS1_33reduce_by_key_impl_wrapped_configILNS1_25lookback_scan_determinismE0ES3_S9_NS6_6detail15normal_iteratorINS6_10device_ptrIsEEEESG_SG_SG_PmS8_22is_equal_div_10_reduceIsEEE10hipError_tPvRmT2_T3_mT4_T5_T6_T7_T8_P12ihipStream_tbENKUlT_T0_E_clISt17integral_constantIbLb0EES11_EEDaSW_SX_EUlSW_E_NS1_11comp_targetILNS1_3genE0ELNS1_11target_archE4294967295ELNS1_3gpuE0ELNS1_3repE0EEENS1_30default_config_static_selectorELNS0_4arch9wavefront6targetE1EEEvT1_,comdat
	.protected	_ZN7rocprim17ROCPRIM_400000_NS6detail17trampoline_kernelINS0_14default_configENS1_29reduce_by_key_config_selectorIssN6thrust23THRUST_200600_302600_NS4plusIsEEEEZZNS1_33reduce_by_key_impl_wrapped_configILNS1_25lookback_scan_determinismE0ES3_S9_NS6_6detail15normal_iteratorINS6_10device_ptrIsEEEESG_SG_SG_PmS8_22is_equal_div_10_reduceIsEEE10hipError_tPvRmT2_T3_mT4_T5_T6_T7_T8_P12ihipStream_tbENKUlT_T0_E_clISt17integral_constantIbLb0EES11_EEDaSW_SX_EUlSW_E_NS1_11comp_targetILNS1_3genE0ELNS1_11target_archE4294967295ELNS1_3gpuE0ELNS1_3repE0EEENS1_30default_config_static_selectorELNS0_4arch9wavefront6targetE1EEEvT1_ ; -- Begin function _ZN7rocprim17ROCPRIM_400000_NS6detail17trampoline_kernelINS0_14default_configENS1_29reduce_by_key_config_selectorIssN6thrust23THRUST_200600_302600_NS4plusIsEEEEZZNS1_33reduce_by_key_impl_wrapped_configILNS1_25lookback_scan_determinismE0ES3_S9_NS6_6detail15normal_iteratorINS6_10device_ptrIsEEEESG_SG_SG_PmS8_22is_equal_div_10_reduceIsEEE10hipError_tPvRmT2_T3_mT4_T5_T6_T7_T8_P12ihipStream_tbENKUlT_T0_E_clISt17integral_constantIbLb0EES11_EEDaSW_SX_EUlSW_E_NS1_11comp_targetILNS1_3genE0ELNS1_11target_archE4294967295ELNS1_3gpuE0ELNS1_3repE0EEENS1_30default_config_static_selectorELNS0_4arch9wavefront6targetE1EEEvT1_
	.globl	_ZN7rocprim17ROCPRIM_400000_NS6detail17trampoline_kernelINS0_14default_configENS1_29reduce_by_key_config_selectorIssN6thrust23THRUST_200600_302600_NS4plusIsEEEEZZNS1_33reduce_by_key_impl_wrapped_configILNS1_25lookback_scan_determinismE0ES3_S9_NS6_6detail15normal_iteratorINS6_10device_ptrIsEEEESG_SG_SG_PmS8_22is_equal_div_10_reduceIsEEE10hipError_tPvRmT2_T3_mT4_T5_T6_T7_T8_P12ihipStream_tbENKUlT_T0_E_clISt17integral_constantIbLb0EES11_EEDaSW_SX_EUlSW_E_NS1_11comp_targetILNS1_3genE0ELNS1_11target_archE4294967295ELNS1_3gpuE0ELNS1_3repE0EEENS1_30default_config_static_selectorELNS0_4arch9wavefront6targetE1EEEvT1_
	.p2align	8
	.type	_ZN7rocprim17ROCPRIM_400000_NS6detail17trampoline_kernelINS0_14default_configENS1_29reduce_by_key_config_selectorIssN6thrust23THRUST_200600_302600_NS4plusIsEEEEZZNS1_33reduce_by_key_impl_wrapped_configILNS1_25lookback_scan_determinismE0ES3_S9_NS6_6detail15normal_iteratorINS6_10device_ptrIsEEEESG_SG_SG_PmS8_22is_equal_div_10_reduceIsEEE10hipError_tPvRmT2_T3_mT4_T5_T6_T7_T8_P12ihipStream_tbENKUlT_T0_E_clISt17integral_constantIbLb0EES11_EEDaSW_SX_EUlSW_E_NS1_11comp_targetILNS1_3genE0ELNS1_11target_archE4294967295ELNS1_3gpuE0ELNS1_3repE0EEENS1_30default_config_static_selectorELNS0_4arch9wavefront6targetE1EEEvT1_,@function
_ZN7rocprim17ROCPRIM_400000_NS6detail17trampoline_kernelINS0_14default_configENS1_29reduce_by_key_config_selectorIssN6thrust23THRUST_200600_302600_NS4plusIsEEEEZZNS1_33reduce_by_key_impl_wrapped_configILNS1_25lookback_scan_determinismE0ES3_S9_NS6_6detail15normal_iteratorINS6_10device_ptrIsEEEESG_SG_SG_PmS8_22is_equal_div_10_reduceIsEEE10hipError_tPvRmT2_T3_mT4_T5_T6_T7_T8_P12ihipStream_tbENKUlT_T0_E_clISt17integral_constantIbLb0EES11_EEDaSW_SX_EUlSW_E_NS1_11comp_targetILNS1_3genE0ELNS1_11target_archE4294967295ELNS1_3gpuE0ELNS1_3repE0EEENS1_30default_config_static_selectorELNS0_4arch9wavefront6targetE1EEEvT1_: ; @_ZN7rocprim17ROCPRIM_400000_NS6detail17trampoline_kernelINS0_14default_configENS1_29reduce_by_key_config_selectorIssN6thrust23THRUST_200600_302600_NS4plusIsEEEEZZNS1_33reduce_by_key_impl_wrapped_configILNS1_25lookback_scan_determinismE0ES3_S9_NS6_6detail15normal_iteratorINS6_10device_ptrIsEEEESG_SG_SG_PmS8_22is_equal_div_10_reduceIsEEE10hipError_tPvRmT2_T3_mT4_T5_T6_T7_T8_P12ihipStream_tbENKUlT_T0_E_clISt17integral_constantIbLb0EES11_EEDaSW_SX_EUlSW_E_NS1_11comp_targetILNS1_3genE0ELNS1_11target_archE4294967295ELNS1_3gpuE0ELNS1_3repE0EEENS1_30default_config_static_selectorELNS0_4arch9wavefront6targetE1EEEvT1_
; %bb.0:
	.section	.rodata,"a",@progbits
	.p2align	6, 0x0
	.amdhsa_kernel _ZN7rocprim17ROCPRIM_400000_NS6detail17trampoline_kernelINS0_14default_configENS1_29reduce_by_key_config_selectorIssN6thrust23THRUST_200600_302600_NS4plusIsEEEEZZNS1_33reduce_by_key_impl_wrapped_configILNS1_25lookback_scan_determinismE0ES3_S9_NS6_6detail15normal_iteratorINS6_10device_ptrIsEEEESG_SG_SG_PmS8_22is_equal_div_10_reduceIsEEE10hipError_tPvRmT2_T3_mT4_T5_T6_T7_T8_P12ihipStream_tbENKUlT_T0_E_clISt17integral_constantIbLb0EES11_EEDaSW_SX_EUlSW_E_NS1_11comp_targetILNS1_3genE0ELNS1_11target_archE4294967295ELNS1_3gpuE0ELNS1_3repE0EEENS1_30default_config_static_selectorELNS0_4arch9wavefront6targetE1EEEvT1_
		.amdhsa_group_segment_fixed_size 0
		.amdhsa_private_segment_fixed_size 0
		.amdhsa_kernarg_size 120
		.amdhsa_user_sgpr_count 6
		.amdhsa_user_sgpr_private_segment_buffer 1
		.amdhsa_user_sgpr_dispatch_ptr 0
		.amdhsa_user_sgpr_queue_ptr 0
		.amdhsa_user_sgpr_kernarg_segment_ptr 1
		.amdhsa_user_sgpr_dispatch_id 0
		.amdhsa_user_sgpr_flat_scratch_init 0
		.amdhsa_user_sgpr_kernarg_preload_length 0
		.amdhsa_user_sgpr_kernarg_preload_offset 0
		.amdhsa_user_sgpr_private_segment_size 0
		.amdhsa_uses_dynamic_stack 0
		.amdhsa_system_sgpr_private_segment_wavefront_offset 0
		.amdhsa_system_sgpr_workgroup_id_x 1
		.amdhsa_system_sgpr_workgroup_id_y 0
		.amdhsa_system_sgpr_workgroup_id_z 0
		.amdhsa_system_sgpr_workgroup_info 0
		.amdhsa_system_vgpr_workitem_id 0
		.amdhsa_next_free_vgpr 1
		.amdhsa_next_free_sgpr 0
		.amdhsa_accum_offset 4
		.amdhsa_reserve_vcc 0
		.amdhsa_reserve_flat_scratch 0
		.amdhsa_float_round_mode_32 0
		.amdhsa_float_round_mode_16_64 0
		.amdhsa_float_denorm_mode_32 3
		.amdhsa_float_denorm_mode_16_64 3
		.amdhsa_dx10_clamp 1
		.amdhsa_ieee_mode 1
		.amdhsa_fp16_overflow 0
		.amdhsa_tg_split 0
		.amdhsa_exception_fp_ieee_invalid_op 0
		.amdhsa_exception_fp_denorm_src 0
		.amdhsa_exception_fp_ieee_div_zero 0
		.amdhsa_exception_fp_ieee_overflow 0
		.amdhsa_exception_fp_ieee_underflow 0
		.amdhsa_exception_fp_ieee_inexact 0
		.amdhsa_exception_int_div_zero 0
	.end_amdhsa_kernel
	.section	.text._ZN7rocprim17ROCPRIM_400000_NS6detail17trampoline_kernelINS0_14default_configENS1_29reduce_by_key_config_selectorIssN6thrust23THRUST_200600_302600_NS4plusIsEEEEZZNS1_33reduce_by_key_impl_wrapped_configILNS1_25lookback_scan_determinismE0ES3_S9_NS6_6detail15normal_iteratorINS6_10device_ptrIsEEEESG_SG_SG_PmS8_22is_equal_div_10_reduceIsEEE10hipError_tPvRmT2_T3_mT4_T5_T6_T7_T8_P12ihipStream_tbENKUlT_T0_E_clISt17integral_constantIbLb0EES11_EEDaSW_SX_EUlSW_E_NS1_11comp_targetILNS1_3genE0ELNS1_11target_archE4294967295ELNS1_3gpuE0ELNS1_3repE0EEENS1_30default_config_static_selectorELNS0_4arch9wavefront6targetE1EEEvT1_,"axG",@progbits,_ZN7rocprim17ROCPRIM_400000_NS6detail17trampoline_kernelINS0_14default_configENS1_29reduce_by_key_config_selectorIssN6thrust23THRUST_200600_302600_NS4plusIsEEEEZZNS1_33reduce_by_key_impl_wrapped_configILNS1_25lookback_scan_determinismE0ES3_S9_NS6_6detail15normal_iteratorINS6_10device_ptrIsEEEESG_SG_SG_PmS8_22is_equal_div_10_reduceIsEEE10hipError_tPvRmT2_T3_mT4_T5_T6_T7_T8_P12ihipStream_tbENKUlT_T0_E_clISt17integral_constantIbLb0EES11_EEDaSW_SX_EUlSW_E_NS1_11comp_targetILNS1_3genE0ELNS1_11target_archE4294967295ELNS1_3gpuE0ELNS1_3repE0EEENS1_30default_config_static_selectorELNS0_4arch9wavefront6targetE1EEEvT1_,comdat
.Lfunc_end661:
	.size	_ZN7rocprim17ROCPRIM_400000_NS6detail17trampoline_kernelINS0_14default_configENS1_29reduce_by_key_config_selectorIssN6thrust23THRUST_200600_302600_NS4plusIsEEEEZZNS1_33reduce_by_key_impl_wrapped_configILNS1_25lookback_scan_determinismE0ES3_S9_NS6_6detail15normal_iteratorINS6_10device_ptrIsEEEESG_SG_SG_PmS8_22is_equal_div_10_reduceIsEEE10hipError_tPvRmT2_T3_mT4_T5_T6_T7_T8_P12ihipStream_tbENKUlT_T0_E_clISt17integral_constantIbLb0EES11_EEDaSW_SX_EUlSW_E_NS1_11comp_targetILNS1_3genE0ELNS1_11target_archE4294967295ELNS1_3gpuE0ELNS1_3repE0EEENS1_30default_config_static_selectorELNS0_4arch9wavefront6targetE1EEEvT1_, .Lfunc_end661-_ZN7rocprim17ROCPRIM_400000_NS6detail17trampoline_kernelINS0_14default_configENS1_29reduce_by_key_config_selectorIssN6thrust23THRUST_200600_302600_NS4plusIsEEEEZZNS1_33reduce_by_key_impl_wrapped_configILNS1_25lookback_scan_determinismE0ES3_S9_NS6_6detail15normal_iteratorINS6_10device_ptrIsEEEESG_SG_SG_PmS8_22is_equal_div_10_reduceIsEEE10hipError_tPvRmT2_T3_mT4_T5_T6_T7_T8_P12ihipStream_tbENKUlT_T0_E_clISt17integral_constantIbLb0EES11_EEDaSW_SX_EUlSW_E_NS1_11comp_targetILNS1_3genE0ELNS1_11target_archE4294967295ELNS1_3gpuE0ELNS1_3repE0EEENS1_30default_config_static_selectorELNS0_4arch9wavefront6targetE1EEEvT1_
                                        ; -- End function
	.section	.AMDGPU.csdata,"",@progbits
; Kernel info:
; codeLenInByte = 0
; NumSgprs: 4
; NumVgprs: 0
; NumAgprs: 0
; TotalNumVgprs: 0
; ScratchSize: 0
; MemoryBound: 0
; FloatMode: 240
; IeeeMode: 1
; LDSByteSize: 0 bytes/workgroup (compile time only)
; SGPRBlocks: 0
; VGPRBlocks: 0
; NumSGPRsForWavesPerEU: 4
; NumVGPRsForWavesPerEU: 1
; AccumOffset: 4
; Occupancy: 8
; WaveLimiterHint : 0
; COMPUTE_PGM_RSRC2:SCRATCH_EN: 0
; COMPUTE_PGM_RSRC2:USER_SGPR: 6
; COMPUTE_PGM_RSRC2:TRAP_HANDLER: 0
; COMPUTE_PGM_RSRC2:TGID_X_EN: 1
; COMPUTE_PGM_RSRC2:TGID_Y_EN: 0
; COMPUTE_PGM_RSRC2:TGID_Z_EN: 0
; COMPUTE_PGM_RSRC2:TIDIG_COMP_CNT: 0
; COMPUTE_PGM_RSRC3_GFX90A:ACCUM_OFFSET: 0
; COMPUTE_PGM_RSRC3_GFX90A:TG_SPLIT: 0
	.section	.text._ZN7rocprim17ROCPRIM_400000_NS6detail17trampoline_kernelINS0_14default_configENS1_29reduce_by_key_config_selectorIssN6thrust23THRUST_200600_302600_NS4plusIsEEEEZZNS1_33reduce_by_key_impl_wrapped_configILNS1_25lookback_scan_determinismE0ES3_S9_NS6_6detail15normal_iteratorINS6_10device_ptrIsEEEESG_SG_SG_PmS8_22is_equal_div_10_reduceIsEEE10hipError_tPvRmT2_T3_mT4_T5_T6_T7_T8_P12ihipStream_tbENKUlT_T0_E_clISt17integral_constantIbLb0EES11_EEDaSW_SX_EUlSW_E_NS1_11comp_targetILNS1_3genE5ELNS1_11target_archE942ELNS1_3gpuE9ELNS1_3repE0EEENS1_30default_config_static_selectorELNS0_4arch9wavefront6targetE1EEEvT1_,"axG",@progbits,_ZN7rocprim17ROCPRIM_400000_NS6detail17trampoline_kernelINS0_14default_configENS1_29reduce_by_key_config_selectorIssN6thrust23THRUST_200600_302600_NS4plusIsEEEEZZNS1_33reduce_by_key_impl_wrapped_configILNS1_25lookback_scan_determinismE0ES3_S9_NS6_6detail15normal_iteratorINS6_10device_ptrIsEEEESG_SG_SG_PmS8_22is_equal_div_10_reduceIsEEE10hipError_tPvRmT2_T3_mT4_T5_T6_T7_T8_P12ihipStream_tbENKUlT_T0_E_clISt17integral_constantIbLb0EES11_EEDaSW_SX_EUlSW_E_NS1_11comp_targetILNS1_3genE5ELNS1_11target_archE942ELNS1_3gpuE9ELNS1_3repE0EEENS1_30default_config_static_selectorELNS0_4arch9wavefront6targetE1EEEvT1_,comdat
	.protected	_ZN7rocprim17ROCPRIM_400000_NS6detail17trampoline_kernelINS0_14default_configENS1_29reduce_by_key_config_selectorIssN6thrust23THRUST_200600_302600_NS4plusIsEEEEZZNS1_33reduce_by_key_impl_wrapped_configILNS1_25lookback_scan_determinismE0ES3_S9_NS6_6detail15normal_iteratorINS6_10device_ptrIsEEEESG_SG_SG_PmS8_22is_equal_div_10_reduceIsEEE10hipError_tPvRmT2_T3_mT4_T5_T6_T7_T8_P12ihipStream_tbENKUlT_T0_E_clISt17integral_constantIbLb0EES11_EEDaSW_SX_EUlSW_E_NS1_11comp_targetILNS1_3genE5ELNS1_11target_archE942ELNS1_3gpuE9ELNS1_3repE0EEENS1_30default_config_static_selectorELNS0_4arch9wavefront6targetE1EEEvT1_ ; -- Begin function _ZN7rocprim17ROCPRIM_400000_NS6detail17trampoline_kernelINS0_14default_configENS1_29reduce_by_key_config_selectorIssN6thrust23THRUST_200600_302600_NS4plusIsEEEEZZNS1_33reduce_by_key_impl_wrapped_configILNS1_25lookback_scan_determinismE0ES3_S9_NS6_6detail15normal_iteratorINS6_10device_ptrIsEEEESG_SG_SG_PmS8_22is_equal_div_10_reduceIsEEE10hipError_tPvRmT2_T3_mT4_T5_T6_T7_T8_P12ihipStream_tbENKUlT_T0_E_clISt17integral_constantIbLb0EES11_EEDaSW_SX_EUlSW_E_NS1_11comp_targetILNS1_3genE5ELNS1_11target_archE942ELNS1_3gpuE9ELNS1_3repE0EEENS1_30default_config_static_selectorELNS0_4arch9wavefront6targetE1EEEvT1_
	.globl	_ZN7rocprim17ROCPRIM_400000_NS6detail17trampoline_kernelINS0_14default_configENS1_29reduce_by_key_config_selectorIssN6thrust23THRUST_200600_302600_NS4plusIsEEEEZZNS1_33reduce_by_key_impl_wrapped_configILNS1_25lookback_scan_determinismE0ES3_S9_NS6_6detail15normal_iteratorINS6_10device_ptrIsEEEESG_SG_SG_PmS8_22is_equal_div_10_reduceIsEEE10hipError_tPvRmT2_T3_mT4_T5_T6_T7_T8_P12ihipStream_tbENKUlT_T0_E_clISt17integral_constantIbLb0EES11_EEDaSW_SX_EUlSW_E_NS1_11comp_targetILNS1_3genE5ELNS1_11target_archE942ELNS1_3gpuE9ELNS1_3repE0EEENS1_30default_config_static_selectorELNS0_4arch9wavefront6targetE1EEEvT1_
	.p2align	8
	.type	_ZN7rocprim17ROCPRIM_400000_NS6detail17trampoline_kernelINS0_14default_configENS1_29reduce_by_key_config_selectorIssN6thrust23THRUST_200600_302600_NS4plusIsEEEEZZNS1_33reduce_by_key_impl_wrapped_configILNS1_25lookback_scan_determinismE0ES3_S9_NS6_6detail15normal_iteratorINS6_10device_ptrIsEEEESG_SG_SG_PmS8_22is_equal_div_10_reduceIsEEE10hipError_tPvRmT2_T3_mT4_T5_T6_T7_T8_P12ihipStream_tbENKUlT_T0_E_clISt17integral_constantIbLb0EES11_EEDaSW_SX_EUlSW_E_NS1_11comp_targetILNS1_3genE5ELNS1_11target_archE942ELNS1_3gpuE9ELNS1_3repE0EEENS1_30default_config_static_selectorELNS0_4arch9wavefront6targetE1EEEvT1_,@function
_ZN7rocprim17ROCPRIM_400000_NS6detail17trampoline_kernelINS0_14default_configENS1_29reduce_by_key_config_selectorIssN6thrust23THRUST_200600_302600_NS4plusIsEEEEZZNS1_33reduce_by_key_impl_wrapped_configILNS1_25lookback_scan_determinismE0ES3_S9_NS6_6detail15normal_iteratorINS6_10device_ptrIsEEEESG_SG_SG_PmS8_22is_equal_div_10_reduceIsEEE10hipError_tPvRmT2_T3_mT4_T5_T6_T7_T8_P12ihipStream_tbENKUlT_T0_E_clISt17integral_constantIbLb0EES11_EEDaSW_SX_EUlSW_E_NS1_11comp_targetILNS1_3genE5ELNS1_11target_archE942ELNS1_3gpuE9ELNS1_3repE0EEENS1_30default_config_static_selectorELNS0_4arch9wavefront6targetE1EEEvT1_: ; @_ZN7rocprim17ROCPRIM_400000_NS6detail17trampoline_kernelINS0_14default_configENS1_29reduce_by_key_config_selectorIssN6thrust23THRUST_200600_302600_NS4plusIsEEEEZZNS1_33reduce_by_key_impl_wrapped_configILNS1_25lookback_scan_determinismE0ES3_S9_NS6_6detail15normal_iteratorINS6_10device_ptrIsEEEESG_SG_SG_PmS8_22is_equal_div_10_reduceIsEEE10hipError_tPvRmT2_T3_mT4_T5_T6_T7_T8_P12ihipStream_tbENKUlT_T0_E_clISt17integral_constantIbLb0EES11_EEDaSW_SX_EUlSW_E_NS1_11comp_targetILNS1_3genE5ELNS1_11target_archE942ELNS1_3gpuE9ELNS1_3repE0EEENS1_30default_config_static_selectorELNS0_4arch9wavefront6targetE1EEEvT1_
; %bb.0:
	.section	.rodata,"a",@progbits
	.p2align	6, 0x0
	.amdhsa_kernel _ZN7rocprim17ROCPRIM_400000_NS6detail17trampoline_kernelINS0_14default_configENS1_29reduce_by_key_config_selectorIssN6thrust23THRUST_200600_302600_NS4plusIsEEEEZZNS1_33reduce_by_key_impl_wrapped_configILNS1_25lookback_scan_determinismE0ES3_S9_NS6_6detail15normal_iteratorINS6_10device_ptrIsEEEESG_SG_SG_PmS8_22is_equal_div_10_reduceIsEEE10hipError_tPvRmT2_T3_mT4_T5_T6_T7_T8_P12ihipStream_tbENKUlT_T0_E_clISt17integral_constantIbLb0EES11_EEDaSW_SX_EUlSW_E_NS1_11comp_targetILNS1_3genE5ELNS1_11target_archE942ELNS1_3gpuE9ELNS1_3repE0EEENS1_30default_config_static_selectorELNS0_4arch9wavefront6targetE1EEEvT1_
		.amdhsa_group_segment_fixed_size 0
		.amdhsa_private_segment_fixed_size 0
		.amdhsa_kernarg_size 120
		.amdhsa_user_sgpr_count 6
		.amdhsa_user_sgpr_private_segment_buffer 1
		.amdhsa_user_sgpr_dispatch_ptr 0
		.amdhsa_user_sgpr_queue_ptr 0
		.amdhsa_user_sgpr_kernarg_segment_ptr 1
		.amdhsa_user_sgpr_dispatch_id 0
		.amdhsa_user_sgpr_flat_scratch_init 0
		.amdhsa_user_sgpr_kernarg_preload_length 0
		.amdhsa_user_sgpr_kernarg_preload_offset 0
		.amdhsa_user_sgpr_private_segment_size 0
		.amdhsa_uses_dynamic_stack 0
		.amdhsa_system_sgpr_private_segment_wavefront_offset 0
		.amdhsa_system_sgpr_workgroup_id_x 1
		.amdhsa_system_sgpr_workgroup_id_y 0
		.amdhsa_system_sgpr_workgroup_id_z 0
		.amdhsa_system_sgpr_workgroup_info 0
		.amdhsa_system_vgpr_workitem_id 0
		.amdhsa_next_free_vgpr 1
		.amdhsa_next_free_sgpr 0
		.amdhsa_accum_offset 4
		.amdhsa_reserve_vcc 0
		.amdhsa_reserve_flat_scratch 0
		.amdhsa_float_round_mode_32 0
		.amdhsa_float_round_mode_16_64 0
		.amdhsa_float_denorm_mode_32 3
		.amdhsa_float_denorm_mode_16_64 3
		.amdhsa_dx10_clamp 1
		.amdhsa_ieee_mode 1
		.amdhsa_fp16_overflow 0
		.amdhsa_tg_split 0
		.amdhsa_exception_fp_ieee_invalid_op 0
		.amdhsa_exception_fp_denorm_src 0
		.amdhsa_exception_fp_ieee_div_zero 0
		.amdhsa_exception_fp_ieee_overflow 0
		.amdhsa_exception_fp_ieee_underflow 0
		.amdhsa_exception_fp_ieee_inexact 0
		.amdhsa_exception_int_div_zero 0
	.end_amdhsa_kernel
	.section	.text._ZN7rocprim17ROCPRIM_400000_NS6detail17trampoline_kernelINS0_14default_configENS1_29reduce_by_key_config_selectorIssN6thrust23THRUST_200600_302600_NS4plusIsEEEEZZNS1_33reduce_by_key_impl_wrapped_configILNS1_25lookback_scan_determinismE0ES3_S9_NS6_6detail15normal_iteratorINS6_10device_ptrIsEEEESG_SG_SG_PmS8_22is_equal_div_10_reduceIsEEE10hipError_tPvRmT2_T3_mT4_T5_T6_T7_T8_P12ihipStream_tbENKUlT_T0_E_clISt17integral_constantIbLb0EES11_EEDaSW_SX_EUlSW_E_NS1_11comp_targetILNS1_3genE5ELNS1_11target_archE942ELNS1_3gpuE9ELNS1_3repE0EEENS1_30default_config_static_selectorELNS0_4arch9wavefront6targetE1EEEvT1_,"axG",@progbits,_ZN7rocprim17ROCPRIM_400000_NS6detail17trampoline_kernelINS0_14default_configENS1_29reduce_by_key_config_selectorIssN6thrust23THRUST_200600_302600_NS4plusIsEEEEZZNS1_33reduce_by_key_impl_wrapped_configILNS1_25lookback_scan_determinismE0ES3_S9_NS6_6detail15normal_iteratorINS6_10device_ptrIsEEEESG_SG_SG_PmS8_22is_equal_div_10_reduceIsEEE10hipError_tPvRmT2_T3_mT4_T5_T6_T7_T8_P12ihipStream_tbENKUlT_T0_E_clISt17integral_constantIbLb0EES11_EEDaSW_SX_EUlSW_E_NS1_11comp_targetILNS1_3genE5ELNS1_11target_archE942ELNS1_3gpuE9ELNS1_3repE0EEENS1_30default_config_static_selectorELNS0_4arch9wavefront6targetE1EEEvT1_,comdat
.Lfunc_end662:
	.size	_ZN7rocprim17ROCPRIM_400000_NS6detail17trampoline_kernelINS0_14default_configENS1_29reduce_by_key_config_selectorIssN6thrust23THRUST_200600_302600_NS4plusIsEEEEZZNS1_33reduce_by_key_impl_wrapped_configILNS1_25lookback_scan_determinismE0ES3_S9_NS6_6detail15normal_iteratorINS6_10device_ptrIsEEEESG_SG_SG_PmS8_22is_equal_div_10_reduceIsEEE10hipError_tPvRmT2_T3_mT4_T5_T6_T7_T8_P12ihipStream_tbENKUlT_T0_E_clISt17integral_constantIbLb0EES11_EEDaSW_SX_EUlSW_E_NS1_11comp_targetILNS1_3genE5ELNS1_11target_archE942ELNS1_3gpuE9ELNS1_3repE0EEENS1_30default_config_static_selectorELNS0_4arch9wavefront6targetE1EEEvT1_, .Lfunc_end662-_ZN7rocprim17ROCPRIM_400000_NS6detail17trampoline_kernelINS0_14default_configENS1_29reduce_by_key_config_selectorIssN6thrust23THRUST_200600_302600_NS4plusIsEEEEZZNS1_33reduce_by_key_impl_wrapped_configILNS1_25lookback_scan_determinismE0ES3_S9_NS6_6detail15normal_iteratorINS6_10device_ptrIsEEEESG_SG_SG_PmS8_22is_equal_div_10_reduceIsEEE10hipError_tPvRmT2_T3_mT4_T5_T6_T7_T8_P12ihipStream_tbENKUlT_T0_E_clISt17integral_constantIbLb0EES11_EEDaSW_SX_EUlSW_E_NS1_11comp_targetILNS1_3genE5ELNS1_11target_archE942ELNS1_3gpuE9ELNS1_3repE0EEENS1_30default_config_static_selectorELNS0_4arch9wavefront6targetE1EEEvT1_
                                        ; -- End function
	.section	.AMDGPU.csdata,"",@progbits
; Kernel info:
; codeLenInByte = 0
; NumSgprs: 4
; NumVgprs: 0
; NumAgprs: 0
; TotalNumVgprs: 0
; ScratchSize: 0
; MemoryBound: 0
; FloatMode: 240
; IeeeMode: 1
; LDSByteSize: 0 bytes/workgroup (compile time only)
; SGPRBlocks: 0
; VGPRBlocks: 0
; NumSGPRsForWavesPerEU: 4
; NumVGPRsForWavesPerEU: 1
; AccumOffset: 4
; Occupancy: 8
; WaveLimiterHint : 0
; COMPUTE_PGM_RSRC2:SCRATCH_EN: 0
; COMPUTE_PGM_RSRC2:USER_SGPR: 6
; COMPUTE_PGM_RSRC2:TRAP_HANDLER: 0
; COMPUTE_PGM_RSRC2:TGID_X_EN: 1
; COMPUTE_PGM_RSRC2:TGID_Y_EN: 0
; COMPUTE_PGM_RSRC2:TGID_Z_EN: 0
; COMPUTE_PGM_RSRC2:TIDIG_COMP_CNT: 0
; COMPUTE_PGM_RSRC3_GFX90A:ACCUM_OFFSET: 0
; COMPUTE_PGM_RSRC3_GFX90A:TG_SPLIT: 0
	.section	.text._ZN7rocprim17ROCPRIM_400000_NS6detail17trampoline_kernelINS0_14default_configENS1_29reduce_by_key_config_selectorIssN6thrust23THRUST_200600_302600_NS4plusIsEEEEZZNS1_33reduce_by_key_impl_wrapped_configILNS1_25lookback_scan_determinismE0ES3_S9_NS6_6detail15normal_iteratorINS6_10device_ptrIsEEEESG_SG_SG_PmS8_22is_equal_div_10_reduceIsEEE10hipError_tPvRmT2_T3_mT4_T5_T6_T7_T8_P12ihipStream_tbENKUlT_T0_E_clISt17integral_constantIbLb0EES11_EEDaSW_SX_EUlSW_E_NS1_11comp_targetILNS1_3genE4ELNS1_11target_archE910ELNS1_3gpuE8ELNS1_3repE0EEENS1_30default_config_static_selectorELNS0_4arch9wavefront6targetE1EEEvT1_,"axG",@progbits,_ZN7rocprim17ROCPRIM_400000_NS6detail17trampoline_kernelINS0_14default_configENS1_29reduce_by_key_config_selectorIssN6thrust23THRUST_200600_302600_NS4plusIsEEEEZZNS1_33reduce_by_key_impl_wrapped_configILNS1_25lookback_scan_determinismE0ES3_S9_NS6_6detail15normal_iteratorINS6_10device_ptrIsEEEESG_SG_SG_PmS8_22is_equal_div_10_reduceIsEEE10hipError_tPvRmT2_T3_mT4_T5_T6_T7_T8_P12ihipStream_tbENKUlT_T0_E_clISt17integral_constantIbLb0EES11_EEDaSW_SX_EUlSW_E_NS1_11comp_targetILNS1_3genE4ELNS1_11target_archE910ELNS1_3gpuE8ELNS1_3repE0EEENS1_30default_config_static_selectorELNS0_4arch9wavefront6targetE1EEEvT1_,comdat
	.protected	_ZN7rocprim17ROCPRIM_400000_NS6detail17trampoline_kernelINS0_14default_configENS1_29reduce_by_key_config_selectorIssN6thrust23THRUST_200600_302600_NS4plusIsEEEEZZNS1_33reduce_by_key_impl_wrapped_configILNS1_25lookback_scan_determinismE0ES3_S9_NS6_6detail15normal_iteratorINS6_10device_ptrIsEEEESG_SG_SG_PmS8_22is_equal_div_10_reduceIsEEE10hipError_tPvRmT2_T3_mT4_T5_T6_T7_T8_P12ihipStream_tbENKUlT_T0_E_clISt17integral_constantIbLb0EES11_EEDaSW_SX_EUlSW_E_NS1_11comp_targetILNS1_3genE4ELNS1_11target_archE910ELNS1_3gpuE8ELNS1_3repE0EEENS1_30default_config_static_selectorELNS0_4arch9wavefront6targetE1EEEvT1_ ; -- Begin function _ZN7rocprim17ROCPRIM_400000_NS6detail17trampoline_kernelINS0_14default_configENS1_29reduce_by_key_config_selectorIssN6thrust23THRUST_200600_302600_NS4plusIsEEEEZZNS1_33reduce_by_key_impl_wrapped_configILNS1_25lookback_scan_determinismE0ES3_S9_NS6_6detail15normal_iteratorINS6_10device_ptrIsEEEESG_SG_SG_PmS8_22is_equal_div_10_reduceIsEEE10hipError_tPvRmT2_T3_mT4_T5_T6_T7_T8_P12ihipStream_tbENKUlT_T0_E_clISt17integral_constantIbLb0EES11_EEDaSW_SX_EUlSW_E_NS1_11comp_targetILNS1_3genE4ELNS1_11target_archE910ELNS1_3gpuE8ELNS1_3repE0EEENS1_30default_config_static_selectorELNS0_4arch9wavefront6targetE1EEEvT1_
	.globl	_ZN7rocprim17ROCPRIM_400000_NS6detail17trampoline_kernelINS0_14default_configENS1_29reduce_by_key_config_selectorIssN6thrust23THRUST_200600_302600_NS4plusIsEEEEZZNS1_33reduce_by_key_impl_wrapped_configILNS1_25lookback_scan_determinismE0ES3_S9_NS6_6detail15normal_iteratorINS6_10device_ptrIsEEEESG_SG_SG_PmS8_22is_equal_div_10_reduceIsEEE10hipError_tPvRmT2_T3_mT4_T5_T6_T7_T8_P12ihipStream_tbENKUlT_T0_E_clISt17integral_constantIbLb0EES11_EEDaSW_SX_EUlSW_E_NS1_11comp_targetILNS1_3genE4ELNS1_11target_archE910ELNS1_3gpuE8ELNS1_3repE0EEENS1_30default_config_static_selectorELNS0_4arch9wavefront6targetE1EEEvT1_
	.p2align	8
	.type	_ZN7rocprim17ROCPRIM_400000_NS6detail17trampoline_kernelINS0_14default_configENS1_29reduce_by_key_config_selectorIssN6thrust23THRUST_200600_302600_NS4plusIsEEEEZZNS1_33reduce_by_key_impl_wrapped_configILNS1_25lookback_scan_determinismE0ES3_S9_NS6_6detail15normal_iteratorINS6_10device_ptrIsEEEESG_SG_SG_PmS8_22is_equal_div_10_reduceIsEEE10hipError_tPvRmT2_T3_mT4_T5_T6_T7_T8_P12ihipStream_tbENKUlT_T0_E_clISt17integral_constantIbLb0EES11_EEDaSW_SX_EUlSW_E_NS1_11comp_targetILNS1_3genE4ELNS1_11target_archE910ELNS1_3gpuE8ELNS1_3repE0EEENS1_30default_config_static_selectorELNS0_4arch9wavefront6targetE1EEEvT1_,@function
_ZN7rocprim17ROCPRIM_400000_NS6detail17trampoline_kernelINS0_14default_configENS1_29reduce_by_key_config_selectorIssN6thrust23THRUST_200600_302600_NS4plusIsEEEEZZNS1_33reduce_by_key_impl_wrapped_configILNS1_25lookback_scan_determinismE0ES3_S9_NS6_6detail15normal_iteratorINS6_10device_ptrIsEEEESG_SG_SG_PmS8_22is_equal_div_10_reduceIsEEE10hipError_tPvRmT2_T3_mT4_T5_T6_T7_T8_P12ihipStream_tbENKUlT_T0_E_clISt17integral_constantIbLb0EES11_EEDaSW_SX_EUlSW_E_NS1_11comp_targetILNS1_3genE4ELNS1_11target_archE910ELNS1_3gpuE8ELNS1_3repE0EEENS1_30default_config_static_selectorELNS0_4arch9wavefront6targetE1EEEvT1_: ; @_ZN7rocprim17ROCPRIM_400000_NS6detail17trampoline_kernelINS0_14default_configENS1_29reduce_by_key_config_selectorIssN6thrust23THRUST_200600_302600_NS4plusIsEEEEZZNS1_33reduce_by_key_impl_wrapped_configILNS1_25lookback_scan_determinismE0ES3_S9_NS6_6detail15normal_iteratorINS6_10device_ptrIsEEEESG_SG_SG_PmS8_22is_equal_div_10_reduceIsEEE10hipError_tPvRmT2_T3_mT4_T5_T6_T7_T8_P12ihipStream_tbENKUlT_T0_E_clISt17integral_constantIbLb0EES11_EEDaSW_SX_EUlSW_E_NS1_11comp_targetILNS1_3genE4ELNS1_11target_archE910ELNS1_3gpuE8ELNS1_3repE0EEENS1_30default_config_static_selectorELNS0_4arch9wavefront6targetE1EEEvT1_
; %bb.0:
	s_load_dwordx8 s[36:43], s[4:5], 0x0
	s_load_dwordx4 s[52:55], s[4:5], 0x20
	s_load_dwordx8 s[44:51], s[4:5], 0x38
	s_load_dwordx2 s[60:61], s[4:5], 0x68
	s_load_dwordx4 s[56:59], s[4:5], 0x58
	s_waitcnt lgkmcnt(0)
	s_lshl_b64 s[0:1], s[38:39], 1
	s_add_u32 s2, s36, s0
	s_addc_u32 s3, s37, s1
	s_add_u32 s4, s40, s0
	s_addc_u32 s5, s41, s1
	s_mul_i32 s0, s48, s47
	s_mul_hi_u32 s1, s48, s46
	s_add_i32 s0, s1, s0
	s_mul_i32 s1, s49, s46
	s_add_i32 s8, s0, s1
	s_mul_i32 s0, s6, 0xf00
	s_mov_b32 s1, 0
	s_lshl_b64 s[0:1], s[0:1], 1
	s_add_u32 s7, s2, s0
	s_mul_i32 s9, s48, s46
	s_addc_u32 s48, s3, s1
	s_add_u32 s49, s4, s0
	s_addc_u32 s62, s5, s1
	s_add_u32 s38, s9, s6
	s_addc_u32 s39, s8, 0
	s_add_u32 s2, s50, -1
	s_addc_u32 s3, s51, -1
	s_cmp_eq_u64 s[38:39], s[2:3]
	s_cselect_b64 s[34:35], -1, 0
	s_cmp_lg_u64 s[38:39], s[2:3]
	s_mov_b64 s[0:1], -1
	s_cselect_b64 s[40:41], -1, 0
	s_mul_i32 s33, s2, 0xfffff100
	s_and_b64 vcc, exec, s[34:35]
	v_mul_u32_u24_e32 v6, 15, v0
	s_cbranch_vccnz .LBB663_2
; %bb.1:
	v_lshlrev_b32_e32 v12, 1, v0
	v_mov_b32_e32 v1, s48
	v_add_co_u32_e32 v2, vcc, s7, v12
	v_addc_co_u32_e32 v3, vcc, 0, v1, vcc
	flat_load_ushort v1, v[2:3]
	flat_load_ushort v4, v[2:3] offset:512
	flat_load_ushort v5, v[2:3] offset:1024
	;; [unrolled: 1-line block ×7, first 2 shown]
	v_add_co_u32_e32 v2, vcc, 0x1000, v2
	v_addc_co_u32_e32 v3, vcc, 0, v3, vcc
	flat_load_ushort v18, v[2:3]
	flat_load_ushort v19, v[2:3] offset:512
	flat_load_ushort v20, v[2:3] offset:1024
	;; [unrolled: 1-line block ×6, first 2 shown]
	v_mov_b32_e32 v2, s62
	v_add_co_u32_e32 v8, vcc, s49, v12
	s_movk_i32 s0, 0x1000
	v_addc_co_u32_e32 v9, vcc, 0, v2, vcc
	v_mad_u32_u24 v7, v0, 28, v12
	v_add_co_u32_e32 v10, vcc, s0, v8
	v_addc_co_u32_e32 v11, vcc, 0, v9, vcc
	s_waitcnt vmcnt(0) lgkmcnt(0)
	ds_write_b16 v12, v1
	ds_write_b16 v12, v4 offset:512
	ds_write_b16 v12, v5 offset:1024
	;; [unrolled: 1-line block ×14, first 2 shown]
	s_waitcnt lgkmcnt(0)
	s_barrier
	ds_read_u16 v1, v7
	ds_read_b128 v[2:5], v7 offset:2
	ds_read_b96 v[14:16], v7 offset:18
	s_waitcnt lgkmcnt(0)
	s_barrier
	flat_load_ushort v13, v[8:9]
	flat_load_ushort v17, v[8:9] offset:512
	flat_load_ushort v18, v[8:9] offset:1024
	;; [unrolled: 1-line block ×7, first 2 shown]
	flat_load_ushort v24, v[10:11]
	flat_load_ushort v25, v[10:11] offset:512
	flat_load_ushort v26, v[10:11] offset:1024
	;; [unrolled: 1-line block ×6, first 2 shown]
	v_mul_u32_u24_e32 v8, 15, v0
	s_waitcnt vmcnt(0) lgkmcnt(0)
	ds_write_b16 v12, v13
	ds_write_b16 v12, v17 offset:512
	ds_write_b16 v12, v18 offset:1024
	;; [unrolled: 1-line block ×14, first 2 shown]
	s_waitcnt lgkmcnt(0)
	s_barrier
	s_add_i32 s33, s33, s56
	s_cbranch_execz .LBB663_3
	s_branch .LBB663_50
.LBB663_2:
                                        ; implicit-def: $vgpr2
                                        ; implicit-def: $vgpr14
                                        ; implicit-def: $vgpr8
                                        ; implicit-def: $vgpr7
                                        ; implicit-def: $vgpr1
	s_andn2_b64 vcc, exec, s[0:1]
	s_add_i32 s33, s33, s56
	s_cbranch_vccnz .LBB663_50
.LBB663_3:
	v_cmp_gt_u32_e32 vcc, s33, v0
                                        ; implicit-def: $vgpr1
	s_and_saveexec_b64 s[2:3], vcc
	s_cbranch_execz .LBB663_5
; %bb.4:
	v_lshlrev_b32_e32 v1, 1, v0
	v_mov_b32_e32 v3, s48
	v_add_co_u32_e64 v2, s[0:1], s7, v1
	v_addc_co_u32_e64 v3, s[0:1], 0, v3, s[0:1]
	flat_load_ushort v1, v[2:3]
.LBB663_5:
	s_or_b64 exec, exec, s[2:3]
	v_or_b32_e32 v2, 0x100, v0
	v_cmp_gt_u32_e64 s[0:1], s33, v2
                                        ; implicit-def: $vgpr2
	s_and_saveexec_b64 s[4:5], s[0:1]
	s_cbranch_execz .LBB663_7
; %bb.6:
	v_lshlrev_b32_e32 v2, 1, v0
	v_mov_b32_e32 v3, s48
	v_add_co_u32_e64 v2, s[2:3], s7, v2
	v_addc_co_u32_e64 v3, s[2:3], 0, v3, s[2:3]
	flat_load_ushort v2, v[2:3] offset:512
.LBB663_7:
	s_or_b64 exec, exec, s[4:5]
	v_or_b32_e32 v3, 0x200, v0
	v_cmp_gt_u32_e64 s[2:3], s33, v3
                                        ; implicit-def: $vgpr3
	s_and_saveexec_b64 s[8:9], s[2:3]
	s_cbranch_execz .LBB663_9
; %bb.8:
	v_lshlrev_b32_e32 v3, 1, v0
	v_mov_b32_e32 v5, s48
	v_add_co_u32_e64 v4, s[4:5], s7, v3
	v_addc_co_u32_e64 v5, s[4:5], 0, v5, s[4:5]
	flat_load_ushort v3, v[4:5] offset:1024
.LBB663_9:
	s_or_b64 exec, exec, s[8:9]
	v_or_b32_e32 v4, 0x300, v0
	v_cmp_gt_u32_e64 s[4:5], s33, v4
                                        ; implicit-def: $vgpr4
	s_and_saveexec_b64 s[10:11], s[4:5]
	s_cbranch_execz .LBB663_11
; %bb.10:
	v_lshlrev_b32_e32 v4, 1, v0
	v_mov_b32_e32 v5, s48
	v_add_co_u32_e64 v4, s[8:9], s7, v4
	v_addc_co_u32_e64 v5, s[8:9], 0, v5, s[8:9]
	flat_load_ushort v4, v[4:5] offset:1536
.LBB663_11:
	s_or_b64 exec, exec, s[10:11]
	v_or_b32_e32 v5, 0x400, v0
	v_cmp_gt_u32_e64 s[28:29], s33, v5
                                        ; implicit-def: $vgpr5
	s_and_saveexec_b64 s[10:11], s[28:29]
	s_cbranch_execz .LBB663_13
; %bb.12:
	v_lshlrev_b32_e32 v5, 1, v0
	v_mov_b32_e32 v7, s48
	v_add_co_u32_e64 v8, s[8:9], s7, v5
	v_addc_co_u32_e64 v9, s[8:9], 0, v7, s[8:9]
	flat_load_ushort v5, v[8:9] offset:2048
.LBB663_13:
	s_or_b64 exec, exec, s[10:11]
	v_or_b32_e32 v7, 0x500, v0
	v_cmp_gt_u32_e64 s[8:9], s33, v7
                                        ; implicit-def: $vgpr7
	s_and_saveexec_b64 s[12:13], s[8:9]
	s_cbranch_execz .LBB663_15
; %bb.14:
	v_lshlrev_b32_e32 v7, 1, v0
	v_mov_b32_e32 v9, s48
	v_add_co_u32_e64 v8, s[10:11], s7, v7
	v_addc_co_u32_e64 v9, s[10:11], 0, v9, s[10:11]
	flat_load_ushort v7, v[8:9] offset:2560
.LBB663_15:
	s_or_b64 exec, exec, s[12:13]
	v_or_b32_e32 v8, 0x600, v0
	v_cmp_gt_u32_e64 s[10:11], s33, v8
                                        ; implicit-def: $vgpr14
	s_and_saveexec_b64 s[14:15], s[10:11]
	s_cbranch_execz .LBB663_17
; %bb.16:
	v_lshlrev_b32_e32 v8, 1, v0
	v_mov_b32_e32 v9, s48
	v_add_co_u32_e64 v8, s[12:13], s7, v8
	v_addc_co_u32_e64 v9, s[12:13], 0, v9, s[12:13]
	flat_load_ushort v14, v[8:9] offset:3072
.LBB663_17:
	s_or_b64 exec, exec, s[14:15]
	v_or_b32_e32 v8, 0x700, v0
	v_cmp_gt_u32_e64 s[12:13], s33, v8
                                        ; implicit-def: $vgpr15
	s_and_saveexec_b64 s[16:17], s[12:13]
	s_cbranch_execz .LBB663_19
; %bb.18:
	v_lshlrev_b32_e32 v8, 1, v0
	v_mov_b32_e32 v9, s48
	v_add_co_u32_e64 v8, s[14:15], s7, v8
	v_addc_co_u32_e64 v9, s[14:15], 0, v9, s[14:15]
	flat_load_ushort v15, v[8:9] offset:3584
.LBB663_19:
	s_or_b64 exec, exec, s[16:17]
	v_or_b32_e32 v8, 0x800, v0
	v_cmp_gt_u32_e64 s[14:15], s33, v8
	v_lshlrev_b32_e32 v8, 1, v8
                                        ; implicit-def: $vgpr16
	s_and_saveexec_b64 s[18:19], s[14:15]
	s_cbranch_execz .LBB663_21
; %bb.20:
	v_mov_b32_e32 v9, s48
	v_add_co_u32_e64 v10, s[16:17], s7, v8
	v_addc_co_u32_e64 v11, s[16:17], 0, v9, s[16:17]
	flat_load_ushort v16, v[10:11]
.LBB663_21:
	s_or_b64 exec, exec, s[18:19]
	v_or_b32_e32 v9, 0x900, v0
	v_cmp_gt_u32_e64 s[16:17], s33, v9
	v_lshlrev_b32_e32 v9, 1, v9
                                        ; implicit-def: $vgpr19
	s_and_saveexec_b64 s[20:21], s[16:17]
	s_cbranch_execz .LBB663_23
; %bb.22:
	v_mov_b32_e32 v11, s48
	v_add_co_u32_e64 v10, s[18:19], s7, v9
	v_addc_co_u32_e64 v11, s[18:19], 0, v11, s[18:19]
	flat_load_ushort v19, v[10:11]
.LBB663_23:
	s_or_b64 exec, exec, s[20:21]
	v_or_b32_e32 v10, 0xa00, v0
	v_cmp_gt_u32_e64 s[18:19], s33, v10
	v_lshlrev_b32_e32 v10, 1, v10
                                        ; implicit-def: $vgpr20
	s_and_saveexec_b64 s[22:23], s[18:19]
	s_cbranch_execz .LBB663_25
; %bb.24:
	v_mov_b32_e32 v11, s48
	v_add_co_u32_e64 v12, s[20:21], s7, v10
	v_addc_co_u32_e64 v13, s[20:21], 0, v11, s[20:21]
	flat_load_ushort v20, v[12:13]
.LBB663_25:
	s_or_b64 exec, exec, s[22:23]
	v_or_b32_e32 v11, 0xb00, v0
	v_cmp_gt_u32_e64 s[20:21], s33, v11
	v_lshlrev_b32_e32 v12, 1, v11
                                        ; implicit-def: $vgpr21
	s_and_saveexec_b64 s[24:25], s[20:21]
	s_cbranch_execz .LBB663_27
; %bb.26:
	v_mov_b32_e32 v11, s48
	v_add_co_u32_e64 v22, s[22:23], s7, v12
	v_addc_co_u32_e64 v23, s[22:23], 0, v11, s[22:23]
	flat_load_ushort v21, v[22:23]
.LBB663_27:
	s_or_b64 exec, exec, s[24:25]
	v_or_b32_e32 v11, 0xc00, v0
	v_cmp_gt_u32_e64 s[22:23], s33, v11
	v_lshlrev_b32_e32 v13, 1, v11
                                        ; implicit-def: $vgpr22
	s_and_saveexec_b64 s[26:27], s[22:23]
	s_cbranch_execz .LBB663_29
; %bb.28:
	v_mov_b32_e32 v11, s48
	v_add_co_u32_e64 v22, s[24:25], s7, v13
	v_addc_co_u32_e64 v23, s[24:25], 0, v11, s[24:25]
	flat_load_ushort v22, v[22:23]
.LBB663_29:
	s_or_b64 exec, exec, s[26:27]
	v_or_b32_e32 v11, 0xd00, v0
	v_cmp_gt_u32_e64 s[24:25], s33, v11
	v_lshlrev_b32_e32 v17, 1, v11
                                        ; implicit-def: $vgpr23
	s_and_saveexec_b64 s[30:31], s[24:25]
	s_cbranch_execz .LBB663_31
; %bb.30:
	v_mov_b32_e32 v11, s48
	v_add_co_u32_e64 v24, s[26:27], s7, v17
	v_addc_co_u32_e64 v25, s[26:27], 0, v11, s[26:27]
	flat_load_ushort v23, v[24:25]
.LBB663_31:
	s_or_b64 exec, exec, s[30:31]
	v_or_b32_e32 v11, 0xe00, v0
	v_cmp_gt_u32_e64 s[26:27], s33, v11
	v_lshlrev_b32_e32 v18, 1, v11
                                        ; implicit-def: $vgpr24
	s_and_saveexec_b64 s[36:37], s[26:27]
	s_cbranch_execz .LBB663_33
; %bb.32:
	v_mov_b32_e32 v11, s48
	v_add_co_u32_e64 v24, s[30:31], s7, v18
	v_addc_co_u32_e64 v25, s[30:31], 0, v11, s[30:31]
	flat_load_ushort v24, v[24:25]
.LBB663_33:
	s_or_b64 exec, exec, s[36:37]
	v_lshlrev_b32_e32 v11, 1, v0
	s_waitcnt vmcnt(0) lgkmcnt(0)
	ds_write_b16 v11, v1
	ds_write_b16 v11, v2 offset:512
	ds_write_b16 v11, v3 offset:1024
	ds_write_b16 v11, v4 offset:1536
	ds_write_b16 v11, v5 offset:2048
	ds_write_b16 v11, v7 offset:2560
	ds_write_b16 v11, v14 offset:3072
	ds_write_b16 v11, v15 offset:3584
	ds_write_b16 v11, v16 offset:4096
	ds_write_b16 v11, v19 offset:4608
	ds_write_b16 v11, v20 offset:5120
	ds_write_b16 v11, v21 offset:5632
	ds_write_b16 v11, v22 offset:6144
	ds_write_b16 v11, v23 offset:6656
	ds_write_b16 v11, v24 offset:7168
	v_mad_u32_u24 v7, v0, 28, v11
	s_waitcnt lgkmcnt(0)
	s_barrier
	ds_read_u16 v1, v7
	ds_read_b128 v[2:5], v7 offset:2
	ds_read_b96 v[14:16], v7 offset:18
	s_waitcnt lgkmcnt(0)
	s_barrier
	s_waitcnt lgkmcnt(0)
                                        ; implicit-def: $vgpr19
	s_and_saveexec_b64 s[30:31], vcc
	s_cbranch_execnz .LBB663_57
; %bb.34:
	s_or_b64 exec, exec, s[30:31]
                                        ; implicit-def: $vgpr20
	s_and_saveexec_b64 s[30:31], s[0:1]
	s_cbranch_execnz .LBB663_58
.LBB663_35:
	s_or_b64 exec, exec, s[30:31]
                                        ; implicit-def: $vgpr21
	s_and_saveexec_b64 s[0:1], s[2:3]
	s_cbranch_execnz .LBB663_59
.LBB663_36:
	s_or_b64 exec, exec, s[0:1]
                                        ; implicit-def: $vgpr22
	s_and_saveexec_b64 s[0:1], s[4:5]
	s_cbranch_execnz .LBB663_60
.LBB663_37:
	s_or_b64 exec, exec, s[0:1]
                                        ; implicit-def: $vgpr23
	s_and_saveexec_b64 s[0:1], s[28:29]
	s_cbranch_execnz .LBB663_61
.LBB663_38:
	s_or_b64 exec, exec, s[0:1]
                                        ; implicit-def: $vgpr24
	s_and_saveexec_b64 s[0:1], s[8:9]
	s_cbranch_execnz .LBB663_62
.LBB663_39:
	s_or_b64 exec, exec, s[0:1]
                                        ; implicit-def: $vgpr25
	s_and_saveexec_b64 s[0:1], s[10:11]
	s_cbranch_execnz .LBB663_63
.LBB663_40:
	s_or_b64 exec, exec, s[0:1]
                                        ; implicit-def: $vgpr26
	s_and_saveexec_b64 s[0:1], s[12:13]
	s_cbranch_execnz .LBB663_64
.LBB663_41:
	s_or_b64 exec, exec, s[0:1]
                                        ; implicit-def: $vgpr27
	s_and_saveexec_b64 s[0:1], s[14:15]
	s_cbranch_execnz .LBB663_65
.LBB663_42:
	s_or_b64 exec, exec, s[0:1]
                                        ; implicit-def: $vgpr8
	s_and_saveexec_b64 s[0:1], s[16:17]
	s_cbranch_execnz .LBB663_66
.LBB663_43:
	s_or_b64 exec, exec, s[0:1]
                                        ; implicit-def: $vgpr9
	s_and_saveexec_b64 s[0:1], s[18:19]
	s_cbranch_execnz .LBB663_67
.LBB663_44:
	s_or_b64 exec, exec, s[0:1]
                                        ; implicit-def: $vgpr10
	s_and_saveexec_b64 s[0:1], s[20:21]
	s_cbranch_execnz .LBB663_68
.LBB663_45:
	s_or_b64 exec, exec, s[0:1]
                                        ; implicit-def: $vgpr12
	s_and_saveexec_b64 s[0:1], s[22:23]
	s_cbranch_execnz .LBB663_69
.LBB663_46:
	s_or_b64 exec, exec, s[0:1]
                                        ; implicit-def: $vgpr13
	s_and_saveexec_b64 s[0:1], s[24:25]
	s_cbranch_execnz .LBB663_70
.LBB663_47:
	s_or_b64 exec, exec, s[0:1]
                                        ; implicit-def: $vgpr17
	s_and_saveexec_b64 s[0:1], s[26:27]
	s_cbranch_execz .LBB663_49
.LBB663_48:
	v_mov_b32_e32 v17, s62
	v_add_co_u32_e32 v28, vcc, s49, v18
	v_addc_co_u32_e32 v29, vcc, 0, v17, vcc
	flat_load_ushort v17, v[28:29]
.LBB663_49:
	s_or_b64 exec, exec, s[0:1]
	s_waitcnt vmcnt(0) lgkmcnt(0)
	ds_write_b16 v11, v19
	ds_write_b16 v11, v20 offset:512
	ds_write_b16 v11, v21 offset:1024
	;; [unrolled: 1-line block ×14, first 2 shown]
	v_mov_b32_e32 v8, v6
	s_waitcnt lgkmcnt(0)
	s_barrier
.LBB663_50:
	v_lshlrev_b32_e32 v8, 1, v8
	ds_read_u16 v77, v7
	ds_read_u16 v76, v7 offset:2
	ds_read_u16 v74, v7 offset:6
	;; [unrolled: 1-line block ×14, first 2 shown]
	s_cmp_eq_u64 s[38:39], 0
	s_cselect_b64 s[36:37], -1, 0
	s_cmp_lg_u64 s[38:39], 0
	s_mov_b64 s[0:1], 0
	s_cselect_b64 s[30:31], -1, 0
	s_and_b64 vcc, exec, s[40:41]
	s_waitcnt lgkmcnt(0)
	s_barrier
	s_cbranch_vccz .LBB663_56
; %bb.51:
	s_and_b64 vcc, exec, s[30:31]
	s_cbranch_vccz .LBB663_71
; %bb.52:
	v_mov_b32_e32 v7, s48
	v_add_co_u32_e64 v8, vcc, -2, s7
	v_addc_co_u32_e32 v9, vcc, -1, v7, vcc
	flat_load_ushort v7, v[8:9]
	v_lshlrev_b32_e32 v8, 1, v0
	v_lshrrev_b32_e32 v9, 16, v16
	s_movk_i32 s49, 0x6667
	ds_write_b16 v8, v9
	v_mul_i32_i24_sdwa v9, sext(v16), s49 dst_sel:DWORD dst_unused:UNUSED_PAD src0_sel:WORD_0 src1_sel:DWORD
	v_lshrrev_b32_e32 v10, 31, v9
	v_ashrrev_i32_e32 v9, 18, v9
	v_add_u16_e32 v9, v9, v10
	v_mul_i32_i24_sdwa v10, sext(v16), s49 dst_sel:DWORD dst_unused:UNUSED_PAD src0_sel:WORD_1 src1_sel:DWORD
	v_lshrrev_b32_e32 v11, 31, v10
	v_ashrrev_i32_e32 v10, 18, v10
	v_add_u16_e32 v10, v10, v11
	v_cmp_ne_u16_e32 vcc, v9, v10
	v_mul_i32_i24_sdwa v10, sext(v15), s49 dst_sel:DWORD dst_unused:UNUSED_PAD src0_sel:WORD_1 src1_sel:DWORD
	v_lshrrev_b32_e32 v11, 31, v10
	v_ashrrev_i32_e32 v10, 18, v10
	v_add_u16_e32 v10, v10, v11
	v_cmp_ne_u16_e64 s[0:1], v10, v9
	v_mul_i32_i24_sdwa v9, sext(v15), s49 dst_sel:DWORD dst_unused:UNUSED_PAD src0_sel:WORD_0 src1_sel:DWORD
	v_lshrrev_b32_e32 v11, 31, v9
	v_ashrrev_i32_e32 v9, 18, v9
	v_add_u16_e32 v9, v9, v11
	v_cmp_ne_u16_e64 s[2:3], v9, v10
	v_mul_i32_i24_sdwa v10, sext(v14), s49 dst_sel:DWORD dst_unused:UNUSED_PAD src0_sel:WORD_1 src1_sel:DWORD
	v_lshrrev_b32_e32 v11, 31, v10
	v_ashrrev_i32_e32 v10, 18, v10
	v_add_u16_e32 v10, v10, v11
	v_cmp_ne_u16_e64 s[4:5], v10, v9
	v_mul_i32_i24_sdwa v9, sext(v14), s49 dst_sel:DWORD dst_unused:UNUSED_PAD src0_sel:WORD_0 src1_sel:DWORD
	v_lshrrev_b32_e32 v11, 31, v9
	v_ashrrev_i32_e32 v9, 18, v9
	v_add_u16_e32 v9, v9, v11
	v_cmp_ne_u16_e64 s[26:27], v9, v10
	;; [unrolled: 10-line block ×6, first 2 shown]
	v_mul_i32_i24_sdwa v10, sext(v1), s49 dst_sel:DWORD dst_unused:UNUSED_PAD src0_sel:WORD_0 src1_sel:DWORD
	v_lshrrev_b32_e32 v11, 31, v10
	v_ashrrev_i32_e32 v10, 18, v10
	v_add_u16_e32 v10, v10, v11
	v_cmp_ne_u16_e64 s[24:25], v10, v9
	v_cmp_ne_u32_e64 s[28:29], 0, v0
	s_waitcnt lgkmcnt(0)
	s_barrier
	s_and_saveexec_b64 s[40:41], s[28:29]
	s_cbranch_execz .LBB663_54
; %bb.53:
	s_waitcnt vmcnt(0)
	v_add_u32_e32 v7, -2, v8
	ds_read_u16 v7, v7
.LBB663_54:
	s_or_b64 exec, exec, s[40:41]
	s_waitcnt vmcnt(0) lgkmcnt(0)
	v_mul_i32_i24_sdwa v7, sext(v7), s49 dst_sel:DWORD dst_unused:UNUSED_PAD src0_sel:WORD_0 src1_sel:DWORD
	v_lshrrev_b32_e32 v8, 31, v7
	v_ashrrev_i32_e32 v7, 18, v7
	v_add_u16_e32 v7, v7, v8
	v_cndmask_b32_e64 v17, 0, 1, vcc
	v_cndmask_b32_e64 v9, 0, 1, s[0:1]
	v_cndmask_b32_e64 v68, 0, 1, s[2:3]
	;; [unrolled: 1-line block ×13, first 2 shown]
	v_cmp_ne_u16_e64 s[4:5], v7, v10
	s_mov_b64 s[0:1], -1
.LBB663_55:
                                        ; implicit-def: $sgpr8
	s_branch .LBB663_75
.LBB663_56:
                                        ; implicit-def: $sgpr4_sgpr5
                                        ; implicit-def: $vgpr17
                                        ; implicit-def: $vgpr9
                                        ; implicit-def: $vgpr68
                                        ; implicit-def: $vgpr19
                                        ; implicit-def: $vgpr18
                                        ; implicit-def: $vgpr21
                                        ; implicit-def: $vgpr20
                                        ; implicit-def: $vgpr23
                                        ; implicit-def: $vgpr22
                                        ; implicit-def: $vgpr27
                                        ; implicit-def: $vgpr26
                                        ; implicit-def: $vgpr29
                                        ; implicit-def: $vgpr28
                                        ; implicit-def: $vgpr31
                                        ; implicit-def: $vgpr25
                                        ; implicit-def: $sgpr8
	s_cbranch_execnz .LBB663_76
	s_branch .LBB663_111
.LBB663_57:
	v_mov_b32_e32 v19, s62
	v_add_co_u32_e32 v20, vcc, s49, v11
	v_addc_co_u32_e32 v21, vcc, 0, v19, vcc
	flat_load_ushort v19, v[20:21]
	s_or_b64 exec, exec, s[30:31]
                                        ; implicit-def: $vgpr20
	s_and_saveexec_b64 s[30:31], s[0:1]
	s_cbranch_execz .LBB663_35
.LBB663_58:
	v_mov_b32_e32 v21, s62
	v_add_co_u32_e32 v20, vcc, s49, v11
	v_addc_co_u32_e32 v21, vcc, 0, v21, vcc
	flat_load_ushort v20, v[20:21] offset:512
	s_or_b64 exec, exec, s[30:31]
                                        ; implicit-def: $vgpr21
	s_and_saveexec_b64 s[0:1], s[2:3]
	s_cbranch_execz .LBB663_36
.LBB663_59:
	v_mov_b32_e32 v21, s62
	v_add_co_u32_e32 v22, vcc, s49, v11
	v_addc_co_u32_e32 v23, vcc, 0, v21, vcc
	flat_load_ushort v21, v[22:23] offset:1024
	s_or_b64 exec, exec, s[0:1]
                                        ; implicit-def: $vgpr22
	s_and_saveexec_b64 s[0:1], s[4:5]
	s_cbranch_execz .LBB663_37
.LBB663_60:
	v_mov_b32_e32 v23, s62
	v_add_co_u32_e32 v22, vcc, s49, v11
	v_addc_co_u32_e32 v23, vcc, 0, v23, vcc
	flat_load_ushort v22, v[22:23] offset:1536
	s_or_b64 exec, exec, s[0:1]
                                        ; implicit-def: $vgpr23
	s_and_saveexec_b64 s[0:1], s[28:29]
	s_cbranch_execz .LBB663_38
.LBB663_61:
	v_mov_b32_e32 v23, s62
	v_add_co_u32_e32 v24, vcc, s49, v11
	v_addc_co_u32_e32 v25, vcc, 0, v23, vcc
	flat_load_ushort v23, v[24:25] offset:2048
	s_or_b64 exec, exec, s[0:1]
                                        ; implicit-def: $vgpr24
	s_and_saveexec_b64 s[0:1], s[8:9]
	s_cbranch_execz .LBB663_39
.LBB663_62:
	v_mov_b32_e32 v25, s62
	v_add_co_u32_e32 v24, vcc, s49, v11
	v_addc_co_u32_e32 v25, vcc, 0, v25, vcc
	flat_load_ushort v24, v[24:25] offset:2560
	s_or_b64 exec, exec, s[0:1]
                                        ; implicit-def: $vgpr25
	s_and_saveexec_b64 s[0:1], s[10:11]
	s_cbranch_execz .LBB663_40
.LBB663_63:
	v_mov_b32_e32 v25, s62
	v_add_co_u32_e32 v26, vcc, s49, v11
	v_addc_co_u32_e32 v27, vcc, 0, v25, vcc
	flat_load_ushort v25, v[26:27] offset:3072
	s_or_b64 exec, exec, s[0:1]
                                        ; implicit-def: $vgpr26
	s_and_saveexec_b64 s[0:1], s[12:13]
	s_cbranch_execz .LBB663_41
.LBB663_64:
	v_mov_b32_e32 v27, s62
	v_add_co_u32_e32 v26, vcc, s49, v11
	v_addc_co_u32_e32 v27, vcc, 0, v27, vcc
	flat_load_ushort v26, v[26:27] offset:3584
	s_or_b64 exec, exec, s[0:1]
                                        ; implicit-def: $vgpr27
	s_and_saveexec_b64 s[0:1], s[14:15]
	s_cbranch_execz .LBB663_42
.LBB663_65:
	v_mov_b32_e32 v27, s62
	v_add_co_u32_e32 v28, vcc, s49, v8
	v_addc_co_u32_e32 v29, vcc, 0, v27, vcc
	flat_load_ushort v27, v[28:29]
	s_or_b64 exec, exec, s[0:1]
                                        ; implicit-def: $vgpr8
	s_and_saveexec_b64 s[0:1], s[16:17]
	s_cbranch_execz .LBB663_43
.LBB663_66:
	v_mov_b32_e32 v28, s62
	v_add_co_u32_e32 v8, vcc, s49, v9
	v_addc_co_u32_e32 v9, vcc, 0, v28, vcc
	flat_load_ushort v8, v[8:9]
	s_or_b64 exec, exec, s[0:1]
                                        ; implicit-def: $vgpr9
	s_and_saveexec_b64 s[0:1], s[18:19]
	s_cbranch_execz .LBB663_44
.LBB663_67:
	v_mov_b32_e32 v9, s62
	v_add_co_u32_e32 v28, vcc, s49, v10
	v_addc_co_u32_e32 v29, vcc, 0, v9, vcc
	flat_load_ushort v9, v[28:29]
	s_or_b64 exec, exec, s[0:1]
                                        ; implicit-def: $vgpr10
	s_and_saveexec_b64 s[0:1], s[20:21]
	s_cbranch_execz .LBB663_45
.LBB663_68:
	v_mov_b32_e32 v10, s62
	v_add_co_u32_e32 v28, vcc, s49, v12
	v_addc_co_u32_e32 v29, vcc, 0, v10, vcc
	flat_load_ushort v10, v[28:29]
	s_or_b64 exec, exec, s[0:1]
                                        ; implicit-def: $vgpr12
	s_and_saveexec_b64 s[0:1], s[22:23]
	s_cbranch_execz .LBB663_46
.LBB663_69:
	v_mov_b32_e32 v28, s62
	v_add_co_u32_e32 v12, vcc, s49, v13
	v_addc_co_u32_e32 v13, vcc, 0, v28, vcc
	flat_load_ushort v12, v[12:13]
	s_or_b64 exec, exec, s[0:1]
                                        ; implicit-def: $vgpr13
	s_and_saveexec_b64 s[0:1], s[24:25]
	s_cbranch_execz .LBB663_47
.LBB663_70:
	v_mov_b32_e32 v13, s62
	v_add_co_u32_e32 v28, vcc, s49, v17
	v_addc_co_u32_e32 v29, vcc, 0, v13, vcc
	flat_load_ushort v13, v[28:29]
	s_or_b64 exec, exec, s[0:1]
                                        ; implicit-def: $vgpr17
	s_and_saveexec_b64 s[0:1], s[26:27]
	s_cbranch_execnz .LBB663_48
	s_branch .LBB663_49
.LBB663_71:
                                        ; implicit-def: $sgpr4_sgpr5
                                        ; implicit-def: $vgpr17
                                        ; implicit-def: $vgpr9
                                        ; implicit-def: $vgpr68
                                        ; implicit-def: $vgpr19
                                        ; implicit-def: $vgpr18
                                        ; implicit-def: $vgpr21
                                        ; implicit-def: $vgpr20
                                        ; implicit-def: $vgpr23
                                        ; implicit-def: $vgpr22
                                        ; implicit-def: $vgpr27
                                        ; implicit-def: $vgpr26
                                        ; implicit-def: $vgpr29
                                        ; implicit-def: $vgpr28
                                        ; implicit-def: $vgpr31
	s_cbranch_execz .LBB663_55
; %bb.72:
	v_lshlrev_b32_e32 v7, 1, v0
	v_lshrrev_b32_e32 v8, 16, v16
	s_movk_i32 s2, 0x6667
	ds_write_b16 v7, v8
	v_mul_i32_i24_sdwa v8, sext(v16), s2 dst_sel:DWORD dst_unused:UNUSED_PAD src0_sel:WORD_0 src1_sel:DWORD
	v_lshrrev_b32_e32 v9, 31, v8
	v_ashrrev_i32_e32 v8, 18, v8
	v_add_u16_e32 v8, v8, v9
	v_mul_i32_i24_sdwa v9, sext(v16), s2 dst_sel:DWORD dst_unused:UNUSED_PAD src0_sel:WORD_1 src1_sel:DWORD
	v_lshrrev_b32_e32 v10, 31, v9
	v_ashrrev_i32_e32 v9, 18, v9
	v_add_u16_e32 v9, v9, v10
	v_cmp_ne_u16_e32 vcc, v8, v9
	v_mul_i32_i24_sdwa v9, sext(v15), s2 dst_sel:DWORD dst_unused:UNUSED_PAD src0_sel:WORD_1 src1_sel:DWORD
	v_lshrrev_b32_e32 v10, 31, v9
	v_ashrrev_i32_e32 v9, 18, v9
	v_add_u16_e32 v10, v9, v10
	v_cndmask_b32_e64 v17, 0, 1, vcc
	v_cmp_ne_u16_e32 vcc, v10, v8
	v_mul_i32_i24_sdwa v8, sext(v15), s2 dst_sel:DWORD dst_unused:UNUSED_PAD src0_sel:WORD_0 src1_sel:DWORD
	v_lshrrev_b32_e32 v11, 31, v8
	v_ashrrev_i32_e32 v8, 18, v8
	v_add_u16_e32 v8, v8, v11
	v_cndmask_b32_e64 v9, 0, 1, vcc
	v_cmp_ne_u16_e32 vcc, v8, v10
	v_mul_i32_i24_sdwa v10, sext(v14), s2 dst_sel:DWORD dst_unused:UNUSED_PAD src0_sel:WORD_1 src1_sel:DWORD
	v_lshrrev_b32_e32 v11, 31, v10
	v_ashrrev_i32_e32 v10, 18, v10
	v_add_u16_e32 v10, v10, v11
	v_cndmask_b32_e64 v68, 0, 1, vcc
	v_cmp_ne_u16_e32 vcc, v10, v8
	v_mul_i32_i24_sdwa v8, sext(v14), s2 dst_sel:DWORD dst_unused:UNUSED_PAD src0_sel:WORD_0 src1_sel:DWORD
	v_lshrrev_b32_e32 v11, 31, v8
	v_ashrrev_i32_e32 v8, 18, v8
	v_add_u16_e32 v8, v8, v11
	v_cndmask_b32_e64 v19, 0, 1, vcc
	v_cmp_ne_u16_e32 vcc, v8, v10
	v_mul_i32_i24_sdwa v10, sext(v5), s2 dst_sel:DWORD dst_unused:UNUSED_PAD src0_sel:WORD_1 src1_sel:DWORD
	v_lshrrev_b32_e32 v11, 31, v10
	v_ashrrev_i32_e32 v10, 18, v10
	v_add_u16_e32 v10, v10, v11
	v_cndmask_b32_e64 v18, 0, 1, vcc
	v_cmp_ne_u16_e32 vcc, v10, v8
	v_mul_i32_i24_sdwa v8, sext(v5), s2 dst_sel:DWORD dst_unused:UNUSED_PAD src0_sel:WORD_0 src1_sel:DWORD
	v_lshrrev_b32_e32 v11, 31, v8
	v_ashrrev_i32_e32 v8, 18, v8
	v_add_u16_e32 v8, v8, v11
	v_cndmask_b32_e64 v21, 0, 1, vcc
	v_cmp_ne_u16_e32 vcc, v8, v10
	v_mul_i32_i24_sdwa v10, sext(v4), s2 dst_sel:DWORD dst_unused:UNUSED_PAD src0_sel:WORD_1 src1_sel:DWORD
	v_lshrrev_b32_e32 v11, 31, v10
	v_ashrrev_i32_e32 v10, 18, v10
	v_add_u16_e32 v10, v10, v11
	v_cndmask_b32_e64 v20, 0, 1, vcc
	v_cmp_ne_u16_e32 vcc, v10, v8
	v_mul_i32_i24_sdwa v8, sext(v4), s2 dst_sel:DWORD dst_unused:UNUSED_PAD src0_sel:WORD_0 src1_sel:DWORD
	v_lshrrev_b32_e32 v11, 31, v8
	v_ashrrev_i32_e32 v8, 18, v8
	v_add_u16_e32 v8, v8, v11
	v_cndmask_b32_e64 v23, 0, 1, vcc
	v_cmp_ne_u16_e32 vcc, v8, v10
	v_mul_i32_i24_sdwa v10, sext(v3), s2 dst_sel:DWORD dst_unused:UNUSED_PAD src0_sel:WORD_1 src1_sel:DWORD
	v_lshrrev_b32_e32 v11, 31, v10
	v_ashrrev_i32_e32 v10, 18, v10
	v_add_u16_e32 v10, v10, v11
	v_cndmask_b32_e64 v22, 0, 1, vcc
	v_cmp_ne_u16_e32 vcc, v10, v8
	v_mul_i32_i24_sdwa v8, sext(v3), s2 dst_sel:DWORD dst_unused:UNUSED_PAD src0_sel:WORD_0 src1_sel:DWORD
	v_lshrrev_b32_e32 v11, 31, v8
	v_ashrrev_i32_e32 v8, 18, v8
	v_add_u16_e32 v8, v8, v11
	v_cndmask_b32_e64 v27, 0, 1, vcc
	v_cmp_ne_u16_e32 vcc, v8, v10
	v_mul_i32_i24_sdwa v10, sext(v2), s2 dst_sel:DWORD dst_unused:UNUSED_PAD src0_sel:WORD_1 src1_sel:DWORD
	v_lshrrev_b32_e32 v11, 31, v10
	v_ashrrev_i32_e32 v10, 18, v10
	v_add_u16_e32 v10, v10, v11
	v_cndmask_b32_e64 v26, 0, 1, vcc
	v_cmp_ne_u16_e32 vcc, v10, v8
	v_mul_i32_i24_sdwa v8, sext(v2), s2 dst_sel:DWORD dst_unused:UNUSED_PAD src0_sel:WORD_0 src1_sel:DWORD
	v_lshrrev_b32_e32 v11, 31, v8
	v_ashrrev_i32_e32 v8, 18, v8
	v_add_u16_e32 v11, v8, v11
	v_mul_i32_i24_sdwa v8, sext(v1), s2 dst_sel:DWORD dst_unused:UNUSED_PAD src0_sel:WORD_0 src1_sel:DWORD
	v_cndmask_b32_e64 v29, 0, 1, vcc
	v_cmp_ne_u16_e32 vcc, v11, v10
	v_lshrrev_b32_e32 v10, 31, v8
	v_ashrrev_i32_e32 v8, 18, v8
	v_add_u16_e32 v8, v8, v10
	v_cndmask_b32_e64 v28, 0, 1, vcc
	v_cmp_ne_u16_e32 vcc, v8, v11
	s_mov_b32 s8, 1
	v_cndmask_b32_e64 v31, 0, 1, vcc
	v_cmp_ne_u32_e32 vcc, 0, v0
	s_waitcnt lgkmcnt(0)
	s_barrier
	s_waitcnt lgkmcnt(0)
                                        ; implicit-def: $sgpr4_sgpr5
	s_and_saveexec_b64 s[2:3], vcc
	s_xor_b64 s[2:3], exec, s[2:3]
	s_cbranch_execz .LBB663_74
; %bb.73:
	v_add_u32_e32 v7, -2, v7
	ds_read_i16 v7, v7
	s_or_b64 s[0:1], s[0:1], exec
	s_waitcnt lgkmcnt(0)
	v_mul_i32_i24_e32 v7, 0x6667, v7
	v_lshrrev_b32_e32 v10, 31, v7
	v_ashrrev_i32_e32 v7, 18, v7
	v_add_u16_e32 v7, v7, v10
	v_cmp_ne_u16_e32 vcc, v7, v8
	s_and_b64 s[4:5], vcc, exec
.LBB663_74:
	s_or_b64 exec, exec, s[2:3]
.LBB663_75:
	v_mov_b32_e32 v25, v9
	s_branch .LBB663_111
.LBB663_76:
	s_mul_hi_u32 s3, s38, 0xfffff100
	s_mul_i32 s2, s39, 0xfffff100
	s_sub_i32 s3, s3, s38
	s_add_i32 s3, s3, s2
	s_mul_i32 s2, s38, 0xfffff100
	s_add_u32 s2, s2, s56
	s_addc_u32 s3, s3, s57
	s_and_b64 vcc, exec, s[30:31]
	v_lshrrev_b32_e32 v10, 16, v16
	v_mad_u32_u24 v24, v0, 15, 14
	s_cbranch_vccz .LBB663_216
; %bb.77:
	v_mov_b32_e32 v7, s48
	v_add_co_u32_e64 v8, vcc, -2, s7
	v_addc_co_u32_e32 v9, vcc, -1, v7, vcc
	flat_load_ushort v11, v[8:9]
	v_mov_b32_e32 v9, 0
	v_mov_b32_e32 v25, v9
	v_lshlrev_b32_e32 v7, 1, v0
	v_cmp_gt_u64_e32 vcc, s[2:3], v[24:25]
	v_mov_b32_e32 v17, 0
	ds_write_b16 v7, v10
	s_and_saveexec_b64 s[0:1], vcc
; %bb.78:
	s_movk_i32 s4, 0x6667
	v_mul_i32_i24_sdwa v8, sext(v16), s4 dst_sel:DWORD dst_unused:UNUSED_PAD src0_sel:WORD_0 src1_sel:DWORD
	v_lshrrev_b32_e32 v12, 31, v8
	v_ashrrev_i32_e32 v8, 18, v8
	v_add_u16_e32 v8, v8, v12
	v_mul_i32_i24_sdwa v12, sext(v10), s4 dst_sel:DWORD dst_unused:UNUSED_PAD src0_sel:WORD_0 src1_sel:DWORD
	v_lshrrev_b32_e32 v13, 31, v12
	v_ashrrev_i32_e32 v12, 18, v12
	v_add_u16_e32 v12, v12, v13
	v_cmp_ne_u16_e32 vcc, v8, v12
	v_cndmask_b32_e64 v17, 0, 1, vcc
; %bb.79:
	s_or_b64 exec, exec, s[0:1]
	v_add_u32_e32 v8, 13, v6
	v_cmp_gt_u64_e32 vcc, s[2:3], v[8:9]
	s_and_saveexec_b64 s[0:1], vcc
; %bb.80:
	s_movk_i32 s4, 0x6667
	v_mul_i32_i24_sdwa v8, sext(v15), s4 dst_sel:DWORD dst_unused:UNUSED_PAD src0_sel:WORD_1 src1_sel:DWORD
	v_lshrrev_b32_e32 v9, 31, v8
	v_ashrrev_i32_e32 v8, 18, v8
	v_add_u16_e32 v8, v8, v9
	v_mul_i32_i24_sdwa v9, sext(v16), s4 dst_sel:DWORD dst_unused:UNUSED_PAD src0_sel:WORD_0 src1_sel:DWORD
	v_lshrrev_b32_e32 v12, 31, v9
	v_ashrrev_i32_e32 v9, 18, v9
	v_add_u16_e32 v9, v9, v12
	v_cmp_ne_u16_e32 vcc, v8, v9
	v_cndmask_b32_e64 v9, 0, 1, vcc
; %bb.81:
	s_or_b64 exec, exec, s[0:1]
	v_add_u32_e32 v18, 12, v6
	v_mov_b32_e32 v19, 0
	v_cmp_gt_u64_e32 vcc, s[2:3], v[18:19]
	v_mov_b32_e32 v68, 0
	s_and_saveexec_b64 s[0:1], vcc
; %bb.82:
	s_movk_i32 s4, 0x6667
	v_mul_i32_i24_sdwa v8, sext(v15), s4 dst_sel:DWORD dst_unused:UNUSED_PAD src0_sel:WORD_0 src1_sel:DWORD
	v_lshrrev_b32_e32 v12, 31, v8
	v_ashrrev_i32_e32 v8, 18, v8
	v_add_u16_e32 v8, v8, v12
	v_mul_i32_i24_sdwa v12, sext(v15), s4 dst_sel:DWORD dst_unused:UNUSED_PAD src0_sel:WORD_1 src1_sel:DWORD
	v_lshrrev_b32_e32 v13, 31, v12
	v_ashrrev_i32_e32 v12, 18, v12
	v_add_u16_e32 v12, v12, v13
	v_cmp_ne_u16_e32 vcc, v8, v12
	v_cndmask_b32_e64 v68, 0, 1, vcc
; %bb.83:
	s_or_b64 exec, exec, s[0:1]
	v_add_u32_e32 v18, 11, v6
	v_cmp_gt_u64_e32 vcc, s[2:3], v[18:19]
	s_and_saveexec_b64 s[0:1], vcc
; %bb.84:
	s_movk_i32 s4, 0x6667
	v_mul_i32_i24_sdwa v8, sext(v14), s4 dst_sel:DWORD dst_unused:UNUSED_PAD src0_sel:WORD_1 src1_sel:DWORD
	v_lshrrev_b32_e32 v12, 31, v8
	v_ashrrev_i32_e32 v8, 18, v8
	v_add_u16_e32 v8, v8, v12
	v_mul_i32_i24_sdwa v12, sext(v15), s4 dst_sel:DWORD dst_unused:UNUSED_PAD src0_sel:WORD_0 src1_sel:DWORD
	v_lshrrev_b32_e32 v13, 31, v12
	v_ashrrev_i32_e32 v12, 18, v12
	v_add_u16_e32 v12, v12, v13
	v_cmp_ne_u16_e32 vcc, v8, v12
	v_cndmask_b32_e64 v19, 0, 1, vcc
; %bb.85:
	s_or_b64 exec, exec, s[0:1]
	v_add_u32_e32 v20, 10, v6
	v_mov_b32_e32 v21, 0
	v_cmp_gt_u64_e32 vcc, s[2:3], v[20:21]
	v_mov_b32_e32 v18, 0
	s_and_saveexec_b64 s[0:1], vcc
; %bb.86:
	s_movk_i32 s4, 0x6667
	v_mul_i32_i24_sdwa v8, sext(v14), s4 dst_sel:DWORD dst_unused:UNUSED_PAD src0_sel:WORD_0 src1_sel:DWORD
	v_lshrrev_b32_e32 v12, 31, v8
	v_ashrrev_i32_e32 v8, 18, v8
	v_add_u16_e32 v8, v8, v12
	v_mul_i32_i24_sdwa v12, sext(v14), s4 dst_sel:DWORD dst_unused:UNUSED_PAD src0_sel:WORD_1 src1_sel:DWORD
	;; [unrolled: 36-line block ×6, first 2 shown]
	v_lshrrev_b32_e32 v13, 31, v12
	v_ashrrev_i32_e32 v12, 18, v12
	v_add_u16_e32 v12, v12, v13
	v_cmp_ne_u16_e32 vcc, v8, v12
	v_cndmask_b32_e64 v28, 0, 1, vcc
; %bb.103:
	s_or_b64 exec, exec, s[0:1]
	v_add_u32_e32 v30, 1, v6
	v_cmp_gt_u64_e32 vcc, s[2:3], v[30:31]
	s_and_saveexec_b64 s[0:1], vcc
; %bb.104:
	s_movk_i32 s4, 0x6667
	v_mul_i32_i24_sdwa v8, sext(v1), s4 dst_sel:DWORD dst_unused:UNUSED_PAD src0_sel:WORD_0 src1_sel:DWORD
	v_lshrrev_b32_e32 v12, 31, v8
	v_ashrrev_i32_e32 v8, 18, v8
	v_add_u16_e32 v8, v8, v12
	v_mul_i32_i24_sdwa v12, sext(v2), s4 dst_sel:DWORD dst_unused:UNUSED_PAD src0_sel:WORD_0 src1_sel:DWORD
	v_lshrrev_b32_e32 v13, 31, v12
	v_ashrrev_i32_e32 v12, 18, v12
	v_add_u16_e32 v12, v12, v13
	v_cmp_ne_u16_e32 vcc, v8, v12
	v_cndmask_b32_e64 v31, 0, 1, vcc
; %bb.105:
	s_or_b64 exec, exec, s[0:1]
	v_cmp_ne_u32_e32 vcc, 0, v0
	s_waitcnt lgkmcnt(0)
	s_barrier
	s_and_saveexec_b64 s[0:1], vcc
	s_cbranch_execz .LBB663_107
; %bb.106:
	v_add_u32_e32 v7, -2, v7
	s_waitcnt vmcnt(0)
	ds_read_u16 v11, v7
.LBB663_107:
	s_or_b64 exec, exec, s[0:1]
	v_mov_b32_e32 v7, 0
	v_cmp_gt_u64_e32 vcc, s[2:3], v[6:7]
	s_mov_b64 s[8:9], 0
	s_mov_b64 s[4:5], 0
	s_and_saveexec_b64 s[0:1], vcc
	s_cbranch_execz .LBB663_109
; %bb.108:
	s_movk_i32 s4, 0x6667
	s_waitcnt vmcnt(0) lgkmcnt(0)
	v_mul_i32_i24_sdwa v7, sext(v11), s4 dst_sel:DWORD dst_unused:UNUSED_PAD src0_sel:WORD_0 src1_sel:DWORD
	v_lshrrev_b32_e32 v8, 31, v7
	v_ashrrev_i32_e32 v7, 18, v7
	v_add_u16_e32 v7, v7, v8
	v_mul_i32_i24_sdwa v8, sext(v1), s4 dst_sel:DWORD dst_unused:UNUSED_PAD src0_sel:WORD_0 src1_sel:DWORD
	v_lshrrev_b32_e32 v11, 31, v8
	v_ashrrev_i32_e32 v8, 18, v8
	v_add_u16_e32 v8, v8, v11
	v_cmp_ne_u16_e32 vcc, v7, v8
	s_and_b64 s[4:5], vcc, exec
.LBB663_109:
	s_or_b64 exec, exec, s[0:1]
	s_mov_b64 s[0:1], -1
	s_and_b64 vcc, exec, s[8:9]
	s_cbranch_vccnz .LBB663_217
.LBB663_110:
                                        ; implicit-def: $vgpr25
                                        ; implicit-def: $sgpr8
.LBB663_111:
	v_mov_b32_e32 v30, s8
	s_and_saveexec_b64 s[2:3], s[0:1]
.LBB663_112:
	v_cndmask_b32_e64 v30, 0, 1, s[4:5]
	v_mov_b32_e32 v25, v9
.LBB663_113:
	s_or_b64 exec, exec, s[2:3]
	s_cmp_eq_u64 s[46:47], 0
	v_add3_u32 v6, v31, v30, v28
	s_cselect_b64 s[30:31], -1, 0
	s_cmp_lg_u32 s6, 0
	v_cmp_eq_u32_e64 s[24:25], 0, v31
	v_cmp_eq_u32_e64 s[22:23], 0, v28
	;; [unrolled: 1-line block ×3, first 2 shown]
	v_add3_u32 v83, v6, v29, v26
	v_cmp_eq_u32_e64 s[18:19], 0, v26
	v_cmp_eq_u32_e64 s[16:17], 0, v27
	;; [unrolled: 1-line block ×10, first 2 shown]
	v_cmp_eq_u32_e32 vcc, 0, v17
	v_mbcnt_lo_u32_b32 v82, -1, 0
	v_lshrrev_b32_e32 v80, 6, v0
	v_or_b32_e32 v81, 63, v0
	s_cbranch_scc0 .LBB663_140
; %bb.114:
	v_cndmask_b32_e64 v6, 0, v77, s[24:25]
	v_add_u16_e32 v6, v6, v76
	v_cndmask_b32_e64 v6, 0, v6, s[22:23]
	v_add_u16_e32 v6, v6, v78
	;; [unrolled: 2-line block ×11, first 2 shown]
	v_cndmask_b32_e64 v6, 0, v6, s[2:3]
	v_add3_u32 v7, v83, v27, v22
	v_add_u16_e32 v6, v6, v66
	v_add3_u32 v7, v7, v23, v20
	v_cndmask_b32_e64 v6, 0, v6, s[0:1]
	v_add3_u32 v7, v7, v21, v18
	v_add_u16_e32 v6, v6, v64
	v_add3_u32 v7, v7, v19, v68
	v_cndmask_b32_e32 v6, 0, v6, vcc
	v_add3_u32 v7, v7, v25, v17
	v_add_u16_e32 v6, v6, v79
	v_mbcnt_hi_u32_b32 v33, -1, v82
	v_and_b32_e32 v8, 15, v33
	v_mov_b32_dpp v10, v6 row_shr:1 row_mask:0xf bank_mask:0xf
	v_cmp_eq_u32_e32 vcc, 0, v7
	v_mov_b32_dpp v9, v7 row_shr:1 row_mask:0xf bank_mask:0xf
	v_cndmask_b32_e32 v10, 0, v10, vcc
	v_cmp_eq_u32_e32 vcc, 0, v8
	v_add_u16_e32 v10, v10, v6
	v_cndmask_b32_e64 v9, v9, 0, vcc
	v_add_u32_e32 v7, v9, v7
	v_cndmask_b32_e32 v6, v10, v6, vcc
	v_cmp_eq_u32_e32 vcc, 0, v7
	v_mov_b32_dpp v9, v7 row_shr:2 row_mask:0xf bank_mask:0xf
	v_mov_b32_dpp v10, v6 row_shr:2 row_mask:0xf bank_mask:0xf
	v_cndmask_b32_e32 v10, 0, v10, vcc
	v_cmp_lt_u32_e32 vcc, 1, v8
	v_add_u16_e32 v10, v10, v6
	v_cndmask_b32_e32 v9, 0, v9, vcc
	v_cndmask_b32_e32 v6, v6, v10, vcc
	v_add_u32_e32 v7, v7, v9
	v_cmp_eq_u32_e32 vcc, 0, v7
	v_mov_b32_dpp v10, v6 row_shr:4 row_mask:0xf bank_mask:0xf
	v_mov_b32_dpp v9, v7 row_shr:4 row_mask:0xf bank_mask:0xf
	v_cndmask_b32_e32 v10, 0, v10, vcc
	v_cmp_lt_u32_e32 vcc, 3, v8
	v_add_u16_e32 v10, v10, v6
	v_cndmask_b32_e32 v9, 0, v9, vcc
	v_cndmask_b32_e32 v6, v6, v10, vcc
	v_add_u32_e32 v7, v9, v7
	;; [unrolled: 9-line block ×3, first 2 shown]
	v_bfe_i32 v10, v33, 4, 1
	v_mov_b32_dpp v9, v6 row_bcast:15 row_mask:0xf bank_mask:0xf
	v_mov_b32_dpp v8, v7 row_bcast:15 row_mask:0xf bank_mask:0xf
	v_cmp_eq_u32_e32 vcc, 0, v7
	s_waitcnt vmcnt(0) lgkmcnt(0)
	v_and_b32_e32 v11, 16, v33
	v_cndmask_b32_e32 v9, 0, v9, vcc
	v_and_b32_e32 v8, v10, v8
	v_add_u16_e32 v9, v9, v6
	v_add_u32_e32 v7, v8, v7
	v_cmp_eq_u32_e32 vcc, 0, v11
	v_cndmask_b32_e32 v8, v9, v6, vcc
	v_mov_b32_dpp v6, v7 row_bcast:31 row_mask:0xf bank_mask:0xf
	v_cmp_eq_u32_e32 vcc, 0, v7
	v_cmp_lt_u32_e64 s[26:27], 31, v33
	v_mov_b32_dpp v9, v8 row_bcast:31 row_mask:0xf bank_mask:0xf
	v_cndmask_b32_e64 v6, 0, v6, s[26:27]
	s_and_b64 vcc, s[26:27], vcc
	v_add_u32_e32 v6, v6, v7
	v_cndmask_b32_e32 v7, 0, v9, vcc
	v_add_u16_e32 v7, v7, v8
	v_cmp_eq_u32_e32 vcc, v81, v0
	v_lshlrev_b32_e32 v8, 3, v80
	s_and_saveexec_b64 s[26:27], vcc
	s_cbranch_execz .LBB663_116
; %bb.115:
	ds_write_b32 v8, v6 offset:1040
	ds_write_b16 v8, v7 offset:1044
.LBB663_116:
	s_or_b64 exec, exec, s[26:27]
	v_cmp_gt_u32_e32 vcc, 4, v0
	s_waitcnt lgkmcnt(0)
	s_barrier
	s_and_saveexec_b64 s[38:39], vcc
	s_cbranch_execz .LBB663_118
; %bb.117:
	v_lshlrev_b32_e32 v9, 3, v0
	ds_read_b64 v[10:11], v9 offset:1040
	v_and_b32_e32 v12, 3, v33
	s_mov_b32 s7, 0xffff0000
	v_cmp_lt_u32_e64 s[26:27], 1, v12
	s_waitcnt lgkmcnt(0)
	v_mov_b32_dpp v24, v11 row_shr:1 row_mask:0xf bank_mask:0xf
	v_cmp_eq_u32_e32 vcc, 0, v10
	v_mov_b32_dpp v13, v10 row_shr:1 row_mask:0xf bank_mask:0xf
	v_cndmask_b32_e32 v24, 0, v24, vcc
	v_cmp_eq_u32_e32 vcc, 0, v12
	v_add_u16_e32 v24, v24, v11
	v_cndmask_b32_e64 v13, v13, 0, vcc
	v_and_or_b32 v32, v11, s7, v24
	v_add_u32_e32 v10, v13, v10
	v_cndmask_b32_e32 v13, v24, v11, vcc
	v_cndmask_b32_e32 v11, v32, v11, vcc
	v_mov_b32_dpp v24, v10 row_shr:2 row_mask:0xf bank_mask:0xf
	v_cmp_eq_u32_e32 vcc, 0, v10
	v_mov_b32_dpp v11, v11 row_shr:2 row_mask:0xf bank_mask:0xf
	v_cndmask_b32_e64 v12, 0, v24, s[26:27]
	s_and_b64 vcc, s[26:27], vcc
	v_add_u32_e32 v10, v12, v10
	v_cndmask_b32_e32 v11, 0, v11, vcc
	v_add_u16_e32 v11, v13, v11
	ds_write_b32 v9, v10 offset:1040
	ds_write_b16 v9, v11 offset:1044
.LBB663_118:
	s_or_b64 exec, exec, s[38:39]
	v_cmp_gt_u32_e32 vcc, 64, v0
	v_cmp_lt_u32_e64 s[26:27], 63, v0
	v_mov_b32_e32 v24, 0
	v_mov_b32_e32 v36, 0
	s_waitcnt lgkmcnt(0)
	s_barrier
	s_and_saveexec_b64 s[38:39], s[26:27]
	s_cbranch_execz .LBB663_120
; %bb.119:
	ds_read_b32 v24, v8 offset:1032
	ds_read_u16 v36, v8 offset:1036
	v_cmp_eq_u32_e64 s[26:27], 0, v6
	s_waitcnt lgkmcnt(1)
	v_add_u32_e32 v8, v24, v6
	s_waitcnt lgkmcnt(0)
	v_cndmask_b32_e64 v6, 0, v36, s[26:27]
	v_add_u16_e32 v7, v6, v7
	v_mov_b32_e32 v6, v8
.LBB663_120:
	s_or_b64 exec, exec, s[38:39]
	v_add_u32_e32 v8, -1, v33
	v_and_b32_e32 v9, 64, v33
	v_cmp_lt_i32_e64 s[26:27], v8, v9
	v_cndmask_b32_e64 v8, v8, v33, s[26:27]
	v_and_b32_e32 v7, 0xffff, v7
	v_lshlrev_b32_e32 v8, 2, v8
	ds_bpermute_b32 v37, v8, v6
	ds_bpermute_b32 v38, v8, v7
	v_cmp_eq_u32_e64 s[26:27], 0, v33
	s_and_saveexec_b64 s[38:39], vcc
	s_cbranch_execz .LBB663_139
; %bb.121:
	v_mov_b32_e32 v9, 0
	ds_read_b64 v[6:7], v9 offset:1064
	s_waitcnt lgkmcnt(0)
	v_readfirstlane_b32 s7, v7
	s_and_saveexec_b64 s[40:41], s[26:27]
	s_cbranch_execz .LBB663_123
; %bb.122:
	s_add_i32 s46, s6, 64
	s_mov_b32 s47, 0
	s_lshl_b64 s[48:49], s[46:47], 4
	s_add_u32 s48, s44, s48
	s_addc_u32 s49, s45, s49
	s_and_b32 s51, s7, 0xff000000
	s_mov_b32 s50, s47
	s_and_b32 s57, s7, 0xff0000
	s_mov_b32 s56, s47
	s_or_b64 s[50:51], s[56:57], s[50:51]
	s_and_b32 s57, s7, 0xff00
	s_or_b64 s[50:51], s[50:51], s[56:57]
	s_and_b32 s57, s7, 0xff
	s_or_b64 s[46:47], s[50:51], s[56:57]
	v_mov_b32_e32 v7, s47
	v_mov_b32_e32 v8, 1
	v_pk_mov_b32 v[10:11], s[48:49], s[48:49] op_sel:[0,1]
	;;#ASMSTART
	global_store_dwordx4 v[10:11], v[6:9] off	
s_waitcnt vmcnt(0)
	;;#ASMEND
.LBB663_123:
	s_or_b64 exec, exec, s[40:41]
	v_xad_u32 v32, v33, -1, s6
	v_add_u32_e32 v8, 64, v32
	v_lshlrev_b64 v[10:11], 4, v[8:9]
	v_mov_b32_e32 v7, s45
	v_add_co_u32_e32 v34, vcc, s44, v10
	v_addc_co_u32_e32 v35, vcc, v7, v11, vcc
	;;#ASMSTART
	global_load_dwordx4 v[10:13], v[34:35] off glc	
s_waitcnt vmcnt(0)
	;;#ASMEND
	v_and_b32_e32 v7, 0xffffff, v10
	v_and_b32_e32 v8, 0xff000000, v10
	v_or_b32_e32 v7, v7, v8
	v_and_b32_e32 v8, 0xff, v11
	v_and_b32_e32 v10, 0xff00, v11
	v_or3_b32 v11, 0, v8, v10
	v_or3_b32 v10, v7, 0, 0
	v_cmp_eq_u16_sdwa s[46:47], v12, v9 src0_sel:BYTE_0 src1_sel:DWORD
	s_and_saveexec_b64 s[40:41], s[46:47]
	s_cbranch_execz .LBB663_127
; %bb.124:
	s_mov_b64 s[46:47], 0
	v_mov_b32_e32 v7, 0
.LBB663_125:                            ; =>This Inner Loop Header: Depth=1
	;;#ASMSTART
	global_load_dwordx4 v[10:13], v[34:35] off glc	
s_waitcnt vmcnt(0)
	;;#ASMEND
	v_cmp_ne_u16_sdwa s[48:49], v12, v7 src0_sel:BYTE_0 src1_sel:DWORD
	s_or_b64 s[46:47], s[48:49], s[46:47]
	s_andn2_b64 exec, exec, s[46:47]
	s_cbranch_execnz .LBB663_125
; %bb.126:
	s_or_b64 exec, exec, s[46:47]
	v_and_b32_e32 v11, 0xffff, v11
.LBB663_127:
	s_or_b64 exec, exec, s[40:41]
	v_mov_b32_e32 v7, 2
	v_and_b32_e32 v39, 63, v33
	v_cmp_eq_u16_sdwa s[40:41], v12, v7 src0_sel:BYTE_0 src1_sel:DWORD
	v_lshlrev_b64 v[8:9], v33, -1
	v_cmp_ne_u32_e32 vcc, 63, v39
	v_and_b32_e32 v13, s41, v9
	v_addc_co_u32_e32 v35, vcc, 0, v33, vcc
	v_or_b32_e32 v13, 0x80000000, v13
	v_lshlrev_b32_e32 v40, 2, v35
	v_and_b32_e32 v34, s40, v8
	v_ffbl_b32_e32 v13, v13
	ds_bpermute_b32 v35, v40, v11
	v_add_u32_e32 v13, 32, v13
	v_ffbl_b32_e32 v34, v34
	v_min_u32_e32 v13, v34, v13
	ds_bpermute_b32 v34, v40, v10
	v_cmp_eq_u32_e32 vcc, 0, v10
	s_waitcnt lgkmcnt(1)
	v_cndmask_b32_e32 v35, 0, v35, vcc
	v_add_u16_e32 v35, v35, v11
	v_cmp_lt_u32_e32 vcc, v39, v13
	v_cndmask_b32_e32 v11, v11, v35, vcc
	s_waitcnt lgkmcnt(0)
	v_cndmask_b32_e32 v34, 0, v34, vcc
	v_cmp_gt_u32_e32 vcc, 62, v39
	v_cndmask_b32_e64 v35, 0, 1, vcc
	v_lshlrev_b32_e32 v35, 1, v35
	v_add_lshl_u32 v41, v35, v33, 2
	ds_bpermute_b32 v35, v41, v11
	v_add_u32_e32 v10, v34, v10
	ds_bpermute_b32 v34, v41, v10
	v_cmp_eq_u32_e32 vcc, 0, v10
	v_add_u32_e32 v42, 2, v39
	s_waitcnt lgkmcnt(1)
	v_cndmask_b32_e32 v35, 0, v35, vcc
	v_add_u16_e32 v35, v35, v11
	v_cmp_gt_u32_e32 vcc, v42, v13
	v_cndmask_b32_e32 v11, v35, v11, vcc
	s_waitcnt lgkmcnt(0)
	v_cndmask_b32_e64 v34, v34, 0, vcc
	v_cmp_gt_u32_e32 vcc, 60, v39
	v_cndmask_b32_e64 v35, 0, 1, vcc
	v_lshlrev_b32_e32 v35, 2, v35
	v_add_lshl_u32 v43, v35, v33, 2
	ds_bpermute_b32 v35, v43, v11
	v_add_u32_e32 v10, v10, v34
	ds_bpermute_b32 v34, v43, v10
	v_cmp_eq_u32_e32 vcc, 0, v10
	v_add_u32_e32 v44, 4, v39
	s_waitcnt lgkmcnt(1)
	v_cndmask_b32_e32 v35, 0, v35, vcc
	v_add_u16_e32 v35, v11, v35
	v_cmp_gt_u32_e32 vcc, v44, v13
	v_cndmask_b32_e32 v11, v35, v11, vcc
	s_waitcnt lgkmcnt(0)
	v_cndmask_b32_e64 v34, v34, 0, vcc
	;; [unrolled: 16-line block ×4, first 2 shown]
	v_cmp_gt_u32_e32 vcc, 32, v39
	v_cndmask_b32_e64 v35, 0, 1, vcc
	v_lshlrev_b32_e32 v35, 5, v35
	v_add_lshl_u32 v51, v35, v33, 2
	ds_bpermute_b32 v33, v51, v11
	v_add_u32_e32 v10, v10, v34
	ds_bpermute_b32 v34, v51, v10
	v_add_u32_e32 v52, 32, v39
	v_cmp_eq_u32_e32 vcc, 0, v10
	s_waitcnt lgkmcnt(1)
	v_cndmask_b32_e32 v33, 0, v33, vcc
	v_cmp_gt_u32_e32 vcc, v52, v13
	v_cndmask_b32_e64 v13, v33, 0, vcc
	v_add_u16_e32 v11, v11, v13
	s_waitcnt lgkmcnt(0)
	v_cndmask_b32_e64 v13, v34, 0, vcc
	v_add_u32_e32 v10, v13, v10
	v_mov_b32_e32 v33, 0
	s_branch .LBB663_129
.LBB663_128:                            ;   in Loop: Header=BB663_129 Depth=1
	s_or_b64 exec, exec, s[40:41]
	v_cmp_eq_u16_sdwa s[40:41], v12, v7 src0_sel:BYTE_0 src1_sel:DWORD
	ds_bpermute_b32 v35, v40, v11
	v_and_b32_e32 v13, s41, v9
	v_or_b32_e32 v13, 0x80000000, v13
	v_and_b32_e32 v34, s40, v8
	v_ffbl_b32_e32 v13, v13
	v_add_u32_e32 v13, 32, v13
	v_ffbl_b32_e32 v34, v34
	v_cmp_eq_u32_e32 vcc, 0, v10
	v_min_u32_e32 v13, v34, v13
	ds_bpermute_b32 v34, v40, v10
	s_waitcnt lgkmcnt(1)
	v_cndmask_b32_e32 v35, 0, v35, vcc
	v_add_u16_e32 v35, v35, v11
	v_cmp_lt_u32_e32 vcc, v39, v13
	v_cndmask_b32_e32 v11, v11, v35, vcc
	ds_bpermute_b32 v35, v41, v11
	s_waitcnt lgkmcnt(1)
	v_cndmask_b32_e32 v34, 0, v34, vcc
	v_add_u32_e32 v10, v34, v10
	v_cmp_eq_u32_e32 vcc, 0, v10
	ds_bpermute_b32 v34, v41, v10
	s_waitcnt lgkmcnt(1)
	v_cndmask_b32_e32 v35, 0, v35, vcc
	v_add_u16_e32 v35, v35, v11
	v_cmp_gt_u32_e32 vcc, v42, v13
	v_cndmask_b32_e32 v11, v35, v11, vcc
	ds_bpermute_b32 v35, v43, v11
	s_waitcnt lgkmcnt(1)
	v_cndmask_b32_e64 v34, v34, 0, vcc
	v_add_u32_e32 v10, v10, v34
	v_cmp_eq_u32_e32 vcc, 0, v10
	ds_bpermute_b32 v34, v43, v10
	s_waitcnt lgkmcnt(1)
	v_cndmask_b32_e32 v35, 0, v35, vcc
	v_add_u16_e32 v35, v11, v35
	v_cmp_gt_u32_e32 vcc, v44, v13
	v_cndmask_b32_e32 v11, v35, v11, vcc
	ds_bpermute_b32 v35, v45, v11
	s_waitcnt lgkmcnt(1)
	v_cndmask_b32_e64 v34, v34, 0, vcc
	v_add_u32_e32 v10, v10, v34
	ds_bpermute_b32 v34, v45, v10
	v_cmp_eq_u32_e32 vcc, 0, v10
	s_waitcnt lgkmcnt(1)
	v_cndmask_b32_e32 v35, 0, v35, vcc
	v_add_u16_e32 v35, v11, v35
	v_cmp_gt_u32_e32 vcc, v46, v13
	v_cndmask_b32_e32 v11, v35, v11, vcc
	ds_bpermute_b32 v35, v48, v11
	s_waitcnt lgkmcnt(1)
	v_cndmask_b32_e64 v34, v34, 0, vcc
	v_add_u32_e32 v10, v10, v34
	ds_bpermute_b32 v34, v48, v10
	v_cmp_eq_u32_e32 vcc, 0, v10
	;; [unrolled: 11-line block ×3, first 2 shown]
	s_waitcnt lgkmcnt(1)
	v_cndmask_b32_e32 v35, 0, v35, vcc
	v_cmp_gt_u32_e32 vcc, v52, v13
	v_cndmask_b32_e64 v13, v35, 0, vcc
	v_add_u16_e32 v11, v11, v13
	s_waitcnt lgkmcnt(0)
	v_cndmask_b32_e64 v13, v34, 0, vcc
	v_cmp_eq_u32_e32 vcc, 0, v49
	v_cndmask_b32_e32 v11, 0, v11, vcc
	v_subrev_u32_e32 v32, 64, v32
	v_add3_u32 v10, v10, v49, v13
	v_add_u16_e32 v11, v11, v47
.LBB663_129:                            ; =>This Loop Header: Depth=1
                                        ;     Child Loop BB663_132 Depth 2
	v_cmp_ne_u16_sdwa s[40:41], v12, v7 src0_sel:BYTE_0 src1_sel:DWORD
	v_mov_b32_e32 v47, v11
	v_cndmask_b32_e64 v11, 0, 1, s[40:41]
	;;#ASMSTART
	;;#ASMEND
	v_cmp_ne_u32_e32 vcc, 0, v11
	s_cmp_lg_u64 vcc, exec
	v_mov_b32_e32 v49, v10
	s_cbranch_scc1 .LBB663_134
; %bb.130:                              ;   in Loop: Header=BB663_129 Depth=1
	v_lshlrev_b64 v[10:11], 4, v[32:33]
	v_mov_b32_e32 v12, s45
	v_add_co_u32_e32 v34, vcc, s44, v10
	v_addc_co_u32_e32 v35, vcc, v12, v11, vcc
	;;#ASMSTART
	global_load_dwordx4 v[10:13], v[34:35] off glc	
s_waitcnt vmcnt(0)
	;;#ASMEND
	v_and_b32_e32 v13, 0xffffff, v10
	v_and_b32_e32 v10, 0xff000000, v10
	v_or_b32_e32 v10, v13, v10
	v_and_b32_e32 v13, 0xff, v11
	v_and_b32_e32 v11, 0xff00, v11
	v_or3_b32 v11, 0, v13, v11
	v_or3_b32 v10, v10, 0, 0
	v_cmp_eq_u16_sdwa s[46:47], v12, v33 src0_sel:BYTE_0 src1_sel:DWORD
	s_and_saveexec_b64 s[40:41], s[46:47]
	s_cbranch_execz .LBB663_128
; %bb.131:                              ;   in Loop: Header=BB663_129 Depth=1
	s_mov_b64 s[46:47], 0
.LBB663_132:                            ;   Parent Loop BB663_129 Depth=1
                                        ; =>  This Inner Loop Header: Depth=2
	;;#ASMSTART
	global_load_dwordx4 v[10:13], v[34:35] off glc	
s_waitcnt vmcnt(0)
	;;#ASMEND
	v_cmp_ne_u16_sdwa s[48:49], v12, v33 src0_sel:BYTE_0 src1_sel:DWORD
	s_or_b64 s[46:47], s[48:49], s[46:47]
	s_andn2_b64 exec, exec, s[46:47]
	s_cbranch_execnz .LBB663_132
; %bb.133:                              ;   in Loop: Header=BB663_129 Depth=1
	s_or_b64 exec, exec, s[46:47]
	v_and_b32_e32 v11, 0xffff, v11
	s_branch .LBB663_128
.LBB663_134:                            ;   in Loop: Header=BB663_129 Depth=1
                                        ; implicit-def: $vgpr11
                                        ; implicit-def: $vgpr10
                                        ; implicit-def: $vgpr12
	s_cbranch_execz .LBB663_129
; %bb.135:
	s_and_saveexec_b64 s[40:41], s[26:27]
	s_cbranch_execz .LBB663_137
; %bb.136:
	s_mov_b32 s47, 0
	v_cmp_eq_u32_e32 vcc, 0, v6
	s_add_i32 s46, s6, 64
	v_cndmask_b32_e32 v7, 0, v47, vcc
	s_lshl_b64 s[46:47], s[46:47], 4
	v_add_u16_e32 v7, s7, v7
	s_add_u32 s46, s44, s46
	s_addc_u32 s47, s45, s47
	v_and_b32_e32 v9, 0xff00, v7
	v_add_u32_e32 v8, v49, v6
	v_mov_b32_e32 v11, 0
	v_or_b32_sdwa v9, v9, v7 dst_sel:DWORD dst_unused:UNUSED_PAD src0_sel:DWORD src1_sel:BYTE_0
	v_mov_b32_e32 v10, 2
	v_pk_mov_b32 v[12:13], s[46:47], s[46:47] op_sel:[0,1]
	;;#ASMSTART
	global_store_dwordx4 v[12:13], v[8:11] off	
s_waitcnt vmcnt(0)
	;;#ASMEND
	v_mov_b32_e32 v7, s7
	s_movk_i32 s6, 0x400
	ds_write_b16 v11, v7 offset:1028
	v_add_u32_e64 v7, s6, 0
	ds_write2_b32 v7, v6, v49 offset1:2
	ds_write_b16 v11, v47 offset:1036
.LBB663_137:
	s_or_b64 exec, exec, s[40:41]
	v_cmp_eq_u32_e32 vcc, 0, v0
	s_and_b64 exec, exec, vcc
	s_cbranch_execz .LBB663_139
; %bb.138:
	v_mov_b32_e32 v6, 0
	ds_write_b32 v6, v49 offset:1064
	ds_write_b16 v6, v47 offset:1068
.LBB663_139:
	s_or_b64 exec, exec, s[38:39]
	v_mov_b32_e32 v8, 0
	s_waitcnt lgkmcnt(0)
	s_barrier
	ds_read_b64 v[6:7], v8 offset:1064
	v_cndmask_b32_e64 v10, v37, v24, s[26:27]
	v_cmp_eq_u32_e32 vcc, 0, v10
	v_cndmask_b32_e64 v9, v38, v36, s[26:27]
	s_waitcnt lgkmcnt(0)
	v_cndmask_b32_e32 v11, 0, v7, vcc
	v_add_u16_e32 v9, v11, v9
	v_cmp_eq_u32_e32 vcc, 0, v0
	v_cndmask_b32_e32 v7, v9, v7, vcc
	v_cndmask_b32_e64 v9, v10, 0, vcc
	v_cmp_eq_u32_e32 vcc, 0, v30
	v_add_u32_e32 v62, v6, v9
	v_cndmask_b32_e32 v6, 0, v7, vcc
	v_add_u16_e32 v61, v6, v77
	v_cndmask_b32_e64 v6, 0, v61, s[24:25]
	v_add_u16_e32 v59, v6, v76
	v_cndmask_b32_e64 v6, 0, v59, s[22:23]
	;; [unrolled: 2-line block ×8, first 2 shown]
	v_add_u32_e32 v60, v62, v30
	v_add_u16_e32 v45, v6, v71
	v_add_u32_e32 v58, v60, v31
	v_cndmask_b32_e64 v6, 0, v45, s[8:9]
	v_add_u32_e32 v56, v58, v28
	v_add_u16_e32 v43, v6, v67
	v_add_u32_e32 v54, v56, v29
	v_cndmask_b32_e64 v6, 0, v43, s[28:29]
	;; [unrolled: 4-line block ×3, first 2 shown]
	v_and_b32_e32 v63, 0xffff, v7
	v_add_u32_e32 v48, v50, v22
	v_add_u16_e32 v39, v6, v65
	s_barrier
	ds_read_b128 v[6:9], v8 offset:1024
	v_add_u32_e32 v46, v48, v23
	v_add_u32_e32 v44, v46, v20
	;; [unrolled: 1-line block ×4, first 2 shown]
	v_cndmask_b32_e64 v10, 0, v39, s[2:3]
	v_add_u32_e32 v38, v40, v19
	v_add_u16_e32 v37, v10, v66
	s_waitcnt lgkmcnt(0)
	v_cmp_eq_u32_e32 vcc, 0, v6
	v_add_u32_e32 v36, v38, v68
	v_cndmask_b32_e64 v10, 0, v37, s[0:1]
	v_cndmask_b32_e32 v9, 0, v9, vcc
	v_add_u32_e32 v34, v36, v25
	v_add_u16_e32 v35, v10, v64
	v_add_u32_e32 v24, v9, v7
	s_branch .LBB663_152
.LBB663_140:
                                        ; implicit-def: $vgpr6
                                        ; implicit-def: $vgpr24
                                        ; implicit-def: $vgpr62_vgpr63
                                        ; implicit-def: $vgpr60_vgpr61
                                        ; implicit-def: $vgpr58_vgpr59
                                        ; implicit-def: $vgpr56_vgpr57
                                        ; implicit-def: $vgpr54_vgpr55
                                        ; implicit-def: $vgpr52_vgpr53
                                        ; implicit-def: $vgpr50_vgpr51
                                        ; implicit-def: $vgpr48_vgpr49
                                        ; implicit-def: $vgpr46_vgpr47
                                        ; implicit-def: $vgpr44_vgpr45
                                        ; implicit-def: $vgpr42_vgpr43
                                        ; implicit-def: $vgpr40_vgpr41
                                        ; implicit-def: $vgpr38_vgpr39
                                        ; implicit-def: $vgpr36_vgpr37
                                        ; implicit-def: $vgpr34_vgpr35
	s_cbranch_execz .LBB663_152
; %bb.141:
	s_and_b64 s[0:1], s[30:31], exec
	s_cselect_b32 s1, 0, s61
	s_cselect_b32 s0, 0, s60
	s_cmp_eq_u64 s[0:1], 0
	v_mov_b32_e32 v7, v77
	s_cbranch_scc1 .LBB663_143
; %bb.142:
	v_mov_b32_e32 v6, 0
	global_load_ushort v7, v6, s[0:1]
.LBB663_143:
	v_cmp_eq_u32_e64 s[0:1], 0, v31
	v_cndmask_b32_e64 v6, 0, v77, s[0:1]
	v_add_u16_e32 v6, v6, v76
	v_cmp_eq_u32_e64 s[2:3], 0, v28
	v_cndmask_b32_e64 v6, 0, v6, s[2:3]
	v_add_u16_e32 v6, v6, v78
	;; [unrolled: 3-line block ×11, first 2 shown]
	v_cmp_eq_u32_e64 s[22:23], 0, v68
	v_cndmask_b32_e64 v6, 0, v6, s[22:23]
	v_add3_u32 v8, v83, v27, v22
	v_add_u16_e32 v6, v6, v66
	v_cmp_eq_u32_e32 vcc, 0, v25
	v_add3_u32 v8, v8, v23, v20
	v_cndmask_b32_e32 v6, 0, v6, vcc
	v_add3_u32 v8, v8, v21, v18
	v_add_u16_e32 v6, v6, v64
	v_cmp_eq_u32_e64 s[24:25], 0, v17
	v_add3_u32 v8, v8, v19, v68
	v_cndmask_b32_e64 v6, 0, v6, s[24:25]
	v_add3_u32 v8, v8, v25, v17
	v_add_u16_e32 v9, v6, v79
	v_mbcnt_hi_u32_b32 v6, -1, v82
	v_and_b32_e32 v10, 15, v6
	v_mov_b32_dpp v12, v9 row_shr:1 row_mask:0xf bank_mask:0xf
	v_cmp_eq_u32_e64 s[24:25], 0, v8
	s_waitcnt vmcnt(0) lgkmcnt(0)
	v_mov_b32_dpp v11, v8 row_shr:1 row_mask:0xf bank_mask:0xf
	v_cndmask_b32_e64 v12, 0, v12, s[24:25]
	v_cmp_eq_u32_e64 s[24:25], 0, v10
	v_add_u16_e32 v12, v12, v9
	v_cndmask_b32_e64 v11, v11, 0, s[24:25]
	v_add_u32_e32 v8, v11, v8
	v_cndmask_b32_e64 v9, v12, v9, s[24:25]
	v_cmp_eq_u32_e64 s[24:25], 0, v8
	v_mov_b32_dpp v11, v8 row_shr:2 row_mask:0xf bank_mask:0xf
	v_mov_b32_dpp v12, v9 row_shr:2 row_mask:0xf bank_mask:0xf
	v_cndmask_b32_e64 v12, 0, v12, s[24:25]
	v_cmp_lt_u32_e64 s[24:25], 1, v10
	v_add_u16_e32 v12, v12, v9
	v_cndmask_b32_e64 v11, 0, v11, s[24:25]
	v_cndmask_b32_e64 v9, v9, v12, s[24:25]
	v_add_u32_e32 v8, v8, v11
	v_cmp_eq_u32_e64 s[24:25], 0, v8
	v_mov_b32_dpp v12, v9 row_shr:4 row_mask:0xf bank_mask:0xf
	v_mov_b32_dpp v11, v8 row_shr:4 row_mask:0xf bank_mask:0xf
	v_cndmask_b32_e64 v12, 0, v12, s[24:25]
	v_cmp_lt_u32_e64 s[24:25], 3, v10
	v_add_u16_e32 v12, v12, v9
	v_cndmask_b32_e64 v11, 0, v11, s[24:25]
	v_cndmask_b32_e64 v9, v9, v12, s[24:25]
	v_add_u32_e32 v8, v11, v8
	;; [unrolled: 9-line block ×3, first 2 shown]
	v_bfe_i32 v12, v6, 4, 1
	v_mov_b32_dpp v11, v9 row_bcast:15 row_mask:0xf bank_mask:0xf
	v_mov_b32_dpp v10, v8 row_bcast:15 row_mask:0xf bank_mask:0xf
	v_cmp_eq_u32_e64 s[24:25], 0, v8
	v_and_b32_e32 v13, 16, v6
	v_cndmask_b32_e64 v11, 0, v11, s[24:25]
	v_and_b32_e32 v10, v12, v10
	v_add_u16_e32 v11, v11, v9
	v_add_u32_e32 v8, v10, v8
	v_cmp_eq_u32_e64 s[24:25], 0, v13
	v_cndmask_b32_e64 v9, v11, v9, s[24:25]
	v_mov_b32_dpp v10, v8 row_bcast:31 row_mask:0xf bank_mask:0xf
	v_cmp_eq_u32_e64 s[24:25], 0, v8
	v_cmp_lt_u32_e64 s[26:27], 31, v6
	v_mov_b32_dpp v11, v9 row_bcast:31 row_mask:0xf bank_mask:0xf
	v_cndmask_b32_e64 v10, 0, v10, s[26:27]
	s_and_b64 s[24:25], s[26:27], s[24:25]
	v_add_u32_e32 v8, v10, v8
	v_cndmask_b32_e64 v10, 0, v11, s[24:25]
	v_add_u16_e32 v9, v10, v9
	v_cmp_eq_u32_e64 s[24:25], v81, v0
	v_lshlrev_b32_e32 v11, 3, v80
	s_and_saveexec_b64 s[26:27], s[24:25]
	s_cbranch_execz .LBB663_145
; %bb.144:
	ds_write_b32 v11, v8 offset:1040
	ds_write_b16 v11, v9 offset:1044
.LBB663_145:
	s_or_b64 exec, exec, s[26:27]
	v_cmp_gt_u32_e64 s[24:25], 4, v0
	s_waitcnt lgkmcnt(0)
	s_barrier
	s_and_saveexec_b64 s[28:29], s[24:25]
	s_cbranch_execz .LBB663_147
; %bb.146:
	v_lshlrev_b32_e32 v10, 3, v0
	ds_read_b64 v[12:13], v10 offset:1040
	v_and_b32_e32 v24, 3, v6
	s_mov_b32 s26, 0xffff0000
	s_waitcnt lgkmcnt(0)
	v_mov_b32_dpp v33, v13 row_shr:1 row_mask:0xf bank_mask:0xf
	v_cmp_eq_u32_e64 s[24:25], 0, v12
	v_mov_b32_dpp v32, v12 row_shr:1 row_mask:0xf bank_mask:0xf
	v_cndmask_b32_e64 v33, 0, v33, s[24:25]
	v_cmp_eq_u32_e64 s[24:25], 0, v24
	v_add_u16_e32 v33, v33, v13
	v_cndmask_b32_e64 v32, v32, 0, s[24:25]
	v_and_or_b32 v34, v13, s26, v33
	v_add_u32_e32 v12, v32, v12
	v_cndmask_b32_e64 v32, v33, v13, s[24:25]
	v_cndmask_b32_e64 v13, v34, v13, s[24:25]
	v_mov_b32_dpp v33, v12 row_shr:2 row_mask:0xf bank_mask:0xf
	v_cmp_eq_u32_e64 s[24:25], 0, v12
	v_cmp_lt_u32_e64 s[26:27], 1, v24
	v_mov_b32_dpp v13, v13 row_shr:2 row_mask:0xf bank_mask:0xf
	v_cndmask_b32_e64 v24, 0, v33, s[26:27]
	s_and_b64 s[24:25], s[26:27], s[24:25]
	v_add_u32_e32 v12, v24, v12
	v_cndmask_b32_e64 v13, 0, v13, s[24:25]
	v_add_u16_e32 v13, v32, v13
	ds_write_b32 v10, v12 offset:1040
	ds_write_b16 v10, v13 offset:1044
.LBB663_147:
	s_or_b64 exec, exec, s[28:29]
	v_cmp_lt_u32_e64 s[24:25], 63, v0
	v_mov_b32_e32 v10, 0
	v_mov_b32_e32 v12, 0
	;; [unrolled: 1-line block ×3, first 2 shown]
	s_waitcnt lgkmcnt(0)
	s_barrier
	s_and_saveexec_b64 s[26:27], s[24:25]
	s_cbranch_execz .LBB663_149
; %bb.148:
	ds_read_b32 v12, v11 offset:1032
	ds_read_u16 v11, v11 offset:1036
	s_waitcnt lgkmcnt(1)
	v_cmp_eq_u32_e64 s[24:25], 0, v12
	v_cndmask_b32_e64 v13, 0, v7, s[24:25]
	s_waitcnt lgkmcnt(0)
	v_add_u16_e32 v13, v13, v11
.LBB663_149:
	s_or_b64 exec, exec, s[26:27]
	v_cmp_eq_u32_e64 s[24:25], 0, v8
	v_add_u32_e32 v11, v12, v8
	v_cndmask_b32_e64 v8, 0, v13, s[24:25]
	v_add_u16_e32 v8, v8, v9
	v_add_u32_e32 v9, -1, v6
	v_and_b32_e32 v24, 64, v6
	v_cmp_lt_i32_e64 s[24:25], v9, v24
	v_cndmask_b32_e64 v9, v9, v6, s[24:25]
	v_lshlrev_b32_e32 v9, 2, v9
	ds_bpermute_b32 v11, v9, v11
	ds_bpermute_b32 v8, v9, v8
	v_cmp_eq_u32_e64 s[24:25], 0, v6
	v_cmp_eq_u32_e64 s[26:27], 0, v30
	s_waitcnt lgkmcnt(1)
	v_cndmask_b32_e64 v6, v11, v12, s[24:25]
	s_waitcnt lgkmcnt(0)
	v_cndmask_b32_e64 v8, v8, v13, s[24:25]
	v_cmp_eq_u32_e64 s[24:25], 0, v0
	v_cndmask_b32_e64 v8, v8, v7, s[24:25]
	v_cndmask_b32_e64 v62, v6, 0, s[24:25]
	v_cndmask_b32_e64 v6, 0, v8, s[26:27]
	v_add_u16_e32 v61, v6, v77
	v_cndmask_b32_e64 v6, 0, v61, s[0:1]
	v_add_u16_e32 v59, v6, v76
	v_cndmask_b32_e64 v6, 0, v59, s[2:3]
	v_add_u16_e32 v57, v6, v78
	v_cndmask_b32_e64 v6, 0, v57, s[4:5]
	v_add_u16_e32 v55, v6, v74
	v_cndmask_b32_e64 v6, 0, v55, s[6:7]
	v_add_u16_e32 v53, v6, v75
	v_cndmask_b32_e64 v6, 0, v53, s[8:9]
	v_add_u16_e32 v51, v6, v72
	v_cndmask_b32_e64 v6, 0, v51, s[10:11]
	v_add_u16_e32 v49, v6, v73
	v_cndmask_b32_e64 v6, 0, v49, s[12:13]
	v_add_u16_e32 v47, v6, v70
	v_cndmask_b32_e64 v6, 0, v47, s[14:15]
	v_add_u16_e32 v45, v6, v71
	v_cndmask_b32_e64 v6, 0, v45, s[16:17]
	v_add_u32_e32 v60, v62, v30
	v_add_u16_e32 v43, v6, v67
	v_add_u32_e32 v58, v60, v31
	v_cndmask_b32_e64 v6, 0, v43, s[18:19]
	v_add_u32_e32 v56, v58, v28
	v_add_u16_e32 v41, v6, v69
	v_add_u32_e32 v54, v56, v29
	v_cndmask_b32_e64 v6, 0, v41, s[20:21]
	;; [unrolled: 4-line block ×3, first 2 shown]
	v_add_u32_e32 v48, v50, v22
	v_add_u16_e32 v37, v6, v66
	ds_read_b32 v6, v10 offset:1064
	v_add_u32_e32 v46, v48, v23
	v_and_b32_e32 v63, 0xffff, v8
	ds_read_u16 v8, v10 offset:1068
	v_add_u32_e32 v44, v46, v20
	v_add_u32_e32 v42, v44, v21
	v_add_u32_e32 v40, v42, v18
	v_add_u32_e32 v38, v40, v19
	v_cndmask_b32_e32 v9, 0, v37, vcc
	s_waitcnt lgkmcnt(1)
	v_cmp_eq_u32_e32 vcc, 0, v6
	v_add_u32_e32 v36, v38, v68
	v_cndmask_b32_e32 v7, 0, v7, vcc
	v_add_u32_e32 v34, v36, v25
	v_add_u16_e32 v35, v9, v64
	s_waitcnt lgkmcnt(0)
	v_add_u16_e32 v24, v7, v8
	s_and_saveexec_b64 s[0:1], s[24:25]
	s_cbranch_execz .LBB663_151
; %bb.150:
	s_add_u32 s2, s44, 0x400
	s_addc_u32 s3, s45, 0
	v_and_b32_e32 v7, 0xff00, v24
	v_mov_b32_e32 v9, 0
	v_or_b32_sdwa v7, v7, v24 dst_sel:DWORD dst_unused:UNUSED_PAD src0_sel:DWORD src1_sel:BYTE_0
	v_mov_b32_e32 v8, 2
	v_pk_mov_b32 v[10:11], s[2:3], s[2:3] op_sel:[0,1]
	;;#ASMSTART
	global_store_dwordx4 v[10:11], v[6:9] off	
s_waitcnt vmcnt(0)
	;;#ASMEND
.LBB663_151:
	s_or_b64 exec, exec, s[0:1]
	v_mov_b32_e32 v8, 0
.LBB663_152:
	s_and_b64 s[0:1], s[30:31], exec
	s_cselect_b32 s1, 0, s59
	s_cselect_b32 s0, 0, s58
	s_cmp_eq_u64 s[0:1], 0
	v_pk_mov_b32 v[32:33], 0, 0
	s_waitcnt lgkmcnt(0)
	s_barrier
	s_cbranch_scc1 .LBB663_154
; %bb.153:
	v_mov_b32_e32 v7, 0
	global_load_dwordx2 v[32:33], v7, s[0:1]
.LBB663_154:
	s_waitcnt vmcnt(0)
	v_lshlrev_b64 v[64:65], 1, v[32:33]
	v_mov_b32_e32 v7, s43
	v_add_co_u32_e32 v10, vcc, s42, v64
	v_mov_b32_e32 v9, 0
	v_addc_co_u32_e32 v11, vcc, v7, v65, vcc
	v_lshlrev_b64 v[66:67], 1, v[8:9]
	v_add_co_u32_e32 v7, vcc, v10, v66
	v_addc_co_u32_e32 v9, vcc, v11, v67, vcc
	v_cmp_eq_u32_e32 vcc, 0, v30
	v_cndmask_b32_e64 v10, 1, 2, vcc
	v_cmp_eq_u32_e32 vcc, 0, v31
	v_cndmask_b32_e64 v11, 1, 2, vcc
	v_cmp_eq_u32_e32 vcc, 0, v28
	v_and_b32_e32 v10, v11, v10
	v_cndmask_b32_e64 v11, 1, 2, vcc
	v_cmp_eq_u32_e32 vcc, 0, v29
	v_and_b32_e32 v10, v10, v11
	;; [unrolled: 3-line block ×13, first 2 shown]
	v_cndmask_b32_e64 v11, 1, 2, vcc
	s_movk_i32 s30, 0x100
	v_and_b32_e32 v10, v10, v11
	v_cmp_gt_u32_e32 vcc, s30, v6
	v_cmp_ne_u32_e64 s[28:29], 0, v30
	v_cmp_ne_u32_e64 s[26:27], 0, v31
	;; [unrolled: 1-line block ×15, first 2 shown]
	s_mov_b64 s[38:39], -1
	v_cmp_gt_i16_e64 s[30:31], 2, v10
	s_cbranch_vccz .LBB663_161
; %bb.155:
	s_and_saveexec_b64 s[38:39], s[30:31]
	s_cbranch_execz .LBB663_160
; %bb.156:
	v_cmp_ne_u16_e32 vcc, 1, v10
	s_mov_b64 s[40:41], 0
	s_and_saveexec_b64 s[30:31], vcc
	s_xor_b64 s[30:31], exec, s[30:31]
	s_cbranch_execnz .LBB663_250
; %bb.157:
	s_andn2_saveexec_b64 s[30:31], s[30:31]
	s_cbranch_execnz .LBB663_266
.LBB663_158:
	s_or_b64 exec, exec, s[30:31]
	s_and_b64 exec, exec, s[40:41]
	s_cbranch_execz .LBB663_160
.LBB663_159:
	v_sub_u32_e32 v12, v34, v8
	v_mov_b32_e32 v13, 0
	v_lshlrev_b64 v[12:13], 1, v[12:13]
	v_add_co_u32_e32 v12, vcc, v7, v12
	v_addc_co_u32_e32 v13, vcc, v9, v13, vcc
	global_store_short_d16_hi v[12:13], v16, off
.LBB663_160:
	s_or_b64 exec, exec, s[38:39]
	s_mov_b64 s[38:39], 0
.LBB663_161:
	s_and_b64 vcc, exec, s[38:39]
	s_cbranch_vccz .LBB663_183
; %bb.162:
	v_cmp_gt_i16_e32 vcc, 2, v10
	s_and_saveexec_b64 s[30:31], vcc
	s_cbranch_execz .LBB663_167
; %bb.163:
	v_cmp_ne_u16_e32 vcc, 1, v10
	s_mov_b64 s[40:41], 0
	s_and_saveexec_b64 s[38:39], vcc
	s_xor_b64 s[38:39], exec, s[38:39]
	s_cbranch_execnz .LBB663_267
; %bb.164:
	s_andn2_saveexec_b64 s[0:1], s[38:39]
	s_cbranch_execnz .LBB663_283
.LBB663_165:
	s_or_b64 exec, exec, s[0:1]
	s_and_b64 exec, exec, s[40:41]
	s_cbranch_execz .LBB663_167
.LBB663_166:
	v_sub_u32_e32 v1, v34, v8
	v_lshlrev_b32_e32 v1, 1, v1
	ds_write_b16_d16_hi v1, v16
.LBB663_167:
	s_or_b64 exec, exec, s[30:31]
	v_cmp_lt_u32_e32 vcc, v0, v6
	s_waitcnt lgkmcnt(0)
	s_barrier
	s_and_saveexec_b64 s[2:3], vcc
	s_cbranch_execz .LBB663_182
; %bb.168:
	v_xad_u32 v1, v0, -1, v6
	s_movk_i32 s0, 0x1700
	v_cmp_gt_u32_e64 s[4:5], s0, v1
	s_movk_i32 s0, 0x16ff
	v_cmp_lt_u32_e32 vcc, s0, v1
	v_mov_b32_e32 v2, v0
	s_and_saveexec_b64 s[6:7], vcc
	s_cbranch_execz .LBB663_179
; %bb.169:
	v_sub_u32_e32 v2, v0, v6
	v_or_b32_e32 v2, 0xff, v2
	v_cmp_ge_u32_e32 vcc, v2, v0
	s_mov_b64 s[0:1], -1
	v_mov_b32_e32 v2, v0
	s_and_saveexec_b64 s[8:9], vcc
	s_cbranch_execz .LBB663_178
; %bb.170:
	v_lshrrev_b32_e32 v14, 8, v1
	v_or_b32_e32 v3, 0x300, v0
	v_or_b32_e32 v2, 0x200, v0
	v_add_u32_e32 v4, -3, v14
	v_or_b32_e32 v1, 0x100, v0
	v_lshrrev_b32_e32 v5, 2, v4
	v_pk_mov_b32 v[12:13], v[2:3], v[2:3] op_sel:[0,1]
	v_add_u32_e32 v15, 1, v5
	v_cmp_lt_u32_e32 vcc, 11, v4
	v_mov_b32_e32 v70, 0
	v_pk_mov_b32 v[10:11], v[0:1], v[0:1] op_sel:[0,1]
	s_and_saveexec_b64 s[10:11], vcc
	s_cbranch_execz .LBB663_174
; %bb.171:
	v_pk_mov_b32 v[12:13], v[2:3], v[2:3] op_sel:[0,1]
	v_and_b32_e32 v16, 0x7ffffffc, v15
	v_lshlrev_b32_e32 v69, 1, v0
	s_mov_b32 s14, 0
	s_mov_b64 s[12:13], 0
	v_mov_b32_e32 v5, 0
	v_pk_mov_b32 v[10:11], v[0:1], v[0:1] op_sel:[0,1]
.LBB663_172:                            ; =>This Inner Loop Header: Depth=1
	v_mov_b32_e32 v4, v10
	v_lshlrev_b64 v[86:87], 1, v[4:5]
	v_add_u32_e32 v72, 0x400, v11
	v_mov_b32_e32 v73, v5
	v_add_co_u32_e64 v86, s[0:1], v7, v86
	v_lshlrev_b64 v[72:73], 1, v[72:73]
	v_addc_co_u32_e64 v87, s[0:1], v9, v87, s[0:1]
	v_add_u32_e32 v70, 0x400, v12
	v_mov_b32_e32 v71, v5
	v_add_co_u32_e64 v72, s[0:1], v7, v72
	v_lshlrev_b64 v[88:89], 1, v[70:71]
	v_addc_co_u32_e64 v73, s[0:1], v9, v73, s[0:1]
	v_add_u32_e32 v2, 0x400, v13
	v_mov_b32_e32 v3, v5
	v_add_co_u32_e64 v88, s[0:1], v7, v88
	v_add_u32_e32 v16, -4, v16
	v_mov_b32_e32 v4, v11
	v_lshlrev_b64 v[2:3], 1, v[2:3]
	v_addc_co_u32_e64 v89, s[0:1], v9, v89, s[0:1]
	v_add_u32_e32 v78, 0x800, v11
	v_mov_b32_e32 v79, v5
	s_add_i32 s14, s14, 16
	v_cmp_eq_u32_e32 vcc, 0, v16
	v_lshlrev_b64 v[90:91], 1, v[4:5]
	v_add_co_u32_e64 v2, s[0:1], v7, v2
	v_lshlrev_b64 v[78:79], 1, v[78:79]
	v_mov_b32_e32 v4, v12
	v_addc_co_u32_e64 v3, s[0:1], v9, v3, s[0:1]
	s_or_b64 s[12:13], vcc, s[12:13]
	v_add_co_u32_e32 v90, vcc, v7, v90
	v_add_u32_e32 v76, 0x800, v12
	v_mov_b32_e32 v77, v5
	v_add_co_u32_e64 v78, s[0:1], v7, v78
	v_addc_co_u32_e32 v91, vcc, v9, v91, vcc
	v_lshlrev_b64 v[92:93], 1, v[4:5]
	v_lshlrev_b64 v[76:77], 1, v[76:77]
	v_addc_co_u32_e64 v79, s[0:1], v9, v79, s[0:1]
	v_mov_b32_e32 v4, v13
	v_add_co_u32_e32 v92, vcc, v7, v92
	ds_read_u16 v1, v69
	ds_read_u16 v96, v69 offset:512
	ds_read_u16 v97, v69 offset:1024
	;; [unrolled: 1-line block ×7, first 2 shown]
	v_add_u32_e32 v74, 0x800, v13
	v_mov_b32_e32 v75, v5
	v_add_co_u32_e64 v76, s[0:1], v7, v76
	v_addc_co_u32_e32 v93, vcc, v9, v93, vcc
	v_lshlrev_b64 v[94:95], 1, v[4:5]
	v_lshlrev_b64 v[74:75], 1, v[74:75]
	v_addc_co_u32_e64 v77, s[0:1], v9, v77, s[0:1]
	v_add_u32_e32 v4, 0x400, v10
	v_add_co_u32_e32 v94, vcc, v7, v94
	v_add_u32_e32 v84, 0xc00, v11
	v_mov_b32_e32 v85, v5
	ds_read_u16 v103, v69 offset:4096
	ds_read_u16 v104, v69 offset:4608
	;; [unrolled: 1-line block ×8, first 2 shown]
	v_add_co_u32_e64 v74, s[0:1], v7, v74
	v_addc_co_u32_e32 v95, vcc, v9, v95, vcc
	s_waitcnt lgkmcnt(14)
	global_store_short v[86:87], v1, off
	global_store_short v[90:91], v96, off
	s_waitcnt lgkmcnt(13)
	global_store_short v[92:93], v97, off
	v_lshlrev_b64 v[86:87], 1, v[4:5]
	v_lshlrev_b64 v[84:85], 1, v[84:85]
	v_addc_co_u32_e64 v75, s[0:1], v9, v75, s[0:1]
	v_add_u32_e32 v4, 0x800, v10
	v_add_co_u32_e32 v86, vcc, v7, v86
	v_add_u32_e32 v82, 0xc00, v12
	v_mov_b32_e32 v83, v5
	v_add_co_u32_e64 v84, s[0:1], v7, v84
	v_addc_co_u32_e32 v87, vcc, v9, v87, vcc
	v_lshlrev_b64 v[90:91], 1, v[4:5]
	v_lshlrev_b64 v[82:83], 1, v[82:83]
	v_addc_co_u32_e64 v85, s[0:1], v9, v85, s[0:1]
	s_waitcnt lgkmcnt(12)
	global_store_short v[94:95], v98, off
	v_add_u32_e32 v4, 0xc00, v10
	s_waitcnt lgkmcnt(11)
	global_store_short v[86:87], v99, off
	s_waitcnt lgkmcnt(10)
	global_store_short v[72:73], v100, off
	;; [unrolled: 2-line block ×4, first 2 shown]
	v_add_co_u32_e32 v2, vcc, v7, v90
	v_add_u32_e32 v80, 0xc00, v13
	v_mov_b32_e32 v81, v5
	v_add_co_u32_e64 v82, s[0:1], v7, v82
	v_addc_co_u32_e32 v3, vcc, v9, v91, vcc
	v_lshlrev_b64 v[72:73], 1, v[4:5]
	v_lshlrev_b64 v[80:81], 1, v[80:81]
	v_addc_co_u32_e64 v83, s[0:1], v9, v83, s[0:1]
	s_waitcnt lgkmcnt(7)
	global_store_short v[2:3], v103, off
	s_waitcnt lgkmcnt(6)
	global_store_short v[78:79], v104, off
	;; [unrolled: 2-line block ×4, first 2 shown]
	v_add_co_u32_e32 v2, vcc, v7, v72
	v_add_u32_e32 v69, 0x2000, v69
	v_add_u32_e32 v11, 0x1000, v11
	v_mov_b32_e32 v70, s14
	v_add_co_u32_e64 v80, s[0:1], v7, v80
	v_add_u32_e32 v12, 0x1000, v12
	v_add_u32_e32 v13, 0x1000, v13
	;; [unrolled: 1-line block ×3, first 2 shown]
	v_addc_co_u32_e32 v3, vcc, v9, v73, vcc
	v_addc_co_u32_e64 v81, s[0:1], v9, v81, s[0:1]
	s_waitcnt lgkmcnt(3)
	global_store_short v[2:3], v107, off
	s_waitcnt lgkmcnt(2)
	global_store_short v[84:85], v108, off
	;; [unrolled: 2-line block ×4, first 2 shown]
	s_andn2_b64 exec, exec, s[12:13]
	s_cbranch_execnz .LBB663_172
; %bb.173:
	s_or_b64 exec, exec, s[12:13]
.LBB663_174:
	s_or_b64 exec, exec, s[10:11]
	v_and_b32_e32 v1, 3, v15
	v_cmp_ne_u32_e32 vcc, 0, v1
	s_and_saveexec_b64 s[10:11], vcc
	s_cbranch_execz .LBB663_177
; %bb.175:
	v_lshlrev_b32_e32 v2, 1, v0
	v_lshl_or_b32 v4, v70, 9, v2
	s_mov_b64 s[12:13], 0
	v_mov_b32_e32 v3, 0
.LBB663_176:                            ; =>This Inner Loop Header: Depth=1
	v_mov_b32_e32 v2, v10
	v_add_u32_e32 v1, -1, v1
	v_lshlrev_b64 v[70:71], 1, v[2:3]
	v_mov_b32_e32 v2, v11
	v_cmp_eq_u32_e32 vcc, 0, v1
	v_lshlrev_b64 v[72:73], 1, v[2:3]
	ds_read_u16 v5, v4
	ds_read_u16 v15, v4 offset:512
	ds_read_u16 v16, v4 offset:1024
	;; [unrolled: 1-line block ×3, first 2 shown]
	v_mov_b32_e32 v2, v12
	s_or_b64 s[12:13], vcc, s[12:13]
	v_add_co_u32_e32 v72, vcc, v7, v72
	v_addc_co_u32_e32 v73, vcc, v9, v73, vcc
	v_lshlrev_b64 v[74:75], 1, v[2:3]
	v_mov_b32_e32 v2, v13
	v_add_co_u32_e32 v74, vcc, v7, v74
	v_add_co_u32_e64 v70, s[0:1], v7, v70
	v_addc_co_u32_e32 v75, vcc, v9, v75, vcc
	v_lshlrev_b64 v[76:77], 1, v[2:3]
	v_add_u32_e32 v10, 0x400, v10
	v_add_u32_e32 v4, 0x800, v4
	;; [unrolled: 1-line block ×3, first 2 shown]
	v_addc_co_u32_e64 v71, s[0:1], v9, v71, s[0:1]
	v_add_u32_e32 v12, 0x400, v12
	v_add_u32_e32 v13, 0x400, v13
	v_add_co_u32_e32 v76, vcc, v7, v76
	v_addc_co_u32_e32 v77, vcc, v9, v77, vcc
	s_waitcnt lgkmcnt(3)
	global_store_short v[70:71], v5, off
	s_waitcnt lgkmcnt(2)
	global_store_short v[72:73], v15, off
	;; [unrolled: 2-line block ×4, first 2 shown]
	s_andn2_b64 exec, exec, s[12:13]
	s_cbranch_execnz .LBB663_176
.LBB663_177:
	s_or_b64 exec, exec, s[10:11]
	v_add_u32_e32 v1, 1, v14
	v_and_b32_e32 v3, 0x1fffffc, v1
	v_cmp_ne_u32_e32 vcc, v1, v3
	v_lshl_or_b32 v2, v3, 8, v0
	s_orn2_b64 s[0:1], vcc, exec
.LBB663_178:
	s_or_b64 exec, exec, s[8:9]
	s_andn2_b64 s[4:5], s[4:5], exec
	s_and_b64 s[0:1], s[0:1], exec
	s_or_b64 s[4:5], s[4:5], s[0:1]
.LBB663_179:
	s_or_b64 exec, exec, s[6:7]
	s_and_b64 exec, exec, s[4:5]
	s_cbranch_execz .LBB663_182
; %bb.180:
	v_lshlrev_b32_e32 v1, 1, v2
	s_mov_b64 s[0:1], 0
	v_mov_b32_e32 v3, 0
.LBB663_181:                            ; =>This Inner Loop Header: Depth=1
	v_lshlrev_b64 v[4:5], 1, v[2:3]
	ds_read_u16 v10, v1
	v_add_co_u32_e32 v4, vcc, v7, v4
	v_add_u32_e32 v2, 0x100, v2
	v_addc_co_u32_e32 v5, vcc, v9, v5, vcc
	v_cmp_ge_u32_e32 vcc, v2, v6
	v_add_u32_e32 v1, 0x200, v1
	s_or_b64 s[0:1], vcc, s[0:1]
	s_waitcnt lgkmcnt(0)
	global_store_short v[4:5], v10, off
	s_andn2_b64 exec, exec, s[0:1]
	s_cbranch_execnz .LBB663_181
.LBB663_182:
	s_or_b64 exec, exec, s[2:3]
.LBB663_183:
	s_cmpk_lg_i32 s33, 0xf00
	s_cselect_b64 s[0:1], -1, 0
	v_cndmask_b32_e64 v1, 0, 1, s[36:37]
	s_and_b64 s[0:1], s[34:35], s[0:1]
	v_cmp_eq_u32_e32 vcc, 0, v0
	v_sub_u32_e32 v3, v6, v1
	v_cndmask_b32_e64 v2, 0, 1, s[0:1]
	s_and_b64 s[0:1], vcc, s[36:37]
	v_add_u32_e32 v7, v3, v2
	v_cndmask_b32_e64 v3, v30, 0, s[0:1]
	s_mul_hi_u32 s0, s33, 0x88888889
	s_lshr_b32 s0, s0, 3
	v_mad_i32_i24 v4, v0, -15, s33
	v_cmp_eq_u32_e32 vcc, s0, v0
	v_cmp_ne_u32_e64 s[0:1], 0, v4
	v_cndmask_b32_e64 v5, 1, v3, s[0:1]
	v_cmp_ne_u32_e64 s[0:1], 1, v4
	v_cndmask_b32_e64 v9, 1, v31, s[0:1]
	;; [unrolled: 2-line block ×15, first 2 shown]
	s_and_b64 vcc, s[34:35], vcc
	v_cndmask_b32_e32 v4, v17, v4, vcc
	v_cndmask_b32_e32 v17, v25, v72, vcc
	;; [unrolled: 1-line block ×15, first 2 shown]
	v_mov_b32_e32 v3, s53
	v_add_co_u32_e32 v9, vcc, s52, v64
	v_addc_co_u32_e32 v3, vcc, v3, v65, vcc
	v_add_co_u32_e32 v9, vcc, v9, v66
	v_addc_co_u32_e32 v14, vcc, v3, v67, vcc
	v_lshlrev_b32_e32 v3, 1, v1
	v_add_co_u32_e32 v3, vcc, v3, v9
	v_addc_co_u32_e32 v16, vcc, 0, v14, vcc
	v_add_co_u32_e32 v15, vcc, -2, v3
	v_addc_co_u32_e32 v16, vcc, -1, v16, vcc
	v_cmp_eq_u32_e32 vcc, 0, v5
	v_cmp_ne_u32_e64 s[28:29], 0, v5
	v_cndmask_b32_e64 v5, 1, 2, vcc
	v_cmp_eq_u32_e32 vcc, 0, v26
	v_cmp_ne_u32_e64 s[26:27], 0, v26
	v_cndmask_b32_e64 v26, 1, 2, vcc
	v_cmp_eq_u32_e32 vcc, 0, v10
	v_and_b32_e32 v5, v26, v5
	v_cmp_ne_u32_e64 s[24:25], 0, v10
	v_cndmask_b32_e64 v10, 1, 2, vcc
	v_cmp_eq_u32_e32 vcc, 0, v11
	v_and_b32_e32 v5, v5, v10
	v_cndmask_b32_e64 v10, 1, 2, vcc
	v_cmp_eq_u32_e32 vcc, 0, v12
	v_and_b32_e32 v5, v5, v10
	;; [unrolled: 3-line block ×12, first 2 shown]
	v_cmp_ne_u32_e64 s[0:1], 0, v4
	v_cndmask_b32_e64 v4, 1, 2, vcc
	s_movk_i32 s30, 0x100
	v_and_b32_e32 v4, v5, v4
	v_cmp_gt_u32_e32 vcc, s30, v7
	v_add_u32_e32 v3, v8, v1
	v_cmp_ne_u32_e64 s[22:23], 0, v11
	v_cmp_ne_u32_e64 s[20:21], 0, v12
	;; [unrolled: 1-line block ×11, first 2 shown]
	s_mov_b64 s[36:37], -1
	v_cmp_gt_i16_e64 s[30:31], 2, v4
	s_barrier
	s_cbranch_vccz .LBB663_190
; %bb.184:
	s_and_saveexec_b64 s[36:37], s[30:31]
	s_cbranch_execz .LBB663_189
; %bb.185:
	v_cmp_ne_u16_e32 vcc, 1, v4
	s_mov_b64 s[38:39], 0
	s_and_saveexec_b64 s[30:31], vcc
	s_xor_b64 s[30:31], exec, s[30:31]
	s_cbranch_execnz .LBB663_284
; %bb.186:
	s_andn2_saveexec_b64 s[30:31], s[30:31]
	s_cbranch_execnz .LBB663_300
.LBB663_187:
	s_or_b64 exec, exec, s[30:31]
	s_and_b64 exec, exec, s[38:39]
	s_cbranch_execz .LBB663_189
.LBB663_188:
	v_sub_u32_e32 v10, v34, v3
	v_mov_b32_e32 v11, 0
	v_lshlrev_b64 v[10:11], 1, v[10:11]
	v_add_co_u32_e32 v10, vcc, v15, v10
	v_addc_co_u32_e32 v11, vcc, v16, v11, vcc
	global_store_short v[10:11], v35, off
.LBB663_189:
	s_or_b64 exec, exec, s[36:37]
	s_mov_b64 s[36:37], 0
.LBB663_190:
	s_and_b64 vcc, exec, s[36:37]
	s_cbranch_vccz .LBB663_212
; %bb.191:
	v_cmp_gt_i16_e32 vcc, 2, v4
	s_and_saveexec_b64 s[30:31], vcc
	s_cbranch_execz .LBB663_196
; %bb.192:
	v_cmp_ne_u16_e32 vcc, 1, v4
	s_mov_b64 s[38:39], 0
	s_and_saveexec_b64 s[36:37], vcc
	s_xor_b64 s[36:37], exec, s[36:37]
	s_cbranch_execnz .LBB663_301
; %bb.193:
	s_andn2_saveexec_b64 s[0:1], s[36:37]
	s_cbranch_execnz .LBB663_317
.LBB663_194:
	s_or_b64 exec, exec, s[0:1]
	s_and_b64 exec, exec, s[38:39]
	s_cbranch_execz .LBB663_196
.LBB663_195:
	v_sub_u32_e32 v3, v34, v3
	v_lshlrev_b32_e32 v3, 1, v3
	ds_write_b16 v3, v35
.LBB663_196:
	s_or_b64 exec, exec, s[30:31]
	v_cmp_lt_u32_e32 vcc, v0, v7
	s_waitcnt lgkmcnt(0)
	s_barrier
	s_and_saveexec_b64 s[2:3], vcc
	s_cbranch_execz .LBB663_211
; %bb.197:
	v_add_u32_e32 v4, v6, v2
	v_xad_u32 v2, v0, -1, v4
	v_sub_u32_e32 v3, v2, v1
	s_movk_i32 s0, 0x1b00
	v_cmp_gt_u32_e64 s[4:5], s0, v3
	s_movk_i32 s0, 0x1aff
	v_cmp_lt_u32_e32 vcc, s0, v3
	v_mov_b32_e32 v2, v0
	s_and_saveexec_b64 s[6:7], vcc
	s_cbranch_execz .LBB663_208
; %bb.198:
	v_sub_u32_e32 v2, v0, v4
	v_add_u32_e32 v1, v2, v1
	v_or_b32_e32 v1, 0xff, v1
	v_cmp_ge_u32_e32 vcc, v1, v0
	s_mov_b64 s[0:1], -1
	v_mov_b32_e32 v2, v0
	s_and_saveexec_b64 s[8:9], vcc
	s_cbranch_execz .LBB663_207
; %bb.199:
	v_lshrrev_b32_e32 v17, 8, v3
	v_or_b32_e32 v3, 0x300, v0
	v_or_b32_e32 v2, 0x200, v0
	v_add_u32_e32 v4, -3, v17
	v_or_b32_e32 v1, 0x100, v0
	v_lshrrev_b32_e32 v5, 2, v4
	v_pk_mov_b32 v[12:13], v[2:3], v[2:3] op_sel:[0,1]
	v_add_u32_e32 v19, 1, v5
	v_cmp_lt_u32_e32 vcc, 11, v4
	v_mov_b32_e32 v22, 0
	v_lshlrev_b32_e32 v18, 1, v0
	v_pk_mov_b32 v[10:11], v[0:1], v[0:1] op_sel:[0,1]
	s_and_saveexec_b64 s[10:11], vcc
	s_cbranch_execz .LBB663_203
; %bb.200:
	v_pk_mov_b32 v[12:13], v[2:3], v[2:3] op_sel:[0,1]
	v_and_b32_e32 v20, 0x7ffffffc, v19
	s_mov_b32 s14, 0
	s_mov_b64 s[12:13], 0
	v_mov_b32_e32 v5, 0
	v_mov_b32_e32 v21, v18
	v_pk_mov_b32 v[10:11], v[0:1], v[0:1] op_sel:[0,1]
.LBB663_201:                            ; =>This Inner Loop Header: Depth=1
	v_mov_b32_e32 v4, v10
	v_lshlrev_b64 v[42:43], 1, v[4:5]
	v_add_u32_e32 v26, 0x400, v11
	v_mov_b32_e32 v27, v5
	v_add_co_u32_e64 v42, s[0:1], v15, v42
	v_lshlrev_b64 v[26:27], 1, v[26:27]
	v_addc_co_u32_e64 v43, s[0:1], v16, v43, s[0:1]
	v_add_u32_e32 v22, 0x400, v12
	v_mov_b32_e32 v23, v5
	v_add_co_u32_e64 v26, s[0:1], v15, v26
	v_lshlrev_b64 v[44:45], 1, v[22:23]
	v_addc_co_u32_e64 v27, s[0:1], v16, v27, s[0:1]
	v_add_u32_e32 v2, 0x400, v13
	v_mov_b32_e32 v3, v5
	v_add_co_u32_e64 v44, s[0:1], v15, v44
	v_add_u32_e32 v20, -4, v20
	v_mov_b32_e32 v4, v11
	v_lshlrev_b64 v[2:3], 1, v[2:3]
	v_addc_co_u32_e64 v45, s[0:1], v16, v45, s[0:1]
	v_add_u32_e32 v34, 0x800, v11
	v_mov_b32_e32 v35, v5
	s_add_i32 s14, s14, 16
	v_cmp_eq_u32_e32 vcc, 0, v20
	v_lshlrev_b64 v[46:47], 1, v[4:5]
	v_add_co_u32_e64 v2, s[0:1], v15, v2
	v_lshlrev_b64 v[34:35], 1, v[34:35]
	v_mov_b32_e32 v4, v12
	v_addc_co_u32_e64 v3, s[0:1], v16, v3, s[0:1]
	s_or_b64 s[12:13], vcc, s[12:13]
	v_add_co_u32_e32 v46, vcc, v15, v46
	v_add_u32_e32 v30, 0x800, v12
	v_mov_b32_e32 v31, v5
	v_add_co_u32_e64 v34, s[0:1], v15, v34
	v_addc_co_u32_e32 v47, vcc, v16, v47, vcc
	v_lshlrev_b64 v[48:49], 1, v[4:5]
	v_lshlrev_b64 v[30:31], 1, v[30:31]
	v_addc_co_u32_e64 v35, s[0:1], v16, v35, s[0:1]
	v_mov_b32_e32 v4, v13
	v_add_co_u32_e32 v48, vcc, v15, v48
	ds_read_u16 v1, v21
	ds_read_u16 v25, v21 offset:512
	ds_read_u16 v52, v21 offset:1024
	;; [unrolled: 1-line block ×7, first 2 shown]
	v_add_u32_e32 v28, 0x800, v13
	v_mov_b32_e32 v29, v5
	v_add_co_u32_e64 v30, s[0:1], v15, v30
	v_addc_co_u32_e32 v49, vcc, v16, v49, vcc
	v_lshlrev_b64 v[50:51], 1, v[4:5]
	v_lshlrev_b64 v[28:29], 1, v[28:29]
	v_addc_co_u32_e64 v31, s[0:1], v16, v31, s[0:1]
	v_add_u32_e32 v4, 0x400, v10
	v_add_co_u32_e32 v50, vcc, v15, v50
	v_add_u32_e32 v40, 0xc00, v11
	v_mov_b32_e32 v41, v5
	ds_read_u16 v58, v21 offset:4096
	ds_read_u16 v59, v21 offset:4608
	;; [unrolled: 1-line block ×8, first 2 shown]
	v_add_co_u32_e64 v28, s[0:1], v15, v28
	v_addc_co_u32_e32 v51, vcc, v16, v51, vcc
	s_waitcnt lgkmcnt(14)
	global_store_short v[42:43], v1, off
	global_store_short v[46:47], v25, off
	s_waitcnt lgkmcnt(13)
	global_store_short v[48:49], v52, off
	v_lshlrev_b64 v[42:43], 1, v[4:5]
	v_lshlrev_b64 v[40:41], 1, v[40:41]
	v_addc_co_u32_e64 v29, s[0:1], v16, v29, s[0:1]
	v_add_u32_e32 v4, 0x800, v10
	v_add_co_u32_e32 v42, vcc, v15, v42
	v_add_u32_e32 v38, 0xc00, v12
	v_mov_b32_e32 v39, v5
	v_add_co_u32_e64 v40, s[0:1], v15, v40
	v_addc_co_u32_e32 v43, vcc, v16, v43, vcc
	v_lshlrev_b64 v[46:47], 1, v[4:5]
	v_lshlrev_b64 v[38:39], 1, v[38:39]
	v_addc_co_u32_e64 v41, s[0:1], v16, v41, s[0:1]
	s_waitcnt lgkmcnt(12)
	global_store_short v[50:51], v53, off
	v_add_u32_e32 v4, 0xc00, v10
	s_waitcnt lgkmcnt(11)
	global_store_short v[42:43], v54, off
	s_waitcnt lgkmcnt(10)
	global_store_short v[26:27], v55, off
	;; [unrolled: 2-line block ×4, first 2 shown]
	v_add_co_u32_e32 v2, vcc, v15, v46
	v_add_u32_e32 v36, 0xc00, v13
	v_mov_b32_e32 v37, v5
	v_add_co_u32_e64 v38, s[0:1], v15, v38
	v_addc_co_u32_e32 v3, vcc, v16, v47, vcc
	v_lshlrev_b64 v[26:27], 1, v[4:5]
	v_lshlrev_b64 v[36:37], 1, v[36:37]
	v_addc_co_u32_e64 v39, s[0:1], v16, v39, s[0:1]
	s_waitcnt lgkmcnt(7)
	global_store_short v[2:3], v58, off
	s_waitcnt lgkmcnt(6)
	global_store_short v[34:35], v59, off
	;; [unrolled: 2-line block ×4, first 2 shown]
	v_add_co_u32_e32 v2, vcc, v15, v26
	v_add_u32_e32 v21, 0x2000, v21
	v_add_u32_e32 v11, 0x1000, v11
	v_mov_b32_e32 v22, s14
	v_add_co_u32_e64 v36, s[0:1], v15, v36
	v_add_u32_e32 v12, 0x1000, v12
	v_add_u32_e32 v13, 0x1000, v13
	;; [unrolled: 1-line block ×3, first 2 shown]
	v_addc_co_u32_e32 v3, vcc, v16, v27, vcc
	v_addc_co_u32_e64 v37, s[0:1], v16, v37, s[0:1]
	s_waitcnt lgkmcnt(3)
	global_store_short v[2:3], v62, off
	s_waitcnt lgkmcnt(2)
	global_store_short v[40:41], v63, off
	;; [unrolled: 2-line block ×4, first 2 shown]
	s_andn2_b64 exec, exec, s[12:13]
	s_cbranch_execnz .LBB663_201
; %bb.202:
	s_or_b64 exec, exec, s[12:13]
.LBB663_203:
	s_or_b64 exec, exec, s[10:11]
	v_and_b32_e32 v1, 3, v19
	v_cmp_ne_u32_e32 vcc, 0, v1
	s_and_saveexec_b64 s[10:11], vcc
	s_cbranch_execz .LBB663_206
; %bb.204:
	v_lshl_or_b32 v4, v22, 9, v18
	s_mov_b64 s[12:13], 0
	v_mov_b32_e32 v3, 0
.LBB663_205:                            ; =>This Inner Loop Header: Depth=1
	v_mov_b32_e32 v2, v10
	v_add_u32_e32 v1, -1, v1
	v_lshlrev_b64 v[18:19], 1, v[2:3]
	v_mov_b32_e32 v2, v11
	v_cmp_eq_u32_e32 vcc, 0, v1
	v_lshlrev_b64 v[20:21], 1, v[2:3]
	ds_read_u16 v5, v4
	ds_read_u16 v25, v4 offset:512
	ds_read_u16 v28, v4 offset:1024
	;; [unrolled: 1-line block ×3, first 2 shown]
	v_mov_b32_e32 v2, v12
	s_or_b64 s[12:13], vcc, s[12:13]
	v_add_co_u32_e32 v20, vcc, v15, v20
	v_addc_co_u32_e32 v21, vcc, v16, v21, vcc
	v_lshlrev_b64 v[22:23], 1, v[2:3]
	v_mov_b32_e32 v2, v13
	v_add_co_u32_e32 v22, vcc, v15, v22
	v_add_co_u32_e64 v18, s[0:1], v15, v18
	v_addc_co_u32_e32 v23, vcc, v16, v23, vcc
	v_lshlrev_b64 v[26:27], 1, v[2:3]
	v_add_u32_e32 v10, 0x400, v10
	v_add_u32_e32 v4, 0x800, v4
	;; [unrolled: 1-line block ×3, first 2 shown]
	v_addc_co_u32_e64 v19, s[0:1], v16, v19, s[0:1]
	v_add_u32_e32 v12, 0x400, v12
	v_add_u32_e32 v13, 0x400, v13
	v_add_co_u32_e32 v26, vcc, v15, v26
	v_addc_co_u32_e32 v27, vcc, v16, v27, vcc
	s_waitcnt lgkmcnt(3)
	global_store_short v[18:19], v5, off
	s_waitcnt lgkmcnt(2)
	global_store_short v[20:21], v25, off
	;; [unrolled: 2-line block ×4, first 2 shown]
	s_andn2_b64 exec, exec, s[12:13]
	s_cbranch_execnz .LBB663_205
.LBB663_206:
	s_or_b64 exec, exec, s[10:11]
	v_add_u32_e32 v1, 1, v17
	v_and_b32_e32 v3, 0x1fffffc, v1
	v_cmp_ne_u32_e32 vcc, v1, v3
	v_lshl_or_b32 v2, v3, 8, v0
	s_orn2_b64 s[0:1], vcc, exec
.LBB663_207:
	s_or_b64 exec, exec, s[8:9]
	s_andn2_b64 s[4:5], s[4:5], exec
	s_and_b64 s[0:1], s[0:1], exec
	s_or_b64 s[4:5], s[4:5], s[0:1]
.LBB663_208:
	s_or_b64 exec, exec, s[6:7]
	s_and_b64 exec, exec, s[4:5]
	s_cbranch_execz .LBB663_211
; %bb.209:
	v_lshlrev_b32_e32 v1, 1, v2
	s_mov_b64 s[0:1], 0
	v_mov_b32_e32 v3, 0
.LBB663_210:                            ; =>This Inner Loop Header: Depth=1
	v_lshlrev_b64 v[4:5], 1, v[2:3]
	ds_read_u16 v10, v1
	v_add_co_u32_e32 v4, vcc, v15, v4
	v_add_u32_e32 v2, 0x100, v2
	v_addc_co_u32_e32 v5, vcc, v16, v5, vcc
	v_cmp_ge_u32_e32 vcc, v2, v7
	v_add_u32_e32 v1, 0x200, v1
	s_or_b64 s[0:1], vcc, s[0:1]
	s_waitcnt lgkmcnt(0)
	global_store_short v[4:5], v10, off
	s_andn2_b64 exec, exec, s[0:1]
	s_cbranch_execnz .LBB663_210
.LBB663_211:
	s_or_b64 exec, exec, s[2:3]
.LBB663_212:
	s_movk_i32 s0, 0xff
	v_cmp_eq_u32_e32 vcc, s0, v0
	s_and_b64 s[0:1], vcc, s[34:35]
	s_and_saveexec_b64 s[2:3], s[0:1]
	s_cbranch_execz .LBB663_215
; %bb.213:
	v_add_co_u32_e32 v0, vcc, v6, v8
	v_addc_co_u32_e64 v1, s[0:1], 0, 0, vcc
	v_add_co_u32_e32 v0, vcc, v0, v32
	v_mov_b32_e32 v7, 0
	v_addc_co_u32_e32 v1, vcc, v1, v33, vcc
	s_cmpk_lg_i32 s33, 0xf00
	global_store_dwordx2 v7, v[0:1], s[54:55]
	s_cbranch_scc1 .LBB663_215
; %bb.214:
	v_lshlrev_b64 v[0:1], 1, v[6:7]
	v_add_co_u32_e32 v0, vcc, v9, v0
	v_addc_co_u32_e32 v1, vcc, v14, v1, vcc
	global_store_short v[0:1], v24, off offset:-2
.LBB663_215:
	s_endpgm
.LBB663_216:
                                        ; implicit-def: $sgpr4_sgpr5
                                        ; implicit-def: $vgpr17
                                        ; implicit-def: $vgpr9
                                        ; implicit-def: $vgpr68
                                        ; implicit-def: $vgpr19
                                        ; implicit-def: $vgpr18
                                        ; implicit-def: $vgpr21
                                        ; implicit-def: $vgpr20
                                        ; implicit-def: $vgpr23
                                        ; implicit-def: $vgpr22
                                        ; implicit-def: $vgpr27
                                        ; implicit-def: $vgpr26
                                        ; implicit-def: $vgpr29
                                        ; implicit-def: $vgpr28
                                        ; implicit-def: $vgpr31
	s_cbranch_execz .LBB663_110
.LBB663_217:
	v_mov_b32_e32 v25, 0
	v_lshlrev_b32_e32 v8, 1, v0
	v_cmp_gt_u64_e32 vcc, s[2:3], v[24:25]
	v_mov_b32_e32 v17, 0
	ds_write_b16 v8, v10
	s_and_saveexec_b64 s[4:5], vcc
; %bb.218:
	s_movk_i32 s7, 0x6667
	v_mul_i32_i24_sdwa v7, sext(v16), s7 dst_sel:DWORD dst_unused:UNUSED_PAD src0_sel:WORD_0 src1_sel:DWORD
	v_lshrrev_b32_e32 v9, 31, v7
	v_ashrrev_i32_e32 v7, 18, v7
	v_add_u16_e32 v7, v7, v9
	v_mul_i32_i24_sdwa v9, sext(v10), s7 dst_sel:DWORD dst_unused:UNUSED_PAD src0_sel:WORD_0 src1_sel:DWORD
	v_lshrrev_b32_e32 v10, 31, v9
	v_ashrrev_i32_e32 v9, 18, v9
	v_add_u16_e32 v9, v9, v10
	v_cmp_ne_u16_e32 vcc, v7, v9
	v_cndmask_b32_e64 v17, 0, 1, vcc
; %bb.219:
	s_or_b64 exec, exec, s[4:5]
	v_add_u32_e32 v24, 13, v6
	v_cmp_gt_u64_e32 vcc, s[2:3], v[24:25]
	s_and_saveexec_b64 s[4:5], vcc
; %bb.220:
	s_movk_i32 s7, 0x6667
	v_mul_i32_i24_sdwa v7, sext(v15), s7 dst_sel:DWORD dst_unused:UNUSED_PAD src0_sel:WORD_1 src1_sel:DWORD
	v_lshrrev_b32_e32 v9, 31, v7
	v_ashrrev_i32_e32 v7, 18, v7
	v_add_u16_e32 v7, v7, v9
	v_mul_i32_i24_sdwa v9, sext(v16), s7 dst_sel:DWORD dst_unused:UNUSED_PAD src0_sel:WORD_0 src1_sel:DWORD
	v_lshrrev_b32_e32 v10, 31, v9
	v_ashrrev_i32_e32 v9, 18, v9
	v_add_u16_e32 v9, v9, v10
	v_cmp_ne_u16_e32 vcc, v7, v9
	v_cndmask_b32_e64 v25, 0, 1, vcc
; %bb.221:
	s_or_b64 exec, exec, s[4:5]
	v_add_u32_e32 v18, 12, v6
	v_mov_b32_e32 v19, 0
	v_cmp_gt_u64_e32 vcc, s[2:3], v[18:19]
	v_mov_b32_e32 v68, 0
	s_and_saveexec_b64 s[4:5], vcc
; %bb.222:
	s_movk_i32 s7, 0x6667
	v_mul_i32_i24_sdwa v7, sext(v15), s7 dst_sel:DWORD dst_unused:UNUSED_PAD src0_sel:WORD_0 src1_sel:DWORD
	v_lshrrev_b32_e32 v9, 31, v7
	v_ashrrev_i32_e32 v7, 18, v7
	v_add_u16_e32 v7, v7, v9
	v_mul_i32_i24_sdwa v9, sext(v15), s7 dst_sel:DWORD dst_unused:UNUSED_PAD src0_sel:WORD_1 src1_sel:DWORD
	v_lshrrev_b32_e32 v10, 31, v9
	v_ashrrev_i32_e32 v9, 18, v9
	v_add_u16_e32 v9, v9, v10
	v_cmp_ne_u16_e32 vcc, v7, v9
	v_cndmask_b32_e64 v68, 0, 1, vcc
; %bb.223:
	s_or_b64 exec, exec, s[4:5]
	v_add_u32_e32 v18, 11, v6
	v_cmp_gt_u64_e32 vcc, s[2:3], v[18:19]
	s_and_saveexec_b64 s[4:5], vcc
; %bb.224:
	s_movk_i32 s7, 0x6667
	v_mul_i32_i24_sdwa v7, sext(v14), s7 dst_sel:DWORD dst_unused:UNUSED_PAD src0_sel:WORD_1 src1_sel:DWORD
	v_lshrrev_b32_e32 v9, 31, v7
	v_ashrrev_i32_e32 v7, 18, v7
	v_add_u16_e32 v7, v7, v9
	v_mul_i32_i24_sdwa v9, sext(v15), s7 dst_sel:DWORD dst_unused:UNUSED_PAD src0_sel:WORD_0 src1_sel:DWORD
	v_lshrrev_b32_e32 v10, 31, v9
	v_ashrrev_i32_e32 v9, 18, v9
	v_add_u16_e32 v9, v9, v10
	v_cmp_ne_u16_e32 vcc, v7, v9
	v_cndmask_b32_e64 v19, 0, 1, vcc
; %bb.225:
	s_or_b64 exec, exec, s[4:5]
	v_add_u32_e32 v20, 10, v6
	v_mov_b32_e32 v21, 0
	v_cmp_gt_u64_e32 vcc, s[2:3], v[20:21]
	v_mov_b32_e32 v18, 0
	s_and_saveexec_b64 s[4:5], vcc
; %bb.226:
	s_movk_i32 s7, 0x6667
	v_mul_i32_i24_sdwa v7, sext(v14), s7 dst_sel:DWORD dst_unused:UNUSED_PAD src0_sel:WORD_0 src1_sel:DWORD
	v_lshrrev_b32_e32 v9, 31, v7
	v_ashrrev_i32_e32 v7, 18, v7
	v_add_u16_e32 v7, v7, v9
	v_mul_i32_i24_sdwa v9, sext(v14), s7 dst_sel:DWORD dst_unused:UNUSED_PAD src0_sel:WORD_1 src1_sel:DWORD
	;; [unrolled: 36-line block ×6, first 2 shown]
	v_lshrrev_b32_e32 v10, 31, v9
	v_ashrrev_i32_e32 v9, 18, v9
	v_add_u16_e32 v9, v9, v10
	v_cmp_ne_u16_e32 vcc, v7, v9
	v_cndmask_b32_e64 v28, 0, 1, vcc
; %bb.243:
	s_or_b64 exec, exec, s[4:5]
	v_add_u32_e32 v30, 1, v6
	v_cmp_gt_u64_e32 vcc, s[2:3], v[30:31]
	s_and_saveexec_b64 s[4:5], vcc
; %bb.244:
	s_movk_i32 s7, 0x6667
	v_mul_i32_i24_sdwa v7, sext(v1), s7 dst_sel:DWORD dst_unused:UNUSED_PAD src0_sel:WORD_0 src1_sel:DWORD
	v_lshrrev_b32_e32 v9, 31, v7
	v_ashrrev_i32_e32 v7, 18, v7
	v_add_u16_e32 v7, v7, v9
	v_mul_i32_i24_sdwa v9, sext(v2), s7 dst_sel:DWORD dst_unused:UNUSED_PAD src0_sel:WORD_0 src1_sel:DWORD
	v_lshrrev_b32_e32 v10, 31, v9
	v_ashrrev_i32_e32 v9, 18, v9
	v_add_u16_e32 v9, v9, v10
	v_cmp_ne_u16_e32 vcc, v7, v9
	v_cndmask_b32_e64 v31, 0, 1, vcc
; %bb.245:
	s_or_b64 exec, exec, s[4:5]
	v_cmp_ne_u32_e32 vcc, 0, v0
	s_waitcnt lgkmcnt(0)
	s_barrier
	s_waitcnt lgkmcnt(0)
                                        ; implicit-def: $sgpr4_sgpr5
	s_and_saveexec_b64 s[8:9], vcc
	s_cbranch_execz .LBB663_249
; %bb.246:
	v_mov_b32_e32 v7, 0
	v_cmp_gt_u64_e32 vcc, s[2:3], v[6:7]
	s_mov_b64 s[4:5], 0
	s_and_saveexec_b64 s[2:3], vcc
	s_cbranch_execz .LBB663_248
; %bb.247:
	v_add_u32_e32 v6, -2, v8
	ds_read_i16 v6, v6
	s_movk_i32 s4, 0x6667
	v_mul_i32_i24_sdwa v7, sext(v1), s4 dst_sel:DWORD dst_unused:UNUSED_PAD src0_sel:WORD_0 src1_sel:DWORD
	v_lshrrev_b32_e32 v8, 31, v7
	v_ashrrev_i32_e32 v7, 18, v7
	s_waitcnt lgkmcnt(0)
	v_mul_i32_i24_e32 v6, 0x6667, v6
	v_lshrrev_b32_e32 v9, 31, v6
	v_ashrrev_i32_e32 v6, 18, v6
	v_add_u16_e32 v6, v6, v9
	v_add_u16_e32 v7, v7, v8
	v_cmp_ne_u16_e32 vcc, v6, v7
	s_and_b64 s[4:5], vcc, exec
.LBB663_248:
	s_or_b64 exec, exec, s[2:3]
	s_and_b64 s[4:5], s[4:5], exec
	s_or_b64 s[0:1], s[0:1], exec
.LBB663_249:
	s_or_b64 exec, exec, s[8:9]
	s_mov_b32 s8, 1
	v_mov_b32_e32 v9, v25
	v_mov_b32_e32 v30, s8
	s_and_saveexec_b64 s[2:3], s[0:1]
	s_cbranch_execnz .LBB663_112
	s_branch .LBB663_113
.LBB663_250:
	s_and_saveexec_b64 s[40:41], s[28:29]
	s_cbranch_execnz .LBB663_318
; %bb.251:
	s_or_b64 exec, exec, s[40:41]
	s_and_saveexec_b64 s[40:41], s[26:27]
	s_cbranch_execnz .LBB663_319
.LBB663_252:
	s_or_b64 exec, exec, s[40:41]
	s_and_saveexec_b64 s[40:41], s[24:25]
	s_cbranch_execnz .LBB663_320
.LBB663_253:
	s_or_b64 exec, exec, s[40:41]
	s_and_saveexec_b64 s[40:41], s[22:23]
	s_cbranch_execnz .LBB663_321
.LBB663_254:
	s_or_b64 exec, exec, s[40:41]
	s_and_saveexec_b64 s[40:41], s[20:21]
	s_cbranch_execnz .LBB663_322
.LBB663_255:
	s_or_b64 exec, exec, s[40:41]
	s_and_saveexec_b64 s[40:41], s[18:19]
	s_cbranch_execnz .LBB663_323
.LBB663_256:
	s_or_b64 exec, exec, s[40:41]
	s_and_saveexec_b64 s[40:41], s[16:17]
	s_cbranch_execnz .LBB663_324
.LBB663_257:
	s_or_b64 exec, exec, s[40:41]
	s_and_saveexec_b64 s[40:41], s[14:15]
	s_cbranch_execnz .LBB663_325
.LBB663_258:
	s_or_b64 exec, exec, s[40:41]
	s_and_saveexec_b64 s[40:41], s[12:13]
	s_cbranch_execnz .LBB663_326
.LBB663_259:
	s_or_b64 exec, exec, s[40:41]
	s_and_saveexec_b64 s[40:41], s[10:11]
	s_cbranch_execnz .LBB663_327
.LBB663_260:
	s_or_b64 exec, exec, s[40:41]
	s_and_saveexec_b64 s[40:41], s[8:9]
	s_cbranch_execnz .LBB663_328
.LBB663_261:
	s_or_b64 exec, exec, s[40:41]
	s_and_saveexec_b64 s[40:41], s[6:7]
	s_cbranch_execnz .LBB663_329
.LBB663_262:
	s_or_b64 exec, exec, s[40:41]
	s_and_saveexec_b64 s[40:41], s[4:5]
	s_cbranch_execnz .LBB663_330
.LBB663_263:
	s_or_b64 exec, exec, s[40:41]
	s_and_saveexec_b64 s[40:41], s[2:3]
	s_cbranch_execz .LBB663_265
.LBB663_264:
	v_sub_u32_e32 v12, v36, v8
	v_mov_b32_e32 v13, 0
	v_lshlrev_b64 v[12:13], 1, v[12:13]
	v_add_co_u32_e32 v12, vcc, v7, v12
	v_addc_co_u32_e32 v13, vcc, v9, v13, vcc
	global_store_short v[12:13], v16, off
.LBB663_265:
	s_or_b64 exec, exec, s[40:41]
	s_and_b64 s[40:41], s[0:1], exec
	s_andn2_saveexec_b64 s[30:31], s[30:31]
	s_cbranch_execz .LBB663_158
.LBB663_266:
	v_sub_u32_e32 v12, v62, v8
	v_mov_b32_e32 v13, 0
	v_lshlrev_b64 v[70:71], 1, v[12:13]
	v_add_co_u32_e32 v70, vcc, v7, v70
	v_addc_co_u32_e32 v71, vcc, v9, v71, vcc
	v_sub_u32_e32 v12, v60, v8
	global_store_short v[70:71], v1, off
	v_lshlrev_b64 v[70:71], 1, v[12:13]
	v_add_co_u32_e32 v70, vcc, v7, v70
	v_addc_co_u32_e32 v71, vcc, v9, v71, vcc
	v_sub_u32_e32 v12, v58, v8
	global_store_short v[70:71], v2, off
	v_lshlrev_b64 v[70:71], 1, v[12:13]
	v_add_co_u32_e32 v70, vcc, v7, v70
	v_addc_co_u32_e32 v71, vcc, v9, v71, vcc
	v_sub_u32_e32 v12, v56, v8
	global_store_short_d16_hi v[70:71], v2, off
	v_lshlrev_b64 v[70:71], 1, v[12:13]
	v_add_co_u32_e32 v70, vcc, v7, v70
	v_addc_co_u32_e32 v71, vcc, v9, v71, vcc
	v_sub_u32_e32 v12, v54, v8
	global_store_short v[70:71], v3, off
	v_lshlrev_b64 v[70:71], 1, v[12:13]
	v_add_co_u32_e32 v70, vcc, v7, v70
	v_addc_co_u32_e32 v71, vcc, v9, v71, vcc
	v_sub_u32_e32 v12, v52, v8
	global_store_short_d16_hi v[70:71], v3, off
	;; [unrolled: 10-line block ×5, first 2 shown]
	v_lshlrev_b64 v[70:71], 1, v[12:13]
	v_add_co_u32_e32 v70, vcc, v7, v70
	v_addc_co_u32_e32 v71, vcc, v9, v71, vcc
	v_sub_u32_e32 v12, v38, v8
	global_store_short v[70:71], v15, off
	v_lshlrev_b64 v[70:71], 1, v[12:13]
	v_add_co_u32_e32 v70, vcc, v7, v70
	v_sub_u32_e32 v12, v36, v8
	v_addc_co_u32_e32 v71, vcc, v9, v71, vcc
	v_lshlrev_b64 v[12:13], 1, v[12:13]
	v_add_co_u32_e32 v12, vcc, v7, v12
	v_addc_co_u32_e32 v13, vcc, v9, v13, vcc
	s_or_b64 s[40:41], s[40:41], exec
	global_store_short_d16_hi v[70:71], v15, off
	global_store_short v[12:13], v16, off
	s_or_b64 exec, exec, s[30:31]
	s_and_b64 exec, exec, s[40:41]
	s_cbranch_execnz .LBB663_159
	s_branch .LBB663_160
.LBB663_267:
	s_and_saveexec_b64 s[40:41], s[28:29]
	s_cbranch_execnz .LBB663_331
; %bb.268:
	s_or_b64 exec, exec, s[40:41]
	s_and_saveexec_b64 s[28:29], s[26:27]
	s_cbranch_execnz .LBB663_332
.LBB663_269:
	s_or_b64 exec, exec, s[28:29]
	s_and_saveexec_b64 s[26:27], s[24:25]
	s_cbranch_execnz .LBB663_333
.LBB663_270:
	s_or_b64 exec, exec, s[26:27]
	s_and_saveexec_b64 s[24:25], s[22:23]
	s_cbranch_execnz .LBB663_334
.LBB663_271:
	s_or_b64 exec, exec, s[24:25]
	s_and_saveexec_b64 s[22:23], s[20:21]
	s_cbranch_execnz .LBB663_335
.LBB663_272:
	s_or_b64 exec, exec, s[22:23]
	s_and_saveexec_b64 s[20:21], s[18:19]
	s_cbranch_execnz .LBB663_336
.LBB663_273:
	s_or_b64 exec, exec, s[20:21]
	s_and_saveexec_b64 s[18:19], s[16:17]
	s_cbranch_execnz .LBB663_337
.LBB663_274:
	s_or_b64 exec, exec, s[18:19]
	s_and_saveexec_b64 s[16:17], s[14:15]
	s_cbranch_execnz .LBB663_338
.LBB663_275:
	s_or_b64 exec, exec, s[16:17]
	s_and_saveexec_b64 s[14:15], s[12:13]
	s_cbranch_execnz .LBB663_339
.LBB663_276:
	s_or_b64 exec, exec, s[14:15]
	s_and_saveexec_b64 s[12:13], s[10:11]
	s_cbranch_execnz .LBB663_340
.LBB663_277:
	s_or_b64 exec, exec, s[12:13]
	s_and_saveexec_b64 s[10:11], s[8:9]
	s_cbranch_execnz .LBB663_341
.LBB663_278:
	s_or_b64 exec, exec, s[10:11]
	s_and_saveexec_b64 s[8:9], s[6:7]
	s_cbranch_execnz .LBB663_342
.LBB663_279:
	s_or_b64 exec, exec, s[8:9]
	s_and_saveexec_b64 s[6:7], s[4:5]
	s_cbranch_execnz .LBB663_343
.LBB663_280:
	s_or_b64 exec, exec, s[6:7]
	s_and_saveexec_b64 s[4:5], s[2:3]
	s_cbranch_execz .LBB663_282
.LBB663_281:
	v_sub_u32_e32 v1, v36, v8
	v_lshlrev_b32_e32 v1, 1, v1
	ds_write_b16 v1, v16
.LBB663_282:
	s_or_b64 exec, exec, s[4:5]
	s_and_b64 s[40:41], s[0:1], exec
                                        ; implicit-def: $vgpr1
                                        ; implicit-def: $vgpr2
	s_andn2_saveexec_b64 s[0:1], s[38:39]
	s_cbranch_execz .LBB663_165
.LBB663_283:
	v_sub_u32_e32 v10, v62, v8
	v_lshlrev_b32_e32 v10, 1, v10
	ds_write_b16 v10, v1
	v_sub_u32_e32 v1, v60, v8
	v_lshlrev_b32_e32 v1, 1, v1
	ds_write_b16 v1, v2
	v_sub_u32_e32 v1, v58, v8
	v_lshlrev_b32_e32 v1, 1, v1
	ds_write_b16_d16_hi v1, v2
	v_sub_u32_e32 v1, v56, v8
	v_lshlrev_b32_e32 v1, 1, v1
	ds_write_b16 v1, v3
	v_sub_u32_e32 v1, v54, v8
	v_lshlrev_b32_e32 v1, 1, v1
	ds_write_b16_d16_hi v1, v3
	;; [unrolled: 6-line block ×6, first 2 shown]
	v_sub_u32_e32 v1, v36, v8
	v_lshlrev_b32_e32 v1, 1, v1
	s_or_b64 s[40:41], s[40:41], exec
	ds_write_b16 v1, v16
	s_or_b64 exec, exec, s[0:1]
	s_and_b64 exec, exec, s[40:41]
	s_cbranch_execnz .LBB663_166
	s_branch .LBB663_167
.LBB663_284:
	s_and_saveexec_b64 s[38:39], s[28:29]
	s_cbranch_execnz .LBB663_344
; %bb.285:
	s_or_b64 exec, exec, s[38:39]
	s_and_saveexec_b64 s[38:39], s[26:27]
	s_cbranch_execnz .LBB663_345
.LBB663_286:
	s_or_b64 exec, exec, s[38:39]
	s_and_saveexec_b64 s[38:39], s[24:25]
	s_cbranch_execnz .LBB663_346
.LBB663_287:
	s_or_b64 exec, exec, s[38:39]
	s_and_saveexec_b64 s[38:39], s[22:23]
	s_cbranch_execnz .LBB663_347
.LBB663_288:
	s_or_b64 exec, exec, s[38:39]
	s_and_saveexec_b64 s[38:39], s[20:21]
	s_cbranch_execnz .LBB663_348
.LBB663_289:
	s_or_b64 exec, exec, s[38:39]
	s_and_saveexec_b64 s[38:39], s[18:19]
	s_cbranch_execnz .LBB663_349
.LBB663_290:
	s_or_b64 exec, exec, s[38:39]
	s_and_saveexec_b64 s[38:39], s[16:17]
	s_cbranch_execnz .LBB663_350
.LBB663_291:
	s_or_b64 exec, exec, s[38:39]
	s_and_saveexec_b64 s[38:39], s[14:15]
	s_cbranch_execnz .LBB663_351
.LBB663_292:
	s_or_b64 exec, exec, s[38:39]
	s_and_saveexec_b64 s[38:39], s[12:13]
	s_cbranch_execnz .LBB663_352
.LBB663_293:
	s_or_b64 exec, exec, s[38:39]
	s_and_saveexec_b64 s[38:39], s[10:11]
	s_cbranch_execnz .LBB663_353
.LBB663_294:
	s_or_b64 exec, exec, s[38:39]
	s_and_saveexec_b64 s[38:39], s[8:9]
	s_cbranch_execnz .LBB663_354
.LBB663_295:
	s_or_b64 exec, exec, s[38:39]
	s_and_saveexec_b64 s[38:39], s[6:7]
	s_cbranch_execnz .LBB663_355
.LBB663_296:
	s_or_b64 exec, exec, s[38:39]
	s_and_saveexec_b64 s[38:39], s[4:5]
	s_cbranch_execnz .LBB663_356
.LBB663_297:
	s_or_b64 exec, exec, s[38:39]
	s_and_saveexec_b64 s[38:39], s[2:3]
	s_cbranch_execz .LBB663_299
.LBB663_298:
	v_sub_u32_e32 v10, v36, v3
	v_mov_b32_e32 v11, 0
	v_lshlrev_b64 v[10:11], 1, v[10:11]
	v_add_co_u32_e32 v10, vcc, v15, v10
	v_addc_co_u32_e32 v11, vcc, v16, v11, vcc
	global_store_short v[10:11], v37, off
.LBB663_299:
	s_or_b64 exec, exec, s[38:39]
	s_and_b64 s[38:39], s[0:1], exec
	s_andn2_saveexec_b64 s[30:31], s[30:31]
	s_cbranch_execz .LBB663_187
.LBB663_300:
	v_sub_u32_e32 v10, v62, v3
	v_mov_b32_e32 v11, 0
	v_lshlrev_b64 v[12:13], 1, v[10:11]
	v_add_co_u32_e32 v12, vcc, v15, v12
	v_addc_co_u32_e32 v13, vcc, v16, v13, vcc
	v_sub_u32_e32 v10, v60, v3
	global_store_short v[12:13], v63, off
	v_lshlrev_b64 v[12:13], 1, v[10:11]
	v_add_co_u32_e32 v12, vcc, v15, v12
	v_addc_co_u32_e32 v13, vcc, v16, v13, vcc
	v_sub_u32_e32 v10, v58, v3
	global_store_short v[12:13], v61, off
	;; [unrolled: 5-line block ×12, first 2 shown]
	v_lshlrev_b64 v[12:13], 1, v[10:11]
	v_add_co_u32_e32 v12, vcc, v15, v12
	v_sub_u32_e32 v10, v36, v3
	v_addc_co_u32_e32 v13, vcc, v16, v13, vcc
	v_lshlrev_b64 v[10:11], 1, v[10:11]
	v_add_co_u32_e32 v10, vcc, v15, v10
	v_addc_co_u32_e32 v11, vcc, v16, v11, vcc
	s_or_b64 s[38:39], s[38:39], exec
	global_store_short v[12:13], v39, off
	global_store_short v[10:11], v37, off
	s_or_b64 exec, exec, s[30:31]
	s_and_b64 exec, exec, s[38:39]
	s_cbranch_execnz .LBB663_188
	s_branch .LBB663_189
.LBB663_301:
	s_and_saveexec_b64 s[38:39], s[28:29]
	s_cbranch_execnz .LBB663_357
; %bb.302:
	s_or_b64 exec, exec, s[38:39]
	s_and_saveexec_b64 s[28:29], s[26:27]
	s_cbranch_execnz .LBB663_358
.LBB663_303:
	s_or_b64 exec, exec, s[28:29]
	s_and_saveexec_b64 s[26:27], s[24:25]
	s_cbranch_execnz .LBB663_359
.LBB663_304:
	s_or_b64 exec, exec, s[26:27]
	s_and_saveexec_b64 s[24:25], s[22:23]
	s_cbranch_execnz .LBB663_360
.LBB663_305:
	s_or_b64 exec, exec, s[24:25]
	s_and_saveexec_b64 s[22:23], s[20:21]
	s_cbranch_execnz .LBB663_361
.LBB663_306:
	s_or_b64 exec, exec, s[22:23]
	s_and_saveexec_b64 s[20:21], s[18:19]
	s_cbranch_execnz .LBB663_362
.LBB663_307:
	s_or_b64 exec, exec, s[20:21]
	s_and_saveexec_b64 s[18:19], s[16:17]
	s_cbranch_execnz .LBB663_363
.LBB663_308:
	s_or_b64 exec, exec, s[18:19]
	s_and_saveexec_b64 s[16:17], s[14:15]
	s_cbranch_execnz .LBB663_364
.LBB663_309:
	s_or_b64 exec, exec, s[16:17]
	s_and_saveexec_b64 s[14:15], s[12:13]
	s_cbranch_execnz .LBB663_365
.LBB663_310:
	s_or_b64 exec, exec, s[14:15]
	s_and_saveexec_b64 s[12:13], s[10:11]
	s_cbranch_execnz .LBB663_366
.LBB663_311:
	s_or_b64 exec, exec, s[12:13]
	s_and_saveexec_b64 s[10:11], s[8:9]
	s_cbranch_execnz .LBB663_367
.LBB663_312:
	s_or_b64 exec, exec, s[10:11]
	s_and_saveexec_b64 s[8:9], s[6:7]
	s_cbranch_execnz .LBB663_368
.LBB663_313:
	s_or_b64 exec, exec, s[8:9]
	s_and_saveexec_b64 s[6:7], s[4:5]
	s_cbranch_execnz .LBB663_369
.LBB663_314:
	s_or_b64 exec, exec, s[6:7]
	s_and_saveexec_b64 s[4:5], s[2:3]
	s_cbranch_execz .LBB663_316
.LBB663_315:
	v_sub_u32_e32 v4, v36, v3
	v_lshlrev_b32_e32 v4, 1, v4
	ds_write_b16 v4, v37
.LBB663_316:
	s_or_b64 exec, exec, s[4:5]
	s_and_b64 s[38:39], s[0:1], exec
                                        ; implicit-def: $vgpr62_vgpr63
                                        ; implicit-def: $vgpr60_vgpr61
                                        ; implicit-def: $vgpr58_vgpr59
                                        ; implicit-def: $vgpr56_vgpr57
                                        ; implicit-def: $vgpr54_vgpr55
                                        ; implicit-def: $vgpr52_vgpr53
                                        ; implicit-def: $vgpr50_vgpr51
                                        ; implicit-def: $vgpr48_vgpr49
                                        ; implicit-def: $vgpr46_vgpr47
                                        ; implicit-def: $vgpr44_vgpr45
                                        ; implicit-def: $vgpr42_vgpr43
                                        ; implicit-def: $vgpr40_vgpr41
                                        ; implicit-def: $vgpr38_vgpr39
                                        ; implicit-def: $vgpr36_vgpr37
	s_andn2_saveexec_b64 s[0:1], s[36:37]
	s_cbranch_execz .LBB663_194
.LBB663_317:
	v_sub_u32_e32 v4, v62, v3
	v_lshlrev_b32_e32 v4, 1, v4
	ds_write_b16 v4, v63
	v_sub_u32_e32 v4, v60, v3
	v_lshlrev_b32_e32 v4, 1, v4
	ds_write_b16 v4, v61
	;; [unrolled: 3-line block ×13, first 2 shown]
	v_sub_u32_e32 v4, v36, v3
	v_lshlrev_b32_e32 v4, 1, v4
	s_or_b64 s[38:39], s[38:39], exec
	ds_write_b16 v4, v37
	s_or_b64 exec, exec, s[0:1]
	s_and_b64 exec, exec, s[38:39]
	s_cbranch_execnz .LBB663_195
	s_branch .LBB663_196
.LBB663_318:
	v_sub_u32_e32 v12, v62, v8
	v_mov_b32_e32 v13, 0
	v_lshlrev_b64 v[12:13], 1, v[12:13]
	v_add_co_u32_e32 v12, vcc, v7, v12
	v_addc_co_u32_e32 v13, vcc, v9, v13, vcc
	global_store_short v[12:13], v1, off
	s_or_b64 exec, exec, s[40:41]
	s_and_saveexec_b64 s[40:41], s[26:27]
	s_cbranch_execz .LBB663_252
.LBB663_319:
	v_sub_u32_e32 v12, v60, v8
	v_mov_b32_e32 v13, 0
	v_lshlrev_b64 v[12:13], 1, v[12:13]
	v_add_co_u32_e32 v12, vcc, v7, v12
	v_addc_co_u32_e32 v13, vcc, v9, v13, vcc
	global_store_short v[12:13], v2, off
	s_or_b64 exec, exec, s[40:41]
	s_and_saveexec_b64 s[40:41], s[24:25]
	s_cbranch_execz .LBB663_253
.LBB663_320:
	v_sub_u32_e32 v12, v58, v8
	v_mov_b32_e32 v13, 0
	v_lshlrev_b64 v[12:13], 1, v[12:13]
	v_add_co_u32_e32 v12, vcc, v7, v12
	v_addc_co_u32_e32 v13, vcc, v9, v13, vcc
	global_store_short_d16_hi v[12:13], v2, off
	s_or_b64 exec, exec, s[40:41]
	s_and_saveexec_b64 s[40:41], s[22:23]
	s_cbranch_execz .LBB663_254
.LBB663_321:
	v_sub_u32_e32 v12, v56, v8
	v_mov_b32_e32 v13, 0
	v_lshlrev_b64 v[12:13], 1, v[12:13]
	v_add_co_u32_e32 v12, vcc, v7, v12
	v_addc_co_u32_e32 v13, vcc, v9, v13, vcc
	global_store_short v[12:13], v3, off
	s_or_b64 exec, exec, s[40:41]
	s_and_saveexec_b64 s[40:41], s[20:21]
	s_cbranch_execz .LBB663_255
.LBB663_322:
	v_sub_u32_e32 v12, v54, v8
	v_mov_b32_e32 v13, 0
	v_lshlrev_b64 v[12:13], 1, v[12:13]
	v_add_co_u32_e32 v12, vcc, v7, v12
	v_addc_co_u32_e32 v13, vcc, v9, v13, vcc
	global_store_short_d16_hi v[12:13], v3, off
	s_or_b64 exec, exec, s[40:41]
	s_and_saveexec_b64 s[40:41], s[18:19]
	s_cbranch_execz .LBB663_256
.LBB663_323:
	v_sub_u32_e32 v12, v52, v8
	v_mov_b32_e32 v13, 0
	v_lshlrev_b64 v[12:13], 1, v[12:13]
	v_add_co_u32_e32 v12, vcc, v7, v12
	v_addc_co_u32_e32 v13, vcc, v9, v13, vcc
	global_store_short v[12:13], v4, off
	s_or_b64 exec, exec, s[40:41]
	s_and_saveexec_b64 s[40:41], s[16:17]
	s_cbranch_execz .LBB663_257
.LBB663_324:
	v_sub_u32_e32 v12, v50, v8
	v_mov_b32_e32 v13, 0
	v_lshlrev_b64 v[12:13], 1, v[12:13]
	v_add_co_u32_e32 v12, vcc, v7, v12
	v_addc_co_u32_e32 v13, vcc, v9, v13, vcc
	global_store_short_d16_hi v[12:13], v4, off
	s_or_b64 exec, exec, s[40:41]
	s_and_saveexec_b64 s[40:41], s[14:15]
	s_cbranch_execz .LBB663_258
.LBB663_325:
	v_sub_u32_e32 v12, v48, v8
	v_mov_b32_e32 v13, 0
	v_lshlrev_b64 v[12:13], 1, v[12:13]
	v_add_co_u32_e32 v12, vcc, v7, v12
	v_addc_co_u32_e32 v13, vcc, v9, v13, vcc
	global_store_short v[12:13], v5, off
	s_or_b64 exec, exec, s[40:41]
	s_and_saveexec_b64 s[40:41], s[12:13]
	s_cbranch_execz .LBB663_259
.LBB663_326:
	v_sub_u32_e32 v12, v46, v8
	v_mov_b32_e32 v13, 0
	v_lshlrev_b64 v[12:13], 1, v[12:13]
	v_add_co_u32_e32 v12, vcc, v7, v12
	v_addc_co_u32_e32 v13, vcc, v9, v13, vcc
	global_store_short_d16_hi v[12:13], v5, off
	s_or_b64 exec, exec, s[40:41]
	s_and_saveexec_b64 s[40:41], s[10:11]
	s_cbranch_execz .LBB663_260
.LBB663_327:
	v_sub_u32_e32 v12, v44, v8
	v_mov_b32_e32 v13, 0
	v_lshlrev_b64 v[12:13], 1, v[12:13]
	v_add_co_u32_e32 v12, vcc, v7, v12
	v_addc_co_u32_e32 v13, vcc, v9, v13, vcc
	global_store_short v[12:13], v14, off
	s_or_b64 exec, exec, s[40:41]
	s_and_saveexec_b64 s[40:41], s[8:9]
	s_cbranch_execz .LBB663_261
.LBB663_328:
	v_sub_u32_e32 v12, v42, v8
	v_mov_b32_e32 v13, 0
	v_lshlrev_b64 v[12:13], 1, v[12:13]
	v_add_co_u32_e32 v12, vcc, v7, v12
	v_addc_co_u32_e32 v13, vcc, v9, v13, vcc
	global_store_short_d16_hi v[12:13], v14, off
	s_or_b64 exec, exec, s[40:41]
	s_and_saveexec_b64 s[40:41], s[6:7]
	s_cbranch_execz .LBB663_262
.LBB663_329:
	v_sub_u32_e32 v12, v40, v8
	v_mov_b32_e32 v13, 0
	v_lshlrev_b64 v[12:13], 1, v[12:13]
	v_add_co_u32_e32 v12, vcc, v7, v12
	v_addc_co_u32_e32 v13, vcc, v9, v13, vcc
	global_store_short v[12:13], v15, off
	s_or_b64 exec, exec, s[40:41]
	s_and_saveexec_b64 s[40:41], s[4:5]
	s_cbranch_execz .LBB663_263
.LBB663_330:
	v_sub_u32_e32 v12, v38, v8
	v_mov_b32_e32 v13, 0
	v_lshlrev_b64 v[12:13], 1, v[12:13]
	v_add_co_u32_e32 v12, vcc, v7, v12
	v_addc_co_u32_e32 v13, vcc, v9, v13, vcc
	global_store_short_d16_hi v[12:13], v15, off
	s_or_b64 exec, exec, s[40:41]
	s_and_saveexec_b64 s[40:41], s[2:3]
	s_cbranch_execnz .LBB663_264
	s_branch .LBB663_265
.LBB663_331:
	v_sub_u32_e32 v10, v62, v8
	v_lshlrev_b32_e32 v10, 1, v10
	ds_write_b16 v10, v1
	s_or_b64 exec, exec, s[40:41]
	s_and_saveexec_b64 s[28:29], s[26:27]
	s_cbranch_execz .LBB663_269
.LBB663_332:
	v_sub_u32_e32 v1, v60, v8
	v_lshlrev_b32_e32 v1, 1, v1
	ds_write_b16 v1, v2
	s_or_b64 exec, exec, s[28:29]
	s_and_saveexec_b64 s[26:27], s[24:25]
	s_cbranch_execz .LBB663_270
.LBB663_333:
	v_sub_u32_e32 v1, v58, v8
	v_lshlrev_b32_e32 v1, 1, v1
	ds_write_b16_d16_hi v1, v2
	s_or_b64 exec, exec, s[26:27]
	s_and_saveexec_b64 s[24:25], s[22:23]
	s_cbranch_execz .LBB663_271
.LBB663_334:
	v_sub_u32_e32 v1, v56, v8
	v_lshlrev_b32_e32 v1, 1, v1
	ds_write_b16 v1, v3
	s_or_b64 exec, exec, s[24:25]
	s_and_saveexec_b64 s[22:23], s[20:21]
	s_cbranch_execz .LBB663_272
.LBB663_335:
	v_sub_u32_e32 v1, v54, v8
	v_lshlrev_b32_e32 v1, 1, v1
	ds_write_b16_d16_hi v1, v3
	s_or_b64 exec, exec, s[22:23]
	s_and_saveexec_b64 s[20:21], s[18:19]
	s_cbranch_execz .LBB663_273
.LBB663_336:
	v_sub_u32_e32 v1, v52, v8
	v_lshlrev_b32_e32 v1, 1, v1
	ds_write_b16 v1, v4
	s_or_b64 exec, exec, s[20:21]
	s_and_saveexec_b64 s[18:19], s[16:17]
	s_cbranch_execz .LBB663_274
.LBB663_337:
	v_sub_u32_e32 v1, v50, v8
	v_lshlrev_b32_e32 v1, 1, v1
	ds_write_b16_d16_hi v1, v4
	s_or_b64 exec, exec, s[18:19]
	s_and_saveexec_b64 s[16:17], s[14:15]
	s_cbranch_execz .LBB663_275
.LBB663_338:
	v_sub_u32_e32 v1, v48, v8
	v_lshlrev_b32_e32 v1, 1, v1
	ds_write_b16 v1, v5
	s_or_b64 exec, exec, s[16:17]
	s_and_saveexec_b64 s[14:15], s[12:13]
	s_cbranch_execz .LBB663_276
.LBB663_339:
	v_sub_u32_e32 v1, v46, v8
	v_lshlrev_b32_e32 v1, 1, v1
	ds_write_b16_d16_hi v1, v5
	s_or_b64 exec, exec, s[14:15]
	s_and_saveexec_b64 s[12:13], s[10:11]
	s_cbranch_execz .LBB663_277
.LBB663_340:
	v_sub_u32_e32 v1, v44, v8
	v_lshlrev_b32_e32 v1, 1, v1
	ds_write_b16 v1, v14
	s_or_b64 exec, exec, s[12:13]
	s_and_saveexec_b64 s[10:11], s[8:9]
	s_cbranch_execz .LBB663_278
.LBB663_341:
	v_sub_u32_e32 v1, v42, v8
	v_lshlrev_b32_e32 v1, 1, v1
	ds_write_b16_d16_hi v1, v14
	s_or_b64 exec, exec, s[10:11]
	s_and_saveexec_b64 s[8:9], s[6:7]
	s_cbranch_execz .LBB663_279
.LBB663_342:
	v_sub_u32_e32 v1, v40, v8
	v_lshlrev_b32_e32 v1, 1, v1
	ds_write_b16 v1, v15
	s_or_b64 exec, exec, s[8:9]
	s_and_saveexec_b64 s[6:7], s[4:5]
	s_cbranch_execz .LBB663_280
.LBB663_343:
	v_sub_u32_e32 v1, v38, v8
	v_lshlrev_b32_e32 v1, 1, v1
	ds_write_b16_d16_hi v1, v15
	s_or_b64 exec, exec, s[6:7]
	s_and_saveexec_b64 s[4:5], s[2:3]
	s_cbranch_execnz .LBB663_281
	s_branch .LBB663_282
.LBB663_344:
	v_sub_u32_e32 v10, v62, v3
	v_mov_b32_e32 v11, 0
	v_lshlrev_b64 v[10:11], 1, v[10:11]
	v_add_co_u32_e32 v10, vcc, v15, v10
	v_addc_co_u32_e32 v11, vcc, v16, v11, vcc
	global_store_short v[10:11], v63, off
	s_or_b64 exec, exec, s[38:39]
	s_and_saveexec_b64 s[38:39], s[26:27]
	s_cbranch_execz .LBB663_286
.LBB663_345:
	v_sub_u32_e32 v10, v60, v3
	v_mov_b32_e32 v11, 0
	v_lshlrev_b64 v[10:11], 1, v[10:11]
	v_add_co_u32_e32 v10, vcc, v15, v10
	v_addc_co_u32_e32 v11, vcc, v16, v11, vcc
	global_store_short v[10:11], v61, off
	s_or_b64 exec, exec, s[38:39]
	s_and_saveexec_b64 s[38:39], s[24:25]
	s_cbranch_execz .LBB663_287
.LBB663_346:
	v_sub_u32_e32 v10, v58, v3
	v_mov_b32_e32 v11, 0
	v_lshlrev_b64 v[10:11], 1, v[10:11]
	v_add_co_u32_e32 v10, vcc, v15, v10
	v_addc_co_u32_e32 v11, vcc, v16, v11, vcc
	global_store_short v[10:11], v59, off
	s_or_b64 exec, exec, s[38:39]
	s_and_saveexec_b64 s[38:39], s[22:23]
	s_cbranch_execz .LBB663_288
.LBB663_347:
	v_sub_u32_e32 v10, v56, v3
	v_mov_b32_e32 v11, 0
	v_lshlrev_b64 v[10:11], 1, v[10:11]
	v_add_co_u32_e32 v10, vcc, v15, v10
	v_addc_co_u32_e32 v11, vcc, v16, v11, vcc
	global_store_short v[10:11], v57, off
	s_or_b64 exec, exec, s[38:39]
	s_and_saveexec_b64 s[38:39], s[20:21]
	s_cbranch_execz .LBB663_289
.LBB663_348:
	v_sub_u32_e32 v10, v54, v3
	v_mov_b32_e32 v11, 0
	v_lshlrev_b64 v[10:11], 1, v[10:11]
	v_add_co_u32_e32 v10, vcc, v15, v10
	v_addc_co_u32_e32 v11, vcc, v16, v11, vcc
	global_store_short v[10:11], v55, off
	s_or_b64 exec, exec, s[38:39]
	s_and_saveexec_b64 s[38:39], s[18:19]
	s_cbranch_execz .LBB663_290
.LBB663_349:
	v_sub_u32_e32 v10, v52, v3
	v_mov_b32_e32 v11, 0
	v_lshlrev_b64 v[10:11], 1, v[10:11]
	v_add_co_u32_e32 v10, vcc, v15, v10
	v_addc_co_u32_e32 v11, vcc, v16, v11, vcc
	global_store_short v[10:11], v53, off
	s_or_b64 exec, exec, s[38:39]
	s_and_saveexec_b64 s[38:39], s[16:17]
	s_cbranch_execz .LBB663_291
.LBB663_350:
	v_sub_u32_e32 v10, v50, v3
	v_mov_b32_e32 v11, 0
	v_lshlrev_b64 v[10:11], 1, v[10:11]
	v_add_co_u32_e32 v10, vcc, v15, v10
	v_addc_co_u32_e32 v11, vcc, v16, v11, vcc
	global_store_short v[10:11], v51, off
	s_or_b64 exec, exec, s[38:39]
	s_and_saveexec_b64 s[38:39], s[14:15]
	s_cbranch_execz .LBB663_292
.LBB663_351:
	v_sub_u32_e32 v10, v48, v3
	v_mov_b32_e32 v11, 0
	v_lshlrev_b64 v[10:11], 1, v[10:11]
	v_add_co_u32_e32 v10, vcc, v15, v10
	v_addc_co_u32_e32 v11, vcc, v16, v11, vcc
	global_store_short v[10:11], v49, off
	s_or_b64 exec, exec, s[38:39]
	s_and_saveexec_b64 s[38:39], s[12:13]
	s_cbranch_execz .LBB663_293
.LBB663_352:
	v_sub_u32_e32 v10, v46, v3
	v_mov_b32_e32 v11, 0
	v_lshlrev_b64 v[10:11], 1, v[10:11]
	v_add_co_u32_e32 v10, vcc, v15, v10
	v_addc_co_u32_e32 v11, vcc, v16, v11, vcc
	global_store_short v[10:11], v47, off
	s_or_b64 exec, exec, s[38:39]
	s_and_saveexec_b64 s[38:39], s[10:11]
	s_cbranch_execz .LBB663_294
.LBB663_353:
	v_sub_u32_e32 v10, v44, v3
	v_mov_b32_e32 v11, 0
	v_lshlrev_b64 v[10:11], 1, v[10:11]
	v_add_co_u32_e32 v10, vcc, v15, v10
	v_addc_co_u32_e32 v11, vcc, v16, v11, vcc
	global_store_short v[10:11], v45, off
	s_or_b64 exec, exec, s[38:39]
	s_and_saveexec_b64 s[38:39], s[8:9]
	s_cbranch_execz .LBB663_295
.LBB663_354:
	v_sub_u32_e32 v10, v42, v3
	v_mov_b32_e32 v11, 0
	v_lshlrev_b64 v[10:11], 1, v[10:11]
	v_add_co_u32_e32 v10, vcc, v15, v10
	v_addc_co_u32_e32 v11, vcc, v16, v11, vcc
	global_store_short v[10:11], v43, off
	s_or_b64 exec, exec, s[38:39]
	s_and_saveexec_b64 s[38:39], s[6:7]
	s_cbranch_execz .LBB663_296
.LBB663_355:
	v_sub_u32_e32 v10, v40, v3
	v_mov_b32_e32 v11, 0
	v_lshlrev_b64 v[10:11], 1, v[10:11]
	v_add_co_u32_e32 v10, vcc, v15, v10
	v_addc_co_u32_e32 v11, vcc, v16, v11, vcc
	global_store_short v[10:11], v41, off
	s_or_b64 exec, exec, s[38:39]
	s_and_saveexec_b64 s[38:39], s[4:5]
	s_cbranch_execz .LBB663_297
.LBB663_356:
	v_sub_u32_e32 v10, v38, v3
	v_mov_b32_e32 v11, 0
	v_lshlrev_b64 v[10:11], 1, v[10:11]
	v_add_co_u32_e32 v10, vcc, v15, v10
	v_addc_co_u32_e32 v11, vcc, v16, v11, vcc
	global_store_short v[10:11], v39, off
	s_or_b64 exec, exec, s[38:39]
	s_and_saveexec_b64 s[38:39], s[2:3]
	s_cbranch_execnz .LBB663_298
	s_branch .LBB663_299
.LBB663_357:
	v_sub_u32_e32 v4, v62, v3
	v_lshlrev_b32_e32 v4, 1, v4
	ds_write_b16 v4, v63
	s_or_b64 exec, exec, s[38:39]
	s_and_saveexec_b64 s[28:29], s[26:27]
	s_cbranch_execz .LBB663_303
.LBB663_358:
	v_sub_u32_e32 v4, v60, v3
	v_lshlrev_b32_e32 v4, 1, v4
	ds_write_b16 v4, v61
	s_or_b64 exec, exec, s[28:29]
	s_and_saveexec_b64 s[26:27], s[24:25]
	s_cbranch_execz .LBB663_304
.LBB663_359:
	v_sub_u32_e32 v4, v58, v3
	v_lshlrev_b32_e32 v4, 1, v4
	ds_write_b16 v4, v59
	s_or_b64 exec, exec, s[26:27]
	s_and_saveexec_b64 s[24:25], s[22:23]
	s_cbranch_execz .LBB663_305
.LBB663_360:
	v_sub_u32_e32 v4, v56, v3
	v_lshlrev_b32_e32 v4, 1, v4
	ds_write_b16 v4, v57
	s_or_b64 exec, exec, s[24:25]
	s_and_saveexec_b64 s[22:23], s[20:21]
	s_cbranch_execz .LBB663_306
.LBB663_361:
	v_sub_u32_e32 v4, v54, v3
	v_lshlrev_b32_e32 v4, 1, v4
	ds_write_b16 v4, v55
	s_or_b64 exec, exec, s[22:23]
	s_and_saveexec_b64 s[20:21], s[18:19]
	s_cbranch_execz .LBB663_307
.LBB663_362:
	v_sub_u32_e32 v4, v52, v3
	v_lshlrev_b32_e32 v4, 1, v4
	ds_write_b16 v4, v53
	s_or_b64 exec, exec, s[20:21]
	s_and_saveexec_b64 s[18:19], s[16:17]
	s_cbranch_execz .LBB663_308
.LBB663_363:
	v_sub_u32_e32 v4, v50, v3
	v_lshlrev_b32_e32 v4, 1, v4
	ds_write_b16 v4, v51
	s_or_b64 exec, exec, s[18:19]
	s_and_saveexec_b64 s[16:17], s[14:15]
	s_cbranch_execz .LBB663_309
.LBB663_364:
	v_sub_u32_e32 v4, v48, v3
	v_lshlrev_b32_e32 v4, 1, v4
	ds_write_b16 v4, v49
	s_or_b64 exec, exec, s[16:17]
	s_and_saveexec_b64 s[14:15], s[12:13]
	s_cbranch_execz .LBB663_310
.LBB663_365:
	v_sub_u32_e32 v4, v46, v3
	v_lshlrev_b32_e32 v4, 1, v4
	ds_write_b16 v4, v47
	s_or_b64 exec, exec, s[14:15]
	s_and_saveexec_b64 s[12:13], s[10:11]
	s_cbranch_execz .LBB663_311
.LBB663_366:
	v_sub_u32_e32 v4, v44, v3
	v_lshlrev_b32_e32 v4, 1, v4
	ds_write_b16 v4, v45
	s_or_b64 exec, exec, s[12:13]
	s_and_saveexec_b64 s[10:11], s[8:9]
	s_cbranch_execz .LBB663_312
.LBB663_367:
	v_sub_u32_e32 v4, v42, v3
	v_lshlrev_b32_e32 v4, 1, v4
	ds_write_b16 v4, v43
	s_or_b64 exec, exec, s[10:11]
	s_and_saveexec_b64 s[8:9], s[6:7]
	s_cbranch_execz .LBB663_313
.LBB663_368:
	v_sub_u32_e32 v4, v40, v3
	v_lshlrev_b32_e32 v4, 1, v4
	ds_write_b16 v4, v41
	s_or_b64 exec, exec, s[8:9]
	s_and_saveexec_b64 s[6:7], s[4:5]
	s_cbranch_execz .LBB663_314
.LBB663_369:
	v_sub_u32_e32 v4, v38, v3
	v_lshlrev_b32_e32 v4, 1, v4
	ds_write_b16 v4, v39
	s_or_b64 exec, exec, s[6:7]
	s_and_saveexec_b64 s[4:5], s[2:3]
	s_cbranch_execnz .LBB663_315
	s_branch .LBB663_316
	.section	.rodata,"a",@progbits
	.p2align	6, 0x0
	.amdhsa_kernel _ZN7rocprim17ROCPRIM_400000_NS6detail17trampoline_kernelINS0_14default_configENS1_29reduce_by_key_config_selectorIssN6thrust23THRUST_200600_302600_NS4plusIsEEEEZZNS1_33reduce_by_key_impl_wrapped_configILNS1_25lookback_scan_determinismE0ES3_S9_NS6_6detail15normal_iteratorINS6_10device_ptrIsEEEESG_SG_SG_PmS8_22is_equal_div_10_reduceIsEEE10hipError_tPvRmT2_T3_mT4_T5_T6_T7_T8_P12ihipStream_tbENKUlT_T0_E_clISt17integral_constantIbLb0EES11_EEDaSW_SX_EUlSW_E_NS1_11comp_targetILNS1_3genE4ELNS1_11target_archE910ELNS1_3gpuE8ELNS1_3repE0EEENS1_30default_config_static_selectorELNS0_4arch9wavefront6targetE1EEEvT1_
		.amdhsa_group_segment_fixed_size 7680
		.amdhsa_private_segment_fixed_size 0
		.amdhsa_kernarg_size 120
		.amdhsa_user_sgpr_count 6
		.amdhsa_user_sgpr_private_segment_buffer 1
		.amdhsa_user_sgpr_dispatch_ptr 0
		.amdhsa_user_sgpr_queue_ptr 0
		.amdhsa_user_sgpr_kernarg_segment_ptr 1
		.amdhsa_user_sgpr_dispatch_id 0
		.amdhsa_user_sgpr_flat_scratch_init 0
		.amdhsa_user_sgpr_kernarg_preload_length 0
		.amdhsa_user_sgpr_kernarg_preload_offset 0
		.amdhsa_user_sgpr_private_segment_size 0
		.amdhsa_uses_dynamic_stack 0
		.amdhsa_system_sgpr_private_segment_wavefront_offset 0
		.amdhsa_system_sgpr_workgroup_id_x 1
		.amdhsa_system_sgpr_workgroup_id_y 0
		.amdhsa_system_sgpr_workgroup_id_z 0
		.amdhsa_system_sgpr_workgroup_info 0
		.amdhsa_system_vgpr_workitem_id 0
		.amdhsa_next_free_vgpr 111
		.amdhsa_next_free_sgpr 63
		.amdhsa_accum_offset 112
		.amdhsa_reserve_vcc 1
		.amdhsa_reserve_flat_scratch 0
		.amdhsa_float_round_mode_32 0
		.amdhsa_float_round_mode_16_64 0
		.amdhsa_float_denorm_mode_32 3
		.amdhsa_float_denorm_mode_16_64 3
		.amdhsa_dx10_clamp 1
		.amdhsa_ieee_mode 1
		.amdhsa_fp16_overflow 0
		.amdhsa_tg_split 0
		.amdhsa_exception_fp_ieee_invalid_op 0
		.amdhsa_exception_fp_denorm_src 0
		.amdhsa_exception_fp_ieee_div_zero 0
		.amdhsa_exception_fp_ieee_overflow 0
		.amdhsa_exception_fp_ieee_underflow 0
		.amdhsa_exception_fp_ieee_inexact 0
		.amdhsa_exception_int_div_zero 0
	.end_amdhsa_kernel
	.section	.text._ZN7rocprim17ROCPRIM_400000_NS6detail17trampoline_kernelINS0_14default_configENS1_29reduce_by_key_config_selectorIssN6thrust23THRUST_200600_302600_NS4plusIsEEEEZZNS1_33reduce_by_key_impl_wrapped_configILNS1_25lookback_scan_determinismE0ES3_S9_NS6_6detail15normal_iteratorINS6_10device_ptrIsEEEESG_SG_SG_PmS8_22is_equal_div_10_reduceIsEEE10hipError_tPvRmT2_T3_mT4_T5_T6_T7_T8_P12ihipStream_tbENKUlT_T0_E_clISt17integral_constantIbLb0EES11_EEDaSW_SX_EUlSW_E_NS1_11comp_targetILNS1_3genE4ELNS1_11target_archE910ELNS1_3gpuE8ELNS1_3repE0EEENS1_30default_config_static_selectorELNS0_4arch9wavefront6targetE1EEEvT1_,"axG",@progbits,_ZN7rocprim17ROCPRIM_400000_NS6detail17trampoline_kernelINS0_14default_configENS1_29reduce_by_key_config_selectorIssN6thrust23THRUST_200600_302600_NS4plusIsEEEEZZNS1_33reduce_by_key_impl_wrapped_configILNS1_25lookback_scan_determinismE0ES3_S9_NS6_6detail15normal_iteratorINS6_10device_ptrIsEEEESG_SG_SG_PmS8_22is_equal_div_10_reduceIsEEE10hipError_tPvRmT2_T3_mT4_T5_T6_T7_T8_P12ihipStream_tbENKUlT_T0_E_clISt17integral_constantIbLb0EES11_EEDaSW_SX_EUlSW_E_NS1_11comp_targetILNS1_3genE4ELNS1_11target_archE910ELNS1_3gpuE8ELNS1_3repE0EEENS1_30default_config_static_selectorELNS0_4arch9wavefront6targetE1EEEvT1_,comdat
.Lfunc_end663:
	.size	_ZN7rocprim17ROCPRIM_400000_NS6detail17trampoline_kernelINS0_14default_configENS1_29reduce_by_key_config_selectorIssN6thrust23THRUST_200600_302600_NS4plusIsEEEEZZNS1_33reduce_by_key_impl_wrapped_configILNS1_25lookback_scan_determinismE0ES3_S9_NS6_6detail15normal_iteratorINS6_10device_ptrIsEEEESG_SG_SG_PmS8_22is_equal_div_10_reduceIsEEE10hipError_tPvRmT2_T3_mT4_T5_T6_T7_T8_P12ihipStream_tbENKUlT_T0_E_clISt17integral_constantIbLb0EES11_EEDaSW_SX_EUlSW_E_NS1_11comp_targetILNS1_3genE4ELNS1_11target_archE910ELNS1_3gpuE8ELNS1_3repE0EEENS1_30default_config_static_selectorELNS0_4arch9wavefront6targetE1EEEvT1_, .Lfunc_end663-_ZN7rocprim17ROCPRIM_400000_NS6detail17trampoline_kernelINS0_14default_configENS1_29reduce_by_key_config_selectorIssN6thrust23THRUST_200600_302600_NS4plusIsEEEEZZNS1_33reduce_by_key_impl_wrapped_configILNS1_25lookback_scan_determinismE0ES3_S9_NS6_6detail15normal_iteratorINS6_10device_ptrIsEEEESG_SG_SG_PmS8_22is_equal_div_10_reduceIsEEE10hipError_tPvRmT2_T3_mT4_T5_T6_T7_T8_P12ihipStream_tbENKUlT_T0_E_clISt17integral_constantIbLb0EES11_EEDaSW_SX_EUlSW_E_NS1_11comp_targetILNS1_3genE4ELNS1_11target_archE910ELNS1_3gpuE8ELNS1_3repE0EEENS1_30default_config_static_selectorELNS0_4arch9wavefront6targetE1EEEvT1_
                                        ; -- End function
	.section	.AMDGPU.csdata,"",@progbits
; Kernel info:
; codeLenInByte = 19904
; NumSgprs: 67
; NumVgprs: 111
; NumAgprs: 0
; TotalNumVgprs: 111
; ScratchSize: 0
; MemoryBound: 0
; FloatMode: 240
; IeeeMode: 1
; LDSByteSize: 7680 bytes/workgroup (compile time only)
; SGPRBlocks: 8
; VGPRBlocks: 13
; NumSGPRsForWavesPerEU: 67
; NumVGPRsForWavesPerEU: 111
; AccumOffset: 112
; Occupancy: 4
; WaveLimiterHint : 1
; COMPUTE_PGM_RSRC2:SCRATCH_EN: 0
; COMPUTE_PGM_RSRC2:USER_SGPR: 6
; COMPUTE_PGM_RSRC2:TRAP_HANDLER: 0
; COMPUTE_PGM_RSRC2:TGID_X_EN: 1
; COMPUTE_PGM_RSRC2:TGID_Y_EN: 0
; COMPUTE_PGM_RSRC2:TGID_Z_EN: 0
; COMPUTE_PGM_RSRC2:TIDIG_COMP_CNT: 0
; COMPUTE_PGM_RSRC3_GFX90A:ACCUM_OFFSET: 27
; COMPUTE_PGM_RSRC3_GFX90A:TG_SPLIT: 0
	.section	.text._ZN7rocprim17ROCPRIM_400000_NS6detail17trampoline_kernelINS0_14default_configENS1_29reduce_by_key_config_selectorIssN6thrust23THRUST_200600_302600_NS4plusIsEEEEZZNS1_33reduce_by_key_impl_wrapped_configILNS1_25lookback_scan_determinismE0ES3_S9_NS6_6detail15normal_iteratorINS6_10device_ptrIsEEEESG_SG_SG_PmS8_22is_equal_div_10_reduceIsEEE10hipError_tPvRmT2_T3_mT4_T5_T6_T7_T8_P12ihipStream_tbENKUlT_T0_E_clISt17integral_constantIbLb0EES11_EEDaSW_SX_EUlSW_E_NS1_11comp_targetILNS1_3genE3ELNS1_11target_archE908ELNS1_3gpuE7ELNS1_3repE0EEENS1_30default_config_static_selectorELNS0_4arch9wavefront6targetE1EEEvT1_,"axG",@progbits,_ZN7rocprim17ROCPRIM_400000_NS6detail17trampoline_kernelINS0_14default_configENS1_29reduce_by_key_config_selectorIssN6thrust23THRUST_200600_302600_NS4plusIsEEEEZZNS1_33reduce_by_key_impl_wrapped_configILNS1_25lookback_scan_determinismE0ES3_S9_NS6_6detail15normal_iteratorINS6_10device_ptrIsEEEESG_SG_SG_PmS8_22is_equal_div_10_reduceIsEEE10hipError_tPvRmT2_T3_mT4_T5_T6_T7_T8_P12ihipStream_tbENKUlT_T0_E_clISt17integral_constantIbLb0EES11_EEDaSW_SX_EUlSW_E_NS1_11comp_targetILNS1_3genE3ELNS1_11target_archE908ELNS1_3gpuE7ELNS1_3repE0EEENS1_30default_config_static_selectorELNS0_4arch9wavefront6targetE1EEEvT1_,comdat
	.protected	_ZN7rocprim17ROCPRIM_400000_NS6detail17trampoline_kernelINS0_14default_configENS1_29reduce_by_key_config_selectorIssN6thrust23THRUST_200600_302600_NS4plusIsEEEEZZNS1_33reduce_by_key_impl_wrapped_configILNS1_25lookback_scan_determinismE0ES3_S9_NS6_6detail15normal_iteratorINS6_10device_ptrIsEEEESG_SG_SG_PmS8_22is_equal_div_10_reduceIsEEE10hipError_tPvRmT2_T3_mT4_T5_T6_T7_T8_P12ihipStream_tbENKUlT_T0_E_clISt17integral_constantIbLb0EES11_EEDaSW_SX_EUlSW_E_NS1_11comp_targetILNS1_3genE3ELNS1_11target_archE908ELNS1_3gpuE7ELNS1_3repE0EEENS1_30default_config_static_selectorELNS0_4arch9wavefront6targetE1EEEvT1_ ; -- Begin function _ZN7rocprim17ROCPRIM_400000_NS6detail17trampoline_kernelINS0_14default_configENS1_29reduce_by_key_config_selectorIssN6thrust23THRUST_200600_302600_NS4plusIsEEEEZZNS1_33reduce_by_key_impl_wrapped_configILNS1_25lookback_scan_determinismE0ES3_S9_NS6_6detail15normal_iteratorINS6_10device_ptrIsEEEESG_SG_SG_PmS8_22is_equal_div_10_reduceIsEEE10hipError_tPvRmT2_T3_mT4_T5_T6_T7_T8_P12ihipStream_tbENKUlT_T0_E_clISt17integral_constantIbLb0EES11_EEDaSW_SX_EUlSW_E_NS1_11comp_targetILNS1_3genE3ELNS1_11target_archE908ELNS1_3gpuE7ELNS1_3repE0EEENS1_30default_config_static_selectorELNS0_4arch9wavefront6targetE1EEEvT1_
	.globl	_ZN7rocprim17ROCPRIM_400000_NS6detail17trampoline_kernelINS0_14default_configENS1_29reduce_by_key_config_selectorIssN6thrust23THRUST_200600_302600_NS4plusIsEEEEZZNS1_33reduce_by_key_impl_wrapped_configILNS1_25lookback_scan_determinismE0ES3_S9_NS6_6detail15normal_iteratorINS6_10device_ptrIsEEEESG_SG_SG_PmS8_22is_equal_div_10_reduceIsEEE10hipError_tPvRmT2_T3_mT4_T5_T6_T7_T8_P12ihipStream_tbENKUlT_T0_E_clISt17integral_constantIbLb0EES11_EEDaSW_SX_EUlSW_E_NS1_11comp_targetILNS1_3genE3ELNS1_11target_archE908ELNS1_3gpuE7ELNS1_3repE0EEENS1_30default_config_static_selectorELNS0_4arch9wavefront6targetE1EEEvT1_
	.p2align	8
	.type	_ZN7rocprim17ROCPRIM_400000_NS6detail17trampoline_kernelINS0_14default_configENS1_29reduce_by_key_config_selectorIssN6thrust23THRUST_200600_302600_NS4plusIsEEEEZZNS1_33reduce_by_key_impl_wrapped_configILNS1_25lookback_scan_determinismE0ES3_S9_NS6_6detail15normal_iteratorINS6_10device_ptrIsEEEESG_SG_SG_PmS8_22is_equal_div_10_reduceIsEEE10hipError_tPvRmT2_T3_mT4_T5_T6_T7_T8_P12ihipStream_tbENKUlT_T0_E_clISt17integral_constantIbLb0EES11_EEDaSW_SX_EUlSW_E_NS1_11comp_targetILNS1_3genE3ELNS1_11target_archE908ELNS1_3gpuE7ELNS1_3repE0EEENS1_30default_config_static_selectorELNS0_4arch9wavefront6targetE1EEEvT1_,@function
_ZN7rocprim17ROCPRIM_400000_NS6detail17trampoline_kernelINS0_14default_configENS1_29reduce_by_key_config_selectorIssN6thrust23THRUST_200600_302600_NS4plusIsEEEEZZNS1_33reduce_by_key_impl_wrapped_configILNS1_25lookback_scan_determinismE0ES3_S9_NS6_6detail15normal_iteratorINS6_10device_ptrIsEEEESG_SG_SG_PmS8_22is_equal_div_10_reduceIsEEE10hipError_tPvRmT2_T3_mT4_T5_T6_T7_T8_P12ihipStream_tbENKUlT_T0_E_clISt17integral_constantIbLb0EES11_EEDaSW_SX_EUlSW_E_NS1_11comp_targetILNS1_3genE3ELNS1_11target_archE908ELNS1_3gpuE7ELNS1_3repE0EEENS1_30default_config_static_selectorELNS0_4arch9wavefront6targetE1EEEvT1_: ; @_ZN7rocprim17ROCPRIM_400000_NS6detail17trampoline_kernelINS0_14default_configENS1_29reduce_by_key_config_selectorIssN6thrust23THRUST_200600_302600_NS4plusIsEEEEZZNS1_33reduce_by_key_impl_wrapped_configILNS1_25lookback_scan_determinismE0ES3_S9_NS6_6detail15normal_iteratorINS6_10device_ptrIsEEEESG_SG_SG_PmS8_22is_equal_div_10_reduceIsEEE10hipError_tPvRmT2_T3_mT4_T5_T6_T7_T8_P12ihipStream_tbENKUlT_T0_E_clISt17integral_constantIbLb0EES11_EEDaSW_SX_EUlSW_E_NS1_11comp_targetILNS1_3genE3ELNS1_11target_archE908ELNS1_3gpuE7ELNS1_3repE0EEENS1_30default_config_static_selectorELNS0_4arch9wavefront6targetE1EEEvT1_
; %bb.0:
	.section	.rodata,"a",@progbits
	.p2align	6, 0x0
	.amdhsa_kernel _ZN7rocprim17ROCPRIM_400000_NS6detail17trampoline_kernelINS0_14default_configENS1_29reduce_by_key_config_selectorIssN6thrust23THRUST_200600_302600_NS4plusIsEEEEZZNS1_33reduce_by_key_impl_wrapped_configILNS1_25lookback_scan_determinismE0ES3_S9_NS6_6detail15normal_iteratorINS6_10device_ptrIsEEEESG_SG_SG_PmS8_22is_equal_div_10_reduceIsEEE10hipError_tPvRmT2_T3_mT4_T5_T6_T7_T8_P12ihipStream_tbENKUlT_T0_E_clISt17integral_constantIbLb0EES11_EEDaSW_SX_EUlSW_E_NS1_11comp_targetILNS1_3genE3ELNS1_11target_archE908ELNS1_3gpuE7ELNS1_3repE0EEENS1_30default_config_static_selectorELNS0_4arch9wavefront6targetE1EEEvT1_
		.amdhsa_group_segment_fixed_size 0
		.amdhsa_private_segment_fixed_size 0
		.amdhsa_kernarg_size 120
		.amdhsa_user_sgpr_count 6
		.amdhsa_user_sgpr_private_segment_buffer 1
		.amdhsa_user_sgpr_dispatch_ptr 0
		.amdhsa_user_sgpr_queue_ptr 0
		.amdhsa_user_sgpr_kernarg_segment_ptr 1
		.amdhsa_user_sgpr_dispatch_id 0
		.amdhsa_user_sgpr_flat_scratch_init 0
		.amdhsa_user_sgpr_kernarg_preload_length 0
		.amdhsa_user_sgpr_kernarg_preload_offset 0
		.amdhsa_user_sgpr_private_segment_size 0
		.amdhsa_uses_dynamic_stack 0
		.amdhsa_system_sgpr_private_segment_wavefront_offset 0
		.amdhsa_system_sgpr_workgroup_id_x 1
		.amdhsa_system_sgpr_workgroup_id_y 0
		.amdhsa_system_sgpr_workgroup_id_z 0
		.amdhsa_system_sgpr_workgroup_info 0
		.amdhsa_system_vgpr_workitem_id 0
		.amdhsa_next_free_vgpr 1
		.amdhsa_next_free_sgpr 0
		.amdhsa_accum_offset 4
		.amdhsa_reserve_vcc 0
		.amdhsa_reserve_flat_scratch 0
		.amdhsa_float_round_mode_32 0
		.amdhsa_float_round_mode_16_64 0
		.amdhsa_float_denorm_mode_32 3
		.amdhsa_float_denorm_mode_16_64 3
		.amdhsa_dx10_clamp 1
		.amdhsa_ieee_mode 1
		.amdhsa_fp16_overflow 0
		.amdhsa_tg_split 0
		.amdhsa_exception_fp_ieee_invalid_op 0
		.amdhsa_exception_fp_denorm_src 0
		.amdhsa_exception_fp_ieee_div_zero 0
		.amdhsa_exception_fp_ieee_overflow 0
		.amdhsa_exception_fp_ieee_underflow 0
		.amdhsa_exception_fp_ieee_inexact 0
		.amdhsa_exception_int_div_zero 0
	.end_amdhsa_kernel
	.section	.text._ZN7rocprim17ROCPRIM_400000_NS6detail17trampoline_kernelINS0_14default_configENS1_29reduce_by_key_config_selectorIssN6thrust23THRUST_200600_302600_NS4plusIsEEEEZZNS1_33reduce_by_key_impl_wrapped_configILNS1_25lookback_scan_determinismE0ES3_S9_NS6_6detail15normal_iteratorINS6_10device_ptrIsEEEESG_SG_SG_PmS8_22is_equal_div_10_reduceIsEEE10hipError_tPvRmT2_T3_mT4_T5_T6_T7_T8_P12ihipStream_tbENKUlT_T0_E_clISt17integral_constantIbLb0EES11_EEDaSW_SX_EUlSW_E_NS1_11comp_targetILNS1_3genE3ELNS1_11target_archE908ELNS1_3gpuE7ELNS1_3repE0EEENS1_30default_config_static_selectorELNS0_4arch9wavefront6targetE1EEEvT1_,"axG",@progbits,_ZN7rocprim17ROCPRIM_400000_NS6detail17trampoline_kernelINS0_14default_configENS1_29reduce_by_key_config_selectorIssN6thrust23THRUST_200600_302600_NS4plusIsEEEEZZNS1_33reduce_by_key_impl_wrapped_configILNS1_25lookback_scan_determinismE0ES3_S9_NS6_6detail15normal_iteratorINS6_10device_ptrIsEEEESG_SG_SG_PmS8_22is_equal_div_10_reduceIsEEE10hipError_tPvRmT2_T3_mT4_T5_T6_T7_T8_P12ihipStream_tbENKUlT_T0_E_clISt17integral_constantIbLb0EES11_EEDaSW_SX_EUlSW_E_NS1_11comp_targetILNS1_3genE3ELNS1_11target_archE908ELNS1_3gpuE7ELNS1_3repE0EEENS1_30default_config_static_selectorELNS0_4arch9wavefront6targetE1EEEvT1_,comdat
.Lfunc_end664:
	.size	_ZN7rocprim17ROCPRIM_400000_NS6detail17trampoline_kernelINS0_14default_configENS1_29reduce_by_key_config_selectorIssN6thrust23THRUST_200600_302600_NS4plusIsEEEEZZNS1_33reduce_by_key_impl_wrapped_configILNS1_25lookback_scan_determinismE0ES3_S9_NS6_6detail15normal_iteratorINS6_10device_ptrIsEEEESG_SG_SG_PmS8_22is_equal_div_10_reduceIsEEE10hipError_tPvRmT2_T3_mT4_T5_T6_T7_T8_P12ihipStream_tbENKUlT_T0_E_clISt17integral_constantIbLb0EES11_EEDaSW_SX_EUlSW_E_NS1_11comp_targetILNS1_3genE3ELNS1_11target_archE908ELNS1_3gpuE7ELNS1_3repE0EEENS1_30default_config_static_selectorELNS0_4arch9wavefront6targetE1EEEvT1_, .Lfunc_end664-_ZN7rocprim17ROCPRIM_400000_NS6detail17trampoline_kernelINS0_14default_configENS1_29reduce_by_key_config_selectorIssN6thrust23THRUST_200600_302600_NS4plusIsEEEEZZNS1_33reduce_by_key_impl_wrapped_configILNS1_25lookback_scan_determinismE0ES3_S9_NS6_6detail15normal_iteratorINS6_10device_ptrIsEEEESG_SG_SG_PmS8_22is_equal_div_10_reduceIsEEE10hipError_tPvRmT2_T3_mT4_T5_T6_T7_T8_P12ihipStream_tbENKUlT_T0_E_clISt17integral_constantIbLb0EES11_EEDaSW_SX_EUlSW_E_NS1_11comp_targetILNS1_3genE3ELNS1_11target_archE908ELNS1_3gpuE7ELNS1_3repE0EEENS1_30default_config_static_selectorELNS0_4arch9wavefront6targetE1EEEvT1_
                                        ; -- End function
	.section	.AMDGPU.csdata,"",@progbits
; Kernel info:
; codeLenInByte = 0
; NumSgprs: 4
; NumVgprs: 0
; NumAgprs: 0
; TotalNumVgprs: 0
; ScratchSize: 0
; MemoryBound: 0
; FloatMode: 240
; IeeeMode: 1
; LDSByteSize: 0 bytes/workgroup (compile time only)
; SGPRBlocks: 0
; VGPRBlocks: 0
; NumSGPRsForWavesPerEU: 4
; NumVGPRsForWavesPerEU: 1
; AccumOffset: 4
; Occupancy: 8
; WaveLimiterHint : 0
; COMPUTE_PGM_RSRC2:SCRATCH_EN: 0
; COMPUTE_PGM_RSRC2:USER_SGPR: 6
; COMPUTE_PGM_RSRC2:TRAP_HANDLER: 0
; COMPUTE_PGM_RSRC2:TGID_X_EN: 1
; COMPUTE_PGM_RSRC2:TGID_Y_EN: 0
; COMPUTE_PGM_RSRC2:TGID_Z_EN: 0
; COMPUTE_PGM_RSRC2:TIDIG_COMP_CNT: 0
; COMPUTE_PGM_RSRC3_GFX90A:ACCUM_OFFSET: 0
; COMPUTE_PGM_RSRC3_GFX90A:TG_SPLIT: 0
	.section	.text._ZN7rocprim17ROCPRIM_400000_NS6detail17trampoline_kernelINS0_14default_configENS1_29reduce_by_key_config_selectorIssN6thrust23THRUST_200600_302600_NS4plusIsEEEEZZNS1_33reduce_by_key_impl_wrapped_configILNS1_25lookback_scan_determinismE0ES3_S9_NS6_6detail15normal_iteratorINS6_10device_ptrIsEEEESG_SG_SG_PmS8_22is_equal_div_10_reduceIsEEE10hipError_tPvRmT2_T3_mT4_T5_T6_T7_T8_P12ihipStream_tbENKUlT_T0_E_clISt17integral_constantIbLb0EES11_EEDaSW_SX_EUlSW_E_NS1_11comp_targetILNS1_3genE2ELNS1_11target_archE906ELNS1_3gpuE6ELNS1_3repE0EEENS1_30default_config_static_selectorELNS0_4arch9wavefront6targetE1EEEvT1_,"axG",@progbits,_ZN7rocprim17ROCPRIM_400000_NS6detail17trampoline_kernelINS0_14default_configENS1_29reduce_by_key_config_selectorIssN6thrust23THRUST_200600_302600_NS4plusIsEEEEZZNS1_33reduce_by_key_impl_wrapped_configILNS1_25lookback_scan_determinismE0ES3_S9_NS6_6detail15normal_iteratorINS6_10device_ptrIsEEEESG_SG_SG_PmS8_22is_equal_div_10_reduceIsEEE10hipError_tPvRmT2_T3_mT4_T5_T6_T7_T8_P12ihipStream_tbENKUlT_T0_E_clISt17integral_constantIbLb0EES11_EEDaSW_SX_EUlSW_E_NS1_11comp_targetILNS1_3genE2ELNS1_11target_archE906ELNS1_3gpuE6ELNS1_3repE0EEENS1_30default_config_static_selectorELNS0_4arch9wavefront6targetE1EEEvT1_,comdat
	.protected	_ZN7rocprim17ROCPRIM_400000_NS6detail17trampoline_kernelINS0_14default_configENS1_29reduce_by_key_config_selectorIssN6thrust23THRUST_200600_302600_NS4plusIsEEEEZZNS1_33reduce_by_key_impl_wrapped_configILNS1_25lookback_scan_determinismE0ES3_S9_NS6_6detail15normal_iteratorINS6_10device_ptrIsEEEESG_SG_SG_PmS8_22is_equal_div_10_reduceIsEEE10hipError_tPvRmT2_T3_mT4_T5_T6_T7_T8_P12ihipStream_tbENKUlT_T0_E_clISt17integral_constantIbLb0EES11_EEDaSW_SX_EUlSW_E_NS1_11comp_targetILNS1_3genE2ELNS1_11target_archE906ELNS1_3gpuE6ELNS1_3repE0EEENS1_30default_config_static_selectorELNS0_4arch9wavefront6targetE1EEEvT1_ ; -- Begin function _ZN7rocprim17ROCPRIM_400000_NS6detail17trampoline_kernelINS0_14default_configENS1_29reduce_by_key_config_selectorIssN6thrust23THRUST_200600_302600_NS4plusIsEEEEZZNS1_33reduce_by_key_impl_wrapped_configILNS1_25lookback_scan_determinismE0ES3_S9_NS6_6detail15normal_iteratorINS6_10device_ptrIsEEEESG_SG_SG_PmS8_22is_equal_div_10_reduceIsEEE10hipError_tPvRmT2_T3_mT4_T5_T6_T7_T8_P12ihipStream_tbENKUlT_T0_E_clISt17integral_constantIbLb0EES11_EEDaSW_SX_EUlSW_E_NS1_11comp_targetILNS1_3genE2ELNS1_11target_archE906ELNS1_3gpuE6ELNS1_3repE0EEENS1_30default_config_static_selectorELNS0_4arch9wavefront6targetE1EEEvT1_
	.globl	_ZN7rocprim17ROCPRIM_400000_NS6detail17trampoline_kernelINS0_14default_configENS1_29reduce_by_key_config_selectorIssN6thrust23THRUST_200600_302600_NS4plusIsEEEEZZNS1_33reduce_by_key_impl_wrapped_configILNS1_25lookback_scan_determinismE0ES3_S9_NS6_6detail15normal_iteratorINS6_10device_ptrIsEEEESG_SG_SG_PmS8_22is_equal_div_10_reduceIsEEE10hipError_tPvRmT2_T3_mT4_T5_T6_T7_T8_P12ihipStream_tbENKUlT_T0_E_clISt17integral_constantIbLb0EES11_EEDaSW_SX_EUlSW_E_NS1_11comp_targetILNS1_3genE2ELNS1_11target_archE906ELNS1_3gpuE6ELNS1_3repE0EEENS1_30default_config_static_selectorELNS0_4arch9wavefront6targetE1EEEvT1_
	.p2align	8
	.type	_ZN7rocprim17ROCPRIM_400000_NS6detail17trampoline_kernelINS0_14default_configENS1_29reduce_by_key_config_selectorIssN6thrust23THRUST_200600_302600_NS4plusIsEEEEZZNS1_33reduce_by_key_impl_wrapped_configILNS1_25lookback_scan_determinismE0ES3_S9_NS6_6detail15normal_iteratorINS6_10device_ptrIsEEEESG_SG_SG_PmS8_22is_equal_div_10_reduceIsEEE10hipError_tPvRmT2_T3_mT4_T5_T6_T7_T8_P12ihipStream_tbENKUlT_T0_E_clISt17integral_constantIbLb0EES11_EEDaSW_SX_EUlSW_E_NS1_11comp_targetILNS1_3genE2ELNS1_11target_archE906ELNS1_3gpuE6ELNS1_3repE0EEENS1_30default_config_static_selectorELNS0_4arch9wavefront6targetE1EEEvT1_,@function
_ZN7rocprim17ROCPRIM_400000_NS6detail17trampoline_kernelINS0_14default_configENS1_29reduce_by_key_config_selectorIssN6thrust23THRUST_200600_302600_NS4plusIsEEEEZZNS1_33reduce_by_key_impl_wrapped_configILNS1_25lookback_scan_determinismE0ES3_S9_NS6_6detail15normal_iteratorINS6_10device_ptrIsEEEESG_SG_SG_PmS8_22is_equal_div_10_reduceIsEEE10hipError_tPvRmT2_T3_mT4_T5_T6_T7_T8_P12ihipStream_tbENKUlT_T0_E_clISt17integral_constantIbLb0EES11_EEDaSW_SX_EUlSW_E_NS1_11comp_targetILNS1_3genE2ELNS1_11target_archE906ELNS1_3gpuE6ELNS1_3repE0EEENS1_30default_config_static_selectorELNS0_4arch9wavefront6targetE1EEEvT1_: ; @_ZN7rocprim17ROCPRIM_400000_NS6detail17trampoline_kernelINS0_14default_configENS1_29reduce_by_key_config_selectorIssN6thrust23THRUST_200600_302600_NS4plusIsEEEEZZNS1_33reduce_by_key_impl_wrapped_configILNS1_25lookback_scan_determinismE0ES3_S9_NS6_6detail15normal_iteratorINS6_10device_ptrIsEEEESG_SG_SG_PmS8_22is_equal_div_10_reduceIsEEE10hipError_tPvRmT2_T3_mT4_T5_T6_T7_T8_P12ihipStream_tbENKUlT_T0_E_clISt17integral_constantIbLb0EES11_EEDaSW_SX_EUlSW_E_NS1_11comp_targetILNS1_3genE2ELNS1_11target_archE906ELNS1_3gpuE6ELNS1_3repE0EEENS1_30default_config_static_selectorELNS0_4arch9wavefront6targetE1EEEvT1_
; %bb.0:
	.section	.rodata,"a",@progbits
	.p2align	6, 0x0
	.amdhsa_kernel _ZN7rocprim17ROCPRIM_400000_NS6detail17trampoline_kernelINS0_14default_configENS1_29reduce_by_key_config_selectorIssN6thrust23THRUST_200600_302600_NS4plusIsEEEEZZNS1_33reduce_by_key_impl_wrapped_configILNS1_25lookback_scan_determinismE0ES3_S9_NS6_6detail15normal_iteratorINS6_10device_ptrIsEEEESG_SG_SG_PmS8_22is_equal_div_10_reduceIsEEE10hipError_tPvRmT2_T3_mT4_T5_T6_T7_T8_P12ihipStream_tbENKUlT_T0_E_clISt17integral_constantIbLb0EES11_EEDaSW_SX_EUlSW_E_NS1_11comp_targetILNS1_3genE2ELNS1_11target_archE906ELNS1_3gpuE6ELNS1_3repE0EEENS1_30default_config_static_selectorELNS0_4arch9wavefront6targetE1EEEvT1_
		.amdhsa_group_segment_fixed_size 0
		.amdhsa_private_segment_fixed_size 0
		.amdhsa_kernarg_size 120
		.amdhsa_user_sgpr_count 6
		.amdhsa_user_sgpr_private_segment_buffer 1
		.amdhsa_user_sgpr_dispatch_ptr 0
		.amdhsa_user_sgpr_queue_ptr 0
		.amdhsa_user_sgpr_kernarg_segment_ptr 1
		.amdhsa_user_sgpr_dispatch_id 0
		.amdhsa_user_sgpr_flat_scratch_init 0
		.amdhsa_user_sgpr_kernarg_preload_length 0
		.amdhsa_user_sgpr_kernarg_preload_offset 0
		.amdhsa_user_sgpr_private_segment_size 0
		.amdhsa_uses_dynamic_stack 0
		.amdhsa_system_sgpr_private_segment_wavefront_offset 0
		.amdhsa_system_sgpr_workgroup_id_x 1
		.amdhsa_system_sgpr_workgroup_id_y 0
		.amdhsa_system_sgpr_workgroup_id_z 0
		.amdhsa_system_sgpr_workgroup_info 0
		.amdhsa_system_vgpr_workitem_id 0
		.amdhsa_next_free_vgpr 1
		.amdhsa_next_free_sgpr 0
		.amdhsa_accum_offset 4
		.amdhsa_reserve_vcc 0
		.amdhsa_reserve_flat_scratch 0
		.amdhsa_float_round_mode_32 0
		.amdhsa_float_round_mode_16_64 0
		.amdhsa_float_denorm_mode_32 3
		.amdhsa_float_denorm_mode_16_64 3
		.amdhsa_dx10_clamp 1
		.amdhsa_ieee_mode 1
		.amdhsa_fp16_overflow 0
		.amdhsa_tg_split 0
		.amdhsa_exception_fp_ieee_invalid_op 0
		.amdhsa_exception_fp_denorm_src 0
		.amdhsa_exception_fp_ieee_div_zero 0
		.amdhsa_exception_fp_ieee_overflow 0
		.amdhsa_exception_fp_ieee_underflow 0
		.amdhsa_exception_fp_ieee_inexact 0
		.amdhsa_exception_int_div_zero 0
	.end_amdhsa_kernel
	.section	.text._ZN7rocprim17ROCPRIM_400000_NS6detail17trampoline_kernelINS0_14default_configENS1_29reduce_by_key_config_selectorIssN6thrust23THRUST_200600_302600_NS4plusIsEEEEZZNS1_33reduce_by_key_impl_wrapped_configILNS1_25lookback_scan_determinismE0ES3_S9_NS6_6detail15normal_iteratorINS6_10device_ptrIsEEEESG_SG_SG_PmS8_22is_equal_div_10_reduceIsEEE10hipError_tPvRmT2_T3_mT4_T5_T6_T7_T8_P12ihipStream_tbENKUlT_T0_E_clISt17integral_constantIbLb0EES11_EEDaSW_SX_EUlSW_E_NS1_11comp_targetILNS1_3genE2ELNS1_11target_archE906ELNS1_3gpuE6ELNS1_3repE0EEENS1_30default_config_static_selectorELNS0_4arch9wavefront6targetE1EEEvT1_,"axG",@progbits,_ZN7rocprim17ROCPRIM_400000_NS6detail17trampoline_kernelINS0_14default_configENS1_29reduce_by_key_config_selectorIssN6thrust23THRUST_200600_302600_NS4plusIsEEEEZZNS1_33reduce_by_key_impl_wrapped_configILNS1_25lookback_scan_determinismE0ES3_S9_NS6_6detail15normal_iteratorINS6_10device_ptrIsEEEESG_SG_SG_PmS8_22is_equal_div_10_reduceIsEEE10hipError_tPvRmT2_T3_mT4_T5_T6_T7_T8_P12ihipStream_tbENKUlT_T0_E_clISt17integral_constantIbLb0EES11_EEDaSW_SX_EUlSW_E_NS1_11comp_targetILNS1_3genE2ELNS1_11target_archE906ELNS1_3gpuE6ELNS1_3repE0EEENS1_30default_config_static_selectorELNS0_4arch9wavefront6targetE1EEEvT1_,comdat
.Lfunc_end665:
	.size	_ZN7rocprim17ROCPRIM_400000_NS6detail17trampoline_kernelINS0_14default_configENS1_29reduce_by_key_config_selectorIssN6thrust23THRUST_200600_302600_NS4plusIsEEEEZZNS1_33reduce_by_key_impl_wrapped_configILNS1_25lookback_scan_determinismE0ES3_S9_NS6_6detail15normal_iteratorINS6_10device_ptrIsEEEESG_SG_SG_PmS8_22is_equal_div_10_reduceIsEEE10hipError_tPvRmT2_T3_mT4_T5_T6_T7_T8_P12ihipStream_tbENKUlT_T0_E_clISt17integral_constantIbLb0EES11_EEDaSW_SX_EUlSW_E_NS1_11comp_targetILNS1_3genE2ELNS1_11target_archE906ELNS1_3gpuE6ELNS1_3repE0EEENS1_30default_config_static_selectorELNS0_4arch9wavefront6targetE1EEEvT1_, .Lfunc_end665-_ZN7rocprim17ROCPRIM_400000_NS6detail17trampoline_kernelINS0_14default_configENS1_29reduce_by_key_config_selectorIssN6thrust23THRUST_200600_302600_NS4plusIsEEEEZZNS1_33reduce_by_key_impl_wrapped_configILNS1_25lookback_scan_determinismE0ES3_S9_NS6_6detail15normal_iteratorINS6_10device_ptrIsEEEESG_SG_SG_PmS8_22is_equal_div_10_reduceIsEEE10hipError_tPvRmT2_T3_mT4_T5_T6_T7_T8_P12ihipStream_tbENKUlT_T0_E_clISt17integral_constantIbLb0EES11_EEDaSW_SX_EUlSW_E_NS1_11comp_targetILNS1_3genE2ELNS1_11target_archE906ELNS1_3gpuE6ELNS1_3repE0EEENS1_30default_config_static_selectorELNS0_4arch9wavefront6targetE1EEEvT1_
                                        ; -- End function
	.section	.AMDGPU.csdata,"",@progbits
; Kernel info:
; codeLenInByte = 0
; NumSgprs: 4
; NumVgprs: 0
; NumAgprs: 0
; TotalNumVgprs: 0
; ScratchSize: 0
; MemoryBound: 0
; FloatMode: 240
; IeeeMode: 1
; LDSByteSize: 0 bytes/workgroup (compile time only)
; SGPRBlocks: 0
; VGPRBlocks: 0
; NumSGPRsForWavesPerEU: 4
; NumVGPRsForWavesPerEU: 1
; AccumOffset: 4
; Occupancy: 8
; WaveLimiterHint : 0
; COMPUTE_PGM_RSRC2:SCRATCH_EN: 0
; COMPUTE_PGM_RSRC2:USER_SGPR: 6
; COMPUTE_PGM_RSRC2:TRAP_HANDLER: 0
; COMPUTE_PGM_RSRC2:TGID_X_EN: 1
; COMPUTE_PGM_RSRC2:TGID_Y_EN: 0
; COMPUTE_PGM_RSRC2:TGID_Z_EN: 0
; COMPUTE_PGM_RSRC2:TIDIG_COMP_CNT: 0
; COMPUTE_PGM_RSRC3_GFX90A:ACCUM_OFFSET: 0
; COMPUTE_PGM_RSRC3_GFX90A:TG_SPLIT: 0
	.section	.text._ZN7rocprim17ROCPRIM_400000_NS6detail17trampoline_kernelINS0_14default_configENS1_29reduce_by_key_config_selectorIssN6thrust23THRUST_200600_302600_NS4plusIsEEEEZZNS1_33reduce_by_key_impl_wrapped_configILNS1_25lookback_scan_determinismE0ES3_S9_NS6_6detail15normal_iteratorINS6_10device_ptrIsEEEESG_SG_SG_PmS8_22is_equal_div_10_reduceIsEEE10hipError_tPvRmT2_T3_mT4_T5_T6_T7_T8_P12ihipStream_tbENKUlT_T0_E_clISt17integral_constantIbLb0EES11_EEDaSW_SX_EUlSW_E_NS1_11comp_targetILNS1_3genE10ELNS1_11target_archE1201ELNS1_3gpuE5ELNS1_3repE0EEENS1_30default_config_static_selectorELNS0_4arch9wavefront6targetE1EEEvT1_,"axG",@progbits,_ZN7rocprim17ROCPRIM_400000_NS6detail17trampoline_kernelINS0_14default_configENS1_29reduce_by_key_config_selectorIssN6thrust23THRUST_200600_302600_NS4plusIsEEEEZZNS1_33reduce_by_key_impl_wrapped_configILNS1_25lookback_scan_determinismE0ES3_S9_NS6_6detail15normal_iteratorINS6_10device_ptrIsEEEESG_SG_SG_PmS8_22is_equal_div_10_reduceIsEEE10hipError_tPvRmT2_T3_mT4_T5_T6_T7_T8_P12ihipStream_tbENKUlT_T0_E_clISt17integral_constantIbLb0EES11_EEDaSW_SX_EUlSW_E_NS1_11comp_targetILNS1_3genE10ELNS1_11target_archE1201ELNS1_3gpuE5ELNS1_3repE0EEENS1_30default_config_static_selectorELNS0_4arch9wavefront6targetE1EEEvT1_,comdat
	.protected	_ZN7rocprim17ROCPRIM_400000_NS6detail17trampoline_kernelINS0_14default_configENS1_29reduce_by_key_config_selectorIssN6thrust23THRUST_200600_302600_NS4plusIsEEEEZZNS1_33reduce_by_key_impl_wrapped_configILNS1_25lookback_scan_determinismE0ES3_S9_NS6_6detail15normal_iteratorINS6_10device_ptrIsEEEESG_SG_SG_PmS8_22is_equal_div_10_reduceIsEEE10hipError_tPvRmT2_T3_mT4_T5_T6_T7_T8_P12ihipStream_tbENKUlT_T0_E_clISt17integral_constantIbLb0EES11_EEDaSW_SX_EUlSW_E_NS1_11comp_targetILNS1_3genE10ELNS1_11target_archE1201ELNS1_3gpuE5ELNS1_3repE0EEENS1_30default_config_static_selectorELNS0_4arch9wavefront6targetE1EEEvT1_ ; -- Begin function _ZN7rocprim17ROCPRIM_400000_NS6detail17trampoline_kernelINS0_14default_configENS1_29reduce_by_key_config_selectorIssN6thrust23THRUST_200600_302600_NS4plusIsEEEEZZNS1_33reduce_by_key_impl_wrapped_configILNS1_25lookback_scan_determinismE0ES3_S9_NS6_6detail15normal_iteratorINS6_10device_ptrIsEEEESG_SG_SG_PmS8_22is_equal_div_10_reduceIsEEE10hipError_tPvRmT2_T3_mT4_T5_T6_T7_T8_P12ihipStream_tbENKUlT_T0_E_clISt17integral_constantIbLb0EES11_EEDaSW_SX_EUlSW_E_NS1_11comp_targetILNS1_3genE10ELNS1_11target_archE1201ELNS1_3gpuE5ELNS1_3repE0EEENS1_30default_config_static_selectorELNS0_4arch9wavefront6targetE1EEEvT1_
	.globl	_ZN7rocprim17ROCPRIM_400000_NS6detail17trampoline_kernelINS0_14default_configENS1_29reduce_by_key_config_selectorIssN6thrust23THRUST_200600_302600_NS4plusIsEEEEZZNS1_33reduce_by_key_impl_wrapped_configILNS1_25lookback_scan_determinismE0ES3_S9_NS6_6detail15normal_iteratorINS6_10device_ptrIsEEEESG_SG_SG_PmS8_22is_equal_div_10_reduceIsEEE10hipError_tPvRmT2_T3_mT4_T5_T6_T7_T8_P12ihipStream_tbENKUlT_T0_E_clISt17integral_constantIbLb0EES11_EEDaSW_SX_EUlSW_E_NS1_11comp_targetILNS1_3genE10ELNS1_11target_archE1201ELNS1_3gpuE5ELNS1_3repE0EEENS1_30default_config_static_selectorELNS0_4arch9wavefront6targetE1EEEvT1_
	.p2align	8
	.type	_ZN7rocprim17ROCPRIM_400000_NS6detail17trampoline_kernelINS0_14default_configENS1_29reduce_by_key_config_selectorIssN6thrust23THRUST_200600_302600_NS4plusIsEEEEZZNS1_33reduce_by_key_impl_wrapped_configILNS1_25lookback_scan_determinismE0ES3_S9_NS6_6detail15normal_iteratorINS6_10device_ptrIsEEEESG_SG_SG_PmS8_22is_equal_div_10_reduceIsEEE10hipError_tPvRmT2_T3_mT4_T5_T6_T7_T8_P12ihipStream_tbENKUlT_T0_E_clISt17integral_constantIbLb0EES11_EEDaSW_SX_EUlSW_E_NS1_11comp_targetILNS1_3genE10ELNS1_11target_archE1201ELNS1_3gpuE5ELNS1_3repE0EEENS1_30default_config_static_selectorELNS0_4arch9wavefront6targetE1EEEvT1_,@function
_ZN7rocprim17ROCPRIM_400000_NS6detail17trampoline_kernelINS0_14default_configENS1_29reduce_by_key_config_selectorIssN6thrust23THRUST_200600_302600_NS4plusIsEEEEZZNS1_33reduce_by_key_impl_wrapped_configILNS1_25lookback_scan_determinismE0ES3_S9_NS6_6detail15normal_iteratorINS6_10device_ptrIsEEEESG_SG_SG_PmS8_22is_equal_div_10_reduceIsEEE10hipError_tPvRmT2_T3_mT4_T5_T6_T7_T8_P12ihipStream_tbENKUlT_T0_E_clISt17integral_constantIbLb0EES11_EEDaSW_SX_EUlSW_E_NS1_11comp_targetILNS1_3genE10ELNS1_11target_archE1201ELNS1_3gpuE5ELNS1_3repE0EEENS1_30default_config_static_selectorELNS0_4arch9wavefront6targetE1EEEvT1_: ; @_ZN7rocprim17ROCPRIM_400000_NS6detail17trampoline_kernelINS0_14default_configENS1_29reduce_by_key_config_selectorIssN6thrust23THRUST_200600_302600_NS4plusIsEEEEZZNS1_33reduce_by_key_impl_wrapped_configILNS1_25lookback_scan_determinismE0ES3_S9_NS6_6detail15normal_iteratorINS6_10device_ptrIsEEEESG_SG_SG_PmS8_22is_equal_div_10_reduceIsEEE10hipError_tPvRmT2_T3_mT4_T5_T6_T7_T8_P12ihipStream_tbENKUlT_T0_E_clISt17integral_constantIbLb0EES11_EEDaSW_SX_EUlSW_E_NS1_11comp_targetILNS1_3genE10ELNS1_11target_archE1201ELNS1_3gpuE5ELNS1_3repE0EEENS1_30default_config_static_selectorELNS0_4arch9wavefront6targetE1EEEvT1_
; %bb.0:
	.section	.rodata,"a",@progbits
	.p2align	6, 0x0
	.amdhsa_kernel _ZN7rocprim17ROCPRIM_400000_NS6detail17trampoline_kernelINS0_14default_configENS1_29reduce_by_key_config_selectorIssN6thrust23THRUST_200600_302600_NS4plusIsEEEEZZNS1_33reduce_by_key_impl_wrapped_configILNS1_25lookback_scan_determinismE0ES3_S9_NS6_6detail15normal_iteratorINS6_10device_ptrIsEEEESG_SG_SG_PmS8_22is_equal_div_10_reduceIsEEE10hipError_tPvRmT2_T3_mT4_T5_T6_T7_T8_P12ihipStream_tbENKUlT_T0_E_clISt17integral_constantIbLb0EES11_EEDaSW_SX_EUlSW_E_NS1_11comp_targetILNS1_3genE10ELNS1_11target_archE1201ELNS1_3gpuE5ELNS1_3repE0EEENS1_30default_config_static_selectorELNS0_4arch9wavefront6targetE1EEEvT1_
		.amdhsa_group_segment_fixed_size 0
		.amdhsa_private_segment_fixed_size 0
		.amdhsa_kernarg_size 120
		.amdhsa_user_sgpr_count 6
		.amdhsa_user_sgpr_private_segment_buffer 1
		.amdhsa_user_sgpr_dispatch_ptr 0
		.amdhsa_user_sgpr_queue_ptr 0
		.amdhsa_user_sgpr_kernarg_segment_ptr 1
		.amdhsa_user_sgpr_dispatch_id 0
		.amdhsa_user_sgpr_flat_scratch_init 0
		.amdhsa_user_sgpr_kernarg_preload_length 0
		.amdhsa_user_sgpr_kernarg_preload_offset 0
		.amdhsa_user_sgpr_private_segment_size 0
		.amdhsa_uses_dynamic_stack 0
		.amdhsa_system_sgpr_private_segment_wavefront_offset 0
		.amdhsa_system_sgpr_workgroup_id_x 1
		.amdhsa_system_sgpr_workgroup_id_y 0
		.amdhsa_system_sgpr_workgroup_id_z 0
		.amdhsa_system_sgpr_workgroup_info 0
		.amdhsa_system_vgpr_workitem_id 0
		.amdhsa_next_free_vgpr 1
		.amdhsa_next_free_sgpr 0
		.amdhsa_accum_offset 4
		.amdhsa_reserve_vcc 0
		.amdhsa_reserve_flat_scratch 0
		.amdhsa_float_round_mode_32 0
		.amdhsa_float_round_mode_16_64 0
		.amdhsa_float_denorm_mode_32 3
		.amdhsa_float_denorm_mode_16_64 3
		.amdhsa_dx10_clamp 1
		.amdhsa_ieee_mode 1
		.amdhsa_fp16_overflow 0
		.amdhsa_tg_split 0
		.amdhsa_exception_fp_ieee_invalid_op 0
		.amdhsa_exception_fp_denorm_src 0
		.amdhsa_exception_fp_ieee_div_zero 0
		.amdhsa_exception_fp_ieee_overflow 0
		.amdhsa_exception_fp_ieee_underflow 0
		.amdhsa_exception_fp_ieee_inexact 0
		.amdhsa_exception_int_div_zero 0
	.end_amdhsa_kernel
	.section	.text._ZN7rocprim17ROCPRIM_400000_NS6detail17trampoline_kernelINS0_14default_configENS1_29reduce_by_key_config_selectorIssN6thrust23THRUST_200600_302600_NS4plusIsEEEEZZNS1_33reduce_by_key_impl_wrapped_configILNS1_25lookback_scan_determinismE0ES3_S9_NS6_6detail15normal_iteratorINS6_10device_ptrIsEEEESG_SG_SG_PmS8_22is_equal_div_10_reduceIsEEE10hipError_tPvRmT2_T3_mT4_T5_T6_T7_T8_P12ihipStream_tbENKUlT_T0_E_clISt17integral_constantIbLb0EES11_EEDaSW_SX_EUlSW_E_NS1_11comp_targetILNS1_3genE10ELNS1_11target_archE1201ELNS1_3gpuE5ELNS1_3repE0EEENS1_30default_config_static_selectorELNS0_4arch9wavefront6targetE1EEEvT1_,"axG",@progbits,_ZN7rocprim17ROCPRIM_400000_NS6detail17trampoline_kernelINS0_14default_configENS1_29reduce_by_key_config_selectorIssN6thrust23THRUST_200600_302600_NS4plusIsEEEEZZNS1_33reduce_by_key_impl_wrapped_configILNS1_25lookback_scan_determinismE0ES3_S9_NS6_6detail15normal_iteratorINS6_10device_ptrIsEEEESG_SG_SG_PmS8_22is_equal_div_10_reduceIsEEE10hipError_tPvRmT2_T3_mT4_T5_T6_T7_T8_P12ihipStream_tbENKUlT_T0_E_clISt17integral_constantIbLb0EES11_EEDaSW_SX_EUlSW_E_NS1_11comp_targetILNS1_3genE10ELNS1_11target_archE1201ELNS1_3gpuE5ELNS1_3repE0EEENS1_30default_config_static_selectorELNS0_4arch9wavefront6targetE1EEEvT1_,comdat
.Lfunc_end666:
	.size	_ZN7rocprim17ROCPRIM_400000_NS6detail17trampoline_kernelINS0_14default_configENS1_29reduce_by_key_config_selectorIssN6thrust23THRUST_200600_302600_NS4plusIsEEEEZZNS1_33reduce_by_key_impl_wrapped_configILNS1_25lookback_scan_determinismE0ES3_S9_NS6_6detail15normal_iteratorINS6_10device_ptrIsEEEESG_SG_SG_PmS8_22is_equal_div_10_reduceIsEEE10hipError_tPvRmT2_T3_mT4_T5_T6_T7_T8_P12ihipStream_tbENKUlT_T0_E_clISt17integral_constantIbLb0EES11_EEDaSW_SX_EUlSW_E_NS1_11comp_targetILNS1_3genE10ELNS1_11target_archE1201ELNS1_3gpuE5ELNS1_3repE0EEENS1_30default_config_static_selectorELNS0_4arch9wavefront6targetE1EEEvT1_, .Lfunc_end666-_ZN7rocprim17ROCPRIM_400000_NS6detail17trampoline_kernelINS0_14default_configENS1_29reduce_by_key_config_selectorIssN6thrust23THRUST_200600_302600_NS4plusIsEEEEZZNS1_33reduce_by_key_impl_wrapped_configILNS1_25lookback_scan_determinismE0ES3_S9_NS6_6detail15normal_iteratorINS6_10device_ptrIsEEEESG_SG_SG_PmS8_22is_equal_div_10_reduceIsEEE10hipError_tPvRmT2_T3_mT4_T5_T6_T7_T8_P12ihipStream_tbENKUlT_T0_E_clISt17integral_constantIbLb0EES11_EEDaSW_SX_EUlSW_E_NS1_11comp_targetILNS1_3genE10ELNS1_11target_archE1201ELNS1_3gpuE5ELNS1_3repE0EEENS1_30default_config_static_selectorELNS0_4arch9wavefront6targetE1EEEvT1_
                                        ; -- End function
	.section	.AMDGPU.csdata,"",@progbits
; Kernel info:
; codeLenInByte = 0
; NumSgprs: 4
; NumVgprs: 0
; NumAgprs: 0
; TotalNumVgprs: 0
; ScratchSize: 0
; MemoryBound: 0
; FloatMode: 240
; IeeeMode: 1
; LDSByteSize: 0 bytes/workgroup (compile time only)
; SGPRBlocks: 0
; VGPRBlocks: 0
; NumSGPRsForWavesPerEU: 4
; NumVGPRsForWavesPerEU: 1
; AccumOffset: 4
; Occupancy: 8
; WaveLimiterHint : 0
; COMPUTE_PGM_RSRC2:SCRATCH_EN: 0
; COMPUTE_PGM_RSRC2:USER_SGPR: 6
; COMPUTE_PGM_RSRC2:TRAP_HANDLER: 0
; COMPUTE_PGM_RSRC2:TGID_X_EN: 1
; COMPUTE_PGM_RSRC2:TGID_Y_EN: 0
; COMPUTE_PGM_RSRC2:TGID_Z_EN: 0
; COMPUTE_PGM_RSRC2:TIDIG_COMP_CNT: 0
; COMPUTE_PGM_RSRC3_GFX90A:ACCUM_OFFSET: 0
; COMPUTE_PGM_RSRC3_GFX90A:TG_SPLIT: 0
	.section	.text._ZN7rocprim17ROCPRIM_400000_NS6detail17trampoline_kernelINS0_14default_configENS1_29reduce_by_key_config_selectorIssN6thrust23THRUST_200600_302600_NS4plusIsEEEEZZNS1_33reduce_by_key_impl_wrapped_configILNS1_25lookback_scan_determinismE0ES3_S9_NS6_6detail15normal_iteratorINS6_10device_ptrIsEEEESG_SG_SG_PmS8_22is_equal_div_10_reduceIsEEE10hipError_tPvRmT2_T3_mT4_T5_T6_T7_T8_P12ihipStream_tbENKUlT_T0_E_clISt17integral_constantIbLb0EES11_EEDaSW_SX_EUlSW_E_NS1_11comp_targetILNS1_3genE10ELNS1_11target_archE1200ELNS1_3gpuE4ELNS1_3repE0EEENS1_30default_config_static_selectorELNS0_4arch9wavefront6targetE1EEEvT1_,"axG",@progbits,_ZN7rocprim17ROCPRIM_400000_NS6detail17trampoline_kernelINS0_14default_configENS1_29reduce_by_key_config_selectorIssN6thrust23THRUST_200600_302600_NS4plusIsEEEEZZNS1_33reduce_by_key_impl_wrapped_configILNS1_25lookback_scan_determinismE0ES3_S9_NS6_6detail15normal_iteratorINS6_10device_ptrIsEEEESG_SG_SG_PmS8_22is_equal_div_10_reduceIsEEE10hipError_tPvRmT2_T3_mT4_T5_T6_T7_T8_P12ihipStream_tbENKUlT_T0_E_clISt17integral_constantIbLb0EES11_EEDaSW_SX_EUlSW_E_NS1_11comp_targetILNS1_3genE10ELNS1_11target_archE1200ELNS1_3gpuE4ELNS1_3repE0EEENS1_30default_config_static_selectorELNS0_4arch9wavefront6targetE1EEEvT1_,comdat
	.protected	_ZN7rocprim17ROCPRIM_400000_NS6detail17trampoline_kernelINS0_14default_configENS1_29reduce_by_key_config_selectorIssN6thrust23THRUST_200600_302600_NS4plusIsEEEEZZNS1_33reduce_by_key_impl_wrapped_configILNS1_25lookback_scan_determinismE0ES3_S9_NS6_6detail15normal_iteratorINS6_10device_ptrIsEEEESG_SG_SG_PmS8_22is_equal_div_10_reduceIsEEE10hipError_tPvRmT2_T3_mT4_T5_T6_T7_T8_P12ihipStream_tbENKUlT_T0_E_clISt17integral_constantIbLb0EES11_EEDaSW_SX_EUlSW_E_NS1_11comp_targetILNS1_3genE10ELNS1_11target_archE1200ELNS1_3gpuE4ELNS1_3repE0EEENS1_30default_config_static_selectorELNS0_4arch9wavefront6targetE1EEEvT1_ ; -- Begin function _ZN7rocprim17ROCPRIM_400000_NS6detail17trampoline_kernelINS0_14default_configENS1_29reduce_by_key_config_selectorIssN6thrust23THRUST_200600_302600_NS4plusIsEEEEZZNS1_33reduce_by_key_impl_wrapped_configILNS1_25lookback_scan_determinismE0ES3_S9_NS6_6detail15normal_iteratorINS6_10device_ptrIsEEEESG_SG_SG_PmS8_22is_equal_div_10_reduceIsEEE10hipError_tPvRmT2_T3_mT4_T5_T6_T7_T8_P12ihipStream_tbENKUlT_T0_E_clISt17integral_constantIbLb0EES11_EEDaSW_SX_EUlSW_E_NS1_11comp_targetILNS1_3genE10ELNS1_11target_archE1200ELNS1_3gpuE4ELNS1_3repE0EEENS1_30default_config_static_selectorELNS0_4arch9wavefront6targetE1EEEvT1_
	.globl	_ZN7rocprim17ROCPRIM_400000_NS6detail17trampoline_kernelINS0_14default_configENS1_29reduce_by_key_config_selectorIssN6thrust23THRUST_200600_302600_NS4plusIsEEEEZZNS1_33reduce_by_key_impl_wrapped_configILNS1_25lookback_scan_determinismE0ES3_S9_NS6_6detail15normal_iteratorINS6_10device_ptrIsEEEESG_SG_SG_PmS8_22is_equal_div_10_reduceIsEEE10hipError_tPvRmT2_T3_mT4_T5_T6_T7_T8_P12ihipStream_tbENKUlT_T0_E_clISt17integral_constantIbLb0EES11_EEDaSW_SX_EUlSW_E_NS1_11comp_targetILNS1_3genE10ELNS1_11target_archE1200ELNS1_3gpuE4ELNS1_3repE0EEENS1_30default_config_static_selectorELNS0_4arch9wavefront6targetE1EEEvT1_
	.p2align	8
	.type	_ZN7rocprim17ROCPRIM_400000_NS6detail17trampoline_kernelINS0_14default_configENS1_29reduce_by_key_config_selectorIssN6thrust23THRUST_200600_302600_NS4plusIsEEEEZZNS1_33reduce_by_key_impl_wrapped_configILNS1_25lookback_scan_determinismE0ES3_S9_NS6_6detail15normal_iteratorINS6_10device_ptrIsEEEESG_SG_SG_PmS8_22is_equal_div_10_reduceIsEEE10hipError_tPvRmT2_T3_mT4_T5_T6_T7_T8_P12ihipStream_tbENKUlT_T0_E_clISt17integral_constantIbLb0EES11_EEDaSW_SX_EUlSW_E_NS1_11comp_targetILNS1_3genE10ELNS1_11target_archE1200ELNS1_3gpuE4ELNS1_3repE0EEENS1_30default_config_static_selectorELNS0_4arch9wavefront6targetE1EEEvT1_,@function
_ZN7rocprim17ROCPRIM_400000_NS6detail17trampoline_kernelINS0_14default_configENS1_29reduce_by_key_config_selectorIssN6thrust23THRUST_200600_302600_NS4plusIsEEEEZZNS1_33reduce_by_key_impl_wrapped_configILNS1_25lookback_scan_determinismE0ES3_S9_NS6_6detail15normal_iteratorINS6_10device_ptrIsEEEESG_SG_SG_PmS8_22is_equal_div_10_reduceIsEEE10hipError_tPvRmT2_T3_mT4_T5_T6_T7_T8_P12ihipStream_tbENKUlT_T0_E_clISt17integral_constantIbLb0EES11_EEDaSW_SX_EUlSW_E_NS1_11comp_targetILNS1_3genE10ELNS1_11target_archE1200ELNS1_3gpuE4ELNS1_3repE0EEENS1_30default_config_static_selectorELNS0_4arch9wavefront6targetE1EEEvT1_: ; @_ZN7rocprim17ROCPRIM_400000_NS6detail17trampoline_kernelINS0_14default_configENS1_29reduce_by_key_config_selectorIssN6thrust23THRUST_200600_302600_NS4plusIsEEEEZZNS1_33reduce_by_key_impl_wrapped_configILNS1_25lookback_scan_determinismE0ES3_S9_NS6_6detail15normal_iteratorINS6_10device_ptrIsEEEESG_SG_SG_PmS8_22is_equal_div_10_reduceIsEEE10hipError_tPvRmT2_T3_mT4_T5_T6_T7_T8_P12ihipStream_tbENKUlT_T0_E_clISt17integral_constantIbLb0EES11_EEDaSW_SX_EUlSW_E_NS1_11comp_targetILNS1_3genE10ELNS1_11target_archE1200ELNS1_3gpuE4ELNS1_3repE0EEENS1_30default_config_static_selectorELNS0_4arch9wavefront6targetE1EEEvT1_
; %bb.0:
	.section	.rodata,"a",@progbits
	.p2align	6, 0x0
	.amdhsa_kernel _ZN7rocprim17ROCPRIM_400000_NS6detail17trampoline_kernelINS0_14default_configENS1_29reduce_by_key_config_selectorIssN6thrust23THRUST_200600_302600_NS4plusIsEEEEZZNS1_33reduce_by_key_impl_wrapped_configILNS1_25lookback_scan_determinismE0ES3_S9_NS6_6detail15normal_iteratorINS6_10device_ptrIsEEEESG_SG_SG_PmS8_22is_equal_div_10_reduceIsEEE10hipError_tPvRmT2_T3_mT4_T5_T6_T7_T8_P12ihipStream_tbENKUlT_T0_E_clISt17integral_constantIbLb0EES11_EEDaSW_SX_EUlSW_E_NS1_11comp_targetILNS1_3genE10ELNS1_11target_archE1200ELNS1_3gpuE4ELNS1_3repE0EEENS1_30default_config_static_selectorELNS0_4arch9wavefront6targetE1EEEvT1_
		.amdhsa_group_segment_fixed_size 0
		.amdhsa_private_segment_fixed_size 0
		.amdhsa_kernarg_size 120
		.amdhsa_user_sgpr_count 6
		.amdhsa_user_sgpr_private_segment_buffer 1
		.amdhsa_user_sgpr_dispatch_ptr 0
		.amdhsa_user_sgpr_queue_ptr 0
		.amdhsa_user_sgpr_kernarg_segment_ptr 1
		.amdhsa_user_sgpr_dispatch_id 0
		.amdhsa_user_sgpr_flat_scratch_init 0
		.amdhsa_user_sgpr_kernarg_preload_length 0
		.amdhsa_user_sgpr_kernarg_preload_offset 0
		.amdhsa_user_sgpr_private_segment_size 0
		.amdhsa_uses_dynamic_stack 0
		.amdhsa_system_sgpr_private_segment_wavefront_offset 0
		.amdhsa_system_sgpr_workgroup_id_x 1
		.amdhsa_system_sgpr_workgroup_id_y 0
		.amdhsa_system_sgpr_workgroup_id_z 0
		.amdhsa_system_sgpr_workgroup_info 0
		.amdhsa_system_vgpr_workitem_id 0
		.amdhsa_next_free_vgpr 1
		.amdhsa_next_free_sgpr 0
		.amdhsa_accum_offset 4
		.amdhsa_reserve_vcc 0
		.amdhsa_reserve_flat_scratch 0
		.amdhsa_float_round_mode_32 0
		.amdhsa_float_round_mode_16_64 0
		.amdhsa_float_denorm_mode_32 3
		.amdhsa_float_denorm_mode_16_64 3
		.amdhsa_dx10_clamp 1
		.amdhsa_ieee_mode 1
		.amdhsa_fp16_overflow 0
		.amdhsa_tg_split 0
		.amdhsa_exception_fp_ieee_invalid_op 0
		.amdhsa_exception_fp_denorm_src 0
		.amdhsa_exception_fp_ieee_div_zero 0
		.amdhsa_exception_fp_ieee_overflow 0
		.amdhsa_exception_fp_ieee_underflow 0
		.amdhsa_exception_fp_ieee_inexact 0
		.amdhsa_exception_int_div_zero 0
	.end_amdhsa_kernel
	.section	.text._ZN7rocprim17ROCPRIM_400000_NS6detail17trampoline_kernelINS0_14default_configENS1_29reduce_by_key_config_selectorIssN6thrust23THRUST_200600_302600_NS4plusIsEEEEZZNS1_33reduce_by_key_impl_wrapped_configILNS1_25lookback_scan_determinismE0ES3_S9_NS6_6detail15normal_iteratorINS6_10device_ptrIsEEEESG_SG_SG_PmS8_22is_equal_div_10_reduceIsEEE10hipError_tPvRmT2_T3_mT4_T5_T6_T7_T8_P12ihipStream_tbENKUlT_T0_E_clISt17integral_constantIbLb0EES11_EEDaSW_SX_EUlSW_E_NS1_11comp_targetILNS1_3genE10ELNS1_11target_archE1200ELNS1_3gpuE4ELNS1_3repE0EEENS1_30default_config_static_selectorELNS0_4arch9wavefront6targetE1EEEvT1_,"axG",@progbits,_ZN7rocprim17ROCPRIM_400000_NS6detail17trampoline_kernelINS0_14default_configENS1_29reduce_by_key_config_selectorIssN6thrust23THRUST_200600_302600_NS4plusIsEEEEZZNS1_33reduce_by_key_impl_wrapped_configILNS1_25lookback_scan_determinismE0ES3_S9_NS6_6detail15normal_iteratorINS6_10device_ptrIsEEEESG_SG_SG_PmS8_22is_equal_div_10_reduceIsEEE10hipError_tPvRmT2_T3_mT4_T5_T6_T7_T8_P12ihipStream_tbENKUlT_T0_E_clISt17integral_constantIbLb0EES11_EEDaSW_SX_EUlSW_E_NS1_11comp_targetILNS1_3genE10ELNS1_11target_archE1200ELNS1_3gpuE4ELNS1_3repE0EEENS1_30default_config_static_selectorELNS0_4arch9wavefront6targetE1EEEvT1_,comdat
.Lfunc_end667:
	.size	_ZN7rocprim17ROCPRIM_400000_NS6detail17trampoline_kernelINS0_14default_configENS1_29reduce_by_key_config_selectorIssN6thrust23THRUST_200600_302600_NS4plusIsEEEEZZNS1_33reduce_by_key_impl_wrapped_configILNS1_25lookback_scan_determinismE0ES3_S9_NS6_6detail15normal_iteratorINS6_10device_ptrIsEEEESG_SG_SG_PmS8_22is_equal_div_10_reduceIsEEE10hipError_tPvRmT2_T3_mT4_T5_T6_T7_T8_P12ihipStream_tbENKUlT_T0_E_clISt17integral_constantIbLb0EES11_EEDaSW_SX_EUlSW_E_NS1_11comp_targetILNS1_3genE10ELNS1_11target_archE1200ELNS1_3gpuE4ELNS1_3repE0EEENS1_30default_config_static_selectorELNS0_4arch9wavefront6targetE1EEEvT1_, .Lfunc_end667-_ZN7rocprim17ROCPRIM_400000_NS6detail17trampoline_kernelINS0_14default_configENS1_29reduce_by_key_config_selectorIssN6thrust23THRUST_200600_302600_NS4plusIsEEEEZZNS1_33reduce_by_key_impl_wrapped_configILNS1_25lookback_scan_determinismE0ES3_S9_NS6_6detail15normal_iteratorINS6_10device_ptrIsEEEESG_SG_SG_PmS8_22is_equal_div_10_reduceIsEEE10hipError_tPvRmT2_T3_mT4_T5_T6_T7_T8_P12ihipStream_tbENKUlT_T0_E_clISt17integral_constantIbLb0EES11_EEDaSW_SX_EUlSW_E_NS1_11comp_targetILNS1_3genE10ELNS1_11target_archE1200ELNS1_3gpuE4ELNS1_3repE0EEENS1_30default_config_static_selectorELNS0_4arch9wavefront6targetE1EEEvT1_
                                        ; -- End function
	.section	.AMDGPU.csdata,"",@progbits
; Kernel info:
; codeLenInByte = 0
; NumSgprs: 4
; NumVgprs: 0
; NumAgprs: 0
; TotalNumVgprs: 0
; ScratchSize: 0
; MemoryBound: 0
; FloatMode: 240
; IeeeMode: 1
; LDSByteSize: 0 bytes/workgroup (compile time only)
; SGPRBlocks: 0
; VGPRBlocks: 0
; NumSGPRsForWavesPerEU: 4
; NumVGPRsForWavesPerEU: 1
; AccumOffset: 4
; Occupancy: 8
; WaveLimiterHint : 0
; COMPUTE_PGM_RSRC2:SCRATCH_EN: 0
; COMPUTE_PGM_RSRC2:USER_SGPR: 6
; COMPUTE_PGM_RSRC2:TRAP_HANDLER: 0
; COMPUTE_PGM_RSRC2:TGID_X_EN: 1
; COMPUTE_PGM_RSRC2:TGID_Y_EN: 0
; COMPUTE_PGM_RSRC2:TGID_Z_EN: 0
; COMPUTE_PGM_RSRC2:TIDIG_COMP_CNT: 0
; COMPUTE_PGM_RSRC3_GFX90A:ACCUM_OFFSET: 0
; COMPUTE_PGM_RSRC3_GFX90A:TG_SPLIT: 0
	.section	.text._ZN7rocprim17ROCPRIM_400000_NS6detail17trampoline_kernelINS0_14default_configENS1_29reduce_by_key_config_selectorIssN6thrust23THRUST_200600_302600_NS4plusIsEEEEZZNS1_33reduce_by_key_impl_wrapped_configILNS1_25lookback_scan_determinismE0ES3_S9_NS6_6detail15normal_iteratorINS6_10device_ptrIsEEEESG_SG_SG_PmS8_22is_equal_div_10_reduceIsEEE10hipError_tPvRmT2_T3_mT4_T5_T6_T7_T8_P12ihipStream_tbENKUlT_T0_E_clISt17integral_constantIbLb0EES11_EEDaSW_SX_EUlSW_E_NS1_11comp_targetILNS1_3genE9ELNS1_11target_archE1100ELNS1_3gpuE3ELNS1_3repE0EEENS1_30default_config_static_selectorELNS0_4arch9wavefront6targetE1EEEvT1_,"axG",@progbits,_ZN7rocprim17ROCPRIM_400000_NS6detail17trampoline_kernelINS0_14default_configENS1_29reduce_by_key_config_selectorIssN6thrust23THRUST_200600_302600_NS4plusIsEEEEZZNS1_33reduce_by_key_impl_wrapped_configILNS1_25lookback_scan_determinismE0ES3_S9_NS6_6detail15normal_iteratorINS6_10device_ptrIsEEEESG_SG_SG_PmS8_22is_equal_div_10_reduceIsEEE10hipError_tPvRmT2_T3_mT4_T5_T6_T7_T8_P12ihipStream_tbENKUlT_T0_E_clISt17integral_constantIbLb0EES11_EEDaSW_SX_EUlSW_E_NS1_11comp_targetILNS1_3genE9ELNS1_11target_archE1100ELNS1_3gpuE3ELNS1_3repE0EEENS1_30default_config_static_selectorELNS0_4arch9wavefront6targetE1EEEvT1_,comdat
	.protected	_ZN7rocprim17ROCPRIM_400000_NS6detail17trampoline_kernelINS0_14default_configENS1_29reduce_by_key_config_selectorIssN6thrust23THRUST_200600_302600_NS4plusIsEEEEZZNS1_33reduce_by_key_impl_wrapped_configILNS1_25lookback_scan_determinismE0ES3_S9_NS6_6detail15normal_iteratorINS6_10device_ptrIsEEEESG_SG_SG_PmS8_22is_equal_div_10_reduceIsEEE10hipError_tPvRmT2_T3_mT4_T5_T6_T7_T8_P12ihipStream_tbENKUlT_T0_E_clISt17integral_constantIbLb0EES11_EEDaSW_SX_EUlSW_E_NS1_11comp_targetILNS1_3genE9ELNS1_11target_archE1100ELNS1_3gpuE3ELNS1_3repE0EEENS1_30default_config_static_selectorELNS0_4arch9wavefront6targetE1EEEvT1_ ; -- Begin function _ZN7rocprim17ROCPRIM_400000_NS6detail17trampoline_kernelINS0_14default_configENS1_29reduce_by_key_config_selectorIssN6thrust23THRUST_200600_302600_NS4plusIsEEEEZZNS1_33reduce_by_key_impl_wrapped_configILNS1_25lookback_scan_determinismE0ES3_S9_NS6_6detail15normal_iteratorINS6_10device_ptrIsEEEESG_SG_SG_PmS8_22is_equal_div_10_reduceIsEEE10hipError_tPvRmT2_T3_mT4_T5_T6_T7_T8_P12ihipStream_tbENKUlT_T0_E_clISt17integral_constantIbLb0EES11_EEDaSW_SX_EUlSW_E_NS1_11comp_targetILNS1_3genE9ELNS1_11target_archE1100ELNS1_3gpuE3ELNS1_3repE0EEENS1_30default_config_static_selectorELNS0_4arch9wavefront6targetE1EEEvT1_
	.globl	_ZN7rocprim17ROCPRIM_400000_NS6detail17trampoline_kernelINS0_14default_configENS1_29reduce_by_key_config_selectorIssN6thrust23THRUST_200600_302600_NS4plusIsEEEEZZNS1_33reduce_by_key_impl_wrapped_configILNS1_25lookback_scan_determinismE0ES3_S9_NS6_6detail15normal_iteratorINS6_10device_ptrIsEEEESG_SG_SG_PmS8_22is_equal_div_10_reduceIsEEE10hipError_tPvRmT2_T3_mT4_T5_T6_T7_T8_P12ihipStream_tbENKUlT_T0_E_clISt17integral_constantIbLb0EES11_EEDaSW_SX_EUlSW_E_NS1_11comp_targetILNS1_3genE9ELNS1_11target_archE1100ELNS1_3gpuE3ELNS1_3repE0EEENS1_30default_config_static_selectorELNS0_4arch9wavefront6targetE1EEEvT1_
	.p2align	8
	.type	_ZN7rocprim17ROCPRIM_400000_NS6detail17trampoline_kernelINS0_14default_configENS1_29reduce_by_key_config_selectorIssN6thrust23THRUST_200600_302600_NS4plusIsEEEEZZNS1_33reduce_by_key_impl_wrapped_configILNS1_25lookback_scan_determinismE0ES3_S9_NS6_6detail15normal_iteratorINS6_10device_ptrIsEEEESG_SG_SG_PmS8_22is_equal_div_10_reduceIsEEE10hipError_tPvRmT2_T3_mT4_T5_T6_T7_T8_P12ihipStream_tbENKUlT_T0_E_clISt17integral_constantIbLb0EES11_EEDaSW_SX_EUlSW_E_NS1_11comp_targetILNS1_3genE9ELNS1_11target_archE1100ELNS1_3gpuE3ELNS1_3repE0EEENS1_30default_config_static_selectorELNS0_4arch9wavefront6targetE1EEEvT1_,@function
_ZN7rocprim17ROCPRIM_400000_NS6detail17trampoline_kernelINS0_14default_configENS1_29reduce_by_key_config_selectorIssN6thrust23THRUST_200600_302600_NS4plusIsEEEEZZNS1_33reduce_by_key_impl_wrapped_configILNS1_25lookback_scan_determinismE0ES3_S9_NS6_6detail15normal_iteratorINS6_10device_ptrIsEEEESG_SG_SG_PmS8_22is_equal_div_10_reduceIsEEE10hipError_tPvRmT2_T3_mT4_T5_T6_T7_T8_P12ihipStream_tbENKUlT_T0_E_clISt17integral_constantIbLb0EES11_EEDaSW_SX_EUlSW_E_NS1_11comp_targetILNS1_3genE9ELNS1_11target_archE1100ELNS1_3gpuE3ELNS1_3repE0EEENS1_30default_config_static_selectorELNS0_4arch9wavefront6targetE1EEEvT1_: ; @_ZN7rocprim17ROCPRIM_400000_NS6detail17trampoline_kernelINS0_14default_configENS1_29reduce_by_key_config_selectorIssN6thrust23THRUST_200600_302600_NS4plusIsEEEEZZNS1_33reduce_by_key_impl_wrapped_configILNS1_25lookback_scan_determinismE0ES3_S9_NS6_6detail15normal_iteratorINS6_10device_ptrIsEEEESG_SG_SG_PmS8_22is_equal_div_10_reduceIsEEE10hipError_tPvRmT2_T3_mT4_T5_T6_T7_T8_P12ihipStream_tbENKUlT_T0_E_clISt17integral_constantIbLb0EES11_EEDaSW_SX_EUlSW_E_NS1_11comp_targetILNS1_3genE9ELNS1_11target_archE1100ELNS1_3gpuE3ELNS1_3repE0EEENS1_30default_config_static_selectorELNS0_4arch9wavefront6targetE1EEEvT1_
; %bb.0:
	.section	.rodata,"a",@progbits
	.p2align	6, 0x0
	.amdhsa_kernel _ZN7rocprim17ROCPRIM_400000_NS6detail17trampoline_kernelINS0_14default_configENS1_29reduce_by_key_config_selectorIssN6thrust23THRUST_200600_302600_NS4plusIsEEEEZZNS1_33reduce_by_key_impl_wrapped_configILNS1_25lookback_scan_determinismE0ES3_S9_NS6_6detail15normal_iteratorINS6_10device_ptrIsEEEESG_SG_SG_PmS8_22is_equal_div_10_reduceIsEEE10hipError_tPvRmT2_T3_mT4_T5_T6_T7_T8_P12ihipStream_tbENKUlT_T0_E_clISt17integral_constantIbLb0EES11_EEDaSW_SX_EUlSW_E_NS1_11comp_targetILNS1_3genE9ELNS1_11target_archE1100ELNS1_3gpuE3ELNS1_3repE0EEENS1_30default_config_static_selectorELNS0_4arch9wavefront6targetE1EEEvT1_
		.amdhsa_group_segment_fixed_size 0
		.amdhsa_private_segment_fixed_size 0
		.amdhsa_kernarg_size 120
		.amdhsa_user_sgpr_count 6
		.amdhsa_user_sgpr_private_segment_buffer 1
		.amdhsa_user_sgpr_dispatch_ptr 0
		.amdhsa_user_sgpr_queue_ptr 0
		.amdhsa_user_sgpr_kernarg_segment_ptr 1
		.amdhsa_user_sgpr_dispatch_id 0
		.amdhsa_user_sgpr_flat_scratch_init 0
		.amdhsa_user_sgpr_kernarg_preload_length 0
		.amdhsa_user_sgpr_kernarg_preload_offset 0
		.amdhsa_user_sgpr_private_segment_size 0
		.amdhsa_uses_dynamic_stack 0
		.amdhsa_system_sgpr_private_segment_wavefront_offset 0
		.amdhsa_system_sgpr_workgroup_id_x 1
		.amdhsa_system_sgpr_workgroup_id_y 0
		.amdhsa_system_sgpr_workgroup_id_z 0
		.amdhsa_system_sgpr_workgroup_info 0
		.amdhsa_system_vgpr_workitem_id 0
		.amdhsa_next_free_vgpr 1
		.amdhsa_next_free_sgpr 0
		.amdhsa_accum_offset 4
		.amdhsa_reserve_vcc 0
		.amdhsa_reserve_flat_scratch 0
		.amdhsa_float_round_mode_32 0
		.amdhsa_float_round_mode_16_64 0
		.amdhsa_float_denorm_mode_32 3
		.amdhsa_float_denorm_mode_16_64 3
		.amdhsa_dx10_clamp 1
		.amdhsa_ieee_mode 1
		.amdhsa_fp16_overflow 0
		.amdhsa_tg_split 0
		.amdhsa_exception_fp_ieee_invalid_op 0
		.amdhsa_exception_fp_denorm_src 0
		.amdhsa_exception_fp_ieee_div_zero 0
		.amdhsa_exception_fp_ieee_overflow 0
		.amdhsa_exception_fp_ieee_underflow 0
		.amdhsa_exception_fp_ieee_inexact 0
		.amdhsa_exception_int_div_zero 0
	.end_amdhsa_kernel
	.section	.text._ZN7rocprim17ROCPRIM_400000_NS6detail17trampoline_kernelINS0_14default_configENS1_29reduce_by_key_config_selectorIssN6thrust23THRUST_200600_302600_NS4plusIsEEEEZZNS1_33reduce_by_key_impl_wrapped_configILNS1_25lookback_scan_determinismE0ES3_S9_NS6_6detail15normal_iteratorINS6_10device_ptrIsEEEESG_SG_SG_PmS8_22is_equal_div_10_reduceIsEEE10hipError_tPvRmT2_T3_mT4_T5_T6_T7_T8_P12ihipStream_tbENKUlT_T0_E_clISt17integral_constantIbLb0EES11_EEDaSW_SX_EUlSW_E_NS1_11comp_targetILNS1_3genE9ELNS1_11target_archE1100ELNS1_3gpuE3ELNS1_3repE0EEENS1_30default_config_static_selectorELNS0_4arch9wavefront6targetE1EEEvT1_,"axG",@progbits,_ZN7rocprim17ROCPRIM_400000_NS6detail17trampoline_kernelINS0_14default_configENS1_29reduce_by_key_config_selectorIssN6thrust23THRUST_200600_302600_NS4plusIsEEEEZZNS1_33reduce_by_key_impl_wrapped_configILNS1_25lookback_scan_determinismE0ES3_S9_NS6_6detail15normal_iteratorINS6_10device_ptrIsEEEESG_SG_SG_PmS8_22is_equal_div_10_reduceIsEEE10hipError_tPvRmT2_T3_mT4_T5_T6_T7_T8_P12ihipStream_tbENKUlT_T0_E_clISt17integral_constantIbLb0EES11_EEDaSW_SX_EUlSW_E_NS1_11comp_targetILNS1_3genE9ELNS1_11target_archE1100ELNS1_3gpuE3ELNS1_3repE0EEENS1_30default_config_static_selectorELNS0_4arch9wavefront6targetE1EEEvT1_,comdat
.Lfunc_end668:
	.size	_ZN7rocprim17ROCPRIM_400000_NS6detail17trampoline_kernelINS0_14default_configENS1_29reduce_by_key_config_selectorIssN6thrust23THRUST_200600_302600_NS4plusIsEEEEZZNS1_33reduce_by_key_impl_wrapped_configILNS1_25lookback_scan_determinismE0ES3_S9_NS6_6detail15normal_iteratorINS6_10device_ptrIsEEEESG_SG_SG_PmS8_22is_equal_div_10_reduceIsEEE10hipError_tPvRmT2_T3_mT4_T5_T6_T7_T8_P12ihipStream_tbENKUlT_T0_E_clISt17integral_constantIbLb0EES11_EEDaSW_SX_EUlSW_E_NS1_11comp_targetILNS1_3genE9ELNS1_11target_archE1100ELNS1_3gpuE3ELNS1_3repE0EEENS1_30default_config_static_selectorELNS0_4arch9wavefront6targetE1EEEvT1_, .Lfunc_end668-_ZN7rocprim17ROCPRIM_400000_NS6detail17trampoline_kernelINS0_14default_configENS1_29reduce_by_key_config_selectorIssN6thrust23THRUST_200600_302600_NS4plusIsEEEEZZNS1_33reduce_by_key_impl_wrapped_configILNS1_25lookback_scan_determinismE0ES3_S9_NS6_6detail15normal_iteratorINS6_10device_ptrIsEEEESG_SG_SG_PmS8_22is_equal_div_10_reduceIsEEE10hipError_tPvRmT2_T3_mT4_T5_T6_T7_T8_P12ihipStream_tbENKUlT_T0_E_clISt17integral_constantIbLb0EES11_EEDaSW_SX_EUlSW_E_NS1_11comp_targetILNS1_3genE9ELNS1_11target_archE1100ELNS1_3gpuE3ELNS1_3repE0EEENS1_30default_config_static_selectorELNS0_4arch9wavefront6targetE1EEEvT1_
                                        ; -- End function
	.section	.AMDGPU.csdata,"",@progbits
; Kernel info:
; codeLenInByte = 0
; NumSgprs: 4
; NumVgprs: 0
; NumAgprs: 0
; TotalNumVgprs: 0
; ScratchSize: 0
; MemoryBound: 0
; FloatMode: 240
; IeeeMode: 1
; LDSByteSize: 0 bytes/workgroup (compile time only)
; SGPRBlocks: 0
; VGPRBlocks: 0
; NumSGPRsForWavesPerEU: 4
; NumVGPRsForWavesPerEU: 1
; AccumOffset: 4
; Occupancy: 8
; WaveLimiterHint : 0
; COMPUTE_PGM_RSRC2:SCRATCH_EN: 0
; COMPUTE_PGM_RSRC2:USER_SGPR: 6
; COMPUTE_PGM_RSRC2:TRAP_HANDLER: 0
; COMPUTE_PGM_RSRC2:TGID_X_EN: 1
; COMPUTE_PGM_RSRC2:TGID_Y_EN: 0
; COMPUTE_PGM_RSRC2:TGID_Z_EN: 0
; COMPUTE_PGM_RSRC2:TIDIG_COMP_CNT: 0
; COMPUTE_PGM_RSRC3_GFX90A:ACCUM_OFFSET: 0
; COMPUTE_PGM_RSRC3_GFX90A:TG_SPLIT: 0
	.section	.text._ZN7rocprim17ROCPRIM_400000_NS6detail17trampoline_kernelINS0_14default_configENS1_29reduce_by_key_config_selectorIssN6thrust23THRUST_200600_302600_NS4plusIsEEEEZZNS1_33reduce_by_key_impl_wrapped_configILNS1_25lookback_scan_determinismE0ES3_S9_NS6_6detail15normal_iteratorINS6_10device_ptrIsEEEESG_SG_SG_PmS8_22is_equal_div_10_reduceIsEEE10hipError_tPvRmT2_T3_mT4_T5_T6_T7_T8_P12ihipStream_tbENKUlT_T0_E_clISt17integral_constantIbLb0EES11_EEDaSW_SX_EUlSW_E_NS1_11comp_targetILNS1_3genE8ELNS1_11target_archE1030ELNS1_3gpuE2ELNS1_3repE0EEENS1_30default_config_static_selectorELNS0_4arch9wavefront6targetE1EEEvT1_,"axG",@progbits,_ZN7rocprim17ROCPRIM_400000_NS6detail17trampoline_kernelINS0_14default_configENS1_29reduce_by_key_config_selectorIssN6thrust23THRUST_200600_302600_NS4plusIsEEEEZZNS1_33reduce_by_key_impl_wrapped_configILNS1_25lookback_scan_determinismE0ES3_S9_NS6_6detail15normal_iteratorINS6_10device_ptrIsEEEESG_SG_SG_PmS8_22is_equal_div_10_reduceIsEEE10hipError_tPvRmT2_T3_mT4_T5_T6_T7_T8_P12ihipStream_tbENKUlT_T0_E_clISt17integral_constantIbLb0EES11_EEDaSW_SX_EUlSW_E_NS1_11comp_targetILNS1_3genE8ELNS1_11target_archE1030ELNS1_3gpuE2ELNS1_3repE0EEENS1_30default_config_static_selectorELNS0_4arch9wavefront6targetE1EEEvT1_,comdat
	.protected	_ZN7rocprim17ROCPRIM_400000_NS6detail17trampoline_kernelINS0_14default_configENS1_29reduce_by_key_config_selectorIssN6thrust23THRUST_200600_302600_NS4plusIsEEEEZZNS1_33reduce_by_key_impl_wrapped_configILNS1_25lookback_scan_determinismE0ES3_S9_NS6_6detail15normal_iteratorINS6_10device_ptrIsEEEESG_SG_SG_PmS8_22is_equal_div_10_reduceIsEEE10hipError_tPvRmT2_T3_mT4_T5_T6_T7_T8_P12ihipStream_tbENKUlT_T0_E_clISt17integral_constantIbLb0EES11_EEDaSW_SX_EUlSW_E_NS1_11comp_targetILNS1_3genE8ELNS1_11target_archE1030ELNS1_3gpuE2ELNS1_3repE0EEENS1_30default_config_static_selectorELNS0_4arch9wavefront6targetE1EEEvT1_ ; -- Begin function _ZN7rocprim17ROCPRIM_400000_NS6detail17trampoline_kernelINS0_14default_configENS1_29reduce_by_key_config_selectorIssN6thrust23THRUST_200600_302600_NS4plusIsEEEEZZNS1_33reduce_by_key_impl_wrapped_configILNS1_25lookback_scan_determinismE0ES3_S9_NS6_6detail15normal_iteratorINS6_10device_ptrIsEEEESG_SG_SG_PmS8_22is_equal_div_10_reduceIsEEE10hipError_tPvRmT2_T3_mT4_T5_T6_T7_T8_P12ihipStream_tbENKUlT_T0_E_clISt17integral_constantIbLb0EES11_EEDaSW_SX_EUlSW_E_NS1_11comp_targetILNS1_3genE8ELNS1_11target_archE1030ELNS1_3gpuE2ELNS1_3repE0EEENS1_30default_config_static_selectorELNS0_4arch9wavefront6targetE1EEEvT1_
	.globl	_ZN7rocprim17ROCPRIM_400000_NS6detail17trampoline_kernelINS0_14default_configENS1_29reduce_by_key_config_selectorIssN6thrust23THRUST_200600_302600_NS4plusIsEEEEZZNS1_33reduce_by_key_impl_wrapped_configILNS1_25lookback_scan_determinismE0ES3_S9_NS6_6detail15normal_iteratorINS6_10device_ptrIsEEEESG_SG_SG_PmS8_22is_equal_div_10_reduceIsEEE10hipError_tPvRmT2_T3_mT4_T5_T6_T7_T8_P12ihipStream_tbENKUlT_T0_E_clISt17integral_constantIbLb0EES11_EEDaSW_SX_EUlSW_E_NS1_11comp_targetILNS1_3genE8ELNS1_11target_archE1030ELNS1_3gpuE2ELNS1_3repE0EEENS1_30default_config_static_selectorELNS0_4arch9wavefront6targetE1EEEvT1_
	.p2align	8
	.type	_ZN7rocprim17ROCPRIM_400000_NS6detail17trampoline_kernelINS0_14default_configENS1_29reduce_by_key_config_selectorIssN6thrust23THRUST_200600_302600_NS4plusIsEEEEZZNS1_33reduce_by_key_impl_wrapped_configILNS1_25lookback_scan_determinismE0ES3_S9_NS6_6detail15normal_iteratorINS6_10device_ptrIsEEEESG_SG_SG_PmS8_22is_equal_div_10_reduceIsEEE10hipError_tPvRmT2_T3_mT4_T5_T6_T7_T8_P12ihipStream_tbENKUlT_T0_E_clISt17integral_constantIbLb0EES11_EEDaSW_SX_EUlSW_E_NS1_11comp_targetILNS1_3genE8ELNS1_11target_archE1030ELNS1_3gpuE2ELNS1_3repE0EEENS1_30default_config_static_selectorELNS0_4arch9wavefront6targetE1EEEvT1_,@function
_ZN7rocprim17ROCPRIM_400000_NS6detail17trampoline_kernelINS0_14default_configENS1_29reduce_by_key_config_selectorIssN6thrust23THRUST_200600_302600_NS4plusIsEEEEZZNS1_33reduce_by_key_impl_wrapped_configILNS1_25lookback_scan_determinismE0ES3_S9_NS6_6detail15normal_iteratorINS6_10device_ptrIsEEEESG_SG_SG_PmS8_22is_equal_div_10_reduceIsEEE10hipError_tPvRmT2_T3_mT4_T5_T6_T7_T8_P12ihipStream_tbENKUlT_T0_E_clISt17integral_constantIbLb0EES11_EEDaSW_SX_EUlSW_E_NS1_11comp_targetILNS1_3genE8ELNS1_11target_archE1030ELNS1_3gpuE2ELNS1_3repE0EEENS1_30default_config_static_selectorELNS0_4arch9wavefront6targetE1EEEvT1_: ; @_ZN7rocprim17ROCPRIM_400000_NS6detail17trampoline_kernelINS0_14default_configENS1_29reduce_by_key_config_selectorIssN6thrust23THRUST_200600_302600_NS4plusIsEEEEZZNS1_33reduce_by_key_impl_wrapped_configILNS1_25lookback_scan_determinismE0ES3_S9_NS6_6detail15normal_iteratorINS6_10device_ptrIsEEEESG_SG_SG_PmS8_22is_equal_div_10_reduceIsEEE10hipError_tPvRmT2_T3_mT4_T5_T6_T7_T8_P12ihipStream_tbENKUlT_T0_E_clISt17integral_constantIbLb0EES11_EEDaSW_SX_EUlSW_E_NS1_11comp_targetILNS1_3genE8ELNS1_11target_archE1030ELNS1_3gpuE2ELNS1_3repE0EEENS1_30default_config_static_selectorELNS0_4arch9wavefront6targetE1EEEvT1_
; %bb.0:
	.section	.rodata,"a",@progbits
	.p2align	6, 0x0
	.amdhsa_kernel _ZN7rocprim17ROCPRIM_400000_NS6detail17trampoline_kernelINS0_14default_configENS1_29reduce_by_key_config_selectorIssN6thrust23THRUST_200600_302600_NS4plusIsEEEEZZNS1_33reduce_by_key_impl_wrapped_configILNS1_25lookback_scan_determinismE0ES3_S9_NS6_6detail15normal_iteratorINS6_10device_ptrIsEEEESG_SG_SG_PmS8_22is_equal_div_10_reduceIsEEE10hipError_tPvRmT2_T3_mT4_T5_T6_T7_T8_P12ihipStream_tbENKUlT_T0_E_clISt17integral_constantIbLb0EES11_EEDaSW_SX_EUlSW_E_NS1_11comp_targetILNS1_3genE8ELNS1_11target_archE1030ELNS1_3gpuE2ELNS1_3repE0EEENS1_30default_config_static_selectorELNS0_4arch9wavefront6targetE1EEEvT1_
		.amdhsa_group_segment_fixed_size 0
		.amdhsa_private_segment_fixed_size 0
		.amdhsa_kernarg_size 120
		.amdhsa_user_sgpr_count 6
		.amdhsa_user_sgpr_private_segment_buffer 1
		.amdhsa_user_sgpr_dispatch_ptr 0
		.amdhsa_user_sgpr_queue_ptr 0
		.amdhsa_user_sgpr_kernarg_segment_ptr 1
		.amdhsa_user_sgpr_dispatch_id 0
		.amdhsa_user_sgpr_flat_scratch_init 0
		.amdhsa_user_sgpr_kernarg_preload_length 0
		.amdhsa_user_sgpr_kernarg_preload_offset 0
		.amdhsa_user_sgpr_private_segment_size 0
		.amdhsa_uses_dynamic_stack 0
		.amdhsa_system_sgpr_private_segment_wavefront_offset 0
		.amdhsa_system_sgpr_workgroup_id_x 1
		.amdhsa_system_sgpr_workgroup_id_y 0
		.amdhsa_system_sgpr_workgroup_id_z 0
		.amdhsa_system_sgpr_workgroup_info 0
		.amdhsa_system_vgpr_workitem_id 0
		.amdhsa_next_free_vgpr 1
		.amdhsa_next_free_sgpr 0
		.amdhsa_accum_offset 4
		.amdhsa_reserve_vcc 0
		.amdhsa_reserve_flat_scratch 0
		.amdhsa_float_round_mode_32 0
		.amdhsa_float_round_mode_16_64 0
		.amdhsa_float_denorm_mode_32 3
		.amdhsa_float_denorm_mode_16_64 3
		.amdhsa_dx10_clamp 1
		.amdhsa_ieee_mode 1
		.amdhsa_fp16_overflow 0
		.amdhsa_tg_split 0
		.amdhsa_exception_fp_ieee_invalid_op 0
		.amdhsa_exception_fp_denorm_src 0
		.amdhsa_exception_fp_ieee_div_zero 0
		.amdhsa_exception_fp_ieee_overflow 0
		.amdhsa_exception_fp_ieee_underflow 0
		.amdhsa_exception_fp_ieee_inexact 0
		.amdhsa_exception_int_div_zero 0
	.end_amdhsa_kernel
	.section	.text._ZN7rocprim17ROCPRIM_400000_NS6detail17trampoline_kernelINS0_14default_configENS1_29reduce_by_key_config_selectorIssN6thrust23THRUST_200600_302600_NS4plusIsEEEEZZNS1_33reduce_by_key_impl_wrapped_configILNS1_25lookback_scan_determinismE0ES3_S9_NS6_6detail15normal_iteratorINS6_10device_ptrIsEEEESG_SG_SG_PmS8_22is_equal_div_10_reduceIsEEE10hipError_tPvRmT2_T3_mT4_T5_T6_T7_T8_P12ihipStream_tbENKUlT_T0_E_clISt17integral_constantIbLb0EES11_EEDaSW_SX_EUlSW_E_NS1_11comp_targetILNS1_3genE8ELNS1_11target_archE1030ELNS1_3gpuE2ELNS1_3repE0EEENS1_30default_config_static_selectorELNS0_4arch9wavefront6targetE1EEEvT1_,"axG",@progbits,_ZN7rocprim17ROCPRIM_400000_NS6detail17trampoline_kernelINS0_14default_configENS1_29reduce_by_key_config_selectorIssN6thrust23THRUST_200600_302600_NS4plusIsEEEEZZNS1_33reduce_by_key_impl_wrapped_configILNS1_25lookback_scan_determinismE0ES3_S9_NS6_6detail15normal_iteratorINS6_10device_ptrIsEEEESG_SG_SG_PmS8_22is_equal_div_10_reduceIsEEE10hipError_tPvRmT2_T3_mT4_T5_T6_T7_T8_P12ihipStream_tbENKUlT_T0_E_clISt17integral_constantIbLb0EES11_EEDaSW_SX_EUlSW_E_NS1_11comp_targetILNS1_3genE8ELNS1_11target_archE1030ELNS1_3gpuE2ELNS1_3repE0EEENS1_30default_config_static_selectorELNS0_4arch9wavefront6targetE1EEEvT1_,comdat
.Lfunc_end669:
	.size	_ZN7rocprim17ROCPRIM_400000_NS6detail17trampoline_kernelINS0_14default_configENS1_29reduce_by_key_config_selectorIssN6thrust23THRUST_200600_302600_NS4plusIsEEEEZZNS1_33reduce_by_key_impl_wrapped_configILNS1_25lookback_scan_determinismE0ES3_S9_NS6_6detail15normal_iteratorINS6_10device_ptrIsEEEESG_SG_SG_PmS8_22is_equal_div_10_reduceIsEEE10hipError_tPvRmT2_T3_mT4_T5_T6_T7_T8_P12ihipStream_tbENKUlT_T0_E_clISt17integral_constantIbLb0EES11_EEDaSW_SX_EUlSW_E_NS1_11comp_targetILNS1_3genE8ELNS1_11target_archE1030ELNS1_3gpuE2ELNS1_3repE0EEENS1_30default_config_static_selectorELNS0_4arch9wavefront6targetE1EEEvT1_, .Lfunc_end669-_ZN7rocprim17ROCPRIM_400000_NS6detail17trampoline_kernelINS0_14default_configENS1_29reduce_by_key_config_selectorIssN6thrust23THRUST_200600_302600_NS4plusIsEEEEZZNS1_33reduce_by_key_impl_wrapped_configILNS1_25lookback_scan_determinismE0ES3_S9_NS6_6detail15normal_iteratorINS6_10device_ptrIsEEEESG_SG_SG_PmS8_22is_equal_div_10_reduceIsEEE10hipError_tPvRmT2_T3_mT4_T5_T6_T7_T8_P12ihipStream_tbENKUlT_T0_E_clISt17integral_constantIbLb0EES11_EEDaSW_SX_EUlSW_E_NS1_11comp_targetILNS1_3genE8ELNS1_11target_archE1030ELNS1_3gpuE2ELNS1_3repE0EEENS1_30default_config_static_selectorELNS0_4arch9wavefront6targetE1EEEvT1_
                                        ; -- End function
	.section	.AMDGPU.csdata,"",@progbits
; Kernel info:
; codeLenInByte = 0
; NumSgprs: 4
; NumVgprs: 0
; NumAgprs: 0
; TotalNumVgprs: 0
; ScratchSize: 0
; MemoryBound: 0
; FloatMode: 240
; IeeeMode: 1
; LDSByteSize: 0 bytes/workgroup (compile time only)
; SGPRBlocks: 0
; VGPRBlocks: 0
; NumSGPRsForWavesPerEU: 4
; NumVGPRsForWavesPerEU: 1
; AccumOffset: 4
; Occupancy: 8
; WaveLimiterHint : 0
; COMPUTE_PGM_RSRC2:SCRATCH_EN: 0
; COMPUTE_PGM_RSRC2:USER_SGPR: 6
; COMPUTE_PGM_RSRC2:TRAP_HANDLER: 0
; COMPUTE_PGM_RSRC2:TGID_X_EN: 1
; COMPUTE_PGM_RSRC2:TGID_Y_EN: 0
; COMPUTE_PGM_RSRC2:TGID_Z_EN: 0
; COMPUTE_PGM_RSRC2:TIDIG_COMP_CNT: 0
; COMPUTE_PGM_RSRC3_GFX90A:ACCUM_OFFSET: 0
; COMPUTE_PGM_RSRC3_GFX90A:TG_SPLIT: 0
	.section	.text._ZN7rocprim17ROCPRIM_400000_NS6detail17trampoline_kernelINS0_14default_configENS1_29reduce_by_key_config_selectorIssN6thrust23THRUST_200600_302600_NS4plusIsEEEEZZNS1_33reduce_by_key_impl_wrapped_configILNS1_25lookback_scan_determinismE0ES3_S9_NS6_6detail15normal_iteratorINS6_10device_ptrIsEEEESG_SG_SG_PmS8_22is_equal_div_10_reduceIsEEE10hipError_tPvRmT2_T3_mT4_T5_T6_T7_T8_P12ihipStream_tbENKUlT_T0_E_clISt17integral_constantIbLb1EES11_EEDaSW_SX_EUlSW_E_NS1_11comp_targetILNS1_3genE0ELNS1_11target_archE4294967295ELNS1_3gpuE0ELNS1_3repE0EEENS1_30default_config_static_selectorELNS0_4arch9wavefront6targetE1EEEvT1_,"axG",@progbits,_ZN7rocprim17ROCPRIM_400000_NS6detail17trampoline_kernelINS0_14default_configENS1_29reduce_by_key_config_selectorIssN6thrust23THRUST_200600_302600_NS4plusIsEEEEZZNS1_33reduce_by_key_impl_wrapped_configILNS1_25lookback_scan_determinismE0ES3_S9_NS6_6detail15normal_iteratorINS6_10device_ptrIsEEEESG_SG_SG_PmS8_22is_equal_div_10_reduceIsEEE10hipError_tPvRmT2_T3_mT4_T5_T6_T7_T8_P12ihipStream_tbENKUlT_T0_E_clISt17integral_constantIbLb1EES11_EEDaSW_SX_EUlSW_E_NS1_11comp_targetILNS1_3genE0ELNS1_11target_archE4294967295ELNS1_3gpuE0ELNS1_3repE0EEENS1_30default_config_static_selectorELNS0_4arch9wavefront6targetE1EEEvT1_,comdat
	.protected	_ZN7rocprim17ROCPRIM_400000_NS6detail17trampoline_kernelINS0_14default_configENS1_29reduce_by_key_config_selectorIssN6thrust23THRUST_200600_302600_NS4plusIsEEEEZZNS1_33reduce_by_key_impl_wrapped_configILNS1_25lookback_scan_determinismE0ES3_S9_NS6_6detail15normal_iteratorINS6_10device_ptrIsEEEESG_SG_SG_PmS8_22is_equal_div_10_reduceIsEEE10hipError_tPvRmT2_T3_mT4_T5_T6_T7_T8_P12ihipStream_tbENKUlT_T0_E_clISt17integral_constantIbLb1EES11_EEDaSW_SX_EUlSW_E_NS1_11comp_targetILNS1_3genE0ELNS1_11target_archE4294967295ELNS1_3gpuE0ELNS1_3repE0EEENS1_30default_config_static_selectorELNS0_4arch9wavefront6targetE1EEEvT1_ ; -- Begin function _ZN7rocprim17ROCPRIM_400000_NS6detail17trampoline_kernelINS0_14default_configENS1_29reduce_by_key_config_selectorIssN6thrust23THRUST_200600_302600_NS4plusIsEEEEZZNS1_33reduce_by_key_impl_wrapped_configILNS1_25lookback_scan_determinismE0ES3_S9_NS6_6detail15normal_iteratorINS6_10device_ptrIsEEEESG_SG_SG_PmS8_22is_equal_div_10_reduceIsEEE10hipError_tPvRmT2_T3_mT4_T5_T6_T7_T8_P12ihipStream_tbENKUlT_T0_E_clISt17integral_constantIbLb1EES11_EEDaSW_SX_EUlSW_E_NS1_11comp_targetILNS1_3genE0ELNS1_11target_archE4294967295ELNS1_3gpuE0ELNS1_3repE0EEENS1_30default_config_static_selectorELNS0_4arch9wavefront6targetE1EEEvT1_
	.globl	_ZN7rocprim17ROCPRIM_400000_NS6detail17trampoline_kernelINS0_14default_configENS1_29reduce_by_key_config_selectorIssN6thrust23THRUST_200600_302600_NS4plusIsEEEEZZNS1_33reduce_by_key_impl_wrapped_configILNS1_25lookback_scan_determinismE0ES3_S9_NS6_6detail15normal_iteratorINS6_10device_ptrIsEEEESG_SG_SG_PmS8_22is_equal_div_10_reduceIsEEE10hipError_tPvRmT2_T3_mT4_T5_T6_T7_T8_P12ihipStream_tbENKUlT_T0_E_clISt17integral_constantIbLb1EES11_EEDaSW_SX_EUlSW_E_NS1_11comp_targetILNS1_3genE0ELNS1_11target_archE4294967295ELNS1_3gpuE0ELNS1_3repE0EEENS1_30default_config_static_selectorELNS0_4arch9wavefront6targetE1EEEvT1_
	.p2align	8
	.type	_ZN7rocprim17ROCPRIM_400000_NS6detail17trampoline_kernelINS0_14default_configENS1_29reduce_by_key_config_selectorIssN6thrust23THRUST_200600_302600_NS4plusIsEEEEZZNS1_33reduce_by_key_impl_wrapped_configILNS1_25lookback_scan_determinismE0ES3_S9_NS6_6detail15normal_iteratorINS6_10device_ptrIsEEEESG_SG_SG_PmS8_22is_equal_div_10_reduceIsEEE10hipError_tPvRmT2_T3_mT4_T5_T6_T7_T8_P12ihipStream_tbENKUlT_T0_E_clISt17integral_constantIbLb1EES11_EEDaSW_SX_EUlSW_E_NS1_11comp_targetILNS1_3genE0ELNS1_11target_archE4294967295ELNS1_3gpuE0ELNS1_3repE0EEENS1_30default_config_static_selectorELNS0_4arch9wavefront6targetE1EEEvT1_,@function
_ZN7rocprim17ROCPRIM_400000_NS6detail17trampoline_kernelINS0_14default_configENS1_29reduce_by_key_config_selectorIssN6thrust23THRUST_200600_302600_NS4plusIsEEEEZZNS1_33reduce_by_key_impl_wrapped_configILNS1_25lookback_scan_determinismE0ES3_S9_NS6_6detail15normal_iteratorINS6_10device_ptrIsEEEESG_SG_SG_PmS8_22is_equal_div_10_reduceIsEEE10hipError_tPvRmT2_T3_mT4_T5_T6_T7_T8_P12ihipStream_tbENKUlT_T0_E_clISt17integral_constantIbLb1EES11_EEDaSW_SX_EUlSW_E_NS1_11comp_targetILNS1_3genE0ELNS1_11target_archE4294967295ELNS1_3gpuE0ELNS1_3repE0EEENS1_30default_config_static_selectorELNS0_4arch9wavefront6targetE1EEEvT1_: ; @_ZN7rocprim17ROCPRIM_400000_NS6detail17trampoline_kernelINS0_14default_configENS1_29reduce_by_key_config_selectorIssN6thrust23THRUST_200600_302600_NS4plusIsEEEEZZNS1_33reduce_by_key_impl_wrapped_configILNS1_25lookback_scan_determinismE0ES3_S9_NS6_6detail15normal_iteratorINS6_10device_ptrIsEEEESG_SG_SG_PmS8_22is_equal_div_10_reduceIsEEE10hipError_tPvRmT2_T3_mT4_T5_T6_T7_T8_P12ihipStream_tbENKUlT_T0_E_clISt17integral_constantIbLb1EES11_EEDaSW_SX_EUlSW_E_NS1_11comp_targetILNS1_3genE0ELNS1_11target_archE4294967295ELNS1_3gpuE0ELNS1_3repE0EEENS1_30default_config_static_selectorELNS0_4arch9wavefront6targetE1EEEvT1_
; %bb.0:
	.section	.rodata,"a",@progbits
	.p2align	6, 0x0
	.amdhsa_kernel _ZN7rocprim17ROCPRIM_400000_NS6detail17trampoline_kernelINS0_14default_configENS1_29reduce_by_key_config_selectorIssN6thrust23THRUST_200600_302600_NS4plusIsEEEEZZNS1_33reduce_by_key_impl_wrapped_configILNS1_25lookback_scan_determinismE0ES3_S9_NS6_6detail15normal_iteratorINS6_10device_ptrIsEEEESG_SG_SG_PmS8_22is_equal_div_10_reduceIsEEE10hipError_tPvRmT2_T3_mT4_T5_T6_T7_T8_P12ihipStream_tbENKUlT_T0_E_clISt17integral_constantIbLb1EES11_EEDaSW_SX_EUlSW_E_NS1_11comp_targetILNS1_3genE0ELNS1_11target_archE4294967295ELNS1_3gpuE0ELNS1_3repE0EEENS1_30default_config_static_selectorELNS0_4arch9wavefront6targetE1EEEvT1_
		.amdhsa_group_segment_fixed_size 0
		.amdhsa_private_segment_fixed_size 0
		.amdhsa_kernarg_size 120
		.amdhsa_user_sgpr_count 6
		.amdhsa_user_sgpr_private_segment_buffer 1
		.amdhsa_user_sgpr_dispatch_ptr 0
		.amdhsa_user_sgpr_queue_ptr 0
		.amdhsa_user_sgpr_kernarg_segment_ptr 1
		.amdhsa_user_sgpr_dispatch_id 0
		.amdhsa_user_sgpr_flat_scratch_init 0
		.amdhsa_user_sgpr_kernarg_preload_length 0
		.amdhsa_user_sgpr_kernarg_preload_offset 0
		.amdhsa_user_sgpr_private_segment_size 0
		.amdhsa_uses_dynamic_stack 0
		.amdhsa_system_sgpr_private_segment_wavefront_offset 0
		.amdhsa_system_sgpr_workgroup_id_x 1
		.amdhsa_system_sgpr_workgroup_id_y 0
		.amdhsa_system_sgpr_workgroup_id_z 0
		.amdhsa_system_sgpr_workgroup_info 0
		.amdhsa_system_vgpr_workitem_id 0
		.amdhsa_next_free_vgpr 1
		.amdhsa_next_free_sgpr 0
		.amdhsa_accum_offset 4
		.amdhsa_reserve_vcc 0
		.amdhsa_reserve_flat_scratch 0
		.amdhsa_float_round_mode_32 0
		.amdhsa_float_round_mode_16_64 0
		.amdhsa_float_denorm_mode_32 3
		.amdhsa_float_denorm_mode_16_64 3
		.amdhsa_dx10_clamp 1
		.amdhsa_ieee_mode 1
		.amdhsa_fp16_overflow 0
		.amdhsa_tg_split 0
		.amdhsa_exception_fp_ieee_invalid_op 0
		.amdhsa_exception_fp_denorm_src 0
		.amdhsa_exception_fp_ieee_div_zero 0
		.amdhsa_exception_fp_ieee_overflow 0
		.amdhsa_exception_fp_ieee_underflow 0
		.amdhsa_exception_fp_ieee_inexact 0
		.amdhsa_exception_int_div_zero 0
	.end_amdhsa_kernel
	.section	.text._ZN7rocprim17ROCPRIM_400000_NS6detail17trampoline_kernelINS0_14default_configENS1_29reduce_by_key_config_selectorIssN6thrust23THRUST_200600_302600_NS4plusIsEEEEZZNS1_33reduce_by_key_impl_wrapped_configILNS1_25lookback_scan_determinismE0ES3_S9_NS6_6detail15normal_iteratorINS6_10device_ptrIsEEEESG_SG_SG_PmS8_22is_equal_div_10_reduceIsEEE10hipError_tPvRmT2_T3_mT4_T5_T6_T7_T8_P12ihipStream_tbENKUlT_T0_E_clISt17integral_constantIbLb1EES11_EEDaSW_SX_EUlSW_E_NS1_11comp_targetILNS1_3genE0ELNS1_11target_archE4294967295ELNS1_3gpuE0ELNS1_3repE0EEENS1_30default_config_static_selectorELNS0_4arch9wavefront6targetE1EEEvT1_,"axG",@progbits,_ZN7rocprim17ROCPRIM_400000_NS6detail17trampoline_kernelINS0_14default_configENS1_29reduce_by_key_config_selectorIssN6thrust23THRUST_200600_302600_NS4plusIsEEEEZZNS1_33reduce_by_key_impl_wrapped_configILNS1_25lookback_scan_determinismE0ES3_S9_NS6_6detail15normal_iteratorINS6_10device_ptrIsEEEESG_SG_SG_PmS8_22is_equal_div_10_reduceIsEEE10hipError_tPvRmT2_T3_mT4_T5_T6_T7_T8_P12ihipStream_tbENKUlT_T0_E_clISt17integral_constantIbLb1EES11_EEDaSW_SX_EUlSW_E_NS1_11comp_targetILNS1_3genE0ELNS1_11target_archE4294967295ELNS1_3gpuE0ELNS1_3repE0EEENS1_30default_config_static_selectorELNS0_4arch9wavefront6targetE1EEEvT1_,comdat
.Lfunc_end670:
	.size	_ZN7rocprim17ROCPRIM_400000_NS6detail17trampoline_kernelINS0_14default_configENS1_29reduce_by_key_config_selectorIssN6thrust23THRUST_200600_302600_NS4plusIsEEEEZZNS1_33reduce_by_key_impl_wrapped_configILNS1_25lookback_scan_determinismE0ES3_S9_NS6_6detail15normal_iteratorINS6_10device_ptrIsEEEESG_SG_SG_PmS8_22is_equal_div_10_reduceIsEEE10hipError_tPvRmT2_T3_mT4_T5_T6_T7_T8_P12ihipStream_tbENKUlT_T0_E_clISt17integral_constantIbLb1EES11_EEDaSW_SX_EUlSW_E_NS1_11comp_targetILNS1_3genE0ELNS1_11target_archE4294967295ELNS1_3gpuE0ELNS1_3repE0EEENS1_30default_config_static_selectorELNS0_4arch9wavefront6targetE1EEEvT1_, .Lfunc_end670-_ZN7rocprim17ROCPRIM_400000_NS6detail17trampoline_kernelINS0_14default_configENS1_29reduce_by_key_config_selectorIssN6thrust23THRUST_200600_302600_NS4plusIsEEEEZZNS1_33reduce_by_key_impl_wrapped_configILNS1_25lookback_scan_determinismE0ES3_S9_NS6_6detail15normal_iteratorINS6_10device_ptrIsEEEESG_SG_SG_PmS8_22is_equal_div_10_reduceIsEEE10hipError_tPvRmT2_T3_mT4_T5_T6_T7_T8_P12ihipStream_tbENKUlT_T0_E_clISt17integral_constantIbLb1EES11_EEDaSW_SX_EUlSW_E_NS1_11comp_targetILNS1_3genE0ELNS1_11target_archE4294967295ELNS1_3gpuE0ELNS1_3repE0EEENS1_30default_config_static_selectorELNS0_4arch9wavefront6targetE1EEEvT1_
                                        ; -- End function
	.section	.AMDGPU.csdata,"",@progbits
; Kernel info:
; codeLenInByte = 0
; NumSgprs: 4
; NumVgprs: 0
; NumAgprs: 0
; TotalNumVgprs: 0
; ScratchSize: 0
; MemoryBound: 0
; FloatMode: 240
; IeeeMode: 1
; LDSByteSize: 0 bytes/workgroup (compile time only)
; SGPRBlocks: 0
; VGPRBlocks: 0
; NumSGPRsForWavesPerEU: 4
; NumVGPRsForWavesPerEU: 1
; AccumOffset: 4
; Occupancy: 8
; WaveLimiterHint : 0
; COMPUTE_PGM_RSRC2:SCRATCH_EN: 0
; COMPUTE_PGM_RSRC2:USER_SGPR: 6
; COMPUTE_PGM_RSRC2:TRAP_HANDLER: 0
; COMPUTE_PGM_RSRC2:TGID_X_EN: 1
; COMPUTE_PGM_RSRC2:TGID_Y_EN: 0
; COMPUTE_PGM_RSRC2:TGID_Z_EN: 0
; COMPUTE_PGM_RSRC2:TIDIG_COMP_CNT: 0
; COMPUTE_PGM_RSRC3_GFX90A:ACCUM_OFFSET: 0
; COMPUTE_PGM_RSRC3_GFX90A:TG_SPLIT: 0
	.section	.text._ZN7rocprim17ROCPRIM_400000_NS6detail17trampoline_kernelINS0_14default_configENS1_29reduce_by_key_config_selectorIssN6thrust23THRUST_200600_302600_NS4plusIsEEEEZZNS1_33reduce_by_key_impl_wrapped_configILNS1_25lookback_scan_determinismE0ES3_S9_NS6_6detail15normal_iteratorINS6_10device_ptrIsEEEESG_SG_SG_PmS8_22is_equal_div_10_reduceIsEEE10hipError_tPvRmT2_T3_mT4_T5_T6_T7_T8_P12ihipStream_tbENKUlT_T0_E_clISt17integral_constantIbLb1EES11_EEDaSW_SX_EUlSW_E_NS1_11comp_targetILNS1_3genE5ELNS1_11target_archE942ELNS1_3gpuE9ELNS1_3repE0EEENS1_30default_config_static_selectorELNS0_4arch9wavefront6targetE1EEEvT1_,"axG",@progbits,_ZN7rocprim17ROCPRIM_400000_NS6detail17trampoline_kernelINS0_14default_configENS1_29reduce_by_key_config_selectorIssN6thrust23THRUST_200600_302600_NS4plusIsEEEEZZNS1_33reduce_by_key_impl_wrapped_configILNS1_25lookback_scan_determinismE0ES3_S9_NS6_6detail15normal_iteratorINS6_10device_ptrIsEEEESG_SG_SG_PmS8_22is_equal_div_10_reduceIsEEE10hipError_tPvRmT2_T3_mT4_T5_T6_T7_T8_P12ihipStream_tbENKUlT_T0_E_clISt17integral_constantIbLb1EES11_EEDaSW_SX_EUlSW_E_NS1_11comp_targetILNS1_3genE5ELNS1_11target_archE942ELNS1_3gpuE9ELNS1_3repE0EEENS1_30default_config_static_selectorELNS0_4arch9wavefront6targetE1EEEvT1_,comdat
	.protected	_ZN7rocprim17ROCPRIM_400000_NS6detail17trampoline_kernelINS0_14default_configENS1_29reduce_by_key_config_selectorIssN6thrust23THRUST_200600_302600_NS4plusIsEEEEZZNS1_33reduce_by_key_impl_wrapped_configILNS1_25lookback_scan_determinismE0ES3_S9_NS6_6detail15normal_iteratorINS6_10device_ptrIsEEEESG_SG_SG_PmS8_22is_equal_div_10_reduceIsEEE10hipError_tPvRmT2_T3_mT4_T5_T6_T7_T8_P12ihipStream_tbENKUlT_T0_E_clISt17integral_constantIbLb1EES11_EEDaSW_SX_EUlSW_E_NS1_11comp_targetILNS1_3genE5ELNS1_11target_archE942ELNS1_3gpuE9ELNS1_3repE0EEENS1_30default_config_static_selectorELNS0_4arch9wavefront6targetE1EEEvT1_ ; -- Begin function _ZN7rocprim17ROCPRIM_400000_NS6detail17trampoline_kernelINS0_14default_configENS1_29reduce_by_key_config_selectorIssN6thrust23THRUST_200600_302600_NS4plusIsEEEEZZNS1_33reduce_by_key_impl_wrapped_configILNS1_25lookback_scan_determinismE0ES3_S9_NS6_6detail15normal_iteratorINS6_10device_ptrIsEEEESG_SG_SG_PmS8_22is_equal_div_10_reduceIsEEE10hipError_tPvRmT2_T3_mT4_T5_T6_T7_T8_P12ihipStream_tbENKUlT_T0_E_clISt17integral_constantIbLb1EES11_EEDaSW_SX_EUlSW_E_NS1_11comp_targetILNS1_3genE5ELNS1_11target_archE942ELNS1_3gpuE9ELNS1_3repE0EEENS1_30default_config_static_selectorELNS0_4arch9wavefront6targetE1EEEvT1_
	.globl	_ZN7rocprim17ROCPRIM_400000_NS6detail17trampoline_kernelINS0_14default_configENS1_29reduce_by_key_config_selectorIssN6thrust23THRUST_200600_302600_NS4plusIsEEEEZZNS1_33reduce_by_key_impl_wrapped_configILNS1_25lookback_scan_determinismE0ES3_S9_NS6_6detail15normal_iteratorINS6_10device_ptrIsEEEESG_SG_SG_PmS8_22is_equal_div_10_reduceIsEEE10hipError_tPvRmT2_T3_mT4_T5_T6_T7_T8_P12ihipStream_tbENKUlT_T0_E_clISt17integral_constantIbLb1EES11_EEDaSW_SX_EUlSW_E_NS1_11comp_targetILNS1_3genE5ELNS1_11target_archE942ELNS1_3gpuE9ELNS1_3repE0EEENS1_30default_config_static_selectorELNS0_4arch9wavefront6targetE1EEEvT1_
	.p2align	8
	.type	_ZN7rocprim17ROCPRIM_400000_NS6detail17trampoline_kernelINS0_14default_configENS1_29reduce_by_key_config_selectorIssN6thrust23THRUST_200600_302600_NS4plusIsEEEEZZNS1_33reduce_by_key_impl_wrapped_configILNS1_25lookback_scan_determinismE0ES3_S9_NS6_6detail15normal_iteratorINS6_10device_ptrIsEEEESG_SG_SG_PmS8_22is_equal_div_10_reduceIsEEE10hipError_tPvRmT2_T3_mT4_T5_T6_T7_T8_P12ihipStream_tbENKUlT_T0_E_clISt17integral_constantIbLb1EES11_EEDaSW_SX_EUlSW_E_NS1_11comp_targetILNS1_3genE5ELNS1_11target_archE942ELNS1_3gpuE9ELNS1_3repE0EEENS1_30default_config_static_selectorELNS0_4arch9wavefront6targetE1EEEvT1_,@function
_ZN7rocprim17ROCPRIM_400000_NS6detail17trampoline_kernelINS0_14default_configENS1_29reduce_by_key_config_selectorIssN6thrust23THRUST_200600_302600_NS4plusIsEEEEZZNS1_33reduce_by_key_impl_wrapped_configILNS1_25lookback_scan_determinismE0ES3_S9_NS6_6detail15normal_iteratorINS6_10device_ptrIsEEEESG_SG_SG_PmS8_22is_equal_div_10_reduceIsEEE10hipError_tPvRmT2_T3_mT4_T5_T6_T7_T8_P12ihipStream_tbENKUlT_T0_E_clISt17integral_constantIbLb1EES11_EEDaSW_SX_EUlSW_E_NS1_11comp_targetILNS1_3genE5ELNS1_11target_archE942ELNS1_3gpuE9ELNS1_3repE0EEENS1_30default_config_static_selectorELNS0_4arch9wavefront6targetE1EEEvT1_: ; @_ZN7rocprim17ROCPRIM_400000_NS6detail17trampoline_kernelINS0_14default_configENS1_29reduce_by_key_config_selectorIssN6thrust23THRUST_200600_302600_NS4plusIsEEEEZZNS1_33reduce_by_key_impl_wrapped_configILNS1_25lookback_scan_determinismE0ES3_S9_NS6_6detail15normal_iteratorINS6_10device_ptrIsEEEESG_SG_SG_PmS8_22is_equal_div_10_reduceIsEEE10hipError_tPvRmT2_T3_mT4_T5_T6_T7_T8_P12ihipStream_tbENKUlT_T0_E_clISt17integral_constantIbLb1EES11_EEDaSW_SX_EUlSW_E_NS1_11comp_targetILNS1_3genE5ELNS1_11target_archE942ELNS1_3gpuE9ELNS1_3repE0EEENS1_30default_config_static_selectorELNS0_4arch9wavefront6targetE1EEEvT1_
; %bb.0:
	.section	.rodata,"a",@progbits
	.p2align	6, 0x0
	.amdhsa_kernel _ZN7rocprim17ROCPRIM_400000_NS6detail17trampoline_kernelINS0_14default_configENS1_29reduce_by_key_config_selectorIssN6thrust23THRUST_200600_302600_NS4plusIsEEEEZZNS1_33reduce_by_key_impl_wrapped_configILNS1_25lookback_scan_determinismE0ES3_S9_NS6_6detail15normal_iteratorINS6_10device_ptrIsEEEESG_SG_SG_PmS8_22is_equal_div_10_reduceIsEEE10hipError_tPvRmT2_T3_mT4_T5_T6_T7_T8_P12ihipStream_tbENKUlT_T0_E_clISt17integral_constantIbLb1EES11_EEDaSW_SX_EUlSW_E_NS1_11comp_targetILNS1_3genE5ELNS1_11target_archE942ELNS1_3gpuE9ELNS1_3repE0EEENS1_30default_config_static_selectorELNS0_4arch9wavefront6targetE1EEEvT1_
		.amdhsa_group_segment_fixed_size 0
		.amdhsa_private_segment_fixed_size 0
		.amdhsa_kernarg_size 120
		.amdhsa_user_sgpr_count 6
		.amdhsa_user_sgpr_private_segment_buffer 1
		.amdhsa_user_sgpr_dispatch_ptr 0
		.amdhsa_user_sgpr_queue_ptr 0
		.amdhsa_user_sgpr_kernarg_segment_ptr 1
		.amdhsa_user_sgpr_dispatch_id 0
		.amdhsa_user_sgpr_flat_scratch_init 0
		.amdhsa_user_sgpr_kernarg_preload_length 0
		.amdhsa_user_sgpr_kernarg_preload_offset 0
		.amdhsa_user_sgpr_private_segment_size 0
		.amdhsa_uses_dynamic_stack 0
		.amdhsa_system_sgpr_private_segment_wavefront_offset 0
		.amdhsa_system_sgpr_workgroup_id_x 1
		.amdhsa_system_sgpr_workgroup_id_y 0
		.amdhsa_system_sgpr_workgroup_id_z 0
		.amdhsa_system_sgpr_workgroup_info 0
		.amdhsa_system_vgpr_workitem_id 0
		.amdhsa_next_free_vgpr 1
		.amdhsa_next_free_sgpr 0
		.amdhsa_accum_offset 4
		.amdhsa_reserve_vcc 0
		.amdhsa_reserve_flat_scratch 0
		.amdhsa_float_round_mode_32 0
		.amdhsa_float_round_mode_16_64 0
		.amdhsa_float_denorm_mode_32 3
		.amdhsa_float_denorm_mode_16_64 3
		.amdhsa_dx10_clamp 1
		.amdhsa_ieee_mode 1
		.amdhsa_fp16_overflow 0
		.amdhsa_tg_split 0
		.amdhsa_exception_fp_ieee_invalid_op 0
		.amdhsa_exception_fp_denorm_src 0
		.amdhsa_exception_fp_ieee_div_zero 0
		.amdhsa_exception_fp_ieee_overflow 0
		.amdhsa_exception_fp_ieee_underflow 0
		.amdhsa_exception_fp_ieee_inexact 0
		.amdhsa_exception_int_div_zero 0
	.end_amdhsa_kernel
	.section	.text._ZN7rocprim17ROCPRIM_400000_NS6detail17trampoline_kernelINS0_14default_configENS1_29reduce_by_key_config_selectorIssN6thrust23THRUST_200600_302600_NS4plusIsEEEEZZNS1_33reduce_by_key_impl_wrapped_configILNS1_25lookback_scan_determinismE0ES3_S9_NS6_6detail15normal_iteratorINS6_10device_ptrIsEEEESG_SG_SG_PmS8_22is_equal_div_10_reduceIsEEE10hipError_tPvRmT2_T3_mT4_T5_T6_T7_T8_P12ihipStream_tbENKUlT_T0_E_clISt17integral_constantIbLb1EES11_EEDaSW_SX_EUlSW_E_NS1_11comp_targetILNS1_3genE5ELNS1_11target_archE942ELNS1_3gpuE9ELNS1_3repE0EEENS1_30default_config_static_selectorELNS0_4arch9wavefront6targetE1EEEvT1_,"axG",@progbits,_ZN7rocprim17ROCPRIM_400000_NS6detail17trampoline_kernelINS0_14default_configENS1_29reduce_by_key_config_selectorIssN6thrust23THRUST_200600_302600_NS4plusIsEEEEZZNS1_33reduce_by_key_impl_wrapped_configILNS1_25lookback_scan_determinismE0ES3_S9_NS6_6detail15normal_iteratorINS6_10device_ptrIsEEEESG_SG_SG_PmS8_22is_equal_div_10_reduceIsEEE10hipError_tPvRmT2_T3_mT4_T5_T6_T7_T8_P12ihipStream_tbENKUlT_T0_E_clISt17integral_constantIbLb1EES11_EEDaSW_SX_EUlSW_E_NS1_11comp_targetILNS1_3genE5ELNS1_11target_archE942ELNS1_3gpuE9ELNS1_3repE0EEENS1_30default_config_static_selectorELNS0_4arch9wavefront6targetE1EEEvT1_,comdat
.Lfunc_end671:
	.size	_ZN7rocprim17ROCPRIM_400000_NS6detail17trampoline_kernelINS0_14default_configENS1_29reduce_by_key_config_selectorIssN6thrust23THRUST_200600_302600_NS4plusIsEEEEZZNS1_33reduce_by_key_impl_wrapped_configILNS1_25lookback_scan_determinismE0ES3_S9_NS6_6detail15normal_iteratorINS6_10device_ptrIsEEEESG_SG_SG_PmS8_22is_equal_div_10_reduceIsEEE10hipError_tPvRmT2_T3_mT4_T5_T6_T7_T8_P12ihipStream_tbENKUlT_T0_E_clISt17integral_constantIbLb1EES11_EEDaSW_SX_EUlSW_E_NS1_11comp_targetILNS1_3genE5ELNS1_11target_archE942ELNS1_3gpuE9ELNS1_3repE0EEENS1_30default_config_static_selectorELNS0_4arch9wavefront6targetE1EEEvT1_, .Lfunc_end671-_ZN7rocprim17ROCPRIM_400000_NS6detail17trampoline_kernelINS0_14default_configENS1_29reduce_by_key_config_selectorIssN6thrust23THRUST_200600_302600_NS4plusIsEEEEZZNS1_33reduce_by_key_impl_wrapped_configILNS1_25lookback_scan_determinismE0ES3_S9_NS6_6detail15normal_iteratorINS6_10device_ptrIsEEEESG_SG_SG_PmS8_22is_equal_div_10_reduceIsEEE10hipError_tPvRmT2_T3_mT4_T5_T6_T7_T8_P12ihipStream_tbENKUlT_T0_E_clISt17integral_constantIbLb1EES11_EEDaSW_SX_EUlSW_E_NS1_11comp_targetILNS1_3genE5ELNS1_11target_archE942ELNS1_3gpuE9ELNS1_3repE0EEENS1_30default_config_static_selectorELNS0_4arch9wavefront6targetE1EEEvT1_
                                        ; -- End function
	.section	.AMDGPU.csdata,"",@progbits
; Kernel info:
; codeLenInByte = 0
; NumSgprs: 4
; NumVgprs: 0
; NumAgprs: 0
; TotalNumVgprs: 0
; ScratchSize: 0
; MemoryBound: 0
; FloatMode: 240
; IeeeMode: 1
; LDSByteSize: 0 bytes/workgroup (compile time only)
; SGPRBlocks: 0
; VGPRBlocks: 0
; NumSGPRsForWavesPerEU: 4
; NumVGPRsForWavesPerEU: 1
; AccumOffset: 4
; Occupancy: 8
; WaveLimiterHint : 0
; COMPUTE_PGM_RSRC2:SCRATCH_EN: 0
; COMPUTE_PGM_RSRC2:USER_SGPR: 6
; COMPUTE_PGM_RSRC2:TRAP_HANDLER: 0
; COMPUTE_PGM_RSRC2:TGID_X_EN: 1
; COMPUTE_PGM_RSRC2:TGID_Y_EN: 0
; COMPUTE_PGM_RSRC2:TGID_Z_EN: 0
; COMPUTE_PGM_RSRC2:TIDIG_COMP_CNT: 0
; COMPUTE_PGM_RSRC3_GFX90A:ACCUM_OFFSET: 0
; COMPUTE_PGM_RSRC3_GFX90A:TG_SPLIT: 0
	.section	.text._ZN7rocprim17ROCPRIM_400000_NS6detail17trampoline_kernelINS0_14default_configENS1_29reduce_by_key_config_selectorIssN6thrust23THRUST_200600_302600_NS4plusIsEEEEZZNS1_33reduce_by_key_impl_wrapped_configILNS1_25lookback_scan_determinismE0ES3_S9_NS6_6detail15normal_iteratorINS6_10device_ptrIsEEEESG_SG_SG_PmS8_22is_equal_div_10_reduceIsEEE10hipError_tPvRmT2_T3_mT4_T5_T6_T7_T8_P12ihipStream_tbENKUlT_T0_E_clISt17integral_constantIbLb1EES11_EEDaSW_SX_EUlSW_E_NS1_11comp_targetILNS1_3genE4ELNS1_11target_archE910ELNS1_3gpuE8ELNS1_3repE0EEENS1_30default_config_static_selectorELNS0_4arch9wavefront6targetE1EEEvT1_,"axG",@progbits,_ZN7rocprim17ROCPRIM_400000_NS6detail17trampoline_kernelINS0_14default_configENS1_29reduce_by_key_config_selectorIssN6thrust23THRUST_200600_302600_NS4plusIsEEEEZZNS1_33reduce_by_key_impl_wrapped_configILNS1_25lookback_scan_determinismE0ES3_S9_NS6_6detail15normal_iteratorINS6_10device_ptrIsEEEESG_SG_SG_PmS8_22is_equal_div_10_reduceIsEEE10hipError_tPvRmT2_T3_mT4_T5_T6_T7_T8_P12ihipStream_tbENKUlT_T0_E_clISt17integral_constantIbLb1EES11_EEDaSW_SX_EUlSW_E_NS1_11comp_targetILNS1_3genE4ELNS1_11target_archE910ELNS1_3gpuE8ELNS1_3repE0EEENS1_30default_config_static_selectorELNS0_4arch9wavefront6targetE1EEEvT1_,comdat
	.protected	_ZN7rocprim17ROCPRIM_400000_NS6detail17trampoline_kernelINS0_14default_configENS1_29reduce_by_key_config_selectorIssN6thrust23THRUST_200600_302600_NS4plusIsEEEEZZNS1_33reduce_by_key_impl_wrapped_configILNS1_25lookback_scan_determinismE0ES3_S9_NS6_6detail15normal_iteratorINS6_10device_ptrIsEEEESG_SG_SG_PmS8_22is_equal_div_10_reduceIsEEE10hipError_tPvRmT2_T3_mT4_T5_T6_T7_T8_P12ihipStream_tbENKUlT_T0_E_clISt17integral_constantIbLb1EES11_EEDaSW_SX_EUlSW_E_NS1_11comp_targetILNS1_3genE4ELNS1_11target_archE910ELNS1_3gpuE8ELNS1_3repE0EEENS1_30default_config_static_selectorELNS0_4arch9wavefront6targetE1EEEvT1_ ; -- Begin function _ZN7rocprim17ROCPRIM_400000_NS6detail17trampoline_kernelINS0_14default_configENS1_29reduce_by_key_config_selectorIssN6thrust23THRUST_200600_302600_NS4plusIsEEEEZZNS1_33reduce_by_key_impl_wrapped_configILNS1_25lookback_scan_determinismE0ES3_S9_NS6_6detail15normal_iteratorINS6_10device_ptrIsEEEESG_SG_SG_PmS8_22is_equal_div_10_reduceIsEEE10hipError_tPvRmT2_T3_mT4_T5_T6_T7_T8_P12ihipStream_tbENKUlT_T0_E_clISt17integral_constantIbLb1EES11_EEDaSW_SX_EUlSW_E_NS1_11comp_targetILNS1_3genE4ELNS1_11target_archE910ELNS1_3gpuE8ELNS1_3repE0EEENS1_30default_config_static_selectorELNS0_4arch9wavefront6targetE1EEEvT1_
	.globl	_ZN7rocprim17ROCPRIM_400000_NS6detail17trampoline_kernelINS0_14default_configENS1_29reduce_by_key_config_selectorIssN6thrust23THRUST_200600_302600_NS4plusIsEEEEZZNS1_33reduce_by_key_impl_wrapped_configILNS1_25lookback_scan_determinismE0ES3_S9_NS6_6detail15normal_iteratorINS6_10device_ptrIsEEEESG_SG_SG_PmS8_22is_equal_div_10_reduceIsEEE10hipError_tPvRmT2_T3_mT4_T5_T6_T7_T8_P12ihipStream_tbENKUlT_T0_E_clISt17integral_constantIbLb1EES11_EEDaSW_SX_EUlSW_E_NS1_11comp_targetILNS1_3genE4ELNS1_11target_archE910ELNS1_3gpuE8ELNS1_3repE0EEENS1_30default_config_static_selectorELNS0_4arch9wavefront6targetE1EEEvT1_
	.p2align	8
	.type	_ZN7rocprim17ROCPRIM_400000_NS6detail17trampoline_kernelINS0_14default_configENS1_29reduce_by_key_config_selectorIssN6thrust23THRUST_200600_302600_NS4plusIsEEEEZZNS1_33reduce_by_key_impl_wrapped_configILNS1_25lookback_scan_determinismE0ES3_S9_NS6_6detail15normal_iteratorINS6_10device_ptrIsEEEESG_SG_SG_PmS8_22is_equal_div_10_reduceIsEEE10hipError_tPvRmT2_T3_mT4_T5_T6_T7_T8_P12ihipStream_tbENKUlT_T0_E_clISt17integral_constantIbLb1EES11_EEDaSW_SX_EUlSW_E_NS1_11comp_targetILNS1_3genE4ELNS1_11target_archE910ELNS1_3gpuE8ELNS1_3repE0EEENS1_30default_config_static_selectorELNS0_4arch9wavefront6targetE1EEEvT1_,@function
_ZN7rocprim17ROCPRIM_400000_NS6detail17trampoline_kernelINS0_14default_configENS1_29reduce_by_key_config_selectorIssN6thrust23THRUST_200600_302600_NS4plusIsEEEEZZNS1_33reduce_by_key_impl_wrapped_configILNS1_25lookback_scan_determinismE0ES3_S9_NS6_6detail15normal_iteratorINS6_10device_ptrIsEEEESG_SG_SG_PmS8_22is_equal_div_10_reduceIsEEE10hipError_tPvRmT2_T3_mT4_T5_T6_T7_T8_P12ihipStream_tbENKUlT_T0_E_clISt17integral_constantIbLb1EES11_EEDaSW_SX_EUlSW_E_NS1_11comp_targetILNS1_3genE4ELNS1_11target_archE910ELNS1_3gpuE8ELNS1_3repE0EEENS1_30default_config_static_selectorELNS0_4arch9wavefront6targetE1EEEvT1_: ; @_ZN7rocprim17ROCPRIM_400000_NS6detail17trampoline_kernelINS0_14default_configENS1_29reduce_by_key_config_selectorIssN6thrust23THRUST_200600_302600_NS4plusIsEEEEZZNS1_33reduce_by_key_impl_wrapped_configILNS1_25lookback_scan_determinismE0ES3_S9_NS6_6detail15normal_iteratorINS6_10device_ptrIsEEEESG_SG_SG_PmS8_22is_equal_div_10_reduceIsEEE10hipError_tPvRmT2_T3_mT4_T5_T6_T7_T8_P12ihipStream_tbENKUlT_T0_E_clISt17integral_constantIbLb1EES11_EEDaSW_SX_EUlSW_E_NS1_11comp_targetILNS1_3genE4ELNS1_11target_archE910ELNS1_3gpuE8ELNS1_3repE0EEENS1_30default_config_static_selectorELNS0_4arch9wavefront6targetE1EEEvT1_
; %bb.0:
	s_load_dwordx8 s[36:43], s[4:5], 0x0
	s_load_dwordx4 s[52:55], s[4:5], 0x20
	s_load_dwordx8 s[44:51], s[4:5], 0x38
	s_load_dwordx2 s[60:61], s[4:5], 0x68
	s_load_dwordx4 s[56:59], s[4:5], 0x58
	v_cmp_ne_u32_e64 s[2:3], 0, v0
	v_cmp_eq_u32_e64 s[0:1], 0, v0
	s_and_saveexec_b64 s[6:7], s[0:1]
	s_cbranch_execz .LBB672_4
; %bb.1:
	s_mov_b64 s[10:11], exec
	v_mbcnt_lo_u32_b32 v1, s10, 0
	v_mbcnt_hi_u32_b32 v1, s11, v1
	v_cmp_eq_u32_e32 vcc, 0, v1
                                        ; implicit-def: $vgpr2
	s_and_saveexec_b64 s[8:9], vcc
	s_cbranch_execz .LBB672_3
; %bb.2:
	s_load_dwordx2 s[4:5], s[4:5], 0x70
	s_bcnt1_i32_b64 s10, s[10:11]
	v_mov_b32_e32 v2, 0
	v_mov_b32_e32 v3, s10
	s_waitcnt lgkmcnt(0)
	global_atomic_add v2, v2, v3, s[4:5] glc
.LBB672_3:
	s_or_b64 exec, exec, s[8:9]
	s_waitcnt vmcnt(0)
	v_readfirstlane_b32 s4, v2
	v_add_u32_e32 v1, s4, v1
	v_mov_b32_e32 v2, 0
	ds_write_b32 v2, v1
.LBB672_4:
	s_or_b64 exec, exec, s[6:7]
	v_mov_b32_e32 v3, 0
	s_waitcnt lgkmcnt(0)
	s_lshl_b64 s[4:5], s[38:39], 1
	s_barrier
	ds_read_b32 v1, v3
	s_add_u32 s6, s36, s4
	s_addc_u32 s7, s37, s5
	s_add_u32 s4, s40, s4
	s_mul_i32 s8, s48, s47
	s_mul_hi_u32 s9, s48, s46
	s_addc_u32 s5, s41, s5
	s_add_i32 s8, s9, s8
	s_mul_i32 s9, s49, s46
	s_add_i32 s8, s8, s9
	s_mul_i32 s9, s48, s46
	s_waitcnt lgkmcnt(0)
	v_readfirstlane_b32 s62, v1
	s_movk_i32 s10, 0xf00
	v_mul_lo_u32 v2, v1, s10
	s_add_u32 s40, s9, s62
	v_lshlrev_b64 v[2:3], 1, v[2:3]
	s_addc_u32 s41, s8, 0
	v_mov_b32_e32 v1, s7
	v_add_co_u32_e32 v6, vcc, s6, v2
	s_add_u32 s6, s50, -1
	v_addc_co_u32_e32 v7, vcc, v1, v3, vcc
	s_addc_u32 s7, s51, -1
	v_mov_b32_e32 v1, s5
	v_add_co_u32_e32 v8, vcc, s4, v2
	s_cmp_eq_u64 s[40:41], s[6:7]
	v_addc_co_u32_e32 v9, vcc, v1, v3, vcc
	s_cselect_b64 s[36:37], -1, 0
	s_cmp_lg_u64 s[40:41], s[6:7]
	s_mov_b64 s[4:5], -1
	s_cselect_b64 s[48:49], -1, 0
	s_mul_i32 s33, s6, 0xfffff100
	s_and_b64 vcc, exec, s[36:37]
	s_barrier
	s_cbranch_vccnz .LBB672_6
; %bb.5:
	v_lshlrev_b32_e32 v11, 1, v0
	v_add_co_u32_e32 v2, vcc, v6, v11
	v_addc_co_u32_e32 v3, vcc, 0, v7, vcc
	flat_load_ushort v1, v[2:3]
	flat_load_ushort v4, v[2:3] offset:512
	flat_load_ushort v5, v[2:3] offset:1024
	;; [unrolled: 1-line block ×7, first 2 shown]
	v_add_co_u32_e32 v2, vcc, 0x1000, v2
	v_addc_co_u32_e32 v3, vcc, 0, v3, vcc
	flat_load_ushort v21, v[2:3]
	flat_load_ushort v22, v[2:3] offset:512
	flat_load_ushort v23, v[2:3] offset:1024
	;; [unrolled: 1-line block ×6, first 2 shown]
	v_add_co_u32_e32 v12, vcc, v8, v11
	s_movk_i32 s4, 0x1000
	v_addc_co_u32_e32 v13, vcc, 0, v9, vcc
	v_mad_u32_u24 v10, v0, 28, v11
	v_add_co_u32_e32 v18, vcc, s4, v12
	v_addc_co_u32_e32 v19, vcc, 0, v13, vcc
	s_waitcnt vmcnt(0) lgkmcnt(0)
	ds_write_b16 v11, v1
	ds_write_b16 v11, v4 offset:512
	ds_write_b16 v11, v5 offset:1024
	;; [unrolled: 1-line block ×14, first 2 shown]
	s_waitcnt lgkmcnt(0)
	s_barrier
	ds_read_u16 v1, v10
	ds_read_b128 v[2:5], v10 offset:2
	ds_read_b96 v[14:16], v10 offset:18
	s_waitcnt lgkmcnt(0)
	s_barrier
	flat_load_ushort v17, v[12:13]
	flat_load_ushort v20, v[12:13] offset:512
	flat_load_ushort v21, v[12:13] offset:1024
	;; [unrolled: 1-line block ×7, first 2 shown]
	flat_load_ushort v27, v[18:19]
	flat_load_ushort v28, v[18:19] offset:512
	flat_load_ushort v29, v[18:19] offset:1024
	;; [unrolled: 1-line block ×6, first 2 shown]
	v_mul_u32_u24_e32 v12, 15, v0
	s_waitcnt vmcnt(0) lgkmcnt(0)
	ds_write_b16 v11, v17
	ds_write_b16 v11, v20 offset:512
	ds_write_b16 v11, v21 offset:1024
	ds_write_b16 v11, v22 offset:1536
	ds_write_b16 v11, v23 offset:2048
	ds_write_b16 v11, v24 offset:2560
	ds_write_b16 v11, v25 offset:3072
	ds_write_b16 v11, v26 offset:3584
	ds_write_b16 v11, v27 offset:4096
	ds_write_b16 v11, v28 offset:4608
	ds_write_b16 v11, v29 offset:5120
	ds_write_b16 v11, v30 offset:5632
	ds_write_b16 v11, v31 offset:6144
	ds_write_b16 v11, v32 offset:6656
	ds_write_b16 v11, v33 offset:7168
	s_waitcnt lgkmcnt(0)
	s_barrier
	s_add_i32 s33, s33, s56
	s_cbranch_execz .LBB672_7
	s_branch .LBB672_54
.LBB672_6:
                                        ; implicit-def: $vgpr2
                                        ; implicit-def: $vgpr14
                                        ; implicit-def: $vgpr12
                                        ; implicit-def: $vgpr10
                                        ; implicit-def: $vgpr1
	s_andn2_b64 vcc, exec, s[4:5]
	s_add_i32 s33, s33, s56
	s_cbranch_vccnz .LBB672_54
.LBB672_7:
	v_cmp_gt_u32_e32 vcc, s33, v0
                                        ; implicit-def: $vgpr1
	s_and_saveexec_b64 s[6:7], vcc
	s_cbranch_execz .LBB672_9
; %bb.8:
	v_lshlrev_b32_e32 v1, 1, v0
	v_add_co_u32_e64 v2, s[4:5], v6, v1
	v_addc_co_u32_e64 v3, s[4:5], 0, v7, s[4:5]
	flat_load_ushort v1, v[2:3]
.LBB672_9:
	s_or_b64 exec, exec, s[6:7]
	v_or_b32_e32 v2, 0x100, v0
	v_cmp_gt_u32_e64 s[4:5], s33, v2
                                        ; implicit-def: $vgpr2
	s_and_saveexec_b64 s[8:9], s[4:5]
	s_cbranch_execz .LBB672_11
; %bb.10:
	v_lshlrev_b32_e32 v2, 1, v0
	v_add_co_u32_e64 v2, s[6:7], v6, v2
	v_addc_co_u32_e64 v3, s[6:7], 0, v7, s[6:7]
	flat_load_ushort v2, v[2:3] offset:512
.LBB672_11:
	s_or_b64 exec, exec, s[8:9]
	v_or_b32_e32 v3, 0x200, v0
	v_cmp_gt_u32_e64 s[6:7], s33, v3
                                        ; implicit-def: $vgpr3
	s_and_saveexec_b64 s[10:11], s[6:7]
	s_cbranch_execz .LBB672_13
; %bb.12:
	v_lshlrev_b32_e32 v3, 1, v0
	v_add_co_u32_e64 v4, s[8:9], v6, v3
	v_addc_co_u32_e64 v5, s[8:9], 0, v7, s[8:9]
	flat_load_ushort v3, v[4:5] offset:1024
.LBB672_13:
	s_or_b64 exec, exec, s[10:11]
	v_or_b32_e32 v4, 0x300, v0
	v_cmp_gt_u32_e64 s[8:9], s33, v4
                                        ; implicit-def: $vgpr4
	s_and_saveexec_b64 s[12:13], s[8:9]
	s_cbranch_execz .LBB672_15
; %bb.14:
	v_lshlrev_b32_e32 v4, 1, v0
	v_add_co_u32_e64 v4, s[10:11], v6, v4
	v_addc_co_u32_e64 v5, s[10:11], 0, v7, s[10:11]
	flat_load_ushort v4, v[4:5] offset:1536
.LBB672_15:
	s_or_b64 exec, exec, s[12:13]
	v_or_b32_e32 v5, 0x400, v0
	v_cmp_gt_u32_e64 s[10:11], s33, v5
                                        ; implicit-def: $vgpr5
	s_and_saveexec_b64 s[14:15], s[10:11]
	s_cbranch_execz .LBB672_17
; %bb.16:
	v_lshlrev_b32_e32 v5, 1, v0
	v_add_co_u32_e64 v10, s[12:13], v6, v5
	v_addc_co_u32_e64 v11, s[12:13], 0, v7, s[12:13]
	flat_load_ushort v5, v[10:11] offset:2048
.LBB672_17:
	s_or_b64 exec, exec, s[14:15]
	v_or_b32_e32 v10, 0x500, v0
	v_cmp_gt_u32_e64 s[12:13], s33, v10
                                        ; implicit-def: $vgpr10
	s_and_saveexec_b64 s[16:17], s[12:13]
	s_cbranch_execz .LBB672_19
; %bb.18:
	v_lshlrev_b32_e32 v10, 1, v0
	v_add_co_u32_e64 v10, s[14:15], v6, v10
	v_addc_co_u32_e64 v11, s[14:15], 0, v7, s[14:15]
	flat_load_ushort v10, v[10:11] offset:2560
.LBB672_19:
	s_or_b64 exec, exec, s[16:17]
	v_or_b32_e32 v11, 0x600, v0
	v_cmp_gt_u32_e64 s[14:15], s33, v11
                                        ; implicit-def: $vgpr14
	s_and_saveexec_b64 s[18:19], s[14:15]
	s_cbranch_execz .LBB672_21
; %bb.20:
	v_lshlrev_b32_e32 v11, 1, v0
	v_add_co_u32_e64 v12, s[16:17], v6, v11
	v_addc_co_u32_e64 v13, s[16:17], 0, v7, s[16:17]
	flat_load_ushort v14, v[12:13] offset:3072
.LBB672_21:
	s_or_b64 exec, exec, s[18:19]
	v_or_b32_e32 v11, 0x700, v0
	v_cmp_gt_u32_e64 s[16:17], s33, v11
                                        ; implicit-def: $vgpr15
	s_and_saveexec_b64 s[20:21], s[16:17]
	s_cbranch_execz .LBB672_23
; %bb.22:
	v_lshlrev_b32_e32 v11, 1, v0
	v_add_co_u32_e64 v12, s[18:19], v6, v11
	v_addc_co_u32_e64 v13, s[18:19], 0, v7, s[18:19]
	flat_load_ushort v15, v[12:13] offset:3584
.LBB672_23:
	s_or_b64 exec, exec, s[20:21]
	v_or_b32_e32 v12, 0x800, v0
	v_cmp_gt_u32_e64 s[18:19], s33, v12
                                        ; implicit-def: $vgpr16
	s_and_saveexec_b64 s[22:23], s[18:19]
	s_cbranch_execz .LBB672_25
; %bb.24:
	v_lshlrev_b32_e32 v11, 1, v12
	v_add_co_u32_e64 v16, s[20:21], v6, v11
	v_addc_co_u32_e64 v17, s[20:21], 0, v7, s[20:21]
	flat_load_ushort v16, v[16:17]
.LBB672_25:
	s_or_b64 exec, exec, s[22:23]
	v_or_b32_e32 v13, 0x900, v0
	v_cmp_gt_u32_e64 s[20:21], s33, v13
                                        ; implicit-def: $vgpr22
	s_and_saveexec_b64 s[24:25], s[20:21]
	s_cbranch_execz .LBB672_27
; %bb.26:
	v_lshlrev_b32_e32 v11, 1, v13
	v_add_co_u32_e64 v18, s[22:23], v6, v11
	v_addc_co_u32_e64 v19, s[22:23], 0, v7, s[22:23]
	flat_load_ushort v22, v[18:19]
.LBB672_27:
	s_or_b64 exec, exec, s[24:25]
	v_or_b32_e32 v17, 0xa00, v0
	v_cmp_gt_u32_e64 s[22:23], s33, v17
                                        ; implicit-def: $vgpr23
	s_and_saveexec_b64 s[26:27], s[22:23]
	s_cbranch_execz .LBB672_29
; %bb.28:
	v_lshlrev_b32_e32 v11, 1, v17
	v_add_co_u32_e64 v18, s[24:25], v6, v11
	v_addc_co_u32_e64 v19, s[24:25], 0, v7, s[24:25]
	flat_load_ushort v23, v[18:19]
.LBB672_29:
	s_or_b64 exec, exec, s[26:27]
	v_or_b32_e32 v18, 0xb00, v0
	v_cmp_gt_u32_e64 s[24:25], s33, v18
                                        ; implicit-def: $vgpr24
	s_and_saveexec_b64 s[28:29], s[24:25]
	s_cbranch_execz .LBB672_31
; %bb.30:
	v_lshlrev_b32_e32 v11, 1, v18
	v_add_co_u32_e64 v20, s[26:27], v6, v11
	v_addc_co_u32_e64 v21, s[26:27], 0, v7, s[26:27]
	flat_load_ushort v24, v[20:21]
.LBB672_31:
	s_or_b64 exec, exec, s[28:29]
	v_or_b32_e32 v19, 0xc00, v0
	v_cmp_gt_u32_e64 s[26:27], s33, v19
                                        ; implicit-def: $vgpr25
	s_and_saveexec_b64 s[30:31], s[26:27]
	s_cbranch_execz .LBB672_33
; %bb.32:
	v_lshlrev_b32_e32 v11, 1, v19
	v_add_co_u32_e64 v20, s[28:29], v6, v11
	v_addc_co_u32_e64 v21, s[28:29], 0, v7, s[28:29]
	flat_load_ushort v25, v[20:21]
.LBB672_33:
	s_or_b64 exec, exec, s[30:31]
	v_or_b32_e32 v20, 0xd00, v0
	v_cmp_gt_u32_e64 s[28:29], s33, v20
                                        ; implicit-def: $vgpr26
	s_and_saveexec_b64 s[34:35], s[28:29]
	s_cbranch_execz .LBB672_35
; %bb.34:
	v_lshlrev_b32_e32 v11, 1, v20
	v_add_co_u32_e64 v26, s[30:31], v6, v11
	v_addc_co_u32_e64 v27, s[30:31], 0, v7, s[30:31]
	flat_load_ushort v26, v[26:27]
.LBB672_35:
	s_or_b64 exec, exec, s[34:35]
	v_or_b32_e32 v21, 0xe00, v0
	v_cmp_gt_u32_e64 s[30:31], s33, v21
                                        ; implicit-def: $vgpr27
	s_and_saveexec_b64 s[38:39], s[30:31]
	s_cbranch_execz .LBB672_37
; %bb.36:
	v_lshlrev_b32_e32 v11, 1, v21
	v_add_co_u32_e64 v28, s[34:35], v6, v11
	v_addc_co_u32_e64 v29, s[34:35], 0, v7, s[34:35]
	flat_load_ushort v27, v[28:29]
.LBB672_37:
	s_or_b64 exec, exec, s[38:39]
	v_lshlrev_b32_e32 v11, 1, v0
	s_waitcnt vmcnt(0) lgkmcnt(0)
	ds_write_b16 v11, v1
	ds_write_b16 v11, v2 offset:512
	ds_write_b16 v11, v3 offset:1024
	;; [unrolled: 1-line block ×14, first 2 shown]
	v_mad_u32_u24 v10, v0, 28, v11
	s_waitcnt lgkmcnt(0)
	s_barrier
	ds_read_u16 v1, v10
	ds_read_b128 v[2:5], v10 offset:2
	ds_read_b96 v[14:16], v10 offset:18
	s_waitcnt lgkmcnt(0)
	s_barrier
	s_waitcnt lgkmcnt(0)
                                        ; implicit-def: $vgpr22
	s_and_saveexec_b64 s[34:35], vcc
	s_cbranch_execnz .LBB672_61
; %bb.38:
	s_or_b64 exec, exec, s[34:35]
                                        ; implicit-def: $vgpr23
	s_and_saveexec_b64 s[34:35], s[4:5]
	s_cbranch_execnz .LBB672_62
.LBB672_39:
	s_or_b64 exec, exec, s[34:35]
                                        ; implicit-def: $vgpr24
	s_and_saveexec_b64 s[4:5], s[6:7]
	s_cbranch_execnz .LBB672_63
.LBB672_40:
	s_or_b64 exec, exec, s[4:5]
                                        ; implicit-def: $vgpr25
	s_and_saveexec_b64 s[4:5], s[8:9]
	s_cbranch_execnz .LBB672_64
.LBB672_41:
	s_or_b64 exec, exec, s[4:5]
                                        ; implicit-def: $vgpr26
	s_and_saveexec_b64 s[4:5], s[10:11]
	s_cbranch_execnz .LBB672_65
.LBB672_42:
	s_or_b64 exec, exec, s[4:5]
                                        ; implicit-def: $vgpr27
	s_and_saveexec_b64 s[4:5], s[12:13]
	s_cbranch_execnz .LBB672_66
.LBB672_43:
	s_or_b64 exec, exec, s[4:5]
                                        ; implicit-def: $vgpr28
	s_and_saveexec_b64 s[4:5], s[14:15]
	s_cbranch_execnz .LBB672_67
.LBB672_44:
	s_or_b64 exec, exec, s[4:5]
                                        ; implicit-def: $vgpr29
	s_and_saveexec_b64 s[4:5], s[16:17]
	s_cbranch_execnz .LBB672_68
.LBB672_45:
	s_or_b64 exec, exec, s[4:5]
                                        ; implicit-def: $vgpr30
	s_and_saveexec_b64 s[4:5], s[18:19]
	s_cbranch_execnz .LBB672_69
.LBB672_46:
	s_or_b64 exec, exec, s[4:5]
                                        ; implicit-def: $vgpr31
	s_and_saveexec_b64 s[4:5], s[20:21]
	s_cbranch_execnz .LBB672_70
.LBB672_47:
	s_or_b64 exec, exec, s[4:5]
                                        ; implicit-def: $vgpr13
	s_and_saveexec_b64 s[4:5], s[22:23]
	s_cbranch_execnz .LBB672_71
.LBB672_48:
	s_or_b64 exec, exec, s[4:5]
                                        ; implicit-def: $vgpr17
	s_and_saveexec_b64 s[4:5], s[24:25]
	s_cbranch_execnz .LBB672_72
.LBB672_49:
	s_or_b64 exec, exec, s[4:5]
                                        ; implicit-def: $vgpr18
	s_and_saveexec_b64 s[4:5], s[26:27]
	s_cbranch_execnz .LBB672_73
.LBB672_50:
	s_or_b64 exec, exec, s[4:5]
                                        ; implicit-def: $vgpr19
	s_and_saveexec_b64 s[4:5], s[28:29]
	s_cbranch_execnz .LBB672_74
.LBB672_51:
	s_or_b64 exec, exec, s[4:5]
                                        ; implicit-def: $vgpr20
	s_and_saveexec_b64 s[4:5], s[30:31]
	s_cbranch_execz .LBB672_53
.LBB672_52:
	v_lshlrev_b32_e32 v12, 1, v21
	v_add_co_u32_e32 v8, vcc, v8, v12
	v_addc_co_u32_e32 v9, vcc, 0, v9, vcc
	flat_load_ushort v20, v[8:9]
.LBB672_53:
	s_or_b64 exec, exec, s[4:5]
	v_mul_u32_u24_e32 v12, 15, v0
	s_waitcnt vmcnt(0) lgkmcnt(0)
	ds_write_b16 v11, v22
	ds_write_b16 v11, v23 offset:512
	ds_write_b16 v11, v24 offset:1024
	;; [unrolled: 1-line block ×14, first 2 shown]
	s_waitcnt lgkmcnt(0)
	s_barrier
.LBB672_54:
	v_lshlrev_b32_e32 v8, 1, v12
	ds_read_u16 v76, v10
	ds_read_u16 v75, v10 offset:2
	ds_read_u16 v73, v10 offset:6
	;; [unrolled: 1-line block ×14, first 2 shown]
	s_cmp_eq_u64 s[40:41], 0
	s_cselect_b64 s[38:39], -1, 0
	s_cmp_lg_u64 s[40:41], 0
	s_mov_b64 s[4:5], 0
	s_cselect_b64 s[30:31], -1, 0
	s_and_b64 vcc, exec, s[48:49]
	s_waitcnt lgkmcnt(0)
	s_barrier
	s_cbranch_vccz .LBB672_60
; %bb.55:
	s_and_b64 vcc, exec, s[30:31]
	s_cbranch_vccz .LBB672_75
; %bb.56:
	v_add_co_u32_e32 v8, vcc, -2, v6
	v_addc_co_u32_e32 v9, vcc, -1, v7, vcc
	flat_load_ushort v8, v[8:9]
	v_lshlrev_b32_e32 v9, 1, v0
	v_lshrrev_b32_e32 v10, 16, v16
	s_movk_i32 s48, 0x6667
	ds_write_b16 v9, v10
	v_mul_i32_i24_sdwa v10, sext(v16), s48 dst_sel:DWORD dst_unused:UNUSED_PAD src0_sel:WORD_0 src1_sel:DWORD
	v_lshrrev_b32_e32 v11, 31, v10
	v_ashrrev_i32_e32 v10, 18, v10
	v_add_u16_e32 v10, v10, v11
	v_mul_i32_i24_sdwa v11, sext(v16), s48 dst_sel:DWORD dst_unused:UNUSED_PAD src0_sel:WORD_1 src1_sel:DWORD
	v_lshrrev_b32_e32 v12, 31, v11
	v_ashrrev_i32_e32 v11, 18, v11
	v_add_u16_e32 v11, v11, v12
	v_cmp_ne_u16_e32 vcc, v10, v11
	v_mul_i32_i24_sdwa v11, sext(v15), s48 dst_sel:DWORD dst_unused:UNUSED_PAD src0_sel:WORD_1 src1_sel:DWORD
	v_lshrrev_b32_e32 v12, 31, v11
	v_ashrrev_i32_e32 v11, 18, v11
	v_add_u16_e32 v11, v11, v12
	v_cmp_ne_u16_e64 s[4:5], v11, v10
	v_mul_i32_i24_sdwa v10, sext(v15), s48 dst_sel:DWORD dst_unused:UNUSED_PAD src0_sel:WORD_0 src1_sel:DWORD
	v_lshrrev_b32_e32 v12, 31, v10
	v_ashrrev_i32_e32 v10, 18, v10
	v_add_u16_e32 v10, v10, v12
	v_cmp_ne_u16_e64 s[6:7], v10, v11
	v_mul_i32_i24_sdwa v11, sext(v14), s48 dst_sel:DWORD dst_unused:UNUSED_PAD src0_sel:WORD_1 src1_sel:DWORD
	v_lshrrev_b32_e32 v12, 31, v11
	v_ashrrev_i32_e32 v11, 18, v11
	v_add_u16_e32 v11, v11, v12
	v_cmp_ne_u16_e64 s[8:9], v11, v10
	v_mul_i32_i24_sdwa v10, sext(v14), s48 dst_sel:DWORD dst_unused:UNUSED_PAD src0_sel:WORD_0 src1_sel:DWORD
	v_lshrrev_b32_e32 v12, 31, v10
	v_ashrrev_i32_e32 v10, 18, v10
	v_add_u16_e32 v10, v10, v12
	v_cmp_ne_u16_e64 s[10:11], v10, v11
	;; [unrolled: 10-line block ×5, first 2 shown]
	v_mul_i32_i24_sdwa v11, sext(v2), s48 dst_sel:DWORD dst_unused:UNUSED_PAD src0_sel:WORD_1 src1_sel:DWORD
	v_lshrrev_b32_e32 v12, 31, v11
	v_ashrrev_i32_e32 v11, 18, v11
	v_add_u16_e32 v11, v11, v12
	v_cmp_ne_u16_e64 s[24:25], v11, v10
	v_mul_i32_i24_sdwa v10, sext(v2), s48 dst_sel:DWORD dst_unused:UNUSED_PAD src0_sel:WORD_0 src1_sel:DWORD
	v_lshrrev_b32_e32 v12, 31, v10
	v_ashrrev_i32_e32 v10, 18, v10
	v_add_u16_e32 v12, v10, v12
	v_mul_i32_i24_sdwa v10, sext(v1), s48 dst_sel:DWORD dst_unused:UNUSED_PAD src0_sel:WORD_0 src1_sel:DWORD
	v_cmp_ne_u16_e64 s[26:27], v12, v11
	v_lshrrev_b32_e32 v11, 31, v10
	v_ashrrev_i32_e32 v10, 18, v10
	v_add_u16_e32 v10, v10, v11
	v_cmp_ne_u16_e64 s[28:29], v10, v12
	s_waitcnt lgkmcnt(0)
	s_barrier
	s_and_saveexec_b64 s[34:35], s[2:3]
	s_cbranch_execz .LBB672_58
; %bb.57:
	s_waitcnt vmcnt(0)
	v_add_u32_e32 v8, -2, v9
	ds_read_u16 v8, v8
.LBB672_58:
	s_or_b64 exec, exec, s[34:35]
	s_waitcnt vmcnt(0) lgkmcnt(0)
	v_mul_i32_i24_sdwa v8, sext(v8), s48 dst_sel:DWORD dst_unused:UNUSED_PAD src0_sel:WORD_0 src1_sel:DWORD
	v_lshrrev_b32_e32 v9, 31, v8
	v_ashrrev_i32_e32 v8, 18, v8
	v_add_u16_e32 v8, v8, v9
	v_cndmask_b32_e64 v17, 0, 1, vcc
	v_cndmask_b32_e64 v19, 0, 1, s[4:5]
	v_cndmask_b32_e64 v18, 0, 1, s[6:7]
	;; [unrolled: 1-line block ×13, first 2 shown]
	v_cmp_ne_u16_e64 s[8:9], v8, v10
	s_mov_b64 s[4:5], -1
.LBB672_59:
                                        ; implicit-def: $sgpr10
	s_branch .LBB672_114
.LBB672_60:
                                        ; implicit-def: $sgpr8_sgpr9
                                        ; implicit-def: $vgpr17
                                        ; implicit-def: $vgpr19
                                        ; implicit-def: $vgpr18
                                        ; implicit-def: $vgpr21
                                        ; implicit-def: $vgpr20
                                        ; implicit-def: $vgpr23
                                        ; implicit-def: $vgpr22
                                        ; implicit-def: $vgpr25
                                        ; implicit-def: $vgpr24
                                        ; implicit-def: $vgpr27
                                        ; implicit-def: $vgpr26
                                        ; implicit-def: $vgpr29
                                        ; implicit-def: $vgpr28
                                        ; implicit-def: $vgpr31
                                        ; implicit-def: $sgpr10
	s_cbranch_execnz .LBB672_79
	s_branch .LBB672_114
.LBB672_61:
	v_add_co_u32_e32 v22, vcc, v8, v11
	v_addc_co_u32_e32 v23, vcc, 0, v9, vcc
	flat_load_ushort v22, v[22:23]
	s_or_b64 exec, exec, s[34:35]
                                        ; implicit-def: $vgpr23
	s_and_saveexec_b64 s[34:35], s[4:5]
	s_cbranch_execz .LBB672_39
.LBB672_62:
	v_add_co_u32_e32 v24, vcc, v8, v11
	v_addc_co_u32_e32 v25, vcc, 0, v9, vcc
	flat_load_ushort v23, v[24:25] offset:512
	s_or_b64 exec, exec, s[34:35]
                                        ; implicit-def: $vgpr24
	s_and_saveexec_b64 s[4:5], s[6:7]
	s_cbranch_execz .LBB672_40
.LBB672_63:
	v_add_co_u32_e32 v24, vcc, v8, v11
	v_addc_co_u32_e32 v25, vcc, 0, v9, vcc
	flat_load_ushort v24, v[24:25] offset:1024
	s_or_b64 exec, exec, s[4:5]
                                        ; implicit-def: $vgpr25
	s_and_saveexec_b64 s[4:5], s[8:9]
	s_cbranch_execz .LBB672_41
.LBB672_64:
	v_add_co_u32_e32 v26, vcc, v8, v11
	v_addc_co_u32_e32 v27, vcc, 0, v9, vcc
	flat_load_ushort v25, v[26:27] offset:1536
	s_or_b64 exec, exec, s[4:5]
                                        ; implicit-def: $vgpr26
	s_and_saveexec_b64 s[4:5], s[10:11]
	s_cbranch_execz .LBB672_42
.LBB672_65:
	v_add_co_u32_e32 v26, vcc, v8, v11
	v_addc_co_u32_e32 v27, vcc, 0, v9, vcc
	flat_load_ushort v26, v[26:27] offset:2048
	s_or_b64 exec, exec, s[4:5]
                                        ; implicit-def: $vgpr27
	s_and_saveexec_b64 s[4:5], s[12:13]
	s_cbranch_execz .LBB672_43
.LBB672_66:
	v_add_co_u32_e32 v28, vcc, v8, v11
	v_addc_co_u32_e32 v29, vcc, 0, v9, vcc
	flat_load_ushort v27, v[28:29] offset:2560
	s_or_b64 exec, exec, s[4:5]
                                        ; implicit-def: $vgpr28
	s_and_saveexec_b64 s[4:5], s[14:15]
	s_cbranch_execz .LBB672_44
.LBB672_67:
	v_add_co_u32_e32 v28, vcc, v8, v11
	v_addc_co_u32_e32 v29, vcc, 0, v9, vcc
	flat_load_ushort v28, v[28:29] offset:3072
	s_or_b64 exec, exec, s[4:5]
                                        ; implicit-def: $vgpr29
	s_and_saveexec_b64 s[4:5], s[16:17]
	s_cbranch_execz .LBB672_45
.LBB672_68:
	v_add_co_u32_e32 v30, vcc, v8, v11
	v_addc_co_u32_e32 v31, vcc, 0, v9, vcc
	flat_load_ushort v29, v[30:31] offset:3584
	s_or_b64 exec, exec, s[4:5]
                                        ; implicit-def: $vgpr30
	s_and_saveexec_b64 s[4:5], s[18:19]
	s_cbranch_execz .LBB672_46
.LBB672_69:
	v_lshlrev_b32_e32 v12, 1, v12
	v_add_co_u32_e32 v30, vcc, v8, v12
	v_addc_co_u32_e32 v31, vcc, 0, v9, vcc
	flat_load_ushort v30, v[30:31]
	s_or_b64 exec, exec, s[4:5]
                                        ; implicit-def: $vgpr31
	s_and_saveexec_b64 s[4:5], s[20:21]
	s_cbranch_execz .LBB672_47
.LBB672_70:
	v_lshlrev_b32_e32 v12, 1, v13
	v_add_co_u32_e32 v12, vcc, v8, v12
	v_addc_co_u32_e32 v13, vcc, 0, v9, vcc
	flat_load_ushort v31, v[12:13]
	s_or_b64 exec, exec, s[4:5]
                                        ; implicit-def: $vgpr13
	s_and_saveexec_b64 s[4:5], s[22:23]
	s_cbranch_execz .LBB672_48
.LBB672_71:
	v_lshlrev_b32_e32 v12, 1, v17
	v_add_co_u32_e32 v12, vcc, v8, v12
	v_addc_co_u32_e32 v13, vcc, 0, v9, vcc
	flat_load_ushort v13, v[12:13]
	s_or_b64 exec, exec, s[4:5]
                                        ; implicit-def: $vgpr17
	s_and_saveexec_b64 s[4:5], s[24:25]
	s_cbranch_execz .LBB672_49
.LBB672_72:
	v_lshlrev_b32_e32 v12, 1, v18
	v_add_co_u32_e32 v32, vcc, v8, v12
	v_addc_co_u32_e32 v33, vcc, 0, v9, vcc
	flat_load_ushort v17, v[32:33]
	s_or_b64 exec, exec, s[4:5]
                                        ; implicit-def: $vgpr18
	s_and_saveexec_b64 s[4:5], s[26:27]
	s_cbranch_execz .LBB672_50
.LBB672_73:
	v_lshlrev_b32_e32 v12, 1, v19
	v_add_co_u32_e32 v18, vcc, v8, v12
	v_addc_co_u32_e32 v19, vcc, 0, v9, vcc
	flat_load_ushort v18, v[18:19]
	s_or_b64 exec, exec, s[4:5]
                                        ; implicit-def: $vgpr19
	s_and_saveexec_b64 s[4:5], s[28:29]
	s_cbranch_execz .LBB672_51
.LBB672_74:
	v_lshlrev_b32_e32 v12, 1, v20
	v_add_co_u32_e32 v32, vcc, v8, v12
	v_addc_co_u32_e32 v33, vcc, 0, v9, vcc
	flat_load_ushort v19, v[32:33]
	s_or_b64 exec, exec, s[4:5]
                                        ; implicit-def: $vgpr20
	s_and_saveexec_b64 s[4:5], s[30:31]
	s_cbranch_execnz .LBB672_52
	s_branch .LBB672_53
.LBB672_75:
                                        ; implicit-def: $sgpr8_sgpr9
                                        ; implicit-def: $vgpr17
                                        ; implicit-def: $vgpr19
                                        ; implicit-def: $vgpr18
                                        ; implicit-def: $vgpr21
                                        ; implicit-def: $vgpr20
                                        ; implicit-def: $vgpr23
                                        ; implicit-def: $vgpr22
                                        ; implicit-def: $vgpr25
                                        ; implicit-def: $vgpr24
                                        ; implicit-def: $vgpr27
                                        ; implicit-def: $vgpr26
                                        ; implicit-def: $vgpr29
                                        ; implicit-def: $vgpr28
                                        ; implicit-def: $vgpr31
	s_cbranch_execz .LBB672_59
; %bb.76:
	v_lshlrev_b32_e32 v8, 1, v0
	v_lshrrev_b32_e32 v9, 16, v16
	s_movk_i32 s6, 0x6667
	ds_write_b16 v8, v9
	v_mul_i32_i24_sdwa v9, sext(v16), s6 dst_sel:DWORD dst_unused:UNUSED_PAD src0_sel:WORD_0 src1_sel:DWORD
	v_lshrrev_b32_e32 v10, 31, v9
	v_ashrrev_i32_e32 v9, 18, v9
	v_add_u16_e32 v9, v9, v10
	v_mul_i32_i24_sdwa v10, sext(v16), s6 dst_sel:DWORD dst_unused:UNUSED_PAD src0_sel:WORD_1 src1_sel:DWORD
	v_lshrrev_b32_e32 v11, 31, v10
	v_ashrrev_i32_e32 v10, 18, v10
	v_add_u16_e32 v10, v10, v11
	v_cmp_ne_u16_e32 vcc, v9, v10
	v_mul_i32_i24_sdwa v10, sext(v15), s6 dst_sel:DWORD dst_unused:UNUSED_PAD src0_sel:WORD_1 src1_sel:DWORD
	v_lshrrev_b32_e32 v11, 31, v10
	v_ashrrev_i32_e32 v10, 18, v10
	v_add_u16_e32 v10, v10, v11
	v_cndmask_b32_e64 v17, 0, 1, vcc
	v_cmp_ne_u16_e32 vcc, v10, v9
	v_mul_i32_i24_sdwa v9, sext(v15), s6 dst_sel:DWORD dst_unused:UNUSED_PAD src0_sel:WORD_0 src1_sel:DWORD
	v_lshrrev_b32_e32 v11, 31, v9
	v_ashrrev_i32_e32 v9, 18, v9
	v_add_u16_e32 v9, v9, v11
	v_cndmask_b32_e64 v19, 0, 1, vcc
	v_cmp_ne_u16_e32 vcc, v9, v10
	v_mul_i32_i24_sdwa v10, sext(v14), s6 dst_sel:DWORD dst_unused:UNUSED_PAD src0_sel:WORD_1 src1_sel:DWORD
	v_lshrrev_b32_e32 v11, 31, v10
	v_ashrrev_i32_e32 v10, 18, v10
	v_add_u16_e32 v10, v10, v11
	v_cndmask_b32_e64 v18, 0, 1, vcc
	v_cmp_ne_u16_e32 vcc, v10, v9
	v_mul_i32_i24_sdwa v9, sext(v14), s6 dst_sel:DWORD dst_unused:UNUSED_PAD src0_sel:WORD_0 src1_sel:DWORD
	v_lshrrev_b32_e32 v11, 31, v9
	v_ashrrev_i32_e32 v9, 18, v9
	v_add_u16_e32 v9, v9, v11
	v_cndmask_b32_e64 v21, 0, 1, vcc
	;; [unrolled: 12-line block ×5, first 2 shown]
	v_cmp_ne_u16_e32 vcc, v9, v10
	v_mul_i32_i24_sdwa v10, sext(v2), s6 dst_sel:DWORD dst_unused:UNUSED_PAD src0_sel:WORD_1 src1_sel:DWORD
	v_lshrrev_b32_e32 v11, 31, v10
	v_ashrrev_i32_e32 v10, 18, v10
	v_add_u16_e32 v10, v10, v11
	v_cndmask_b32_e64 v26, 0, 1, vcc
	v_cmp_ne_u16_e32 vcc, v10, v9
	v_mul_i32_i24_sdwa v9, sext(v2), s6 dst_sel:DWORD dst_unused:UNUSED_PAD src0_sel:WORD_0 src1_sel:DWORD
	v_lshrrev_b32_e32 v11, 31, v9
	v_ashrrev_i32_e32 v9, 18, v9
	v_add_u16_e32 v11, v9, v11
	v_mul_i32_i24_sdwa v9, sext(v1), s6 dst_sel:DWORD dst_unused:UNUSED_PAD src0_sel:WORD_0 src1_sel:DWORD
	v_cndmask_b32_e64 v29, 0, 1, vcc
	v_cmp_ne_u16_e32 vcc, v11, v10
	v_lshrrev_b32_e32 v10, 31, v9
	v_ashrrev_i32_e32 v9, 18, v9
	v_add_u16_e32 v9, v9, v10
	v_cndmask_b32_e64 v28, 0, 1, vcc
	v_cmp_ne_u16_e32 vcc, v9, v11
	s_mov_b32 s10, 1
	v_cndmask_b32_e64 v31, 0, 1, vcc
	s_waitcnt lgkmcnt(0)
	s_barrier
	s_waitcnt lgkmcnt(0)
                                        ; implicit-def: $sgpr8_sgpr9
	s_and_saveexec_b64 s[6:7], s[2:3]
	s_xor_b64 s[6:7], exec, s[6:7]
	s_cbranch_execz .LBB672_78
; %bb.77:
	v_add_u32_e32 v8, -2, v8
	ds_read_i16 v8, v8
	s_or_b64 s[4:5], s[4:5], exec
	s_waitcnt lgkmcnt(0)
	v_mul_i32_i24_e32 v8, 0x6667, v8
	v_lshrrev_b32_e32 v10, 31, v8
	v_ashrrev_i32_e32 v8, 18, v8
	v_add_u16_e32 v8, v8, v10
	v_cmp_ne_u16_e32 vcc, v8, v9
	s_and_b64 s[8:9], vcc, exec
.LBB672_78:
	s_or_b64 exec, exec, s[6:7]
	s_branch .LBB672_114
.LBB672_79:
	s_mul_hi_u32 s7, s40, 0xfffff100
	s_mul_i32 s6, s41, 0xfffff100
	s_sub_i32 s7, s7, s40
	s_add_i32 s7, s7, s6
	s_mul_i32 s6, s40, 0xfffff100
	s_add_u32 s6, s6, s56
	s_addc_u32 s7, s7, s57
	s_and_b64 vcc, exec, s[30:31]
	s_cbranch_vccz .LBB672_223
; %bb.80:
	v_add_co_u32_e32 v6, vcc, -2, v6
	v_addc_co_u32_e32 v7, vcc, -1, v7, vcc
	flat_load_ushort v8, v[6:7]
	v_mad_u32_u24 v18, v0, 15, 14
	v_mov_b32_e32 v19, 0
	v_lshlrev_b32_e32 v7, 1, v0
	v_lshrrev_b32_e32 v9, 16, v16
	v_mul_u32_u24_e32 v6, 15, v0
	v_cmp_gt_u64_e32 vcc, s[6:7], v[18:19]
	v_mov_b32_e32 v17, 0
	ds_write_b16 v7, v9
	s_and_saveexec_b64 s[4:5], vcc
; %bb.81:
	s_movk_i32 s8, 0x6667
	v_mul_i32_i24_sdwa v10, sext(v16), s8 dst_sel:DWORD dst_unused:UNUSED_PAD src0_sel:WORD_0 src1_sel:DWORD
	v_lshrrev_b32_e32 v11, 31, v10
	v_ashrrev_i32_e32 v10, 18, v10
	v_mul_i32_i24_sdwa v9, sext(v9), s8 dst_sel:DWORD dst_unused:UNUSED_PAD src0_sel:WORD_0 src1_sel:DWORD
	v_add_u16_e32 v10, v10, v11
	v_lshrrev_b32_e32 v11, 31, v9
	v_ashrrev_i32_e32 v9, 18, v9
	v_add_u16_e32 v9, v9, v11
	v_cmp_ne_u16_e32 vcc, v10, v9
	v_cndmask_b32_e64 v17, 0, 1, vcc
; %bb.82:
	s_or_b64 exec, exec, s[4:5]
	v_add_u32_e32 v18, 13, v6
	v_cmp_gt_u64_e32 vcc, s[6:7], v[18:19]
	s_and_saveexec_b64 s[4:5], vcc
; %bb.83:
	s_movk_i32 s8, 0x6667
	v_mul_i32_i24_sdwa v9, sext(v15), s8 dst_sel:DWORD dst_unused:UNUSED_PAD src0_sel:WORD_1 src1_sel:DWORD
	v_lshrrev_b32_e32 v10, 31, v9
	v_ashrrev_i32_e32 v9, 18, v9
	v_add_u16_e32 v9, v9, v10
	v_mul_i32_i24_sdwa v10, sext(v16), s8 dst_sel:DWORD dst_unused:UNUSED_PAD src0_sel:WORD_0 src1_sel:DWORD
	v_lshrrev_b32_e32 v11, 31, v10
	v_ashrrev_i32_e32 v10, 18, v10
	v_add_u16_e32 v10, v10, v11
	v_cmp_ne_u16_e32 vcc, v9, v10
	v_cndmask_b32_e64 v19, 0, 1, vcc
; %bb.84:
	s_or_b64 exec, exec, s[4:5]
	v_add_u32_e32 v20, 12, v6
	v_mov_b32_e32 v21, 0
	v_cmp_gt_u64_e32 vcc, s[6:7], v[20:21]
	v_mov_b32_e32 v18, 0
	s_and_saveexec_b64 s[4:5], vcc
; %bb.85:
	s_movk_i32 s8, 0x6667
	v_mul_i32_i24_sdwa v9, sext(v15), s8 dst_sel:DWORD dst_unused:UNUSED_PAD src0_sel:WORD_0 src1_sel:DWORD
	v_lshrrev_b32_e32 v10, 31, v9
	v_ashrrev_i32_e32 v9, 18, v9
	v_add_u16_e32 v9, v9, v10
	v_mul_i32_i24_sdwa v10, sext(v15), s8 dst_sel:DWORD dst_unused:UNUSED_PAD src0_sel:WORD_1 src1_sel:DWORD
	v_lshrrev_b32_e32 v11, 31, v10
	v_ashrrev_i32_e32 v10, 18, v10
	v_add_u16_e32 v10, v10, v11
	v_cmp_ne_u16_e32 vcc, v9, v10
	v_cndmask_b32_e64 v18, 0, 1, vcc
; %bb.86:
	s_or_b64 exec, exec, s[4:5]
	v_add_u32_e32 v20, 11, v6
	v_cmp_gt_u64_e32 vcc, s[6:7], v[20:21]
	s_and_saveexec_b64 s[4:5], vcc
; %bb.87:
	s_movk_i32 s8, 0x6667
	v_mul_i32_i24_sdwa v9, sext(v14), s8 dst_sel:DWORD dst_unused:UNUSED_PAD src0_sel:WORD_1 src1_sel:DWORD
	v_lshrrev_b32_e32 v10, 31, v9
	v_ashrrev_i32_e32 v9, 18, v9
	v_add_u16_e32 v9, v9, v10
	v_mul_i32_i24_sdwa v10, sext(v15), s8 dst_sel:DWORD dst_unused:UNUSED_PAD src0_sel:WORD_0 src1_sel:DWORD
	v_lshrrev_b32_e32 v11, 31, v10
	v_ashrrev_i32_e32 v10, 18, v10
	v_add_u16_e32 v10, v10, v11
	v_cmp_ne_u16_e32 vcc, v9, v10
	v_cndmask_b32_e64 v21, 0, 1, vcc
; %bb.88:
	s_or_b64 exec, exec, s[4:5]
	v_add_u32_e32 v22, 10, v6
	v_mov_b32_e32 v23, 0
	v_cmp_gt_u64_e32 vcc, s[6:7], v[22:23]
	v_mov_b32_e32 v20, 0
	s_and_saveexec_b64 s[4:5], vcc
; %bb.89:
	s_movk_i32 s8, 0x6667
	v_mul_i32_i24_sdwa v9, sext(v14), s8 dst_sel:DWORD dst_unused:UNUSED_PAD src0_sel:WORD_0 src1_sel:DWORD
	v_lshrrev_b32_e32 v10, 31, v9
	v_ashrrev_i32_e32 v9, 18, v9
	v_add_u16_e32 v9, v9, v10
	v_mul_i32_i24_sdwa v10, sext(v14), s8 dst_sel:DWORD dst_unused:UNUSED_PAD src0_sel:WORD_1 src1_sel:DWORD
	;; [unrolled: 36-line block ×6, first 2 shown]
	v_lshrrev_b32_e32 v11, 31, v10
	v_ashrrev_i32_e32 v10, 18, v10
	v_add_u16_e32 v10, v10, v11
	v_cmp_ne_u16_e32 vcc, v9, v10
	v_cndmask_b32_e64 v28, 0, 1, vcc
; %bb.106:
	s_or_b64 exec, exec, s[4:5]
	v_add_u32_e32 v30, 1, v6
	v_cmp_gt_u64_e32 vcc, s[6:7], v[30:31]
	s_and_saveexec_b64 s[4:5], vcc
; %bb.107:
	s_movk_i32 s8, 0x6667
	v_mul_i32_i24_sdwa v9, sext(v1), s8 dst_sel:DWORD dst_unused:UNUSED_PAD src0_sel:WORD_0 src1_sel:DWORD
	v_lshrrev_b32_e32 v10, 31, v9
	v_ashrrev_i32_e32 v9, 18, v9
	v_add_u16_e32 v9, v9, v10
	v_mul_i32_i24_sdwa v10, sext(v2), s8 dst_sel:DWORD dst_unused:UNUSED_PAD src0_sel:WORD_0 src1_sel:DWORD
	v_lshrrev_b32_e32 v11, 31, v10
	v_ashrrev_i32_e32 v10, 18, v10
	v_add_u16_e32 v10, v10, v11
	v_cmp_ne_u16_e32 vcc, v9, v10
	v_cndmask_b32_e64 v31, 0, 1, vcc
; %bb.108:
	s_or_b64 exec, exec, s[4:5]
	s_waitcnt lgkmcnt(0)
	s_barrier
	s_and_saveexec_b64 s[4:5], s[2:3]
	s_cbranch_execz .LBB672_110
; %bb.109:
	v_add_u32_e32 v7, -2, v7
	s_waitcnt vmcnt(0)
	ds_read_u16 v8, v7
.LBB672_110:
	s_or_b64 exec, exec, s[4:5]
	v_mov_b32_e32 v7, 0
	v_cmp_gt_u64_e32 vcc, s[6:7], v[6:7]
	s_mov_b64 s[10:11], 0
	s_mov_b64 s[8:9], 0
	s_and_saveexec_b64 s[4:5], vcc
	s_cbranch_execz .LBB672_112
; %bb.111:
	s_movk_i32 s8, 0x6667
	s_waitcnt vmcnt(0) lgkmcnt(0)
	v_mul_i32_i24_sdwa v6, sext(v8), s8 dst_sel:DWORD dst_unused:UNUSED_PAD src0_sel:WORD_0 src1_sel:DWORD
	v_lshrrev_b32_e32 v7, 31, v6
	v_ashrrev_i32_e32 v6, 18, v6
	v_add_u16_e32 v6, v6, v7
	v_mul_i32_i24_sdwa v7, sext(v1), s8 dst_sel:DWORD dst_unused:UNUSED_PAD src0_sel:WORD_0 src1_sel:DWORD
	v_lshrrev_b32_e32 v8, 31, v7
	v_ashrrev_i32_e32 v7, 18, v7
	v_add_u16_e32 v7, v7, v8
	v_cmp_ne_u16_e32 vcc, v6, v7
	s_and_b64 s[8:9], vcc, exec
.LBB672_112:
	s_or_b64 exec, exec, s[4:5]
	s_mov_b64 s[4:5], -1
	s_and_b64 vcc, exec, s[10:11]
	s_cbranch_vccnz .LBB672_224
.LBB672_113:
                                        ; implicit-def: $sgpr10
.LBB672_114:
	v_mov_b32_e32 v79, s10
	s_and_saveexec_b64 s[2:3], s[4:5]
.LBB672_115:
	v_cndmask_b32_e64 v79, 0, 1, s[8:9]
.LBB672_116:
	s_or_b64 exec, exec, s[2:3]
	s_cmp_eq_u64 s[46:47], 0
	v_add3_u32 v6, v31, v79, v28
	s_cselect_b64 s[30:31], -1, 0
	s_cmp_lg_u32 s62, 0
	v_cmp_eq_u32_e64 s[26:27], 0, v31
	v_cmp_eq_u32_e64 s[24:25], 0, v28
	;; [unrolled: 1-line block ×3, first 2 shown]
	v_add3_u32 v83, v6, v29, v26
	v_cmp_eq_u32_e64 s[20:21], 0, v26
	v_cmp_eq_u32_e64 s[18:19], 0, v27
	;; [unrolled: 1-line block ×10, first 2 shown]
	v_cmp_eq_u32_e32 vcc, 0, v17
	v_mbcnt_lo_u32_b32 v82, -1, 0
	v_lshrrev_b32_e32 v80, 6, v0
	v_or_b32_e32 v81, 63, v0
	s_cbranch_scc0 .LBB672_147
; %bb.117:
	v_cndmask_b32_e64 v6, 0, v76, s[26:27]
	v_add_u16_e32 v6, v6, v75
	v_cndmask_b32_e64 v6, 0, v6, s[24:25]
	v_add_u16_e32 v6, v6, v77
	;; [unrolled: 2-line block ×11, first 2 shown]
	v_cndmask_b32_e64 v6, 0, v6, s[4:5]
	v_add3_u32 v7, v83, v27, v24
	v_add_u16_e32 v6, v6, v66
	v_add3_u32 v7, v7, v25, v22
	v_cndmask_b32_e64 v6, 0, v6, s[2:3]
	v_add3_u32 v7, v7, v23, v20
	v_add_u16_e32 v6, v6, v64
	v_add3_u32 v7, v7, v21, v18
	v_cndmask_b32_e32 v6, 0, v6, vcc
	v_add3_u32 v7, v7, v19, v17
	v_add_u16_e32 v6, v6, v78
	v_mbcnt_hi_u32_b32 v33, -1, v82
	s_waitcnt vmcnt(0) lgkmcnt(0)
	v_and_b32_e32 v8, 15, v33
	v_mov_b32_dpp v10, v6 row_shr:1 row_mask:0xf bank_mask:0xf
	v_cmp_eq_u32_e32 vcc, 0, v7
	v_mov_b32_dpp v9, v7 row_shr:1 row_mask:0xf bank_mask:0xf
	v_cndmask_b32_e32 v10, 0, v10, vcc
	v_cmp_eq_u32_e32 vcc, 0, v8
	v_add_u16_e32 v10, v10, v6
	v_cndmask_b32_e64 v9, v9, 0, vcc
	v_add_u32_e32 v7, v9, v7
	v_cndmask_b32_e32 v6, v10, v6, vcc
	v_cmp_eq_u32_e32 vcc, 0, v7
	v_mov_b32_dpp v9, v7 row_shr:2 row_mask:0xf bank_mask:0xf
	v_mov_b32_dpp v10, v6 row_shr:2 row_mask:0xf bank_mask:0xf
	v_cndmask_b32_e32 v10, 0, v10, vcc
	v_cmp_lt_u32_e32 vcc, 1, v8
	v_add_u16_e32 v10, v10, v6
	v_cndmask_b32_e32 v9, 0, v9, vcc
	v_cndmask_b32_e32 v6, v6, v10, vcc
	v_add_u32_e32 v7, v7, v9
	v_cmp_eq_u32_e32 vcc, 0, v7
	v_mov_b32_dpp v10, v6 row_shr:4 row_mask:0xf bank_mask:0xf
	v_mov_b32_dpp v9, v7 row_shr:4 row_mask:0xf bank_mask:0xf
	v_cndmask_b32_e32 v10, 0, v10, vcc
	v_cmp_lt_u32_e32 vcc, 3, v8
	v_add_u16_e32 v10, v10, v6
	v_cndmask_b32_e32 v9, 0, v9, vcc
	v_cndmask_b32_e32 v6, v6, v10, vcc
	v_add_u32_e32 v7, v9, v7
	;; [unrolled: 9-line block ×3, first 2 shown]
	v_bfe_i32 v10, v33, 4, 1
	v_mov_b32_dpp v9, v6 row_bcast:15 row_mask:0xf bank_mask:0xf
	v_mov_b32_dpp v8, v7 row_bcast:15 row_mask:0xf bank_mask:0xf
	v_cmp_eq_u32_e32 vcc, 0, v7
	v_and_b32_e32 v11, 16, v33
	v_cndmask_b32_e32 v9, 0, v9, vcc
	v_and_b32_e32 v8, v10, v8
	v_add_u16_e32 v9, v9, v6
	v_add_u32_e32 v7, v8, v7
	v_cmp_eq_u32_e32 vcc, 0, v11
	v_cndmask_b32_e32 v8, v9, v6, vcc
	v_mov_b32_dpp v6, v7 row_bcast:31 row_mask:0xf bank_mask:0xf
	v_cmp_eq_u32_e32 vcc, 0, v7
	v_cmp_lt_u32_e64 s[28:29], 31, v33
	v_mov_b32_dpp v9, v8 row_bcast:31 row_mask:0xf bank_mask:0xf
	v_cndmask_b32_e64 v6, 0, v6, s[28:29]
	s_and_b64 vcc, s[28:29], vcc
	v_add_u32_e32 v6, v6, v7
	v_cndmask_b32_e32 v7, 0, v9, vcc
	v_add_u16_e32 v7, v7, v8
	v_cmp_eq_u32_e32 vcc, v81, v0
	v_lshlrev_b32_e32 v8, 3, v80
	s_and_saveexec_b64 s[28:29], vcc
	s_cbranch_execz .LBB672_119
; %bb.118:
	ds_write_b32 v8, v6 offset:1040
	ds_write_b16 v8, v7 offset:1044
.LBB672_119:
	s_or_b64 exec, exec, s[28:29]
	v_cmp_gt_u32_e32 vcc, 4, v0
	s_waitcnt lgkmcnt(0)
	s_barrier
	s_and_saveexec_b64 s[34:35], vcc
	s_cbranch_execz .LBB672_121
; %bb.120:
	v_lshlrev_b32_e32 v9, 3, v0
	ds_read_b64 v[10:11], v9 offset:1040
	v_and_b32_e32 v12, 3, v33
	s_mov_b32 s28, 0xffff0000
	s_waitcnt lgkmcnt(0)
	v_mov_b32_dpp v30, v11 row_shr:1 row_mask:0xf bank_mask:0xf
	v_cmp_eq_u32_e32 vcc, 0, v10
	v_mov_b32_dpp v13, v10 row_shr:1 row_mask:0xf bank_mask:0xf
	v_cndmask_b32_e32 v30, 0, v30, vcc
	v_cmp_eq_u32_e32 vcc, 0, v12
	v_add_u16_e32 v30, v30, v11
	v_cndmask_b32_e64 v13, v13, 0, vcc
	v_and_or_b32 v32, v11, s28, v30
	v_add_u32_e32 v10, v13, v10
	v_cndmask_b32_e32 v13, v30, v11, vcc
	v_cndmask_b32_e32 v11, v32, v11, vcc
	v_mov_b32_dpp v30, v10 row_shr:2 row_mask:0xf bank_mask:0xf
	v_cmp_eq_u32_e32 vcc, 0, v10
	v_cmp_lt_u32_e64 s[28:29], 1, v12
	v_mov_b32_dpp v11, v11 row_shr:2 row_mask:0xf bank_mask:0xf
	v_cndmask_b32_e64 v12, 0, v30, s[28:29]
	s_and_b64 vcc, s[28:29], vcc
	v_add_u32_e32 v10, v12, v10
	v_cndmask_b32_e32 v11, 0, v11, vcc
	v_add_u16_e32 v11, v13, v11
	ds_write_b32 v9, v10 offset:1040
	ds_write_b16 v9, v11 offset:1044
.LBB672_121:
	s_or_b64 exec, exec, s[34:35]
	v_cmp_gt_u32_e32 vcc, 64, v0
	v_cmp_lt_u32_e64 s[28:29], 63, v0
	v_mov_b32_e32 v30, 0
	v_mov_b32_e32 v36, 0
	s_waitcnt lgkmcnt(0)
	s_barrier
	s_and_saveexec_b64 s[34:35], s[28:29]
	s_cbranch_execz .LBB672_123
; %bb.122:
	ds_read_b32 v30, v8 offset:1032
	ds_read_u16 v36, v8 offset:1036
	v_cmp_eq_u32_e64 s[28:29], 0, v6
	s_waitcnt lgkmcnt(1)
	v_add_u32_e32 v8, v30, v6
	s_waitcnt lgkmcnt(0)
	v_cndmask_b32_e64 v6, 0, v36, s[28:29]
	v_add_u16_e32 v7, v6, v7
	v_mov_b32_e32 v6, v8
.LBB672_123:
	s_or_b64 exec, exec, s[34:35]
	v_add_u32_e32 v8, -1, v33
	v_and_b32_e32 v9, 64, v33
	v_cmp_lt_i32_e64 s[28:29], v8, v9
	v_cndmask_b32_e64 v8, v8, v33, s[28:29]
	v_and_b32_e32 v7, 0xffff, v7
	v_lshlrev_b32_e32 v8, 2, v8
	ds_bpermute_b32 v37, v8, v6
	ds_bpermute_b32 v38, v8, v7
	v_cmp_eq_u32_e64 s[28:29], 0, v33
	s_and_saveexec_b64 s[34:35], vcc
	s_cbranch_execz .LBB672_146
; %bb.124:
	v_mov_b32_e32 v9, 0
	ds_read_b64 v[6:7], v9 offset:1064
	s_waitcnt lgkmcnt(0)
	v_readfirstlane_b32 s48, v7
	s_and_saveexec_b64 s[40:41], s[28:29]
	s_cbranch_execz .LBB672_126
; %bb.125:
	s_add_i32 s46, s62, 64
	s_mov_b32 s47, 0
	s_lshl_b64 s[50:51], s[46:47], 4
	s_add_u32 s50, s44, s50
	s_addc_u32 s51, s45, s51
	s_and_b32 s57, s48, 0xff000000
	s_mov_b32 s56, s47
	s_and_b32 s65, s48, 0xff0000
	s_mov_b32 s64, s47
	s_or_b64 s[56:57], s[64:65], s[56:57]
	s_and_b32 s65, s48, 0xff00
	s_or_b64 s[56:57], s[56:57], s[64:65]
	s_and_b32 s65, s48, 0xff
	s_or_b64 s[46:47], s[56:57], s[64:65]
	v_mov_b32_e32 v7, s47
	v_mov_b32_e32 v8, 1
	v_pk_mov_b32 v[10:11], s[50:51], s[50:51] op_sel:[0,1]
	;;#ASMSTART
	global_store_dwordx4 v[10:11], v[6:9] off	
s_waitcnt vmcnt(0)
	;;#ASMEND
.LBB672_126:
	s_or_b64 exec, exec, s[40:41]
	v_xad_u32 v32, v33, -1, s62
	v_add_u32_e32 v8, 64, v32
	v_lshlrev_b64 v[10:11], 4, v[8:9]
	v_mov_b32_e32 v7, s45
	v_add_co_u32_e32 v34, vcc, s44, v10
	v_addc_co_u32_e32 v35, vcc, v7, v11, vcc
	;;#ASMSTART
	global_load_dwordx4 v[10:13], v[34:35] off glc	
s_waitcnt vmcnt(0)
	;;#ASMEND
	v_and_b32_e32 v7, 0xffffff, v10
	v_and_b32_e32 v8, 0xff000000, v10
	v_or_b32_e32 v7, v7, v8
	v_and_b32_e32 v8, 0xff, v11
	v_and_b32_e32 v10, 0xff00, v11
	v_or3_b32 v11, 0, v8, v10
	v_or3_b32 v10, v7, 0, 0
	v_cmp_eq_u16_sdwa s[46:47], v12, v9 src0_sel:BYTE_0 src1_sel:DWORD
	s_and_saveexec_b64 s[40:41], s[46:47]
	s_cbranch_execz .LBB672_132
; %bb.127:
	s_mov_b32 s49, 1
	s_mov_b64 s[46:47], 0
	v_mov_b32_e32 v7, 0
.LBB672_128:                            ; =>This Loop Header: Depth=1
                                        ;     Child Loop BB672_129 Depth 2
	s_max_u32 s50, s49, 1
.LBB672_129:                            ;   Parent Loop BB672_128 Depth=1
                                        ; =>  This Inner Loop Header: Depth=2
	s_add_i32 s50, s50, -1
	s_cmp_eq_u32 s50, 0
	s_sleep 1
	s_cbranch_scc0 .LBB672_129
; %bb.130:                              ;   in Loop: Header=BB672_128 Depth=1
	s_cmp_lt_u32 s49, 32
	s_cselect_b64 s[50:51], -1, 0
	s_cmp_lg_u64 s[50:51], 0
	s_addc_u32 s49, s49, 0
	;;#ASMSTART
	global_load_dwordx4 v[10:13], v[34:35] off glc	
s_waitcnt vmcnt(0)
	;;#ASMEND
	v_cmp_ne_u16_sdwa s[50:51], v12, v7 src0_sel:BYTE_0 src1_sel:DWORD
	s_or_b64 s[46:47], s[50:51], s[46:47]
	s_andn2_b64 exec, exec, s[46:47]
	s_cbranch_execnz .LBB672_128
; %bb.131:
	s_or_b64 exec, exec, s[46:47]
	v_and_b32_e32 v11, 0xffff, v11
.LBB672_132:
	s_or_b64 exec, exec, s[40:41]
	v_mov_b32_e32 v7, 2
	v_and_b32_e32 v39, 63, v33
	v_cmp_eq_u16_sdwa s[40:41], v12, v7 src0_sel:BYTE_0 src1_sel:DWORD
	v_lshlrev_b64 v[8:9], v33, -1
	v_cmp_ne_u32_e32 vcc, 63, v39
	v_and_b32_e32 v13, s41, v9
	v_addc_co_u32_e32 v35, vcc, 0, v33, vcc
	v_or_b32_e32 v13, 0x80000000, v13
	v_lshlrev_b32_e32 v40, 2, v35
	v_and_b32_e32 v34, s40, v8
	v_ffbl_b32_e32 v13, v13
	ds_bpermute_b32 v35, v40, v11
	v_add_u32_e32 v13, 32, v13
	v_ffbl_b32_e32 v34, v34
	v_min_u32_e32 v13, v34, v13
	ds_bpermute_b32 v34, v40, v10
	v_cmp_eq_u32_e32 vcc, 0, v10
	s_waitcnt lgkmcnt(1)
	v_cndmask_b32_e32 v35, 0, v35, vcc
	v_add_u16_e32 v35, v35, v11
	v_cmp_lt_u32_e32 vcc, v39, v13
	v_cndmask_b32_e32 v11, v11, v35, vcc
	s_waitcnt lgkmcnt(0)
	v_cndmask_b32_e32 v34, 0, v34, vcc
	v_cmp_gt_u32_e32 vcc, 62, v39
	v_cndmask_b32_e64 v35, 0, 1, vcc
	v_lshlrev_b32_e32 v35, 1, v35
	v_add_lshl_u32 v41, v35, v33, 2
	ds_bpermute_b32 v35, v41, v11
	v_add_u32_e32 v10, v34, v10
	ds_bpermute_b32 v34, v41, v10
	v_cmp_eq_u32_e32 vcc, 0, v10
	v_add_u32_e32 v42, 2, v39
	s_waitcnt lgkmcnt(1)
	v_cndmask_b32_e32 v35, 0, v35, vcc
	v_add_u16_e32 v35, v35, v11
	v_cmp_gt_u32_e32 vcc, v42, v13
	v_cndmask_b32_e32 v11, v35, v11, vcc
	s_waitcnt lgkmcnt(0)
	v_cndmask_b32_e64 v34, v34, 0, vcc
	v_cmp_gt_u32_e32 vcc, 60, v39
	v_cndmask_b32_e64 v35, 0, 1, vcc
	v_lshlrev_b32_e32 v35, 2, v35
	v_add_lshl_u32 v43, v35, v33, 2
	ds_bpermute_b32 v35, v43, v11
	v_add_u32_e32 v10, v10, v34
	ds_bpermute_b32 v34, v43, v10
	v_cmp_eq_u32_e32 vcc, 0, v10
	v_add_u32_e32 v44, 4, v39
	s_waitcnt lgkmcnt(1)
	v_cndmask_b32_e32 v35, 0, v35, vcc
	v_add_u16_e32 v35, v11, v35
	v_cmp_gt_u32_e32 vcc, v44, v13
	v_cndmask_b32_e32 v11, v35, v11, vcc
	s_waitcnt lgkmcnt(0)
	v_cndmask_b32_e64 v34, v34, 0, vcc
	;; [unrolled: 16-line block ×4, first 2 shown]
	v_cmp_gt_u32_e32 vcc, 32, v39
	v_cndmask_b32_e64 v35, 0, 1, vcc
	v_lshlrev_b32_e32 v35, 5, v35
	v_add_lshl_u32 v51, v35, v33, 2
	ds_bpermute_b32 v33, v51, v11
	v_add_u32_e32 v10, v10, v34
	ds_bpermute_b32 v34, v51, v10
	v_add_u32_e32 v52, 32, v39
	v_cmp_eq_u32_e32 vcc, 0, v10
	s_waitcnt lgkmcnt(1)
	v_cndmask_b32_e32 v33, 0, v33, vcc
	v_cmp_gt_u32_e32 vcc, v52, v13
	v_cndmask_b32_e64 v13, v33, 0, vcc
	v_add_u16_e32 v11, v11, v13
	s_waitcnt lgkmcnt(0)
	v_cndmask_b32_e64 v13, v34, 0, vcc
	v_add_u32_e32 v10, v13, v10
	v_mov_b32_e32 v33, 0
	s_branch .LBB672_134
.LBB672_133:                            ;   in Loop: Header=BB672_134 Depth=1
	s_or_b64 exec, exec, s[40:41]
	v_cmp_eq_u16_sdwa s[40:41], v12, v7 src0_sel:BYTE_0 src1_sel:DWORD
	ds_bpermute_b32 v35, v40, v11
	v_and_b32_e32 v13, s41, v9
	v_or_b32_e32 v13, 0x80000000, v13
	v_and_b32_e32 v34, s40, v8
	v_ffbl_b32_e32 v13, v13
	v_add_u32_e32 v13, 32, v13
	v_ffbl_b32_e32 v34, v34
	v_cmp_eq_u32_e32 vcc, 0, v10
	v_min_u32_e32 v13, v34, v13
	ds_bpermute_b32 v34, v40, v10
	s_waitcnt lgkmcnt(1)
	v_cndmask_b32_e32 v35, 0, v35, vcc
	v_add_u16_e32 v35, v35, v11
	v_cmp_lt_u32_e32 vcc, v39, v13
	v_cndmask_b32_e32 v11, v11, v35, vcc
	ds_bpermute_b32 v35, v41, v11
	s_waitcnt lgkmcnt(1)
	v_cndmask_b32_e32 v34, 0, v34, vcc
	v_add_u32_e32 v10, v34, v10
	v_cmp_eq_u32_e32 vcc, 0, v10
	ds_bpermute_b32 v34, v41, v10
	s_waitcnt lgkmcnt(1)
	v_cndmask_b32_e32 v35, 0, v35, vcc
	v_add_u16_e32 v35, v35, v11
	v_cmp_gt_u32_e32 vcc, v42, v13
	v_cndmask_b32_e32 v11, v35, v11, vcc
	ds_bpermute_b32 v35, v43, v11
	s_waitcnt lgkmcnt(1)
	v_cndmask_b32_e64 v34, v34, 0, vcc
	v_add_u32_e32 v10, v10, v34
	v_cmp_eq_u32_e32 vcc, 0, v10
	ds_bpermute_b32 v34, v43, v10
	s_waitcnt lgkmcnt(1)
	v_cndmask_b32_e32 v35, 0, v35, vcc
	v_add_u16_e32 v35, v11, v35
	v_cmp_gt_u32_e32 vcc, v44, v13
	v_cndmask_b32_e32 v11, v35, v11, vcc
	ds_bpermute_b32 v35, v45, v11
	s_waitcnt lgkmcnt(1)
	v_cndmask_b32_e64 v34, v34, 0, vcc
	v_add_u32_e32 v10, v10, v34
	ds_bpermute_b32 v34, v45, v10
	v_cmp_eq_u32_e32 vcc, 0, v10
	s_waitcnt lgkmcnt(1)
	v_cndmask_b32_e32 v35, 0, v35, vcc
	v_add_u16_e32 v35, v11, v35
	v_cmp_gt_u32_e32 vcc, v46, v13
	v_cndmask_b32_e32 v11, v35, v11, vcc
	ds_bpermute_b32 v35, v48, v11
	s_waitcnt lgkmcnt(1)
	v_cndmask_b32_e64 v34, v34, 0, vcc
	v_add_u32_e32 v10, v10, v34
	ds_bpermute_b32 v34, v48, v10
	v_cmp_eq_u32_e32 vcc, 0, v10
	;; [unrolled: 11-line block ×3, first 2 shown]
	s_waitcnt lgkmcnt(1)
	v_cndmask_b32_e32 v35, 0, v35, vcc
	v_cmp_gt_u32_e32 vcc, v52, v13
	v_cndmask_b32_e64 v13, v35, 0, vcc
	v_add_u16_e32 v11, v11, v13
	s_waitcnt lgkmcnt(0)
	v_cndmask_b32_e64 v13, v34, 0, vcc
	v_cmp_eq_u32_e32 vcc, 0, v49
	v_cndmask_b32_e32 v11, 0, v11, vcc
	v_subrev_u32_e32 v32, 64, v32
	v_add3_u32 v10, v10, v49, v13
	v_add_u16_e32 v11, v11, v47
.LBB672_134:                            ; =>This Loop Header: Depth=1
                                        ;     Child Loop BB672_137 Depth 2
                                        ;       Child Loop BB672_138 Depth 3
	v_cmp_ne_u16_sdwa s[40:41], v12, v7 src0_sel:BYTE_0 src1_sel:DWORD
	v_mov_b32_e32 v47, v11
	v_cndmask_b32_e64 v11, 0, 1, s[40:41]
	;;#ASMSTART
	;;#ASMEND
	v_cmp_ne_u32_e32 vcc, 0, v11
	s_cmp_lg_u64 vcc, exec
	v_mov_b32_e32 v49, v10
	s_cbranch_scc1 .LBB672_141
; %bb.135:                              ;   in Loop: Header=BB672_134 Depth=1
	v_lshlrev_b64 v[10:11], 4, v[32:33]
	v_mov_b32_e32 v12, s45
	v_add_co_u32_e32 v34, vcc, s44, v10
	v_addc_co_u32_e32 v35, vcc, v12, v11, vcc
	;;#ASMSTART
	global_load_dwordx4 v[10:13], v[34:35] off glc	
s_waitcnt vmcnt(0)
	;;#ASMEND
	v_and_b32_e32 v13, 0xffffff, v10
	v_and_b32_e32 v10, 0xff000000, v10
	v_or_b32_e32 v10, v13, v10
	v_and_b32_e32 v13, 0xff, v11
	v_and_b32_e32 v11, 0xff00, v11
	v_or3_b32 v11, 0, v13, v11
	v_or3_b32 v10, v10, 0, 0
	v_cmp_eq_u16_sdwa s[46:47], v12, v33 src0_sel:BYTE_0 src1_sel:DWORD
	s_and_saveexec_b64 s[40:41], s[46:47]
	s_cbranch_execz .LBB672_133
; %bb.136:                              ;   in Loop: Header=BB672_134 Depth=1
	s_mov_b32 s49, 1
	s_mov_b64 s[46:47], 0
.LBB672_137:                            ;   Parent Loop BB672_134 Depth=1
                                        ; =>  This Loop Header: Depth=2
                                        ;       Child Loop BB672_138 Depth 3
	s_max_u32 s50, s49, 1
.LBB672_138:                            ;   Parent Loop BB672_134 Depth=1
                                        ;     Parent Loop BB672_137 Depth=2
                                        ; =>    This Inner Loop Header: Depth=3
	s_add_i32 s50, s50, -1
	s_cmp_eq_u32 s50, 0
	s_sleep 1
	s_cbranch_scc0 .LBB672_138
; %bb.139:                              ;   in Loop: Header=BB672_137 Depth=2
	s_cmp_lt_u32 s49, 32
	s_cselect_b64 s[50:51], -1, 0
	s_cmp_lg_u64 s[50:51], 0
	s_addc_u32 s49, s49, 0
	;;#ASMSTART
	global_load_dwordx4 v[10:13], v[34:35] off glc	
s_waitcnt vmcnt(0)
	;;#ASMEND
	v_cmp_ne_u16_sdwa s[50:51], v12, v33 src0_sel:BYTE_0 src1_sel:DWORD
	s_or_b64 s[46:47], s[50:51], s[46:47]
	s_andn2_b64 exec, exec, s[46:47]
	s_cbranch_execnz .LBB672_137
; %bb.140:                              ;   in Loop: Header=BB672_134 Depth=1
	s_or_b64 exec, exec, s[46:47]
	v_and_b32_e32 v11, 0xffff, v11
	s_branch .LBB672_133
.LBB672_141:                            ;   in Loop: Header=BB672_134 Depth=1
                                        ; implicit-def: $vgpr11
                                        ; implicit-def: $vgpr10
                                        ; implicit-def: $vgpr12
	s_cbranch_execz .LBB672_134
; %bb.142:
	s_and_saveexec_b64 s[40:41], s[28:29]
	s_cbranch_execz .LBB672_144
; %bb.143:
	s_mov_b32 s47, 0
	v_cmp_eq_u32_e32 vcc, 0, v6
	s_add_i32 s46, s62, 64
	v_cndmask_b32_e32 v7, 0, v47, vcc
	s_lshl_b64 s[46:47], s[46:47], 4
	v_add_u16_e32 v7, s48, v7
	s_add_u32 s46, s44, s46
	s_addc_u32 s47, s45, s47
	v_and_b32_e32 v9, 0xff00, v7
	v_add_u32_e32 v8, v49, v6
	v_mov_b32_e32 v11, 0
	v_or_b32_sdwa v9, v9, v7 dst_sel:DWORD dst_unused:UNUSED_PAD src0_sel:DWORD src1_sel:BYTE_0
	v_mov_b32_e32 v10, 2
	v_pk_mov_b32 v[12:13], s[46:47], s[46:47] op_sel:[0,1]
	;;#ASMSTART
	global_store_dwordx4 v[12:13], v[8:11] off	
s_waitcnt vmcnt(0)
	;;#ASMEND
	v_mov_b32_e32 v7, s48
	s_movk_i32 s46, 0x400
	ds_write_b16 v11, v7 offset:1028
	v_add_u32_e64 v7, s46, 0
	ds_write2_b32 v7, v6, v49 offset1:2
	ds_write_b16 v11, v47 offset:1036
.LBB672_144:
	s_or_b64 exec, exec, s[40:41]
	s_and_b64 exec, exec, s[0:1]
	s_cbranch_execz .LBB672_146
; %bb.145:
	v_mov_b32_e32 v6, 0
	ds_write_b32 v6, v49 offset:1064
	ds_write_b16 v6, v47 offset:1068
.LBB672_146:
	s_or_b64 exec, exec, s[34:35]
	v_mov_b32_e32 v8, 0
	s_waitcnt lgkmcnt(0)
	s_barrier
	ds_read_b64 v[6:7], v8 offset:1064
	v_cndmask_b32_e64 v10, v37, v30, s[28:29]
	v_cmp_eq_u32_e32 vcc, 0, v10
	v_cndmask_b32_e64 v9, v38, v36, s[28:29]
	s_waitcnt lgkmcnt(0)
	v_cndmask_b32_e32 v11, 0, v7, vcc
	v_add_u16_e32 v9, v11, v9
	v_cndmask_b32_e64 v7, v9, v7, s[0:1]
	v_cndmask_b32_e64 v9, v10, 0, s[0:1]
	v_cmp_eq_u32_e32 vcc, 0, v79
	v_add_u32_e32 v62, v6, v9
	v_cndmask_b32_e32 v6, 0, v7, vcc
	v_add_u16_e32 v61, v6, v76
	v_cndmask_b32_e64 v6, 0, v61, s[26:27]
	v_add_u16_e32 v59, v6, v75
	v_cndmask_b32_e64 v6, 0, v59, s[24:25]
	;; [unrolled: 2-line block ×8, first 2 shown]
	v_add_u32_e32 v60, v62, v79
	v_add_u16_e32 v45, v6, v70
	v_add_u32_e32 v58, v60, v31
	v_cndmask_b32_e64 v6, 0, v45, s[10:11]
	v_add_u32_e32 v56, v58, v28
	v_add_u16_e32 v43, v6, v67
	v_add_u32_e32 v54, v56, v29
	v_cndmask_b32_e64 v6, 0, v43, s[8:9]
	;; [unrolled: 4-line block ×3, first 2 shown]
	v_and_b32_e32 v63, 0xffff, v7
	v_add_u32_e32 v48, v50, v24
	v_add_u16_e32 v39, v6, v65
	s_barrier
	ds_read_b128 v[6:9], v8 offset:1024
	v_add_u32_e32 v46, v48, v25
	v_add_u32_e32 v44, v46, v22
	;; [unrolled: 1-line block ×4, first 2 shown]
	v_cndmask_b32_e64 v10, 0, v39, s[4:5]
	v_add_u32_e32 v38, v40, v21
	v_add_u16_e32 v37, v10, v66
	s_waitcnt lgkmcnt(0)
	v_cmp_eq_u32_e32 vcc, 0, v6
	v_add_u32_e32 v36, v38, v18
	v_cndmask_b32_e64 v10, 0, v37, s[2:3]
	v_cndmask_b32_e32 v9, 0, v9, vcc
	v_add_u32_e32 v34, v36, v19
	v_add_u16_e32 v35, v10, v64
	v_add_u32_e32 v30, v9, v7
	s_branch .LBB672_159
.LBB672_147:
                                        ; implicit-def: $vgpr6
                                        ; implicit-def: $vgpr30
                                        ; implicit-def: $vgpr62_vgpr63
                                        ; implicit-def: $vgpr60_vgpr61
                                        ; implicit-def: $vgpr58_vgpr59
                                        ; implicit-def: $vgpr56_vgpr57
                                        ; implicit-def: $vgpr54_vgpr55
                                        ; implicit-def: $vgpr52_vgpr53
                                        ; implicit-def: $vgpr50_vgpr51
                                        ; implicit-def: $vgpr48_vgpr49
                                        ; implicit-def: $vgpr46_vgpr47
                                        ; implicit-def: $vgpr44_vgpr45
                                        ; implicit-def: $vgpr42_vgpr43
                                        ; implicit-def: $vgpr40_vgpr41
                                        ; implicit-def: $vgpr38_vgpr39
                                        ; implicit-def: $vgpr36_vgpr37
                                        ; implicit-def: $vgpr34_vgpr35
	s_cbranch_execz .LBB672_159
; %bb.148:
	s_and_b64 s[2:3], s[30:31], exec
	s_cselect_b32 s3, 0, s61
	s_cselect_b32 s2, 0, s60
	s_cmp_eq_u64 s[2:3], 0
	v_mov_b32_e32 v7, v76
	s_cbranch_scc1 .LBB672_150
; %bb.149:
	v_mov_b32_e32 v6, 0
	global_load_ushort v7, v6, s[2:3]
.LBB672_150:
	v_cmp_eq_u32_e64 s[2:3], 0, v31
	v_cndmask_b32_e64 v6, 0, v76, s[2:3]
	v_add_u16_e32 v6, v6, v75
	v_cmp_eq_u32_e64 s[4:5], 0, v28
	v_cndmask_b32_e64 v6, 0, v6, s[4:5]
	v_add_u16_e32 v6, v6, v77
	;; [unrolled: 3-line block ×11, first 2 shown]
	v_cmp_eq_u32_e64 s[24:25], 0, v18
	v_cndmask_b32_e64 v6, 0, v6, s[24:25]
	s_waitcnt vmcnt(0) lgkmcnt(0)
	v_add3_u32 v8, v83, v27, v24
	v_add_u16_e32 v6, v6, v66
	v_cmp_eq_u32_e32 vcc, 0, v19
	v_add3_u32 v8, v8, v25, v22
	v_cndmask_b32_e32 v6, 0, v6, vcc
	v_add3_u32 v8, v8, v23, v20
	v_add_u16_e32 v6, v6, v64
	v_cmp_eq_u32_e64 s[26:27], 0, v17
	v_add3_u32 v8, v8, v21, v18
	v_cndmask_b32_e64 v6, 0, v6, s[26:27]
	v_add3_u32 v8, v8, v19, v17
	v_add_u16_e32 v9, v6, v78
	v_mbcnt_hi_u32_b32 v6, -1, v82
	v_and_b32_e32 v10, 15, v6
	v_mov_b32_dpp v12, v9 row_shr:1 row_mask:0xf bank_mask:0xf
	v_cmp_eq_u32_e64 s[26:27], 0, v8
	v_mov_b32_dpp v11, v8 row_shr:1 row_mask:0xf bank_mask:0xf
	v_cndmask_b32_e64 v12, 0, v12, s[26:27]
	v_cmp_eq_u32_e64 s[26:27], 0, v10
	v_add_u16_e32 v12, v12, v9
	v_cndmask_b32_e64 v11, v11, 0, s[26:27]
	v_add_u32_e32 v8, v11, v8
	v_cndmask_b32_e64 v9, v12, v9, s[26:27]
	v_cmp_eq_u32_e64 s[26:27], 0, v8
	v_mov_b32_dpp v11, v8 row_shr:2 row_mask:0xf bank_mask:0xf
	v_mov_b32_dpp v12, v9 row_shr:2 row_mask:0xf bank_mask:0xf
	v_cndmask_b32_e64 v12, 0, v12, s[26:27]
	v_cmp_lt_u32_e64 s[26:27], 1, v10
	v_add_u16_e32 v12, v12, v9
	v_cndmask_b32_e64 v11, 0, v11, s[26:27]
	v_cndmask_b32_e64 v9, v9, v12, s[26:27]
	v_add_u32_e32 v8, v8, v11
	v_cmp_eq_u32_e64 s[26:27], 0, v8
	v_mov_b32_dpp v12, v9 row_shr:4 row_mask:0xf bank_mask:0xf
	v_mov_b32_dpp v11, v8 row_shr:4 row_mask:0xf bank_mask:0xf
	v_cndmask_b32_e64 v12, 0, v12, s[26:27]
	v_cmp_lt_u32_e64 s[26:27], 3, v10
	v_add_u16_e32 v12, v12, v9
	v_cndmask_b32_e64 v11, 0, v11, s[26:27]
	v_cndmask_b32_e64 v9, v9, v12, s[26:27]
	v_add_u32_e32 v8, v11, v8
	;; [unrolled: 9-line block ×3, first 2 shown]
	v_bfe_i32 v12, v6, 4, 1
	v_mov_b32_dpp v11, v9 row_bcast:15 row_mask:0xf bank_mask:0xf
	v_mov_b32_dpp v10, v8 row_bcast:15 row_mask:0xf bank_mask:0xf
	v_cmp_eq_u32_e64 s[26:27], 0, v8
	v_and_b32_e32 v13, 16, v6
	v_cndmask_b32_e64 v11, 0, v11, s[26:27]
	v_and_b32_e32 v10, v12, v10
	v_add_u16_e32 v11, v11, v9
	v_add_u32_e32 v8, v10, v8
	v_cmp_eq_u32_e64 s[26:27], 0, v13
	v_cndmask_b32_e64 v9, v11, v9, s[26:27]
	v_mov_b32_dpp v10, v8 row_bcast:31 row_mask:0xf bank_mask:0xf
	v_cmp_eq_u32_e64 s[26:27], 0, v8
	v_cmp_lt_u32_e64 s[28:29], 31, v6
	v_mov_b32_dpp v11, v9 row_bcast:31 row_mask:0xf bank_mask:0xf
	v_cndmask_b32_e64 v10, 0, v10, s[28:29]
	s_and_b64 s[26:27], s[28:29], s[26:27]
	v_add_u32_e32 v8, v10, v8
	v_cndmask_b32_e64 v10, 0, v11, s[26:27]
	v_add_u16_e32 v9, v10, v9
	v_cmp_eq_u32_e64 s[26:27], v81, v0
	s_and_saveexec_b64 s[28:29], s[26:27]
	s_cbranch_execz .LBB672_152
; %bb.151:
	v_lshlrev_b32_e32 v10, 3, v80
	ds_write_b32 v10, v8 offset:1040
	ds_write_b16 v10, v9 offset:1044
.LBB672_152:
	s_or_b64 exec, exec, s[28:29]
	v_cmp_gt_u32_e64 s[26:27], 4, v0
	s_waitcnt lgkmcnt(0)
	s_barrier
	s_and_saveexec_b64 s[34:35], s[26:27]
	s_cbranch_execz .LBB672_154
; %bb.153:
	v_lshlrev_b32_e32 v12, 3, v0
	ds_read_b64 v[10:11], v12 offset:1040
	v_and_b32_e32 v13, 3, v6
	s_mov_b32 s28, 0xffff0000
	s_waitcnt lgkmcnt(0)
	v_mov_b32_dpp v32, v11 row_shr:1 row_mask:0xf bank_mask:0xf
	v_cmp_eq_u32_e64 s[26:27], 0, v10
	v_mov_b32_dpp v30, v10 row_shr:1 row_mask:0xf bank_mask:0xf
	v_cndmask_b32_e64 v32, 0, v32, s[26:27]
	v_cmp_eq_u32_e64 s[26:27], 0, v13
	v_add_u16_e32 v32, v32, v11
	v_cndmask_b32_e64 v30, v30, 0, s[26:27]
	v_and_or_b32 v33, v11, s28, v32
	v_add_u32_e32 v10, v30, v10
	v_cndmask_b32_e64 v30, v32, v11, s[26:27]
	v_cndmask_b32_e64 v11, v33, v11, s[26:27]
	v_mov_b32_dpp v32, v10 row_shr:2 row_mask:0xf bank_mask:0xf
	v_cmp_eq_u32_e64 s[26:27], 0, v10
	v_cmp_lt_u32_e64 s[28:29], 1, v13
	v_mov_b32_dpp v11, v11 row_shr:2 row_mask:0xf bank_mask:0xf
	v_cndmask_b32_e64 v13, 0, v32, s[28:29]
	s_and_b64 s[26:27], s[28:29], s[26:27]
	v_add_u32_e32 v10, v13, v10
	v_cndmask_b32_e64 v11, 0, v11, s[26:27]
	v_add_u16_e32 v11, v30, v11
	ds_write_b32 v12, v10 offset:1040
	ds_write_b16 v12, v11 offset:1044
.LBB672_154:
	s_or_b64 exec, exec, s[34:35]
	v_cmp_lt_u32_e64 s[26:27], 63, v0
	v_mov_b32_e32 v10, 0
	v_mov_b32_e32 v11, 0
	;; [unrolled: 1-line block ×3, first 2 shown]
	s_waitcnt lgkmcnt(0)
	s_barrier
	s_and_saveexec_b64 s[28:29], s[26:27]
	s_cbranch_execz .LBB672_156
; %bb.155:
	v_lshlrev_b32_e32 v12, 3, v80
	ds_read_b32 v11, v12 offset:1032
	ds_read_u16 v12, v12 offset:1036
	s_waitcnt lgkmcnt(1)
	v_cmp_eq_u32_e64 s[26:27], 0, v11
	v_cndmask_b32_e64 v13, 0, v7, s[26:27]
	s_waitcnt lgkmcnt(0)
	v_add_u16_e32 v12, v13, v12
.LBB672_156:
	s_or_b64 exec, exec, s[28:29]
	v_cmp_eq_u32_e64 s[26:27], 0, v8
	v_add_u32_e32 v13, v11, v8
	v_cndmask_b32_e64 v8, 0, v12, s[26:27]
	v_add_u16_e32 v8, v8, v9
	v_add_u32_e32 v9, -1, v6
	v_and_b32_e32 v30, 64, v6
	v_cmp_lt_i32_e64 s[26:27], v9, v30
	v_cndmask_b32_e64 v9, v9, v6, s[26:27]
	v_lshlrev_b32_e32 v9, 2, v9
	ds_bpermute_b32 v8, v9, v8
	ds_bpermute_b32 v13, v9, v13
	v_cmp_eq_u32_e64 s[26:27], 0, v6
	s_waitcnt lgkmcnt(1)
	v_cndmask_b32_e64 v8, v8, v12, s[26:27]
	s_waitcnt lgkmcnt(0)
	v_cndmask_b32_e64 v6, v13, v11, s[26:27]
	v_cndmask_b32_e64 v8, v8, v7, s[0:1]
	v_cmp_eq_u32_e64 s[26:27], 0, v79
	v_cndmask_b32_e64 v62, v6, 0, s[0:1]
	v_cndmask_b32_e64 v6, 0, v8, s[26:27]
	v_add_u16_e32 v61, v6, v76
	v_cndmask_b32_e64 v6, 0, v61, s[2:3]
	v_add_u16_e32 v59, v6, v75
	;; [unrolled: 2-line block ×9, first 2 shown]
	v_cndmask_b32_e64 v6, 0, v45, s[18:19]
	v_add_u32_e32 v60, v62, v79
	v_add_u16_e32 v43, v6, v67
	v_add_u32_e32 v58, v60, v31
	v_cndmask_b32_e64 v6, 0, v43, s[20:21]
	v_add_u32_e32 v56, v58, v28
	v_add_u16_e32 v41, v6, v68
	v_add_u32_e32 v54, v56, v29
	;; [unrolled: 4-line block ×3, first 2 shown]
	v_cndmask_b32_e64 v6, 0, v39, s[24:25]
	v_add_u32_e32 v48, v50, v24
	v_add_u16_e32 v37, v6, v66
	ds_read_b32 v6, v10 offset:1064
	v_add_u32_e32 v46, v48, v25
	v_and_b32_e32 v63, 0xffff, v8
	ds_read_u16 v8, v10 offset:1068
	v_add_u32_e32 v44, v46, v22
	v_add_u32_e32 v42, v44, v23
	;; [unrolled: 1-line block ×4, first 2 shown]
	v_cndmask_b32_e32 v9, 0, v37, vcc
	s_waitcnt lgkmcnt(1)
	v_cmp_eq_u32_e32 vcc, 0, v6
	v_add_u32_e32 v36, v38, v18
	v_cndmask_b32_e32 v7, 0, v7, vcc
	v_add_u32_e32 v34, v36, v19
	v_add_u16_e32 v35, v9, v64
	s_waitcnt lgkmcnt(0)
	v_add_u16_e32 v30, v7, v8
	s_and_saveexec_b64 s[2:3], s[0:1]
	s_cbranch_execz .LBB672_158
; %bb.157:
	s_add_u32 s4, s44, 0x400
	s_addc_u32 s5, s45, 0
	v_and_b32_e32 v7, 0xff00, v30
	v_mov_b32_e32 v9, 0
	v_or_b32_sdwa v7, v7, v30 dst_sel:DWORD dst_unused:UNUSED_PAD src0_sel:DWORD src1_sel:BYTE_0
	v_mov_b32_e32 v8, 2
	v_pk_mov_b32 v[10:11], s[4:5], s[4:5] op_sel:[0,1]
	;;#ASMSTART
	global_store_dwordx4 v[10:11], v[6:9] off	
s_waitcnt vmcnt(0)
	;;#ASMEND
.LBB672_158:
	s_or_b64 exec, exec, s[2:3]
	v_mov_b32_e32 v8, 0
.LBB672_159:
	s_and_b64 s[2:3], s[30:31], exec
	s_cselect_b32 s3, 0, s59
	s_cselect_b32 s2, 0, s58
	s_cmp_eq_u64 s[2:3], 0
	v_pk_mov_b32 v[32:33], 0, 0
	s_waitcnt lgkmcnt(0)
	s_barrier
	s_cbranch_scc1 .LBB672_161
; %bb.160:
	v_mov_b32_e32 v7, 0
	global_load_dwordx2 v[32:33], v7, s[2:3]
.LBB672_161:
	s_waitcnt vmcnt(0)
	v_lshlrev_b64 v[64:65], 1, v[32:33]
	v_mov_b32_e32 v7, s43
	v_add_co_u32_e32 v10, vcc, s42, v64
	v_mov_b32_e32 v9, 0
	v_addc_co_u32_e32 v11, vcc, v7, v65, vcc
	v_lshlrev_b64 v[66:67], 1, v[8:9]
	v_add_co_u32_e32 v7, vcc, v10, v66
	v_addc_co_u32_e32 v9, vcc, v11, v67, vcc
	v_cmp_eq_u32_e32 vcc, 0, v79
	v_cndmask_b32_e64 v10, 1, 2, vcc
	v_cmp_eq_u32_e32 vcc, 0, v31
	v_cndmask_b32_e64 v11, 1, 2, vcc
	v_cmp_eq_u32_e32 vcc, 0, v28
	v_and_b32_e32 v10, v11, v10
	v_cndmask_b32_e64 v11, 1, 2, vcc
	v_cmp_eq_u32_e32 vcc, 0, v29
	v_and_b32_e32 v10, v10, v11
	;; [unrolled: 3-line block ×13, first 2 shown]
	v_cndmask_b32_e64 v11, 1, 2, vcc
	s_movk_i32 s34, 0x100
	v_and_b32_e32 v10, v10, v11
	v_cmp_gt_u32_e32 vcc, s34, v6
	v_cmp_ne_u32_e64 s[30:31], 0, v79
	v_cmp_ne_u32_e64 s[28:29], 0, v31
	;; [unrolled: 1-line block ×15, first 2 shown]
	s_mov_b64 s[40:41], -1
	v_cmp_gt_i16_e64 s[34:35], 2, v10
	s_cbranch_vccz .LBB672_168
; %bb.162:
	s_and_saveexec_b64 s[40:41], s[34:35]
	s_cbranch_execz .LBB672_167
; %bb.163:
	v_cmp_ne_u16_e32 vcc, 1, v10
	s_mov_b64 s[42:43], 0
	s_and_saveexec_b64 s[34:35], vcc
	s_xor_b64 s[34:35], exec, s[34:35]
	s_cbranch_execnz .LBB672_257
; %bb.164:
	s_andn2_saveexec_b64 s[34:35], s[34:35]
	s_cbranch_execnz .LBB672_273
.LBB672_165:
	s_or_b64 exec, exec, s[34:35]
	s_and_b64 exec, exec, s[42:43]
	s_cbranch_execz .LBB672_167
.LBB672_166:
	v_sub_u32_e32 v12, v34, v8
	v_mov_b32_e32 v13, 0
	v_lshlrev_b64 v[12:13], 1, v[12:13]
	v_add_co_u32_e32 v12, vcc, v7, v12
	v_addc_co_u32_e32 v13, vcc, v9, v13, vcc
	global_store_short_d16_hi v[12:13], v16, off
.LBB672_167:
	s_or_b64 exec, exec, s[40:41]
	s_mov_b64 s[40:41], 0
.LBB672_168:
	s_and_b64 vcc, exec, s[40:41]
	s_cbranch_vccz .LBB672_190
; %bb.169:
	v_cmp_gt_i16_e32 vcc, 2, v10
	s_and_saveexec_b64 s[34:35], vcc
	s_cbranch_execz .LBB672_174
; %bb.170:
	v_cmp_ne_u16_e32 vcc, 1, v10
	s_mov_b64 s[42:43], 0
	s_and_saveexec_b64 s[40:41], vcc
	s_xor_b64 s[40:41], exec, s[40:41]
	s_cbranch_execnz .LBB672_274
; %bb.171:
	s_andn2_saveexec_b64 s[2:3], s[40:41]
	s_cbranch_execnz .LBB672_290
.LBB672_172:
	s_or_b64 exec, exec, s[2:3]
	s_and_b64 exec, exec, s[42:43]
	s_cbranch_execz .LBB672_174
.LBB672_173:
	v_sub_u32_e32 v1, v34, v8
	v_lshlrev_b32_e32 v1, 1, v1
	ds_write_b16_d16_hi v1, v16
.LBB672_174:
	s_or_b64 exec, exec, s[34:35]
	v_cmp_lt_u32_e32 vcc, v0, v6
	s_waitcnt lgkmcnt(0)
	s_barrier
	s_and_saveexec_b64 s[4:5], vcc
	s_cbranch_execz .LBB672_189
; %bb.175:
	v_xad_u32 v1, v0, -1, v6
	s_movk_i32 s2, 0x1700
	v_cmp_gt_u32_e64 s[6:7], s2, v1
	s_movk_i32 s2, 0x16ff
	v_cmp_lt_u32_e32 vcc, s2, v1
	v_mov_b32_e32 v2, v0
	s_and_saveexec_b64 s[8:9], vcc
	s_cbranch_execz .LBB672_186
; %bb.176:
	v_sub_u32_e32 v2, v0, v6
	v_or_b32_e32 v2, 0xff, v2
	v_cmp_ge_u32_e32 vcc, v2, v0
	s_mov_b64 s[2:3], -1
	v_mov_b32_e32 v2, v0
	s_and_saveexec_b64 s[10:11], vcc
	s_cbranch_execz .LBB672_185
; %bb.177:
	v_lshrrev_b32_e32 v14, 8, v1
	v_or_b32_e32 v3, 0x300, v0
	v_or_b32_e32 v2, 0x200, v0
	v_add_u32_e32 v4, -3, v14
	v_or_b32_e32 v1, 0x100, v0
	v_lshrrev_b32_e32 v5, 2, v4
	v_pk_mov_b32 v[12:13], v[2:3], v[2:3] op_sel:[0,1]
	v_add_u32_e32 v15, 1, v5
	v_cmp_lt_u32_e32 vcc, 11, v4
	v_mov_b32_e32 v69, 0
	v_pk_mov_b32 v[10:11], v[0:1], v[0:1] op_sel:[0,1]
	s_and_saveexec_b64 s[12:13], vcc
	s_cbranch_execz .LBB672_181
; %bb.178:
	v_pk_mov_b32 v[12:13], v[2:3], v[2:3] op_sel:[0,1]
	v_and_b32_e32 v16, 0x7ffffffc, v15
	v_lshlrev_b32_e32 v68, 1, v0
	s_mov_b32 s16, 0
	s_mov_b64 s[14:15], 0
	v_mov_b32_e32 v5, 0
	v_pk_mov_b32 v[10:11], v[0:1], v[0:1] op_sel:[0,1]
.LBB672_179:                            ; =>This Inner Loop Header: Depth=1
	v_mov_b32_e32 v4, v10
	v_lshlrev_b64 v[88:89], 1, v[4:5]
	v_add_u32_e32 v72, 0x400, v11
	v_mov_b32_e32 v73, v5
	v_add_co_u32_e64 v88, s[2:3], v7, v88
	v_lshlrev_b64 v[72:73], 1, v[72:73]
	v_addc_co_u32_e64 v89, s[2:3], v9, v89, s[2:3]
	v_add_u32_e32 v70, 0x400, v12
	v_mov_b32_e32 v71, v5
	v_add_co_u32_e64 v72, s[2:3], v7, v72
	v_lshlrev_b64 v[70:71], 1, v[70:71]
	v_addc_co_u32_e64 v73, s[2:3], v9, v73, s[2:3]
	v_add_u32_e32 v2, 0x400, v13
	v_mov_b32_e32 v3, v5
	v_add_co_u32_e64 v70, s[2:3], v7, v70
	v_add_u32_e32 v16, -4, v16
	v_mov_b32_e32 v4, v11
	v_lshlrev_b64 v[2:3], 1, v[2:3]
	v_addc_co_u32_e64 v71, s[2:3], v9, v71, s[2:3]
	v_add_u32_e32 v80, 0x800, v11
	v_mov_b32_e32 v81, v5
	s_add_i32 s16, s16, 16
	v_cmp_eq_u32_e32 vcc, 0, v16
	v_lshlrev_b64 v[90:91], 1, v[4:5]
	v_add_co_u32_e64 v2, s[2:3], v7, v2
	v_lshlrev_b64 v[80:81], 1, v[80:81]
	v_mov_b32_e32 v4, v12
	v_addc_co_u32_e64 v3, s[2:3], v9, v3, s[2:3]
	s_or_b64 s[14:15], vcc, s[14:15]
	v_add_co_u32_e32 v90, vcc, v7, v90
	v_add_u32_e32 v76, 0x800, v12
	v_mov_b32_e32 v77, v5
	v_add_co_u32_e64 v80, s[2:3], v7, v80
	v_addc_co_u32_e32 v91, vcc, v9, v91, vcc
	v_lshlrev_b64 v[92:93], 1, v[4:5]
	v_lshlrev_b64 v[76:77], 1, v[76:77]
	v_addc_co_u32_e64 v81, s[2:3], v9, v81, s[2:3]
	v_mov_b32_e32 v4, v13
	v_add_co_u32_e32 v92, vcc, v7, v92
	ds_read_u16 v1, v68
	ds_read_u16 v78, v68 offset:512
	ds_read_u16 v96, v68 offset:1024
	;; [unrolled: 1-line block ×7, first 2 shown]
	v_add_u32_e32 v74, 0x800, v13
	v_mov_b32_e32 v75, v5
	v_add_co_u32_e64 v76, s[2:3], v7, v76
	v_addc_co_u32_e32 v93, vcc, v9, v93, vcc
	v_lshlrev_b64 v[94:95], 1, v[4:5]
	v_lshlrev_b64 v[74:75], 1, v[74:75]
	v_addc_co_u32_e64 v77, s[2:3], v9, v77, s[2:3]
	v_add_u32_e32 v4, 0x400, v10
	v_add_co_u32_e32 v94, vcc, v7, v94
	v_add_u32_e32 v86, 0xc00, v11
	v_mov_b32_e32 v87, v5
	ds_read_u16 v102, v68 offset:4096
	ds_read_u16 v103, v68 offset:4608
	;; [unrolled: 1-line block ×8, first 2 shown]
	v_add_co_u32_e64 v74, s[2:3], v7, v74
	v_addc_co_u32_e32 v95, vcc, v9, v95, vcc
	s_waitcnt lgkmcnt(14)
	global_store_short v[88:89], v1, off
	global_store_short v[90:91], v78, off
	s_waitcnt lgkmcnt(13)
	global_store_short v[92:93], v96, off
	v_lshlrev_b64 v[88:89], 1, v[4:5]
	v_lshlrev_b64 v[86:87], 1, v[86:87]
	v_addc_co_u32_e64 v75, s[2:3], v9, v75, s[2:3]
	v_add_u32_e32 v4, 0x800, v10
	v_add_co_u32_e32 v88, vcc, v7, v88
	v_add_u32_e32 v84, 0xc00, v12
	v_mov_b32_e32 v85, v5
	v_add_co_u32_e64 v86, s[2:3], v7, v86
	v_addc_co_u32_e32 v89, vcc, v9, v89, vcc
	v_lshlrev_b64 v[90:91], 1, v[4:5]
	v_lshlrev_b64 v[84:85], 1, v[84:85]
	v_addc_co_u32_e64 v87, s[2:3], v9, v87, s[2:3]
	s_waitcnt lgkmcnt(12)
	global_store_short v[94:95], v97, off
	v_add_u32_e32 v4, 0xc00, v10
	s_waitcnt lgkmcnt(11)
	global_store_short v[88:89], v98, off
	s_waitcnt lgkmcnt(10)
	global_store_short v[72:73], v99, off
	;; [unrolled: 2-line block ×4, first 2 shown]
	v_add_co_u32_e32 v2, vcc, v7, v90
	v_add_u32_e32 v82, 0xc00, v13
	v_mov_b32_e32 v83, v5
	v_add_co_u32_e64 v84, s[2:3], v7, v84
	v_addc_co_u32_e32 v3, vcc, v9, v91, vcc
	v_lshlrev_b64 v[70:71], 1, v[4:5]
	v_lshlrev_b64 v[82:83], 1, v[82:83]
	v_addc_co_u32_e64 v85, s[2:3], v9, v85, s[2:3]
	s_waitcnt lgkmcnt(7)
	global_store_short v[2:3], v102, off
	s_waitcnt lgkmcnt(6)
	global_store_short v[80:81], v103, off
	;; [unrolled: 2-line block ×4, first 2 shown]
	v_add_co_u32_e32 v2, vcc, v7, v70
	v_add_u32_e32 v68, 0x2000, v68
	v_add_u32_e32 v11, 0x1000, v11
	v_mov_b32_e32 v69, s16
	v_add_co_u32_e64 v82, s[2:3], v7, v82
	v_add_u32_e32 v12, 0x1000, v12
	v_add_u32_e32 v13, 0x1000, v13
	;; [unrolled: 1-line block ×3, first 2 shown]
	v_addc_co_u32_e32 v3, vcc, v9, v71, vcc
	v_addc_co_u32_e64 v83, s[2:3], v9, v83, s[2:3]
	s_waitcnt lgkmcnt(3)
	global_store_short v[2:3], v106, off
	s_waitcnt lgkmcnt(2)
	global_store_short v[86:87], v107, off
	;; [unrolled: 2-line block ×4, first 2 shown]
	s_andn2_b64 exec, exec, s[14:15]
	s_cbranch_execnz .LBB672_179
; %bb.180:
	s_or_b64 exec, exec, s[14:15]
.LBB672_181:
	s_or_b64 exec, exec, s[12:13]
	v_and_b32_e32 v1, 3, v15
	v_cmp_ne_u32_e32 vcc, 0, v1
	s_and_saveexec_b64 s[12:13], vcc
	s_cbranch_execz .LBB672_184
; %bb.182:
	v_lshlrev_b32_e32 v2, 1, v0
	v_lshl_or_b32 v4, v69, 9, v2
	s_mov_b64 s[14:15], 0
	v_mov_b32_e32 v3, 0
.LBB672_183:                            ; =>This Inner Loop Header: Depth=1
	v_mov_b32_e32 v2, v10
	v_add_u32_e32 v1, -1, v1
	v_lshlrev_b64 v[68:69], 1, v[2:3]
	v_mov_b32_e32 v2, v11
	v_cmp_eq_u32_e32 vcc, 0, v1
	v_lshlrev_b64 v[70:71], 1, v[2:3]
	ds_read_u16 v5, v4
	ds_read_u16 v15, v4 offset:512
	ds_read_u16 v16, v4 offset:1024
	;; [unrolled: 1-line block ×3, first 2 shown]
	v_mov_b32_e32 v2, v12
	s_or_b64 s[14:15], vcc, s[14:15]
	v_add_co_u32_e32 v70, vcc, v7, v70
	v_addc_co_u32_e32 v71, vcc, v9, v71, vcc
	v_lshlrev_b64 v[72:73], 1, v[2:3]
	v_mov_b32_e32 v2, v13
	v_add_co_u32_e32 v72, vcc, v7, v72
	v_add_co_u32_e64 v68, s[2:3], v7, v68
	v_addc_co_u32_e32 v73, vcc, v9, v73, vcc
	v_lshlrev_b64 v[74:75], 1, v[2:3]
	v_add_u32_e32 v10, 0x400, v10
	v_add_u32_e32 v4, 0x800, v4
	;; [unrolled: 1-line block ×3, first 2 shown]
	v_addc_co_u32_e64 v69, s[2:3], v9, v69, s[2:3]
	v_add_u32_e32 v12, 0x400, v12
	v_add_u32_e32 v13, 0x400, v13
	v_add_co_u32_e32 v74, vcc, v7, v74
	v_addc_co_u32_e32 v75, vcc, v9, v75, vcc
	s_waitcnt lgkmcnt(3)
	global_store_short v[68:69], v5, off
	s_waitcnt lgkmcnt(2)
	global_store_short v[70:71], v15, off
	;; [unrolled: 2-line block ×4, first 2 shown]
	s_andn2_b64 exec, exec, s[14:15]
	s_cbranch_execnz .LBB672_183
.LBB672_184:
	s_or_b64 exec, exec, s[12:13]
	v_add_u32_e32 v1, 1, v14
	v_and_b32_e32 v3, 0x1fffffc, v1
	v_cmp_ne_u32_e32 vcc, v1, v3
	v_lshl_or_b32 v2, v3, 8, v0
	s_orn2_b64 s[2:3], vcc, exec
.LBB672_185:
	s_or_b64 exec, exec, s[10:11]
	s_andn2_b64 s[6:7], s[6:7], exec
	s_and_b64 s[2:3], s[2:3], exec
	s_or_b64 s[6:7], s[6:7], s[2:3]
.LBB672_186:
	s_or_b64 exec, exec, s[8:9]
	s_and_b64 exec, exec, s[6:7]
	s_cbranch_execz .LBB672_189
; %bb.187:
	v_lshlrev_b32_e32 v1, 1, v2
	s_mov_b64 s[2:3], 0
	v_mov_b32_e32 v3, 0
.LBB672_188:                            ; =>This Inner Loop Header: Depth=1
	v_lshlrev_b64 v[4:5], 1, v[2:3]
	ds_read_u16 v10, v1
	v_add_co_u32_e32 v4, vcc, v7, v4
	v_add_u32_e32 v2, 0x100, v2
	v_addc_co_u32_e32 v5, vcc, v9, v5, vcc
	v_cmp_ge_u32_e32 vcc, v2, v6
	v_add_u32_e32 v1, 0x200, v1
	s_or_b64 s[2:3], vcc, s[2:3]
	s_waitcnt lgkmcnt(0)
	global_store_short v[4:5], v10, off
	s_andn2_b64 exec, exec, s[2:3]
	s_cbranch_execnz .LBB672_188
.LBB672_189:
	s_or_b64 exec, exec, s[4:5]
.LBB672_190:
	s_cmpk_lg_i32 s33, 0xf00
	s_cselect_b64 s[2:3], -1, 0
	v_cndmask_b32_e64 v1, 0, 1, s[38:39]
	s_and_b64 s[2:3], s[2:3], s[36:37]
	v_sub_u32_e32 v3, v6, v1
	v_cndmask_b32_e64 v2, 0, 1, s[2:3]
	s_and_b64 s[0:1], s[0:1], s[38:39]
	v_add_u32_e32 v7, v3, v2
	v_cndmask_b32_e64 v3, v79, 0, s[0:1]
	s_mul_hi_u32 s0, s33, 0x88888889
	s_lshr_b32 s0, s0, 3
	v_mad_i32_i24 v4, v0, -15, s33
	v_cmp_eq_u32_e32 vcc, s0, v0
	v_cmp_ne_u32_e64 s[0:1], 0, v4
	v_cndmask_b32_e64 v5, 1, v3, s[0:1]
	v_cmp_ne_u32_e64 s[0:1], 1, v4
	v_cndmask_b32_e64 v9, 1, v31, s[0:1]
	;; [unrolled: 2-line block ×15, first 2 shown]
	s_and_b64 vcc, vcc, s[36:37]
	v_cndmask_b32_e32 v4, v17, v4, vcc
	v_cndmask_b32_e32 v17, v19, v72, vcc
	;; [unrolled: 1-line block ×15, first 2 shown]
	v_mov_b32_e32 v3, s53
	v_add_co_u32_e32 v9, vcc, s52, v64
	v_addc_co_u32_e32 v3, vcc, v3, v65, vcc
	v_add_co_u32_e32 v9, vcc, v9, v66
	v_addc_co_u32_e32 v14, vcc, v3, v67, vcc
	v_lshlrev_b32_e32 v3, 1, v1
	v_add_co_u32_e32 v3, vcc, v3, v9
	v_addc_co_u32_e32 v16, vcc, 0, v14, vcc
	v_add_co_u32_e32 v15, vcc, -2, v3
	v_addc_co_u32_e32 v16, vcc, -1, v16, vcc
	v_cmp_eq_u32_e32 vcc, 0, v5
	v_cmp_ne_u32_e64 s[28:29], 0, v5
	v_cndmask_b32_e64 v5, 1, 2, vcc
	v_cmp_eq_u32_e32 vcc, 0, v25
	v_cmp_ne_u32_e64 s[26:27], 0, v25
	v_cndmask_b32_e64 v25, 1, 2, vcc
	v_cmp_eq_u32_e32 vcc, 0, v10
	v_and_b32_e32 v5, v25, v5
	v_cmp_ne_u32_e64 s[24:25], 0, v10
	v_cndmask_b32_e64 v10, 1, 2, vcc
	v_cmp_eq_u32_e32 vcc, 0, v11
	v_and_b32_e32 v5, v5, v10
	v_cndmask_b32_e64 v10, 1, 2, vcc
	v_cmp_eq_u32_e32 vcc, 0, v12
	v_and_b32_e32 v5, v5, v10
	;; [unrolled: 3-line block ×12, first 2 shown]
	v_cmp_ne_u32_e64 s[0:1], 0, v4
	v_cndmask_b32_e64 v4, 1, 2, vcc
	s_movk_i32 s30, 0x100
	v_and_b32_e32 v4, v5, v4
	v_cmp_gt_u32_e32 vcc, s30, v7
	v_add_u32_e32 v3, v8, v1
	v_cmp_ne_u32_e64 s[22:23], 0, v11
	v_cmp_ne_u32_e64 s[20:21], 0, v12
	;; [unrolled: 1-line block ×11, first 2 shown]
	s_mov_b64 s[34:35], -1
	v_cmp_gt_i16_e64 s[30:31], 2, v4
	s_barrier
	s_cbranch_vccz .LBB672_197
; %bb.191:
	s_and_saveexec_b64 s[34:35], s[30:31]
	s_cbranch_execz .LBB672_196
; %bb.192:
	v_cmp_ne_u16_e32 vcc, 1, v4
	s_mov_b64 s[38:39], 0
	s_and_saveexec_b64 s[30:31], vcc
	s_xor_b64 s[30:31], exec, s[30:31]
	s_cbranch_execnz .LBB672_291
; %bb.193:
	s_andn2_saveexec_b64 s[30:31], s[30:31]
	s_cbranch_execnz .LBB672_307
.LBB672_194:
	s_or_b64 exec, exec, s[30:31]
	s_and_b64 exec, exec, s[38:39]
	s_cbranch_execz .LBB672_196
.LBB672_195:
	v_sub_u32_e32 v10, v34, v3
	v_mov_b32_e32 v11, 0
	v_lshlrev_b64 v[10:11], 1, v[10:11]
	v_add_co_u32_e32 v10, vcc, v15, v10
	v_addc_co_u32_e32 v11, vcc, v16, v11, vcc
	global_store_short v[10:11], v35, off
.LBB672_196:
	s_or_b64 exec, exec, s[34:35]
	s_mov_b64 s[34:35], 0
.LBB672_197:
	s_and_b64 vcc, exec, s[34:35]
	s_cbranch_vccz .LBB672_219
; %bb.198:
	v_cmp_gt_i16_e32 vcc, 2, v4
	s_and_saveexec_b64 s[30:31], vcc
	s_cbranch_execz .LBB672_203
; %bb.199:
	v_cmp_ne_u16_e32 vcc, 1, v4
	s_mov_b64 s[38:39], 0
	s_and_saveexec_b64 s[34:35], vcc
	s_xor_b64 s[34:35], exec, s[34:35]
	s_cbranch_execnz .LBB672_308
; %bb.200:
	s_andn2_saveexec_b64 s[0:1], s[34:35]
	s_cbranch_execnz .LBB672_324
.LBB672_201:
	s_or_b64 exec, exec, s[0:1]
	s_and_b64 exec, exec, s[38:39]
	s_cbranch_execz .LBB672_203
.LBB672_202:
	v_sub_u32_e32 v3, v34, v3
	v_lshlrev_b32_e32 v3, 1, v3
	ds_write_b16 v3, v35
.LBB672_203:
	s_or_b64 exec, exec, s[30:31]
	v_cmp_lt_u32_e32 vcc, v0, v7
	s_waitcnt lgkmcnt(0)
	s_barrier
	s_and_saveexec_b64 s[2:3], vcc
	s_cbranch_execz .LBB672_218
; %bb.204:
	v_add_u32_e32 v4, v6, v2
	v_xad_u32 v2, v0, -1, v4
	v_sub_u32_e32 v3, v2, v1
	s_movk_i32 s0, 0x1b00
	v_cmp_gt_u32_e64 s[4:5], s0, v3
	s_movk_i32 s0, 0x1aff
	v_cmp_lt_u32_e32 vcc, s0, v3
	v_mov_b32_e32 v2, v0
	s_and_saveexec_b64 s[6:7], vcc
	s_cbranch_execz .LBB672_215
; %bb.205:
	v_sub_u32_e32 v2, v0, v4
	v_add_u32_e32 v1, v2, v1
	v_or_b32_e32 v1, 0xff, v1
	v_cmp_ge_u32_e32 vcc, v1, v0
	s_mov_b64 s[0:1], -1
	v_mov_b32_e32 v2, v0
	s_and_saveexec_b64 s[8:9], vcc
	s_cbranch_execz .LBB672_214
; %bb.206:
	v_lshrrev_b32_e32 v17, 8, v3
	v_or_b32_e32 v3, 0x300, v0
	v_or_b32_e32 v2, 0x200, v0
	v_add_u32_e32 v4, -3, v17
	v_or_b32_e32 v1, 0x100, v0
	v_lshrrev_b32_e32 v5, 2, v4
	v_pk_mov_b32 v[12:13], v[2:3], v[2:3] op_sel:[0,1]
	v_add_u32_e32 v19, 1, v5
	v_cmp_lt_u32_e32 vcc, 11, v4
	v_mov_b32_e32 v22, 0
	v_lshlrev_b32_e32 v18, 1, v0
	v_pk_mov_b32 v[10:11], v[0:1], v[0:1] op_sel:[0,1]
	s_and_saveexec_b64 s[10:11], vcc
	s_cbranch_execz .LBB672_210
; %bb.207:
	v_pk_mov_b32 v[12:13], v[2:3], v[2:3] op_sel:[0,1]
	v_and_b32_e32 v20, 0x7ffffffc, v19
	s_mov_b32 s14, 0
	s_mov_b64 s[12:13], 0
	v_mov_b32_e32 v5, 0
	v_mov_b32_e32 v21, v18
	v_pk_mov_b32 v[10:11], v[0:1], v[0:1] op_sel:[0,1]
.LBB672_208:                            ; =>This Inner Loop Header: Depth=1
	v_mov_b32_e32 v4, v10
	v_lshlrev_b64 v[42:43], 1, v[4:5]
	v_add_u32_e32 v24, 0x400, v11
	v_mov_b32_e32 v25, v5
	v_add_co_u32_e64 v42, s[0:1], v15, v42
	v_lshlrev_b64 v[24:25], 1, v[24:25]
	v_addc_co_u32_e64 v43, s[0:1], v16, v43, s[0:1]
	v_add_u32_e32 v22, 0x400, v12
	v_mov_b32_e32 v23, v5
	v_add_co_u32_e64 v24, s[0:1], v15, v24
	v_lshlrev_b64 v[44:45], 1, v[22:23]
	v_addc_co_u32_e64 v25, s[0:1], v16, v25, s[0:1]
	v_add_u32_e32 v2, 0x400, v13
	v_mov_b32_e32 v3, v5
	v_add_co_u32_e64 v44, s[0:1], v15, v44
	v_add_u32_e32 v20, -4, v20
	v_mov_b32_e32 v4, v11
	v_lshlrev_b64 v[2:3], 1, v[2:3]
	v_addc_co_u32_e64 v45, s[0:1], v16, v45, s[0:1]
	v_add_u32_e32 v34, 0x800, v11
	v_mov_b32_e32 v35, v5
	s_add_i32 s14, s14, 16
	v_cmp_eq_u32_e32 vcc, 0, v20
	v_lshlrev_b64 v[46:47], 1, v[4:5]
	v_add_co_u32_e64 v2, s[0:1], v15, v2
	v_lshlrev_b64 v[34:35], 1, v[34:35]
	v_mov_b32_e32 v4, v12
	v_addc_co_u32_e64 v3, s[0:1], v16, v3, s[0:1]
	s_or_b64 s[12:13], vcc, s[12:13]
	v_add_co_u32_e32 v46, vcc, v15, v46
	v_add_u32_e32 v28, 0x800, v12
	v_mov_b32_e32 v29, v5
	v_add_co_u32_e64 v34, s[0:1], v15, v34
	v_addc_co_u32_e32 v47, vcc, v16, v47, vcc
	v_lshlrev_b64 v[48:49], 1, v[4:5]
	v_lshlrev_b64 v[28:29], 1, v[28:29]
	v_addc_co_u32_e64 v35, s[0:1], v16, v35, s[0:1]
	v_mov_b32_e32 v4, v13
	v_add_co_u32_e32 v48, vcc, v15, v48
	ds_read_u16 v1, v21
	ds_read_u16 v31, v21 offset:512
	ds_read_u16 v52, v21 offset:1024
	;; [unrolled: 1-line block ×7, first 2 shown]
	v_add_u32_e32 v26, 0x800, v13
	v_mov_b32_e32 v27, v5
	v_add_co_u32_e64 v28, s[0:1], v15, v28
	v_addc_co_u32_e32 v49, vcc, v16, v49, vcc
	v_lshlrev_b64 v[50:51], 1, v[4:5]
	v_lshlrev_b64 v[26:27], 1, v[26:27]
	v_addc_co_u32_e64 v29, s[0:1], v16, v29, s[0:1]
	v_add_u32_e32 v4, 0x400, v10
	v_add_co_u32_e32 v50, vcc, v15, v50
	v_add_u32_e32 v40, 0xc00, v11
	v_mov_b32_e32 v41, v5
	ds_read_u16 v58, v21 offset:4096
	ds_read_u16 v59, v21 offset:4608
	;; [unrolled: 1-line block ×8, first 2 shown]
	v_add_co_u32_e64 v26, s[0:1], v15, v26
	v_addc_co_u32_e32 v51, vcc, v16, v51, vcc
	s_waitcnt lgkmcnt(14)
	global_store_short v[42:43], v1, off
	global_store_short v[46:47], v31, off
	s_waitcnt lgkmcnt(13)
	global_store_short v[48:49], v52, off
	v_lshlrev_b64 v[42:43], 1, v[4:5]
	v_lshlrev_b64 v[40:41], 1, v[40:41]
	v_addc_co_u32_e64 v27, s[0:1], v16, v27, s[0:1]
	v_add_u32_e32 v4, 0x800, v10
	v_add_co_u32_e32 v42, vcc, v15, v42
	v_add_u32_e32 v38, 0xc00, v12
	v_mov_b32_e32 v39, v5
	v_add_co_u32_e64 v40, s[0:1], v15, v40
	v_addc_co_u32_e32 v43, vcc, v16, v43, vcc
	v_lshlrev_b64 v[46:47], 1, v[4:5]
	v_lshlrev_b64 v[38:39], 1, v[38:39]
	v_addc_co_u32_e64 v41, s[0:1], v16, v41, s[0:1]
	s_waitcnt lgkmcnt(12)
	global_store_short v[50:51], v53, off
	v_add_u32_e32 v4, 0xc00, v10
	s_waitcnt lgkmcnt(11)
	global_store_short v[42:43], v54, off
	s_waitcnt lgkmcnt(10)
	global_store_short v[24:25], v55, off
	;; [unrolled: 2-line block ×4, first 2 shown]
	v_add_co_u32_e32 v2, vcc, v15, v46
	v_add_u32_e32 v36, 0xc00, v13
	v_mov_b32_e32 v37, v5
	v_add_co_u32_e64 v38, s[0:1], v15, v38
	v_addc_co_u32_e32 v3, vcc, v16, v47, vcc
	v_lshlrev_b64 v[24:25], 1, v[4:5]
	v_lshlrev_b64 v[36:37], 1, v[36:37]
	v_addc_co_u32_e64 v39, s[0:1], v16, v39, s[0:1]
	s_waitcnt lgkmcnt(7)
	global_store_short v[2:3], v58, off
	s_waitcnt lgkmcnt(6)
	global_store_short v[34:35], v59, off
	s_waitcnt lgkmcnt(5)
	global_store_short v[28:29], v60, off
	s_waitcnt lgkmcnt(4)
	global_store_short v[26:27], v61, off
	v_add_co_u32_e32 v2, vcc, v15, v24
	v_add_u32_e32 v21, 0x2000, v21
	v_add_u32_e32 v11, 0x1000, v11
	v_mov_b32_e32 v22, s14
	v_add_co_u32_e64 v36, s[0:1], v15, v36
	v_add_u32_e32 v12, 0x1000, v12
	v_add_u32_e32 v13, 0x1000, v13
	;; [unrolled: 1-line block ×3, first 2 shown]
	v_addc_co_u32_e32 v3, vcc, v16, v25, vcc
	v_addc_co_u32_e64 v37, s[0:1], v16, v37, s[0:1]
	s_waitcnt lgkmcnt(3)
	global_store_short v[2:3], v62, off
	s_waitcnt lgkmcnt(2)
	global_store_short v[40:41], v63, off
	;; [unrolled: 2-line block ×4, first 2 shown]
	s_andn2_b64 exec, exec, s[12:13]
	s_cbranch_execnz .LBB672_208
; %bb.209:
	s_or_b64 exec, exec, s[12:13]
.LBB672_210:
	s_or_b64 exec, exec, s[10:11]
	v_and_b32_e32 v1, 3, v19
	v_cmp_ne_u32_e32 vcc, 0, v1
	s_and_saveexec_b64 s[10:11], vcc
	s_cbranch_execz .LBB672_213
; %bb.211:
	v_lshl_or_b32 v4, v22, 9, v18
	s_mov_b64 s[12:13], 0
	v_mov_b32_e32 v3, 0
.LBB672_212:                            ; =>This Inner Loop Header: Depth=1
	v_mov_b32_e32 v2, v10
	v_add_u32_e32 v1, -1, v1
	v_lshlrev_b64 v[18:19], 1, v[2:3]
	v_mov_b32_e32 v2, v11
	v_cmp_eq_u32_e32 vcc, 0, v1
	v_lshlrev_b64 v[20:21], 1, v[2:3]
	ds_read_u16 v5, v4
	ds_read_u16 v26, v4 offset:512
	ds_read_u16 v27, v4 offset:1024
	;; [unrolled: 1-line block ×3, first 2 shown]
	v_mov_b32_e32 v2, v12
	s_or_b64 s[12:13], vcc, s[12:13]
	v_add_co_u32_e32 v20, vcc, v15, v20
	v_addc_co_u32_e32 v21, vcc, v16, v21, vcc
	v_lshlrev_b64 v[22:23], 1, v[2:3]
	v_mov_b32_e32 v2, v13
	v_add_co_u32_e32 v22, vcc, v15, v22
	v_add_co_u32_e64 v18, s[0:1], v15, v18
	v_addc_co_u32_e32 v23, vcc, v16, v23, vcc
	v_lshlrev_b64 v[24:25], 1, v[2:3]
	v_add_u32_e32 v10, 0x400, v10
	v_add_u32_e32 v4, 0x800, v4
	;; [unrolled: 1-line block ×3, first 2 shown]
	v_addc_co_u32_e64 v19, s[0:1], v16, v19, s[0:1]
	v_add_u32_e32 v12, 0x400, v12
	v_add_u32_e32 v13, 0x400, v13
	v_add_co_u32_e32 v24, vcc, v15, v24
	v_addc_co_u32_e32 v25, vcc, v16, v25, vcc
	s_waitcnt lgkmcnt(3)
	global_store_short v[18:19], v5, off
	s_waitcnt lgkmcnt(2)
	global_store_short v[20:21], v26, off
	;; [unrolled: 2-line block ×4, first 2 shown]
	s_andn2_b64 exec, exec, s[12:13]
	s_cbranch_execnz .LBB672_212
.LBB672_213:
	s_or_b64 exec, exec, s[10:11]
	v_add_u32_e32 v1, 1, v17
	v_and_b32_e32 v3, 0x1fffffc, v1
	v_cmp_ne_u32_e32 vcc, v1, v3
	v_lshl_or_b32 v2, v3, 8, v0
	s_orn2_b64 s[0:1], vcc, exec
.LBB672_214:
	s_or_b64 exec, exec, s[8:9]
	s_andn2_b64 s[4:5], s[4:5], exec
	s_and_b64 s[0:1], s[0:1], exec
	s_or_b64 s[4:5], s[4:5], s[0:1]
.LBB672_215:
	s_or_b64 exec, exec, s[6:7]
	s_and_b64 exec, exec, s[4:5]
	s_cbranch_execz .LBB672_218
; %bb.216:
	v_lshlrev_b32_e32 v1, 1, v2
	s_mov_b64 s[0:1], 0
	v_mov_b32_e32 v3, 0
.LBB672_217:                            ; =>This Inner Loop Header: Depth=1
	v_lshlrev_b64 v[4:5], 1, v[2:3]
	ds_read_u16 v10, v1
	v_add_co_u32_e32 v4, vcc, v15, v4
	v_add_u32_e32 v2, 0x100, v2
	v_addc_co_u32_e32 v5, vcc, v16, v5, vcc
	v_cmp_ge_u32_e32 vcc, v2, v7
	v_add_u32_e32 v1, 0x200, v1
	s_or_b64 s[0:1], vcc, s[0:1]
	s_waitcnt lgkmcnt(0)
	global_store_short v[4:5], v10, off
	s_andn2_b64 exec, exec, s[0:1]
	s_cbranch_execnz .LBB672_217
.LBB672_218:
	s_or_b64 exec, exec, s[2:3]
.LBB672_219:
	s_movk_i32 s0, 0xff
	v_cmp_eq_u32_e32 vcc, s0, v0
	s_and_b64 s[0:1], vcc, s[36:37]
	s_and_saveexec_b64 s[2:3], s[0:1]
	s_cbranch_execz .LBB672_222
; %bb.220:
	v_add_co_u32_e32 v0, vcc, v6, v8
	v_addc_co_u32_e64 v1, s[0:1], 0, 0, vcc
	v_add_co_u32_e32 v0, vcc, v0, v32
	v_mov_b32_e32 v7, 0
	v_addc_co_u32_e32 v1, vcc, v1, v33, vcc
	s_cmpk_lg_i32 s33, 0xf00
	global_store_dwordx2 v7, v[0:1], s[54:55]
	s_cbranch_scc1 .LBB672_222
; %bb.221:
	v_lshlrev_b64 v[0:1], 1, v[6:7]
	v_add_co_u32_e32 v0, vcc, v9, v0
	v_addc_co_u32_e32 v1, vcc, v14, v1, vcc
	global_store_short v[0:1], v30, off offset:-2
.LBB672_222:
	s_endpgm
.LBB672_223:
                                        ; implicit-def: $sgpr8_sgpr9
                                        ; implicit-def: $vgpr17
                                        ; implicit-def: $vgpr19
                                        ; implicit-def: $vgpr18
                                        ; implicit-def: $vgpr21
                                        ; implicit-def: $vgpr20
                                        ; implicit-def: $vgpr23
                                        ; implicit-def: $vgpr22
                                        ; implicit-def: $vgpr25
                                        ; implicit-def: $vgpr24
                                        ; implicit-def: $vgpr27
                                        ; implicit-def: $vgpr26
                                        ; implicit-def: $vgpr29
                                        ; implicit-def: $vgpr28
                                        ; implicit-def: $vgpr31
	s_cbranch_execz .LBB672_113
.LBB672_224:
	v_mad_u32_u24 v18, v0, 15, 14
	v_mov_b32_e32 v19, 0
	s_waitcnt vmcnt(0) lgkmcnt(0)
	v_lshlrev_b32_e32 v8, 1, v0
	v_lshrrev_b32_e32 v7, 16, v16
	v_mul_u32_u24_e32 v6, 15, v0
	v_cmp_gt_u64_e32 vcc, s[6:7], v[18:19]
	v_mov_b32_e32 v17, 0
	ds_write_b16 v8, v7
	s_and_saveexec_b64 s[8:9], vcc
; %bb.225:
	s_movk_i32 s10, 0x6667
	v_mul_i32_i24_sdwa v9, sext(v16), s10 dst_sel:DWORD dst_unused:UNUSED_PAD src0_sel:WORD_0 src1_sel:DWORD
	v_lshrrev_b32_e32 v10, 31, v9
	v_ashrrev_i32_e32 v9, 18, v9
	v_mul_i32_i24_sdwa v7, sext(v7), s10 dst_sel:DWORD dst_unused:UNUSED_PAD src0_sel:WORD_0 src1_sel:DWORD
	v_add_u16_e32 v9, v9, v10
	v_lshrrev_b32_e32 v10, 31, v7
	v_ashrrev_i32_e32 v7, 18, v7
	v_add_u16_e32 v7, v7, v10
	v_cmp_ne_u16_e32 vcc, v9, v7
	v_cndmask_b32_e64 v17, 0, 1, vcc
; %bb.226:
	s_or_b64 exec, exec, s[8:9]
	v_add_u32_e32 v18, 13, v6
	v_cmp_gt_u64_e32 vcc, s[6:7], v[18:19]
	s_and_saveexec_b64 s[8:9], vcc
; %bb.227:
	s_movk_i32 s10, 0x6667
	v_mul_i32_i24_sdwa v7, sext(v15), s10 dst_sel:DWORD dst_unused:UNUSED_PAD src0_sel:WORD_1 src1_sel:DWORD
	v_lshrrev_b32_e32 v9, 31, v7
	v_ashrrev_i32_e32 v7, 18, v7
	v_add_u16_e32 v7, v7, v9
	v_mul_i32_i24_sdwa v9, sext(v16), s10 dst_sel:DWORD dst_unused:UNUSED_PAD src0_sel:WORD_0 src1_sel:DWORD
	v_lshrrev_b32_e32 v10, 31, v9
	v_ashrrev_i32_e32 v9, 18, v9
	v_add_u16_e32 v9, v9, v10
	v_cmp_ne_u16_e32 vcc, v7, v9
	v_cndmask_b32_e64 v19, 0, 1, vcc
; %bb.228:
	s_or_b64 exec, exec, s[8:9]
	v_add_u32_e32 v20, 12, v6
	v_mov_b32_e32 v21, 0
	v_cmp_gt_u64_e32 vcc, s[6:7], v[20:21]
	v_mov_b32_e32 v18, 0
	s_and_saveexec_b64 s[8:9], vcc
; %bb.229:
	s_movk_i32 s10, 0x6667
	v_mul_i32_i24_sdwa v7, sext(v15), s10 dst_sel:DWORD dst_unused:UNUSED_PAD src0_sel:WORD_0 src1_sel:DWORD
	v_lshrrev_b32_e32 v9, 31, v7
	v_ashrrev_i32_e32 v7, 18, v7
	v_add_u16_e32 v7, v7, v9
	v_mul_i32_i24_sdwa v9, sext(v15), s10 dst_sel:DWORD dst_unused:UNUSED_PAD src0_sel:WORD_1 src1_sel:DWORD
	v_lshrrev_b32_e32 v10, 31, v9
	v_ashrrev_i32_e32 v9, 18, v9
	v_add_u16_e32 v9, v9, v10
	v_cmp_ne_u16_e32 vcc, v7, v9
	v_cndmask_b32_e64 v18, 0, 1, vcc
; %bb.230:
	s_or_b64 exec, exec, s[8:9]
	v_add_u32_e32 v20, 11, v6
	v_cmp_gt_u64_e32 vcc, s[6:7], v[20:21]
	s_and_saveexec_b64 s[8:9], vcc
; %bb.231:
	s_movk_i32 s10, 0x6667
	v_mul_i32_i24_sdwa v7, sext(v14), s10 dst_sel:DWORD dst_unused:UNUSED_PAD src0_sel:WORD_1 src1_sel:DWORD
	v_lshrrev_b32_e32 v9, 31, v7
	v_ashrrev_i32_e32 v7, 18, v7
	v_add_u16_e32 v7, v7, v9
	v_mul_i32_i24_sdwa v9, sext(v15), s10 dst_sel:DWORD dst_unused:UNUSED_PAD src0_sel:WORD_0 src1_sel:DWORD
	v_lshrrev_b32_e32 v10, 31, v9
	v_ashrrev_i32_e32 v9, 18, v9
	v_add_u16_e32 v9, v9, v10
	v_cmp_ne_u16_e32 vcc, v7, v9
	v_cndmask_b32_e64 v21, 0, 1, vcc
; %bb.232:
	s_or_b64 exec, exec, s[8:9]
	v_add_u32_e32 v22, 10, v6
	v_mov_b32_e32 v23, 0
	v_cmp_gt_u64_e32 vcc, s[6:7], v[22:23]
	v_mov_b32_e32 v20, 0
	s_and_saveexec_b64 s[8:9], vcc
; %bb.233:
	s_movk_i32 s10, 0x6667
	v_mul_i32_i24_sdwa v7, sext(v14), s10 dst_sel:DWORD dst_unused:UNUSED_PAD src0_sel:WORD_0 src1_sel:DWORD
	v_lshrrev_b32_e32 v9, 31, v7
	v_ashrrev_i32_e32 v7, 18, v7
	v_add_u16_e32 v7, v7, v9
	v_mul_i32_i24_sdwa v9, sext(v14), s10 dst_sel:DWORD dst_unused:UNUSED_PAD src0_sel:WORD_1 src1_sel:DWORD
	;; [unrolled: 36-line block ×6, first 2 shown]
	v_lshrrev_b32_e32 v10, 31, v9
	v_ashrrev_i32_e32 v9, 18, v9
	v_add_u16_e32 v9, v9, v10
	v_cmp_ne_u16_e32 vcc, v7, v9
	v_cndmask_b32_e64 v28, 0, 1, vcc
; %bb.250:
	s_or_b64 exec, exec, s[8:9]
	v_add_u32_e32 v30, 1, v6
	v_cmp_gt_u64_e32 vcc, s[6:7], v[30:31]
	s_and_saveexec_b64 s[8:9], vcc
; %bb.251:
	s_movk_i32 s10, 0x6667
	v_mul_i32_i24_sdwa v7, sext(v1), s10 dst_sel:DWORD dst_unused:UNUSED_PAD src0_sel:WORD_0 src1_sel:DWORD
	v_lshrrev_b32_e32 v9, 31, v7
	v_ashrrev_i32_e32 v7, 18, v7
	v_add_u16_e32 v7, v7, v9
	v_mul_i32_i24_sdwa v9, sext(v2), s10 dst_sel:DWORD dst_unused:UNUSED_PAD src0_sel:WORD_0 src1_sel:DWORD
	v_lshrrev_b32_e32 v10, 31, v9
	v_ashrrev_i32_e32 v9, 18, v9
	v_add_u16_e32 v9, v9, v10
	v_cmp_ne_u16_e32 vcc, v7, v9
	v_cndmask_b32_e64 v31, 0, 1, vcc
; %bb.252:
	s_or_b64 exec, exec, s[8:9]
	s_waitcnt lgkmcnt(0)
	s_barrier
	s_waitcnt lgkmcnt(0)
                                        ; implicit-def: $sgpr8_sgpr9
	s_and_saveexec_b64 s[10:11], s[2:3]
	s_cbranch_execz .LBB672_256
; %bb.253:
	v_mov_b32_e32 v7, 0
	v_cmp_gt_u64_e32 vcc, s[6:7], v[6:7]
	s_mov_b64 s[6:7], 0
	s_and_saveexec_b64 s[2:3], vcc
	s_cbranch_execz .LBB672_255
; %bb.254:
	v_add_u32_e32 v6, -2, v8
	ds_read_i16 v6, v6
	s_movk_i32 s6, 0x6667
	v_mul_i32_i24_sdwa v7, sext(v1), s6 dst_sel:DWORD dst_unused:UNUSED_PAD src0_sel:WORD_0 src1_sel:DWORD
	v_lshrrev_b32_e32 v8, 31, v7
	v_ashrrev_i32_e32 v7, 18, v7
	s_waitcnt lgkmcnt(0)
	v_mul_i32_i24_e32 v6, 0x6667, v6
	v_lshrrev_b32_e32 v9, 31, v6
	v_ashrrev_i32_e32 v6, 18, v6
	v_add_u16_e32 v6, v6, v9
	v_add_u16_e32 v7, v7, v8
	v_cmp_ne_u16_e32 vcc, v6, v7
	s_and_b64 s[6:7], vcc, exec
.LBB672_255:
	s_or_b64 exec, exec, s[2:3]
	s_and_b64 s[8:9], s[6:7], exec
	s_or_b64 s[4:5], s[4:5], exec
.LBB672_256:
	s_or_b64 exec, exec, s[10:11]
	s_mov_b32 s10, 1
	v_mov_b32_e32 v79, s10
	s_and_saveexec_b64 s[2:3], s[4:5]
	s_cbranch_execnz .LBB672_115
	s_branch .LBB672_116
.LBB672_257:
	s_and_saveexec_b64 s[42:43], s[30:31]
	s_cbranch_execnz .LBB672_325
; %bb.258:
	s_or_b64 exec, exec, s[42:43]
	s_and_saveexec_b64 s[42:43], s[28:29]
	s_cbranch_execnz .LBB672_326
.LBB672_259:
	s_or_b64 exec, exec, s[42:43]
	s_and_saveexec_b64 s[42:43], s[26:27]
	s_cbranch_execnz .LBB672_327
.LBB672_260:
	s_or_b64 exec, exec, s[42:43]
	s_and_saveexec_b64 s[42:43], s[24:25]
	s_cbranch_execnz .LBB672_328
.LBB672_261:
	s_or_b64 exec, exec, s[42:43]
	s_and_saveexec_b64 s[42:43], s[22:23]
	s_cbranch_execnz .LBB672_329
.LBB672_262:
	s_or_b64 exec, exec, s[42:43]
	s_and_saveexec_b64 s[42:43], s[20:21]
	s_cbranch_execnz .LBB672_330
.LBB672_263:
	s_or_b64 exec, exec, s[42:43]
	s_and_saveexec_b64 s[42:43], s[18:19]
	s_cbranch_execnz .LBB672_331
.LBB672_264:
	s_or_b64 exec, exec, s[42:43]
	s_and_saveexec_b64 s[42:43], s[16:17]
	s_cbranch_execnz .LBB672_332
.LBB672_265:
	s_or_b64 exec, exec, s[42:43]
	s_and_saveexec_b64 s[42:43], s[14:15]
	s_cbranch_execnz .LBB672_333
.LBB672_266:
	s_or_b64 exec, exec, s[42:43]
	s_and_saveexec_b64 s[42:43], s[12:13]
	s_cbranch_execnz .LBB672_334
.LBB672_267:
	s_or_b64 exec, exec, s[42:43]
	s_and_saveexec_b64 s[42:43], s[10:11]
	s_cbranch_execnz .LBB672_335
.LBB672_268:
	s_or_b64 exec, exec, s[42:43]
	s_and_saveexec_b64 s[42:43], s[8:9]
	s_cbranch_execnz .LBB672_336
.LBB672_269:
	s_or_b64 exec, exec, s[42:43]
	s_and_saveexec_b64 s[42:43], s[6:7]
	s_cbranch_execnz .LBB672_337
.LBB672_270:
	s_or_b64 exec, exec, s[42:43]
	s_and_saveexec_b64 s[42:43], s[4:5]
	s_cbranch_execz .LBB672_272
.LBB672_271:
	v_sub_u32_e32 v12, v36, v8
	v_mov_b32_e32 v13, 0
	v_lshlrev_b64 v[12:13], 1, v[12:13]
	v_add_co_u32_e32 v12, vcc, v7, v12
	v_addc_co_u32_e32 v13, vcc, v9, v13, vcc
	global_store_short v[12:13], v16, off
.LBB672_272:
	s_or_b64 exec, exec, s[42:43]
	s_and_b64 s[42:43], s[2:3], exec
	s_andn2_saveexec_b64 s[34:35], s[34:35]
	s_cbranch_execz .LBB672_165
.LBB672_273:
	v_sub_u32_e32 v12, v62, v8
	v_mov_b32_e32 v13, 0
	v_lshlrev_b64 v[68:69], 1, v[12:13]
	v_add_co_u32_e32 v68, vcc, v7, v68
	v_addc_co_u32_e32 v69, vcc, v9, v69, vcc
	v_sub_u32_e32 v12, v60, v8
	global_store_short v[68:69], v1, off
	v_lshlrev_b64 v[68:69], 1, v[12:13]
	v_add_co_u32_e32 v68, vcc, v7, v68
	v_addc_co_u32_e32 v69, vcc, v9, v69, vcc
	v_sub_u32_e32 v12, v58, v8
	global_store_short v[68:69], v2, off
	v_lshlrev_b64 v[68:69], 1, v[12:13]
	v_add_co_u32_e32 v68, vcc, v7, v68
	v_addc_co_u32_e32 v69, vcc, v9, v69, vcc
	v_sub_u32_e32 v12, v56, v8
	global_store_short_d16_hi v[68:69], v2, off
	v_lshlrev_b64 v[68:69], 1, v[12:13]
	v_add_co_u32_e32 v68, vcc, v7, v68
	v_addc_co_u32_e32 v69, vcc, v9, v69, vcc
	v_sub_u32_e32 v12, v54, v8
	global_store_short v[68:69], v3, off
	v_lshlrev_b64 v[68:69], 1, v[12:13]
	v_add_co_u32_e32 v68, vcc, v7, v68
	v_addc_co_u32_e32 v69, vcc, v9, v69, vcc
	v_sub_u32_e32 v12, v52, v8
	global_store_short_d16_hi v[68:69], v3, off
	v_lshlrev_b64 v[68:69], 1, v[12:13]
	v_add_co_u32_e32 v68, vcc, v7, v68
	v_addc_co_u32_e32 v69, vcc, v9, v69, vcc
	v_sub_u32_e32 v12, v50, v8
	global_store_short v[68:69], v4, off
	v_lshlrev_b64 v[68:69], 1, v[12:13]
	v_add_co_u32_e32 v68, vcc, v7, v68
	v_addc_co_u32_e32 v69, vcc, v9, v69, vcc
	v_sub_u32_e32 v12, v48, v8
	global_store_short_d16_hi v[68:69], v4, off
	v_lshlrev_b64 v[68:69], 1, v[12:13]
	v_add_co_u32_e32 v68, vcc, v7, v68
	v_addc_co_u32_e32 v69, vcc, v9, v69, vcc
	v_sub_u32_e32 v12, v46, v8
	global_store_short v[68:69], v5, off
	v_lshlrev_b64 v[68:69], 1, v[12:13]
	v_add_co_u32_e32 v68, vcc, v7, v68
	v_addc_co_u32_e32 v69, vcc, v9, v69, vcc
	v_sub_u32_e32 v12, v44, v8
	global_store_short_d16_hi v[68:69], v5, off
	v_lshlrev_b64 v[68:69], 1, v[12:13]
	v_add_co_u32_e32 v68, vcc, v7, v68
	v_addc_co_u32_e32 v69, vcc, v9, v69, vcc
	v_sub_u32_e32 v12, v42, v8
	global_store_short v[68:69], v14, off
	v_lshlrev_b64 v[68:69], 1, v[12:13]
	v_add_co_u32_e32 v68, vcc, v7, v68
	v_addc_co_u32_e32 v69, vcc, v9, v69, vcc
	v_sub_u32_e32 v12, v40, v8
	global_store_short_d16_hi v[68:69], v14, off
	v_lshlrev_b64 v[68:69], 1, v[12:13]
	v_add_co_u32_e32 v68, vcc, v7, v68
	v_addc_co_u32_e32 v69, vcc, v9, v69, vcc
	v_sub_u32_e32 v12, v38, v8
	global_store_short v[68:69], v15, off
	v_lshlrev_b64 v[68:69], 1, v[12:13]
	v_add_co_u32_e32 v68, vcc, v7, v68
	v_sub_u32_e32 v12, v36, v8
	v_addc_co_u32_e32 v69, vcc, v9, v69, vcc
	v_lshlrev_b64 v[12:13], 1, v[12:13]
	v_add_co_u32_e32 v12, vcc, v7, v12
	v_addc_co_u32_e32 v13, vcc, v9, v13, vcc
	s_or_b64 s[42:43], s[42:43], exec
	global_store_short_d16_hi v[68:69], v15, off
	global_store_short v[12:13], v16, off
	s_or_b64 exec, exec, s[34:35]
	s_and_b64 exec, exec, s[42:43]
	s_cbranch_execnz .LBB672_166
	s_branch .LBB672_167
.LBB672_274:
	s_and_saveexec_b64 s[42:43], s[30:31]
	s_cbranch_execnz .LBB672_338
; %bb.275:
	s_or_b64 exec, exec, s[42:43]
	s_and_saveexec_b64 s[30:31], s[28:29]
	s_cbranch_execnz .LBB672_339
.LBB672_276:
	s_or_b64 exec, exec, s[30:31]
	s_and_saveexec_b64 s[28:29], s[26:27]
	s_cbranch_execnz .LBB672_340
.LBB672_277:
	s_or_b64 exec, exec, s[28:29]
	s_and_saveexec_b64 s[26:27], s[24:25]
	s_cbranch_execnz .LBB672_341
.LBB672_278:
	s_or_b64 exec, exec, s[26:27]
	s_and_saveexec_b64 s[24:25], s[22:23]
	s_cbranch_execnz .LBB672_342
.LBB672_279:
	s_or_b64 exec, exec, s[24:25]
	s_and_saveexec_b64 s[22:23], s[20:21]
	s_cbranch_execnz .LBB672_343
.LBB672_280:
	s_or_b64 exec, exec, s[22:23]
	s_and_saveexec_b64 s[20:21], s[18:19]
	s_cbranch_execnz .LBB672_344
.LBB672_281:
	s_or_b64 exec, exec, s[20:21]
	s_and_saveexec_b64 s[18:19], s[16:17]
	s_cbranch_execnz .LBB672_345
.LBB672_282:
	s_or_b64 exec, exec, s[18:19]
	s_and_saveexec_b64 s[16:17], s[14:15]
	s_cbranch_execnz .LBB672_346
.LBB672_283:
	s_or_b64 exec, exec, s[16:17]
	s_and_saveexec_b64 s[14:15], s[12:13]
	s_cbranch_execnz .LBB672_347
.LBB672_284:
	s_or_b64 exec, exec, s[14:15]
	s_and_saveexec_b64 s[12:13], s[10:11]
	s_cbranch_execnz .LBB672_348
.LBB672_285:
	s_or_b64 exec, exec, s[12:13]
	s_and_saveexec_b64 s[10:11], s[8:9]
	s_cbranch_execnz .LBB672_349
.LBB672_286:
	s_or_b64 exec, exec, s[10:11]
	s_and_saveexec_b64 s[8:9], s[6:7]
	s_cbranch_execnz .LBB672_350
.LBB672_287:
	s_or_b64 exec, exec, s[8:9]
	s_and_saveexec_b64 s[6:7], s[4:5]
	s_cbranch_execz .LBB672_289
.LBB672_288:
	v_sub_u32_e32 v1, v36, v8
	v_lshlrev_b32_e32 v1, 1, v1
	ds_write_b16 v1, v16
.LBB672_289:
	s_or_b64 exec, exec, s[6:7]
	s_and_b64 s[42:43], s[2:3], exec
                                        ; implicit-def: $vgpr1
                                        ; implicit-def: $vgpr2
	s_andn2_saveexec_b64 s[2:3], s[40:41]
	s_cbranch_execz .LBB672_172
.LBB672_290:
	v_sub_u32_e32 v10, v62, v8
	v_lshlrev_b32_e32 v10, 1, v10
	ds_write_b16 v10, v1
	v_sub_u32_e32 v1, v60, v8
	v_lshlrev_b32_e32 v1, 1, v1
	ds_write_b16 v1, v2
	v_sub_u32_e32 v1, v58, v8
	v_lshlrev_b32_e32 v1, 1, v1
	ds_write_b16_d16_hi v1, v2
	v_sub_u32_e32 v1, v56, v8
	v_lshlrev_b32_e32 v1, 1, v1
	ds_write_b16 v1, v3
	v_sub_u32_e32 v1, v54, v8
	v_lshlrev_b32_e32 v1, 1, v1
	ds_write_b16_d16_hi v1, v3
	;; [unrolled: 6-line block ×6, first 2 shown]
	v_sub_u32_e32 v1, v36, v8
	v_lshlrev_b32_e32 v1, 1, v1
	s_or_b64 s[42:43], s[42:43], exec
	ds_write_b16 v1, v16
	s_or_b64 exec, exec, s[2:3]
	s_and_b64 exec, exec, s[42:43]
	s_cbranch_execnz .LBB672_173
	s_branch .LBB672_174
.LBB672_291:
	s_and_saveexec_b64 s[38:39], s[28:29]
	s_cbranch_execnz .LBB672_351
; %bb.292:
	s_or_b64 exec, exec, s[38:39]
	s_and_saveexec_b64 s[38:39], s[26:27]
	s_cbranch_execnz .LBB672_352
.LBB672_293:
	s_or_b64 exec, exec, s[38:39]
	s_and_saveexec_b64 s[38:39], s[24:25]
	s_cbranch_execnz .LBB672_353
.LBB672_294:
	s_or_b64 exec, exec, s[38:39]
	s_and_saveexec_b64 s[38:39], s[22:23]
	s_cbranch_execnz .LBB672_354
.LBB672_295:
	s_or_b64 exec, exec, s[38:39]
	s_and_saveexec_b64 s[38:39], s[20:21]
	s_cbranch_execnz .LBB672_355
.LBB672_296:
	s_or_b64 exec, exec, s[38:39]
	s_and_saveexec_b64 s[38:39], s[18:19]
	s_cbranch_execnz .LBB672_356
.LBB672_297:
	s_or_b64 exec, exec, s[38:39]
	s_and_saveexec_b64 s[38:39], s[16:17]
	s_cbranch_execnz .LBB672_357
.LBB672_298:
	s_or_b64 exec, exec, s[38:39]
	s_and_saveexec_b64 s[38:39], s[14:15]
	s_cbranch_execnz .LBB672_358
.LBB672_299:
	s_or_b64 exec, exec, s[38:39]
	s_and_saveexec_b64 s[38:39], s[12:13]
	s_cbranch_execnz .LBB672_359
.LBB672_300:
	s_or_b64 exec, exec, s[38:39]
	s_and_saveexec_b64 s[38:39], s[10:11]
	s_cbranch_execnz .LBB672_360
.LBB672_301:
	s_or_b64 exec, exec, s[38:39]
	s_and_saveexec_b64 s[38:39], s[8:9]
	s_cbranch_execnz .LBB672_361
.LBB672_302:
	s_or_b64 exec, exec, s[38:39]
	s_and_saveexec_b64 s[38:39], s[6:7]
	s_cbranch_execnz .LBB672_362
.LBB672_303:
	s_or_b64 exec, exec, s[38:39]
	s_and_saveexec_b64 s[38:39], s[4:5]
	s_cbranch_execnz .LBB672_363
.LBB672_304:
	s_or_b64 exec, exec, s[38:39]
	s_and_saveexec_b64 s[38:39], s[2:3]
	s_cbranch_execz .LBB672_306
.LBB672_305:
	v_sub_u32_e32 v10, v36, v3
	v_mov_b32_e32 v11, 0
	v_lshlrev_b64 v[10:11], 1, v[10:11]
	v_add_co_u32_e32 v10, vcc, v15, v10
	v_addc_co_u32_e32 v11, vcc, v16, v11, vcc
	global_store_short v[10:11], v37, off
.LBB672_306:
	s_or_b64 exec, exec, s[38:39]
	s_and_b64 s[38:39], s[0:1], exec
	s_andn2_saveexec_b64 s[30:31], s[30:31]
	s_cbranch_execz .LBB672_194
.LBB672_307:
	v_sub_u32_e32 v10, v62, v3
	v_mov_b32_e32 v11, 0
	v_lshlrev_b64 v[12:13], 1, v[10:11]
	v_add_co_u32_e32 v12, vcc, v15, v12
	v_addc_co_u32_e32 v13, vcc, v16, v13, vcc
	v_sub_u32_e32 v10, v60, v3
	global_store_short v[12:13], v63, off
	v_lshlrev_b64 v[12:13], 1, v[10:11]
	v_add_co_u32_e32 v12, vcc, v15, v12
	v_addc_co_u32_e32 v13, vcc, v16, v13, vcc
	v_sub_u32_e32 v10, v58, v3
	global_store_short v[12:13], v61, off
	;; [unrolled: 5-line block ×12, first 2 shown]
	v_lshlrev_b64 v[12:13], 1, v[10:11]
	v_add_co_u32_e32 v12, vcc, v15, v12
	v_sub_u32_e32 v10, v36, v3
	v_addc_co_u32_e32 v13, vcc, v16, v13, vcc
	v_lshlrev_b64 v[10:11], 1, v[10:11]
	v_add_co_u32_e32 v10, vcc, v15, v10
	v_addc_co_u32_e32 v11, vcc, v16, v11, vcc
	s_or_b64 s[38:39], s[38:39], exec
	global_store_short v[12:13], v39, off
	global_store_short v[10:11], v37, off
	s_or_b64 exec, exec, s[30:31]
	s_and_b64 exec, exec, s[38:39]
	s_cbranch_execnz .LBB672_195
	s_branch .LBB672_196
.LBB672_308:
	s_and_saveexec_b64 s[38:39], s[28:29]
	s_cbranch_execnz .LBB672_364
; %bb.309:
	s_or_b64 exec, exec, s[38:39]
	s_and_saveexec_b64 s[28:29], s[26:27]
	s_cbranch_execnz .LBB672_365
.LBB672_310:
	s_or_b64 exec, exec, s[28:29]
	s_and_saveexec_b64 s[26:27], s[24:25]
	s_cbranch_execnz .LBB672_366
.LBB672_311:
	s_or_b64 exec, exec, s[26:27]
	s_and_saveexec_b64 s[24:25], s[22:23]
	s_cbranch_execnz .LBB672_367
.LBB672_312:
	s_or_b64 exec, exec, s[24:25]
	s_and_saveexec_b64 s[22:23], s[20:21]
	s_cbranch_execnz .LBB672_368
.LBB672_313:
	s_or_b64 exec, exec, s[22:23]
	s_and_saveexec_b64 s[20:21], s[18:19]
	s_cbranch_execnz .LBB672_369
.LBB672_314:
	s_or_b64 exec, exec, s[20:21]
	s_and_saveexec_b64 s[18:19], s[16:17]
	s_cbranch_execnz .LBB672_370
.LBB672_315:
	s_or_b64 exec, exec, s[18:19]
	s_and_saveexec_b64 s[16:17], s[14:15]
	s_cbranch_execnz .LBB672_371
.LBB672_316:
	s_or_b64 exec, exec, s[16:17]
	s_and_saveexec_b64 s[14:15], s[12:13]
	s_cbranch_execnz .LBB672_372
.LBB672_317:
	s_or_b64 exec, exec, s[14:15]
	s_and_saveexec_b64 s[12:13], s[10:11]
	s_cbranch_execnz .LBB672_373
.LBB672_318:
	s_or_b64 exec, exec, s[12:13]
	s_and_saveexec_b64 s[10:11], s[8:9]
	s_cbranch_execnz .LBB672_374
.LBB672_319:
	s_or_b64 exec, exec, s[10:11]
	s_and_saveexec_b64 s[8:9], s[6:7]
	s_cbranch_execnz .LBB672_375
.LBB672_320:
	s_or_b64 exec, exec, s[8:9]
	s_and_saveexec_b64 s[6:7], s[4:5]
	s_cbranch_execnz .LBB672_376
.LBB672_321:
	s_or_b64 exec, exec, s[6:7]
	s_and_saveexec_b64 s[4:5], s[2:3]
	s_cbranch_execz .LBB672_323
.LBB672_322:
	v_sub_u32_e32 v4, v36, v3
	v_lshlrev_b32_e32 v4, 1, v4
	ds_write_b16 v4, v37
.LBB672_323:
	s_or_b64 exec, exec, s[4:5]
	s_and_b64 s[38:39], s[0:1], exec
                                        ; implicit-def: $vgpr62_vgpr63
                                        ; implicit-def: $vgpr60_vgpr61
                                        ; implicit-def: $vgpr58_vgpr59
                                        ; implicit-def: $vgpr56_vgpr57
                                        ; implicit-def: $vgpr54_vgpr55
                                        ; implicit-def: $vgpr52_vgpr53
                                        ; implicit-def: $vgpr50_vgpr51
                                        ; implicit-def: $vgpr48_vgpr49
                                        ; implicit-def: $vgpr46_vgpr47
                                        ; implicit-def: $vgpr44_vgpr45
                                        ; implicit-def: $vgpr42_vgpr43
                                        ; implicit-def: $vgpr40_vgpr41
                                        ; implicit-def: $vgpr38_vgpr39
                                        ; implicit-def: $vgpr36_vgpr37
	s_andn2_saveexec_b64 s[0:1], s[34:35]
	s_cbranch_execz .LBB672_201
.LBB672_324:
	v_sub_u32_e32 v4, v62, v3
	v_lshlrev_b32_e32 v4, 1, v4
	ds_write_b16 v4, v63
	v_sub_u32_e32 v4, v60, v3
	v_lshlrev_b32_e32 v4, 1, v4
	ds_write_b16 v4, v61
	;; [unrolled: 3-line block ×13, first 2 shown]
	v_sub_u32_e32 v4, v36, v3
	v_lshlrev_b32_e32 v4, 1, v4
	s_or_b64 s[38:39], s[38:39], exec
	ds_write_b16 v4, v37
	s_or_b64 exec, exec, s[0:1]
	s_and_b64 exec, exec, s[38:39]
	s_cbranch_execnz .LBB672_202
	s_branch .LBB672_203
.LBB672_325:
	v_sub_u32_e32 v12, v62, v8
	v_mov_b32_e32 v13, 0
	v_lshlrev_b64 v[12:13], 1, v[12:13]
	v_add_co_u32_e32 v12, vcc, v7, v12
	v_addc_co_u32_e32 v13, vcc, v9, v13, vcc
	global_store_short v[12:13], v1, off
	s_or_b64 exec, exec, s[42:43]
	s_and_saveexec_b64 s[42:43], s[28:29]
	s_cbranch_execz .LBB672_259
.LBB672_326:
	v_sub_u32_e32 v12, v60, v8
	v_mov_b32_e32 v13, 0
	v_lshlrev_b64 v[12:13], 1, v[12:13]
	v_add_co_u32_e32 v12, vcc, v7, v12
	v_addc_co_u32_e32 v13, vcc, v9, v13, vcc
	global_store_short v[12:13], v2, off
	s_or_b64 exec, exec, s[42:43]
	s_and_saveexec_b64 s[42:43], s[26:27]
	s_cbranch_execz .LBB672_260
.LBB672_327:
	v_sub_u32_e32 v12, v58, v8
	v_mov_b32_e32 v13, 0
	v_lshlrev_b64 v[12:13], 1, v[12:13]
	v_add_co_u32_e32 v12, vcc, v7, v12
	v_addc_co_u32_e32 v13, vcc, v9, v13, vcc
	global_store_short_d16_hi v[12:13], v2, off
	s_or_b64 exec, exec, s[42:43]
	s_and_saveexec_b64 s[42:43], s[24:25]
	s_cbranch_execz .LBB672_261
.LBB672_328:
	v_sub_u32_e32 v12, v56, v8
	v_mov_b32_e32 v13, 0
	v_lshlrev_b64 v[12:13], 1, v[12:13]
	v_add_co_u32_e32 v12, vcc, v7, v12
	v_addc_co_u32_e32 v13, vcc, v9, v13, vcc
	global_store_short v[12:13], v3, off
	s_or_b64 exec, exec, s[42:43]
	s_and_saveexec_b64 s[42:43], s[22:23]
	s_cbranch_execz .LBB672_262
.LBB672_329:
	v_sub_u32_e32 v12, v54, v8
	v_mov_b32_e32 v13, 0
	v_lshlrev_b64 v[12:13], 1, v[12:13]
	v_add_co_u32_e32 v12, vcc, v7, v12
	v_addc_co_u32_e32 v13, vcc, v9, v13, vcc
	global_store_short_d16_hi v[12:13], v3, off
	s_or_b64 exec, exec, s[42:43]
	s_and_saveexec_b64 s[42:43], s[20:21]
	s_cbranch_execz .LBB672_263
.LBB672_330:
	v_sub_u32_e32 v12, v52, v8
	v_mov_b32_e32 v13, 0
	v_lshlrev_b64 v[12:13], 1, v[12:13]
	v_add_co_u32_e32 v12, vcc, v7, v12
	v_addc_co_u32_e32 v13, vcc, v9, v13, vcc
	global_store_short v[12:13], v4, off
	s_or_b64 exec, exec, s[42:43]
	s_and_saveexec_b64 s[42:43], s[18:19]
	s_cbranch_execz .LBB672_264
.LBB672_331:
	v_sub_u32_e32 v12, v50, v8
	v_mov_b32_e32 v13, 0
	v_lshlrev_b64 v[12:13], 1, v[12:13]
	v_add_co_u32_e32 v12, vcc, v7, v12
	v_addc_co_u32_e32 v13, vcc, v9, v13, vcc
	global_store_short_d16_hi v[12:13], v4, off
	s_or_b64 exec, exec, s[42:43]
	s_and_saveexec_b64 s[42:43], s[16:17]
	s_cbranch_execz .LBB672_265
.LBB672_332:
	v_sub_u32_e32 v12, v48, v8
	v_mov_b32_e32 v13, 0
	v_lshlrev_b64 v[12:13], 1, v[12:13]
	v_add_co_u32_e32 v12, vcc, v7, v12
	v_addc_co_u32_e32 v13, vcc, v9, v13, vcc
	global_store_short v[12:13], v5, off
	s_or_b64 exec, exec, s[42:43]
	s_and_saveexec_b64 s[42:43], s[14:15]
	s_cbranch_execz .LBB672_266
.LBB672_333:
	v_sub_u32_e32 v12, v46, v8
	v_mov_b32_e32 v13, 0
	v_lshlrev_b64 v[12:13], 1, v[12:13]
	v_add_co_u32_e32 v12, vcc, v7, v12
	v_addc_co_u32_e32 v13, vcc, v9, v13, vcc
	global_store_short_d16_hi v[12:13], v5, off
	s_or_b64 exec, exec, s[42:43]
	s_and_saveexec_b64 s[42:43], s[12:13]
	s_cbranch_execz .LBB672_267
.LBB672_334:
	v_sub_u32_e32 v12, v44, v8
	v_mov_b32_e32 v13, 0
	v_lshlrev_b64 v[12:13], 1, v[12:13]
	v_add_co_u32_e32 v12, vcc, v7, v12
	v_addc_co_u32_e32 v13, vcc, v9, v13, vcc
	global_store_short v[12:13], v14, off
	s_or_b64 exec, exec, s[42:43]
	s_and_saveexec_b64 s[42:43], s[10:11]
	s_cbranch_execz .LBB672_268
.LBB672_335:
	v_sub_u32_e32 v12, v42, v8
	v_mov_b32_e32 v13, 0
	v_lshlrev_b64 v[12:13], 1, v[12:13]
	v_add_co_u32_e32 v12, vcc, v7, v12
	v_addc_co_u32_e32 v13, vcc, v9, v13, vcc
	global_store_short_d16_hi v[12:13], v14, off
	s_or_b64 exec, exec, s[42:43]
	s_and_saveexec_b64 s[42:43], s[8:9]
	s_cbranch_execz .LBB672_269
.LBB672_336:
	v_sub_u32_e32 v12, v40, v8
	v_mov_b32_e32 v13, 0
	v_lshlrev_b64 v[12:13], 1, v[12:13]
	v_add_co_u32_e32 v12, vcc, v7, v12
	v_addc_co_u32_e32 v13, vcc, v9, v13, vcc
	global_store_short v[12:13], v15, off
	s_or_b64 exec, exec, s[42:43]
	s_and_saveexec_b64 s[42:43], s[6:7]
	s_cbranch_execz .LBB672_270
.LBB672_337:
	v_sub_u32_e32 v12, v38, v8
	v_mov_b32_e32 v13, 0
	v_lshlrev_b64 v[12:13], 1, v[12:13]
	v_add_co_u32_e32 v12, vcc, v7, v12
	v_addc_co_u32_e32 v13, vcc, v9, v13, vcc
	global_store_short_d16_hi v[12:13], v15, off
	s_or_b64 exec, exec, s[42:43]
	s_and_saveexec_b64 s[42:43], s[4:5]
	s_cbranch_execnz .LBB672_271
	s_branch .LBB672_272
.LBB672_338:
	v_sub_u32_e32 v10, v62, v8
	v_lshlrev_b32_e32 v10, 1, v10
	ds_write_b16 v10, v1
	s_or_b64 exec, exec, s[42:43]
	s_and_saveexec_b64 s[30:31], s[28:29]
	s_cbranch_execz .LBB672_276
.LBB672_339:
	v_sub_u32_e32 v1, v60, v8
	v_lshlrev_b32_e32 v1, 1, v1
	ds_write_b16 v1, v2
	s_or_b64 exec, exec, s[30:31]
	s_and_saveexec_b64 s[28:29], s[26:27]
	s_cbranch_execz .LBB672_277
.LBB672_340:
	v_sub_u32_e32 v1, v58, v8
	v_lshlrev_b32_e32 v1, 1, v1
	ds_write_b16_d16_hi v1, v2
	s_or_b64 exec, exec, s[28:29]
	s_and_saveexec_b64 s[26:27], s[24:25]
	s_cbranch_execz .LBB672_278
.LBB672_341:
	v_sub_u32_e32 v1, v56, v8
	v_lshlrev_b32_e32 v1, 1, v1
	ds_write_b16 v1, v3
	s_or_b64 exec, exec, s[26:27]
	s_and_saveexec_b64 s[24:25], s[22:23]
	s_cbranch_execz .LBB672_279
.LBB672_342:
	v_sub_u32_e32 v1, v54, v8
	v_lshlrev_b32_e32 v1, 1, v1
	ds_write_b16_d16_hi v1, v3
	s_or_b64 exec, exec, s[24:25]
	s_and_saveexec_b64 s[22:23], s[20:21]
	s_cbranch_execz .LBB672_280
.LBB672_343:
	v_sub_u32_e32 v1, v52, v8
	v_lshlrev_b32_e32 v1, 1, v1
	ds_write_b16 v1, v4
	s_or_b64 exec, exec, s[22:23]
	s_and_saveexec_b64 s[20:21], s[18:19]
	s_cbranch_execz .LBB672_281
.LBB672_344:
	v_sub_u32_e32 v1, v50, v8
	v_lshlrev_b32_e32 v1, 1, v1
	ds_write_b16_d16_hi v1, v4
	s_or_b64 exec, exec, s[20:21]
	s_and_saveexec_b64 s[18:19], s[16:17]
	s_cbranch_execz .LBB672_282
.LBB672_345:
	v_sub_u32_e32 v1, v48, v8
	v_lshlrev_b32_e32 v1, 1, v1
	ds_write_b16 v1, v5
	s_or_b64 exec, exec, s[18:19]
	s_and_saveexec_b64 s[16:17], s[14:15]
	s_cbranch_execz .LBB672_283
.LBB672_346:
	v_sub_u32_e32 v1, v46, v8
	v_lshlrev_b32_e32 v1, 1, v1
	ds_write_b16_d16_hi v1, v5
	s_or_b64 exec, exec, s[16:17]
	s_and_saveexec_b64 s[14:15], s[12:13]
	s_cbranch_execz .LBB672_284
.LBB672_347:
	v_sub_u32_e32 v1, v44, v8
	v_lshlrev_b32_e32 v1, 1, v1
	ds_write_b16 v1, v14
	s_or_b64 exec, exec, s[14:15]
	s_and_saveexec_b64 s[12:13], s[10:11]
	s_cbranch_execz .LBB672_285
.LBB672_348:
	v_sub_u32_e32 v1, v42, v8
	v_lshlrev_b32_e32 v1, 1, v1
	ds_write_b16_d16_hi v1, v14
	s_or_b64 exec, exec, s[12:13]
	s_and_saveexec_b64 s[10:11], s[8:9]
	s_cbranch_execz .LBB672_286
.LBB672_349:
	v_sub_u32_e32 v1, v40, v8
	v_lshlrev_b32_e32 v1, 1, v1
	ds_write_b16 v1, v15
	s_or_b64 exec, exec, s[10:11]
	s_and_saveexec_b64 s[8:9], s[6:7]
	s_cbranch_execz .LBB672_287
.LBB672_350:
	v_sub_u32_e32 v1, v38, v8
	v_lshlrev_b32_e32 v1, 1, v1
	ds_write_b16_d16_hi v1, v15
	s_or_b64 exec, exec, s[8:9]
	s_and_saveexec_b64 s[6:7], s[4:5]
	s_cbranch_execnz .LBB672_288
	s_branch .LBB672_289
.LBB672_351:
	v_sub_u32_e32 v10, v62, v3
	v_mov_b32_e32 v11, 0
	v_lshlrev_b64 v[10:11], 1, v[10:11]
	v_add_co_u32_e32 v10, vcc, v15, v10
	v_addc_co_u32_e32 v11, vcc, v16, v11, vcc
	global_store_short v[10:11], v63, off
	s_or_b64 exec, exec, s[38:39]
	s_and_saveexec_b64 s[38:39], s[26:27]
	s_cbranch_execz .LBB672_293
.LBB672_352:
	v_sub_u32_e32 v10, v60, v3
	v_mov_b32_e32 v11, 0
	v_lshlrev_b64 v[10:11], 1, v[10:11]
	v_add_co_u32_e32 v10, vcc, v15, v10
	v_addc_co_u32_e32 v11, vcc, v16, v11, vcc
	global_store_short v[10:11], v61, off
	s_or_b64 exec, exec, s[38:39]
	s_and_saveexec_b64 s[38:39], s[24:25]
	s_cbranch_execz .LBB672_294
.LBB672_353:
	v_sub_u32_e32 v10, v58, v3
	v_mov_b32_e32 v11, 0
	v_lshlrev_b64 v[10:11], 1, v[10:11]
	v_add_co_u32_e32 v10, vcc, v15, v10
	v_addc_co_u32_e32 v11, vcc, v16, v11, vcc
	global_store_short v[10:11], v59, off
	s_or_b64 exec, exec, s[38:39]
	s_and_saveexec_b64 s[38:39], s[22:23]
	s_cbranch_execz .LBB672_295
.LBB672_354:
	v_sub_u32_e32 v10, v56, v3
	v_mov_b32_e32 v11, 0
	v_lshlrev_b64 v[10:11], 1, v[10:11]
	v_add_co_u32_e32 v10, vcc, v15, v10
	v_addc_co_u32_e32 v11, vcc, v16, v11, vcc
	global_store_short v[10:11], v57, off
	s_or_b64 exec, exec, s[38:39]
	s_and_saveexec_b64 s[38:39], s[20:21]
	s_cbranch_execz .LBB672_296
.LBB672_355:
	v_sub_u32_e32 v10, v54, v3
	v_mov_b32_e32 v11, 0
	v_lshlrev_b64 v[10:11], 1, v[10:11]
	v_add_co_u32_e32 v10, vcc, v15, v10
	v_addc_co_u32_e32 v11, vcc, v16, v11, vcc
	global_store_short v[10:11], v55, off
	s_or_b64 exec, exec, s[38:39]
	s_and_saveexec_b64 s[38:39], s[18:19]
	s_cbranch_execz .LBB672_297
.LBB672_356:
	v_sub_u32_e32 v10, v52, v3
	v_mov_b32_e32 v11, 0
	v_lshlrev_b64 v[10:11], 1, v[10:11]
	v_add_co_u32_e32 v10, vcc, v15, v10
	v_addc_co_u32_e32 v11, vcc, v16, v11, vcc
	global_store_short v[10:11], v53, off
	s_or_b64 exec, exec, s[38:39]
	s_and_saveexec_b64 s[38:39], s[16:17]
	s_cbranch_execz .LBB672_298
.LBB672_357:
	v_sub_u32_e32 v10, v50, v3
	v_mov_b32_e32 v11, 0
	v_lshlrev_b64 v[10:11], 1, v[10:11]
	v_add_co_u32_e32 v10, vcc, v15, v10
	v_addc_co_u32_e32 v11, vcc, v16, v11, vcc
	global_store_short v[10:11], v51, off
	s_or_b64 exec, exec, s[38:39]
	s_and_saveexec_b64 s[38:39], s[14:15]
	s_cbranch_execz .LBB672_299
.LBB672_358:
	v_sub_u32_e32 v10, v48, v3
	v_mov_b32_e32 v11, 0
	v_lshlrev_b64 v[10:11], 1, v[10:11]
	v_add_co_u32_e32 v10, vcc, v15, v10
	v_addc_co_u32_e32 v11, vcc, v16, v11, vcc
	global_store_short v[10:11], v49, off
	s_or_b64 exec, exec, s[38:39]
	s_and_saveexec_b64 s[38:39], s[12:13]
	s_cbranch_execz .LBB672_300
.LBB672_359:
	v_sub_u32_e32 v10, v46, v3
	v_mov_b32_e32 v11, 0
	v_lshlrev_b64 v[10:11], 1, v[10:11]
	v_add_co_u32_e32 v10, vcc, v15, v10
	v_addc_co_u32_e32 v11, vcc, v16, v11, vcc
	global_store_short v[10:11], v47, off
	s_or_b64 exec, exec, s[38:39]
	s_and_saveexec_b64 s[38:39], s[10:11]
	s_cbranch_execz .LBB672_301
.LBB672_360:
	v_sub_u32_e32 v10, v44, v3
	v_mov_b32_e32 v11, 0
	v_lshlrev_b64 v[10:11], 1, v[10:11]
	v_add_co_u32_e32 v10, vcc, v15, v10
	v_addc_co_u32_e32 v11, vcc, v16, v11, vcc
	global_store_short v[10:11], v45, off
	s_or_b64 exec, exec, s[38:39]
	s_and_saveexec_b64 s[38:39], s[8:9]
	s_cbranch_execz .LBB672_302
.LBB672_361:
	v_sub_u32_e32 v10, v42, v3
	v_mov_b32_e32 v11, 0
	v_lshlrev_b64 v[10:11], 1, v[10:11]
	v_add_co_u32_e32 v10, vcc, v15, v10
	v_addc_co_u32_e32 v11, vcc, v16, v11, vcc
	global_store_short v[10:11], v43, off
	s_or_b64 exec, exec, s[38:39]
	s_and_saveexec_b64 s[38:39], s[6:7]
	s_cbranch_execz .LBB672_303
.LBB672_362:
	v_sub_u32_e32 v10, v40, v3
	v_mov_b32_e32 v11, 0
	v_lshlrev_b64 v[10:11], 1, v[10:11]
	v_add_co_u32_e32 v10, vcc, v15, v10
	v_addc_co_u32_e32 v11, vcc, v16, v11, vcc
	global_store_short v[10:11], v41, off
	s_or_b64 exec, exec, s[38:39]
	s_and_saveexec_b64 s[38:39], s[4:5]
	s_cbranch_execz .LBB672_304
.LBB672_363:
	v_sub_u32_e32 v10, v38, v3
	v_mov_b32_e32 v11, 0
	v_lshlrev_b64 v[10:11], 1, v[10:11]
	v_add_co_u32_e32 v10, vcc, v15, v10
	v_addc_co_u32_e32 v11, vcc, v16, v11, vcc
	global_store_short v[10:11], v39, off
	s_or_b64 exec, exec, s[38:39]
	s_and_saveexec_b64 s[38:39], s[2:3]
	s_cbranch_execnz .LBB672_305
	s_branch .LBB672_306
.LBB672_364:
	v_sub_u32_e32 v4, v62, v3
	v_lshlrev_b32_e32 v4, 1, v4
	ds_write_b16 v4, v63
	s_or_b64 exec, exec, s[38:39]
	s_and_saveexec_b64 s[28:29], s[26:27]
	s_cbranch_execz .LBB672_310
.LBB672_365:
	v_sub_u32_e32 v4, v60, v3
	v_lshlrev_b32_e32 v4, 1, v4
	ds_write_b16 v4, v61
	s_or_b64 exec, exec, s[28:29]
	s_and_saveexec_b64 s[26:27], s[24:25]
	s_cbranch_execz .LBB672_311
.LBB672_366:
	v_sub_u32_e32 v4, v58, v3
	v_lshlrev_b32_e32 v4, 1, v4
	ds_write_b16 v4, v59
	s_or_b64 exec, exec, s[26:27]
	s_and_saveexec_b64 s[24:25], s[22:23]
	s_cbranch_execz .LBB672_312
.LBB672_367:
	v_sub_u32_e32 v4, v56, v3
	v_lshlrev_b32_e32 v4, 1, v4
	ds_write_b16 v4, v57
	s_or_b64 exec, exec, s[24:25]
	s_and_saveexec_b64 s[22:23], s[20:21]
	s_cbranch_execz .LBB672_313
.LBB672_368:
	v_sub_u32_e32 v4, v54, v3
	v_lshlrev_b32_e32 v4, 1, v4
	ds_write_b16 v4, v55
	s_or_b64 exec, exec, s[22:23]
	s_and_saveexec_b64 s[20:21], s[18:19]
	s_cbranch_execz .LBB672_314
.LBB672_369:
	v_sub_u32_e32 v4, v52, v3
	v_lshlrev_b32_e32 v4, 1, v4
	ds_write_b16 v4, v53
	s_or_b64 exec, exec, s[20:21]
	s_and_saveexec_b64 s[18:19], s[16:17]
	s_cbranch_execz .LBB672_315
.LBB672_370:
	v_sub_u32_e32 v4, v50, v3
	v_lshlrev_b32_e32 v4, 1, v4
	ds_write_b16 v4, v51
	s_or_b64 exec, exec, s[18:19]
	s_and_saveexec_b64 s[16:17], s[14:15]
	s_cbranch_execz .LBB672_316
.LBB672_371:
	v_sub_u32_e32 v4, v48, v3
	v_lshlrev_b32_e32 v4, 1, v4
	ds_write_b16 v4, v49
	s_or_b64 exec, exec, s[16:17]
	s_and_saveexec_b64 s[14:15], s[12:13]
	s_cbranch_execz .LBB672_317
.LBB672_372:
	v_sub_u32_e32 v4, v46, v3
	v_lshlrev_b32_e32 v4, 1, v4
	ds_write_b16 v4, v47
	s_or_b64 exec, exec, s[14:15]
	s_and_saveexec_b64 s[12:13], s[10:11]
	s_cbranch_execz .LBB672_318
.LBB672_373:
	v_sub_u32_e32 v4, v44, v3
	v_lshlrev_b32_e32 v4, 1, v4
	ds_write_b16 v4, v45
	s_or_b64 exec, exec, s[12:13]
	s_and_saveexec_b64 s[10:11], s[8:9]
	s_cbranch_execz .LBB672_319
.LBB672_374:
	v_sub_u32_e32 v4, v42, v3
	v_lshlrev_b32_e32 v4, 1, v4
	ds_write_b16 v4, v43
	s_or_b64 exec, exec, s[10:11]
	s_and_saveexec_b64 s[8:9], s[6:7]
	s_cbranch_execz .LBB672_320
.LBB672_375:
	v_sub_u32_e32 v4, v40, v3
	v_lshlrev_b32_e32 v4, 1, v4
	ds_write_b16 v4, v41
	s_or_b64 exec, exec, s[8:9]
	s_and_saveexec_b64 s[6:7], s[4:5]
	s_cbranch_execz .LBB672_321
.LBB672_376:
	v_sub_u32_e32 v4, v38, v3
	v_lshlrev_b32_e32 v4, 1, v4
	ds_write_b16 v4, v39
	s_or_b64 exec, exec, s[6:7]
	s_and_saveexec_b64 s[4:5], s[2:3]
	s_cbranch_execnz .LBB672_322
	s_branch .LBB672_323
	.section	.rodata,"a",@progbits
	.p2align	6, 0x0
	.amdhsa_kernel _ZN7rocprim17ROCPRIM_400000_NS6detail17trampoline_kernelINS0_14default_configENS1_29reduce_by_key_config_selectorIssN6thrust23THRUST_200600_302600_NS4plusIsEEEEZZNS1_33reduce_by_key_impl_wrapped_configILNS1_25lookback_scan_determinismE0ES3_S9_NS6_6detail15normal_iteratorINS6_10device_ptrIsEEEESG_SG_SG_PmS8_22is_equal_div_10_reduceIsEEE10hipError_tPvRmT2_T3_mT4_T5_T6_T7_T8_P12ihipStream_tbENKUlT_T0_E_clISt17integral_constantIbLb1EES11_EEDaSW_SX_EUlSW_E_NS1_11comp_targetILNS1_3genE4ELNS1_11target_archE910ELNS1_3gpuE8ELNS1_3repE0EEENS1_30default_config_static_selectorELNS0_4arch9wavefront6targetE1EEEvT1_
		.amdhsa_group_segment_fixed_size 7680
		.amdhsa_private_segment_fixed_size 0
		.amdhsa_kernarg_size 120
		.amdhsa_user_sgpr_count 6
		.amdhsa_user_sgpr_private_segment_buffer 1
		.amdhsa_user_sgpr_dispatch_ptr 0
		.amdhsa_user_sgpr_queue_ptr 0
		.amdhsa_user_sgpr_kernarg_segment_ptr 1
		.amdhsa_user_sgpr_dispatch_id 0
		.amdhsa_user_sgpr_flat_scratch_init 0
		.amdhsa_user_sgpr_kernarg_preload_length 0
		.amdhsa_user_sgpr_kernarg_preload_offset 0
		.amdhsa_user_sgpr_private_segment_size 0
		.amdhsa_uses_dynamic_stack 0
		.amdhsa_system_sgpr_private_segment_wavefront_offset 0
		.amdhsa_system_sgpr_workgroup_id_x 1
		.amdhsa_system_sgpr_workgroup_id_y 0
		.amdhsa_system_sgpr_workgroup_id_z 0
		.amdhsa_system_sgpr_workgroup_info 0
		.amdhsa_system_vgpr_workitem_id 0
		.amdhsa_next_free_vgpr 110
		.amdhsa_next_free_sgpr 66
		.amdhsa_accum_offset 112
		.amdhsa_reserve_vcc 1
		.amdhsa_reserve_flat_scratch 0
		.amdhsa_float_round_mode_32 0
		.amdhsa_float_round_mode_16_64 0
		.amdhsa_float_denorm_mode_32 3
		.amdhsa_float_denorm_mode_16_64 3
		.amdhsa_dx10_clamp 1
		.amdhsa_ieee_mode 1
		.amdhsa_fp16_overflow 0
		.amdhsa_tg_split 0
		.amdhsa_exception_fp_ieee_invalid_op 0
		.amdhsa_exception_fp_denorm_src 0
		.amdhsa_exception_fp_ieee_div_zero 0
		.amdhsa_exception_fp_ieee_overflow 0
		.amdhsa_exception_fp_ieee_underflow 0
		.amdhsa_exception_fp_ieee_inexact 0
		.amdhsa_exception_int_div_zero 0
	.end_amdhsa_kernel
	.section	.text._ZN7rocprim17ROCPRIM_400000_NS6detail17trampoline_kernelINS0_14default_configENS1_29reduce_by_key_config_selectorIssN6thrust23THRUST_200600_302600_NS4plusIsEEEEZZNS1_33reduce_by_key_impl_wrapped_configILNS1_25lookback_scan_determinismE0ES3_S9_NS6_6detail15normal_iteratorINS6_10device_ptrIsEEEESG_SG_SG_PmS8_22is_equal_div_10_reduceIsEEE10hipError_tPvRmT2_T3_mT4_T5_T6_T7_T8_P12ihipStream_tbENKUlT_T0_E_clISt17integral_constantIbLb1EES11_EEDaSW_SX_EUlSW_E_NS1_11comp_targetILNS1_3genE4ELNS1_11target_archE910ELNS1_3gpuE8ELNS1_3repE0EEENS1_30default_config_static_selectorELNS0_4arch9wavefront6targetE1EEEvT1_,"axG",@progbits,_ZN7rocprim17ROCPRIM_400000_NS6detail17trampoline_kernelINS0_14default_configENS1_29reduce_by_key_config_selectorIssN6thrust23THRUST_200600_302600_NS4plusIsEEEEZZNS1_33reduce_by_key_impl_wrapped_configILNS1_25lookback_scan_determinismE0ES3_S9_NS6_6detail15normal_iteratorINS6_10device_ptrIsEEEESG_SG_SG_PmS8_22is_equal_div_10_reduceIsEEE10hipError_tPvRmT2_T3_mT4_T5_T6_T7_T8_P12ihipStream_tbENKUlT_T0_E_clISt17integral_constantIbLb1EES11_EEDaSW_SX_EUlSW_E_NS1_11comp_targetILNS1_3genE4ELNS1_11target_archE910ELNS1_3gpuE8ELNS1_3repE0EEENS1_30default_config_static_selectorELNS0_4arch9wavefront6targetE1EEEvT1_,comdat
.Lfunc_end672:
	.size	_ZN7rocprim17ROCPRIM_400000_NS6detail17trampoline_kernelINS0_14default_configENS1_29reduce_by_key_config_selectorIssN6thrust23THRUST_200600_302600_NS4plusIsEEEEZZNS1_33reduce_by_key_impl_wrapped_configILNS1_25lookback_scan_determinismE0ES3_S9_NS6_6detail15normal_iteratorINS6_10device_ptrIsEEEESG_SG_SG_PmS8_22is_equal_div_10_reduceIsEEE10hipError_tPvRmT2_T3_mT4_T5_T6_T7_T8_P12ihipStream_tbENKUlT_T0_E_clISt17integral_constantIbLb1EES11_EEDaSW_SX_EUlSW_E_NS1_11comp_targetILNS1_3genE4ELNS1_11target_archE910ELNS1_3gpuE8ELNS1_3repE0EEENS1_30default_config_static_selectorELNS0_4arch9wavefront6targetE1EEEvT1_, .Lfunc_end672-_ZN7rocprim17ROCPRIM_400000_NS6detail17trampoline_kernelINS0_14default_configENS1_29reduce_by_key_config_selectorIssN6thrust23THRUST_200600_302600_NS4plusIsEEEEZZNS1_33reduce_by_key_impl_wrapped_configILNS1_25lookback_scan_determinismE0ES3_S9_NS6_6detail15normal_iteratorINS6_10device_ptrIsEEEESG_SG_SG_PmS8_22is_equal_div_10_reduceIsEEE10hipError_tPvRmT2_T3_mT4_T5_T6_T7_T8_P12ihipStream_tbENKUlT_T0_E_clISt17integral_constantIbLb1EES11_EEDaSW_SX_EUlSW_E_NS1_11comp_targetILNS1_3genE4ELNS1_11target_archE910ELNS1_3gpuE8ELNS1_3repE0EEENS1_30default_config_static_selectorELNS0_4arch9wavefront6targetE1EEEvT1_
                                        ; -- End function
	.section	.AMDGPU.csdata,"",@progbits
; Kernel info:
; codeLenInByte = 20000
; NumSgprs: 70
; NumVgprs: 110
; NumAgprs: 0
; TotalNumVgprs: 110
; ScratchSize: 0
; MemoryBound: 0
; FloatMode: 240
; IeeeMode: 1
; LDSByteSize: 7680 bytes/workgroup (compile time only)
; SGPRBlocks: 8
; VGPRBlocks: 13
; NumSGPRsForWavesPerEU: 70
; NumVGPRsForWavesPerEU: 110
; AccumOffset: 112
; Occupancy: 4
; WaveLimiterHint : 1
; COMPUTE_PGM_RSRC2:SCRATCH_EN: 0
; COMPUTE_PGM_RSRC2:USER_SGPR: 6
; COMPUTE_PGM_RSRC2:TRAP_HANDLER: 0
; COMPUTE_PGM_RSRC2:TGID_X_EN: 1
; COMPUTE_PGM_RSRC2:TGID_Y_EN: 0
; COMPUTE_PGM_RSRC2:TGID_Z_EN: 0
; COMPUTE_PGM_RSRC2:TIDIG_COMP_CNT: 0
; COMPUTE_PGM_RSRC3_GFX90A:ACCUM_OFFSET: 27
; COMPUTE_PGM_RSRC3_GFX90A:TG_SPLIT: 0
	.section	.text._ZN7rocprim17ROCPRIM_400000_NS6detail17trampoline_kernelINS0_14default_configENS1_29reduce_by_key_config_selectorIssN6thrust23THRUST_200600_302600_NS4plusIsEEEEZZNS1_33reduce_by_key_impl_wrapped_configILNS1_25lookback_scan_determinismE0ES3_S9_NS6_6detail15normal_iteratorINS6_10device_ptrIsEEEESG_SG_SG_PmS8_22is_equal_div_10_reduceIsEEE10hipError_tPvRmT2_T3_mT4_T5_T6_T7_T8_P12ihipStream_tbENKUlT_T0_E_clISt17integral_constantIbLb1EES11_EEDaSW_SX_EUlSW_E_NS1_11comp_targetILNS1_3genE3ELNS1_11target_archE908ELNS1_3gpuE7ELNS1_3repE0EEENS1_30default_config_static_selectorELNS0_4arch9wavefront6targetE1EEEvT1_,"axG",@progbits,_ZN7rocprim17ROCPRIM_400000_NS6detail17trampoline_kernelINS0_14default_configENS1_29reduce_by_key_config_selectorIssN6thrust23THRUST_200600_302600_NS4plusIsEEEEZZNS1_33reduce_by_key_impl_wrapped_configILNS1_25lookback_scan_determinismE0ES3_S9_NS6_6detail15normal_iteratorINS6_10device_ptrIsEEEESG_SG_SG_PmS8_22is_equal_div_10_reduceIsEEE10hipError_tPvRmT2_T3_mT4_T5_T6_T7_T8_P12ihipStream_tbENKUlT_T0_E_clISt17integral_constantIbLb1EES11_EEDaSW_SX_EUlSW_E_NS1_11comp_targetILNS1_3genE3ELNS1_11target_archE908ELNS1_3gpuE7ELNS1_3repE0EEENS1_30default_config_static_selectorELNS0_4arch9wavefront6targetE1EEEvT1_,comdat
	.protected	_ZN7rocprim17ROCPRIM_400000_NS6detail17trampoline_kernelINS0_14default_configENS1_29reduce_by_key_config_selectorIssN6thrust23THRUST_200600_302600_NS4plusIsEEEEZZNS1_33reduce_by_key_impl_wrapped_configILNS1_25lookback_scan_determinismE0ES3_S9_NS6_6detail15normal_iteratorINS6_10device_ptrIsEEEESG_SG_SG_PmS8_22is_equal_div_10_reduceIsEEE10hipError_tPvRmT2_T3_mT4_T5_T6_T7_T8_P12ihipStream_tbENKUlT_T0_E_clISt17integral_constantIbLb1EES11_EEDaSW_SX_EUlSW_E_NS1_11comp_targetILNS1_3genE3ELNS1_11target_archE908ELNS1_3gpuE7ELNS1_3repE0EEENS1_30default_config_static_selectorELNS0_4arch9wavefront6targetE1EEEvT1_ ; -- Begin function _ZN7rocprim17ROCPRIM_400000_NS6detail17trampoline_kernelINS0_14default_configENS1_29reduce_by_key_config_selectorIssN6thrust23THRUST_200600_302600_NS4plusIsEEEEZZNS1_33reduce_by_key_impl_wrapped_configILNS1_25lookback_scan_determinismE0ES3_S9_NS6_6detail15normal_iteratorINS6_10device_ptrIsEEEESG_SG_SG_PmS8_22is_equal_div_10_reduceIsEEE10hipError_tPvRmT2_T3_mT4_T5_T6_T7_T8_P12ihipStream_tbENKUlT_T0_E_clISt17integral_constantIbLb1EES11_EEDaSW_SX_EUlSW_E_NS1_11comp_targetILNS1_3genE3ELNS1_11target_archE908ELNS1_3gpuE7ELNS1_3repE0EEENS1_30default_config_static_selectorELNS0_4arch9wavefront6targetE1EEEvT1_
	.globl	_ZN7rocprim17ROCPRIM_400000_NS6detail17trampoline_kernelINS0_14default_configENS1_29reduce_by_key_config_selectorIssN6thrust23THRUST_200600_302600_NS4plusIsEEEEZZNS1_33reduce_by_key_impl_wrapped_configILNS1_25lookback_scan_determinismE0ES3_S9_NS6_6detail15normal_iteratorINS6_10device_ptrIsEEEESG_SG_SG_PmS8_22is_equal_div_10_reduceIsEEE10hipError_tPvRmT2_T3_mT4_T5_T6_T7_T8_P12ihipStream_tbENKUlT_T0_E_clISt17integral_constantIbLb1EES11_EEDaSW_SX_EUlSW_E_NS1_11comp_targetILNS1_3genE3ELNS1_11target_archE908ELNS1_3gpuE7ELNS1_3repE0EEENS1_30default_config_static_selectorELNS0_4arch9wavefront6targetE1EEEvT1_
	.p2align	8
	.type	_ZN7rocprim17ROCPRIM_400000_NS6detail17trampoline_kernelINS0_14default_configENS1_29reduce_by_key_config_selectorIssN6thrust23THRUST_200600_302600_NS4plusIsEEEEZZNS1_33reduce_by_key_impl_wrapped_configILNS1_25lookback_scan_determinismE0ES3_S9_NS6_6detail15normal_iteratorINS6_10device_ptrIsEEEESG_SG_SG_PmS8_22is_equal_div_10_reduceIsEEE10hipError_tPvRmT2_T3_mT4_T5_T6_T7_T8_P12ihipStream_tbENKUlT_T0_E_clISt17integral_constantIbLb1EES11_EEDaSW_SX_EUlSW_E_NS1_11comp_targetILNS1_3genE3ELNS1_11target_archE908ELNS1_3gpuE7ELNS1_3repE0EEENS1_30default_config_static_selectorELNS0_4arch9wavefront6targetE1EEEvT1_,@function
_ZN7rocprim17ROCPRIM_400000_NS6detail17trampoline_kernelINS0_14default_configENS1_29reduce_by_key_config_selectorIssN6thrust23THRUST_200600_302600_NS4plusIsEEEEZZNS1_33reduce_by_key_impl_wrapped_configILNS1_25lookback_scan_determinismE0ES3_S9_NS6_6detail15normal_iteratorINS6_10device_ptrIsEEEESG_SG_SG_PmS8_22is_equal_div_10_reduceIsEEE10hipError_tPvRmT2_T3_mT4_T5_T6_T7_T8_P12ihipStream_tbENKUlT_T0_E_clISt17integral_constantIbLb1EES11_EEDaSW_SX_EUlSW_E_NS1_11comp_targetILNS1_3genE3ELNS1_11target_archE908ELNS1_3gpuE7ELNS1_3repE0EEENS1_30default_config_static_selectorELNS0_4arch9wavefront6targetE1EEEvT1_: ; @_ZN7rocprim17ROCPRIM_400000_NS6detail17trampoline_kernelINS0_14default_configENS1_29reduce_by_key_config_selectorIssN6thrust23THRUST_200600_302600_NS4plusIsEEEEZZNS1_33reduce_by_key_impl_wrapped_configILNS1_25lookback_scan_determinismE0ES3_S9_NS6_6detail15normal_iteratorINS6_10device_ptrIsEEEESG_SG_SG_PmS8_22is_equal_div_10_reduceIsEEE10hipError_tPvRmT2_T3_mT4_T5_T6_T7_T8_P12ihipStream_tbENKUlT_T0_E_clISt17integral_constantIbLb1EES11_EEDaSW_SX_EUlSW_E_NS1_11comp_targetILNS1_3genE3ELNS1_11target_archE908ELNS1_3gpuE7ELNS1_3repE0EEENS1_30default_config_static_selectorELNS0_4arch9wavefront6targetE1EEEvT1_
; %bb.0:
	.section	.rodata,"a",@progbits
	.p2align	6, 0x0
	.amdhsa_kernel _ZN7rocprim17ROCPRIM_400000_NS6detail17trampoline_kernelINS0_14default_configENS1_29reduce_by_key_config_selectorIssN6thrust23THRUST_200600_302600_NS4plusIsEEEEZZNS1_33reduce_by_key_impl_wrapped_configILNS1_25lookback_scan_determinismE0ES3_S9_NS6_6detail15normal_iteratorINS6_10device_ptrIsEEEESG_SG_SG_PmS8_22is_equal_div_10_reduceIsEEE10hipError_tPvRmT2_T3_mT4_T5_T6_T7_T8_P12ihipStream_tbENKUlT_T0_E_clISt17integral_constantIbLb1EES11_EEDaSW_SX_EUlSW_E_NS1_11comp_targetILNS1_3genE3ELNS1_11target_archE908ELNS1_3gpuE7ELNS1_3repE0EEENS1_30default_config_static_selectorELNS0_4arch9wavefront6targetE1EEEvT1_
		.amdhsa_group_segment_fixed_size 0
		.amdhsa_private_segment_fixed_size 0
		.amdhsa_kernarg_size 120
		.amdhsa_user_sgpr_count 6
		.amdhsa_user_sgpr_private_segment_buffer 1
		.amdhsa_user_sgpr_dispatch_ptr 0
		.amdhsa_user_sgpr_queue_ptr 0
		.amdhsa_user_sgpr_kernarg_segment_ptr 1
		.amdhsa_user_sgpr_dispatch_id 0
		.amdhsa_user_sgpr_flat_scratch_init 0
		.amdhsa_user_sgpr_kernarg_preload_length 0
		.amdhsa_user_sgpr_kernarg_preload_offset 0
		.amdhsa_user_sgpr_private_segment_size 0
		.amdhsa_uses_dynamic_stack 0
		.amdhsa_system_sgpr_private_segment_wavefront_offset 0
		.amdhsa_system_sgpr_workgroup_id_x 1
		.amdhsa_system_sgpr_workgroup_id_y 0
		.amdhsa_system_sgpr_workgroup_id_z 0
		.amdhsa_system_sgpr_workgroup_info 0
		.amdhsa_system_vgpr_workitem_id 0
		.amdhsa_next_free_vgpr 1
		.amdhsa_next_free_sgpr 0
		.amdhsa_accum_offset 4
		.amdhsa_reserve_vcc 0
		.amdhsa_reserve_flat_scratch 0
		.amdhsa_float_round_mode_32 0
		.amdhsa_float_round_mode_16_64 0
		.amdhsa_float_denorm_mode_32 3
		.amdhsa_float_denorm_mode_16_64 3
		.amdhsa_dx10_clamp 1
		.amdhsa_ieee_mode 1
		.amdhsa_fp16_overflow 0
		.amdhsa_tg_split 0
		.amdhsa_exception_fp_ieee_invalid_op 0
		.amdhsa_exception_fp_denorm_src 0
		.amdhsa_exception_fp_ieee_div_zero 0
		.amdhsa_exception_fp_ieee_overflow 0
		.amdhsa_exception_fp_ieee_underflow 0
		.amdhsa_exception_fp_ieee_inexact 0
		.amdhsa_exception_int_div_zero 0
	.end_amdhsa_kernel
	.section	.text._ZN7rocprim17ROCPRIM_400000_NS6detail17trampoline_kernelINS0_14default_configENS1_29reduce_by_key_config_selectorIssN6thrust23THRUST_200600_302600_NS4plusIsEEEEZZNS1_33reduce_by_key_impl_wrapped_configILNS1_25lookback_scan_determinismE0ES3_S9_NS6_6detail15normal_iteratorINS6_10device_ptrIsEEEESG_SG_SG_PmS8_22is_equal_div_10_reduceIsEEE10hipError_tPvRmT2_T3_mT4_T5_T6_T7_T8_P12ihipStream_tbENKUlT_T0_E_clISt17integral_constantIbLb1EES11_EEDaSW_SX_EUlSW_E_NS1_11comp_targetILNS1_3genE3ELNS1_11target_archE908ELNS1_3gpuE7ELNS1_3repE0EEENS1_30default_config_static_selectorELNS0_4arch9wavefront6targetE1EEEvT1_,"axG",@progbits,_ZN7rocprim17ROCPRIM_400000_NS6detail17trampoline_kernelINS0_14default_configENS1_29reduce_by_key_config_selectorIssN6thrust23THRUST_200600_302600_NS4plusIsEEEEZZNS1_33reduce_by_key_impl_wrapped_configILNS1_25lookback_scan_determinismE0ES3_S9_NS6_6detail15normal_iteratorINS6_10device_ptrIsEEEESG_SG_SG_PmS8_22is_equal_div_10_reduceIsEEE10hipError_tPvRmT2_T3_mT4_T5_T6_T7_T8_P12ihipStream_tbENKUlT_T0_E_clISt17integral_constantIbLb1EES11_EEDaSW_SX_EUlSW_E_NS1_11comp_targetILNS1_3genE3ELNS1_11target_archE908ELNS1_3gpuE7ELNS1_3repE0EEENS1_30default_config_static_selectorELNS0_4arch9wavefront6targetE1EEEvT1_,comdat
.Lfunc_end673:
	.size	_ZN7rocprim17ROCPRIM_400000_NS6detail17trampoline_kernelINS0_14default_configENS1_29reduce_by_key_config_selectorIssN6thrust23THRUST_200600_302600_NS4plusIsEEEEZZNS1_33reduce_by_key_impl_wrapped_configILNS1_25lookback_scan_determinismE0ES3_S9_NS6_6detail15normal_iteratorINS6_10device_ptrIsEEEESG_SG_SG_PmS8_22is_equal_div_10_reduceIsEEE10hipError_tPvRmT2_T3_mT4_T5_T6_T7_T8_P12ihipStream_tbENKUlT_T0_E_clISt17integral_constantIbLb1EES11_EEDaSW_SX_EUlSW_E_NS1_11comp_targetILNS1_3genE3ELNS1_11target_archE908ELNS1_3gpuE7ELNS1_3repE0EEENS1_30default_config_static_selectorELNS0_4arch9wavefront6targetE1EEEvT1_, .Lfunc_end673-_ZN7rocprim17ROCPRIM_400000_NS6detail17trampoline_kernelINS0_14default_configENS1_29reduce_by_key_config_selectorIssN6thrust23THRUST_200600_302600_NS4plusIsEEEEZZNS1_33reduce_by_key_impl_wrapped_configILNS1_25lookback_scan_determinismE0ES3_S9_NS6_6detail15normal_iteratorINS6_10device_ptrIsEEEESG_SG_SG_PmS8_22is_equal_div_10_reduceIsEEE10hipError_tPvRmT2_T3_mT4_T5_T6_T7_T8_P12ihipStream_tbENKUlT_T0_E_clISt17integral_constantIbLb1EES11_EEDaSW_SX_EUlSW_E_NS1_11comp_targetILNS1_3genE3ELNS1_11target_archE908ELNS1_3gpuE7ELNS1_3repE0EEENS1_30default_config_static_selectorELNS0_4arch9wavefront6targetE1EEEvT1_
                                        ; -- End function
	.section	.AMDGPU.csdata,"",@progbits
; Kernel info:
; codeLenInByte = 0
; NumSgprs: 4
; NumVgprs: 0
; NumAgprs: 0
; TotalNumVgprs: 0
; ScratchSize: 0
; MemoryBound: 0
; FloatMode: 240
; IeeeMode: 1
; LDSByteSize: 0 bytes/workgroup (compile time only)
; SGPRBlocks: 0
; VGPRBlocks: 0
; NumSGPRsForWavesPerEU: 4
; NumVGPRsForWavesPerEU: 1
; AccumOffset: 4
; Occupancy: 8
; WaveLimiterHint : 0
; COMPUTE_PGM_RSRC2:SCRATCH_EN: 0
; COMPUTE_PGM_RSRC2:USER_SGPR: 6
; COMPUTE_PGM_RSRC2:TRAP_HANDLER: 0
; COMPUTE_PGM_RSRC2:TGID_X_EN: 1
; COMPUTE_PGM_RSRC2:TGID_Y_EN: 0
; COMPUTE_PGM_RSRC2:TGID_Z_EN: 0
; COMPUTE_PGM_RSRC2:TIDIG_COMP_CNT: 0
; COMPUTE_PGM_RSRC3_GFX90A:ACCUM_OFFSET: 0
; COMPUTE_PGM_RSRC3_GFX90A:TG_SPLIT: 0
	.section	.text._ZN7rocprim17ROCPRIM_400000_NS6detail17trampoline_kernelINS0_14default_configENS1_29reduce_by_key_config_selectorIssN6thrust23THRUST_200600_302600_NS4plusIsEEEEZZNS1_33reduce_by_key_impl_wrapped_configILNS1_25lookback_scan_determinismE0ES3_S9_NS6_6detail15normal_iteratorINS6_10device_ptrIsEEEESG_SG_SG_PmS8_22is_equal_div_10_reduceIsEEE10hipError_tPvRmT2_T3_mT4_T5_T6_T7_T8_P12ihipStream_tbENKUlT_T0_E_clISt17integral_constantIbLb1EES11_EEDaSW_SX_EUlSW_E_NS1_11comp_targetILNS1_3genE2ELNS1_11target_archE906ELNS1_3gpuE6ELNS1_3repE0EEENS1_30default_config_static_selectorELNS0_4arch9wavefront6targetE1EEEvT1_,"axG",@progbits,_ZN7rocprim17ROCPRIM_400000_NS6detail17trampoline_kernelINS0_14default_configENS1_29reduce_by_key_config_selectorIssN6thrust23THRUST_200600_302600_NS4plusIsEEEEZZNS1_33reduce_by_key_impl_wrapped_configILNS1_25lookback_scan_determinismE0ES3_S9_NS6_6detail15normal_iteratorINS6_10device_ptrIsEEEESG_SG_SG_PmS8_22is_equal_div_10_reduceIsEEE10hipError_tPvRmT2_T3_mT4_T5_T6_T7_T8_P12ihipStream_tbENKUlT_T0_E_clISt17integral_constantIbLb1EES11_EEDaSW_SX_EUlSW_E_NS1_11comp_targetILNS1_3genE2ELNS1_11target_archE906ELNS1_3gpuE6ELNS1_3repE0EEENS1_30default_config_static_selectorELNS0_4arch9wavefront6targetE1EEEvT1_,comdat
	.protected	_ZN7rocprim17ROCPRIM_400000_NS6detail17trampoline_kernelINS0_14default_configENS1_29reduce_by_key_config_selectorIssN6thrust23THRUST_200600_302600_NS4plusIsEEEEZZNS1_33reduce_by_key_impl_wrapped_configILNS1_25lookback_scan_determinismE0ES3_S9_NS6_6detail15normal_iteratorINS6_10device_ptrIsEEEESG_SG_SG_PmS8_22is_equal_div_10_reduceIsEEE10hipError_tPvRmT2_T3_mT4_T5_T6_T7_T8_P12ihipStream_tbENKUlT_T0_E_clISt17integral_constantIbLb1EES11_EEDaSW_SX_EUlSW_E_NS1_11comp_targetILNS1_3genE2ELNS1_11target_archE906ELNS1_3gpuE6ELNS1_3repE0EEENS1_30default_config_static_selectorELNS0_4arch9wavefront6targetE1EEEvT1_ ; -- Begin function _ZN7rocprim17ROCPRIM_400000_NS6detail17trampoline_kernelINS0_14default_configENS1_29reduce_by_key_config_selectorIssN6thrust23THRUST_200600_302600_NS4plusIsEEEEZZNS1_33reduce_by_key_impl_wrapped_configILNS1_25lookback_scan_determinismE0ES3_S9_NS6_6detail15normal_iteratorINS6_10device_ptrIsEEEESG_SG_SG_PmS8_22is_equal_div_10_reduceIsEEE10hipError_tPvRmT2_T3_mT4_T5_T6_T7_T8_P12ihipStream_tbENKUlT_T0_E_clISt17integral_constantIbLb1EES11_EEDaSW_SX_EUlSW_E_NS1_11comp_targetILNS1_3genE2ELNS1_11target_archE906ELNS1_3gpuE6ELNS1_3repE0EEENS1_30default_config_static_selectorELNS0_4arch9wavefront6targetE1EEEvT1_
	.globl	_ZN7rocprim17ROCPRIM_400000_NS6detail17trampoline_kernelINS0_14default_configENS1_29reduce_by_key_config_selectorIssN6thrust23THRUST_200600_302600_NS4plusIsEEEEZZNS1_33reduce_by_key_impl_wrapped_configILNS1_25lookback_scan_determinismE0ES3_S9_NS6_6detail15normal_iteratorINS6_10device_ptrIsEEEESG_SG_SG_PmS8_22is_equal_div_10_reduceIsEEE10hipError_tPvRmT2_T3_mT4_T5_T6_T7_T8_P12ihipStream_tbENKUlT_T0_E_clISt17integral_constantIbLb1EES11_EEDaSW_SX_EUlSW_E_NS1_11comp_targetILNS1_3genE2ELNS1_11target_archE906ELNS1_3gpuE6ELNS1_3repE0EEENS1_30default_config_static_selectorELNS0_4arch9wavefront6targetE1EEEvT1_
	.p2align	8
	.type	_ZN7rocprim17ROCPRIM_400000_NS6detail17trampoline_kernelINS0_14default_configENS1_29reduce_by_key_config_selectorIssN6thrust23THRUST_200600_302600_NS4plusIsEEEEZZNS1_33reduce_by_key_impl_wrapped_configILNS1_25lookback_scan_determinismE0ES3_S9_NS6_6detail15normal_iteratorINS6_10device_ptrIsEEEESG_SG_SG_PmS8_22is_equal_div_10_reduceIsEEE10hipError_tPvRmT2_T3_mT4_T5_T6_T7_T8_P12ihipStream_tbENKUlT_T0_E_clISt17integral_constantIbLb1EES11_EEDaSW_SX_EUlSW_E_NS1_11comp_targetILNS1_3genE2ELNS1_11target_archE906ELNS1_3gpuE6ELNS1_3repE0EEENS1_30default_config_static_selectorELNS0_4arch9wavefront6targetE1EEEvT1_,@function
_ZN7rocprim17ROCPRIM_400000_NS6detail17trampoline_kernelINS0_14default_configENS1_29reduce_by_key_config_selectorIssN6thrust23THRUST_200600_302600_NS4plusIsEEEEZZNS1_33reduce_by_key_impl_wrapped_configILNS1_25lookback_scan_determinismE0ES3_S9_NS6_6detail15normal_iteratorINS6_10device_ptrIsEEEESG_SG_SG_PmS8_22is_equal_div_10_reduceIsEEE10hipError_tPvRmT2_T3_mT4_T5_T6_T7_T8_P12ihipStream_tbENKUlT_T0_E_clISt17integral_constantIbLb1EES11_EEDaSW_SX_EUlSW_E_NS1_11comp_targetILNS1_3genE2ELNS1_11target_archE906ELNS1_3gpuE6ELNS1_3repE0EEENS1_30default_config_static_selectorELNS0_4arch9wavefront6targetE1EEEvT1_: ; @_ZN7rocprim17ROCPRIM_400000_NS6detail17trampoline_kernelINS0_14default_configENS1_29reduce_by_key_config_selectorIssN6thrust23THRUST_200600_302600_NS4plusIsEEEEZZNS1_33reduce_by_key_impl_wrapped_configILNS1_25lookback_scan_determinismE0ES3_S9_NS6_6detail15normal_iteratorINS6_10device_ptrIsEEEESG_SG_SG_PmS8_22is_equal_div_10_reduceIsEEE10hipError_tPvRmT2_T3_mT4_T5_T6_T7_T8_P12ihipStream_tbENKUlT_T0_E_clISt17integral_constantIbLb1EES11_EEDaSW_SX_EUlSW_E_NS1_11comp_targetILNS1_3genE2ELNS1_11target_archE906ELNS1_3gpuE6ELNS1_3repE0EEENS1_30default_config_static_selectorELNS0_4arch9wavefront6targetE1EEEvT1_
; %bb.0:
	.section	.rodata,"a",@progbits
	.p2align	6, 0x0
	.amdhsa_kernel _ZN7rocprim17ROCPRIM_400000_NS6detail17trampoline_kernelINS0_14default_configENS1_29reduce_by_key_config_selectorIssN6thrust23THRUST_200600_302600_NS4plusIsEEEEZZNS1_33reduce_by_key_impl_wrapped_configILNS1_25lookback_scan_determinismE0ES3_S9_NS6_6detail15normal_iteratorINS6_10device_ptrIsEEEESG_SG_SG_PmS8_22is_equal_div_10_reduceIsEEE10hipError_tPvRmT2_T3_mT4_T5_T6_T7_T8_P12ihipStream_tbENKUlT_T0_E_clISt17integral_constantIbLb1EES11_EEDaSW_SX_EUlSW_E_NS1_11comp_targetILNS1_3genE2ELNS1_11target_archE906ELNS1_3gpuE6ELNS1_3repE0EEENS1_30default_config_static_selectorELNS0_4arch9wavefront6targetE1EEEvT1_
		.amdhsa_group_segment_fixed_size 0
		.amdhsa_private_segment_fixed_size 0
		.amdhsa_kernarg_size 120
		.amdhsa_user_sgpr_count 6
		.amdhsa_user_sgpr_private_segment_buffer 1
		.amdhsa_user_sgpr_dispatch_ptr 0
		.amdhsa_user_sgpr_queue_ptr 0
		.amdhsa_user_sgpr_kernarg_segment_ptr 1
		.amdhsa_user_sgpr_dispatch_id 0
		.amdhsa_user_sgpr_flat_scratch_init 0
		.amdhsa_user_sgpr_kernarg_preload_length 0
		.amdhsa_user_sgpr_kernarg_preload_offset 0
		.amdhsa_user_sgpr_private_segment_size 0
		.amdhsa_uses_dynamic_stack 0
		.amdhsa_system_sgpr_private_segment_wavefront_offset 0
		.amdhsa_system_sgpr_workgroup_id_x 1
		.amdhsa_system_sgpr_workgroup_id_y 0
		.amdhsa_system_sgpr_workgroup_id_z 0
		.amdhsa_system_sgpr_workgroup_info 0
		.amdhsa_system_vgpr_workitem_id 0
		.amdhsa_next_free_vgpr 1
		.amdhsa_next_free_sgpr 0
		.amdhsa_accum_offset 4
		.amdhsa_reserve_vcc 0
		.amdhsa_reserve_flat_scratch 0
		.amdhsa_float_round_mode_32 0
		.amdhsa_float_round_mode_16_64 0
		.amdhsa_float_denorm_mode_32 3
		.amdhsa_float_denorm_mode_16_64 3
		.amdhsa_dx10_clamp 1
		.amdhsa_ieee_mode 1
		.amdhsa_fp16_overflow 0
		.amdhsa_tg_split 0
		.amdhsa_exception_fp_ieee_invalid_op 0
		.amdhsa_exception_fp_denorm_src 0
		.amdhsa_exception_fp_ieee_div_zero 0
		.amdhsa_exception_fp_ieee_overflow 0
		.amdhsa_exception_fp_ieee_underflow 0
		.amdhsa_exception_fp_ieee_inexact 0
		.amdhsa_exception_int_div_zero 0
	.end_amdhsa_kernel
	.section	.text._ZN7rocprim17ROCPRIM_400000_NS6detail17trampoline_kernelINS0_14default_configENS1_29reduce_by_key_config_selectorIssN6thrust23THRUST_200600_302600_NS4plusIsEEEEZZNS1_33reduce_by_key_impl_wrapped_configILNS1_25lookback_scan_determinismE0ES3_S9_NS6_6detail15normal_iteratorINS6_10device_ptrIsEEEESG_SG_SG_PmS8_22is_equal_div_10_reduceIsEEE10hipError_tPvRmT2_T3_mT4_T5_T6_T7_T8_P12ihipStream_tbENKUlT_T0_E_clISt17integral_constantIbLb1EES11_EEDaSW_SX_EUlSW_E_NS1_11comp_targetILNS1_3genE2ELNS1_11target_archE906ELNS1_3gpuE6ELNS1_3repE0EEENS1_30default_config_static_selectorELNS0_4arch9wavefront6targetE1EEEvT1_,"axG",@progbits,_ZN7rocprim17ROCPRIM_400000_NS6detail17trampoline_kernelINS0_14default_configENS1_29reduce_by_key_config_selectorIssN6thrust23THRUST_200600_302600_NS4plusIsEEEEZZNS1_33reduce_by_key_impl_wrapped_configILNS1_25lookback_scan_determinismE0ES3_S9_NS6_6detail15normal_iteratorINS6_10device_ptrIsEEEESG_SG_SG_PmS8_22is_equal_div_10_reduceIsEEE10hipError_tPvRmT2_T3_mT4_T5_T6_T7_T8_P12ihipStream_tbENKUlT_T0_E_clISt17integral_constantIbLb1EES11_EEDaSW_SX_EUlSW_E_NS1_11comp_targetILNS1_3genE2ELNS1_11target_archE906ELNS1_3gpuE6ELNS1_3repE0EEENS1_30default_config_static_selectorELNS0_4arch9wavefront6targetE1EEEvT1_,comdat
.Lfunc_end674:
	.size	_ZN7rocprim17ROCPRIM_400000_NS6detail17trampoline_kernelINS0_14default_configENS1_29reduce_by_key_config_selectorIssN6thrust23THRUST_200600_302600_NS4plusIsEEEEZZNS1_33reduce_by_key_impl_wrapped_configILNS1_25lookback_scan_determinismE0ES3_S9_NS6_6detail15normal_iteratorINS6_10device_ptrIsEEEESG_SG_SG_PmS8_22is_equal_div_10_reduceIsEEE10hipError_tPvRmT2_T3_mT4_T5_T6_T7_T8_P12ihipStream_tbENKUlT_T0_E_clISt17integral_constantIbLb1EES11_EEDaSW_SX_EUlSW_E_NS1_11comp_targetILNS1_3genE2ELNS1_11target_archE906ELNS1_3gpuE6ELNS1_3repE0EEENS1_30default_config_static_selectorELNS0_4arch9wavefront6targetE1EEEvT1_, .Lfunc_end674-_ZN7rocprim17ROCPRIM_400000_NS6detail17trampoline_kernelINS0_14default_configENS1_29reduce_by_key_config_selectorIssN6thrust23THRUST_200600_302600_NS4plusIsEEEEZZNS1_33reduce_by_key_impl_wrapped_configILNS1_25lookback_scan_determinismE0ES3_S9_NS6_6detail15normal_iteratorINS6_10device_ptrIsEEEESG_SG_SG_PmS8_22is_equal_div_10_reduceIsEEE10hipError_tPvRmT2_T3_mT4_T5_T6_T7_T8_P12ihipStream_tbENKUlT_T0_E_clISt17integral_constantIbLb1EES11_EEDaSW_SX_EUlSW_E_NS1_11comp_targetILNS1_3genE2ELNS1_11target_archE906ELNS1_3gpuE6ELNS1_3repE0EEENS1_30default_config_static_selectorELNS0_4arch9wavefront6targetE1EEEvT1_
                                        ; -- End function
	.section	.AMDGPU.csdata,"",@progbits
; Kernel info:
; codeLenInByte = 0
; NumSgprs: 4
; NumVgprs: 0
; NumAgprs: 0
; TotalNumVgprs: 0
; ScratchSize: 0
; MemoryBound: 0
; FloatMode: 240
; IeeeMode: 1
; LDSByteSize: 0 bytes/workgroup (compile time only)
; SGPRBlocks: 0
; VGPRBlocks: 0
; NumSGPRsForWavesPerEU: 4
; NumVGPRsForWavesPerEU: 1
; AccumOffset: 4
; Occupancy: 8
; WaveLimiterHint : 0
; COMPUTE_PGM_RSRC2:SCRATCH_EN: 0
; COMPUTE_PGM_RSRC2:USER_SGPR: 6
; COMPUTE_PGM_RSRC2:TRAP_HANDLER: 0
; COMPUTE_PGM_RSRC2:TGID_X_EN: 1
; COMPUTE_PGM_RSRC2:TGID_Y_EN: 0
; COMPUTE_PGM_RSRC2:TGID_Z_EN: 0
; COMPUTE_PGM_RSRC2:TIDIG_COMP_CNT: 0
; COMPUTE_PGM_RSRC3_GFX90A:ACCUM_OFFSET: 0
; COMPUTE_PGM_RSRC3_GFX90A:TG_SPLIT: 0
	.section	.text._ZN7rocprim17ROCPRIM_400000_NS6detail17trampoline_kernelINS0_14default_configENS1_29reduce_by_key_config_selectorIssN6thrust23THRUST_200600_302600_NS4plusIsEEEEZZNS1_33reduce_by_key_impl_wrapped_configILNS1_25lookback_scan_determinismE0ES3_S9_NS6_6detail15normal_iteratorINS6_10device_ptrIsEEEESG_SG_SG_PmS8_22is_equal_div_10_reduceIsEEE10hipError_tPvRmT2_T3_mT4_T5_T6_T7_T8_P12ihipStream_tbENKUlT_T0_E_clISt17integral_constantIbLb1EES11_EEDaSW_SX_EUlSW_E_NS1_11comp_targetILNS1_3genE10ELNS1_11target_archE1201ELNS1_3gpuE5ELNS1_3repE0EEENS1_30default_config_static_selectorELNS0_4arch9wavefront6targetE1EEEvT1_,"axG",@progbits,_ZN7rocprim17ROCPRIM_400000_NS6detail17trampoline_kernelINS0_14default_configENS1_29reduce_by_key_config_selectorIssN6thrust23THRUST_200600_302600_NS4plusIsEEEEZZNS1_33reduce_by_key_impl_wrapped_configILNS1_25lookback_scan_determinismE0ES3_S9_NS6_6detail15normal_iteratorINS6_10device_ptrIsEEEESG_SG_SG_PmS8_22is_equal_div_10_reduceIsEEE10hipError_tPvRmT2_T3_mT4_T5_T6_T7_T8_P12ihipStream_tbENKUlT_T0_E_clISt17integral_constantIbLb1EES11_EEDaSW_SX_EUlSW_E_NS1_11comp_targetILNS1_3genE10ELNS1_11target_archE1201ELNS1_3gpuE5ELNS1_3repE0EEENS1_30default_config_static_selectorELNS0_4arch9wavefront6targetE1EEEvT1_,comdat
	.protected	_ZN7rocprim17ROCPRIM_400000_NS6detail17trampoline_kernelINS0_14default_configENS1_29reduce_by_key_config_selectorIssN6thrust23THRUST_200600_302600_NS4plusIsEEEEZZNS1_33reduce_by_key_impl_wrapped_configILNS1_25lookback_scan_determinismE0ES3_S9_NS6_6detail15normal_iteratorINS6_10device_ptrIsEEEESG_SG_SG_PmS8_22is_equal_div_10_reduceIsEEE10hipError_tPvRmT2_T3_mT4_T5_T6_T7_T8_P12ihipStream_tbENKUlT_T0_E_clISt17integral_constantIbLb1EES11_EEDaSW_SX_EUlSW_E_NS1_11comp_targetILNS1_3genE10ELNS1_11target_archE1201ELNS1_3gpuE5ELNS1_3repE0EEENS1_30default_config_static_selectorELNS0_4arch9wavefront6targetE1EEEvT1_ ; -- Begin function _ZN7rocprim17ROCPRIM_400000_NS6detail17trampoline_kernelINS0_14default_configENS1_29reduce_by_key_config_selectorIssN6thrust23THRUST_200600_302600_NS4plusIsEEEEZZNS1_33reduce_by_key_impl_wrapped_configILNS1_25lookback_scan_determinismE0ES3_S9_NS6_6detail15normal_iteratorINS6_10device_ptrIsEEEESG_SG_SG_PmS8_22is_equal_div_10_reduceIsEEE10hipError_tPvRmT2_T3_mT4_T5_T6_T7_T8_P12ihipStream_tbENKUlT_T0_E_clISt17integral_constantIbLb1EES11_EEDaSW_SX_EUlSW_E_NS1_11comp_targetILNS1_3genE10ELNS1_11target_archE1201ELNS1_3gpuE5ELNS1_3repE0EEENS1_30default_config_static_selectorELNS0_4arch9wavefront6targetE1EEEvT1_
	.globl	_ZN7rocprim17ROCPRIM_400000_NS6detail17trampoline_kernelINS0_14default_configENS1_29reduce_by_key_config_selectorIssN6thrust23THRUST_200600_302600_NS4plusIsEEEEZZNS1_33reduce_by_key_impl_wrapped_configILNS1_25lookback_scan_determinismE0ES3_S9_NS6_6detail15normal_iteratorINS6_10device_ptrIsEEEESG_SG_SG_PmS8_22is_equal_div_10_reduceIsEEE10hipError_tPvRmT2_T3_mT4_T5_T6_T7_T8_P12ihipStream_tbENKUlT_T0_E_clISt17integral_constantIbLb1EES11_EEDaSW_SX_EUlSW_E_NS1_11comp_targetILNS1_3genE10ELNS1_11target_archE1201ELNS1_3gpuE5ELNS1_3repE0EEENS1_30default_config_static_selectorELNS0_4arch9wavefront6targetE1EEEvT1_
	.p2align	8
	.type	_ZN7rocprim17ROCPRIM_400000_NS6detail17trampoline_kernelINS0_14default_configENS1_29reduce_by_key_config_selectorIssN6thrust23THRUST_200600_302600_NS4plusIsEEEEZZNS1_33reduce_by_key_impl_wrapped_configILNS1_25lookback_scan_determinismE0ES3_S9_NS6_6detail15normal_iteratorINS6_10device_ptrIsEEEESG_SG_SG_PmS8_22is_equal_div_10_reduceIsEEE10hipError_tPvRmT2_T3_mT4_T5_T6_T7_T8_P12ihipStream_tbENKUlT_T0_E_clISt17integral_constantIbLb1EES11_EEDaSW_SX_EUlSW_E_NS1_11comp_targetILNS1_3genE10ELNS1_11target_archE1201ELNS1_3gpuE5ELNS1_3repE0EEENS1_30default_config_static_selectorELNS0_4arch9wavefront6targetE1EEEvT1_,@function
_ZN7rocprim17ROCPRIM_400000_NS6detail17trampoline_kernelINS0_14default_configENS1_29reduce_by_key_config_selectorIssN6thrust23THRUST_200600_302600_NS4plusIsEEEEZZNS1_33reduce_by_key_impl_wrapped_configILNS1_25lookback_scan_determinismE0ES3_S9_NS6_6detail15normal_iteratorINS6_10device_ptrIsEEEESG_SG_SG_PmS8_22is_equal_div_10_reduceIsEEE10hipError_tPvRmT2_T3_mT4_T5_T6_T7_T8_P12ihipStream_tbENKUlT_T0_E_clISt17integral_constantIbLb1EES11_EEDaSW_SX_EUlSW_E_NS1_11comp_targetILNS1_3genE10ELNS1_11target_archE1201ELNS1_3gpuE5ELNS1_3repE0EEENS1_30default_config_static_selectorELNS0_4arch9wavefront6targetE1EEEvT1_: ; @_ZN7rocprim17ROCPRIM_400000_NS6detail17trampoline_kernelINS0_14default_configENS1_29reduce_by_key_config_selectorIssN6thrust23THRUST_200600_302600_NS4plusIsEEEEZZNS1_33reduce_by_key_impl_wrapped_configILNS1_25lookback_scan_determinismE0ES3_S9_NS6_6detail15normal_iteratorINS6_10device_ptrIsEEEESG_SG_SG_PmS8_22is_equal_div_10_reduceIsEEE10hipError_tPvRmT2_T3_mT4_T5_T6_T7_T8_P12ihipStream_tbENKUlT_T0_E_clISt17integral_constantIbLb1EES11_EEDaSW_SX_EUlSW_E_NS1_11comp_targetILNS1_3genE10ELNS1_11target_archE1201ELNS1_3gpuE5ELNS1_3repE0EEENS1_30default_config_static_selectorELNS0_4arch9wavefront6targetE1EEEvT1_
; %bb.0:
	.section	.rodata,"a",@progbits
	.p2align	6, 0x0
	.amdhsa_kernel _ZN7rocprim17ROCPRIM_400000_NS6detail17trampoline_kernelINS0_14default_configENS1_29reduce_by_key_config_selectorIssN6thrust23THRUST_200600_302600_NS4plusIsEEEEZZNS1_33reduce_by_key_impl_wrapped_configILNS1_25lookback_scan_determinismE0ES3_S9_NS6_6detail15normal_iteratorINS6_10device_ptrIsEEEESG_SG_SG_PmS8_22is_equal_div_10_reduceIsEEE10hipError_tPvRmT2_T3_mT4_T5_T6_T7_T8_P12ihipStream_tbENKUlT_T0_E_clISt17integral_constantIbLb1EES11_EEDaSW_SX_EUlSW_E_NS1_11comp_targetILNS1_3genE10ELNS1_11target_archE1201ELNS1_3gpuE5ELNS1_3repE0EEENS1_30default_config_static_selectorELNS0_4arch9wavefront6targetE1EEEvT1_
		.amdhsa_group_segment_fixed_size 0
		.amdhsa_private_segment_fixed_size 0
		.amdhsa_kernarg_size 120
		.amdhsa_user_sgpr_count 6
		.amdhsa_user_sgpr_private_segment_buffer 1
		.amdhsa_user_sgpr_dispatch_ptr 0
		.amdhsa_user_sgpr_queue_ptr 0
		.amdhsa_user_sgpr_kernarg_segment_ptr 1
		.amdhsa_user_sgpr_dispatch_id 0
		.amdhsa_user_sgpr_flat_scratch_init 0
		.amdhsa_user_sgpr_kernarg_preload_length 0
		.amdhsa_user_sgpr_kernarg_preload_offset 0
		.amdhsa_user_sgpr_private_segment_size 0
		.amdhsa_uses_dynamic_stack 0
		.amdhsa_system_sgpr_private_segment_wavefront_offset 0
		.amdhsa_system_sgpr_workgroup_id_x 1
		.amdhsa_system_sgpr_workgroup_id_y 0
		.amdhsa_system_sgpr_workgroup_id_z 0
		.amdhsa_system_sgpr_workgroup_info 0
		.amdhsa_system_vgpr_workitem_id 0
		.amdhsa_next_free_vgpr 1
		.amdhsa_next_free_sgpr 0
		.amdhsa_accum_offset 4
		.amdhsa_reserve_vcc 0
		.amdhsa_reserve_flat_scratch 0
		.amdhsa_float_round_mode_32 0
		.amdhsa_float_round_mode_16_64 0
		.amdhsa_float_denorm_mode_32 3
		.amdhsa_float_denorm_mode_16_64 3
		.amdhsa_dx10_clamp 1
		.amdhsa_ieee_mode 1
		.amdhsa_fp16_overflow 0
		.amdhsa_tg_split 0
		.amdhsa_exception_fp_ieee_invalid_op 0
		.amdhsa_exception_fp_denorm_src 0
		.amdhsa_exception_fp_ieee_div_zero 0
		.amdhsa_exception_fp_ieee_overflow 0
		.amdhsa_exception_fp_ieee_underflow 0
		.amdhsa_exception_fp_ieee_inexact 0
		.amdhsa_exception_int_div_zero 0
	.end_amdhsa_kernel
	.section	.text._ZN7rocprim17ROCPRIM_400000_NS6detail17trampoline_kernelINS0_14default_configENS1_29reduce_by_key_config_selectorIssN6thrust23THRUST_200600_302600_NS4plusIsEEEEZZNS1_33reduce_by_key_impl_wrapped_configILNS1_25lookback_scan_determinismE0ES3_S9_NS6_6detail15normal_iteratorINS6_10device_ptrIsEEEESG_SG_SG_PmS8_22is_equal_div_10_reduceIsEEE10hipError_tPvRmT2_T3_mT4_T5_T6_T7_T8_P12ihipStream_tbENKUlT_T0_E_clISt17integral_constantIbLb1EES11_EEDaSW_SX_EUlSW_E_NS1_11comp_targetILNS1_3genE10ELNS1_11target_archE1201ELNS1_3gpuE5ELNS1_3repE0EEENS1_30default_config_static_selectorELNS0_4arch9wavefront6targetE1EEEvT1_,"axG",@progbits,_ZN7rocprim17ROCPRIM_400000_NS6detail17trampoline_kernelINS0_14default_configENS1_29reduce_by_key_config_selectorIssN6thrust23THRUST_200600_302600_NS4plusIsEEEEZZNS1_33reduce_by_key_impl_wrapped_configILNS1_25lookback_scan_determinismE0ES3_S9_NS6_6detail15normal_iteratorINS6_10device_ptrIsEEEESG_SG_SG_PmS8_22is_equal_div_10_reduceIsEEE10hipError_tPvRmT2_T3_mT4_T5_T6_T7_T8_P12ihipStream_tbENKUlT_T0_E_clISt17integral_constantIbLb1EES11_EEDaSW_SX_EUlSW_E_NS1_11comp_targetILNS1_3genE10ELNS1_11target_archE1201ELNS1_3gpuE5ELNS1_3repE0EEENS1_30default_config_static_selectorELNS0_4arch9wavefront6targetE1EEEvT1_,comdat
.Lfunc_end675:
	.size	_ZN7rocprim17ROCPRIM_400000_NS6detail17trampoline_kernelINS0_14default_configENS1_29reduce_by_key_config_selectorIssN6thrust23THRUST_200600_302600_NS4plusIsEEEEZZNS1_33reduce_by_key_impl_wrapped_configILNS1_25lookback_scan_determinismE0ES3_S9_NS6_6detail15normal_iteratorINS6_10device_ptrIsEEEESG_SG_SG_PmS8_22is_equal_div_10_reduceIsEEE10hipError_tPvRmT2_T3_mT4_T5_T6_T7_T8_P12ihipStream_tbENKUlT_T0_E_clISt17integral_constantIbLb1EES11_EEDaSW_SX_EUlSW_E_NS1_11comp_targetILNS1_3genE10ELNS1_11target_archE1201ELNS1_3gpuE5ELNS1_3repE0EEENS1_30default_config_static_selectorELNS0_4arch9wavefront6targetE1EEEvT1_, .Lfunc_end675-_ZN7rocprim17ROCPRIM_400000_NS6detail17trampoline_kernelINS0_14default_configENS1_29reduce_by_key_config_selectorIssN6thrust23THRUST_200600_302600_NS4plusIsEEEEZZNS1_33reduce_by_key_impl_wrapped_configILNS1_25lookback_scan_determinismE0ES3_S9_NS6_6detail15normal_iteratorINS6_10device_ptrIsEEEESG_SG_SG_PmS8_22is_equal_div_10_reduceIsEEE10hipError_tPvRmT2_T3_mT4_T5_T6_T7_T8_P12ihipStream_tbENKUlT_T0_E_clISt17integral_constantIbLb1EES11_EEDaSW_SX_EUlSW_E_NS1_11comp_targetILNS1_3genE10ELNS1_11target_archE1201ELNS1_3gpuE5ELNS1_3repE0EEENS1_30default_config_static_selectorELNS0_4arch9wavefront6targetE1EEEvT1_
                                        ; -- End function
	.section	.AMDGPU.csdata,"",@progbits
; Kernel info:
; codeLenInByte = 0
; NumSgprs: 4
; NumVgprs: 0
; NumAgprs: 0
; TotalNumVgprs: 0
; ScratchSize: 0
; MemoryBound: 0
; FloatMode: 240
; IeeeMode: 1
; LDSByteSize: 0 bytes/workgroup (compile time only)
; SGPRBlocks: 0
; VGPRBlocks: 0
; NumSGPRsForWavesPerEU: 4
; NumVGPRsForWavesPerEU: 1
; AccumOffset: 4
; Occupancy: 8
; WaveLimiterHint : 0
; COMPUTE_PGM_RSRC2:SCRATCH_EN: 0
; COMPUTE_PGM_RSRC2:USER_SGPR: 6
; COMPUTE_PGM_RSRC2:TRAP_HANDLER: 0
; COMPUTE_PGM_RSRC2:TGID_X_EN: 1
; COMPUTE_PGM_RSRC2:TGID_Y_EN: 0
; COMPUTE_PGM_RSRC2:TGID_Z_EN: 0
; COMPUTE_PGM_RSRC2:TIDIG_COMP_CNT: 0
; COMPUTE_PGM_RSRC3_GFX90A:ACCUM_OFFSET: 0
; COMPUTE_PGM_RSRC3_GFX90A:TG_SPLIT: 0
	.section	.text._ZN7rocprim17ROCPRIM_400000_NS6detail17trampoline_kernelINS0_14default_configENS1_29reduce_by_key_config_selectorIssN6thrust23THRUST_200600_302600_NS4plusIsEEEEZZNS1_33reduce_by_key_impl_wrapped_configILNS1_25lookback_scan_determinismE0ES3_S9_NS6_6detail15normal_iteratorINS6_10device_ptrIsEEEESG_SG_SG_PmS8_22is_equal_div_10_reduceIsEEE10hipError_tPvRmT2_T3_mT4_T5_T6_T7_T8_P12ihipStream_tbENKUlT_T0_E_clISt17integral_constantIbLb1EES11_EEDaSW_SX_EUlSW_E_NS1_11comp_targetILNS1_3genE10ELNS1_11target_archE1200ELNS1_3gpuE4ELNS1_3repE0EEENS1_30default_config_static_selectorELNS0_4arch9wavefront6targetE1EEEvT1_,"axG",@progbits,_ZN7rocprim17ROCPRIM_400000_NS6detail17trampoline_kernelINS0_14default_configENS1_29reduce_by_key_config_selectorIssN6thrust23THRUST_200600_302600_NS4plusIsEEEEZZNS1_33reduce_by_key_impl_wrapped_configILNS1_25lookback_scan_determinismE0ES3_S9_NS6_6detail15normal_iteratorINS6_10device_ptrIsEEEESG_SG_SG_PmS8_22is_equal_div_10_reduceIsEEE10hipError_tPvRmT2_T3_mT4_T5_T6_T7_T8_P12ihipStream_tbENKUlT_T0_E_clISt17integral_constantIbLb1EES11_EEDaSW_SX_EUlSW_E_NS1_11comp_targetILNS1_3genE10ELNS1_11target_archE1200ELNS1_3gpuE4ELNS1_3repE0EEENS1_30default_config_static_selectorELNS0_4arch9wavefront6targetE1EEEvT1_,comdat
	.protected	_ZN7rocprim17ROCPRIM_400000_NS6detail17trampoline_kernelINS0_14default_configENS1_29reduce_by_key_config_selectorIssN6thrust23THRUST_200600_302600_NS4plusIsEEEEZZNS1_33reduce_by_key_impl_wrapped_configILNS1_25lookback_scan_determinismE0ES3_S9_NS6_6detail15normal_iteratorINS6_10device_ptrIsEEEESG_SG_SG_PmS8_22is_equal_div_10_reduceIsEEE10hipError_tPvRmT2_T3_mT4_T5_T6_T7_T8_P12ihipStream_tbENKUlT_T0_E_clISt17integral_constantIbLb1EES11_EEDaSW_SX_EUlSW_E_NS1_11comp_targetILNS1_3genE10ELNS1_11target_archE1200ELNS1_3gpuE4ELNS1_3repE0EEENS1_30default_config_static_selectorELNS0_4arch9wavefront6targetE1EEEvT1_ ; -- Begin function _ZN7rocprim17ROCPRIM_400000_NS6detail17trampoline_kernelINS0_14default_configENS1_29reduce_by_key_config_selectorIssN6thrust23THRUST_200600_302600_NS4plusIsEEEEZZNS1_33reduce_by_key_impl_wrapped_configILNS1_25lookback_scan_determinismE0ES3_S9_NS6_6detail15normal_iteratorINS6_10device_ptrIsEEEESG_SG_SG_PmS8_22is_equal_div_10_reduceIsEEE10hipError_tPvRmT2_T3_mT4_T5_T6_T7_T8_P12ihipStream_tbENKUlT_T0_E_clISt17integral_constantIbLb1EES11_EEDaSW_SX_EUlSW_E_NS1_11comp_targetILNS1_3genE10ELNS1_11target_archE1200ELNS1_3gpuE4ELNS1_3repE0EEENS1_30default_config_static_selectorELNS0_4arch9wavefront6targetE1EEEvT1_
	.globl	_ZN7rocprim17ROCPRIM_400000_NS6detail17trampoline_kernelINS0_14default_configENS1_29reduce_by_key_config_selectorIssN6thrust23THRUST_200600_302600_NS4plusIsEEEEZZNS1_33reduce_by_key_impl_wrapped_configILNS1_25lookback_scan_determinismE0ES3_S9_NS6_6detail15normal_iteratorINS6_10device_ptrIsEEEESG_SG_SG_PmS8_22is_equal_div_10_reduceIsEEE10hipError_tPvRmT2_T3_mT4_T5_T6_T7_T8_P12ihipStream_tbENKUlT_T0_E_clISt17integral_constantIbLb1EES11_EEDaSW_SX_EUlSW_E_NS1_11comp_targetILNS1_3genE10ELNS1_11target_archE1200ELNS1_3gpuE4ELNS1_3repE0EEENS1_30default_config_static_selectorELNS0_4arch9wavefront6targetE1EEEvT1_
	.p2align	8
	.type	_ZN7rocprim17ROCPRIM_400000_NS6detail17trampoline_kernelINS0_14default_configENS1_29reduce_by_key_config_selectorIssN6thrust23THRUST_200600_302600_NS4plusIsEEEEZZNS1_33reduce_by_key_impl_wrapped_configILNS1_25lookback_scan_determinismE0ES3_S9_NS6_6detail15normal_iteratorINS6_10device_ptrIsEEEESG_SG_SG_PmS8_22is_equal_div_10_reduceIsEEE10hipError_tPvRmT2_T3_mT4_T5_T6_T7_T8_P12ihipStream_tbENKUlT_T0_E_clISt17integral_constantIbLb1EES11_EEDaSW_SX_EUlSW_E_NS1_11comp_targetILNS1_3genE10ELNS1_11target_archE1200ELNS1_3gpuE4ELNS1_3repE0EEENS1_30default_config_static_selectorELNS0_4arch9wavefront6targetE1EEEvT1_,@function
_ZN7rocprim17ROCPRIM_400000_NS6detail17trampoline_kernelINS0_14default_configENS1_29reduce_by_key_config_selectorIssN6thrust23THRUST_200600_302600_NS4plusIsEEEEZZNS1_33reduce_by_key_impl_wrapped_configILNS1_25lookback_scan_determinismE0ES3_S9_NS6_6detail15normal_iteratorINS6_10device_ptrIsEEEESG_SG_SG_PmS8_22is_equal_div_10_reduceIsEEE10hipError_tPvRmT2_T3_mT4_T5_T6_T7_T8_P12ihipStream_tbENKUlT_T0_E_clISt17integral_constantIbLb1EES11_EEDaSW_SX_EUlSW_E_NS1_11comp_targetILNS1_3genE10ELNS1_11target_archE1200ELNS1_3gpuE4ELNS1_3repE0EEENS1_30default_config_static_selectorELNS0_4arch9wavefront6targetE1EEEvT1_: ; @_ZN7rocprim17ROCPRIM_400000_NS6detail17trampoline_kernelINS0_14default_configENS1_29reduce_by_key_config_selectorIssN6thrust23THRUST_200600_302600_NS4plusIsEEEEZZNS1_33reduce_by_key_impl_wrapped_configILNS1_25lookback_scan_determinismE0ES3_S9_NS6_6detail15normal_iteratorINS6_10device_ptrIsEEEESG_SG_SG_PmS8_22is_equal_div_10_reduceIsEEE10hipError_tPvRmT2_T3_mT4_T5_T6_T7_T8_P12ihipStream_tbENKUlT_T0_E_clISt17integral_constantIbLb1EES11_EEDaSW_SX_EUlSW_E_NS1_11comp_targetILNS1_3genE10ELNS1_11target_archE1200ELNS1_3gpuE4ELNS1_3repE0EEENS1_30default_config_static_selectorELNS0_4arch9wavefront6targetE1EEEvT1_
; %bb.0:
	.section	.rodata,"a",@progbits
	.p2align	6, 0x0
	.amdhsa_kernel _ZN7rocprim17ROCPRIM_400000_NS6detail17trampoline_kernelINS0_14default_configENS1_29reduce_by_key_config_selectorIssN6thrust23THRUST_200600_302600_NS4plusIsEEEEZZNS1_33reduce_by_key_impl_wrapped_configILNS1_25lookback_scan_determinismE0ES3_S9_NS6_6detail15normal_iteratorINS6_10device_ptrIsEEEESG_SG_SG_PmS8_22is_equal_div_10_reduceIsEEE10hipError_tPvRmT2_T3_mT4_T5_T6_T7_T8_P12ihipStream_tbENKUlT_T0_E_clISt17integral_constantIbLb1EES11_EEDaSW_SX_EUlSW_E_NS1_11comp_targetILNS1_3genE10ELNS1_11target_archE1200ELNS1_3gpuE4ELNS1_3repE0EEENS1_30default_config_static_selectorELNS0_4arch9wavefront6targetE1EEEvT1_
		.amdhsa_group_segment_fixed_size 0
		.amdhsa_private_segment_fixed_size 0
		.amdhsa_kernarg_size 120
		.amdhsa_user_sgpr_count 6
		.amdhsa_user_sgpr_private_segment_buffer 1
		.amdhsa_user_sgpr_dispatch_ptr 0
		.amdhsa_user_sgpr_queue_ptr 0
		.amdhsa_user_sgpr_kernarg_segment_ptr 1
		.amdhsa_user_sgpr_dispatch_id 0
		.amdhsa_user_sgpr_flat_scratch_init 0
		.amdhsa_user_sgpr_kernarg_preload_length 0
		.amdhsa_user_sgpr_kernarg_preload_offset 0
		.amdhsa_user_sgpr_private_segment_size 0
		.amdhsa_uses_dynamic_stack 0
		.amdhsa_system_sgpr_private_segment_wavefront_offset 0
		.amdhsa_system_sgpr_workgroup_id_x 1
		.amdhsa_system_sgpr_workgroup_id_y 0
		.amdhsa_system_sgpr_workgroup_id_z 0
		.amdhsa_system_sgpr_workgroup_info 0
		.amdhsa_system_vgpr_workitem_id 0
		.amdhsa_next_free_vgpr 1
		.amdhsa_next_free_sgpr 0
		.amdhsa_accum_offset 4
		.amdhsa_reserve_vcc 0
		.amdhsa_reserve_flat_scratch 0
		.amdhsa_float_round_mode_32 0
		.amdhsa_float_round_mode_16_64 0
		.amdhsa_float_denorm_mode_32 3
		.amdhsa_float_denorm_mode_16_64 3
		.amdhsa_dx10_clamp 1
		.amdhsa_ieee_mode 1
		.amdhsa_fp16_overflow 0
		.amdhsa_tg_split 0
		.amdhsa_exception_fp_ieee_invalid_op 0
		.amdhsa_exception_fp_denorm_src 0
		.amdhsa_exception_fp_ieee_div_zero 0
		.amdhsa_exception_fp_ieee_overflow 0
		.amdhsa_exception_fp_ieee_underflow 0
		.amdhsa_exception_fp_ieee_inexact 0
		.amdhsa_exception_int_div_zero 0
	.end_amdhsa_kernel
	.section	.text._ZN7rocprim17ROCPRIM_400000_NS6detail17trampoline_kernelINS0_14default_configENS1_29reduce_by_key_config_selectorIssN6thrust23THRUST_200600_302600_NS4plusIsEEEEZZNS1_33reduce_by_key_impl_wrapped_configILNS1_25lookback_scan_determinismE0ES3_S9_NS6_6detail15normal_iteratorINS6_10device_ptrIsEEEESG_SG_SG_PmS8_22is_equal_div_10_reduceIsEEE10hipError_tPvRmT2_T3_mT4_T5_T6_T7_T8_P12ihipStream_tbENKUlT_T0_E_clISt17integral_constantIbLb1EES11_EEDaSW_SX_EUlSW_E_NS1_11comp_targetILNS1_3genE10ELNS1_11target_archE1200ELNS1_3gpuE4ELNS1_3repE0EEENS1_30default_config_static_selectorELNS0_4arch9wavefront6targetE1EEEvT1_,"axG",@progbits,_ZN7rocprim17ROCPRIM_400000_NS6detail17trampoline_kernelINS0_14default_configENS1_29reduce_by_key_config_selectorIssN6thrust23THRUST_200600_302600_NS4plusIsEEEEZZNS1_33reduce_by_key_impl_wrapped_configILNS1_25lookback_scan_determinismE0ES3_S9_NS6_6detail15normal_iteratorINS6_10device_ptrIsEEEESG_SG_SG_PmS8_22is_equal_div_10_reduceIsEEE10hipError_tPvRmT2_T3_mT4_T5_T6_T7_T8_P12ihipStream_tbENKUlT_T0_E_clISt17integral_constantIbLb1EES11_EEDaSW_SX_EUlSW_E_NS1_11comp_targetILNS1_3genE10ELNS1_11target_archE1200ELNS1_3gpuE4ELNS1_3repE0EEENS1_30default_config_static_selectorELNS0_4arch9wavefront6targetE1EEEvT1_,comdat
.Lfunc_end676:
	.size	_ZN7rocprim17ROCPRIM_400000_NS6detail17trampoline_kernelINS0_14default_configENS1_29reduce_by_key_config_selectorIssN6thrust23THRUST_200600_302600_NS4plusIsEEEEZZNS1_33reduce_by_key_impl_wrapped_configILNS1_25lookback_scan_determinismE0ES3_S9_NS6_6detail15normal_iteratorINS6_10device_ptrIsEEEESG_SG_SG_PmS8_22is_equal_div_10_reduceIsEEE10hipError_tPvRmT2_T3_mT4_T5_T6_T7_T8_P12ihipStream_tbENKUlT_T0_E_clISt17integral_constantIbLb1EES11_EEDaSW_SX_EUlSW_E_NS1_11comp_targetILNS1_3genE10ELNS1_11target_archE1200ELNS1_3gpuE4ELNS1_3repE0EEENS1_30default_config_static_selectorELNS0_4arch9wavefront6targetE1EEEvT1_, .Lfunc_end676-_ZN7rocprim17ROCPRIM_400000_NS6detail17trampoline_kernelINS0_14default_configENS1_29reduce_by_key_config_selectorIssN6thrust23THRUST_200600_302600_NS4plusIsEEEEZZNS1_33reduce_by_key_impl_wrapped_configILNS1_25lookback_scan_determinismE0ES3_S9_NS6_6detail15normal_iteratorINS6_10device_ptrIsEEEESG_SG_SG_PmS8_22is_equal_div_10_reduceIsEEE10hipError_tPvRmT2_T3_mT4_T5_T6_T7_T8_P12ihipStream_tbENKUlT_T0_E_clISt17integral_constantIbLb1EES11_EEDaSW_SX_EUlSW_E_NS1_11comp_targetILNS1_3genE10ELNS1_11target_archE1200ELNS1_3gpuE4ELNS1_3repE0EEENS1_30default_config_static_selectorELNS0_4arch9wavefront6targetE1EEEvT1_
                                        ; -- End function
	.section	.AMDGPU.csdata,"",@progbits
; Kernel info:
; codeLenInByte = 0
; NumSgprs: 4
; NumVgprs: 0
; NumAgprs: 0
; TotalNumVgprs: 0
; ScratchSize: 0
; MemoryBound: 0
; FloatMode: 240
; IeeeMode: 1
; LDSByteSize: 0 bytes/workgroup (compile time only)
; SGPRBlocks: 0
; VGPRBlocks: 0
; NumSGPRsForWavesPerEU: 4
; NumVGPRsForWavesPerEU: 1
; AccumOffset: 4
; Occupancy: 8
; WaveLimiterHint : 0
; COMPUTE_PGM_RSRC2:SCRATCH_EN: 0
; COMPUTE_PGM_RSRC2:USER_SGPR: 6
; COMPUTE_PGM_RSRC2:TRAP_HANDLER: 0
; COMPUTE_PGM_RSRC2:TGID_X_EN: 1
; COMPUTE_PGM_RSRC2:TGID_Y_EN: 0
; COMPUTE_PGM_RSRC2:TGID_Z_EN: 0
; COMPUTE_PGM_RSRC2:TIDIG_COMP_CNT: 0
; COMPUTE_PGM_RSRC3_GFX90A:ACCUM_OFFSET: 0
; COMPUTE_PGM_RSRC3_GFX90A:TG_SPLIT: 0
	.section	.text._ZN7rocprim17ROCPRIM_400000_NS6detail17trampoline_kernelINS0_14default_configENS1_29reduce_by_key_config_selectorIssN6thrust23THRUST_200600_302600_NS4plusIsEEEEZZNS1_33reduce_by_key_impl_wrapped_configILNS1_25lookback_scan_determinismE0ES3_S9_NS6_6detail15normal_iteratorINS6_10device_ptrIsEEEESG_SG_SG_PmS8_22is_equal_div_10_reduceIsEEE10hipError_tPvRmT2_T3_mT4_T5_T6_T7_T8_P12ihipStream_tbENKUlT_T0_E_clISt17integral_constantIbLb1EES11_EEDaSW_SX_EUlSW_E_NS1_11comp_targetILNS1_3genE9ELNS1_11target_archE1100ELNS1_3gpuE3ELNS1_3repE0EEENS1_30default_config_static_selectorELNS0_4arch9wavefront6targetE1EEEvT1_,"axG",@progbits,_ZN7rocprim17ROCPRIM_400000_NS6detail17trampoline_kernelINS0_14default_configENS1_29reduce_by_key_config_selectorIssN6thrust23THRUST_200600_302600_NS4plusIsEEEEZZNS1_33reduce_by_key_impl_wrapped_configILNS1_25lookback_scan_determinismE0ES3_S9_NS6_6detail15normal_iteratorINS6_10device_ptrIsEEEESG_SG_SG_PmS8_22is_equal_div_10_reduceIsEEE10hipError_tPvRmT2_T3_mT4_T5_T6_T7_T8_P12ihipStream_tbENKUlT_T0_E_clISt17integral_constantIbLb1EES11_EEDaSW_SX_EUlSW_E_NS1_11comp_targetILNS1_3genE9ELNS1_11target_archE1100ELNS1_3gpuE3ELNS1_3repE0EEENS1_30default_config_static_selectorELNS0_4arch9wavefront6targetE1EEEvT1_,comdat
	.protected	_ZN7rocprim17ROCPRIM_400000_NS6detail17trampoline_kernelINS0_14default_configENS1_29reduce_by_key_config_selectorIssN6thrust23THRUST_200600_302600_NS4plusIsEEEEZZNS1_33reduce_by_key_impl_wrapped_configILNS1_25lookback_scan_determinismE0ES3_S9_NS6_6detail15normal_iteratorINS6_10device_ptrIsEEEESG_SG_SG_PmS8_22is_equal_div_10_reduceIsEEE10hipError_tPvRmT2_T3_mT4_T5_T6_T7_T8_P12ihipStream_tbENKUlT_T0_E_clISt17integral_constantIbLb1EES11_EEDaSW_SX_EUlSW_E_NS1_11comp_targetILNS1_3genE9ELNS1_11target_archE1100ELNS1_3gpuE3ELNS1_3repE0EEENS1_30default_config_static_selectorELNS0_4arch9wavefront6targetE1EEEvT1_ ; -- Begin function _ZN7rocprim17ROCPRIM_400000_NS6detail17trampoline_kernelINS0_14default_configENS1_29reduce_by_key_config_selectorIssN6thrust23THRUST_200600_302600_NS4plusIsEEEEZZNS1_33reduce_by_key_impl_wrapped_configILNS1_25lookback_scan_determinismE0ES3_S9_NS6_6detail15normal_iteratorINS6_10device_ptrIsEEEESG_SG_SG_PmS8_22is_equal_div_10_reduceIsEEE10hipError_tPvRmT2_T3_mT4_T5_T6_T7_T8_P12ihipStream_tbENKUlT_T0_E_clISt17integral_constantIbLb1EES11_EEDaSW_SX_EUlSW_E_NS1_11comp_targetILNS1_3genE9ELNS1_11target_archE1100ELNS1_3gpuE3ELNS1_3repE0EEENS1_30default_config_static_selectorELNS0_4arch9wavefront6targetE1EEEvT1_
	.globl	_ZN7rocprim17ROCPRIM_400000_NS6detail17trampoline_kernelINS0_14default_configENS1_29reduce_by_key_config_selectorIssN6thrust23THRUST_200600_302600_NS4plusIsEEEEZZNS1_33reduce_by_key_impl_wrapped_configILNS1_25lookback_scan_determinismE0ES3_S9_NS6_6detail15normal_iteratorINS6_10device_ptrIsEEEESG_SG_SG_PmS8_22is_equal_div_10_reduceIsEEE10hipError_tPvRmT2_T3_mT4_T5_T6_T7_T8_P12ihipStream_tbENKUlT_T0_E_clISt17integral_constantIbLb1EES11_EEDaSW_SX_EUlSW_E_NS1_11comp_targetILNS1_3genE9ELNS1_11target_archE1100ELNS1_3gpuE3ELNS1_3repE0EEENS1_30default_config_static_selectorELNS0_4arch9wavefront6targetE1EEEvT1_
	.p2align	8
	.type	_ZN7rocprim17ROCPRIM_400000_NS6detail17trampoline_kernelINS0_14default_configENS1_29reduce_by_key_config_selectorIssN6thrust23THRUST_200600_302600_NS4plusIsEEEEZZNS1_33reduce_by_key_impl_wrapped_configILNS1_25lookback_scan_determinismE0ES3_S9_NS6_6detail15normal_iteratorINS6_10device_ptrIsEEEESG_SG_SG_PmS8_22is_equal_div_10_reduceIsEEE10hipError_tPvRmT2_T3_mT4_T5_T6_T7_T8_P12ihipStream_tbENKUlT_T0_E_clISt17integral_constantIbLb1EES11_EEDaSW_SX_EUlSW_E_NS1_11comp_targetILNS1_3genE9ELNS1_11target_archE1100ELNS1_3gpuE3ELNS1_3repE0EEENS1_30default_config_static_selectorELNS0_4arch9wavefront6targetE1EEEvT1_,@function
_ZN7rocprim17ROCPRIM_400000_NS6detail17trampoline_kernelINS0_14default_configENS1_29reduce_by_key_config_selectorIssN6thrust23THRUST_200600_302600_NS4plusIsEEEEZZNS1_33reduce_by_key_impl_wrapped_configILNS1_25lookback_scan_determinismE0ES3_S9_NS6_6detail15normal_iteratorINS6_10device_ptrIsEEEESG_SG_SG_PmS8_22is_equal_div_10_reduceIsEEE10hipError_tPvRmT2_T3_mT4_T5_T6_T7_T8_P12ihipStream_tbENKUlT_T0_E_clISt17integral_constantIbLb1EES11_EEDaSW_SX_EUlSW_E_NS1_11comp_targetILNS1_3genE9ELNS1_11target_archE1100ELNS1_3gpuE3ELNS1_3repE0EEENS1_30default_config_static_selectorELNS0_4arch9wavefront6targetE1EEEvT1_: ; @_ZN7rocprim17ROCPRIM_400000_NS6detail17trampoline_kernelINS0_14default_configENS1_29reduce_by_key_config_selectorIssN6thrust23THRUST_200600_302600_NS4plusIsEEEEZZNS1_33reduce_by_key_impl_wrapped_configILNS1_25lookback_scan_determinismE0ES3_S9_NS6_6detail15normal_iteratorINS6_10device_ptrIsEEEESG_SG_SG_PmS8_22is_equal_div_10_reduceIsEEE10hipError_tPvRmT2_T3_mT4_T5_T6_T7_T8_P12ihipStream_tbENKUlT_T0_E_clISt17integral_constantIbLb1EES11_EEDaSW_SX_EUlSW_E_NS1_11comp_targetILNS1_3genE9ELNS1_11target_archE1100ELNS1_3gpuE3ELNS1_3repE0EEENS1_30default_config_static_selectorELNS0_4arch9wavefront6targetE1EEEvT1_
; %bb.0:
	.section	.rodata,"a",@progbits
	.p2align	6, 0x0
	.amdhsa_kernel _ZN7rocprim17ROCPRIM_400000_NS6detail17trampoline_kernelINS0_14default_configENS1_29reduce_by_key_config_selectorIssN6thrust23THRUST_200600_302600_NS4plusIsEEEEZZNS1_33reduce_by_key_impl_wrapped_configILNS1_25lookback_scan_determinismE0ES3_S9_NS6_6detail15normal_iteratorINS6_10device_ptrIsEEEESG_SG_SG_PmS8_22is_equal_div_10_reduceIsEEE10hipError_tPvRmT2_T3_mT4_T5_T6_T7_T8_P12ihipStream_tbENKUlT_T0_E_clISt17integral_constantIbLb1EES11_EEDaSW_SX_EUlSW_E_NS1_11comp_targetILNS1_3genE9ELNS1_11target_archE1100ELNS1_3gpuE3ELNS1_3repE0EEENS1_30default_config_static_selectorELNS0_4arch9wavefront6targetE1EEEvT1_
		.amdhsa_group_segment_fixed_size 0
		.amdhsa_private_segment_fixed_size 0
		.amdhsa_kernarg_size 120
		.amdhsa_user_sgpr_count 6
		.amdhsa_user_sgpr_private_segment_buffer 1
		.amdhsa_user_sgpr_dispatch_ptr 0
		.amdhsa_user_sgpr_queue_ptr 0
		.amdhsa_user_sgpr_kernarg_segment_ptr 1
		.amdhsa_user_sgpr_dispatch_id 0
		.amdhsa_user_sgpr_flat_scratch_init 0
		.amdhsa_user_sgpr_kernarg_preload_length 0
		.amdhsa_user_sgpr_kernarg_preload_offset 0
		.amdhsa_user_sgpr_private_segment_size 0
		.amdhsa_uses_dynamic_stack 0
		.amdhsa_system_sgpr_private_segment_wavefront_offset 0
		.amdhsa_system_sgpr_workgroup_id_x 1
		.amdhsa_system_sgpr_workgroup_id_y 0
		.amdhsa_system_sgpr_workgroup_id_z 0
		.amdhsa_system_sgpr_workgroup_info 0
		.amdhsa_system_vgpr_workitem_id 0
		.amdhsa_next_free_vgpr 1
		.amdhsa_next_free_sgpr 0
		.amdhsa_accum_offset 4
		.amdhsa_reserve_vcc 0
		.amdhsa_reserve_flat_scratch 0
		.amdhsa_float_round_mode_32 0
		.amdhsa_float_round_mode_16_64 0
		.amdhsa_float_denorm_mode_32 3
		.amdhsa_float_denorm_mode_16_64 3
		.amdhsa_dx10_clamp 1
		.amdhsa_ieee_mode 1
		.amdhsa_fp16_overflow 0
		.amdhsa_tg_split 0
		.amdhsa_exception_fp_ieee_invalid_op 0
		.amdhsa_exception_fp_denorm_src 0
		.amdhsa_exception_fp_ieee_div_zero 0
		.amdhsa_exception_fp_ieee_overflow 0
		.amdhsa_exception_fp_ieee_underflow 0
		.amdhsa_exception_fp_ieee_inexact 0
		.amdhsa_exception_int_div_zero 0
	.end_amdhsa_kernel
	.section	.text._ZN7rocprim17ROCPRIM_400000_NS6detail17trampoline_kernelINS0_14default_configENS1_29reduce_by_key_config_selectorIssN6thrust23THRUST_200600_302600_NS4plusIsEEEEZZNS1_33reduce_by_key_impl_wrapped_configILNS1_25lookback_scan_determinismE0ES3_S9_NS6_6detail15normal_iteratorINS6_10device_ptrIsEEEESG_SG_SG_PmS8_22is_equal_div_10_reduceIsEEE10hipError_tPvRmT2_T3_mT4_T5_T6_T7_T8_P12ihipStream_tbENKUlT_T0_E_clISt17integral_constantIbLb1EES11_EEDaSW_SX_EUlSW_E_NS1_11comp_targetILNS1_3genE9ELNS1_11target_archE1100ELNS1_3gpuE3ELNS1_3repE0EEENS1_30default_config_static_selectorELNS0_4arch9wavefront6targetE1EEEvT1_,"axG",@progbits,_ZN7rocprim17ROCPRIM_400000_NS6detail17trampoline_kernelINS0_14default_configENS1_29reduce_by_key_config_selectorIssN6thrust23THRUST_200600_302600_NS4plusIsEEEEZZNS1_33reduce_by_key_impl_wrapped_configILNS1_25lookback_scan_determinismE0ES3_S9_NS6_6detail15normal_iteratorINS6_10device_ptrIsEEEESG_SG_SG_PmS8_22is_equal_div_10_reduceIsEEE10hipError_tPvRmT2_T3_mT4_T5_T6_T7_T8_P12ihipStream_tbENKUlT_T0_E_clISt17integral_constantIbLb1EES11_EEDaSW_SX_EUlSW_E_NS1_11comp_targetILNS1_3genE9ELNS1_11target_archE1100ELNS1_3gpuE3ELNS1_3repE0EEENS1_30default_config_static_selectorELNS0_4arch9wavefront6targetE1EEEvT1_,comdat
.Lfunc_end677:
	.size	_ZN7rocprim17ROCPRIM_400000_NS6detail17trampoline_kernelINS0_14default_configENS1_29reduce_by_key_config_selectorIssN6thrust23THRUST_200600_302600_NS4plusIsEEEEZZNS1_33reduce_by_key_impl_wrapped_configILNS1_25lookback_scan_determinismE0ES3_S9_NS6_6detail15normal_iteratorINS6_10device_ptrIsEEEESG_SG_SG_PmS8_22is_equal_div_10_reduceIsEEE10hipError_tPvRmT2_T3_mT4_T5_T6_T7_T8_P12ihipStream_tbENKUlT_T0_E_clISt17integral_constantIbLb1EES11_EEDaSW_SX_EUlSW_E_NS1_11comp_targetILNS1_3genE9ELNS1_11target_archE1100ELNS1_3gpuE3ELNS1_3repE0EEENS1_30default_config_static_selectorELNS0_4arch9wavefront6targetE1EEEvT1_, .Lfunc_end677-_ZN7rocprim17ROCPRIM_400000_NS6detail17trampoline_kernelINS0_14default_configENS1_29reduce_by_key_config_selectorIssN6thrust23THRUST_200600_302600_NS4plusIsEEEEZZNS1_33reduce_by_key_impl_wrapped_configILNS1_25lookback_scan_determinismE0ES3_S9_NS6_6detail15normal_iteratorINS6_10device_ptrIsEEEESG_SG_SG_PmS8_22is_equal_div_10_reduceIsEEE10hipError_tPvRmT2_T3_mT4_T5_T6_T7_T8_P12ihipStream_tbENKUlT_T0_E_clISt17integral_constantIbLb1EES11_EEDaSW_SX_EUlSW_E_NS1_11comp_targetILNS1_3genE9ELNS1_11target_archE1100ELNS1_3gpuE3ELNS1_3repE0EEENS1_30default_config_static_selectorELNS0_4arch9wavefront6targetE1EEEvT1_
                                        ; -- End function
	.section	.AMDGPU.csdata,"",@progbits
; Kernel info:
; codeLenInByte = 0
; NumSgprs: 4
; NumVgprs: 0
; NumAgprs: 0
; TotalNumVgprs: 0
; ScratchSize: 0
; MemoryBound: 0
; FloatMode: 240
; IeeeMode: 1
; LDSByteSize: 0 bytes/workgroup (compile time only)
; SGPRBlocks: 0
; VGPRBlocks: 0
; NumSGPRsForWavesPerEU: 4
; NumVGPRsForWavesPerEU: 1
; AccumOffset: 4
; Occupancy: 8
; WaveLimiterHint : 0
; COMPUTE_PGM_RSRC2:SCRATCH_EN: 0
; COMPUTE_PGM_RSRC2:USER_SGPR: 6
; COMPUTE_PGM_RSRC2:TRAP_HANDLER: 0
; COMPUTE_PGM_RSRC2:TGID_X_EN: 1
; COMPUTE_PGM_RSRC2:TGID_Y_EN: 0
; COMPUTE_PGM_RSRC2:TGID_Z_EN: 0
; COMPUTE_PGM_RSRC2:TIDIG_COMP_CNT: 0
; COMPUTE_PGM_RSRC3_GFX90A:ACCUM_OFFSET: 0
; COMPUTE_PGM_RSRC3_GFX90A:TG_SPLIT: 0
	.section	.text._ZN7rocprim17ROCPRIM_400000_NS6detail17trampoline_kernelINS0_14default_configENS1_29reduce_by_key_config_selectorIssN6thrust23THRUST_200600_302600_NS4plusIsEEEEZZNS1_33reduce_by_key_impl_wrapped_configILNS1_25lookback_scan_determinismE0ES3_S9_NS6_6detail15normal_iteratorINS6_10device_ptrIsEEEESG_SG_SG_PmS8_22is_equal_div_10_reduceIsEEE10hipError_tPvRmT2_T3_mT4_T5_T6_T7_T8_P12ihipStream_tbENKUlT_T0_E_clISt17integral_constantIbLb1EES11_EEDaSW_SX_EUlSW_E_NS1_11comp_targetILNS1_3genE8ELNS1_11target_archE1030ELNS1_3gpuE2ELNS1_3repE0EEENS1_30default_config_static_selectorELNS0_4arch9wavefront6targetE1EEEvT1_,"axG",@progbits,_ZN7rocprim17ROCPRIM_400000_NS6detail17trampoline_kernelINS0_14default_configENS1_29reduce_by_key_config_selectorIssN6thrust23THRUST_200600_302600_NS4plusIsEEEEZZNS1_33reduce_by_key_impl_wrapped_configILNS1_25lookback_scan_determinismE0ES3_S9_NS6_6detail15normal_iteratorINS6_10device_ptrIsEEEESG_SG_SG_PmS8_22is_equal_div_10_reduceIsEEE10hipError_tPvRmT2_T3_mT4_T5_T6_T7_T8_P12ihipStream_tbENKUlT_T0_E_clISt17integral_constantIbLb1EES11_EEDaSW_SX_EUlSW_E_NS1_11comp_targetILNS1_3genE8ELNS1_11target_archE1030ELNS1_3gpuE2ELNS1_3repE0EEENS1_30default_config_static_selectorELNS0_4arch9wavefront6targetE1EEEvT1_,comdat
	.protected	_ZN7rocprim17ROCPRIM_400000_NS6detail17trampoline_kernelINS0_14default_configENS1_29reduce_by_key_config_selectorIssN6thrust23THRUST_200600_302600_NS4plusIsEEEEZZNS1_33reduce_by_key_impl_wrapped_configILNS1_25lookback_scan_determinismE0ES3_S9_NS6_6detail15normal_iteratorINS6_10device_ptrIsEEEESG_SG_SG_PmS8_22is_equal_div_10_reduceIsEEE10hipError_tPvRmT2_T3_mT4_T5_T6_T7_T8_P12ihipStream_tbENKUlT_T0_E_clISt17integral_constantIbLb1EES11_EEDaSW_SX_EUlSW_E_NS1_11comp_targetILNS1_3genE8ELNS1_11target_archE1030ELNS1_3gpuE2ELNS1_3repE0EEENS1_30default_config_static_selectorELNS0_4arch9wavefront6targetE1EEEvT1_ ; -- Begin function _ZN7rocprim17ROCPRIM_400000_NS6detail17trampoline_kernelINS0_14default_configENS1_29reduce_by_key_config_selectorIssN6thrust23THRUST_200600_302600_NS4plusIsEEEEZZNS1_33reduce_by_key_impl_wrapped_configILNS1_25lookback_scan_determinismE0ES3_S9_NS6_6detail15normal_iteratorINS6_10device_ptrIsEEEESG_SG_SG_PmS8_22is_equal_div_10_reduceIsEEE10hipError_tPvRmT2_T3_mT4_T5_T6_T7_T8_P12ihipStream_tbENKUlT_T0_E_clISt17integral_constantIbLb1EES11_EEDaSW_SX_EUlSW_E_NS1_11comp_targetILNS1_3genE8ELNS1_11target_archE1030ELNS1_3gpuE2ELNS1_3repE0EEENS1_30default_config_static_selectorELNS0_4arch9wavefront6targetE1EEEvT1_
	.globl	_ZN7rocprim17ROCPRIM_400000_NS6detail17trampoline_kernelINS0_14default_configENS1_29reduce_by_key_config_selectorIssN6thrust23THRUST_200600_302600_NS4plusIsEEEEZZNS1_33reduce_by_key_impl_wrapped_configILNS1_25lookback_scan_determinismE0ES3_S9_NS6_6detail15normal_iteratorINS6_10device_ptrIsEEEESG_SG_SG_PmS8_22is_equal_div_10_reduceIsEEE10hipError_tPvRmT2_T3_mT4_T5_T6_T7_T8_P12ihipStream_tbENKUlT_T0_E_clISt17integral_constantIbLb1EES11_EEDaSW_SX_EUlSW_E_NS1_11comp_targetILNS1_3genE8ELNS1_11target_archE1030ELNS1_3gpuE2ELNS1_3repE0EEENS1_30default_config_static_selectorELNS0_4arch9wavefront6targetE1EEEvT1_
	.p2align	8
	.type	_ZN7rocprim17ROCPRIM_400000_NS6detail17trampoline_kernelINS0_14default_configENS1_29reduce_by_key_config_selectorIssN6thrust23THRUST_200600_302600_NS4plusIsEEEEZZNS1_33reduce_by_key_impl_wrapped_configILNS1_25lookback_scan_determinismE0ES3_S9_NS6_6detail15normal_iteratorINS6_10device_ptrIsEEEESG_SG_SG_PmS8_22is_equal_div_10_reduceIsEEE10hipError_tPvRmT2_T3_mT4_T5_T6_T7_T8_P12ihipStream_tbENKUlT_T0_E_clISt17integral_constantIbLb1EES11_EEDaSW_SX_EUlSW_E_NS1_11comp_targetILNS1_3genE8ELNS1_11target_archE1030ELNS1_3gpuE2ELNS1_3repE0EEENS1_30default_config_static_selectorELNS0_4arch9wavefront6targetE1EEEvT1_,@function
_ZN7rocprim17ROCPRIM_400000_NS6detail17trampoline_kernelINS0_14default_configENS1_29reduce_by_key_config_selectorIssN6thrust23THRUST_200600_302600_NS4plusIsEEEEZZNS1_33reduce_by_key_impl_wrapped_configILNS1_25lookback_scan_determinismE0ES3_S9_NS6_6detail15normal_iteratorINS6_10device_ptrIsEEEESG_SG_SG_PmS8_22is_equal_div_10_reduceIsEEE10hipError_tPvRmT2_T3_mT4_T5_T6_T7_T8_P12ihipStream_tbENKUlT_T0_E_clISt17integral_constantIbLb1EES11_EEDaSW_SX_EUlSW_E_NS1_11comp_targetILNS1_3genE8ELNS1_11target_archE1030ELNS1_3gpuE2ELNS1_3repE0EEENS1_30default_config_static_selectorELNS0_4arch9wavefront6targetE1EEEvT1_: ; @_ZN7rocprim17ROCPRIM_400000_NS6detail17trampoline_kernelINS0_14default_configENS1_29reduce_by_key_config_selectorIssN6thrust23THRUST_200600_302600_NS4plusIsEEEEZZNS1_33reduce_by_key_impl_wrapped_configILNS1_25lookback_scan_determinismE0ES3_S9_NS6_6detail15normal_iteratorINS6_10device_ptrIsEEEESG_SG_SG_PmS8_22is_equal_div_10_reduceIsEEE10hipError_tPvRmT2_T3_mT4_T5_T6_T7_T8_P12ihipStream_tbENKUlT_T0_E_clISt17integral_constantIbLb1EES11_EEDaSW_SX_EUlSW_E_NS1_11comp_targetILNS1_3genE8ELNS1_11target_archE1030ELNS1_3gpuE2ELNS1_3repE0EEENS1_30default_config_static_selectorELNS0_4arch9wavefront6targetE1EEEvT1_
; %bb.0:
	.section	.rodata,"a",@progbits
	.p2align	6, 0x0
	.amdhsa_kernel _ZN7rocprim17ROCPRIM_400000_NS6detail17trampoline_kernelINS0_14default_configENS1_29reduce_by_key_config_selectorIssN6thrust23THRUST_200600_302600_NS4plusIsEEEEZZNS1_33reduce_by_key_impl_wrapped_configILNS1_25lookback_scan_determinismE0ES3_S9_NS6_6detail15normal_iteratorINS6_10device_ptrIsEEEESG_SG_SG_PmS8_22is_equal_div_10_reduceIsEEE10hipError_tPvRmT2_T3_mT4_T5_T6_T7_T8_P12ihipStream_tbENKUlT_T0_E_clISt17integral_constantIbLb1EES11_EEDaSW_SX_EUlSW_E_NS1_11comp_targetILNS1_3genE8ELNS1_11target_archE1030ELNS1_3gpuE2ELNS1_3repE0EEENS1_30default_config_static_selectorELNS0_4arch9wavefront6targetE1EEEvT1_
		.amdhsa_group_segment_fixed_size 0
		.amdhsa_private_segment_fixed_size 0
		.amdhsa_kernarg_size 120
		.amdhsa_user_sgpr_count 6
		.amdhsa_user_sgpr_private_segment_buffer 1
		.amdhsa_user_sgpr_dispatch_ptr 0
		.amdhsa_user_sgpr_queue_ptr 0
		.amdhsa_user_sgpr_kernarg_segment_ptr 1
		.amdhsa_user_sgpr_dispatch_id 0
		.amdhsa_user_sgpr_flat_scratch_init 0
		.amdhsa_user_sgpr_kernarg_preload_length 0
		.amdhsa_user_sgpr_kernarg_preload_offset 0
		.amdhsa_user_sgpr_private_segment_size 0
		.amdhsa_uses_dynamic_stack 0
		.amdhsa_system_sgpr_private_segment_wavefront_offset 0
		.amdhsa_system_sgpr_workgroup_id_x 1
		.amdhsa_system_sgpr_workgroup_id_y 0
		.amdhsa_system_sgpr_workgroup_id_z 0
		.amdhsa_system_sgpr_workgroup_info 0
		.amdhsa_system_vgpr_workitem_id 0
		.amdhsa_next_free_vgpr 1
		.amdhsa_next_free_sgpr 0
		.amdhsa_accum_offset 4
		.amdhsa_reserve_vcc 0
		.amdhsa_reserve_flat_scratch 0
		.amdhsa_float_round_mode_32 0
		.amdhsa_float_round_mode_16_64 0
		.amdhsa_float_denorm_mode_32 3
		.amdhsa_float_denorm_mode_16_64 3
		.amdhsa_dx10_clamp 1
		.amdhsa_ieee_mode 1
		.amdhsa_fp16_overflow 0
		.amdhsa_tg_split 0
		.amdhsa_exception_fp_ieee_invalid_op 0
		.amdhsa_exception_fp_denorm_src 0
		.amdhsa_exception_fp_ieee_div_zero 0
		.amdhsa_exception_fp_ieee_overflow 0
		.amdhsa_exception_fp_ieee_underflow 0
		.amdhsa_exception_fp_ieee_inexact 0
		.amdhsa_exception_int_div_zero 0
	.end_amdhsa_kernel
	.section	.text._ZN7rocprim17ROCPRIM_400000_NS6detail17trampoline_kernelINS0_14default_configENS1_29reduce_by_key_config_selectorIssN6thrust23THRUST_200600_302600_NS4plusIsEEEEZZNS1_33reduce_by_key_impl_wrapped_configILNS1_25lookback_scan_determinismE0ES3_S9_NS6_6detail15normal_iteratorINS6_10device_ptrIsEEEESG_SG_SG_PmS8_22is_equal_div_10_reduceIsEEE10hipError_tPvRmT2_T3_mT4_T5_T6_T7_T8_P12ihipStream_tbENKUlT_T0_E_clISt17integral_constantIbLb1EES11_EEDaSW_SX_EUlSW_E_NS1_11comp_targetILNS1_3genE8ELNS1_11target_archE1030ELNS1_3gpuE2ELNS1_3repE0EEENS1_30default_config_static_selectorELNS0_4arch9wavefront6targetE1EEEvT1_,"axG",@progbits,_ZN7rocprim17ROCPRIM_400000_NS6detail17trampoline_kernelINS0_14default_configENS1_29reduce_by_key_config_selectorIssN6thrust23THRUST_200600_302600_NS4plusIsEEEEZZNS1_33reduce_by_key_impl_wrapped_configILNS1_25lookback_scan_determinismE0ES3_S9_NS6_6detail15normal_iteratorINS6_10device_ptrIsEEEESG_SG_SG_PmS8_22is_equal_div_10_reduceIsEEE10hipError_tPvRmT2_T3_mT4_T5_T6_T7_T8_P12ihipStream_tbENKUlT_T0_E_clISt17integral_constantIbLb1EES11_EEDaSW_SX_EUlSW_E_NS1_11comp_targetILNS1_3genE8ELNS1_11target_archE1030ELNS1_3gpuE2ELNS1_3repE0EEENS1_30default_config_static_selectorELNS0_4arch9wavefront6targetE1EEEvT1_,comdat
.Lfunc_end678:
	.size	_ZN7rocprim17ROCPRIM_400000_NS6detail17trampoline_kernelINS0_14default_configENS1_29reduce_by_key_config_selectorIssN6thrust23THRUST_200600_302600_NS4plusIsEEEEZZNS1_33reduce_by_key_impl_wrapped_configILNS1_25lookback_scan_determinismE0ES3_S9_NS6_6detail15normal_iteratorINS6_10device_ptrIsEEEESG_SG_SG_PmS8_22is_equal_div_10_reduceIsEEE10hipError_tPvRmT2_T3_mT4_T5_T6_T7_T8_P12ihipStream_tbENKUlT_T0_E_clISt17integral_constantIbLb1EES11_EEDaSW_SX_EUlSW_E_NS1_11comp_targetILNS1_3genE8ELNS1_11target_archE1030ELNS1_3gpuE2ELNS1_3repE0EEENS1_30default_config_static_selectorELNS0_4arch9wavefront6targetE1EEEvT1_, .Lfunc_end678-_ZN7rocprim17ROCPRIM_400000_NS6detail17trampoline_kernelINS0_14default_configENS1_29reduce_by_key_config_selectorIssN6thrust23THRUST_200600_302600_NS4plusIsEEEEZZNS1_33reduce_by_key_impl_wrapped_configILNS1_25lookback_scan_determinismE0ES3_S9_NS6_6detail15normal_iteratorINS6_10device_ptrIsEEEESG_SG_SG_PmS8_22is_equal_div_10_reduceIsEEE10hipError_tPvRmT2_T3_mT4_T5_T6_T7_T8_P12ihipStream_tbENKUlT_T0_E_clISt17integral_constantIbLb1EES11_EEDaSW_SX_EUlSW_E_NS1_11comp_targetILNS1_3genE8ELNS1_11target_archE1030ELNS1_3gpuE2ELNS1_3repE0EEENS1_30default_config_static_selectorELNS0_4arch9wavefront6targetE1EEEvT1_
                                        ; -- End function
	.section	.AMDGPU.csdata,"",@progbits
; Kernel info:
; codeLenInByte = 0
; NumSgprs: 4
; NumVgprs: 0
; NumAgprs: 0
; TotalNumVgprs: 0
; ScratchSize: 0
; MemoryBound: 0
; FloatMode: 240
; IeeeMode: 1
; LDSByteSize: 0 bytes/workgroup (compile time only)
; SGPRBlocks: 0
; VGPRBlocks: 0
; NumSGPRsForWavesPerEU: 4
; NumVGPRsForWavesPerEU: 1
; AccumOffset: 4
; Occupancy: 8
; WaveLimiterHint : 0
; COMPUTE_PGM_RSRC2:SCRATCH_EN: 0
; COMPUTE_PGM_RSRC2:USER_SGPR: 6
; COMPUTE_PGM_RSRC2:TRAP_HANDLER: 0
; COMPUTE_PGM_RSRC2:TGID_X_EN: 1
; COMPUTE_PGM_RSRC2:TGID_Y_EN: 0
; COMPUTE_PGM_RSRC2:TGID_Z_EN: 0
; COMPUTE_PGM_RSRC2:TIDIG_COMP_CNT: 0
; COMPUTE_PGM_RSRC3_GFX90A:ACCUM_OFFSET: 0
; COMPUTE_PGM_RSRC3_GFX90A:TG_SPLIT: 0
	.section	.text._ZN7rocprim17ROCPRIM_400000_NS6detail17trampoline_kernelINS0_14default_configENS1_29reduce_by_key_config_selectorIssN6thrust23THRUST_200600_302600_NS4plusIsEEEEZZNS1_33reduce_by_key_impl_wrapped_configILNS1_25lookback_scan_determinismE0ES3_S9_NS6_6detail15normal_iteratorINS6_10device_ptrIsEEEESG_SG_SG_PmS8_22is_equal_div_10_reduceIsEEE10hipError_tPvRmT2_T3_mT4_T5_T6_T7_T8_P12ihipStream_tbENKUlT_T0_E_clISt17integral_constantIbLb1EES10_IbLb0EEEEDaSW_SX_EUlSW_E_NS1_11comp_targetILNS1_3genE0ELNS1_11target_archE4294967295ELNS1_3gpuE0ELNS1_3repE0EEENS1_30default_config_static_selectorELNS0_4arch9wavefront6targetE1EEEvT1_,"axG",@progbits,_ZN7rocprim17ROCPRIM_400000_NS6detail17trampoline_kernelINS0_14default_configENS1_29reduce_by_key_config_selectorIssN6thrust23THRUST_200600_302600_NS4plusIsEEEEZZNS1_33reduce_by_key_impl_wrapped_configILNS1_25lookback_scan_determinismE0ES3_S9_NS6_6detail15normal_iteratorINS6_10device_ptrIsEEEESG_SG_SG_PmS8_22is_equal_div_10_reduceIsEEE10hipError_tPvRmT2_T3_mT4_T5_T6_T7_T8_P12ihipStream_tbENKUlT_T0_E_clISt17integral_constantIbLb1EES10_IbLb0EEEEDaSW_SX_EUlSW_E_NS1_11comp_targetILNS1_3genE0ELNS1_11target_archE4294967295ELNS1_3gpuE0ELNS1_3repE0EEENS1_30default_config_static_selectorELNS0_4arch9wavefront6targetE1EEEvT1_,comdat
	.protected	_ZN7rocprim17ROCPRIM_400000_NS6detail17trampoline_kernelINS0_14default_configENS1_29reduce_by_key_config_selectorIssN6thrust23THRUST_200600_302600_NS4plusIsEEEEZZNS1_33reduce_by_key_impl_wrapped_configILNS1_25lookback_scan_determinismE0ES3_S9_NS6_6detail15normal_iteratorINS6_10device_ptrIsEEEESG_SG_SG_PmS8_22is_equal_div_10_reduceIsEEE10hipError_tPvRmT2_T3_mT4_T5_T6_T7_T8_P12ihipStream_tbENKUlT_T0_E_clISt17integral_constantIbLb1EES10_IbLb0EEEEDaSW_SX_EUlSW_E_NS1_11comp_targetILNS1_3genE0ELNS1_11target_archE4294967295ELNS1_3gpuE0ELNS1_3repE0EEENS1_30default_config_static_selectorELNS0_4arch9wavefront6targetE1EEEvT1_ ; -- Begin function _ZN7rocprim17ROCPRIM_400000_NS6detail17trampoline_kernelINS0_14default_configENS1_29reduce_by_key_config_selectorIssN6thrust23THRUST_200600_302600_NS4plusIsEEEEZZNS1_33reduce_by_key_impl_wrapped_configILNS1_25lookback_scan_determinismE0ES3_S9_NS6_6detail15normal_iteratorINS6_10device_ptrIsEEEESG_SG_SG_PmS8_22is_equal_div_10_reduceIsEEE10hipError_tPvRmT2_T3_mT4_T5_T6_T7_T8_P12ihipStream_tbENKUlT_T0_E_clISt17integral_constantIbLb1EES10_IbLb0EEEEDaSW_SX_EUlSW_E_NS1_11comp_targetILNS1_3genE0ELNS1_11target_archE4294967295ELNS1_3gpuE0ELNS1_3repE0EEENS1_30default_config_static_selectorELNS0_4arch9wavefront6targetE1EEEvT1_
	.globl	_ZN7rocprim17ROCPRIM_400000_NS6detail17trampoline_kernelINS0_14default_configENS1_29reduce_by_key_config_selectorIssN6thrust23THRUST_200600_302600_NS4plusIsEEEEZZNS1_33reduce_by_key_impl_wrapped_configILNS1_25lookback_scan_determinismE0ES3_S9_NS6_6detail15normal_iteratorINS6_10device_ptrIsEEEESG_SG_SG_PmS8_22is_equal_div_10_reduceIsEEE10hipError_tPvRmT2_T3_mT4_T5_T6_T7_T8_P12ihipStream_tbENKUlT_T0_E_clISt17integral_constantIbLb1EES10_IbLb0EEEEDaSW_SX_EUlSW_E_NS1_11comp_targetILNS1_3genE0ELNS1_11target_archE4294967295ELNS1_3gpuE0ELNS1_3repE0EEENS1_30default_config_static_selectorELNS0_4arch9wavefront6targetE1EEEvT1_
	.p2align	8
	.type	_ZN7rocprim17ROCPRIM_400000_NS6detail17trampoline_kernelINS0_14default_configENS1_29reduce_by_key_config_selectorIssN6thrust23THRUST_200600_302600_NS4plusIsEEEEZZNS1_33reduce_by_key_impl_wrapped_configILNS1_25lookback_scan_determinismE0ES3_S9_NS6_6detail15normal_iteratorINS6_10device_ptrIsEEEESG_SG_SG_PmS8_22is_equal_div_10_reduceIsEEE10hipError_tPvRmT2_T3_mT4_T5_T6_T7_T8_P12ihipStream_tbENKUlT_T0_E_clISt17integral_constantIbLb1EES10_IbLb0EEEEDaSW_SX_EUlSW_E_NS1_11comp_targetILNS1_3genE0ELNS1_11target_archE4294967295ELNS1_3gpuE0ELNS1_3repE0EEENS1_30default_config_static_selectorELNS0_4arch9wavefront6targetE1EEEvT1_,@function
_ZN7rocprim17ROCPRIM_400000_NS6detail17trampoline_kernelINS0_14default_configENS1_29reduce_by_key_config_selectorIssN6thrust23THRUST_200600_302600_NS4plusIsEEEEZZNS1_33reduce_by_key_impl_wrapped_configILNS1_25lookback_scan_determinismE0ES3_S9_NS6_6detail15normal_iteratorINS6_10device_ptrIsEEEESG_SG_SG_PmS8_22is_equal_div_10_reduceIsEEE10hipError_tPvRmT2_T3_mT4_T5_T6_T7_T8_P12ihipStream_tbENKUlT_T0_E_clISt17integral_constantIbLb1EES10_IbLb0EEEEDaSW_SX_EUlSW_E_NS1_11comp_targetILNS1_3genE0ELNS1_11target_archE4294967295ELNS1_3gpuE0ELNS1_3repE0EEENS1_30default_config_static_selectorELNS0_4arch9wavefront6targetE1EEEvT1_: ; @_ZN7rocprim17ROCPRIM_400000_NS6detail17trampoline_kernelINS0_14default_configENS1_29reduce_by_key_config_selectorIssN6thrust23THRUST_200600_302600_NS4plusIsEEEEZZNS1_33reduce_by_key_impl_wrapped_configILNS1_25lookback_scan_determinismE0ES3_S9_NS6_6detail15normal_iteratorINS6_10device_ptrIsEEEESG_SG_SG_PmS8_22is_equal_div_10_reduceIsEEE10hipError_tPvRmT2_T3_mT4_T5_T6_T7_T8_P12ihipStream_tbENKUlT_T0_E_clISt17integral_constantIbLb1EES10_IbLb0EEEEDaSW_SX_EUlSW_E_NS1_11comp_targetILNS1_3genE0ELNS1_11target_archE4294967295ELNS1_3gpuE0ELNS1_3repE0EEENS1_30default_config_static_selectorELNS0_4arch9wavefront6targetE1EEEvT1_
; %bb.0:
	.section	.rodata,"a",@progbits
	.p2align	6, 0x0
	.amdhsa_kernel _ZN7rocprim17ROCPRIM_400000_NS6detail17trampoline_kernelINS0_14default_configENS1_29reduce_by_key_config_selectorIssN6thrust23THRUST_200600_302600_NS4plusIsEEEEZZNS1_33reduce_by_key_impl_wrapped_configILNS1_25lookback_scan_determinismE0ES3_S9_NS6_6detail15normal_iteratorINS6_10device_ptrIsEEEESG_SG_SG_PmS8_22is_equal_div_10_reduceIsEEE10hipError_tPvRmT2_T3_mT4_T5_T6_T7_T8_P12ihipStream_tbENKUlT_T0_E_clISt17integral_constantIbLb1EES10_IbLb0EEEEDaSW_SX_EUlSW_E_NS1_11comp_targetILNS1_3genE0ELNS1_11target_archE4294967295ELNS1_3gpuE0ELNS1_3repE0EEENS1_30default_config_static_selectorELNS0_4arch9wavefront6targetE1EEEvT1_
		.amdhsa_group_segment_fixed_size 0
		.amdhsa_private_segment_fixed_size 0
		.amdhsa_kernarg_size 120
		.amdhsa_user_sgpr_count 6
		.amdhsa_user_sgpr_private_segment_buffer 1
		.amdhsa_user_sgpr_dispatch_ptr 0
		.amdhsa_user_sgpr_queue_ptr 0
		.amdhsa_user_sgpr_kernarg_segment_ptr 1
		.amdhsa_user_sgpr_dispatch_id 0
		.amdhsa_user_sgpr_flat_scratch_init 0
		.amdhsa_user_sgpr_kernarg_preload_length 0
		.amdhsa_user_sgpr_kernarg_preload_offset 0
		.amdhsa_user_sgpr_private_segment_size 0
		.amdhsa_uses_dynamic_stack 0
		.amdhsa_system_sgpr_private_segment_wavefront_offset 0
		.amdhsa_system_sgpr_workgroup_id_x 1
		.amdhsa_system_sgpr_workgroup_id_y 0
		.amdhsa_system_sgpr_workgroup_id_z 0
		.amdhsa_system_sgpr_workgroup_info 0
		.amdhsa_system_vgpr_workitem_id 0
		.amdhsa_next_free_vgpr 1
		.amdhsa_next_free_sgpr 0
		.amdhsa_accum_offset 4
		.amdhsa_reserve_vcc 0
		.amdhsa_reserve_flat_scratch 0
		.amdhsa_float_round_mode_32 0
		.amdhsa_float_round_mode_16_64 0
		.amdhsa_float_denorm_mode_32 3
		.amdhsa_float_denorm_mode_16_64 3
		.amdhsa_dx10_clamp 1
		.amdhsa_ieee_mode 1
		.amdhsa_fp16_overflow 0
		.amdhsa_tg_split 0
		.amdhsa_exception_fp_ieee_invalid_op 0
		.amdhsa_exception_fp_denorm_src 0
		.amdhsa_exception_fp_ieee_div_zero 0
		.amdhsa_exception_fp_ieee_overflow 0
		.amdhsa_exception_fp_ieee_underflow 0
		.amdhsa_exception_fp_ieee_inexact 0
		.amdhsa_exception_int_div_zero 0
	.end_amdhsa_kernel
	.section	.text._ZN7rocprim17ROCPRIM_400000_NS6detail17trampoline_kernelINS0_14default_configENS1_29reduce_by_key_config_selectorIssN6thrust23THRUST_200600_302600_NS4plusIsEEEEZZNS1_33reduce_by_key_impl_wrapped_configILNS1_25lookback_scan_determinismE0ES3_S9_NS6_6detail15normal_iteratorINS6_10device_ptrIsEEEESG_SG_SG_PmS8_22is_equal_div_10_reduceIsEEE10hipError_tPvRmT2_T3_mT4_T5_T6_T7_T8_P12ihipStream_tbENKUlT_T0_E_clISt17integral_constantIbLb1EES10_IbLb0EEEEDaSW_SX_EUlSW_E_NS1_11comp_targetILNS1_3genE0ELNS1_11target_archE4294967295ELNS1_3gpuE0ELNS1_3repE0EEENS1_30default_config_static_selectorELNS0_4arch9wavefront6targetE1EEEvT1_,"axG",@progbits,_ZN7rocprim17ROCPRIM_400000_NS6detail17trampoline_kernelINS0_14default_configENS1_29reduce_by_key_config_selectorIssN6thrust23THRUST_200600_302600_NS4plusIsEEEEZZNS1_33reduce_by_key_impl_wrapped_configILNS1_25lookback_scan_determinismE0ES3_S9_NS6_6detail15normal_iteratorINS6_10device_ptrIsEEEESG_SG_SG_PmS8_22is_equal_div_10_reduceIsEEE10hipError_tPvRmT2_T3_mT4_T5_T6_T7_T8_P12ihipStream_tbENKUlT_T0_E_clISt17integral_constantIbLb1EES10_IbLb0EEEEDaSW_SX_EUlSW_E_NS1_11comp_targetILNS1_3genE0ELNS1_11target_archE4294967295ELNS1_3gpuE0ELNS1_3repE0EEENS1_30default_config_static_selectorELNS0_4arch9wavefront6targetE1EEEvT1_,comdat
.Lfunc_end679:
	.size	_ZN7rocprim17ROCPRIM_400000_NS6detail17trampoline_kernelINS0_14default_configENS1_29reduce_by_key_config_selectorIssN6thrust23THRUST_200600_302600_NS4plusIsEEEEZZNS1_33reduce_by_key_impl_wrapped_configILNS1_25lookback_scan_determinismE0ES3_S9_NS6_6detail15normal_iteratorINS6_10device_ptrIsEEEESG_SG_SG_PmS8_22is_equal_div_10_reduceIsEEE10hipError_tPvRmT2_T3_mT4_T5_T6_T7_T8_P12ihipStream_tbENKUlT_T0_E_clISt17integral_constantIbLb1EES10_IbLb0EEEEDaSW_SX_EUlSW_E_NS1_11comp_targetILNS1_3genE0ELNS1_11target_archE4294967295ELNS1_3gpuE0ELNS1_3repE0EEENS1_30default_config_static_selectorELNS0_4arch9wavefront6targetE1EEEvT1_, .Lfunc_end679-_ZN7rocprim17ROCPRIM_400000_NS6detail17trampoline_kernelINS0_14default_configENS1_29reduce_by_key_config_selectorIssN6thrust23THRUST_200600_302600_NS4plusIsEEEEZZNS1_33reduce_by_key_impl_wrapped_configILNS1_25lookback_scan_determinismE0ES3_S9_NS6_6detail15normal_iteratorINS6_10device_ptrIsEEEESG_SG_SG_PmS8_22is_equal_div_10_reduceIsEEE10hipError_tPvRmT2_T3_mT4_T5_T6_T7_T8_P12ihipStream_tbENKUlT_T0_E_clISt17integral_constantIbLb1EES10_IbLb0EEEEDaSW_SX_EUlSW_E_NS1_11comp_targetILNS1_3genE0ELNS1_11target_archE4294967295ELNS1_3gpuE0ELNS1_3repE0EEENS1_30default_config_static_selectorELNS0_4arch9wavefront6targetE1EEEvT1_
                                        ; -- End function
	.section	.AMDGPU.csdata,"",@progbits
; Kernel info:
; codeLenInByte = 0
; NumSgprs: 4
; NumVgprs: 0
; NumAgprs: 0
; TotalNumVgprs: 0
; ScratchSize: 0
; MemoryBound: 0
; FloatMode: 240
; IeeeMode: 1
; LDSByteSize: 0 bytes/workgroup (compile time only)
; SGPRBlocks: 0
; VGPRBlocks: 0
; NumSGPRsForWavesPerEU: 4
; NumVGPRsForWavesPerEU: 1
; AccumOffset: 4
; Occupancy: 8
; WaveLimiterHint : 0
; COMPUTE_PGM_RSRC2:SCRATCH_EN: 0
; COMPUTE_PGM_RSRC2:USER_SGPR: 6
; COMPUTE_PGM_RSRC2:TRAP_HANDLER: 0
; COMPUTE_PGM_RSRC2:TGID_X_EN: 1
; COMPUTE_PGM_RSRC2:TGID_Y_EN: 0
; COMPUTE_PGM_RSRC2:TGID_Z_EN: 0
; COMPUTE_PGM_RSRC2:TIDIG_COMP_CNT: 0
; COMPUTE_PGM_RSRC3_GFX90A:ACCUM_OFFSET: 0
; COMPUTE_PGM_RSRC3_GFX90A:TG_SPLIT: 0
	.section	.text._ZN7rocprim17ROCPRIM_400000_NS6detail17trampoline_kernelINS0_14default_configENS1_29reduce_by_key_config_selectorIssN6thrust23THRUST_200600_302600_NS4plusIsEEEEZZNS1_33reduce_by_key_impl_wrapped_configILNS1_25lookback_scan_determinismE0ES3_S9_NS6_6detail15normal_iteratorINS6_10device_ptrIsEEEESG_SG_SG_PmS8_22is_equal_div_10_reduceIsEEE10hipError_tPvRmT2_T3_mT4_T5_T6_T7_T8_P12ihipStream_tbENKUlT_T0_E_clISt17integral_constantIbLb1EES10_IbLb0EEEEDaSW_SX_EUlSW_E_NS1_11comp_targetILNS1_3genE5ELNS1_11target_archE942ELNS1_3gpuE9ELNS1_3repE0EEENS1_30default_config_static_selectorELNS0_4arch9wavefront6targetE1EEEvT1_,"axG",@progbits,_ZN7rocprim17ROCPRIM_400000_NS6detail17trampoline_kernelINS0_14default_configENS1_29reduce_by_key_config_selectorIssN6thrust23THRUST_200600_302600_NS4plusIsEEEEZZNS1_33reduce_by_key_impl_wrapped_configILNS1_25lookback_scan_determinismE0ES3_S9_NS6_6detail15normal_iteratorINS6_10device_ptrIsEEEESG_SG_SG_PmS8_22is_equal_div_10_reduceIsEEE10hipError_tPvRmT2_T3_mT4_T5_T6_T7_T8_P12ihipStream_tbENKUlT_T0_E_clISt17integral_constantIbLb1EES10_IbLb0EEEEDaSW_SX_EUlSW_E_NS1_11comp_targetILNS1_3genE5ELNS1_11target_archE942ELNS1_3gpuE9ELNS1_3repE0EEENS1_30default_config_static_selectorELNS0_4arch9wavefront6targetE1EEEvT1_,comdat
	.protected	_ZN7rocprim17ROCPRIM_400000_NS6detail17trampoline_kernelINS0_14default_configENS1_29reduce_by_key_config_selectorIssN6thrust23THRUST_200600_302600_NS4plusIsEEEEZZNS1_33reduce_by_key_impl_wrapped_configILNS1_25lookback_scan_determinismE0ES3_S9_NS6_6detail15normal_iteratorINS6_10device_ptrIsEEEESG_SG_SG_PmS8_22is_equal_div_10_reduceIsEEE10hipError_tPvRmT2_T3_mT4_T5_T6_T7_T8_P12ihipStream_tbENKUlT_T0_E_clISt17integral_constantIbLb1EES10_IbLb0EEEEDaSW_SX_EUlSW_E_NS1_11comp_targetILNS1_3genE5ELNS1_11target_archE942ELNS1_3gpuE9ELNS1_3repE0EEENS1_30default_config_static_selectorELNS0_4arch9wavefront6targetE1EEEvT1_ ; -- Begin function _ZN7rocprim17ROCPRIM_400000_NS6detail17trampoline_kernelINS0_14default_configENS1_29reduce_by_key_config_selectorIssN6thrust23THRUST_200600_302600_NS4plusIsEEEEZZNS1_33reduce_by_key_impl_wrapped_configILNS1_25lookback_scan_determinismE0ES3_S9_NS6_6detail15normal_iteratorINS6_10device_ptrIsEEEESG_SG_SG_PmS8_22is_equal_div_10_reduceIsEEE10hipError_tPvRmT2_T3_mT4_T5_T6_T7_T8_P12ihipStream_tbENKUlT_T0_E_clISt17integral_constantIbLb1EES10_IbLb0EEEEDaSW_SX_EUlSW_E_NS1_11comp_targetILNS1_3genE5ELNS1_11target_archE942ELNS1_3gpuE9ELNS1_3repE0EEENS1_30default_config_static_selectorELNS0_4arch9wavefront6targetE1EEEvT1_
	.globl	_ZN7rocprim17ROCPRIM_400000_NS6detail17trampoline_kernelINS0_14default_configENS1_29reduce_by_key_config_selectorIssN6thrust23THRUST_200600_302600_NS4plusIsEEEEZZNS1_33reduce_by_key_impl_wrapped_configILNS1_25lookback_scan_determinismE0ES3_S9_NS6_6detail15normal_iteratorINS6_10device_ptrIsEEEESG_SG_SG_PmS8_22is_equal_div_10_reduceIsEEE10hipError_tPvRmT2_T3_mT4_T5_T6_T7_T8_P12ihipStream_tbENKUlT_T0_E_clISt17integral_constantIbLb1EES10_IbLb0EEEEDaSW_SX_EUlSW_E_NS1_11comp_targetILNS1_3genE5ELNS1_11target_archE942ELNS1_3gpuE9ELNS1_3repE0EEENS1_30default_config_static_selectorELNS0_4arch9wavefront6targetE1EEEvT1_
	.p2align	8
	.type	_ZN7rocprim17ROCPRIM_400000_NS6detail17trampoline_kernelINS0_14default_configENS1_29reduce_by_key_config_selectorIssN6thrust23THRUST_200600_302600_NS4plusIsEEEEZZNS1_33reduce_by_key_impl_wrapped_configILNS1_25lookback_scan_determinismE0ES3_S9_NS6_6detail15normal_iteratorINS6_10device_ptrIsEEEESG_SG_SG_PmS8_22is_equal_div_10_reduceIsEEE10hipError_tPvRmT2_T3_mT4_T5_T6_T7_T8_P12ihipStream_tbENKUlT_T0_E_clISt17integral_constantIbLb1EES10_IbLb0EEEEDaSW_SX_EUlSW_E_NS1_11comp_targetILNS1_3genE5ELNS1_11target_archE942ELNS1_3gpuE9ELNS1_3repE0EEENS1_30default_config_static_selectorELNS0_4arch9wavefront6targetE1EEEvT1_,@function
_ZN7rocprim17ROCPRIM_400000_NS6detail17trampoline_kernelINS0_14default_configENS1_29reduce_by_key_config_selectorIssN6thrust23THRUST_200600_302600_NS4plusIsEEEEZZNS1_33reduce_by_key_impl_wrapped_configILNS1_25lookback_scan_determinismE0ES3_S9_NS6_6detail15normal_iteratorINS6_10device_ptrIsEEEESG_SG_SG_PmS8_22is_equal_div_10_reduceIsEEE10hipError_tPvRmT2_T3_mT4_T5_T6_T7_T8_P12ihipStream_tbENKUlT_T0_E_clISt17integral_constantIbLb1EES10_IbLb0EEEEDaSW_SX_EUlSW_E_NS1_11comp_targetILNS1_3genE5ELNS1_11target_archE942ELNS1_3gpuE9ELNS1_3repE0EEENS1_30default_config_static_selectorELNS0_4arch9wavefront6targetE1EEEvT1_: ; @_ZN7rocprim17ROCPRIM_400000_NS6detail17trampoline_kernelINS0_14default_configENS1_29reduce_by_key_config_selectorIssN6thrust23THRUST_200600_302600_NS4plusIsEEEEZZNS1_33reduce_by_key_impl_wrapped_configILNS1_25lookback_scan_determinismE0ES3_S9_NS6_6detail15normal_iteratorINS6_10device_ptrIsEEEESG_SG_SG_PmS8_22is_equal_div_10_reduceIsEEE10hipError_tPvRmT2_T3_mT4_T5_T6_T7_T8_P12ihipStream_tbENKUlT_T0_E_clISt17integral_constantIbLb1EES10_IbLb0EEEEDaSW_SX_EUlSW_E_NS1_11comp_targetILNS1_3genE5ELNS1_11target_archE942ELNS1_3gpuE9ELNS1_3repE0EEENS1_30default_config_static_selectorELNS0_4arch9wavefront6targetE1EEEvT1_
; %bb.0:
	.section	.rodata,"a",@progbits
	.p2align	6, 0x0
	.amdhsa_kernel _ZN7rocprim17ROCPRIM_400000_NS6detail17trampoline_kernelINS0_14default_configENS1_29reduce_by_key_config_selectorIssN6thrust23THRUST_200600_302600_NS4plusIsEEEEZZNS1_33reduce_by_key_impl_wrapped_configILNS1_25lookback_scan_determinismE0ES3_S9_NS6_6detail15normal_iteratorINS6_10device_ptrIsEEEESG_SG_SG_PmS8_22is_equal_div_10_reduceIsEEE10hipError_tPvRmT2_T3_mT4_T5_T6_T7_T8_P12ihipStream_tbENKUlT_T0_E_clISt17integral_constantIbLb1EES10_IbLb0EEEEDaSW_SX_EUlSW_E_NS1_11comp_targetILNS1_3genE5ELNS1_11target_archE942ELNS1_3gpuE9ELNS1_3repE0EEENS1_30default_config_static_selectorELNS0_4arch9wavefront6targetE1EEEvT1_
		.amdhsa_group_segment_fixed_size 0
		.amdhsa_private_segment_fixed_size 0
		.amdhsa_kernarg_size 120
		.amdhsa_user_sgpr_count 6
		.amdhsa_user_sgpr_private_segment_buffer 1
		.amdhsa_user_sgpr_dispatch_ptr 0
		.amdhsa_user_sgpr_queue_ptr 0
		.amdhsa_user_sgpr_kernarg_segment_ptr 1
		.amdhsa_user_sgpr_dispatch_id 0
		.amdhsa_user_sgpr_flat_scratch_init 0
		.amdhsa_user_sgpr_kernarg_preload_length 0
		.amdhsa_user_sgpr_kernarg_preload_offset 0
		.amdhsa_user_sgpr_private_segment_size 0
		.amdhsa_uses_dynamic_stack 0
		.amdhsa_system_sgpr_private_segment_wavefront_offset 0
		.amdhsa_system_sgpr_workgroup_id_x 1
		.amdhsa_system_sgpr_workgroup_id_y 0
		.amdhsa_system_sgpr_workgroup_id_z 0
		.amdhsa_system_sgpr_workgroup_info 0
		.amdhsa_system_vgpr_workitem_id 0
		.amdhsa_next_free_vgpr 1
		.amdhsa_next_free_sgpr 0
		.amdhsa_accum_offset 4
		.amdhsa_reserve_vcc 0
		.amdhsa_reserve_flat_scratch 0
		.amdhsa_float_round_mode_32 0
		.amdhsa_float_round_mode_16_64 0
		.amdhsa_float_denorm_mode_32 3
		.amdhsa_float_denorm_mode_16_64 3
		.amdhsa_dx10_clamp 1
		.amdhsa_ieee_mode 1
		.amdhsa_fp16_overflow 0
		.amdhsa_tg_split 0
		.amdhsa_exception_fp_ieee_invalid_op 0
		.amdhsa_exception_fp_denorm_src 0
		.amdhsa_exception_fp_ieee_div_zero 0
		.amdhsa_exception_fp_ieee_overflow 0
		.amdhsa_exception_fp_ieee_underflow 0
		.amdhsa_exception_fp_ieee_inexact 0
		.amdhsa_exception_int_div_zero 0
	.end_amdhsa_kernel
	.section	.text._ZN7rocprim17ROCPRIM_400000_NS6detail17trampoline_kernelINS0_14default_configENS1_29reduce_by_key_config_selectorIssN6thrust23THRUST_200600_302600_NS4plusIsEEEEZZNS1_33reduce_by_key_impl_wrapped_configILNS1_25lookback_scan_determinismE0ES3_S9_NS6_6detail15normal_iteratorINS6_10device_ptrIsEEEESG_SG_SG_PmS8_22is_equal_div_10_reduceIsEEE10hipError_tPvRmT2_T3_mT4_T5_T6_T7_T8_P12ihipStream_tbENKUlT_T0_E_clISt17integral_constantIbLb1EES10_IbLb0EEEEDaSW_SX_EUlSW_E_NS1_11comp_targetILNS1_3genE5ELNS1_11target_archE942ELNS1_3gpuE9ELNS1_3repE0EEENS1_30default_config_static_selectorELNS0_4arch9wavefront6targetE1EEEvT1_,"axG",@progbits,_ZN7rocprim17ROCPRIM_400000_NS6detail17trampoline_kernelINS0_14default_configENS1_29reduce_by_key_config_selectorIssN6thrust23THRUST_200600_302600_NS4plusIsEEEEZZNS1_33reduce_by_key_impl_wrapped_configILNS1_25lookback_scan_determinismE0ES3_S9_NS6_6detail15normal_iteratorINS6_10device_ptrIsEEEESG_SG_SG_PmS8_22is_equal_div_10_reduceIsEEE10hipError_tPvRmT2_T3_mT4_T5_T6_T7_T8_P12ihipStream_tbENKUlT_T0_E_clISt17integral_constantIbLb1EES10_IbLb0EEEEDaSW_SX_EUlSW_E_NS1_11comp_targetILNS1_3genE5ELNS1_11target_archE942ELNS1_3gpuE9ELNS1_3repE0EEENS1_30default_config_static_selectorELNS0_4arch9wavefront6targetE1EEEvT1_,comdat
.Lfunc_end680:
	.size	_ZN7rocprim17ROCPRIM_400000_NS6detail17trampoline_kernelINS0_14default_configENS1_29reduce_by_key_config_selectorIssN6thrust23THRUST_200600_302600_NS4plusIsEEEEZZNS1_33reduce_by_key_impl_wrapped_configILNS1_25lookback_scan_determinismE0ES3_S9_NS6_6detail15normal_iteratorINS6_10device_ptrIsEEEESG_SG_SG_PmS8_22is_equal_div_10_reduceIsEEE10hipError_tPvRmT2_T3_mT4_T5_T6_T7_T8_P12ihipStream_tbENKUlT_T0_E_clISt17integral_constantIbLb1EES10_IbLb0EEEEDaSW_SX_EUlSW_E_NS1_11comp_targetILNS1_3genE5ELNS1_11target_archE942ELNS1_3gpuE9ELNS1_3repE0EEENS1_30default_config_static_selectorELNS0_4arch9wavefront6targetE1EEEvT1_, .Lfunc_end680-_ZN7rocprim17ROCPRIM_400000_NS6detail17trampoline_kernelINS0_14default_configENS1_29reduce_by_key_config_selectorIssN6thrust23THRUST_200600_302600_NS4plusIsEEEEZZNS1_33reduce_by_key_impl_wrapped_configILNS1_25lookback_scan_determinismE0ES3_S9_NS6_6detail15normal_iteratorINS6_10device_ptrIsEEEESG_SG_SG_PmS8_22is_equal_div_10_reduceIsEEE10hipError_tPvRmT2_T3_mT4_T5_T6_T7_T8_P12ihipStream_tbENKUlT_T0_E_clISt17integral_constantIbLb1EES10_IbLb0EEEEDaSW_SX_EUlSW_E_NS1_11comp_targetILNS1_3genE5ELNS1_11target_archE942ELNS1_3gpuE9ELNS1_3repE0EEENS1_30default_config_static_selectorELNS0_4arch9wavefront6targetE1EEEvT1_
                                        ; -- End function
	.section	.AMDGPU.csdata,"",@progbits
; Kernel info:
; codeLenInByte = 0
; NumSgprs: 4
; NumVgprs: 0
; NumAgprs: 0
; TotalNumVgprs: 0
; ScratchSize: 0
; MemoryBound: 0
; FloatMode: 240
; IeeeMode: 1
; LDSByteSize: 0 bytes/workgroup (compile time only)
; SGPRBlocks: 0
; VGPRBlocks: 0
; NumSGPRsForWavesPerEU: 4
; NumVGPRsForWavesPerEU: 1
; AccumOffset: 4
; Occupancy: 8
; WaveLimiterHint : 0
; COMPUTE_PGM_RSRC2:SCRATCH_EN: 0
; COMPUTE_PGM_RSRC2:USER_SGPR: 6
; COMPUTE_PGM_RSRC2:TRAP_HANDLER: 0
; COMPUTE_PGM_RSRC2:TGID_X_EN: 1
; COMPUTE_PGM_RSRC2:TGID_Y_EN: 0
; COMPUTE_PGM_RSRC2:TGID_Z_EN: 0
; COMPUTE_PGM_RSRC2:TIDIG_COMP_CNT: 0
; COMPUTE_PGM_RSRC3_GFX90A:ACCUM_OFFSET: 0
; COMPUTE_PGM_RSRC3_GFX90A:TG_SPLIT: 0
	.section	.text._ZN7rocprim17ROCPRIM_400000_NS6detail17trampoline_kernelINS0_14default_configENS1_29reduce_by_key_config_selectorIssN6thrust23THRUST_200600_302600_NS4plusIsEEEEZZNS1_33reduce_by_key_impl_wrapped_configILNS1_25lookback_scan_determinismE0ES3_S9_NS6_6detail15normal_iteratorINS6_10device_ptrIsEEEESG_SG_SG_PmS8_22is_equal_div_10_reduceIsEEE10hipError_tPvRmT2_T3_mT4_T5_T6_T7_T8_P12ihipStream_tbENKUlT_T0_E_clISt17integral_constantIbLb1EES10_IbLb0EEEEDaSW_SX_EUlSW_E_NS1_11comp_targetILNS1_3genE4ELNS1_11target_archE910ELNS1_3gpuE8ELNS1_3repE0EEENS1_30default_config_static_selectorELNS0_4arch9wavefront6targetE1EEEvT1_,"axG",@progbits,_ZN7rocprim17ROCPRIM_400000_NS6detail17trampoline_kernelINS0_14default_configENS1_29reduce_by_key_config_selectorIssN6thrust23THRUST_200600_302600_NS4plusIsEEEEZZNS1_33reduce_by_key_impl_wrapped_configILNS1_25lookback_scan_determinismE0ES3_S9_NS6_6detail15normal_iteratorINS6_10device_ptrIsEEEESG_SG_SG_PmS8_22is_equal_div_10_reduceIsEEE10hipError_tPvRmT2_T3_mT4_T5_T6_T7_T8_P12ihipStream_tbENKUlT_T0_E_clISt17integral_constantIbLb1EES10_IbLb0EEEEDaSW_SX_EUlSW_E_NS1_11comp_targetILNS1_3genE4ELNS1_11target_archE910ELNS1_3gpuE8ELNS1_3repE0EEENS1_30default_config_static_selectorELNS0_4arch9wavefront6targetE1EEEvT1_,comdat
	.protected	_ZN7rocprim17ROCPRIM_400000_NS6detail17trampoline_kernelINS0_14default_configENS1_29reduce_by_key_config_selectorIssN6thrust23THRUST_200600_302600_NS4plusIsEEEEZZNS1_33reduce_by_key_impl_wrapped_configILNS1_25lookback_scan_determinismE0ES3_S9_NS6_6detail15normal_iteratorINS6_10device_ptrIsEEEESG_SG_SG_PmS8_22is_equal_div_10_reduceIsEEE10hipError_tPvRmT2_T3_mT4_T5_T6_T7_T8_P12ihipStream_tbENKUlT_T0_E_clISt17integral_constantIbLb1EES10_IbLb0EEEEDaSW_SX_EUlSW_E_NS1_11comp_targetILNS1_3genE4ELNS1_11target_archE910ELNS1_3gpuE8ELNS1_3repE0EEENS1_30default_config_static_selectorELNS0_4arch9wavefront6targetE1EEEvT1_ ; -- Begin function _ZN7rocprim17ROCPRIM_400000_NS6detail17trampoline_kernelINS0_14default_configENS1_29reduce_by_key_config_selectorIssN6thrust23THRUST_200600_302600_NS4plusIsEEEEZZNS1_33reduce_by_key_impl_wrapped_configILNS1_25lookback_scan_determinismE0ES3_S9_NS6_6detail15normal_iteratorINS6_10device_ptrIsEEEESG_SG_SG_PmS8_22is_equal_div_10_reduceIsEEE10hipError_tPvRmT2_T3_mT4_T5_T6_T7_T8_P12ihipStream_tbENKUlT_T0_E_clISt17integral_constantIbLb1EES10_IbLb0EEEEDaSW_SX_EUlSW_E_NS1_11comp_targetILNS1_3genE4ELNS1_11target_archE910ELNS1_3gpuE8ELNS1_3repE0EEENS1_30default_config_static_selectorELNS0_4arch9wavefront6targetE1EEEvT1_
	.globl	_ZN7rocprim17ROCPRIM_400000_NS6detail17trampoline_kernelINS0_14default_configENS1_29reduce_by_key_config_selectorIssN6thrust23THRUST_200600_302600_NS4plusIsEEEEZZNS1_33reduce_by_key_impl_wrapped_configILNS1_25lookback_scan_determinismE0ES3_S9_NS6_6detail15normal_iteratorINS6_10device_ptrIsEEEESG_SG_SG_PmS8_22is_equal_div_10_reduceIsEEE10hipError_tPvRmT2_T3_mT4_T5_T6_T7_T8_P12ihipStream_tbENKUlT_T0_E_clISt17integral_constantIbLb1EES10_IbLb0EEEEDaSW_SX_EUlSW_E_NS1_11comp_targetILNS1_3genE4ELNS1_11target_archE910ELNS1_3gpuE8ELNS1_3repE0EEENS1_30default_config_static_selectorELNS0_4arch9wavefront6targetE1EEEvT1_
	.p2align	8
	.type	_ZN7rocprim17ROCPRIM_400000_NS6detail17trampoline_kernelINS0_14default_configENS1_29reduce_by_key_config_selectorIssN6thrust23THRUST_200600_302600_NS4plusIsEEEEZZNS1_33reduce_by_key_impl_wrapped_configILNS1_25lookback_scan_determinismE0ES3_S9_NS6_6detail15normal_iteratorINS6_10device_ptrIsEEEESG_SG_SG_PmS8_22is_equal_div_10_reduceIsEEE10hipError_tPvRmT2_T3_mT4_T5_T6_T7_T8_P12ihipStream_tbENKUlT_T0_E_clISt17integral_constantIbLb1EES10_IbLb0EEEEDaSW_SX_EUlSW_E_NS1_11comp_targetILNS1_3genE4ELNS1_11target_archE910ELNS1_3gpuE8ELNS1_3repE0EEENS1_30default_config_static_selectorELNS0_4arch9wavefront6targetE1EEEvT1_,@function
_ZN7rocprim17ROCPRIM_400000_NS6detail17trampoline_kernelINS0_14default_configENS1_29reduce_by_key_config_selectorIssN6thrust23THRUST_200600_302600_NS4plusIsEEEEZZNS1_33reduce_by_key_impl_wrapped_configILNS1_25lookback_scan_determinismE0ES3_S9_NS6_6detail15normal_iteratorINS6_10device_ptrIsEEEESG_SG_SG_PmS8_22is_equal_div_10_reduceIsEEE10hipError_tPvRmT2_T3_mT4_T5_T6_T7_T8_P12ihipStream_tbENKUlT_T0_E_clISt17integral_constantIbLb1EES10_IbLb0EEEEDaSW_SX_EUlSW_E_NS1_11comp_targetILNS1_3genE4ELNS1_11target_archE910ELNS1_3gpuE8ELNS1_3repE0EEENS1_30default_config_static_selectorELNS0_4arch9wavefront6targetE1EEEvT1_: ; @_ZN7rocprim17ROCPRIM_400000_NS6detail17trampoline_kernelINS0_14default_configENS1_29reduce_by_key_config_selectorIssN6thrust23THRUST_200600_302600_NS4plusIsEEEEZZNS1_33reduce_by_key_impl_wrapped_configILNS1_25lookback_scan_determinismE0ES3_S9_NS6_6detail15normal_iteratorINS6_10device_ptrIsEEEESG_SG_SG_PmS8_22is_equal_div_10_reduceIsEEE10hipError_tPvRmT2_T3_mT4_T5_T6_T7_T8_P12ihipStream_tbENKUlT_T0_E_clISt17integral_constantIbLb1EES10_IbLb0EEEEDaSW_SX_EUlSW_E_NS1_11comp_targetILNS1_3genE4ELNS1_11target_archE910ELNS1_3gpuE8ELNS1_3repE0EEENS1_30default_config_static_selectorELNS0_4arch9wavefront6targetE1EEEvT1_
; %bb.0:
	s_load_dwordx8 s[36:43], s[4:5], 0x0
	s_load_dwordx4 s[52:55], s[4:5], 0x20
	s_load_dwordx8 s[44:51], s[4:5], 0x38
	s_load_dwordx2 s[60:61], s[4:5], 0x68
	s_load_dwordx4 s[56:59], s[4:5], 0x58
	s_waitcnt lgkmcnt(0)
	s_lshl_b64 s[0:1], s[38:39], 1
	s_add_u32 s2, s36, s0
	s_addc_u32 s3, s37, s1
	s_add_u32 s4, s40, s0
	s_addc_u32 s5, s41, s1
	s_mul_i32 s0, s48, s47
	s_mul_hi_u32 s1, s48, s46
	s_add_i32 s0, s1, s0
	s_mul_i32 s1, s49, s46
	s_add_i32 s8, s0, s1
	s_mul_i32 s0, s6, 0xf00
	s_mov_b32 s1, 0
	s_lshl_b64 s[0:1], s[0:1], 1
	s_add_u32 s7, s2, s0
	s_mul_i32 s9, s48, s46
	s_addc_u32 s48, s3, s1
	s_add_u32 s49, s4, s0
	s_addc_u32 s62, s5, s1
	s_add_u32 s38, s9, s6
	s_addc_u32 s39, s8, 0
	s_add_u32 s2, s50, -1
	s_addc_u32 s3, s51, -1
	s_cmp_eq_u64 s[38:39], s[2:3]
	s_cselect_b64 s[34:35], -1, 0
	s_cmp_lg_u64 s[38:39], s[2:3]
	s_mov_b64 s[0:1], -1
	s_cselect_b64 s[40:41], -1, 0
	s_mul_i32 s33, s2, 0xfffff100
	s_and_b64 vcc, exec, s[34:35]
	s_cbranch_vccnz .LBB681_2
; %bb.1:
	v_lshlrev_b32_e32 v7, 1, v0
	v_mov_b32_e32 v1, s48
	v_add_co_u32_e32 v2, vcc, s7, v7
	v_addc_co_u32_e32 v3, vcc, 0, v1, vcc
	flat_load_ushort v1, v[2:3]
	flat_load_ushort v4, v[2:3] offset:512
	flat_load_ushort v5, v[2:3] offset:1024
	;; [unrolled: 1-line block ×7, first 2 shown]
	v_add_co_u32_e32 v2, vcc, 0x1000, v2
	v_addc_co_u32_e32 v3, vcc, 0, v3, vcc
	flat_load_ushort v17, v[2:3]
	flat_load_ushort v18, v[2:3] offset:512
	flat_load_ushort v19, v[2:3] offset:1024
	;; [unrolled: 1-line block ×6, first 2 shown]
	v_mov_b32_e32 v2, s62
	v_add_co_u32_e32 v8, vcc, s49, v7
	s_movk_i32 s0, 0x1000
	v_addc_co_u32_e32 v9, vcc, 0, v2, vcc
	v_mad_u32_u24 v6, v0, 28, v7
	v_add_co_u32_e32 v10, vcc, s0, v8
	v_addc_co_u32_e32 v11, vcc, 0, v9, vcc
	s_waitcnt vmcnt(0) lgkmcnt(0)
	ds_write_b16 v7, v1
	ds_write_b16 v7, v4 offset:512
	ds_write_b16 v7, v5 offset:1024
	;; [unrolled: 1-line block ×14, first 2 shown]
	s_waitcnt lgkmcnt(0)
	s_barrier
	ds_read_u16 v1, v6
	ds_read_b128 v[2:5], v6 offset:2
	ds_read_b96 v[14:16], v6 offset:18
	s_waitcnt lgkmcnt(0)
	s_barrier
	flat_load_ushort v12, v[8:9]
	flat_load_ushort v13, v[8:9] offset:512
	flat_load_ushort v17, v[8:9] offset:1024
	;; [unrolled: 1-line block ×7, first 2 shown]
	flat_load_ushort v23, v[10:11]
	flat_load_ushort v24, v[10:11] offset:512
	flat_load_ushort v25, v[10:11] offset:1024
	;; [unrolled: 1-line block ×6, first 2 shown]
	v_mul_u32_u24_e32 v9, 15, v0
	s_waitcnt vmcnt(0) lgkmcnt(0)
	ds_write_b16 v7, v12
	ds_write_b16 v7, v13 offset:512
	ds_write_b16 v7, v17 offset:1024
	;; [unrolled: 1-line block ×14, first 2 shown]
	s_waitcnt lgkmcnt(0)
	s_barrier
	s_add_i32 s33, s33, s56
	s_cbranch_execz .LBB681_3
	s_branch .LBB681_50
.LBB681_2:
                                        ; implicit-def: $vgpr2
                                        ; implicit-def: $vgpr14
                                        ; implicit-def: $vgpr9
                                        ; implicit-def: $vgpr6
                                        ; implicit-def: $vgpr1
	s_andn2_b64 vcc, exec, s[0:1]
	s_add_i32 s33, s33, s56
	s_cbranch_vccnz .LBB681_50
.LBB681_3:
	v_cmp_gt_u32_e32 vcc, s33, v0
                                        ; implicit-def: $vgpr1
	s_and_saveexec_b64 s[2:3], vcc
	s_cbranch_execz .LBB681_5
; %bb.4:
	v_lshlrev_b32_e32 v1, 1, v0
	v_mov_b32_e32 v3, s48
	v_add_co_u32_e64 v2, s[0:1], s7, v1
	v_addc_co_u32_e64 v3, s[0:1], 0, v3, s[0:1]
	flat_load_ushort v1, v[2:3]
.LBB681_5:
	s_or_b64 exec, exec, s[2:3]
	v_or_b32_e32 v2, 0x100, v0
	v_cmp_gt_u32_e64 s[0:1], s33, v2
                                        ; implicit-def: $vgpr2
	s_and_saveexec_b64 s[4:5], s[0:1]
	s_cbranch_execz .LBB681_7
; %bb.6:
	v_lshlrev_b32_e32 v2, 1, v0
	v_mov_b32_e32 v3, s48
	v_add_co_u32_e64 v2, s[2:3], s7, v2
	v_addc_co_u32_e64 v3, s[2:3], 0, v3, s[2:3]
	flat_load_ushort v2, v[2:3] offset:512
.LBB681_7:
	s_or_b64 exec, exec, s[4:5]
	v_or_b32_e32 v3, 0x200, v0
	v_cmp_gt_u32_e64 s[2:3], s33, v3
                                        ; implicit-def: $vgpr3
	s_and_saveexec_b64 s[8:9], s[2:3]
	s_cbranch_execz .LBB681_9
; %bb.8:
	v_lshlrev_b32_e32 v3, 1, v0
	v_mov_b32_e32 v5, s48
	v_add_co_u32_e64 v4, s[4:5], s7, v3
	v_addc_co_u32_e64 v5, s[4:5], 0, v5, s[4:5]
	flat_load_ushort v3, v[4:5] offset:1024
.LBB681_9:
	s_or_b64 exec, exec, s[8:9]
	v_or_b32_e32 v4, 0x300, v0
	v_cmp_gt_u32_e64 s[4:5], s33, v4
                                        ; implicit-def: $vgpr4
	s_and_saveexec_b64 s[10:11], s[4:5]
	s_cbranch_execz .LBB681_11
; %bb.10:
	v_lshlrev_b32_e32 v4, 1, v0
	v_mov_b32_e32 v5, s48
	v_add_co_u32_e64 v4, s[8:9], s7, v4
	v_addc_co_u32_e64 v5, s[8:9], 0, v5, s[8:9]
	flat_load_ushort v4, v[4:5] offset:1536
.LBB681_11:
	s_or_b64 exec, exec, s[10:11]
	v_or_b32_e32 v5, 0x400, v0
	v_cmp_gt_u32_e64 s[28:29], s33, v5
                                        ; implicit-def: $vgpr5
	s_and_saveexec_b64 s[10:11], s[28:29]
	s_cbranch_execz .LBB681_13
; %bb.12:
	v_lshlrev_b32_e32 v5, 1, v0
	v_mov_b32_e32 v7, s48
	v_add_co_u32_e64 v6, s[8:9], s7, v5
	v_addc_co_u32_e64 v7, s[8:9], 0, v7, s[8:9]
	flat_load_ushort v5, v[6:7] offset:2048
.LBB681_13:
	s_or_b64 exec, exec, s[10:11]
	v_or_b32_e32 v6, 0x500, v0
	v_cmp_gt_u32_e64 s[8:9], s33, v6
                                        ; implicit-def: $vgpr6
	s_and_saveexec_b64 s[12:13], s[8:9]
	s_cbranch_execz .LBB681_15
; %bb.14:
	v_lshlrev_b32_e32 v6, 1, v0
	v_mov_b32_e32 v7, s48
	v_add_co_u32_e64 v6, s[10:11], s7, v6
	v_addc_co_u32_e64 v7, s[10:11], 0, v7, s[10:11]
	flat_load_ushort v6, v[6:7] offset:2560
.LBB681_15:
	s_or_b64 exec, exec, s[12:13]
	v_or_b32_e32 v7, 0x600, v0
	v_cmp_gt_u32_e64 s[10:11], s33, v7
                                        ; implicit-def: $vgpr14
	s_and_saveexec_b64 s[14:15], s[10:11]
	s_cbranch_execz .LBB681_17
; %bb.16:
	v_lshlrev_b32_e32 v7, 1, v0
	v_mov_b32_e32 v9, s48
	v_add_co_u32_e64 v8, s[12:13], s7, v7
	v_addc_co_u32_e64 v9, s[12:13], 0, v9, s[12:13]
	flat_load_ushort v14, v[8:9] offset:3072
.LBB681_17:
	s_or_b64 exec, exec, s[14:15]
	v_or_b32_e32 v7, 0x700, v0
	v_cmp_gt_u32_e64 s[12:13], s33, v7
                                        ; implicit-def: $vgpr15
	s_and_saveexec_b64 s[16:17], s[12:13]
	s_cbranch_execz .LBB681_19
; %bb.18:
	v_lshlrev_b32_e32 v7, 1, v0
	v_mov_b32_e32 v9, s48
	v_add_co_u32_e64 v8, s[14:15], s7, v7
	v_addc_co_u32_e64 v9, s[14:15], 0, v9, s[14:15]
	flat_load_ushort v15, v[8:9] offset:3584
.LBB681_19:
	s_or_b64 exec, exec, s[16:17]
	v_or_b32_e32 v8, 0x800, v0
	v_cmp_gt_u32_e64 s[14:15], s33, v8
                                        ; implicit-def: $vgpr16
	s_and_saveexec_b64 s[18:19], s[14:15]
	s_cbranch_execz .LBB681_21
; %bb.20:
	v_lshlrev_b32_e32 v7, 1, v8
	v_mov_b32_e32 v9, s48
	v_add_co_u32_e64 v10, s[16:17], s7, v7
	v_addc_co_u32_e64 v11, s[16:17], 0, v9, s[16:17]
	flat_load_ushort v16, v[10:11]
.LBB681_21:
	s_or_b64 exec, exec, s[18:19]
	v_or_b32_e32 v9, 0x900, v0
	v_cmp_gt_u32_e64 s[16:17], s33, v9
                                        ; implicit-def: $vgpr18
	s_and_saveexec_b64 s[20:21], s[16:17]
	s_cbranch_execz .LBB681_23
; %bb.22:
	v_lshlrev_b32_e32 v7, 1, v9
	v_mov_b32_e32 v11, s48
	v_add_co_u32_e64 v10, s[18:19], s7, v7
	v_addc_co_u32_e64 v11, s[18:19], 0, v11, s[18:19]
	flat_load_ushort v18, v[10:11]
.LBB681_23:
	s_or_b64 exec, exec, s[20:21]
	v_or_b32_e32 v10, 0xa00, v0
	v_cmp_gt_u32_e64 s[18:19], s33, v10
                                        ; implicit-def: $vgpr19
	s_and_saveexec_b64 s[22:23], s[18:19]
	s_cbranch_execz .LBB681_25
; %bb.24:
	v_lshlrev_b32_e32 v7, 1, v10
	v_mov_b32_e32 v11, s48
	v_add_co_u32_e64 v12, s[20:21], s7, v7
	v_addc_co_u32_e64 v13, s[20:21], 0, v11, s[20:21]
	flat_load_ushort v19, v[12:13]
.LBB681_25:
	s_or_b64 exec, exec, s[22:23]
	v_or_b32_e32 v11, 0xb00, v0
	v_cmp_gt_u32_e64 s[20:21], s33, v11
                                        ; implicit-def: $vgpr20
	s_and_saveexec_b64 s[24:25], s[20:21]
	s_cbranch_execz .LBB681_27
; %bb.26:
	v_lshlrev_b32_e32 v7, 1, v11
	v_mov_b32_e32 v13, s48
	v_add_co_u32_e64 v12, s[22:23], s7, v7
	v_addc_co_u32_e64 v13, s[22:23], 0, v13, s[22:23]
	flat_load_ushort v20, v[12:13]
.LBB681_27:
	s_or_b64 exec, exec, s[24:25]
	v_or_b32_e32 v12, 0xc00, v0
	v_cmp_gt_u32_e64 s[22:23], s33, v12
                                        ; implicit-def: $vgpr21
	s_and_saveexec_b64 s[26:27], s[22:23]
	s_cbranch_execz .LBB681_29
; %bb.28:
	v_lshlrev_b32_e32 v7, 1, v12
	v_mov_b32_e32 v13, s48
	v_add_co_u32_e64 v22, s[24:25], s7, v7
	v_addc_co_u32_e64 v23, s[24:25], 0, v13, s[24:25]
	flat_load_ushort v21, v[22:23]
.LBB681_29:
	s_or_b64 exec, exec, s[26:27]
	v_or_b32_e32 v13, 0xd00, v0
	v_cmp_gt_u32_e64 s[24:25], s33, v13
                                        ; implicit-def: $vgpr22
	s_and_saveexec_b64 s[30:31], s[24:25]
	s_cbranch_execz .LBB681_31
; %bb.30:
	v_lshlrev_b32_e32 v7, 1, v13
	v_mov_b32_e32 v17, s48
	v_add_co_u32_e64 v22, s[26:27], s7, v7
	v_addc_co_u32_e64 v23, s[26:27], 0, v17, s[26:27]
	flat_load_ushort v22, v[22:23]
.LBB681_31:
	s_or_b64 exec, exec, s[30:31]
	v_or_b32_e32 v17, 0xe00, v0
	v_cmp_gt_u32_e64 s[26:27], s33, v17
                                        ; implicit-def: $vgpr23
	s_and_saveexec_b64 s[36:37], s[26:27]
	s_cbranch_execz .LBB681_33
; %bb.32:
	v_lshlrev_b32_e32 v7, 1, v17
	v_mov_b32_e32 v23, s48
	v_add_co_u32_e64 v24, s[30:31], s7, v7
	v_addc_co_u32_e64 v25, s[30:31], 0, v23, s[30:31]
	flat_load_ushort v23, v[24:25]
.LBB681_33:
	s_or_b64 exec, exec, s[36:37]
	v_lshlrev_b32_e32 v7, 1, v0
	s_waitcnt vmcnt(0) lgkmcnt(0)
	ds_write_b16 v7, v1
	ds_write_b16 v7, v2 offset:512
	ds_write_b16 v7, v3 offset:1024
	;; [unrolled: 1-line block ×14, first 2 shown]
	v_mad_u32_u24 v6, v0, 28, v7
	s_waitcnt lgkmcnt(0)
	s_barrier
	ds_read_u16 v1, v6
	ds_read_b128 v[2:5], v6 offset:2
	ds_read_b96 v[14:16], v6 offset:18
	s_waitcnt lgkmcnt(0)
	s_barrier
	s_waitcnt lgkmcnt(0)
                                        ; implicit-def: $vgpr18
	s_and_saveexec_b64 s[30:31], vcc
	s_cbranch_execnz .LBB681_57
; %bb.34:
	s_or_b64 exec, exec, s[30:31]
                                        ; implicit-def: $vgpr19
	s_and_saveexec_b64 s[30:31], s[0:1]
	s_cbranch_execnz .LBB681_58
.LBB681_35:
	s_or_b64 exec, exec, s[30:31]
                                        ; implicit-def: $vgpr20
	s_and_saveexec_b64 s[0:1], s[2:3]
	s_cbranch_execnz .LBB681_59
.LBB681_36:
	s_or_b64 exec, exec, s[0:1]
                                        ; implicit-def: $vgpr21
	s_and_saveexec_b64 s[0:1], s[4:5]
	s_cbranch_execnz .LBB681_60
.LBB681_37:
	s_or_b64 exec, exec, s[0:1]
                                        ; implicit-def: $vgpr22
	s_and_saveexec_b64 s[0:1], s[28:29]
	s_cbranch_execnz .LBB681_61
.LBB681_38:
	s_or_b64 exec, exec, s[0:1]
                                        ; implicit-def: $vgpr23
	s_and_saveexec_b64 s[0:1], s[8:9]
	s_cbranch_execnz .LBB681_62
.LBB681_39:
	s_or_b64 exec, exec, s[0:1]
                                        ; implicit-def: $vgpr24
	s_and_saveexec_b64 s[0:1], s[10:11]
	s_cbranch_execnz .LBB681_63
.LBB681_40:
	s_or_b64 exec, exec, s[0:1]
                                        ; implicit-def: $vgpr25
	s_and_saveexec_b64 s[0:1], s[12:13]
	s_cbranch_execnz .LBB681_64
.LBB681_41:
	s_or_b64 exec, exec, s[0:1]
                                        ; implicit-def: $vgpr26
	s_and_saveexec_b64 s[0:1], s[14:15]
	s_cbranch_execnz .LBB681_65
.LBB681_42:
	s_or_b64 exec, exec, s[0:1]
                                        ; implicit-def: $vgpr8
	s_and_saveexec_b64 s[0:1], s[16:17]
	s_cbranch_execnz .LBB681_66
.LBB681_43:
	s_or_b64 exec, exec, s[0:1]
                                        ; implicit-def: $vgpr27
	s_and_saveexec_b64 s[0:1], s[18:19]
	s_cbranch_execnz .LBB681_67
.LBB681_44:
	s_or_b64 exec, exec, s[0:1]
                                        ; implicit-def: $vgpr10
	s_and_saveexec_b64 s[0:1], s[20:21]
	s_cbranch_execnz .LBB681_68
.LBB681_45:
	s_or_b64 exec, exec, s[0:1]
                                        ; implicit-def: $vgpr11
	s_and_saveexec_b64 s[0:1], s[22:23]
	s_cbranch_execnz .LBB681_69
.LBB681_46:
	s_or_b64 exec, exec, s[0:1]
                                        ; implicit-def: $vgpr12
	s_and_saveexec_b64 s[0:1], s[24:25]
	s_cbranch_execnz .LBB681_70
.LBB681_47:
	s_or_b64 exec, exec, s[0:1]
                                        ; implicit-def: $vgpr13
	s_and_saveexec_b64 s[0:1], s[26:27]
	s_cbranch_execz .LBB681_49
.LBB681_48:
	v_lshlrev_b32_e32 v9, 1, v17
	v_mov_b32_e32 v13, s62
	v_add_co_u32_e32 v28, vcc, s49, v9
	v_addc_co_u32_e32 v29, vcc, 0, v13, vcc
	flat_load_ushort v13, v[28:29]
.LBB681_49:
	s_or_b64 exec, exec, s[0:1]
	v_mul_u32_u24_e32 v9, 15, v0
	s_waitcnt vmcnt(0) lgkmcnt(0)
	ds_write_b16 v7, v18
	ds_write_b16 v7, v19 offset:512
	ds_write_b16 v7, v20 offset:1024
	;; [unrolled: 1-line block ×14, first 2 shown]
	s_waitcnt lgkmcnt(0)
	s_barrier
.LBB681_50:
	v_lshlrev_b32_e32 v7, 1, v9
	ds_read_u16 v76, v6
	ds_read_u16 v75, v6 offset:2
	ds_read_u16 v73, v6 offset:6
	;; [unrolled: 1-line block ×14, first 2 shown]
	s_cmp_eq_u64 s[38:39], 0
	s_cselect_b64 s[36:37], -1, 0
	s_cmp_lg_u64 s[38:39], 0
	s_mov_b64 s[0:1], 0
	s_cselect_b64 s[30:31], -1, 0
	s_and_b64 vcc, exec, s[40:41]
	s_waitcnt lgkmcnt(0)
	s_barrier
	s_cbranch_vccz .LBB681_56
; %bb.51:
	s_and_b64 vcc, exec, s[30:31]
	s_cbranch_vccz .LBB681_71
; %bb.52:
	v_mov_b32_e32 v7, s48
	v_add_co_u32_e64 v6, vcc, -2, s7
	v_addc_co_u32_e32 v7, vcc, -1, v7, vcc
	flat_load_ushort v6, v[6:7]
	v_lshlrev_b32_e32 v7, 1, v0
	v_lshrrev_b32_e32 v8, 16, v16
	s_movk_i32 s49, 0x6667
	ds_write_b16 v7, v8
	v_mul_i32_i24_sdwa v8, sext(v16), s49 dst_sel:DWORD dst_unused:UNUSED_PAD src0_sel:WORD_0 src1_sel:DWORD
	v_lshrrev_b32_e32 v9, 31, v8
	v_ashrrev_i32_e32 v8, 18, v8
	v_add_u16_e32 v8, v8, v9
	v_mul_i32_i24_sdwa v9, sext(v16), s49 dst_sel:DWORD dst_unused:UNUSED_PAD src0_sel:WORD_1 src1_sel:DWORD
	v_lshrrev_b32_e32 v10, 31, v9
	v_ashrrev_i32_e32 v9, 18, v9
	v_add_u16_e32 v9, v9, v10
	v_cmp_ne_u16_e32 vcc, v8, v9
	v_mul_i32_i24_sdwa v9, sext(v15), s49 dst_sel:DWORD dst_unused:UNUSED_PAD src0_sel:WORD_1 src1_sel:DWORD
	v_lshrrev_b32_e32 v10, 31, v9
	v_ashrrev_i32_e32 v9, 18, v9
	v_add_u16_e32 v9, v9, v10
	v_cmp_ne_u16_e64 s[0:1], v9, v8
	v_mul_i32_i24_sdwa v8, sext(v15), s49 dst_sel:DWORD dst_unused:UNUSED_PAD src0_sel:WORD_0 src1_sel:DWORD
	v_lshrrev_b32_e32 v10, 31, v8
	v_ashrrev_i32_e32 v8, 18, v8
	v_add_u16_e32 v8, v8, v10
	v_cmp_ne_u16_e64 s[2:3], v8, v9
	v_mul_i32_i24_sdwa v9, sext(v14), s49 dst_sel:DWORD dst_unused:UNUSED_PAD src0_sel:WORD_1 src1_sel:DWORD
	v_lshrrev_b32_e32 v10, 31, v9
	v_ashrrev_i32_e32 v9, 18, v9
	v_add_u16_e32 v9, v9, v10
	v_cmp_ne_u16_e64 s[4:5], v9, v8
	v_mul_i32_i24_sdwa v8, sext(v14), s49 dst_sel:DWORD dst_unused:UNUSED_PAD src0_sel:WORD_0 src1_sel:DWORD
	v_lshrrev_b32_e32 v10, 31, v8
	v_ashrrev_i32_e32 v8, 18, v8
	v_add_u16_e32 v8, v8, v10
	v_cmp_ne_u16_e64 s[26:27], v8, v9
	;; [unrolled: 10-line block ×5, first 2 shown]
	v_mul_i32_i24_sdwa v9, sext(v2), s49 dst_sel:DWORD dst_unused:UNUSED_PAD src0_sel:WORD_1 src1_sel:DWORD
	v_lshrrev_b32_e32 v10, 31, v9
	v_ashrrev_i32_e32 v9, 18, v9
	v_add_u16_e32 v9, v9, v10
	v_cmp_ne_u16_e64 s[20:21], v9, v8
	v_mul_i32_i24_sdwa v8, sext(v2), s49 dst_sel:DWORD dst_unused:UNUSED_PAD src0_sel:WORD_0 src1_sel:DWORD
	v_lshrrev_b32_e32 v10, 31, v8
	v_ashrrev_i32_e32 v8, 18, v8
	v_add_u16_e32 v10, v8, v10
	v_mul_i32_i24_sdwa v8, sext(v1), s49 dst_sel:DWORD dst_unused:UNUSED_PAD src0_sel:WORD_0 src1_sel:DWORD
	v_cmp_ne_u16_e64 s[22:23], v10, v9
	v_lshrrev_b32_e32 v9, 31, v8
	v_ashrrev_i32_e32 v8, 18, v8
	v_add_u16_e32 v8, v8, v9
	v_cmp_ne_u16_e64 s[24:25], v8, v10
	v_cmp_ne_u32_e64 s[28:29], 0, v0
	s_waitcnt lgkmcnt(0)
	s_barrier
	s_and_saveexec_b64 s[40:41], s[28:29]
	s_cbranch_execz .LBB681_54
; %bb.53:
	s_waitcnt vmcnt(0)
	v_add_u32_e32 v6, -2, v7
	ds_read_u16 v6, v6
.LBB681_54:
	s_or_b64 exec, exec, s[40:41]
	s_waitcnt vmcnt(0) lgkmcnt(0)
	v_mul_i32_i24_sdwa v6, sext(v6), s49 dst_sel:DWORD dst_unused:UNUSED_PAD src0_sel:WORD_0 src1_sel:DWORD
	v_lshrrev_b32_e32 v7, 31, v6
	v_ashrrev_i32_e32 v6, 18, v6
	v_add_u16_e32 v6, v6, v7
	v_cndmask_b32_e64 v17, 0, 1, vcc
	v_cndmask_b32_e64 v19, 0, 1, s[0:1]
	v_cndmask_b32_e64 v18, 0, 1, s[2:3]
	;; [unrolled: 1-line block ×13, first 2 shown]
	v_cmp_ne_u16_e64 s[4:5], v6, v8
	s_mov_b64 s[0:1], -1
.LBB681_55:
                                        ; implicit-def: $sgpr8
	s_branch .LBB681_110
.LBB681_56:
                                        ; implicit-def: $sgpr4_sgpr5
                                        ; implicit-def: $vgpr17
                                        ; implicit-def: $vgpr19
                                        ; implicit-def: $vgpr18
                                        ; implicit-def: $vgpr21
                                        ; implicit-def: $vgpr20
                                        ; implicit-def: $vgpr23
                                        ; implicit-def: $vgpr22
                                        ; implicit-def: $vgpr25
                                        ; implicit-def: $vgpr24
                                        ; implicit-def: $vgpr27
                                        ; implicit-def: $vgpr26
                                        ; implicit-def: $vgpr29
                                        ; implicit-def: $vgpr28
                                        ; implicit-def: $vgpr31
                                        ; implicit-def: $sgpr8
	s_cbranch_execnz .LBB681_75
	s_branch .LBB681_110
.LBB681_57:
	v_mov_b32_e32 v19, s62
	v_add_co_u32_e32 v18, vcc, s49, v7
	v_addc_co_u32_e32 v19, vcc, 0, v19, vcc
	flat_load_ushort v18, v[18:19]
	s_or_b64 exec, exec, s[30:31]
                                        ; implicit-def: $vgpr19
	s_and_saveexec_b64 s[30:31], s[0:1]
	s_cbranch_execz .LBB681_35
.LBB681_58:
	v_mov_b32_e32 v19, s62
	v_add_co_u32_e32 v20, vcc, s49, v7
	v_addc_co_u32_e32 v21, vcc, 0, v19, vcc
	flat_load_ushort v19, v[20:21] offset:512
	s_or_b64 exec, exec, s[30:31]
                                        ; implicit-def: $vgpr20
	s_and_saveexec_b64 s[0:1], s[2:3]
	s_cbranch_execz .LBB681_36
.LBB681_59:
	v_mov_b32_e32 v21, s62
	v_add_co_u32_e32 v20, vcc, s49, v7
	v_addc_co_u32_e32 v21, vcc, 0, v21, vcc
	flat_load_ushort v20, v[20:21] offset:1024
	s_or_b64 exec, exec, s[0:1]
                                        ; implicit-def: $vgpr21
	s_and_saveexec_b64 s[0:1], s[4:5]
	s_cbranch_execz .LBB681_37
.LBB681_60:
	v_mov_b32_e32 v21, s62
	v_add_co_u32_e32 v22, vcc, s49, v7
	v_addc_co_u32_e32 v23, vcc, 0, v21, vcc
	flat_load_ushort v21, v[22:23] offset:1536
	s_or_b64 exec, exec, s[0:1]
                                        ; implicit-def: $vgpr22
	s_and_saveexec_b64 s[0:1], s[28:29]
	s_cbranch_execz .LBB681_38
.LBB681_61:
	v_mov_b32_e32 v23, s62
	v_add_co_u32_e32 v22, vcc, s49, v7
	v_addc_co_u32_e32 v23, vcc, 0, v23, vcc
	flat_load_ushort v22, v[22:23] offset:2048
	s_or_b64 exec, exec, s[0:1]
                                        ; implicit-def: $vgpr23
	s_and_saveexec_b64 s[0:1], s[8:9]
	s_cbranch_execz .LBB681_39
.LBB681_62:
	v_mov_b32_e32 v23, s62
	v_add_co_u32_e32 v24, vcc, s49, v7
	v_addc_co_u32_e32 v25, vcc, 0, v23, vcc
	flat_load_ushort v23, v[24:25] offset:2560
	s_or_b64 exec, exec, s[0:1]
                                        ; implicit-def: $vgpr24
	s_and_saveexec_b64 s[0:1], s[10:11]
	s_cbranch_execz .LBB681_40
.LBB681_63:
	v_mov_b32_e32 v25, s62
	v_add_co_u32_e32 v24, vcc, s49, v7
	v_addc_co_u32_e32 v25, vcc, 0, v25, vcc
	flat_load_ushort v24, v[24:25] offset:3072
	s_or_b64 exec, exec, s[0:1]
                                        ; implicit-def: $vgpr25
	s_and_saveexec_b64 s[0:1], s[12:13]
	s_cbranch_execz .LBB681_41
.LBB681_64:
	v_mov_b32_e32 v25, s62
	v_add_co_u32_e32 v26, vcc, s49, v7
	v_addc_co_u32_e32 v27, vcc, 0, v25, vcc
	flat_load_ushort v25, v[26:27] offset:3584
	s_or_b64 exec, exec, s[0:1]
                                        ; implicit-def: $vgpr26
	s_and_saveexec_b64 s[0:1], s[14:15]
	s_cbranch_execz .LBB681_42
.LBB681_65:
	v_lshlrev_b32_e32 v8, 1, v8
	v_mov_b32_e32 v27, s62
	v_add_co_u32_e32 v26, vcc, s49, v8
	v_addc_co_u32_e32 v27, vcc, 0, v27, vcc
	flat_load_ushort v26, v[26:27]
	s_or_b64 exec, exec, s[0:1]
                                        ; implicit-def: $vgpr8
	s_and_saveexec_b64 s[0:1], s[16:17]
	s_cbranch_execz .LBB681_43
.LBB681_66:
	v_lshlrev_b32_e32 v8, 1, v9
	v_mov_b32_e32 v9, s62
	v_add_co_u32_e32 v8, vcc, s49, v8
	v_addc_co_u32_e32 v9, vcc, 0, v9, vcc
	flat_load_ushort v8, v[8:9]
	s_or_b64 exec, exec, s[0:1]
                                        ; implicit-def: $vgpr27
	s_and_saveexec_b64 s[0:1], s[18:19]
	s_cbranch_execz .LBB681_44
.LBB681_67:
	v_lshlrev_b32_e32 v9, 1, v10
	v_mov_b32_e32 v10, s62
	v_add_co_u32_e32 v28, vcc, s49, v9
	v_addc_co_u32_e32 v29, vcc, 0, v10, vcc
	flat_load_ushort v27, v[28:29]
	s_or_b64 exec, exec, s[0:1]
                                        ; implicit-def: $vgpr10
	s_and_saveexec_b64 s[0:1], s[20:21]
	s_cbranch_execz .LBB681_45
.LBB681_68:
	v_lshlrev_b32_e32 v9, 1, v11
	v_mov_b32_e32 v11, s62
	v_add_co_u32_e32 v10, vcc, s49, v9
	v_addc_co_u32_e32 v11, vcc, 0, v11, vcc
	flat_load_ushort v10, v[10:11]
	s_or_b64 exec, exec, s[0:1]
                                        ; implicit-def: $vgpr11
	s_and_saveexec_b64 s[0:1], s[22:23]
	s_cbranch_execz .LBB681_46
.LBB681_69:
	v_lshlrev_b32_e32 v9, 1, v12
	v_mov_b32_e32 v11, s62
	v_add_co_u32_e32 v28, vcc, s49, v9
	v_addc_co_u32_e32 v29, vcc, 0, v11, vcc
	flat_load_ushort v11, v[28:29]
	s_or_b64 exec, exec, s[0:1]
                                        ; implicit-def: $vgpr12
	s_and_saveexec_b64 s[0:1], s[24:25]
	s_cbranch_execz .LBB681_47
.LBB681_70:
	v_lshlrev_b32_e32 v9, 1, v13
	v_mov_b32_e32 v13, s62
	v_add_co_u32_e32 v12, vcc, s49, v9
	v_addc_co_u32_e32 v13, vcc, 0, v13, vcc
	flat_load_ushort v12, v[12:13]
	s_or_b64 exec, exec, s[0:1]
                                        ; implicit-def: $vgpr13
	s_and_saveexec_b64 s[0:1], s[26:27]
	s_cbranch_execnz .LBB681_48
	s_branch .LBB681_49
.LBB681_71:
                                        ; implicit-def: $sgpr4_sgpr5
                                        ; implicit-def: $vgpr17
                                        ; implicit-def: $vgpr19
                                        ; implicit-def: $vgpr18
                                        ; implicit-def: $vgpr21
                                        ; implicit-def: $vgpr20
                                        ; implicit-def: $vgpr23
                                        ; implicit-def: $vgpr22
                                        ; implicit-def: $vgpr25
                                        ; implicit-def: $vgpr24
                                        ; implicit-def: $vgpr27
                                        ; implicit-def: $vgpr26
                                        ; implicit-def: $vgpr29
                                        ; implicit-def: $vgpr28
                                        ; implicit-def: $vgpr31
	s_cbranch_execz .LBB681_55
; %bb.72:
	v_lshlrev_b32_e32 v6, 1, v0
	v_lshrrev_b32_e32 v7, 16, v16
	s_movk_i32 s2, 0x6667
	ds_write_b16 v6, v7
	v_mul_i32_i24_sdwa v7, sext(v16), s2 dst_sel:DWORD dst_unused:UNUSED_PAD src0_sel:WORD_0 src1_sel:DWORD
	v_lshrrev_b32_e32 v8, 31, v7
	v_ashrrev_i32_e32 v7, 18, v7
	v_add_u16_e32 v7, v7, v8
	v_mul_i32_i24_sdwa v8, sext(v16), s2 dst_sel:DWORD dst_unused:UNUSED_PAD src0_sel:WORD_1 src1_sel:DWORD
	v_lshrrev_b32_e32 v9, 31, v8
	v_ashrrev_i32_e32 v8, 18, v8
	v_add_u16_e32 v8, v8, v9
	v_cmp_ne_u16_e32 vcc, v7, v8
	v_mul_i32_i24_sdwa v8, sext(v15), s2 dst_sel:DWORD dst_unused:UNUSED_PAD src0_sel:WORD_1 src1_sel:DWORD
	v_lshrrev_b32_e32 v9, 31, v8
	v_ashrrev_i32_e32 v8, 18, v8
	v_add_u16_e32 v8, v8, v9
	v_cndmask_b32_e64 v17, 0, 1, vcc
	v_cmp_ne_u16_e32 vcc, v8, v7
	v_mul_i32_i24_sdwa v7, sext(v15), s2 dst_sel:DWORD dst_unused:UNUSED_PAD src0_sel:WORD_0 src1_sel:DWORD
	v_lshrrev_b32_e32 v9, 31, v7
	v_ashrrev_i32_e32 v7, 18, v7
	v_add_u16_e32 v7, v7, v9
	v_cndmask_b32_e64 v19, 0, 1, vcc
	v_cmp_ne_u16_e32 vcc, v7, v8
	v_mul_i32_i24_sdwa v8, sext(v14), s2 dst_sel:DWORD dst_unused:UNUSED_PAD src0_sel:WORD_1 src1_sel:DWORD
	v_lshrrev_b32_e32 v9, 31, v8
	v_ashrrev_i32_e32 v8, 18, v8
	v_add_u16_e32 v8, v8, v9
	v_cndmask_b32_e64 v18, 0, 1, vcc
	v_cmp_ne_u16_e32 vcc, v8, v7
	v_mul_i32_i24_sdwa v7, sext(v14), s2 dst_sel:DWORD dst_unused:UNUSED_PAD src0_sel:WORD_0 src1_sel:DWORD
	v_lshrrev_b32_e32 v9, 31, v7
	v_ashrrev_i32_e32 v7, 18, v7
	v_add_u16_e32 v7, v7, v9
	v_cndmask_b32_e64 v21, 0, 1, vcc
	;; [unrolled: 12-line block ×5, first 2 shown]
	v_cmp_ne_u16_e32 vcc, v7, v8
	v_mul_i32_i24_sdwa v8, sext(v2), s2 dst_sel:DWORD dst_unused:UNUSED_PAD src0_sel:WORD_1 src1_sel:DWORD
	v_lshrrev_b32_e32 v9, 31, v8
	v_ashrrev_i32_e32 v8, 18, v8
	v_add_u16_e32 v8, v8, v9
	v_cndmask_b32_e64 v26, 0, 1, vcc
	v_cmp_ne_u16_e32 vcc, v8, v7
	v_mul_i32_i24_sdwa v7, sext(v2), s2 dst_sel:DWORD dst_unused:UNUSED_PAD src0_sel:WORD_0 src1_sel:DWORD
	v_lshrrev_b32_e32 v9, 31, v7
	v_ashrrev_i32_e32 v7, 18, v7
	v_add_u16_e32 v9, v7, v9
	v_mul_i32_i24_sdwa v7, sext(v1), s2 dst_sel:DWORD dst_unused:UNUSED_PAD src0_sel:WORD_0 src1_sel:DWORD
	v_cndmask_b32_e64 v29, 0, 1, vcc
	v_cmp_ne_u16_e32 vcc, v9, v8
	v_lshrrev_b32_e32 v8, 31, v7
	v_ashrrev_i32_e32 v7, 18, v7
	v_add_u16_e32 v7, v7, v8
	v_cndmask_b32_e64 v28, 0, 1, vcc
	v_cmp_ne_u16_e32 vcc, v7, v9
	s_mov_b32 s8, 1
	v_cndmask_b32_e64 v31, 0, 1, vcc
	v_cmp_ne_u32_e32 vcc, 0, v0
	s_waitcnt lgkmcnt(0)
	s_barrier
	s_waitcnt lgkmcnt(0)
                                        ; implicit-def: $sgpr4_sgpr5
	s_and_saveexec_b64 s[2:3], vcc
	s_xor_b64 s[2:3], exec, s[2:3]
	s_cbranch_execz .LBB681_74
; %bb.73:
	v_add_u32_e32 v6, -2, v6
	ds_read_i16 v6, v6
	s_or_b64 s[0:1], s[0:1], exec
	s_waitcnt lgkmcnt(0)
	v_mul_i32_i24_e32 v6, 0x6667, v6
	v_lshrrev_b32_e32 v8, 31, v6
	v_ashrrev_i32_e32 v6, 18, v6
	v_add_u16_e32 v6, v6, v8
	v_cmp_ne_u16_e32 vcc, v6, v7
	s_and_b64 s[4:5], vcc, exec
.LBB681_74:
	s_or_b64 exec, exec, s[2:3]
	s_branch .LBB681_110
.LBB681_75:
	s_mul_hi_u32 s3, s38, 0xfffff100
	s_mul_i32 s2, s39, 0xfffff100
	s_sub_i32 s3, s3, s38
	s_add_i32 s3, s3, s2
	s_mul_i32 s2, s38, 0xfffff100
	s_add_u32 s2, s2, s56
	s_addc_u32 s3, s3, s57
	s_and_b64 vcc, exec, s[30:31]
	s_cbranch_vccz .LBB681_219
; %bb.76:
	v_mov_b32_e32 v7, s48
	v_add_co_u32_e64 v6, vcc, -2, s7
	v_addc_co_u32_e32 v7, vcc, -1, v7, vcc
	flat_load_ushort v8, v[6:7]
	v_mad_u32_u24 v18, v0, 15, 14
	v_mov_b32_e32 v19, 0
	v_lshlrev_b32_e32 v7, 1, v0
	v_lshrrev_b32_e32 v9, 16, v16
	v_mul_u32_u24_e32 v6, 15, v0
	v_cmp_gt_u64_e32 vcc, s[2:3], v[18:19]
	v_mov_b32_e32 v17, 0
	ds_write_b16 v7, v9
	s_and_saveexec_b64 s[0:1], vcc
; %bb.77:
	s_movk_i32 s4, 0x6667
	v_mul_i32_i24_sdwa v10, sext(v16), s4 dst_sel:DWORD dst_unused:UNUSED_PAD src0_sel:WORD_0 src1_sel:DWORD
	v_lshrrev_b32_e32 v11, 31, v10
	v_ashrrev_i32_e32 v10, 18, v10
	v_mul_i32_i24_sdwa v9, sext(v9), s4 dst_sel:DWORD dst_unused:UNUSED_PAD src0_sel:WORD_0 src1_sel:DWORD
	v_add_u16_e32 v10, v10, v11
	v_lshrrev_b32_e32 v11, 31, v9
	v_ashrrev_i32_e32 v9, 18, v9
	v_add_u16_e32 v9, v9, v11
	v_cmp_ne_u16_e32 vcc, v10, v9
	v_cndmask_b32_e64 v17, 0, 1, vcc
; %bb.78:
	s_or_b64 exec, exec, s[0:1]
	v_add_u32_e32 v18, 13, v6
	v_cmp_gt_u64_e32 vcc, s[2:3], v[18:19]
	s_and_saveexec_b64 s[0:1], vcc
; %bb.79:
	s_movk_i32 s4, 0x6667
	v_mul_i32_i24_sdwa v9, sext(v15), s4 dst_sel:DWORD dst_unused:UNUSED_PAD src0_sel:WORD_1 src1_sel:DWORD
	v_lshrrev_b32_e32 v10, 31, v9
	v_ashrrev_i32_e32 v9, 18, v9
	v_add_u16_e32 v9, v9, v10
	v_mul_i32_i24_sdwa v10, sext(v16), s4 dst_sel:DWORD dst_unused:UNUSED_PAD src0_sel:WORD_0 src1_sel:DWORD
	v_lshrrev_b32_e32 v11, 31, v10
	v_ashrrev_i32_e32 v10, 18, v10
	v_add_u16_e32 v10, v10, v11
	v_cmp_ne_u16_e32 vcc, v9, v10
	v_cndmask_b32_e64 v19, 0, 1, vcc
; %bb.80:
	s_or_b64 exec, exec, s[0:1]
	v_add_u32_e32 v20, 12, v6
	v_mov_b32_e32 v21, 0
	v_cmp_gt_u64_e32 vcc, s[2:3], v[20:21]
	v_mov_b32_e32 v18, 0
	s_and_saveexec_b64 s[0:1], vcc
; %bb.81:
	s_movk_i32 s4, 0x6667
	v_mul_i32_i24_sdwa v9, sext(v15), s4 dst_sel:DWORD dst_unused:UNUSED_PAD src0_sel:WORD_0 src1_sel:DWORD
	v_lshrrev_b32_e32 v10, 31, v9
	v_ashrrev_i32_e32 v9, 18, v9
	v_add_u16_e32 v9, v9, v10
	v_mul_i32_i24_sdwa v10, sext(v15), s4 dst_sel:DWORD dst_unused:UNUSED_PAD src0_sel:WORD_1 src1_sel:DWORD
	v_lshrrev_b32_e32 v11, 31, v10
	v_ashrrev_i32_e32 v10, 18, v10
	v_add_u16_e32 v10, v10, v11
	v_cmp_ne_u16_e32 vcc, v9, v10
	v_cndmask_b32_e64 v18, 0, 1, vcc
; %bb.82:
	s_or_b64 exec, exec, s[0:1]
	v_add_u32_e32 v20, 11, v6
	v_cmp_gt_u64_e32 vcc, s[2:3], v[20:21]
	s_and_saveexec_b64 s[0:1], vcc
; %bb.83:
	s_movk_i32 s4, 0x6667
	v_mul_i32_i24_sdwa v9, sext(v14), s4 dst_sel:DWORD dst_unused:UNUSED_PAD src0_sel:WORD_1 src1_sel:DWORD
	v_lshrrev_b32_e32 v10, 31, v9
	v_ashrrev_i32_e32 v9, 18, v9
	v_add_u16_e32 v9, v9, v10
	v_mul_i32_i24_sdwa v10, sext(v15), s4 dst_sel:DWORD dst_unused:UNUSED_PAD src0_sel:WORD_0 src1_sel:DWORD
	v_lshrrev_b32_e32 v11, 31, v10
	v_ashrrev_i32_e32 v10, 18, v10
	v_add_u16_e32 v10, v10, v11
	v_cmp_ne_u16_e32 vcc, v9, v10
	v_cndmask_b32_e64 v21, 0, 1, vcc
; %bb.84:
	s_or_b64 exec, exec, s[0:1]
	v_add_u32_e32 v22, 10, v6
	v_mov_b32_e32 v23, 0
	v_cmp_gt_u64_e32 vcc, s[2:3], v[22:23]
	v_mov_b32_e32 v20, 0
	s_and_saveexec_b64 s[0:1], vcc
; %bb.85:
	s_movk_i32 s4, 0x6667
	v_mul_i32_i24_sdwa v9, sext(v14), s4 dst_sel:DWORD dst_unused:UNUSED_PAD src0_sel:WORD_0 src1_sel:DWORD
	v_lshrrev_b32_e32 v10, 31, v9
	v_ashrrev_i32_e32 v9, 18, v9
	v_add_u16_e32 v9, v9, v10
	v_mul_i32_i24_sdwa v10, sext(v14), s4 dst_sel:DWORD dst_unused:UNUSED_PAD src0_sel:WORD_1 src1_sel:DWORD
	;; [unrolled: 36-line block ×6, first 2 shown]
	v_lshrrev_b32_e32 v11, 31, v10
	v_ashrrev_i32_e32 v10, 18, v10
	v_add_u16_e32 v10, v10, v11
	v_cmp_ne_u16_e32 vcc, v9, v10
	v_cndmask_b32_e64 v28, 0, 1, vcc
; %bb.102:
	s_or_b64 exec, exec, s[0:1]
	v_add_u32_e32 v30, 1, v6
	v_cmp_gt_u64_e32 vcc, s[2:3], v[30:31]
	s_and_saveexec_b64 s[0:1], vcc
; %bb.103:
	s_movk_i32 s4, 0x6667
	v_mul_i32_i24_sdwa v9, sext(v1), s4 dst_sel:DWORD dst_unused:UNUSED_PAD src0_sel:WORD_0 src1_sel:DWORD
	v_lshrrev_b32_e32 v10, 31, v9
	v_ashrrev_i32_e32 v9, 18, v9
	v_add_u16_e32 v9, v9, v10
	v_mul_i32_i24_sdwa v10, sext(v2), s4 dst_sel:DWORD dst_unused:UNUSED_PAD src0_sel:WORD_0 src1_sel:DWORD
	v_lshrrev_b32_e32 v11, 31, v10
	v_ashrrev_i32_e32 v10, 18, v10
	v_add_u16_e32 v10, v10, v11
	v_cmp_ne_u16_e32 vcc, v9, v10
	v_cndmask_b32_e64 v31, 0, 1, vcc
; %bb.104:
	s_or_b64 exec, exec, s[0:1]
	v_cmp_ne_u32_e32 vcc, 0, v0
	s_waitcnt lgkmcnt(0)
	s_barrier
	s_and_saveexec_b64 s[0:1], vcc
	s_cbranch_execz .LBB681_106
; %bb.105:
	v_add_u32_e32 v7, -2, v7
	s_waitcnt vmcnt(0)
	ds_read_u16 v8, v7
.LBB681_106:
	s_or_b64 exec, exec, s[0:1]
	v_mov_b32_e32 v7, 0
	v_cmp_gt_u64_e32 vcc, s[2:3], v[6:7]
	s_mov_b64 s[8:9], 0
	s_mov_b64 s[4:5], 0
	s_and_saveexec_b64 s[0:1], vcc
	s_cbranch_execz .LBB681_108
; %bb.107:
	s_movk_i32 s4, 0x6667
	s_waitcnt vmcnt(0) lgkmcnt(0)
	v_mul_i32_i24_sdwa v6, sext(v8), s4 dst_sel:DWORD dst_unused:UNUSED_PAD src0_sel:WORD_0 src1_sel:DWORD
	v_lshrrev_b32_e32 v7, 31, v6
	v_ashrrev_i32_e32 v6, 18, v6
	v_add_u16_e32 v6, v6, v7
	v_mul_i32_i24_sdwa v7, sext(v1), s4 dst_sel:DWORD dst_unused:UNUSED_PAD src0_sel:WORD_0 src1_sel:DWORD
	v_lshrrev_b32_e32 v8, 31, v7
	v_ashrrev_i32_e32 v7, 18, v7
	v_add_u16_e32 v7, v7, v8
	v_cmp_ne_u16_e32 vcc, v6, v7
	s_and_b64 s[4:5], vcc, exec
.LBB681_108:
	s_or_b64 exec, exec, s[0:1]
	s_mov_b64 s[0:1], -1
	s_and_b64 vcc, exec, s[8:9]
	s_cbranch_vccnz .LBB681_220
.LBB681_109:
                                        ; implicit-def: $sgpr8
.LBB681_110:
	v_mov_b32_e32 v79, s8
	s_and_saveexec_b64 s[2:3], s[0:1]
.LBB681_111:
	v_cndmask_b32_e64 v79, 0, 1, s[4:5]
.LBB681_112:
	s_or_b64 exec, exec, s[2:3]
	s_cmp_eq_u64 s[46:47], 0
	v_add3_u32 v6, v31, v79, v28
	s_cselect_b64 s[30:31], -1, 0
	s_cmp_lg_u32 s6, 0
	v_cmp_eq_u32_e64 s[24:25], 0, v31
	v_cmp_eq_u32_e64 s[22:23], 0, v28
	;; [unrolled: 1-line block ×3, first 2 shown]
	v_add3_u32 v83, v6, v29, v26
	v_cmp_eq_u32_e64 s[18:19], 0, v26
	v_cmp_eq_u32_e64 s[16:17], 0, v27
	;; [unrolled: 1-line block ×10, first 2 shown]
	v_cmp_eq_u32_e32 vcc, 0, v17
	v_mbcnt_lo_u32_b32 v82, -1, 0
	v_lshrrev_b32_e32 v80, 6, v0
	v_or_b32_e32 v81, 63, v0
	s_cbranch_scc0 .LBB681_143
; %bb.113:
	v_cndmask_b32_e64 v6, 0, v76, s[24:25]
	v_add_u16_e32 v6, v6, v75
	v_cndmask_b32_e64 v6, 0, v6, s[22:23]
	v_add_u16_e32 v6, v6, v77
	;; [unrolled: 2-line block ×11, first 2 shown]
	v_cndmask_b32_e64 v6, 0, v6, s[2:3]
	v_add3_u32 v7, v83, v27, v24
	v_add_u16_e32 v6, v6, v66
	v_add3_u32 v7, v7, v25, v22
	v_cndmask_b32_e64 v6, 0, v6, s[0:1]
	v_add3_u32 v7, v7, v23, v20
	v_add_u16_e32 v6, v6, v64
	v_add3_u32 v7, v7, v21, v18
	v_cndmask_b32_e32 v6, 0, v6, vcc
	v_add3_u32 v7, v7, v19, v17
	v_add_u16_e32 v6, v6, v78
	v_mbcnt_hi_u32_b32 v33, -1, v82
	s_waitcnt vmcnt(0) lgkmcnt(0)
	v_and_b32_e32 v8, 15, v33
	v_mov_b32_dpp v10, v6 row_shr:1 row_mask:0xf bank_mask:0xf
	v_cmp_eq_u32_e32 vcc, 0, v7
	v_mov_b32_dpp v9, v7 row_shr:1 row_mask:0xf bank_mask:0xf
	v_cndmask_b32_e32 v10, 0, v10, vcc
	v_cmp_eq_u32_e32 vcc, 0, v8
	v_add_u16_e32 v10, v10, v6
	v_cndmask_b32_e64 v9, v9, 0, vcc
	v_add_u32_e32 v7, v9, v7
	v_cndmask_b32_e32 v6, v10, v6, vcc
	v_cmp_eq_u32_e32 vcc, 0, v7
	v_mov_b32_dpp v9, v7 row_shr:2 row_mask:0xf bank_mask:0xf
	v_mov_b32_dpp v10, v6 row_shr:2 row_mask:0xf bank_mask:0xf
	v_cndmask_b32_e32 v10, 0, v10, vcc
	v_cmp_lt_u32_e32 vcc, 1, v8
	v_add_u16_e32 v10, v10, v6
	v_cndmask_b32_e32 v9, 0, v9, vcc
	v_cndmask_b32_e32 v6, v6, v10, vcc
	v_add_u32_e32 v7, v7, v9
	v_cmp_eq_u32_e32 vcc, 0, v7
	v_mov_b32_dpp v10, v6 row_shr:4 row_mask:0xf bank_mask:0xf
	v_mov_b32_dpp v9, v7 row_shr:4 row_mask:0xf bank_mask:0xf
	v_cndmask_b32_e32 v10, 0, v10, vcc
	v_cmp_lt_u32_e32 vcc, 3, v8
	v_add_u16_e32 v10, v10, v6
	v_cndmask_b32_e32 v9, 0, v9, vcc
	v_cndmask_b32_e32 v6, v6, v10, vcc
	v_add_u32_e32 v7, v9, v7
	;; [unrolled: 9-line block ×3, first 2 shown]
	v_bfe_i32 v10, v33, 4, 1
	v_mov_b32_dpp v9, v6 row_bcast:15 row_mask:0xf bank_mask:0xf
	v_mov_b32_dpp v8, v7 row_bcast:15 row_mask:0xf bank_mask:0xf
	v_cmp_eq_u32_e32 vcc, 0, v7
	v_and_b32_e32 v11, 16, v33
	v_cndmask_b32_e32 v9, 0, v9, vcc
	v_and_b32_e32 v8, v10, v8
	v_add_u16_e32 v9, v9, v6
	v_add_u32_e32 v7, v8, v7
	v_cmp_eq_u32_e32 vcc, 0, v11
	v_cndmask_b32_e32 v8, v9, v6, vcc
	v_mov_b32_dpp v6, v7 row_bcast:31 row_mask:0xf bank_mask:0xf
	v_cmp_eq_u32_e32 vcc, 0, v7
	v_cmp_lt_u32_e64 s[26:27], 31, v33
	v_mov_b32_dpp v9, v8 row_bcast:31 row_mask:0xf bank_mask:0xf
	v_cndmask_b32_e64 v6, 0, v6, s[26:27]
	s_and_b64 vcc, s[26:27], vcc
	v_add_u32_e32 v6, v6, v7
	v_cndmask_b32_e32 v7, 0, v9, vcc
	v_add_u16_e32 v7, v7, v8
	v_cmp_eq_u32_e32 vcc, v81, v0
	v_lshlrev_b32_e32 v8, 3, v80
	s_and_saveexec_b64 s[26:27], vcc
	s_cbranch_execz .LBB681_115
; %bb.114:
	ds_write_b32 v8, v6 offset:1040
	ds_write_b16 v8, v7 offset:1044
.LBB681_115:
	s_or_b64 exec, exec, s[26:27]
	v_cmp_gt_u32_e32 vcc, 4, v0
	s_waitcnt lgkmcnt(0)
	s_barrier
	s_and_saveexec_b64 s[38:39], vcc
	s_cbranch_execz .LBB681_117
; %bb.116:
	v_lshlrev_b32_e32 v9, 3, v0
	ds_read_b64 v[10:11], v9 offset:1040
	v_and_b32_e32 v12, 3, v33
	s_mov_b32 s7, 0xffff0000
	v_cmp_lt_u32_e64 s[26:27], 1, v12
	s_waitcnt lgkmcnt(0)
	v_mov_b32_dpp v30, v11 row_shr:1 row_mask:0xf bank_mask:0xf
	v_cmp_eq_u32_e32 vcc, 0, v10
	v_mov_b32_dpp v13, v10 row_shr:1 row_mask:0xf bank_mask:0xf
	v_cndmask_b32_e32 v30, 0, v30, vcc
	v_cmp_eq_u32_e32 vcc, 0, v12
	v_add_u16_e32 v30, v30, v11
	v_cndmask_b32_e64 v13, v13, 0, vcc
	v_and_or_b32 v32, v11, s7, v30
	v_add_u32_e32 v10, v13, v10
	v_cndmask_b32_e32 v13, v30, v11, vcc
	v_cndmask_b32_e32 v11, v32, v11, vcc
	v_mov_b32_dpp v30, v10 row_shr:2 row_mask:0xf bank_mask:0xf
	v_cmp_eq_u32_e32 vcc, 0, v10
	v_mov_b32_dpp v11, v11 row_shr:2 row_mask:0xf bank_mask:0xf
	v_cndmask_b32_e64 v12, 0, v30, s[26:27]
	s_and_b64 vcc, s[26:27], vcc
	v_add_u32_e32 v10, v12, v10
	v_cndmask_b32_e32 v11, 0, v11, vcc
	v_add_u16_e32 v11, v13, v11
	ds_write_b32 v9, v10 offset:1040
	ds_write_b16 v9, v11 offset:1044
.LBB681_117:
	s_or_b64 exec, exec, s[38:39]
	v_cmp_gt_u32_e32 vcc, 64, v0
	v_cmp_lt_u32_e64 s[26:27], 63, v0
	v_mov_b32_e32 v30, 0
	v_mov_b32_e32 v36, 0
	s_waitcnt lgkmcnt(0)
	s_barrier
	s_and_saveexec_b64 s[38:39], s[26:27]
	s_cbranch_execz .LBB681_119
; %bb.118:
	ds_read_b32 v30, v8 offset:1032
	ds_read_u16 v36, v8 offset:1036
	v_cmp_eq_u32_e64 s[26:27], 0, v6
	s_waitcnt lgkmcnt(1)
	v_add_u32_e32 v8, v30, v6
	s_waitcnt lgkmcnt(0)
	v_cndmask_b32_e64 v6, 0, v36, s[26:27]
	v_add_u16_e32 v7, v6, v7
	v_mov_b32_e32 v6, v8
.LBB681_119:
	s_or_b64 exec, exec, s[38:39]
	v_add_u32_e32 v8, -1, v33
	v_and_b32_e32 v9, 64, v33
	v_cmp_lt_i32_e64 s[26:27], v8, v9
	v_cndmask_b32_e64 v8, v8, v33, s[26:27]
	v_and_b32_e32 v7, 0xffff, v7
	v_lshlrev_b32_e32 v8, 2, v8
	ds_bpermute_b32 v37, v8, v6
	ds_bpermute_b32 v38, v8, v7
	v_cmp_eq_u32_e64 s[26:27], 0, v33
	s_and_saveexec_b64 s[38:39], vcc
	s_cbranch_execz .LBB681_142
; %bb.120:
	v_mov_b32_e32 v9, 0
	ds_read_b64 v[6:7], v9 offset:1064
	s_waitcnt lgkmcnt(0)
	v_readfirstlane_b32 s7, v7
	s_and_saveexec_b64 s[40:41], s[26:27]
	s_cbranch_execz .LBB681_122
; %bb.121:
	s_add_i32 s46, s6, 64
	s_mov_b32 s47, 0
	s_lshl_b64 s[48:49], s[46:47], 4
	s_add_u32 s48, s44, s48
	s_addc_u32 s49, s45, s49
	s_and_b32 s51, s7, 0xff000000
	s_mov_b32 s50, s47
	s_and_b32 s57, s7, 0xff0000
	s_mov_b32 s56, s47
	s_or_b64 s[50:51], s[56:57], s[50:51]
	s_and_b32 s57, s7, 0xff00
	s_or_b64 s[50:51], s[50:51], s[56:57]
	s_and_b32 s57, s7, 0xff
	s_or_b64 s[46:47], s[50:51], s[56:57]
	v_mov_b32_e32 v7, s47
	v_mov_b32_e32 v8, 1
	v_pk_mov_b32 v[10:11], s[48:49], s[48:49] op_sel:[0,1]
	;;#ASMSTART
	global_store_dwordx4 v[10:11], v[6:9] off	
s_waitcnt vmcnt(0)
	;;#ASMEND
.LBB681_122:
	s_or_b64 exec, exec, s[40:41]
	v_xad_u32 v32, v33, -1, s6
	v_add_u32_e32 v8, 64, v32
	v_lshlrev_b64 v[10:11], 4, v[8:9]
	v_mov_b32_e32 v7, s45
	v_add_co_u32_e32 v34, vcc, s44, v10
	v_addc_co_u32_e32 v35, vcc, v7, v11, vcc
	;;#ASMSTART
	global_load_dwordx4 v[10:13], v[34:35] off glc	
s_waitcnt vmcnt(0)
	;;#ASMEND
	v_and_b32_e32 v7, 0xffffff, v10
	v_and_b32_e32 v8, 0xff000000, v10
	v_or_b32_e32 v7, v7, v8
	v_and_b32_e32 v8, 0xff, v11
	v_and_b32_e32 v10, 0xff00, v11
	v_or3_b32 v11, 0, v8, v10
	v_or3_b32 v10, v7, 0, 0
	v_cmp_eq_u16_sdwa s[46:47], v12, v9 src0_sel:BYTE_0 src1_sel:DWORD
	s_and_saveexec_b64 s[40:41], s[46:47]
	s_cbranch_execz .LBB681_128
; %bb.123:
	s_mov_b32 s48, 1
	s_mov_b64 s[46:47], 0
	v_mov_b32_e32 v7, 0
.LBB681_124:                            ; =>This Loop Header: Depth=1
                                        ;     Child Loop BB681_125 Depth 2
	s_max_u32 s49, s48, 1
.LBB681_125:                            ;   Parent Loop BB681_124 Depth=1
                                        ; =>  This Inner Loop Header: Depth=2
	s_add_i32 s49, s49, -1
	s_cmp_eq_u32 s49, 0
	s_sleep 1
	s_cbranch_scc0 .LBB681_125
; %bb.126:                              ;   in Loop: Header=BB681_124 Depth=1
	s_cmp_lt_u32 s48, 32
	s_cselect_b64 s[50:51], -1, 0
	s_cmp_lg_u64 s[50:51], 0
	s_addc_u32 s48, s48, 0
	;;#ASMSTART
	global_load_dwordx4 v[10:13], v[34:35] off glc	
s_waitcnt vmcnt(0)
	;;#ASMEND
	v_cmp_ne_u16_sdwa s[50:51], v12, v7 src0_sel:BYTE_0 src1_sel:DWORD
	s_or_b64 s[46:47], s[50:51], s[46:47]
	s_andn2_b64 exec, exec, s[46:47]
	s_cbranch_execnz .LBB681_124
; %bb.127:
	s_or_b64 exec, exec, s[46:47]
	v_and_b32_e32 v11, 0xffff, v11
.LBB681_128:
	s_or_b64 exec, exec, s[40:41]
	v_mov_b32_e32 v7, 2
	v_and_b32_e32 v39, 63, v33
	v_cmp_eq_u16_sdwa s[40:41], v12, v7 src0_sel:BYTE_0 src1_sel:DWORD
	v_lshlrev_b64 v[8:9], v33, -1
	v_cmp_ne_u32_e32 vcc, 63, v39
	v_and_b32_e32 v13, s41, v9
	v_addc_co_u32_e32 v35, vcc, 0, v33, vcc
	v_or_b32_e32 v13, 0x80000000, v13
	v_lshlrev_b32_e32 v40, 2, v35
	v_and_b32_e32 v34, s40, v8
	v_ffbl_b32_e32 v13, v13
	ds_bpermute_b32 v35, v40, v11
	v_add_u32_e32 v13, 32, v13
	v_ffbl_b32_e32 v34, v34
	v_min_u32_e32 v13, v34, v13
	ds_bpermute_b32 v34, v40, v10
	v_cmp_eq_u32_e32 vcc, 0, v10
	s_waitcnt lgkmcnt(1)
	v_cndmask_b32_e32 v35, 0, v35, vcc
	v_add_u16_e32 v35, v35, v11
	v_cmp_lt_u32_e32 vcc, v39, v13
	v_cndmask_b32_e32 v11, v11, v35, vcc
	s_waitcnt lgkmcnt(0)
	v_cndmask_b32_e32 v34, 0, v34, vcc
	v_cmp_gt_u32_e32 vcc, 62, v39
	v_cndmask_b32_e64 v35, 0, 1, vcc
	v_lshlrev_b32_e32 v35, 1, v35
	v_add_lshl_u32 v41, v35, v33, 2
	ds_bpermute_b32 v35, v41, v11
	v_add_u32_e32 v10, v34, v10
	ds_bpermute_b32 v34, v41, v10
	v_cmp_eq_u32_e32 vcc, 0, v10
	v_add_u32_e32 v42, 2, v39
	s_waitcnt lgkmcnt(1)
	v_cndmask_b32_e32 v35, 0, v35, vcc
	v_add_u16_e32 v35, v35, v11
	v_cmp_gt_u32_e32 vcc, v42, v13
	v_cndmask_b32_e32 v11, v35, v11, vcc
	s_waitcnt lgkmcnt(0)
	v_cndmask_b32_e64 v34, v34, 0, vcc
	v_cmp_gt_u32_e32 vcc, 60, v39
	v_cndmask_b32_e64 v35, 0, 1, vcc
	v_lshlrev_b32_e32 v35, 2, v35
	v_add_lshl_u32 v43, v35, v33, 2
	ds_bpermute_b32 v35, v43, v11
	v_add_u32_e32 v10, v10, v34
	ds_bpermute_b32 v34, v43, v10
	v_cmp_eq_u32_e32 vcc, 0, v10
	v_add_u32_e32 v44, 4, v39
	s_waitcnt lgkmcnt(1)
	v_cndmask_b32_e32 v35, 0, v35, vcc
	v_add_u16_e32 v35, v11, v35
	v_cmp_gt_u32_e32 vcc, v44, v13
	v_cndmask_b32_e32 v11, v35, v11, vcc
	s_waitcnt lgkmcnt(0)
	v_cndmask_b32_e64 v34, v34, 0, vcc
	;; [unrolled: 16-line block ×4, first 2 shown]
	v_cmp_gt_u32_e32 vcc, 32, v39
	v_cndmask_b32_e64 v35, 0, 1, vcc
	v_lshlrev_b32_e32 v35, 5, v35
	v_add_lshl_u32 v51, v35, v33, 2
	ds_bpermute_b32 v33, v51, v11
	v_add_u32_e32 v10, v10, v34
	ds_bpermute_b32 v34, v51, v10
	v_add_u32_e32 v52, 32, v39
	v_cmp_eq_u32_e32 vcc, 0, v10
	s_waitcnt lgkmcnt(1)
	v_cndmask_b32_e32 v33, 0, v33, vcc
	v_cmp_gt_u32_e32 vcc, v52, v13
	v_cndmask_b32_e64 v13, v33, 0, vcc
	v_add_u16_e32 v11, v11, v13
	s_waitcnt lgkmcnt(0)
	v_cndmask_b32_e64 v13, v34, 0, vcc
	v_add_u32_e32 v10, v13, v10
	v_mov_b32_e32 v33, 0
	s_branch .LBB681_130
.LBB681_129:                            ;   in Loop: Header=BB681_130 Depth=1
	s_or_b64 exec, exec, s[40:41]
	v_cmp_eq_u16_sdwa s[40:41], v12, v7 src0_sel:BYTE_0 src1_sel:DWORD
	ds_bpermute_b32 v35, v40, v11
	v_and_b32_e32 v13, s41, v9
	v_or_b32_e32 v13, 0x80000000, v13
	v_and_b32_e32 v34, s40, v8
	v_ffbl_b32_e32 v13, v13
	v_add_u32_e32 v13, 32, v13
	v_ffbl_b32_e32 v34, v34
	v_cmp_eq_u32_e32 vcc, 0, v10
	v_min_u32_e32 v13, v34, v13
	ds_bpermute_b32 v34, v40, v10
	s_waitcnt lgkmcnt(1)
	v_cndmask_b32_e32 v35, 0, v35, vcc
	v_add_u16_e32 v35, v35, v11
	v_cmp_lt_u32_e32 vcc, v39, v13
	v_cndmask_b32_e32 v11, v11, v35, vcc
	ds_bpermute_b32 v35, v41, v11
	s_waitcnt lgkmcnt(1)
	v_cndmask_b32_e32 v34, 0, v34, vcc
	v_add_u32_e32 v10, v34, v10
	v_cmp_eq_u32_e32 vcc, 0, v10
	ds_bpermute_b32 v34, v41, v10
	s_waitcnt lgkmcnt(1)
	v_cndmask_b32_e32 v35, 0, v35, vcc
	v_add_u16_e32 v35, v35, v11
	v_cmp_gt_u32_e32 vcc, v42, v13
	v_cndmask_b32_e32 v11, v35, v11, vcc
	ds_bpermute_b32 v35, v43, v11
	s_waitcnt lgkmcnt(1)
	v_cndmask_b32_e64 v34, v34, 0, vcc
	v_add_u32_e32 v10, v10, v34
	v_cmp_eq_u32_e32 vcc, 0, v10
	ds_bpermute_b32 v34, v43, v10
	s_waitcnt lgkmcnt(1)
	v_cndmask_b32_e32 v35, 0, v35, vcc
	v_add_u16_e32 v35, v11, v35
	v_cmp_gt_u32_e32 vcc, v44, v13
	v_cndmask_b32_e32 v11, v35, v11, vcc
	ds_bpermute_b32 v35, v45, v11
	s_waitcnt lgkmcnt(1)
	v_cndmask_b32_e64 v34, v34, 0, vcc
	v_add_u32_e32 v10, v10, v34
	ds_bpermute_b32 v34, v45, v10
	v_cmp_eq_u32_e32 vcc, 0, v10
	s_waitcnt lgkmcnt(1)
	v_cndmask_b32_e32 v35, 0, v35, vcc
	v_add_u16_e32 v35, v11, v35
	v_cmp_gt_u32_e32 vcc, v46, v13
	v_cndmask_b32_e32 v11, v35, v11, vcc
	ds_bpermute_b32 v35, v48, v11
	s_waitcnt lgkmcnt(1)
	v_cndmask_b32_e64 v34, v34, 0, vcc
	v_add_u32_e32 v10, v10, v34
	ds_bpermute_b32 v34, v48, v10
	v_cmp_eq_u32_e32 vcc, 0, v10
	;; [unrolled: 11-line block ×3, first 2 shown]
	s_waitcnt lgkmcnt(1)
	v_cndmask_b32_e32 v35, 0, v35, vcc
	v_cmp_gt_u32_e32 vcc, v52, v13
	v_cndmask_b32_e64 v13, v35, 0, vcc
	v_add_u16_e32 v11, v11, v13
	s_waitcnt lgkmcnt(0)
	v_cndmask_b32_e64 v13, v34, 0, vcc
	v_cmp_eq_u32_e32 vcc, 0, v49
	v_cndmask_b32_e32 v11, 0, v11, vcc
	v_subrev_u32_e32 v32, 64, v32
	v_add3_u32 v10, v10, v49, v13
	v_add_u16_e32 v11, v11, v47
.LBB681_130:                            ; =>This Loop Header: Depth=1
                                        ;     Child Loop BB681_133 Depth 2
                                        ;       Child Loop BB681_134 Depth 3
	v_cmp_ne_u16_sdwa s[40:41], v12, v7 src0_sel:BYTE_0 src1_sel:DWORD
	v_mov_b32_e32 v47, v11
	v_cndmask_b32_e64 v11, 0, 1, s[40:41]
	;;#ASMSTART
	;;#ASMEND
	v_cmp_ne_u32_e32 vcc, 0, v11
	s_cmp_lg_u64 vcc, exec
	v_mov_b32_e32 v49, v10
	s_cbranch_scc1 .LBB681_137
; %bb.131:                              ;   in Loop: Header=BB681_130 Depth=1
	v_lshlrev_b64 v[10:11], 4, v[32:33]
	v_mov_b32_e32 v12, s45
	v_add_co_u32_e32 v34, vcc, s44, v10
	v_addc_co_u32_e32 v35, vcc, v12, v11, vcc
	;;#ASMSTART
	global_load_dwordx4 v[10:13], v[34:35] off glc	
s_waitcnt vmcnt(0)
	;;#ASMEND
	v_and_b32_e32 v13, 0xffffff, v10
	v_and_b32_e32 v10, 0xff000000, v10
	v_or_b32_e32 v10, v13, v10
	v_and_b32_e32 v13, 0xff, v11
	v_and_b32_e32 v11, 0xff00, v11
	v_or3_b32 v11, 0, v13, v11
	v_or3_b32 v10, v10, 0, 0
	v_cmp_eq_u16_sdwa s[46:47], v12, v33 src0_sel:BYTE_0 src1_sel:DWORD
	s_and_saveexec_b64 s[40:41], s[46:47]
	s_cbranch_execz .LBB681_129
; %bb.132:                              ;   in Loop: Header=BB681_130 Depth=1
	s_mov_b32 s48, 1
	s_mov_b64 s[46:47], 0
.LBB681_133:                            ;   Parent Loop BB681_130 Depth=1
                                        ; =>  This Loop Header: Depth=2
                                        ;       Child Loop BB681_134 Depth 3
	s_max_u32 s49, s48, 1
.LBB681_134:                            ;   Parent Loop BB681_130 Depth=1
                                        ;     Parent Loop BB681_133 Depth=2
                                        ; =>    This Inner Loop Header: Depth=3
	s_add_i32 s49, s49, -1
	s_cmp_eq_u32 s49, 0
	s_sleep 1
	s_cbranch_scc0 .LBB681_134
; %bb.135:                              ;   in Loop: Header=BB681_133 Depth=2
	s_cmp_lt_u32 s48, 32
	s_cselect_b64 s[50:51], -1, 0
	s_cmp_lg_u64 s[50:51], 0
	s_addc_u32 s48, s48, 0
	;;#ASMSTART
	global_load_dwordx4 v[10:13], v[34:35] off glc	
s_waitcnt vmcnt(0)
	;;#ASMEND
	v_cmp_ne_u16_sdwa s[50:51], v12, v33 src0_sel:BYTE_0 src1_sel:DWORD
	s_or_b64 s[46:47], s[50:51], s[46:47]
	s_andn2_b64 exec, exec, s[46:47]
	s_cbranch_execnz .LBB681_133
; %bb.136:                              ;   in Loop: Header=BB681_130 Depth=1
	s_or_b64 exec, exec, s[46:47]
	v_and_b32_e32 v11, 0xffff, v11
	s_branch .LBB681_129
.LBB681_137:                            ;   in Loop: Header=BB681_130 Depth=1
                                        ; implicit-def: $vgpr11
                                        ; implicit-def: $vgpr10
                                        ; implicit-def: $vgpr12
	s_cbranch_execz .LBB681_130
; %bb.138:
	s_and_saveexec_b64 s[40:41], s[26:27]
	s_cbranch_execz .LBB681_140
; %bb.139:
	s_mov_b32 s47, 0
	v_cmp_eq_u32_e32 vcc, 0, v6
	s_add_i32 s46, s6, 64
	v_cndmask_b32_e32 v7, 0, v47, vcc
	s_lshl_b64 s[46:47], s[46:47], 4
	v_add_u16_e32 v7, s7, v7
	s_add_u32 s46, s44, s46
	s_addc_u32 s47, s45, s47
	v_and_b32_e32 v9, 0xff00, v7
	v_add_u32_e32 v8, v49, v6
	v_mov_b32_e32 v11, 0
	v_or_b32_sdwa v9, v9, v7 dst_sel:DWORD dst_unused:UNUSED_PAD src0_sel:DWORD src1_sel:BYTE_0
	v_mov_b32_e32 v10, 2
	v_pk_mov_b32 v[12:13], s[46:47], s[46:47] op_sel:[0,1]
	;;#ASMSTART
	global_store_dwordx4 v[12:13], v[8:11] off	
s_waitcnt vmcnt(0)
	;;#ASMEND
	v_mov_b32_e32 v7, s7
	s_movk_i32 s6, 0x400
	ds_write_b16 v11, v7 offset:1028
	v_add_u32_e64 v7, s6, 0
	ds_write2_b32 v7, v6, v49 offset1:2
	ds_write_b16 v11, v47 offset:1036
.LBB681_140:
	s_or_b64 exec, exec, s[40:41]
	v_cmp_eq_u32_e32 vcc, 0, v0
	s_and_b64 exec, exec, vcc
	s_cbranch_execz .LBB681_142
; %bb.141:
	v_mov_b32_e32 v6, 0
	ds_write_b32 v6, v49 offset:1064
	ds_write_b16 v6, v47 offset:1068
.LBB681_142:
	s_or_b64 exec, exec, s[38:39]
	v_mov_b32_e32 v8, 0
	s_waitcnt lgkmcnt(0)
	s_barrier
	ds_read_b64 v[6:7], v8 offset:1064
	v_cndmask_b32_e64 v10, v37, v30, s[26:27]
	v_cmp_eq_u32_e32 vcc, 0, v10
	v_cndmask_b32_e64 v9, v38, v36, s[26:27]
	s_waitcnt lgkmcnt(0)
	v_cndmask_b32_e32 v11, 0, v7, vcc
	v_add_u16_e32 v9, v11, v9
	v_cmp_eq_u32_e32 vcc, 0, v0
	v_cndmask_b32_e32 v7, v9, v7, vcc
	v_cndmask_b32_e64 v9, v10, 0, vcc
	v_cmp_eq_u32_e32 vcc, 0, v79
	v_add_u32_e32 v62, v6, v9
	v_cndmask_b32_e32 v6, 0, v7, vcc
	v_add_u16_e32 v61, v6, v76
	v_cndmask_b32_e64 v6, 0, v61, s[24:25]
	v_add_u16_e32 v59, v6, v75
	v_cndmask_b32_e64 v6, 0, v59, s[22:23]
	;; [unrolled: 2-line block ×8, first 2 shown]
	v_add_u32_e32 v60, v62, v79
	v_add_u16_e32 v45, v6, v70
	v_add_u32_e32 v58, v60, v31
	v_cndmask_b32_e64 v6, 0, v45, s[8:9]
	v_add_u32_e32 v56, v58, v28
	v_add_u16_e32 v43, v6, v67
	v_add_u32_e32 v54, v56, v29
	v_cndmask_b32_e64 v6, 0, v43, s[28:29]
	;; [unrolled: 4-line block ×3, first 2 shown]
	v_and_b32_e32 v63, 0xffff, v7
	v_add_u32_e32 v48, v50, v24
	v_add_u16_e32 v39, v6, v65
	s_barrier
	ds_read_b128 v[6:9], v8 offset:1024
	v_add_u32_e32 v46, v48, v25
	v_add_u32_e32 v44, v46, v22
	;; [unrolled: 1-line block ×4, first 2 shown]
	v_cndmask_b32_e64 v10, 0, v39, s[2:3]
	v_add_u32_e32 v38, v40, v21
	v_add_u16_e32 v37, v10, v66
	s_waitcnt lgkmcnt(0)
	v_cmp_eq_u32_e32 vcc, 0, v6
	v_add_u32_e32 v36, v38, v18
	v_cndmask_b32_e64 v10, 0, v37, s[0:1]
	v_cndmask_b32_e32 v9, 0, v9, vcc
	v_add_u32_e32 v34, v36, v19
	v_add_u16_e32 v35, v10, v64
	v_add_u32_e32 v30, v9, v7
	s_branch .LBB681_155
.LBB681_143:
                                        ; implicit-def: $vgpr6
                                        ; implicit-def: $vgpr30
                                        ; implicit-def: $vgpr62_vgpr63
                                        ; implicit-def: $vgpr60_vgpr61
                                        ; implicit-def: $vgpr58_vgpr59
                                        ; implicit-def: $vgpr56_vgpr57
                                        ; implicit-def: $vgpr54_vgpr55
                                        ; implicit-def: $vgpr52_vgpr53
                                        ; implicit-def: $vgpr50_vgpr51
                                        ; implicit-def: $vgpr48_vgpr49
                                        ; implicit-def: $vgpr46_vgpr47
                                        ; implicit-def: $vgpr44_vgpr45
                                        ; implicit-def: $vgpr42_vgpr43
                                        ; implicit-def: $vgpr40_vgpr41
                                        ; implicit-def: $vgpr38_vgpr39
                                        ; implicit-def: $vgpr36_vgpr37
                                        ; implicit-def: $vgpr34_vgpr35
	s_cbranch_execz .LBB681_155
; %bb.144:
	s_and_b64 s[0:1], s[30:31], exec
	s_cselect_b32 s1, 0, s61
	s_cselect_b32 s0, 0, s60
	s_cmp_eq_u64 s[0:1], 0
	v_mov_b32_e32 v7, v76
	s_cbranch_scc1 .LBB681_146
; %bb.145:
	v_mov_b32_e32 v6, 0
	global_load_ushort v7, v6, s[0:1]
.LBB681_146:
	v_cmp_eq_u32_e64 s[0:1], 0, v31
	v_cndmask_b32_e64 v6, 0, v76, s[0:1]
	v_add_u16_e32 v6, v6, v75
	v_cmp_eq_u32_e64 s[2:3], 0, v28
	v_cndmask_b32_e64 v6, 0, v6, s[2:3]
	v_add_u16_e32 v6, v6, v77
	v_cmp_eq_u32_e64 s[4:5], 0, v29
	v_cndmask_b32_e64 v6, 0, v6, s[4:5]
	v_add_u16_e32 v6, v6, v73
	v_cmp_eq_u32_e64 s[6:7], 0, v26
	v_cndmask_b32_e64 v6, 0, v6, s[6:7]
	v_add_u16_e32 v6, v6, v74
	v_cmp_eq_u32_e64 s[8:9], 0, v27
	v_cndmask_b32_e64 v6, 0, v6, s[8:9]
	v_add_u16_e32 v6, v6, v71
	v_cmp_eq_u32_e64 s[10:11], 0, v24
	v_cndmask_b32_e64 v6, 0, v6, s[10:11]
	v_add_u16_e32 v6, v6, v72
	v_cmp_eq_u32_e64 s[12:13], 0, v25
	v_cndmask_b32_e64 v6, 0, v6, s[12:13]
	v_add_u16_e32 v6, v6, v69
	v_cmp_eq_u32_e64 s[14:15], 0, v22
	v_cndmask_b32_e64 v6, 0, v6, s[14:15]
	v_add_u16_e32 v6, v6, v70
	v_cmp_eq_u32_e64 s[16:17], 0, v23
	v_cndmask_b32_e64 v6, 0, v6, s[16:17]
	v_add_u16_e32 v6, v6, v67
	v_cmp_eq_u32_e64 s[18:19], 0, v20
	v_cndmask_b32_e64 v6, 0, v6, s[18:19]
	v_add_u16_e32 v6, v6, v68
	v_cmp_eq_u32_e64 s[20:21], 0, v21
	v_cndmask_b32_e64 v6, 0, v6, s[20:21]
	v_add_u16_e32 v6, v6, v65
	v_cmp_eq_u32_e64 s[22:23], 0, v18
	v_cndmask_b32_e64 v6, 0, v6, s[22:23]
	s_waitcnt vmcnt(0) lgkmcnt(0)
	v_add3_u32 v8, v83, v27, v24
	v_add_u16_e32 v6, v6, v66
	v_cmp_eq_u32_e32 vcc, 0, v19
	v_add3_u32 v8, v8, v25, v22
	v_cndmask_b32_e32 v6, 0, v6, vcc
	v_add3_u32 v8, v8, v23, v20
	v_add_u16_e32 v6, v6, v64
	v_cmp_eq_u32_e64 s[24:25], 0, v17
	v_add3_u32 v8, v8, v21, v18
	v_cndmask_b32_e64 v6, 0, v6, s[24:25]
	v_add3_u32 v8, v8, v19, v17
	v_add_u16_e32 v9, v6, v78
	v_mbcnt_hi_u32_b32 v6, -1, v82
	v_and_b32_e32 v10, 15, v6
	v_mov_b32_dpp v12, v9 row_shr:1 row_mask:0xf bank_mask:0xf
	v_cmp_eq_u32_e64 s[24:25], 0, v8
	v_mov_b32_dpp v11, v8 row_shr:1 row_mask:0xf bank_mask:0xf
	v_cndmask_b32_e64 v12, 0, v12, s[24:25]
	v_cmp_eq_u32_e64 s[24:25], 0, v10
	v_add_u16_e32 v12, v12, v9
	v_cndmask_b32_e64 v11, v11, 0, s[24:25]
	v_add_u32_e32 v8, v11, v8
	v_cndmask_b32_e64 v9, v12, v9, s[24:25]
	v_cmp_eq_u32_e64 s[24:25], 0, v8
	v_mov_b32_dpp v11, v8 row_shr:2 row_mask:0xf bank_mask:0xf
	v_mov_b32_dpp v12, v9 row_shr:2 row_mask:0xf bank_mask:0xf
	v_cndmask_b32_e64 v12, 0, v12, s[24:25]
	v_cmp_lt_u32_e64 s[24:25], 1, v10
	v_add_u16_e32 v12, v12, v9
	v_cndmask_b32_e64 v11, 0, v11, s[24:25]
	v_cndmask_b32_e64 v9, v9, v12, s[24:25]
	v_add_u32_e32 v8, v8, v11
	v_cmp_eq_u32_e64 s[24:25], 0, v8
	v_mov_b32_dpp v12, v9 row_shr:4 row_mask:0xf bank_mask:0xf
	v_mov_b32_dpp v11, v8 row_shr:4 row_mask:0xf bank_mask:0xf
	v_cndmask_b32_e64 v12, 0, v12, s[24:25]
	v_cmp_lt_u32_e64 s[24:25], 3, v10
	v_add_u16_e32 v12, v12, v9
	v_cndmask_b32_e64 v11, 0, v11, s[24:25]
	v_cndmask_b32_e64 v9, v9, v12, s[24:25]
	v_add_u32_e32 v8, v11, v8
	;; [unrolled: 9-line block ×3, first 2 shown]
	v_bfe_i32 v12, v6, 4, 1
	v_mov_b32_dpp v11, v9 row_bcast:15 row_mask:0xf bank_mask:0xf
	v_mov_b32_dpp v10, v8 row_bcast:15 row_mask:0xf bank_mask:0xf
	v_cmp_eq_u32_e64 s[24:25], 0, v8
	v_and_b32_e32 v13, 16, v6
	v_cndmask_b32_e64 v11, 0, v11, s[24:25]
	v_and_b32_e32 v10, v12, v10
	v_add_u16_e32 v11, v11, v9
	v_add_u32_e32 v8, v10, v8
	v_cmp_eq_u32_e64 s[24:25], 0, v13
	v_cndmask_b32_e64 v9, v11, v9, s[24:25]
	v_mov_b32_dpp v10, v8 row_bcast:31 row_mask:0xf bank_mask:0xf
	v_cmp_eq_u32_e64 s[24:25], 0, v8
	v_cmp_lt_u32_e64 s[26:27], 31, v6
	v_mov_b32_dpp v11, v9 row_bcast:31 row_mask:0xf bank_mask:0xf
	v_cndmask_b32_e64 v10, 0, v10, s[26:27]
	s_and_b64 s[24:25], s[26:27], s[24:25]
	v_add_u32_e32 v8, v10, v8
	v_cndmask_b32_e64 v10, 0, v11, s[24:25]
	v_add_u16_e32 v9, v10, v9
	v_cmp_eq_u32_e64 s[24:25], v81, v0
	s_and_saveexec_b64 s[26:27], s[24:25]
	s_cbranch_execz .LBB681_148
; %bb.147:
	v_lshlrev_b32_e32 v10, 3, v80
	ds_write_b32 v10, v8 offset:1040
	ds_write_b16 v10, v9 offset:1044
.LBB681_148:
	s_or_b64 exec, exec, s[26:27]
	v_cmp_gt_u32_e64 s[24:25], 4, v0
	s_waitcnt lgkmcnt(0)
	s_barrier
	s_and_saveexec_b64 s[28:29], s[24:25]
	s_cbranch_execz .LBB681_150
; %bb.149:
	v_lshlrev_b32_e32 v12, 3, v0
	ds_read_b64 v[10:11], v12 offset:1040
	v_and_b32_e32 v13, 3, v6
	s_mov_b32 s26, 0xffff0000
	s_waitcnt lgkmcnt(0)
	v_mov_b32_dpp v32, v11 row_shr:1 row_mask:0xf bank_mask:0xf
	v_cmp_eq_u32_e64 s[24:25], 0, v10
	v_mov_b32_dpp v30, v10 row_shr:1 row_mask:0xf bank_mask:0xf
	v_cndmask_b32_e64 v32, 0, v32, s[24:25]
	v_cmp_eq_u32_e64 s[24:25], 0, v13
	v_add_u16_e32 v32, v32, v11
	v_cndmask_b32_e64 v30, v30, 0, s[24:25]
	v_and_or_b32 v33, v11, s26, v32
	v_add_u32_e32 v10, v30, v10
	v_cndmask_b32_e64 v30, v32, v11, s[24:25]
	v_cndmask_b32_e64 v11, v33, v11, s[24:25]
	v_mov_b32_dpp v32, v10 row_shr:2 row_mask:0xf bank_mask:0xf
	v_cmp_eq_u32_e64 s[24:25], 0, v10
	v_cmp_lt_u32_e64 s[26:27], 1, v13
	v_mov_b32_dpp v11, v11 row_shr:2 row_mask:0xf bank_mask:0xf
	v_cndmask_b32_e64 v13, 0, v32, s[26:27]
	s_and_b64 s[24:25], s[26:27], s[24:25]
	v_add_u32_e32 v10, v13, v10
	v_cndmask_b32_e64 v11, 0, v11, s[24:25]
	v_add_u16_e32 v11, v30, v11
	ds_write_b32 v12, v10 offset:1040
	ds_write_b16 v12, v11 offset:1044
.LBB681_150:
	s_or_b64 exec, exec, s[28:29]
	v_cmp_lt_u32_e64 s[24:25], 63, v0
	v_mov_b32_e32 v10, 0
	v_mov_b32_e32 v11, 0
	;; [unrolled: 1-line block ×3, first 2 shown]
	s_waitcnt lgkmcnt(0)
	s_barrier
	s_and_saveexec_b64 s[26:27], s[24:25]
	s_cbranch_execz .LBB681_152
; %bb.151:
	v_lshlrev_b32_e32 v12, 3, v80
	ds_read_b32 v11, v12 offset:1032
	ds_read_u16 v12, v12 offset:1036
	s_waitcnt lgkmcnt(1)
	v_cmp_eq_u32_e64 s[24:25], 0, v11
	v_cndmask_b32_e64 v13, 0, v7, s[24:25]
	s_waitcnt lgkmcnt(0)
	v_add_u16_e32 v12, v13, v12
.LBB681_152:
	s_or_b64 exec, exec, s[26:27]
	v_cmp_eq_u32_e64 s[24:25], 0, v8
	v_add_u32_e32 v13, v11, v8
	v_cndmask_b32_e64 v8, 0, v12, s[24:25]
	v_add_u16_e32 v8, v8, v9
	v_add_u32_e32 v9, -1, v6
	v_and_b32_e32 v30, 64, v6
	v_cmp_lt_i32_e64 s[24:25], v9, v30
	v_cndmask_b32_e64 v9, v9, v6, s[24:25]
	v_lshlrev_b32_e32 v9, 2, v9
	ds_bpermute_b32 v13, v9, v13
	ds_bpermute_b32 v8, v9, v8
	v_cmp_eq_u32_e64 s[24:25], 0, v6
	v_cmp_eq_u32_e64 s[26:27], 0, v79
	s_waitcnt lgkmcnt(1)
	v_cndmask_b32_e64 v6, v13, v11, s[24:25]
	s_waitcnt lgkmcnt(0)
	v_cndmask_b32_e64 v8, v8, v12, s[24:25]
	v_cmp_eq_u32_e64 s[24:25], 0, v0
	v_cndmask_b32_e64 v8, v8, v7, s[24:25]
	v_cndmask_b32_e64 v62, v6, 0, s[24:25]
	;; [unrolled: 1-line block ×3, first 2 shown]
	v_add_u16_e32 v61, v6, v76
	v_cndmask_b32_e64 v6, 0, v61, s[0:1]
	v_add_u16_e32 v59, v6, v75
	v_cndmask_b32_e64 v6, 0, v59, s[2:3]
	;; [unrolled: 2-line block ×9, first 2 shown]
	v_add_u32_e32 v60, v62, v79
	v_add_u16_e32 v43, v6, v67
	v_add_u32_e32 v58, v60, v31
	v_cndmask_b32_e64 v6, 0, v43, s[18:19]
	v_add_u32_e32 v56, v58, v28
	v_add_u16_e32 v41, v6, v68
	v_add_u32_e32 v54, v56, v29
	v_cndmask_b32_e64 v6, 0, v41, s[20:21]
	;; [unrolled: 4-line block ×3, first 2 shown]
	v_add_u32_e32 v48, v50, v24
	v_add_u16_e32 v37, v6, v66
	ds_read_b32 v6, v10 offset:1064
	v_add_u32_e32 v46, v48, v25
	v_and_b32_e32 v63, 0xffff, v8
	ds_read_u16 v8, v10 offset:1068
	v_add_u32_e32 v44, v46, v22
	v_add_u32_e32 v42, v44, v23
	;; [unrolled: 1-line block ×4, first 2 shown]
	v_cndmask_b32_e32 v9, 0, v37, vcc
	s_waitcnt lgkmcnt(1)
	v_cmp_eq_u32_e32 vcc, 0, v6
	v_add_u32_e32 v36, v38, v18
	v_cndmask_b32_e32 v7, 0, v7, vcc
	v_add_u32_e32 v34, v36, v19
	v_add_u16_e32 v35, v9, v64
	s_waitcnt lgkmcnt(0)
	v_add_u16_e32 v30, v7, v8
	s_and_saveexec_b64 s[0:1], s[24:25]
	s_cbranch_execz .LBB681_154
; %bb.153:
	s_add_u32 s2, s44, 0x400
	s_addc_u32 s3, s45, 0
	v_and_b32_e32 v7, 0xff00, v30
	v_mov_b32_e32 v9, 0
	v_or_b32_sdwa v7, v7, v30 dst_sel:DWORD dst_unused:UNUSED_PAD src0_sel:DWORD src1_sel:BYTE_0
	v_mov_b32_e32 v8, 2
	v_pk_mov_b32 v[10:11], s[2:3], s[2:3] op_sel:[0,1]
	;;#ASMSTART
	global_store_dwordx4 v[10:11], v[6:9] off	
s_waitcnt vmcnt(0)
	;;#ASMEND
.LBB681_154:
	s_or_b64 exec, exec, s[0:1]
	v_mov_b32_e32 v8, 0
.LBB681_155:
	s_and_b64 s[0:1], s[30:31], exec
	s_cselect_b32 s1, 0, s59
	s_cselect_b32 s0, 0, s58
	s_cmp_eq_u64 s[0:1], 0
	v_pk_mov_b32 v[32:33], 0, 0
	s_waitcnt lgkmcnt(0)
	s_barrier
	s_cbranch_scc1 .LBB681_157
; %bb.156:
	v_mov_b32_e32 v7, 0
	global_load_dwordx2 v[32:33], v7, s[0:1]
.LBB681_157:
	s_waitcnt vmcnt(0)
	v_lshlrev_b64 v[64:65], 1, v[32:33]
	v_mov_b32_e32 v7, s43
	v_add_co_u32_e32 v10, vcc, s42, v64
	v_mov_b32_e32 v9, 0
	v_addc_co_u32_e32 v11, vcc, v7, v65, vcc
	v_lshlrev_b64 v[66:67], 1, v[8:9]
	v_add_co_u32_e32 v7, vcc, v10, v66
	v_addc_co_u32_e32 v9, vcc, v11, v67, vcc
	v_cmp_eq_u32_e32 vcc, 0, v79
	v_cndmask_b32_e64 v10, 1, 2, vcc
	v_cmp_eq_u32_e32 vcc, 0, v31
	v_cndmask_b32_e64 v11, 1, 2, vcc
	v_cmp_eq_u32_e32 vcc, 0, v28
	v_and_b32_e32 v10, v11, v10
	v_cndmask_b32_e64 v11, 1, 2, vcc
	v_cmp_eq_u32_e32 vcc, 0, v29
	v_and_b32_e32 v10, v10, v11
	;; [unrolled: 3-line block ×13, first 2 shown]
	v_cndmask_b32_e64 v11, 1, 2, vcc
	s_movk_i32 s30, 0x100
	v_and_b32_e32 v10, v10, v11
	v_cmp_gt_u32_e32 vcc, s30, v6
	v_cmp_ne_u32_e64 s[28:29], 0, v79
	v_cmp_ne_u32_e64 s[26:27], 0, v31
	;; [unrolled: 1-line block ×15, first 2 shown]
	s_mov_b64 s[38:39], -1
	v_cmp_gt_i16_e64 s[30:31], 2, v10
	s_cbranch_vccz .LBB681_164
; %bb.158:
	s_and_saveexec_b64 s[38:39], s[30:31]
	s_cbranch_execz .LBB681_163
; %bb.159:
	v_cmp_ne_u16_e32 vcc, 1, v10
	s_mov_b64 s[40:41], 0
	s_and_saveexec_b64 s[30:31], vcc
	s_xor_b64 s[30:31], exec, s[30:31]
	s_cbranch_execnz .LBB681_253
; %bb.160:
	s_andn2_saveexec_b64 s[30:31], s[30:31]
	s_cbranch_execnz .LBB681_269
.LBB681_161:
	s_or_b64 exec, exec, s[30:31]
	s_and_b64 exec, exec, s[40:41]
	s_cbranch_execz .LBB681_163
.LBB681_162:
	v_sub_u32_e32 v12, v34, v8
	v_mov_b32_e32 v13, 0
	v_lshlrev_b64 v[12:13], 1, v[12:13]
	v_add_co_u32_e32 v12, vcc, v7, v12
	v_addc_co_u32_e32 v13, vcc, v9, v13, vcc
	global_store_short_d16_hi v[12:13], v16, off
.LBB681_163:
	s_or_b64 exec, exec, s[38:39]
	s_mov_b64 s[38:39], 0
.LBB681_164:
	s_and_b64 vcc, exec, s[38:39]
	s_cbranch_vccz .LBB681_186
; %bb.165:
	v_cmp_gt_i16_e32 vcc, 2, v10
	s_and_saveexec_b64 s[30:31], vcc
	s_cbranch_execz .LBB681_170
; %bb.166:
	v_cmp_ne_u16_e32 vcc, 1, v10
	s_mov_b64 s[40:41], 0
	s_and_saveexec_b64 s[38:39], vcc
	s_xor_b64 s[38:39], exec, s[38:39]
	s_cbranch_execnz .LBB681_270
; %bb.167:
	s_andn2_saveexec_b64 s[0:1], s[38:39]
	s_cbranch_execnz .LBB681_286
.LBB681_168:
	s_or_b64 exec, exec, s[0:1]
	s_and_b64 exec, exec, s[40:41]
	s_cbranch_execz .LBB681_170
.LBB681_169:
	v_sub_u32_e32 v1, v34, v8
	v_lshlrev_b32_e32 v1, 1, v1
	ds_write_b16_d16_hi v1, v16
.LBB681_170:
	s_or_b64 exec, exec, s[30:31]
	v_cmp_lt_u32_e32 vcc, v0, v6
	s_waitcnt lgkmcnt(0)
	s_barrier
	s_and_saveexec_b64 s[2:3], vcc
	s_cbranch_execz .LBB681_185
; %bb.171:
	v_xad_u32 v1, v0, -1, v6
	s_movk_i32 s0, 0x1700
	v_cmp_gt_u32_e64 s[4:5], s0, v1
	s_movk_i32 s0, 0x16ff
	v_cmp_lt_u32_e32 vcc, s0, v1
	v_mov_b32_e32 v2, v0
	s_and_saveexec_b64 s[6:7], vcc
	s_cbranch_execz .LBB681_182
; %bb.172:
	v_sub_u32_e32 v2, v0, v6
	v_or_b32_e32 v2, 0xff, v2
	v_cmp_ge_u32_e32 vcc, v2, v0
	s_mov_b64 s[0:1], -1
	v_mov_b32_e32 v2, v0
	s_and_saveexec_b64 s[8:9], vcc
	s_cbranch_execz .LBB681_181
; %bb.173:
	v_lshrrev_b32_e32 v14, 8, v1
	v_or_b32_e32 v3, 0x300, v0
	v_or_b32_e32 v2, 0x200, v0
	v_add_u32_e32 v4, -3, v14
	v_or_b32_e32 v1, 0x100, v0
	v_lshrrev_b32_e32 v5, 2, v4
	v_pk_mov_b32 v[12:13], v[2:3], v[2:3] op_sel:[0,1]
	v_add_u32_e32 v15, 1, v5
	v_cmp_lt_u32_e32 vcc, 11, v4
	v_mov_b32_e32 v69, 0
	v_pk_mov_b32 v[10:11], v[0:1], v[0:1] op_sel:[0,1]
	s_and_saveexec_b64 s[10:11], vcc
	s_cbranch_execz .LBB681_177
; %bb.174:
	v_pk_mov_b32 v[12:13], v[2:3], v[2:3] op_sel:[0,1]
	v_and_b32_e32 v16, 0x7ffffffc, v15
	v_lshlrev_b32_e32 v68, 1, v0
	s_mov_b32 s14, 0
	s_mov_b64 s[12:13], 0
	v_mov_b32_e32 v5, 0
	v_pk_mov_b32 v[10:11], v[0:1], v[0:1] op_sel:[0,1]
.LBB681_175:                            ; =>This Inner Loop Header: Depth=1
	v_mov_b32_e32 v4, v10
	v_lshlrev_b64 v[88:89], 1, v[4:5]
	v_add_u32_e32 v72, 0x400, v11
	v_mov_b32_e32 v73, v5
	v_add_co_u32_e64 v88, s[0:1], v7, v88
	v_lshlrev_b64 v[72:73], 1, v[72:73]
	v_addc_co_u32_e64 v89, s[0:1], v9, v89, s[0:1]
	v_add_u32_e32 v70, 0x400, v12
	v_mov_b32_e32 v71, v5
	v_add_co_u32_e64 v72, s[0:1], v7, v72
	v_lshlrev_b64 v[70:71], 1, v[70:71]
	v_addc_co_u32_e64 v73, s[0:1], v9, v73, s[0:1]
	v_add_u32_e32 v2, 0x400, v13
	v_mov_b32_e32 v3, v5
	v_add_co_u32_e64 v70, s[0:1], v7, v70
	v_add_u32_e32 v16, -4, v16
	v_mov_b32_e32 v4, v11
	v_lshlrev_b64 v[2:3], 1, v[2:3]
	v_addc_co_u32_e64 v71, s[0:1], v9, v71, s[0:1]
	v_add_u32_e32 v80, 0x800, v11
	v_mov_b32_e32 v81, v5
	s_add_i32 s14, s14, 16
	v_cmp_eq_u32_e32 vcc, 0, v16
	v_lshlrev_b64 v[90:91], 1, v[4:5]
	v_add_co_u32_e64 v2, s[0:1], v7, v2
	v_lshlrev_b64 v[80:81], 1, v[80:81]
	v_mov_b32_e32 v4, v12
	v_addc_co_u32_e64 v3, s[0:1], v9, v3, s[0:1]
	s_or_b64 s[12:13], vcc, s[12:13]
	v_add_co_u32_e32 v90, vcc, v7, v90
	v_add_u32_e32 v76, 0x800, v12
	v_mov_b32_e32 v77, v5
	v_add_co_u32_e64 v80, s[0:1], v7, v80
	v_addc_co_u32_e32 v91, vcc, v9, v91, vcc
	v_lshlrev_b64 v[92:93], 1, v[4:5]
	v_lshlrev_b64 v[76:77], 1, v[76:77]
	v_addc_co_u32_e64 v81, s[0:1], v9, v81, s[0:1]
	v_mov_b32_e32 v4, v13
	v_add_co_u32_e32 v92, vcc, v7, v92
	ds_read_u16 v1, v68
	ds_read_u16 v78, v68 offset:512
	ds_read_u16 v96, v68 offset:1024
	;; [unrolled: 1-line block ×7, first 2 shown]
	v_add_u32_e32 v74, 0x800, v13
	v_mov_b32_e32 v75, v5
	v_add_co_u32_e64 v76, s[0:1], v7, v76
	v_addc_co_u32_e32 v93, vcc, v9, v93, vcc
	v_lshlrev_b64 v[94:95], 1, v[4:5]
	v_lshlrev_b64 v[74:75], 1, v[74:75]
	v_addc_co_u32_e64 v77, s[0:1], v9, v77, s[0:1]
	v_add_u32_e32 v4, 0x400, v10
	v_add_co_u32_e32 v94, vcc, v7, v94
	v_add_u32_e32 v86, 0xc00, v11
	v_mov_b32_e32 v87, v5
	ds_read_u16 v102, v68 offset:4096
	ds_read_u16 v103, v68 offset:4608
	;; [unrolled: 1-line block ×8, first 2 shown]
	v_add_co_u32_e64 v74, s[0:1], v7, v74
	v_addc_co_u32_e32 v95, vcc, v9, v95, vcc
	s_waitcnt lgkmcnt(14)
	global_store_short v[88:89], v1, off
	global_store_short v[90:91], v78, off
	s_waitcnt lgkmcnt(13)
	global_store_short v[92:93], v96, off
	v_lshlrev_b64 v[88:89], 1, v[4:5]
	v_lshlrev_b64 v[86:87], 1, v[86:87]
	v_addc_co_u32_e64 v75, s[0:1], v9, v75, s[0:1]
	v_add_u32_e32 v4, 0x800, v10
	v_add_co_u32_e32 v88, vcc, v7, v88
	v_add_u32_e32 v84, 0xc00, v12
	v_mov_b32_e32 v85, v5
	v_add_co_u32_e64 v86, s[0:1], v7, v86
	v_addc_co_u32_e32 v89, vcc, v9, v89, vcc
	v_lshlrev_b64 v[90:91], 1, v[4:5]
	v_lshlrev_b64 v[84:85], 1, v[84:85]
	v_addc_co_u32_e64 v87, s[0:1], v9, v87, s[0:1]
	s_waitcnt lgkmcnt(12)
	global_store_short v[94:95], v97, off
	v_add_u32_e32 v4, 0xc00, v10
	s_waitcnt lgkmcnt(11)
	global_store_short v[88:89], v98, off
	s_waitcnt lgkmcnt(10)
	global_store_short v[72:73], v99, off
	;; [unrolled: 2-line block ×4, first 2 shown]
	v_add_co_u32_e32 v2, vcc, v7, v90
	v_add_u32_e32 v82, 0xc00, v13
	v_mov_b32_e32 v83, v5
	v_add_co_u32_e64 v84, s[0:1], v7, v84
	v_addc_co_u32_e32 v3, vcc, v9, v91, vcc
	v_lshlrev_b64 v[70:71], 1, v[4:5]
	v_lshlrev_b64 v[82:83], 1, v[82:83]
	v_addc_co_u32_e64 v85, s[0:1], v9, v85, s[0:1]
	s_waitcnt lgkmcnt(7)
	global_store_short v[2:3], v102, off
	s_waitcnt lgkmcnt(6)
	global_store_short v[80:81], v103, off
	;; [unrolled: 2-line block ×4, first 2 shown]
	v_add_co_u32_e32 v2, vcc, v7, v70
	v_add_u32_e32 v68, 0x2000, v68
	v_add_u32_e32 v11, 0x1000, v11
	v_mov_b32_e32 v69, s14
	v_add_co_u32_e64 v82, s[0:1], v7, v82
	v_add_u32_e32 v12, 0x1000, v12
	v_add_u32_e32 v13, 0x1000, v13
	;; [unrolled: 1-line block ×3, first 2 shown]
	v_addc_co_u32_e32 v3, vcc, v9, v71, vcc
	v_addc_co_u32_e64 v83, s[0:1], v9, v83, s[0:1]
	s_waitcnt lgkmcnt(3)
	global_store_short v[2:3], v106, off
	s_waitcnt lgkmcnt(2)
	global_store_short v[86:87], v107, off
	;; [unrolled: 2-line block ×4, first 2 shown]
	s_andn2_b64 exec, exec, s[12:13]
	s_cbranch_execnz .LBB681_175
; %bb.176:
	s_or_b64 exec, exec, s[12:13]
.LBB681_177:
	s_or_b64 exec, exec, s[10:11]
	v_and_b32_e32 v1, 3, v15
	v_cmp_ne_u32_e32 vcc, 0, v1
	s_and_saveexec_b64 s[10:11], vcc
	s_cbranch_execz .LBB681_180
; %bb.178:
	v_lshlrev_b32_e32 v2, 1, v0
	v_lshl_or_b32 v4, v69, 9, v2
	s_mov_b64 s[12:13], 0
	v_mov_b32_e32 v3, 0
.LBB681_179:                            ; =>This Inner Loop Header: Depth=1
	v_mov_b32_e32 v2, v10
	v_add_u32_e32 v1, -1, v1
	v_lshlrev_b64 v[68:69], 1, v[2:3]
	v_mov_b32_e32 v2, v11
	v_cmp_eq_u32_e32 vcc, 0, v1
	v_lshlrev_b64 v[70:71], 1, v[2:3]
	ds_read_u16 v5, v4
	ds_read_u16 v15, v4 offset:512
	ds_read_u16 v16, v4 offset:1024
	;; [unrolled: 1-line block ×3, first 2 shown]
	v_mov_b32_e32 v2, v12
	s_or_b64 s[12:13], vcc, s[12:13]
	v_add_co_u32_e32 v70, vcc, v7, v70
	v_addc_co_u32_e32 v71, vcc, v9, v71, vcc
	v_lshlrev_b64 v[72:73], 1, v[2:3]
	v_mov_b32_e32 v2, v13
	v_add_co_u32_e32 v72, vcc, v7, v72
	v_add_co_u32_e64 v68, s[0:1], v7, v68
	v_addc_co_u32_e32 v73, vcc, v9, v73, vcc
	v_lshlrev_b64 v[74:75], 1, v[2:3]
	v_add_u32_e32 v10, 0x400, v10
	v_add_u32_e32 v4, 0x800, v4
	v_add_u32_e32 v11, 0x400, v11
	v_addc_co_u32_e64 v69, s[0:1], v9, v69, s[0:1]
	v_add_u32_e32 v12, 0x400, v12
	v_add_u32_e32 v13, 0x400, v13
	v_add_co_u32_e32 v74, vcc, v7, v74
	v_addc_co_u32_e32 v75, vcc, v9, v75, vcc
	s_waitcnt lgkmcnt(3)
	global_store_short v[68:69], v5, off
	s_waitcnt lgkmcnt(2)
	global_store_short v[70:71], v15, off
	;; [unrolled: 2-line block ×4, first 2 shown]
	s_andn2_b64 exec, exec, s[12:13]
	s_cbranch_execnz .LBB681_179
.LBB681_180:
	s_or_b64 exec, exec, s[10:11]
	v_add_u32_e32 v1, 1, v14
	v_and_b32_e32 v3, 0x1fffffc, v1
	v_cmp_ne_u32_e32 vcc, v1, v3
	v_lshl_or_b32 v2, v3, 8, v0
	s_orn2_b64 s[0:1], vcc, exec
.LBB681_181:
	s_or_b64 exec, exec, s[8:9]
	s_andn2_b64 s[4:5], s[4:5], exec
	s_and_b64 s[0:1], s[0:1], exec
	s_or_b64 s[4:5], s[4:5], s[0:1]
.LBB681_182:
	s_or_b64 exec, exec, s[6:7]
	s_and_b64 exec, exec, s[4:5]
	s_cbranch_execz .LBB681_185
; %bb.183:
	v_lshlrev_b32_e32 v1, 1, v2
	s_mov_b64 s[0:1], 0
	v_mov_b32_e32 v3, 0
.LBB681_184:                            ; =>This Inner Loop Header: Depth=1
	v_lshlrev_b64 v[4:5], 1, v[2:3]
	ds_read_u16 v10, v1
	v_add_co_u32_e32 v4, vcc, v7, v4
	v_add_u32_e32 v2, 0x100, v2
	v_addc_co_u32_e32 v5, vcc, v9, v5, vcc
	v_cmp_ge_u32_e32 vcc, v2, v6
	v_add_u32_e32 v1, 0x200, v1
	s_or_b64 s[0:1], vcc, s[0:1]
	s_waitcnt lgkmcnt(0)
	global_store_short v[4:5], v10, off
	s_andn2_b64 exec, exec, s[0:1]
	s_cbranch_execnz .LBB681_184
.LBB681_185:
	s_or_b64 exec, exec, s[2:3]
.LBB681_186:
	s_cmpk_lg_i32 s33, 0xf00
	s_cselect_b64 s[0:1], -1, 0
	v_cndmask_b32_e64 v1, 0, 1, s[36:37]
	s_and_b64 s[0:1], s[34:35], s[0:1]
	v_cmp_eq_u32_e32 vcc, 0, v0
	v_sub_u32_e32 v3, v6, v1
	v_cndmask_b32_e64 v2, 0, 1, s[0:1]
	s_and_b64 s[0:1], vcc, s[36:37]
	v_add_u32_e32 v7, v3, v2
	v_cndmask_b32_e64 v3, v79, 0, s[0:1]
	s_mul_hi_u32 s0, s33, 0x88888889
	s_lshr_b32 s0, s0, 3
	v_mad_i32_i24 v4, v0, -15, s33
	v_cmp_eq_u32_e32 vcc, s0, v0
	v_cmp_ne_u32_e64 s[0:1], 0, v4
	v_cndmask_b32_e64 v5, 1, v3, s[0:1]
	v_cmp_ne_u32_e64 s[0:1], 1, v4
	v_cndmask_b32_e64 v9, 1, v31, s[0:1]
	;; [unrolled: 2-line block ×15, first 2 shown]
	s_and_b64 vcc, s[34:35], vcc
	v_cndmask_b32_e32 v4, v17, v4, vcc
	v_cndmask_b32_e32 v17, v19, v72, vcc
	;; [unrolled: 1-line block ×15, first 2 shown]
	v_mov_b32_e32 v3, s53
	v_add_co_u32_e32 v9, vcc, s52, v64
	v_addc_co_u32_e32 v3, vcc, v3, v65, vcc
	v_add_co_u32_e32 v9, vcc, v9, v66
	v_addc_co_u32_e32 v14, vcc, v3, v67, vcc
	v_lshlrev_b32_e32 v3, 1, v1
	v_add_co_u32_e32 v3, vcc, v3, v9
	v_addc_co_u32_e32 v16, vcc, 0, v14, vcc
	v_add_co_u32_e32 v15, vcc, -2, v3
	v_addc_co_u32_e32 v16, vcc, -1, v16, vcc
	v_cmp_eq_u32_e32 vcc, 0, v5
	v_cmp_ne_u32_e64 s[28:29], 0, v5
	v_cndmask_b32_e64 v5, 1, 2, vcc
	v_cmp_eq_u32_e32 vcc, 0, v25
	v_cmp_ne_u32_e64 s[26:27], 0, v25
	v_cndmask_b32_e64 v25, 1, 2, vcc
	v_cmp_eq_u32_e32 vcc, 0, v10
	v_and_b32_e32 v5, v25, v5
	v_cmp_ne_u32_e64 s[24:25], 0, v10
	v_cndmask_b32_e64 v10, 1, 2, vcc
	v_cmp_eq_u32_e32 vcc, 0, v11
	v_and_b32_e32 v5, v5, v10
	v_cndmask_b32_e64 v10, 1, 2, vcc
	v_cmp_eq_u32_e32 vcc, 0, v12
	v_and_b32_e32 v5, v5, v10
	;; [unrolled: 3-line block ×12, first 2 shown]
	v_cmp_ne_u32_e64 s[0:1], 0, v4
	v_cndmask_b32_e64 v4, 1, 2, vcc
	s_movk_i32 s30, 0x100
	v_and_b32_e32 v4, v5, v4
	v_cmp_gt_u32_e32 vcc, s30, v7
	v_add_u32_e32 v3, v8, v1
	v_cmp_ne_u32_e64 s[22:23], 0, v11
	v_cmp_ne_u32_e64 s[20:21], 0, v12
	;; [unrolled: 1-line block ×11, first 2 shown]
	s_mov_b64 s[36:37], -1
	v_cmp_gt_i16_e64 s[30:31], 2, v4
	s_barrier
	s_cbranch_vccz .LBB681_193
; %bb.187:
	s_and_saveexec_b64 s[36:37], s[30:31]
	s_cbranch_execz .LBB681_192
; %bb.188:
	v_cmp_ne_u16_e32 vcc, 1, v4
	s_mov_b64 s[38:39], 0
	s_and_saveexec_b64 s[30:31], vcc
	s_xor_b64 s[30:31], exec, s[30:31]
	s_cbranch_execnz .LBB681_287
; %bb.189:
	s_andn2_saveexec_b64 s[30:31], s[30:31]
	s_cbranch_execnz .LBB681_303
.LBB681_190:
	s_or_b64 exec, exec, s[30:31]
	s_and_b64 exec, exec, s[38:39]
	s_cbranch_execz .LBB681_192
.LBB681_191:
	v_sub_u32_e32 v10, v34, v3
	v_mov_b32_e32 v11, 0
	v_lshlrev_b64 v[10:11], 1, v[10:11]
	v_add_co_u32_e32 v10, vcc, v15, v10
	v_addc_co_u32_e32 v11, vcc, v16, v11, vcc
	global_store_short v[10:11], v35, off
.LBB681_192:
	s_or_b64 exec, exec, s[36:37]
	s_mov_b64 s[36:37], 0
.LBB681_193:
	s_and_b64 vcc, exec, s[36:37]
	s_cbranch_vccz .LBB681_215
; %bb.194:
	v_cmp_gt_i16_e32 vcc, 2, v4
	s_and_saveexec_b64 s[30:31], vcc
	s_cbranch_execz .LBB681_199
; %bb.195:
	v_cmp_ne_u16_e32 vcc, 1, v4
	s_mov_b64 s[38:39], 0
	s_and_saveexec_b64 s[36:37], vcc
	s_xor_b64 s[36:37], exec, s[36:37]
	s_cbranch_execnz .LBB681_304
; %bb.196:
	s_andn2_saveexec_b64 s[0:1], s[36:37]
	s_cbranch_execnz .LBB681_320
.LBB681_197:
	s_or_b64 exec, exec, s[0:1]
	s_and_b64 exec, exec, s[38:39]
	s_cbranch_execz .LBB681_199
.LBB681_198:
	v_sub_u32_e32 v3, v34, v3
	v_lshlrev_b32_e32 v3, 1, v3
	ds_write_b16 v3, v35
.LBB681_199:
	s_or_b64 exec, exec, s[30:31]
	v_cmp_lt_u32_e32 vcc, v0, v7
	s_waitcnt lgkmcnt(0)
	s_barrier
	s_and_saveexec_b64 s[2:3], vcc
	s_cbranch_execz .LBB681_214
; %bb.200:
	v_add_u32_e32 v4, v6, v2
	v_xad_u32 v2, v0, -1, v4
	v_sub_u32_e32 v3, v2, v1
	s_movk_i32 s0, 0x1b00
	v_cmp_gt_u32_e64 s[4:5], s0, v3
	s_movk_i32 s0, 0x1aff
	v_cmp_lt_u32_e32 vcc, s0, v3
	v_mov_b32_e32 v2, v0
	s_and_saveexec_b64 s[6:7], vcc
	s_cbranch_execz .LBB681_211
; %bb.201:
	v_sub_u32_e32 v2, v0, v4
	v_add_u32_e32 v1, v2, v1
	v_or_b32_e32 v1, 0xff, v1
	v_cmp_ge_u32_e32 vcc, v1, v0
	s_mov_b64 s[0:1], -1
	v_mov_b32_e32 v2, v0
	s_and_saveexec_b64 s[8:9], vcc
	s_cbranch_execz .LBB681_210
; %bb.202:
	v_lshrrev_b32_e32 v17, 8, v3
	v_or_b32_e32 v3, 0x300, v0
	v_or_b32_e32 v2, 0x200, v0
	v_add_u32_e32 v4, -3, v17
	v_or_b32_e32 v1, 0x100, v0
	v_lshrrev_b32_e32 v5, 2, v4
	v_pk_mov_b32 v[12:13], v[2:3], v[2:3] op_sel:[0,1]
	v_add_u32_e32 v19, 1, v5
	v_cmp_lt_u32_e32 vcc, 11, v4
	v_mov_b32_e32 v22, 0
	v_lshlrev_b32_e32 v18, 1, v0
	v_pk_mov_b32 v[10:11], v[0:1], v[0:1] op_sel:[0,1]
	s_and_saveexec_b64 s[10:11], vcc
	s_cbranch_execz .LBB681_206
; %bb.203:
	v_pk_mov_b32 v[12:13], v[2:3], v[2:3] op_sel:[0,1]
	v_and_b32_e32 v20, 0x7ffffffc, v19
	s_mov_b32 s14, 0
	s_mov_b64 s[12:13], 0
	v_mov_b32_e32 v5, 0
	v_mov_b32_e32 v21, v18
	v_pk_mov_b32 v[10:11], v[0:1], v[0:1] op_sel:[0,1]
.LBB681_204:                            ; =>This Inner Loop Header: Depth=1
	v_mov_b32_e32 v4, v10
	v_lshlrev_b64 v[42:43], 1, v[4:5]
	v_add_u32_e32 v24, 0x400, v11
	v_mov_b32_e32 v25, v5
	v_add_co_u32_e64 v42, s[0:1], v15, v42
	v_lshlrev_b64 v[24:25], 1, v[24:25]
	v_addc_co_u32_e64 v43, s[0:1], v16, v43, s[0:1]
	v_add_u32_e32 v22, 0x400, v12
	v_mov_b32_e32 v23, v5
	v_add_co_u32_e64 v24, s[0:1], v15, v24
	v_lshlrev_b64 v[44:45], 1, v[22:23]
	v_addc_co_u32_e64 v25, s[0:1], v16, v25, s[0:1]
	v_add_u32_e32 v2, 0x400, v13
	v_mov_b32_e32 v3, v5
	v_add_co_u32_e64 v44, s[0:1], v15, v44
	v_add_u32_e32 v20, -4, v20
	v_mov_b32_e32 v4, v11
	v_lshlrev_b64 v[2:3], 1, v[2:3]
	v_addc_co_u32_e64 v45, s[0:1], v16, v45, s[0:1]
	v_add_u32_e32 v34, 0x800, v11
	v_mov_b32_e32 v35, v5
	s_add_i32 s14, s14, 16
	v_cmp_eq_u32_e32 vcc, 0, v20
	v_lshlrev_b64 v[46:47], 1, v[4:5]
	v_add_co_u32_e64 v2, s[0:1], v15, v2
	v_lshlrev_b64 v[34:35], 1, v[34:35]
	v_mov_b32_e32 v4, v12
	v_addc_co_u32_e64 v3, s[0:1], v16, v3, s[0:1]
	s_or_b64 s[12:13], vcc, s[12:13]
	v_add_co_u32_e32 v46, vcc, v15, v46
	v_add_u32_e32 v28, 0x800, v12
	v_mov_b32_e32 v29, v5
	v_add_co_u32_e64 v34, s[0:1], v15, v34
	v_addc_co_u32_e32 v47, vcc, v16, v47, vcc
	v_lshlrev_b64 v[48:49], 1, v[4:5]
	v_lshlrev_b64 v[28:29], 1, v[28:29]
	v_addc_co_u32_e64 v35, s[0:1], v16, v35, s[0:1]
	v_mov_b32_e32 v4, v13
	v_add_co_u32_e32 v48, vcc, v15, v48
	ds_read_u16 v1, v21
	ds_read_u16 v31, v21 offset:512
	ds_read_u16 v52, v21 offset:1024
	;; [unrolled: 1-line block ×7, first 2 shown]
	v_add_u32_e32 v26, 0x800, v13
	v_mov_b32_e32 v27, v5
	v_add_co_u32_e64 v28, s[0:1], v15, v28
	v_addc_co_u32_e32 v49, vcc, v16, v49, vcc
	v_lshlrev_b64 v[50:51], 1, v[4:5]
	v_lshlrev_b64 v[26:27], 1, v[26:27]
	v_addc_co_u32_e64 v29, s[0:1], v16, v29, s[0:1]
	v_add_u32_e32 v4, 0x400, v10
	v_add_co_u32_e32 v50, vcc, v15, v50
	v_add_u32_e32 v40, 0xc00, v11
	v_mov_b32_e32 v41, v5
	ds_read_u16 v58, v21 offset:4096
	ds_read_u16 v59, v21 offset:4608
	;; [unrolled: 1-line block ×8, first 2 shown]
	v_add_co_u32_e64 v26, s[0:1], v15, v26
	v_addc_co_u32_e32 v51, vcc, v16, v51, vcc
	s_waitcnt lgkmcnt(14)
	global_store_short v[42:43], v1, off
	global_store_short v[46:47], v31, off
	s_waitcnt lgkmcnt(13)
	global_store_short v[48:49], v52, off
	v_lshlrev_b64 v[42:43], 1, v[4:5]
	v_lshlrev_b64 v[40:41], 1, v[40:41]
	v_addc_co_u32_e64 v27, s[0:1], v16, v27, s[0:1]
	v_add_u32_e32 v4, 0x800, v10
	v_add_co_u32_e32 v42, vcc, v15, v42
	v_add_u32_e32 v38, 0xc00, v12
	v_mov_b32_e32 v39, v5
	v_add_co_u32_e64 v40, s[0:1], v15, v40
	v_addc_co_u32_e32 v43, vcc, v16, v43, vcc
	v_lshlrev_b64 v[46:47], 1, v[4:5]
	v_lshlrev_b64 v[38:39], 1, v[38:39]
	v_addc_co_u32_e64 v41, s[0:1], v16, v41, s[0:1]
	s_waitcnt lgkmcnt(12)
	global_store_short v[50:51], v53, off
	v_add_u32_e32 v4, 0xc00, v10
	s_waitcnt lgkmcnt(11)
	global_store_short v[42:43], v54, off
	s_waitcnt lgkmcnt(10)
	global_store_short v[24:25], v55, off
	s_waitcnt lgkmcnt(9)
	global_store_short v[44:45], v56, off
	s_waitcnt lgkmcnt(8)
	global_store_short v[2:3], v57, off
	v_add_co_u32_e32 v2, vcc, v15, v46
	v_add_u32_e32 v36, 0xc00, v13
	v_mov_b32_e32 v37, v5
	v_add_co_u32_e64 v38, s[0:1], v15, v38
	v_addc_co_u32_e32 v3, vcc, v16, v47, vcc
	v_lshlrev_b64 v[24:25], 1, v[4:5]
	v_lshlrev_b64 v[36:37], 1, v[36:37]
	v_addc_co_u32_e64 v39, s[0:1], v16, v39, s[0:1]
	s_waitcnt lgkmcnt(7)
	global_store_short v[2:3], v58, off
	s_waitcnt lgkmcnt(6)
	global_store_short v[34:35], v59, off
	;; [unrolled: 2-line block ×4, first 2 shown]
	v_add_co_u32_e32 v2, vcc, v15, v24
	v_add_u32_e32 v21, 0x2000, v21
	v_add_u32_e32 v11, 0x1000, v11
	v_mov_b32_e32 v22, s14
	v_add_co_u32_e64 v36, s[0:1], v15, v36
	v_add_u32_e32 v12, 0x1000, v12
	v_add_u32_e32 v13, 0x1000, v13
	v_add_u32_e32 v10, 0x1000, v10
	v_addc_co_u32_e32 v3, vcc, v16, v25, vcc
	v_addc_co_u32_e64 v37, s[0:1], v16, v37, s[0:1]
	s_waitcnt lgkmcnt(3)
	global_store_short v[2:3], v62, off
	s_waitcnt lgkmcnt(2)
	global_store_short v[40:41], v63, off
	;; [unrolled: 2-line block ×4, first 2 shown]
	s_andn2_b64 exec, exec, s[12:13]
	s_cbranch_execnz .LBB681_204
; %bb.205:
	s_or_b64 exec, exec, s[12:13]
.LBB681_206:
	s_or_b64 exec, exec, s[10:11]
	v_and_b32_e32 v1, 3, v19
	v_cmp_ne_u32_e32 vcc, 0, v1
	s_and_saveexec_b64 s[10:11], vcc
	s_cbranch_execz .LBB681_209
; %bb.207:
	v_lshl_or_b32 v4, v22, 9, v18
	s_mov_b64 s[12:13], 0
	v_mov_b32_e32 v3, 0
.LBB681_208:                            ; =>This Inner Loop Header: Depth=1
	v_mov_b32_e32 v2, v10
	v_add_u32_e32 v1, -1, v1
	v_lshlrev_b64 v[18:19], 1, v[2:3]
	v_mov_b32_e32 v2, v11
	v_cmp_eq_u32_e32 vcc, 0, v1
	v_lshlrev_b64 v[20:21], 1, v[2:3]
	ds_read_u16 v5, v4
	ds_read_u16 v26, v4 offset:512
	ds_read_u16 v27, v4 offset:1024
	;; [unrolled: 1-line block ×3, first 2 shown]
	v_mov_b32_e32 v2, v12
	s_or_b64 s[12:13], vcc, s[12:13]
	v_add_co_u32_e32 v20, vcc, v15, v20
	v_addc_co_u32_e32 v21, vcc, v16, v21, vcc
	v_lshlrev_b64 v[22:23], 1, v[2:3]
	v_mov_b32_e32 v2, v13
	v_add_co_u32_e32 v22, vcc, v15, v22
	v_add_co_u32_e64 v18, s[0:1], v15, v18
	v_addc_co_u32_e32 v23, vcc, v16, v23, vcc
	v_lshlrev_b64 v[24:25], 1, v[2:3]
	v_add_u32_e32 v10, 0x400, v10
	v_add_u32_e32 v4, 0x800, v4
	;; [unrolled: 1-line block ×3, first 2 shown]
	v_addc_co_u32_e64 v19, s[0:1], v16, v19, s[0:1]
	v_add_u32_e32 v12, 0x400, v12
	v_add_u32_e32 v13, 0x400, v13
	v_add_co_u32_e32 v24, vcc, v15, v24
	v_addc_co_u32_e32 v25, vcc, v16, v25, vcc
	s_waitcnt lgkmcnt(3)
	global_store_short v[18:19], v5, off
	s_waitcnt lgkmcnt(2)
	global_store_short v[20:21], v26, off
	s_waitcnt lgkmcnt(1)
	global_store_short v[22:23], v27, off
	s_waitcnt lgkmcnt(0)
	global_store_short v[24:25], v28, off
	s_andn2_b64 exec, exec, s[12:13]
	s_cbranch_execnz .LBB681_208
.LBB681_209:
	s_or_b64 exec, exec, s[10:11]
	v_add_u32_e32 v1, 1, v17
	v_and_b32_e32 v3, 0x1fffffc, v1
	v_cmp_ne_u32_e32 vcc, v1, v3
	v_lshl_or_b32 v2, v3, 8, v0
	s_orn2_b64 s[0:1], vcc, exec
.LBB681_210:
	s_or_b64 exec, exec, s[8:9]
	s_andn2_b64 s[4:5], s[4:5], exec
	s_and_b64 s[0:1], s[0:1], exec
	s_or_b64 s[4:5], s[4:5], s[0:1]
.LBB681_211:
	s_or_b64 exec, exec, s[6:7]
	s_and_b64 exec, exec, s[4:5]
	s_cbranch_execz .LBB681_214
; %bb.212:
	v_lshlrev_b32_e32 v1, 1, v2
	s_mov_b64 s[0:1], 0
	v_mov_b32_e32 v3, 0
.LBB681_213:                            ; =>This Inner Loop Header: Depth=1
	v_lshlrev_b64 v[4:5], 1, v[2:3]
	ds_read_u16 v10, v1
	v_add_co_u32_e32 v4, vcc, v15, v4
	v_add_u32_e32 v2, 0x100, v2
	v_addc_co_u32_e32 v5, vcc, v16, v5, vcc
	v_cmp_ge_u32_e32 vcc, v2, v7
	v_add_u32_e32 v1, 0x200, v1
	s_or_b64 s[0:1], vcc, s[0:1]
	s_waitcnt lgkmcnt(0)
	global_store_short v[4:5], v10, off
	s_andn2_b64 exec, exec, s[0:1]
	s_cbranch_execnz .LBB681_213
.LBB681_214:
	s_or_b64 exec, exec, s[2:3]
.LBB681_215:
	s_movk_i32 s0, 0xff
	v_cmp_eq_u32_e32 vcc, s0, v0
	s_and_b64 s[0:1], vcc, s[34:35]
	s_and_saveexec_b64 s[2:3], s[0:1]
	s_cbranch_execz .LBB681_218
; %bb.216:
	v_add_co_u32_e32 v0, vcc, v6, v8
	v_addc_co_u32_e64 v1, s[0:1], 0, 0, vcc
	v_add_co_u32_e32 v0, vcc, v0, v32
	v_mov_b32_e32 v7, 0
	v_addc_co_u32_e32 v1, vcc, v1, v33, vcc
	s_cmpk_lg_i32 s33, 0xf00
	global_store_dwordx2 v7, v[0:1], s[54:55]
	s_cbranch_scc1 .LBB681_218
; %bb.217:
	v_lshlrev_b64 v[0:1], 1, v[6:7]
	v_add_co_u32_e32 v0, vcc, v9, v0
	v_addc_co_u32_e32 v1, vcc, v14, v1, vcc
	global_store_short v[0:1], v30, off offset:-2
.LBB681_218:
	s_endpgm
.LBB681_219:
                                        ; implicit-def: $sgpr4_sgpr5
                                        ; implicit-def: $vgpr17
                                        ; implicit-def: $vgpr19
                                        ; implicit-def: $vgpr18
                                        ; implicit-def: $vgpr21
                                        ; implicit-def: $vgpr20
                                        ; implicit-def: $vgpr23
                                        ; implicit-def: $vgpr22
                                        ; implicit-def: $vgpr25
                                        ; implicit-def: $vgpr24
                                        ; implicit-def: $vgpr27
                                        ; implicit-def: $vgpr26
                                        ; implicit-def: $vgpr29
                                        ; implicit-def: $vgpr28
                                        ; implicit-def: $vgpr31
	s_cbranch_execz .LBB681_109
.LBB681_220:
	v_mad_u32_u24 v18, v0, 15, 14
	v_mov_b32_e32 v19, 0
	s_waitcnt vmcnt(0) lgkmcnt(0)
	v_lshlrev_b32_e32 v8, 1, v0
	v_lshrrev_b32_e32 v7, 16, v16
	v_mul_u32_u24_e32 v6, 15, v0
	v_cmp_gt_u64_e32 vcc, s[2:3], v[18:19]
	v_mov_b32_e32 v17, 0
	ds_write_b16 v8, v7
	s_and_saveexec_b64 s[4:5], vcc
; %bb.221:
	s_movk_i32 s7, 0x6667
	v_mul_i32_i24_sdwa v9, sext(v16), s7 dst_sel:DWORD dst_unused:UNUSED_PAD src0_sel:WORD_0 src1_sel:DWORD
	v_lshrrev_b32_e32 v10, 31, v9
	v_ashrrev_i32_e32 v9, 18, v9
	v_mul_i32_i24_sdwa v7, sext(v7), s7 dst_sel:DWORD dst_unused:UNUSED_PAD src0_sel:WORD_0 src1_sel:DWORD
	v_add_u16_e32 v9, v9, v10
	v_lshrrev_b32_e32 v10, 31, v7
	v_ashrrev_i32_e32 v7, 18, v7
	v_add_u16_e32 v7, v7, v10
	v_cmp_ne_u16_e32 vcc, v9, v7
	v_cndmask_b32_e64 v17, 0, 1, vcc
; %bb.222:
	s_or_b64 exec, exec, s[4:5]
	v_add_u32_e32 v18, 13, v6
	v_cmp_gt_u64_e32 vcc, s[2:3], v[18:19]
	s_and_saveexec_b64 s[4:5], vcc
; %bb.223:
	s_movk_i32 s7, 0x6667
	v_mul_i32_i24_sdwa v7, sext(v15), s7 dst_sel:DWORD dst_unused:UNUSED_PAD src0_sel:WORD_1 src1_sel:DWORD
	v_lshrrev_b32_e32 v9, 31, v7
	v_ashrrev_i32_e32 v7, 18, v7
	v_add_u16_e32 v7, v7, v9
	v_mul_i32_i24_sdwa v9, sext(v16), s7 dst_sel:DWORD dst_unused:UNUSED_PAD src0_sel:WORD_0 src1_sel:DWORD
	v_lshrrev_b32_e32 v10, 31, v9
	v_ashrrev_i32_e32 v9, 18, v9
	v_add_u16_e32 v9, v9, v10
	v_cmp_ne_u16_e32 vcc, v7, v9
	v_cndmask_b32_e64 v19, 0, 1, vcc
; %bb.224:
	s_or_b64 exec, exec, s[4:5]
	v_add_u32_e32 v20, 12, v6
	v_mov_b32_e32 v21, 0
	v_cmp_gt_u64_e32 vcc, s[2:3], v[20:21]
	v_mov_b32_e32 v18, 0
	s_and_saveexec_b64 s[4:5], vcc
; %bb.225:
	s_movk_i32 s7, 0x6667
	v_mul_i32_i24_sdwa v7, sext(v15), s7 dst_sel:DWORD dst_unused:UNUSED_PAD src0_sel:WORD_0 src1_sel:DWORD
	v_lshrrev_b32_e32 v9, 31, v7
	v_ashrrev_i32_e32 v7, 18, v7
	v_add_u16_e32 v7, v7, v9
	v_mul_i32_i24_sdwa v9, sext(v15), s7 dst_sel:DWORD dst_unused:UNUSED_PAD src0_sel:WORD_1 src1_sel:DWORD
	v_lshrrev_b32_e32 v10, 31, v9
	v_ashrrev_i32_e32 v9, 18, v9
	v_add_u16_e32 v9, v9, v10
	v_cmp_ne_u16_e32 vcc, v7, v9
	v_cndmask_b32_e64 v18, 0, 1, vcc
; %bb.226:
	s_or_b64 exec, exec, s[4:5]
	v_add_u32_e32 v20, 11, v6
	v_cmp_gt_u64_e32 vcc, s[2:3], v[20:21]
	s_and_saveexec_b64 s[4:5], vcc
; %bb.227:
	s_movk_i32 s7, 0x6667
	v_mul_i32_i24_sdwa v7, sext(v14), s7 dst_sel:DWORD dst_unused:UNUSED_PAD src0_sel:WORD_1 src1_sel:DWORD
	v_lshrrev_b32_e32 v9, 31, v7
	v_ashrrev_i32_e32 v7, 18, v7
	v_add_u16_e32 v7, v7, v9
	v_mul_i32_i24_sdwa v9, sext(v15), s7 dst_sel:DWORD dst_unused:UNUSED_PAD src0_sel:WORD_0 src1_sel:DWORD
	v_lshrrev_b32_e32 v10, 31, v9
	v_ashrrev_i32_e32 v9, 18, v9
	v_add_u16_e32 v9, v9, v10
	v_cmp_ne_u16_e32 vcc, v7, v9
	v_cndmask_b32_e64 v21, 0, 1, vcc
; %bb.228:
	s_or_b64 exec, exec, s[4:5]
	v_add_u32_e32 v22, 10, v6
	v_mov_b32_e32 v23, 0
	v_cmp_gt_u64_e32 vcc, s[2:3], v[22:23]
	v_mov_b32_e32 v20, 0
	s_and_saveexec_b64 s[4:5], vcc
; %bb.229:
	s_movk_i32 s7, 0x6667
	v_mul_i32_i24_sdwa v7, sext(v14), s7 dst_sel:DWORD dst_unused:UNUSED_PAD src0_sel:WORD_0 src1_sel:DWORD
	v_lshrrev_b32_e32 v9, 31, v7
	v_ashrrev_i32_e32 v7, 18, v7
	v_add_u16_e32 v7, v7, v9
	v_mul_i32_i24_sdwa v9, sext(v14), s7 dst_sel:DWORD dst_unused:UNUSED_PAD src0_sel:WORD_1 src1_sel:DWORD
	;; [unrolled: 36-line block ×6, first 2 shown]
	v_lshrrev_b32_e32 v10, 31, v9
	v_ashrrev_i32_e32 v9, 18, v9
	v_add_u16_e32 v9, v9, v10
	v_cmp_ne_u16_e32 vcc, v7, v9
	v_cndmask_b32_e64 v28, 0, 1, vcc
; %bb.246:
	s_or_b64 exec, exec, s[4:5]
	v_add_u32_e32 v30, 1, v6
	v_cmp_gt_u64_e32 vcc, s[2:3], v[30:31]
	s_and_saveexec_b64 s[4:5], vcc
; %bb.247:
	s_movk_i32 s7, 0x6667
	v_mul_i32_i24_sdwa v7, sext(v1), s7 dst_sel:DWORD dst_unused:UNUSED_PAD src0_sel:WORD_0 src1_sel:DWORD
	v_lshrrev_b32_e32 v9, 31, v7
	v_ashrrev_i32_e32 v7, 18, v7
	v_add_u16_e32 v7, v7, v9
	v_mul_i32_i24_sdwa v9, sext(v2), s7 dst_sel:DWORD dst_unused:UNUSED_PAD src0_sel:WORD_0 src1_sel:DWORD
	v_lshrrev_b32_e32 v10, 31, v9
	v_ashrrev_i32_e32 v9, 18, v9
	v_add_u16_e32 v9, v9, v10
	v_cmp_ne_u16_e32 vcc, v7, v9
	v_cndmask_b32_e64 v31, 0, 1, vcc
; %bb.248:
	s_or_b64 exec, exec, s[4:5]
	v_cmp_ne_u32_e32 vcc, 0, v0
	s_waitcnt lgkmcnt(0)
	s_barrier
	s_waitcnt lgkmcnt(0)
                                        ; implicit-def: $sgpr4_sgpr5
	s_and_saveexec_b64 s[8:9], vcc
	s_cbranch_execz .LBB681_252
; %bb.249:
	v_mov_b32_e32 v7, 0
	v_cmp_gt_u64_e32 vcc, s[2:3], v[6:7]
	s_mov_b64 s[4:5], 0
	s_and_saveexec_b64 s[2:3], vcc
	s_cbranch_execz .LBB681_251
; %bb.250:
	v_add_u32_e32 v6, -2, v8
	ds_read_i16 v6, v6
	s_movk_i32 s4, 0x6667
	v_mul_i32_i24_sdwa v7, sext(v1), s4 dst_sel:DWORD dst_unused:UNUSED_PAD src0_sel:WORD_0 src1_sel:DWORD
	v_lshrrev_b32_e32 v8, 31, v7
	v_ashrrev_i32_e32 v7, 18, v7
	s_waitcnt lgkmcnt(0)
	v_mul_i32_i24_e32 v6, 0x6667, v6
	v_lshrrev_b32_e32 v9, 31, v6
	v_ashrrev_i32_e32 v6, 18, v6
	v_add_u16_e32 v6, v6, v9
	v_add_u16_e32 v7, v7, v8
	v_cmp_ne_u16_e32 vcc, v6, v7
	s_and_b64 s[4:5], vcc, exec
.LBB681_251:
	s_or_b64 exec, exec, s[2:3]
	s_and_b64 s[4:5], s[4:5], exec
	s_or_b64 s[0:1], s[0:1], exec
.LBB681_252:
	s_or_b64 exec, exec, s[8:9]
	s_mov_b32 s8, 1
	v_mov_b32_e32 v79, s8
	s_and_saveexec_b64 s[2:3], s[0:1]
	s_cbranch_execnz .LBB681_111
	s_branch .LBB681_112
.LBB681_253:
	s_and_saveexec_b64 s[40:41], s[28:29]
	s_cbranch_execnz .LBB681_321
; %bb.254:
	s_or_b64 exec, exec, s[40:41]
	s_and_saveexec_b64 s[40:41], s[26:27]
	s_cbranch_execnz .LBB681_322
.LBB681_255:
	s_or_b64 exec, exec, s[40:41]
	s_and_saveexec_b64 s[40:41], s[24:25]
	s_cbranch_execnz .LBB681_323
.LBB681_256:
	s_or_b64 exec, exec, s[40:41]
	s_and_saveexec_b64 s[40:41], s[22:23]
	s_cbranch_execnz .LBB681_324
.LBB681_257:
	s_or_b64 exec, exec, s[40:41]
	s_and_saveexec_b64 s[40:41], s[20:21]
	s_cbranch_execnz .LBB681_325
.LBB681_258:
	s_or_b64 exec, exec, s[40:41]
	s_and_saveexec_b64 s[40:41], s[18:19]
	s_cbranch_execnz .LBB681_326
.LBB681_259:
	s_or_b64 exec, exec, s[40:41]
	s_and_saveexec_b64 s[40:41], s[16:17]
	s_cbranch_execnz .LBB681_327
.LBB681_260:
	s_or_b64 exec, exec, s[40:41]
	s_and_saveexec_b64 s[40:41], s[14:15]
	s_cbranch_execnz .LBB681_328
.LBB681_261:
	s_or_b64 exec, exec, s[40:41]
	s_and_saveexec_b64 s[40:41], s[12:13]
	s_cbranch_execnz .LBB681_329
.LBB681_262:
	s_or_b64 exec, exec, s[40:41]
	s_and_saveexec_b64 s[40:41], s[10:11]
	s_cbranch_execnz .LBB681_330
.LBB681_263:
	s_or_b64 exec, exec, s[40:41]
	s_and_saveexec_b64 s[40:41], s[8:9]
	s_cbranch_execnz .LBB681_331
.LBB681_264:
	s_or_b64 exec, exec, s[40:41]
	s_and_saveexec_b64 s[40:41], s[6:7]
	s_cbranch_execnz .LBB681_332
.LBB681_265:
	s_or_b64 exec, exec, s[40:41]
	s_and_saveexec_b64 s[40:41], s[4:5]
	s_cbranch_execnz .LBB681_333
.LBB681_266:
	s_or_b64 exec, exec, s[40:41]
	s_and_saveexec_b64 s[40:41], s[2:3]
	s_cbranch_execz .LBB681_268
.LBB681_267:
	v_sub_u32_e32 v12, v36, v8
	v_mov_b32_e32 v13, 0
	v_lshlrev_b64 v[12:13], 1, v[12:13]
	v_add_co_u32_e32 v12, vcc, v7, v12
	v_addc_co_u32_e32 v13, vcc, v9, v13, vcc
	global_store_short v[12:13], v16, off
.LBB681_268:
	s_or_b64 exec, exec, s[40:41]
	s_and_b64 s[40:41], s[0:1], exec
	s_andn2_saveexec_b64 s[30:31], s[30:31]
	s_cbranch_execz .LBB681_161
.LBB681_269:
	v_sub_u32_e32 v12, v62, v8
	v_mov_b32_e32 v13, 0
	v_lshlrev_b64 v[68:69], 1, v[12:13]
	v_add_co_u32_e32 v68, vcc, v7, v68
	v_addc_co_u32_e32 v69, vcc, v9, v69, vcc
	v_sub_u32_e32 v12, v60, v8
	global_store_short v[68:69], v1, off
	v_lshlrev_b64 v[68:69], 1, v[12:13]
	v_add_co_u32_e32 v68, vcc, v7, v68
	v_addc_co_u32_e32 v69, vcc, v9, v69, vcc
	v_sub_u32_e32 v12, v58, v8
	global_store_short v[68:69], v2, off
	v_lshlrev_b64 v[68:69], 1, v[12:13]
	v_add_co_u32_e32 v68, vcc, v7, v68
	v_addc_co_u32_e32 v69, vcc, v9, v69, vcc
	v_sub_u32_e32 v12, v56, v8
	global_store_short_d16_hi v[68:69], v2, off
	v_lshlrev_b64 v[68:69], 1, v[12:13]
	v_add_co_u32_e32 v68, vcc, v7, v68
	v_addc_co_u32_e32 v69, vcc, v9, v69, vcc
	v_sub_u32_e32 v12, v54, v8
	global_store_short v[68:69], v3, off
	v_lshlrev_b64 v[68:69], 1, v[12:13]
	v_add_co_u32_e32 v68, vcc, v7, v68
	v_addc_co_u32_e32 v69, vcc, v9, v69, vcc
	v_sub_u32_e32 v12, v52, v8
	global_store_short_d16_hi v[68:69], v3, off
	;; [unrolled: 10-line block ×5, first 2 shown]
	v_lshlrev_b64 v[68:69], 1, v[12:13]
	v_add_co_u32_e32 v68, vcc, v7, v68
	v_addc_co_u32_e32 v69, vcc, v9, v69, vcc
	v_sub_u32_e32 v12, v38, v8
	global_store_short v[68:69], v15, off
	v_lshlrev_b64 v[68:69], 1, v[12:13]
	v_add_co_u32_e32 v68, vcc, v7, v68
	v_sub_u32_e32 v12, v36, v8
	v_addc_co_u32_e32 v69, vcc, v9, v69, vcc
	v_lshlrev_b64 v[12:13], 1, v[12:13]
	v_add_co_u32_e32 v12, vcc, v7, v12
	v_addc_co_u32_e32 v13, vcc, v9, v13, vcc
	s_or_b64 s[40:41], s[40:41], exec
	global_store_short_d16_hi v[68:69], v15, off
	global_store_short v[12:13], v16, off
	s_or_b64 exec, exec, s[30:31]
	s_and_b64 exec, exec, s[40:41]
	s_cbranch_execnz .LBB681_162
	s_branch .LBB681_163
.LBB681_270:
	s_and_saveexec_b64 s[40:41], s[28:29]
	s_cbranch_execnz .LBB681_334
; %bb.271:
	s_or_b64 exec, exec, s[40:41]
	s_and_saveexec_b64 s[28:29], s[26:27]
	s_cbranch_execnz .LBB681_335
.LBB681_272:
	s_or_b64 exec, exec, s[28:29]
	s_and_saveexec_b64 s[26:27], s[24:25]
	s_cbranch_execnz .LBB681_336
.LBB681_273:
	s_or_b64 exec, exec, s[26:27]
	s_and_saveexec_b64 s[24:25], s[22:23]
	s_cbranch_execnz .LBB681_337
.LBB681_274:
	s_or_b64 exec, exec, s[24:25]
	s_and_saveexec_b64 s[22:23], s[20:21]
	s_cbranch_execnz .LBB681_338
.LBB681_275:
	s_or_b64 exec, exec, s[22:23]
	s_and_saveexec_b64 s[20:21], s[18:19]
	s_cbranch_execnz .LBB681_339
.LBB681_276:
	s_or_b64 exec, exec, s[20:21]
	s_and_saveexec_b64 s[18:19], s[16:17]
	s_cbranch_execnz .LBB681_340
.LBB681_277:
	s_or_b64 exec, exec, s[18:19]
	s_and_saveexec_b64 s[16:17], s[14:15]
	s_cbranch_execnz .LBB681_341
.LBB681_278:
	s_or_b64 exec, exec, s[16:17]
	s_and_saveexec_b64 s[14:15], s[12:13]
	s_cbranch_execnz .LBB681_342
.LBB681_279:
	s_or_b64 exec, exec, s[14:15]
	s_and_saveexec_b64 s[12:13], s[10:11]
	s_cbranch_execnz .LBB681_343
.LBB681_280:
	s_or_b64 exec, exec, s[12:13]
	s_and_saveexec_b64 s[10:11], s[8:9]
	s_cbranch_execnz .LBB681_344
.LBB681_281:
	s_or_b64 exec, exec, s[10:11]
	s_and_saveexec_b64 s[8:9], s[6:7]
	s_cbranch_execnz .LBB681_345
.LBB681_282:
	s_or_b64 exec, exec, s[8:9]
	s_and_saveexec_b64 s[6:7], s[4:5]
	s_cbranch_execnz .LBB681_346
.LBB681_283:
	s_or_b64 exec, exec, s[6:7]
	s_and_saveexec_b64 s[4:5], s[2:3]
	s_cbranch_execz .LBB681_285
.LBB681_284:
	v_sub_u32_e32 v1, v36, v8
	v_lshlrev_b32_e32 v1, 1, v1
	ds_write_b16 v1, v16
.LBB681_285:
	s_or_b64 exec, exec, s[4:5]
	s_and_b64 s[40:41], s[0:1], exec
                                        ; implicit-def: $vgpr1
                                        ; implicit-def: $vgpr2
	s_andn2_saveexec_b64 s[0:1], s[38:39]
	s_cbranch_execz .LBB681_168
.LBB681_286:
	v_sub_u32_e32 v10, v62, v8
	v_lshlrev_b32_e32 v10, 1, v10
	ds_write_b16 v10, v1
	v_sub_u32_e32 v1, v60, v8
	v_lshlrev_b32_e32 v1, 1, v1
	ds_write_b16 v1, v2
	v_sub_u32_e32 v1, v58, v8
	v_lshlrev_b32_e32 v1, 1, v1
	ds_write_b16_d16_hi v1, v2
	v_sub_u32_e32 v1, v56, v8
	v_lshlrev_b32_e32 v1, 1, v1
	ds_write_b16 v1, v3
	v_sub_u32_e32 v1, v54, v8
	v_lshlrev_b32_e32 v1, 1, v1
	ds_write_b16_d16_hi v1, v3
	;; [unrolled: 6-line block ×6, first 2 shown]
	v_sub_u32_e32 v1, v36, v8
	v_lshlrev_b32_e32 v1, 1, v1
	s_or_b64 s[40:41], s[40:41], exec
	ds_write_b16 v1, v16
	s_or_b64 exec, exec, s[0:1]
	s_and_b64 exec, exec, s[40:41]
	s_cbranch_execnz .LBB681_169
	s_branch .LBB681_170
.LBB681_287:
	s_and_saveexec_b64 s[38:39], s[28:29]
	s_cbranch_execnz .LBB681_347
; %bb.288:
	s_or_b64 exec, exec, s[38:39]
	s_and_saveexec_b64 s[38:39], s[26:27]
	s_cbranch_execnz .LBB681_348
.LBB681_289:
	s_or_b64 exec, exec, s[38:39]
	s_and_saveexec_b64 s[38:39], s[24:25]
	s_cbranch_execnz .LBB681_349
.LBB681_290:
	s_or_b64 exec, exec, s[38:39]
	s_and_saveexec_b64 s[38:39], s[22:23]
	s_cbranch_execnz .LBB681_350
.LBB681_291:
	s_or_b64 exec, exec, s[38:39]
	s_and_saveexec_b64 s[38:39], s[20:21]
	s_cbranch_execnz .LBB681_351
.LBB681_292:
	s_or_b64 exec, exec, s[38:39]
	s_and_saveexec_b64 s[38:39], s[18:19]
	s_cbranch_execnz .LBB681_352
.LBB681_293:
	s_or_b64 exec, exec, s[38:39]
	s_and_saveexec_b64 s[38:39], s[16:17]
	s_cbranch_execnz .LBB681_353
.LBB681_294:
	s_or_b64 exec, exec, s[38:39]
	s_and_saveexec_b64 s[38:39], s[14:15]
	s_cbranch_execnz .LBB681_354
.LBB681_295:
	s_or_b64 exec, exec, s[38:39]
	s_and_saveexec_b64 s[38:39], s[12:13]
	s_cbranch_execnz .LBB681_355
.LBB681_296:
	s_or_b64 exec, exec, s[38:39]
	s_and_saveexec_b64 s[38:39], s[10:11]
	s_cbranch_execnz .LBB681_356
.LBB681_297:
	s_or_b64 exec, exec, s[38:39]
	s_and_saveexec_b64 s[38:39], s[8:9]
	s_cbranch_execnz .LBB681_357
.LBB681_298:
	s_or_b64 exec, exec, s[38:39]
	s_and_saveexec_b64 s[38:39], s[6:7]
	s_cbranch_execnz .LBB681_358
.LBB681_299:
	s_or_b64 exec, exec, s[38:39]
	s_and_saveexec_b64 s[38:39], s[4:5]
	s_cbranch_execnz .LBB681_359
.LBB681_300:
	s_or_b64 exec, exec, s[38:39]
	s_and_saveexec_b64 s[38:39], s[2:3]
	s_cbranch_execz .LBB681_302
.LBB681_301:
	v_sub_u32_e32 v10, v36, v3
	v_mov_b32_e32 v11, 0
	v_lshlrev_b64 v[10:11], 1, v[10:11]
	v_add_co_u32_e32 v10, vcc, v15, v10
	v_addc_co_u32_e32 v11, vcc, v16, v11, vcc
	global_store_short v[10:11], v37, off
.LBB681_302:
	s_or_b64 exec, exec, s[38:39]
	s_and_b64 s[38:39], s[0:1], exec
	s_andn2_saveexec_b64 s[30:31], s[30:31]
	s_cbranch_execz .LBB681_190
.LBB681_303:
	v_sub_u32_e32 v10, v62, v3
	v_mov_b32_e32 v11, 0
	v_lshlrev_b64 v[12:13], 1, v[10:11]
	v_add_co_u32_e32 v12, vcc, v15, v12
	v_addc_co_u32_e32 v13, vcc, v16, v13, vcc
	v_sub_u32_e32 v10, v60, v3
	global_store_short v[12:13], v63, off
	v_lshlrev_b64 v[12:13], 1, v[10:11]
	v_add_co_u32_e32 v12, vcc, v15, v12
	v_addc_co_u32_e32 v13, vcc, v16, v13, vcc
	v_sub_u32_e32 v10, v58, v3
	global_store_short v[12:13], v61, off
	;; [unrolled: 5-line block ×12, first 2 shown]
	v_lshlrev_b64 v[12:13], 1, v[10:11]
	v_add_co_u32_e32 v12, vcc, v15, v12
	v_sub_u32_e32 v10, v36, v3
	v_addc_co_u32_e32 v13, vcc, v16, v13, vcc
	v_lshlrev_b64 v[10:11], 1, v[10:11]
	v_add_co_u32_e32 v10, vcc, v15, v10
	v_addc_co_u32_e32 v11, vcc, v16, v11, vcc
	s_or_b64 s[38:39], s[38:39], exec
	global_store_short v[12:13], v39, off
	global_store_short v[10:11], v37, off
	s_or_b64 exec, exec, s[30:31]
	s_and_b64 exec, exec, s[38:39]
	s_cbranch_execnz .LBB681_191
	s_branch .LBB681_192
.LBB681_304:
	s_and_saveexec_b64 s[38:39], s[28:29]
	s_cbranch_execnz .LBB681_360
; %bb.305:
	s_or_b64 exec, exec, s[38:39]
	s_and_saveexec_b64 s[28:29], s[26:27]
	s_cbranch_execnz .LBB681_361
.LBB681_306:
	s_or_b64 exec, exec, s[28:29]
	s_and_saveexec_b64 s[26:27], s[24:25]
	s_cbranch_execnz .LBB681_362
.LBB681_307:
	s_or_b64 exec, exec, s[26:27]
	s_and_saveexec_b64 s[24:25], s[22:23]
	s_cbranch_execnz .LBB681_363
.LBB681_308:
	s_or_b64 exec, exec, s[24:25]
	s_and_saveexec_b64 s[22:23], s[20:21]
	s_cbranch_execnz .LBB681_364
.LBB681_309:
	s_or_b64 exec, exec, s[22:23]
	s_and_saveexec_b64 s[20:21], s[18:19]
	s_cbranch_execnz .LBB681_365
.LBB681_310:
	s_or_b64 exec, exec, s[20:21]
	s_and_saveexec_b64 s[18:19], s[16:17]
	s_cbranch_execnz .LBB681_366
.LBB681_311:
	s_or_b64 exec, exec, s[18:19]
	s_and_saveexec_b64 s[16:17], s[14:15]
	s_cbranch_execnz .LBB681_367
.LBB681_312:
	s_or_b64 exec, exec, s[16:17]
	s_and_saveexec_b64 s[14:15], s[12:13]
	s_cbranch_execnz .LBB681_368
.LBB681_313:
	s_or_b64 exec, exec, s[14:15]
	s_and_saveexec_b64 s[12:13], s[10:11]
	s_cbranch_execnz .LBB681_369
.LBB681_314:
	s_or_b64 exec, exec, s[12:13]
	s_and_saveexec_b64 s[10:11], s[8:9]
	s_cbranch_execnz .LBB681_370
.LBB681_315:
	s_or_b64 exec, exec, s[10:11]
	s_and_saveexec_b64 s[8:9], s[6:7]
	s_cbranch_execnz .LBB681_371
.LBB681_316:
	s_or_b64 exec, exec, s[8:9]
	s_and_saveexec_b64 s[6:7], s[4:5]
	s_cbranch_execnz .LBB681_372
.LBB681_317:
	s_or_b64 exec, exec, s[6:7]
	s_and_saveexec_b64 s[4:5], s[2:3]
	s_cbranch_execz .LBB681_319
.LBB681_318:
	v_sub_u32_e32 v4, v36, v3
	v_lshlrev_b32_e32 v4, 1, v4
	ds_write_b16 v4, v37
.LBB681_319:
	s_or_b64 exec, exec, s[4:5]
	s_and_b64 s[38:39], s[0:1], exec
                                        ; implicit-def: $vgpr62_vgpr63
                                        ; implicit-def: $vgpr60_vgpr61
                                        ; implicit-def: $vgpr58_vgpr59
                                        ; implicit-def: $vgpr56_vgpr57
                                        ; implicit-def: $vgpr54_vgpr55
                                        ; implicit-def: $vgpr52_vgpr53
                                        ; implicit-def: $vgpr50_vgpr51
                                        ; implicit-def: $vgpr48_vgpr49
                                        ; implicit-def: $vgpr46_vgpr47
                                        ; implicit-def: $vgpr44_vgpr45
                                        ; implicit-def: $vgpr42_vgpr43
                                        ; implicit-def: $vgpr40_vgpr41
                                        ; implicit-def: $vgpr38_vgpr39
                                        ; implicit-def: $vgpr36_vgpr37
	s_andn2_saveexec_b64 s[0:1], s[36:37]
	s_cbranch_execz .LBB681_197
.LBB681_320:
	v_sub_u32_e32 v4, v62, v3
	v_lshlrev_b32_e32 v4, 1, v4
	ds_write_b16 v4, v63
	v_sub_u32_e32 v4, v60, v3
	v_lshlrev_b32_e32 v4, 1, v4
	ds_write_b16 v4, v61
	;; [unrolled: 3-line block ×13, first 2 shown]
	v_sub_u32_e32 v4, v36, v3
	v_lshlrev_b32_e32 v4, 1, v4
	s_or_b64 s[38:39], s[38:39], exec
	ds_write_b16 v4, v37
	s_or_b64 exec, exec, s[0:1]
	s_and_b64 exec, exec, s[38:39]
	s_cbranch_execnz .LBB681_198
	s_branch .LBB681_199
.LBB681_321:
	v_sub_u32_e32 v12, v62, v8
	v_mov_b32_e32 v13, 0
	v_lshlrev_b64 v[12:13], 1, v[12:13]
	v_add_co_u32_e32 v12, vcc, v7, v12
	v_addc_co_u32_e32 v13, vcc, v9, v13, vcc
	global_store_short v[12:13], v1, off
	s_or_b64 exec, exec, s[40:41]
	s_and_saveexec_b64 s[40:41], s[26:27]
	s_cbranch_execz .LBB681_255
.LBB681_322:
	v_sub_u32_e32 v12, v60, v8
	v_mov_b32_e32 v13, 0
	v_lshlrev_b64 v[12:13], 1, v[12:13]
	v_add_co_u32_e32 v12, vcc, v7, v12
	v_addc_co_u32_e32 v13, vcc, v9, v13, vcc
	global_store_short v[12:13], v2, off
	s_or_b64 exec, exec, s[40:41]
	s_and_saveexec_b64 s[40:41], s[24:25]
	s_cbranch_execz .LBB681_256
.LBB681_323:
	v_sub_u32_e32 v12, v58, v8
	v_mov_b32_e32 v13, 0
	v_lshlrev_b64 v[12:13], 1, v[12:13]
	v_add_co_u32_e32 v12, vcc, v7, v12
	v_addc_co_u32_e32 v13, vcc, v9, v13, vcc
	global_store_short_d16_hi v[12:13], v2, off
	s_or_b64 exec, exec, s[40:41]
	s_and_saveexec_b64 s[40:41], s[22:23]
	s_cbranch_execz .LBB681_257
.LBB681_324:
	v_sub_u32_e32 v12, v56, v8
	v_mov_b32_e32 v13, 0
	v_lshlrev_b64 v[12:13], 1, v[12:13]
	v_add_co_u32_e32 v12, vcc, v7, v12
	v_addc_co_u32_e32 v13, vcc, v9, v13, vcc
	global_store_short v[12:13], v3, off
	s_or_b64 exec, exec, s[40:41]
	s_and_saveexec_b64 s[40:41], s[20:21]
	s_cbranch_execz .LBB681_258
.LBB681_325:
	v_sub_u32_e32 v12, v54, v8
	v_mov_b32_e32 v13, 0
	v_lshlrev_b64 v[12:13], 1, v[12:13]
	v_add_co_u32_e32 v12, vcc, v7, v12
	v_addc_co_u32_e32 v13, vcc, v9, v13, vcc
	global_store_short_d16_hi v[12:13], v3, off
	s_or_b64 exec, exec, s[40:41]
	s_and_saveexec_b64 s[40:41], s[18:19]
	s_cbranch_execz .LBB681_259
.LBB681_326:
	v_sub_u32_e32 v12, v52, v8
	v_mov_b32_e32 v13, 0
	v_lshlrev_b64 v[12:13], 1, v[12:13]
	v_add_co_u32_e32 v12, vcc, v7, v12
	v_addc_co_u32_e32 v13, vcc, v9, v13, vcc
	global_store_short v[12:13], v4, off
	s_or_b64 exec, exec, s[40:41]
	s_and_saveexec_b64 s[40:41], s[16:17]
	s_cbranch_execz .LBB681_260
.LBB681_327:
	v_sub_u32_e32 v12, v50, v8
	v_mov_b32_e32 v13, 0
	v_lshlrev_b64 v[12:13], 1, v[12:13]
	v_add_co_u32_e32 v12, vcc, v7, v12
	v_addc_co_u32_e32 v13, vcc, v9, v13, vcc
	global_store_short_d16_hi v[12:13], v4, off
	s_or_b64 exec, exec, s[40:41]
	s_and_saveexec_b64 s[40:41], s[14:15]
	s_cbranch_execz .LBB681_261
.LBB681_328:
	v_sub_u32_e32 v12, v48, v8
	v_mov_b32_e32 v13, 0
	v_lshlrev_b64 v[12:13], 1, v[12:13]
	v_add_co_u32_e32 v12, vcc, v7, v12
	v_addc_co_u32_e32 v13, vcc, v9, v13, vcc
	global_store_short v[12:13], v5, off
	s_or_b64 exec, exec, s[40:41]
	s_and_saveexec_b64 s[40:41], s[12:13]
	s_cbranch_execz .LBB681_262
.LBB681_329:
	v_sub_u32_e32 v12, v46, v8
	v_mov_b32_e32 v13, 0
	v_lshlrev_b64 v[12:13], 1, v[12:13]
	v_add_co_u32_e32 v12, vcc, v7, v12
	v_addc_co_u32_e32 v13, vcc, v9, v13, vcc
	global_store_short_d16_hi v[12:13], v5, off
	s_or_b64 exec, exec, s[40:41]
	s_and_saveexec_b64 s[40:41], s[10:11]
	s_cbranch_execz .LBB681_263
.LBB681_330:
	v_sub_u32_e32 v12, v44, v8
	v_mov_b32_e32 v13, 0
	v_lshlrev_b64 v[12:13], 1, v[12:13]
	v_add_co_u32_e32 v12, vcc, v7, v12
	v_addc_co_u32_e32 v13, vcc, v9, v13, vcc
	global_store_short v[12:13], v14, off
	s_or_b64 exec, exec, s[40:41]
	s_and_saveexec_b64 s[40:41], s[8:9]
	s_cbranch_execz .LBB681_264
.LBB681_331:
	v_sub_u32_e32 v12, v42, v8
	v_mov_b32_e32 v13, 0
	v_lshlrev_b64 v[12:13], 1, v[12:13]
	v_add_co_u32_e32 v12, vcc, v7, v12
	v_addc_co_u32_e32 v13, vcc, v9, v13, vcc
	global_store_short_d16_hi v[12:13], v14, off
	s_or_b64 exec, exec, s[40:41]
	s_and_saveexec_b64 s[40:41], s[6:7]
	s_cbranch_execz .LBB681_265
.LBB681_332:
	v_sub_u32_e32 v12, v40, v8
	v_mov_b32_e32 v13, 0
	v_lshlrev_b64 v[12:13], 1, v[12:13]
	v_add_co_u32_e32 v12, vcc, v7, v12
	v_addc_co_u32_e32 v13, vcc, v9, v13, vcc
	global_store_short v[12:13], v15, off
	s_or_b64 exec, exec, s[40:41]
	s_and_saveexec_b64 s[40:41], s[4:5]
	s_cbranch_execz .LBB681_266
.LBB681_333:
	v_sub_u32_e32 v12, v38, v8
	v_mov_b32_e32 v13, 0
	v_lshlrev_b64 v[12:13], 1, v[12:13]
	v_add_co_u32_e32 v12, vcc, v7, v12
	v_addc_co_u32_e32 v13, vcc, v9, v13, vcc
	global_store_short_d16_hi v[12:13], v15, off
	s_or_b64 exec, exec, s[40:41]
	s_and_saveexec_b64 s[40:41], s[2:3]
	s_cbranch_execnz .LBB681_267
	s_branch .LBB681_268
.LBB681_334:
	v_sub_u32_e32 v10, v62, v8
	v_lshlrev_b32_e32 v10, 1, v10
	ds_write_b16 v10, v1
	s_or_b64 exec, exec, s[40:41]
	s_and_saveexec_b64 s[28:29], s[26:27]
	s_cbranch_execz .LBB681_272
.LBB681_335:
	v_sub_u32_e32 v1, v60, v8
	v_lshlrev_b32_e32 v1, 1, v1
	ds_write_b16 v1, v2
	s_or_b64 exec, exec, s[28:29]
	s_and_saveexec_b64 s[26:27], s[24:25]
	s_cbranch_execz .LBB681_273
.LBB681_336:
	v_sub_u32_e32 v1, v58, v8
	v_lshlrev_b32_e32 v1, 1, v1
	ds_write_b16_d16_hi v1, v2
	s_or_b64 exec, exec, s[26:27]
	s_and_saveexec_b64 s[24:25], s[22:23]
	s_cbranch_execz .LBB681_274
.LBB681_337:
	v_sub_u32_e32 v1, v56, v8
	v_lshlrev_b32_e32 v1, 1, v1
	ds_write_b16 v1, v3
	s_or_b64 exec, exec, s[24:25]
	s_and_saveexec_b64 s[22:23], s[20:21]
	s_cbranch_execz .LBB681_275
.LBB681_338:
	v_sub_u32_e32 v1, v54, v8
	v_lshlrev_b32_e32 v1, 1, v1
	ds_write_b16_d16_hi v1, v3
	s_or_b64 exec, exec, s[22:23]
	s_and_saveexec_b64 s[20:21], s[18:19]
	s_cbranch_execz .LBB681_276
.LBB681_339:
	v_sub_u32_e32 v1, v52, v8
	v_lshlrev_b32_e32 v1, 1, v1
	ds_write_b16 v1, v4
	s_or_b64 exec, exec, s[20:21]
	s_and_saveexec_b64 s[18:19], s[16:17]
	s_cbranch_execz .LBB681_277
.LBB681_340:
	v_sub_u32_e32 v1, v50, v8
	v_lshlrev_b32_e32 v1, 1, v1
	ds_write_b16_d16_hi v1, v4
	s_or_b64 exec, exec, s[18:19]
	s_and_saveexec_b64 s[16:17], s[14:15]
	s_cbranch_execz .LBB681_278
.LBB681_341:
	v_sub_u32_e32 v1, v48, v8
	v_lshlrev_b32_e32 v1, 1, v1
	ds_write_b16 v1, v5
	s_or_b64 exec, exec, s[16:17]
	s_and_saveexec_b64 s[14:15], s[12:13]
	s_cbranch_execz .LBB681_279
.LBB681_342:
	v_sub_u32_e32 v1, v46, v8
	v_lshlrev_b32_e32 v1, 1, v1
	ds_write_b16_d16_hi v1, v5
	s_or_b64 exec, exec, s[14:15]
	s_and_saveexec_b64 s[12:13], s[10:11]
	s_cbranch_execz .LBB681_280
.LBB681_343:
	v_sub_u32_e32 v1, v44, v8
	v_lshlrev_b32_e32 v1, 1, v1
	ds_write_b16 v1, v14
	s_or_b64 exec, exec, s[12:13]
	s_and_saveexec_b64 s[10:11], s[8:9]
	s_cbranch_execz .LBB681_281
.LBB681_344:
	v_sub_u32_e32 v1, v42, v8
	v_lshlrev_b32_e32 v1, 1, v1
	ds_write_b16_d16_hi v1, v14
	s_or_b64 exec, exec, s[10:11]
	s_and_saveexec_b64 s[8:9], s[6:7]
	s_cbranch_execz .LBB681_282
.LBB681_345:
	v_sub_u32_e32 v1, v40, v8
	v_lshlrev_b32_e32 v1, 1, v1
	ds_write_b16 v1, v15
	s_or_b64 exec, exec, s[8:9]
	s_and_saveexec_b64 s[6:7], s[4:5]
	s_cbranch_execz .LBB681_283
.LBB681_346:
	v_sub_u32_e32 v1, v38, v8
	v_lshlrev_b32_e32 v1, 1, v1
	ds_write_b16_d16_hi v1, v15
	s_or_b64 exec, exec, s[6:7]
	s_and_saveexec_b64 s[4:5], s[2:3]
	s_cbranch_execnz .LBB681_284
	s_branch .LBB681_285
.LBB681_347:
	v_sub_u32_e32 v10, v62, v3
	v_mov_b32_e32 v11, 0
	v_lshlrev_b64 v[10:11], 1, v[10:11]
	v_add_co_u32_e32 v10, vcc, v15, v10
	v_addc_co_u32_e32 v11, vcc, v16, v11, vcc
	global_store_short v[10:11], v63, off
	s_or_b64 exec, exec, s[38:39]
	s_and_saveexec_b64 s[38:39], s[26:27]
	s_cbranch_execz .LBB681_289
.LBB681_348:
	v_sub_u32_e32 v10, v60, v3
	v_mov_b32_e32 v11, 0
	v_lshlrev_b64 v[10:11], 1, v[10:11]
	v_add_co_u32_e32 v10, vcc, v15, v10
	v_addc_co_u32_e32 v11, vcc, v16, v11, vcc
	global_store_short v[10:11], v61, off
	s_or_b64 exec, exec, s[38:39]
	s_and_saveexec_b64 s[38:39], s[24:25]
	s_cbranch_execz .LBB681_290
.LBB681_349:
	v_sub_u32_e32 v10, v58, v3
	v_mov_b32_e32 v11, 0
	v_lshlrev_b64 v[10:11], 1, v[10:11]
	v_add_co_u32_e32 v10, vcc, v15, v10
	v_addc_co_u32_e32 v11, vcc, v16, v11, vcc
	global_store_short v[10:11], v59, off
	s_or_b64 exec, exec, s[38:39]
	s_and_saveexec_b64 s[38:39], s[22:23]
	s_cbranch_execz .LBB681_291
.LBB681_350:
	v_sub_u32_e32 v10, v56, v3
	v_mov_b32_e32 v11, 0
	v_lshlrev_b64 v[10:11], 1, v[10:11]
	v_add_co_u32_e32 v10, vcc, v15, v10
	v_addc_co_u32_e32 v11, vcc, v16, v11, vcc
	global_store_short v[10:11], v57, off
	s_or_b64 exec, exec, s[38:39]
	s_and_saveexec_b64 s[38:39], s[20:21]
	s_cbranch_execz .LBB681_292
.LBB681_351:
	v_sub_u32_e32 v10, v54, v3
	v_mov_b32_e32 v11, 0
	v_lshlrev_b64 v[10:11], 1, v[10:11]
	v_add_co_u32_e32 v10, vcc, v15, v10
	v_addc_co_u32_e32 v11, vcc, v16, v11, vcc
	global_store_short v[10:11], v55, off
	s_or_b64 exec, exec, s[38:39]
	s_and_saveexec_b64 s[38:39], s[18:19]
	s_cbranch_execz .LBB681_293
.LBB681_352:
	v_sub_u32_e32 v10, v52, v3
	v_mov_b32_e32 v11, 0
	v_lshlrev_b64 v[10:11], 1, v[10:11]
	v_add_co_u32_e32 v10, vcc, v15, v10
	v_addc_co_u32_e32 v11, vcc, v16, v11, vcc
	global_store_short v[10:11], v53, off
	s_or_b64 exec, exec, s[38:39]
	s_and_saveexec_b64 s[38:39], s[16:17]
	s_cbranch_execz .LBB681_294
.LBB681_353:
	v_sub_u32_e32 v10, v50, v3
	v_mov_b32_e32 v11, 0
	v_lshlrev_b64 v[10:11], 1, v[10:11]
	v_add_co_u32_e32 v10, vcc, v15, v10
	v_addc_co_u32_e32 v11, vcc, v16, v11, vcc
	global_store_short v[10:11], v51, off
	s_or_b64 exec, exec, s[38:39]
	s_and_saveexec_b64 s[38:39], s[14:15]
	s_cbranch_execz .LBB681_295
.LBB681_354:
	v_sub_u32_e32 v10, v48, v3
	v_mov_b32_e32 v11, 0
	v_lshlrev_b64 v[10:11], 1, v[10:11]
	v_add_co_u32_e32 v10, vcc, v15, v10
	v_addc_co_u32_e32 v11, vcc, v16, v11, vcc
	global_store_short v[10:11], v49, off
	s_or_b64 exec, exec, s[38:39]
	s_and_saveexec_b64 s[38:39], s[12:13]
	s_cbranch_execz .LBB681_296
.LBB681_355:
	v_sub_u32_e32 v10, v46, v3
	v_mov_b32_e32 v11, 0
	v_lshlrev_b64 v[10:11], 1, v[10:11]
	v_add_co_u32_e32 v10, vcc, v15, v10
	v_addc_co_u32_e32 v11, vcc, v16, v11, vcc
	global_store_short v[10:11], v47, off
	s_or_b64 exec, exec, s[38:39]
	s_and_saveexec_b64 s[38:39], s[10:11]
	s_cbranch_execz .LBB681_297
.LBB681_356:
	v_sub_u32_e32 v10, v44, v3
	v_mov_b32_e32 v11, 0
	v_lshlrev_b64 v[10:11], 1, v[10:11]
	v_add_co_u32_e32 v10, vcc, v15, v10
	v_addc_co_u32_e32 v11, vcc, v16, v11, vcc
	global_store_short v[10:11], v45, off
	s_or_b64 exec, exec, s[38:39]
	s_and_saveexec_b64 s[38:39], s[8:9]
	s_cbranch_execz .LBB681_298
.LBB681_357:
	v_sub_u32_e32 v10, v42, v3
	v_mov_b32_e32 v11, 0
	v_lshlrev_b64 v[10:11], 1, v[10:11]
	v_add_co_u32_e32 v10, vcc, v15, v10
	v_addc_co_u32_e32 v11, vcc, v16, v11, vcc
	global_store_short v[10:11], v43, off
	s_or_b64 exec, exec, s[38:39]
	s_and_saveexec_b64 s[38:39], s[6:7]
	s_cbranch_execz .LBB681_299
.LBB681_358:
	v_sub_u32_e32 v10, v40, v3
	v_mov_b32_e32 v11, 0
	v_lshlrev_b64 v[10:11], 1, v[10:11]
	v_add_co_u32_e32 v10, vcc, v15, v10
	v_addc_co_u32_e32 v11, vcc, v16, v11, vcc
	global_store_short v[10:11], v41, off
	s_or_b64 exec, exec, s[38:39]
	s_and_saveexec_b64 s[38:39], s[4:5]
	s_cbranch_execz .LBB681_300
.LBB681_359:
	v_sub_u32_e32 v10, v38, v3
	v_mov_b32_e32 v11, 0
	v_lshlrev_b64 v[10:11], 1, v[10:11]
	v_add_co_u32_e32 v10, vcc, v15, v10
	v_addc_co_u32_e32 v11, vcc, v16, v11, vcc
	global_store_short v[10:11], v39, off
	s_or_b64 exec, exec, s[38:39]
	s_and_saveexec_b64 s[38:39], s[2:3]
	s_cbranch_execnz .LBB681_301
	s_branch .LBB681_302
.LBB681_360:
	v_sub_u32_e32 v4, v62, v3
	v_lshlrev_b32_e32 v4, 1, v4
	ds_write_b16 v4, v63
	s_or_b64 exec, exec, s[38:39]
	s_and_saveexec_b64 s[28:29], s[26:27]
	s_cbranch_execz .LBB681_306
.LBB681_361:
	v_sub_u32_e32 v4, v60, v3
	v_lshlrev_b32_e32 v4, 1, v4
	ds_write_b16 v4, v61
	s_or_b64 exec, exec, s[28:29]
	s_and_saveexec_b64 s[26:27], s[24:25]
	s_cbranch_execz .LBB681_307
.LBB681_362:
	v_sub_u32_e32 v4, v58, v3
	v_lshlrev_b32_e32 v4, 1, v4
	ds_write_b16 v4, v59
	s_or_b64 exec, exec, s[26:27]
	s_and_saveexec_b64 s[24:25], s[22:23]
	s_cbranch_execz .LBB681_308
.LBB681_363:
	v_sub_u32_e32 v4, v56, v3
	v_lshlrev_b32_e32 v4, 1, v4
	ds_write_b16 v4, v57
	s_or_b64 exec, exec, s[24:25]
	s_and_saveexec_b64 s[22:23], s[20:21]
	s_cbranch_execz .LBB681_309
.LBB681_364:
	v_sub_u32_e32 v4, v54, v3
	v_lshlrev_b32_e32 v4, 1, v4
	ds_write_b16 v4, v55
	s_or_b64 exec, exec, s[22:23]
	s_and_saveexec_b64 s[20:21], s[18:19]
	s_cbranch_execz .LBB681_310
.LBB681_365:
	v_sub_u32_e32 v4, v52, v3
	v_lshlrev_b32_e32 v4, 1, v4
	ds_write_b16 v4, v53
	s_or_b64 exec, exec, s[20:21]
	s_and_saveexec_b64 s[18:19], s[16:17]
	s_cbranch_execz .LBB681_311
.LBB681_366:
	v_sub_u32_e32 v4, v50, v3
	v_lshlrev_b32_e32 v4, 1, v4
	ds_write_b16 v4, v51
	s_or_b64 exec, exec, s[18:19]
	s_and_saveexec_b64 s[16:17], s[14:15]
	s_cbranch_execz .LBB681_312
.LBB681_367:
	v_sub_u32_e32 v4, v48, v3
	v_lshlrev_b32_e32 v4, 1, v4
	ds_write_b16 v4, v49
	s_or_b64 exec, exec, s[16:17]
	s_and_saveexec_b64 s[14:15], s[12:13]
	s_cbranch_execz .LBB681_313
.LBB681_368:
	v_sub_u32_e32 v4, v46, v3
	v_lshlrev_b32_e32 v4, 1, v4
	ds_write_b16 v4, v47
	s_or_b64 exec, exec, s[14:15]
	s_and_saveexec_b64 s[12:13], s[10:11]
	s_cbranch_execz .LBB681_314
.LBB681_369:
	v_sub_u32_e32 v4, v44, v3
	v_lshlrev_b32_e32 v4, 1, v4
	ds_write_b16 v4, v45
	s_or_b64 exec, exec, s[12:13]
	s_and_saveexec_b64 s[10:11], s[8:9]
	s_cbranch_execz .LBB681_315
.LBB681_370:
	v_sub_u32_e32 v4, v42, v3
	v_lshlrev_b32_e32 v4, 1, v4
	ds_write_b16 v4, v43
	s_or_b64 exec, exec, s[10:11]
	s_and_saveexec_b64 s[8:9], s[6:7]
	s_cbranch_execz .LBB681_316
.LBB681_371:
	v_sub_u32_e32 v4, v40, v3
	v_lshlrev_b32_e32 v4, 1, v4
	ds_write_b16 v4, v41
	s_or_b64 exec, exec, s[8:9]
	s_and_saveexec_b64 s[6:7], s[4:5]
	s_cbranch_execz .LBB681_317
.LBB681_372:
	v_sub_u32_e32 v4, v38, v3
	v_lshlrev_b32_e32 v4, 1, v4
	ds_write_b16 v4, v39
	s_or_b64 exec, exec, s[6:7]
	s_and_saveexec_b64 s[4:5], s[2:3]
	s_cbranch_execnz .LBB681_318
	s_branch .LBB681_319
	.section	.rodata,"a",@progbits
	.p2align	6, 0x0
	.amdhsa_kernel _ZN7rocprim17ROCPRIM_400000_NS6detail17trampoline_kernelINS0_14default_configENS1_29reduce_by_key_config_selectorIssN6thrust23THRUST_200600_302600_NS4plusIsEEEEZZNS1_33reduce_by_key_impl_wrapped_configILNS1_25lookback_scan_determinismE0ES3_S9_NS6_6detail15normal_iteratorINS6_10device_ptrIsEEEESG_SG_SG_PmS8_22is_equal_div_10_reduceIsEEE10hipError_tPvRmT2_T3_mT4_T5_T6_T7_T8_P12ihipStream_tbENKUlT_T0_E_clISt17integral_constantIbLb1EES10_IbLb0EEEEDaSW_SX_EUlSW_E_NS1_11comp_targetILNS1_3genE4ELNS1_11target_archE910ELNS1_3gpuE8ELNS1_3repE0EEENS1_30default_config_static_selectorELNS0_4arch9wavefront6targetE1EEEvT1_
		.amdhsa_group_segment_fixed_size 7680
		.amdhsa_private_segment_fixed_size 0
		.amdhsa_kernarg_size 120
		.amdhsa_user_sgpr_count 6
		.amdhsa_user_sgpr_private_segment_buffer 1
		.amdhsa_user_sgpr_dispatch_ptr 0
		.amdhsa_user_sgpr_queue_ptr 0
		.amdhsa_user_sgpr_kernarg_segment_ptr 1
		.amdhsa_user_sgpr_dispatch_id 0
		.amdhsa_user_sgpr_flat_scratch_init 0
		.amdhsa_user_sgpr_kernarg_preload_length 0
		.amdhsa_user_sgpr_kernarg_preload_offset 0
		.amdhsa_user_sgpr_private_segment_size 0
		.amdhsa_uses_dynamic_stack 0
		.amdhsa_system_sgpr_private_segment_wavefront_offset 0
		.amdhsa_system_sgpr_workgroup_id_x 1
		.amdhsa_system_sgpr_workgroup_id_y 0
		.amdhsa_system_sgpr_workgroup_id_z 0
		.amdhsa_system_sgpr_workgroup_info 0
		.amdhsa_system_vgpr_workitem_id 0
		.amdhsa_next_free_vgpr 110
		.amdhsa_next_free_sgpr 63
		.amdhsa_accum_offset 112
		.amdhsa_reserve_vcc 1
		.amdhsa_reserve_flat_scratch 0
		.amdhsa_float_round_mode_32 0
		.amdhsa_float_round_mode_16_64 0
		.amdhsa_float_denorm_mode_32 3
		.amdhsa_float_denorm_mode_16_64 3
		.amdhsa_dx10_clamp 1
		.amdhsa_ieee_mode 1
		.amdhsa_fp16_overflow 0
		.amdhsa_tg_split 0
		.amdhsa_exception_fp_ieee_invalid_op 0
		.amdhsa_exception_fp_denorm_src 0
		.amdhsa_exception_fp_ieee_div_zero 0
		.amdhsa_exception_fp_ieee_overflow 0
		.amdhsa_exception_fp_ieee_underflow 0
		.amdhsa_exception_fp_ieee_inexact 0
		.amdhsa_exception_int_div_zero 0
	.end_amdhsa_kernel
	.section	.text._ZN7rocprim17ROCPRIM_400000_NS6detail17trampoline_kernelINS0_14default_configENS1_29reduce_by_key_config_selectorIssN6thrust23THRUST_200600_302600_NS4plusIsEEEEZZNS1_33reduce_by_key_impl_wrapped_configILNS1_25lookback_scan_determinismE0ES3_S9_NS6_6detail15normal_iteratorINS6_10device_ptrIsEEEESG_SG_SG_PmS8_22is_equal_div_10_reduceIsEEE10hipError_tPvRmT2_T3_mT4_T5_T6_T7_T8_P12ihipStream_tbENKUlT_T0_E_clISt17integral_constantIbLb1EES10_IbLb0EEEEDaSW_SX_EUlSW_E_NS1_11comp_targetILNS1_3genE4ELNS1_11target_archE910ELNS1_3gpuE8ELNS1_3repE0EEENS1_30default_config_static_selectorELNS0_4arch9wavefront6targetE1EEEvT1_,"axG",@progbits,_ZN7rocprim17ROCPRIM_400000_NS6detail17trampoline_kernelINS0_14default_configENS1_29reduce_by_key_config_selectorIssN6thrust23THRUST_200600_302600_NS4plusIsEEEEZZNS1_33reduce_by_key_impl_wrapped_configILNS1_25lookback_scan_determinismE0ES3_S9_NS6_6detail15normal_iteratorINS6_10device_ptrIsEEEESG_SG_SG_PmS8_22is_equal_div_10_reduceIsEEE10hipError_tPvRmT2_T3_mT4_T5_T6_T7_T8_P12ihipStream_tbENKUlT_T0_E_clISt17integral_constantIbLb1EES10_IbLb0EEEEDaSW_SX_EUlSW_E_NS1_11comp_targetILNS1_3genE4ELNS1_11target_archE910ELNS1_3gpuE8ELNS1_3repE0EEENS1_30default_config_static_selectorELNS0_4arch9wavefront6targetE1EEEvT1_,comdat
.Lfunc_end681:
	.size	_ZN7rocprim17ROCPRIM_400000_NS6detail17trampoline_kernelINS0_14default_configENS1_29reduce_by_key_config_selectorIssN6thrust23THRUST_200600_302600_NS4plusIsEEEEZZNS1_33reduce_by_key_impl_wrapped_configILNS1_25lookback_scan_determinismE0ES3_S9_NS6_6detail15normal_iteratorINS6_10device_ptrIsEEEESG_SG_SG_PmS8_22is_equal_div_10_reduceIsEEE10hipError_tPvRmT2_T3_mT4_T5_T6_T7_T8_P12ihipStream_tbENKUlT_T0_E_clISt17integral_constantIbLb1EES10_IbLb0EEEEDaSW_SX_EUlSW_E_NS1_11comp_targetILNS1_3genE4ELNS1_11target_archE910ELNS1_3gpuE8ELNS1_3repE0EEENS1_30default_config_static_selectorELNS0_4arch9wavefront6targetE1EEEvT1_, .Lfunc_end681-_ZN7rocprim17ROCPRIM_400000_NS6detail17trampoline_kernelINS0_14default_configENS1_29reduce_by_key_config_selectorIssN6thrust23THRUST_200600_302600_NS4plusIsEEEEZZNS1_33reduce_by_key_impl_wrapped_configILNS1_25lookback_scan_determinismE0ES3_S9_NS6_6detail15normal_iteratorINS6_10device_ptrIsEEEESG_SG_SG_PmS8_22is_equal_div_10_reduceIsEEE10hipError_tPvRmT2_T3_mT4_T5_T6_T7_T8_P12ihipStream_tbENKUlT_T0_E_clISt17integral_constantIbLb1EES10_IbLb0EEEEDaSW_SX_EUlSW_E_NS1_11comp_targetILNS1_3genE4ELNS1_11target_archE910ELNS1_3gpuE8ELNS1_3repE0EEENS1_30default_config_static_selectorELNS0_4arch9wavefront6targetE1EEEvT1_
                                        ; -- End function
	.section	.AMDGPU.csdata,"",@progbits
; Kernel info:
; codeLenInByte = 20020
; NumSgprs: 67
; NumVgprs: 110
; NumAgprs: 0
; TotalNumVgprs: 110
; ScratchSize: 0
; MemoryBound: 0
; FloatMode: 240
; IeeeMode: 1
; LDSByteSize: 7680 bytes/workgroup (compile time only)
; SGPRBlocks: 8
; VGPRBlocks: 13
; NumSGPRsForWavesPerEU: 67
; NumVGPRsForWavesPerEU: 110
; AccumOffset: 112
; Occupancy: 4
; WaveLimiterHint : 1
; COMPUTE_PGM_RSRC2:SCRATCH_EN: 0
; COMPUTE_PGM_RSRC2:USER_SGPR: 6
; COMPUTE_PGM_RSRC2:TRAP_HANDLER: 0
; COMPUTE_PGM_RSRC2:TGID_X_EN: 1
; COMPUTE_PGM_RSRC2:TGID_Y_EN: 0
; COMPUTE_PGM_RSRC2:TGID_Z_EN: 0
; COMPUTE_PGM_RSRC2:TIDIG_COMP_CNT: 0
; COMPUTE_PGM_RSRC3_GFX90A:ACCUM_OFFSET: 27
; COMPUTE_PGM_RSRC3_GFX90A:TG_SPLIT: 0
	.section	.text._ZN7rocprim17ROCPRIM_400000_NS6detail17trampoline_kernelINS0_14default_configENS1_29reduce_by_key_config_selectorIssN6thrust23THRUST_200600_302600_NS4plusIsEEEEZZNS1_33reduce_by_key_impl_wrapped_configILNS1_25lookback_scan_determinismE0ES3_S9_NS6_6detail15normal_iteratorINS6_10device_ptrIsEEEESG_SG_SG_PmS8_22is_equal_div_10_reduceIsEEE10hipError_tPvRmT2_T3_mT4_T5_T6_T7_T8_P12ihipStream_tbENKUlT_T0_E_clISt17integral_constantIbLb1EES10_IbLb0EEEEDaSW_SX_EUlSW_E_NS1_11comp_targetILNS1_3genE3ELNS1_11target_archE908ELNS1_3gpuE7ELNS1_3repE0EEENS1_30default_config_static_selectorELNS0_4arch9wavefront6targetE1EEEvT1_,"axG",@progbits,_ZN7rocprim17ROCPRIM_400000_NS6detail17trampoline_kernelINS0_14default_configENS1_29reduce_by_key_config_selectorIssN6thrust23THRUST_200600_302600_NS4plusIsEEEEZZNS1_33reduce_by_key_impl_wrapped_configILNS1_25lookback_scan_determinismE0ES3_S9_NS6_6detail15normal_iteratorINS6_10device_ptrIsEEEESG_SG_SG_PmS8_22is_equal_div_10_reduceIsEEE10hipError_tPvRmT2_T3_mT4_T5_T6_T7_T8_P12ihipStream_tbENKUlT_T0_E_clISt17integral_constantIbLb1EES10_IbLb0EEEEDaSW_SX_EUlSW_E_NS1_11comp_targetILNS1_3genE3ELNS1_11target_archE908ELNS1_3gpuE7ELNS1_3repE0EEENS1_30default_config_static_selectorELNS0_4arch9wavefront6targetE1EEEvT1_,comdat
	.protected	_ZN7rocprim17ROCPRIM_400000_NS6detail17trampoline_kernelINS0_14default_configENS1_29reduce_by_key_config_selectorIssN6thrust23THRUST_200600_302600_NS4plusIsEEEEZZNS1_33reduce_by_key_impl_wrapped_configILNS1_25lookback_scan_determinismE0ES3_S9_NS6_6detail15normal_iteratorINS6_10device_ptrIsEEEESG_SG_SG_PmS8_22is_equal_div_10_reduceIsEEE10hipError_tPvRmT2_T3_mT4_T5_T6_T7_T8_P12ihipStream_tbENKUlT_T0_E_clISt17integral_constantIbLb1EES10_IbLb0EEEEDaSW_SX_EUlSW_E_NS1_11comp_targetILNS1_3genE3ELNS1_11target_archE908ELNS1_3gpuE7ELNS1_3repE0EEENS1_30default_config_static_selectorELNS0_4arch9wavefront6targetE1EEEvT1_ ; -- Begin function _ZN7rocprim17ROCPRIM_400000_NS6detail17trampoline_kernelINS0_14default_configENS1_29reduce_by_key_config_selectorIssN6thrust23THRUST_200600_302600_NS4plusIsEEEEZZNS1_33reduce_by_key_impl_wrapped_configILNS1_25lookback_scan_determinismE0ES3_S9_NS6_6detail15normal_iteratorINS6_10device_ptrIsEEEESG_SG_SG_PmS8_22is_equal_div_10_reduceIsEEE10hipError_tPvRmT2_T3_mT4_T5_T6_T7_T8_P12ihipStream_tbENKUlT_T0_E_clISt17integral_constantIbLb1EES10_IbLb0EEEEDaSW_SX_EUlSW_E_NS1_11comp_targetILNS1_3genE3ELNS1_11target_archE908ELNS1_3gpuE7ELNS1_3repE0EEENS1_30default_config_static_selectorELNS0_4arch9wavefront6targetE1EEEvT1_
	.globl	_ZN7rocprim17ROCPRIM_400000_NS6detail17trampoline_kernelINS0_14default_configENS1_29reduce_by_key_config_selectorIssN6thrust23THRUST_200600_302600_NS4plusIsEEEEZZNS1_33reduce_by_key_impl_wrapped_configILNS1_25lookback_scan_determinismE0ES3_S9_NS6_6detail15normal_iteratorINS6_10device_ptrIsEEEESG_SG_SG_PmS8_22is_equal_div_10_reduceIsEEE10hipError_tPvRmT2_T3_mT4_T5_T6_T7_T8_P12ihipStream_tbENKUlT_T0_E_clISt17integral_constantIbLb1EES10_IbLb0EEEEDaSW_SX_EUlSW_E_NS1_11comp_targetILNS1_3genE3ELNS1_11target_archE908ELNS1_3gpuE7ELNS1_3repE0EEENS1_30default_config_static_selectorELNS0_4arch9wavefront6targetE1EEEvT1_
	.p2align	8
	.type	_ZN7rocprim17ROCPRIM_400000_NS6detail17trampoline_kernelINS0_14default_configENS1_29reduce_by_key_config_selectorIssN6thrust23THRUST_200600_302600_NS4plusIsEEEEZZNS1_33reduce_by_key_impl_wrapped_configILNS1_25lookback_scan_determinismE0ES3_S9_NS6_6detail15normal_iteratorINS6_10device_ptrIsEEEESG_SG_SG_PmS8_22is_equal_div_10_reduceIsEEE10hipError_tPvRmT2_T3_mT4_T5_T6_T7_T8_P12ihipStream_tbENKUlT_T0_E_clISt17integral_constantIbLb1EES10_IbLb0EEEEDaSW_SX_EUlSW_E_NS1_11comp_targetILNS1_3genE3ELNS1_11target_archE908ELNS1_3gpuE7ELNS1_3repE0EEENS1_30default_config_static_selectorELNS0_4arch9wavefront6targetE1EEEvT1_,@function
_ZN7rocprim17ROCPRIM_400000_NS6detail17trampoline_kernelINS0_14default_configENS1_29reduce_by_key_config_selectorIssN6thrust23THRUST_200600_302600_NS4plusIsEEEEZZNS1_33reduce_by_key_impl_wrapped_configILNS1_25lookback_scan_determinismE0ES3_S9_NS6_6detail15normal_iteratorINS6_10device_ptrIsEEEESG_SG_SG_PmS8_22is_equal_div_10_reduceIsEEE10hipError_tPvRmT2_T3_mT4_T5_T6_T7_T8_P12ihipStream_tbENKUlT_T0_E_clISt17integral_constantIbLb1EES10_IbLb0EEEEDaSW_SX_EUlSW_E_NS1_11comp_targetILNS1_3genE3ELNS1_11target_archE908ELNS1_3gpuE7ELNS1_3repE0EEENS1_30default_config_static_selectorELNS0_4arch9wavefront6targetE1EEEvT1_: ; @_ZN7rocprim17ROCPRIM_400000_NS6detail17trampoline_kernelINS0_14default_configENS1_29reduce_by_key_config_selectorIssN6thrust23THRUST_200600_302600_NS4plusIsEEEEZZNS1_33reduce_by_key_impl_wrapped_configILNS1_25lookback_scan_determinismE0ES3_S9_NS6_6detail15normal_iteratorINS6_10device_ptrIsEEEESG_SG_SG_PmS8_22is_equal_div_10_reduceIsEEE10hipError_tPvRmT2_T3_mT4_T5_T6_T7_T8_P12ihipStream_tbENKUlT_T0_E_clISt17integral_constantIbLb1EES10_IbLb0EEEEDaSW_SX_EUlSW_E_NS1_11comp_targetILNS1_3genE3ELNS1_11target_archE908ELNS1_3gpuE7ELNS1_3repE0EEENS1_30default_config_static_selectorELNS0_4arch9wavefront6targetE1EEEvT1_
; %bb.0:
	.section	.rodata,"a",@progbits
	.p2align	6, 0x0
	.amdhsa_kernel _ZN7rocprim17ROCPRIM_400000_NS6detail17trampoline_kernelINS0_14default_configENS1_29reduce_by_key_config_selectorIssN6thrust23THRUST_200600_302600_NS4plusIsEEEEZZNS1_33reduce_by_key_impl_wrapped_configILNS1_25lookback_scan_determinismE0ES3_S9_NS6_6detail15normal_iteratorINS6_10device_ptrIsEEEESG_SG_SG_PmS8_22is_equal_div_10_reduceIsEEE10hipError_tPvRmT2_T3_mT4_T5_T6_T7_T8_P12ihipStream_tbENKUlT_T0_E_clISt17integral_constantIbLb1EES10_IbLb0EEEEDaSW_SX_EUlSW_E_NS1_11comp_targetILNS1_3genE3ELNS1_11target_archE908ELNS1_3gpuE7ELNS1_3repE0EEENS1_30default_config_static_selectorELNS0_4arch9wavefront6targetE1EEEvT1_
		.amdhsa_group_segment_fixed_size 0
		.amdhsa_private_segment_fixed_size 0
		.amdhsa_kernarg_size 120
		.amdhsa_user_sgpr_count 6
		.amdhsa_user_sgpr_private_segment_buffer 1
		.amdhsa_user_sgpr_dispatch_ptr 0
		.amdhsa_user_sgpr_queue_ptr 0
		.amdhsa_user_sgpr_kernarg_segment_ptr 1
		.amdhsa_user_sgpr_dispatch_id 0
		.amdhsa_user_sgpr_flat_scratch_init 0
		.amdhsa_user_sgpr_kernarg_preload_length 0
		.amdhsa_user_sgpr_kernarg_preload_offset 0
		.amdhsa_user_sgpr_private_segment_size 0
		.amdhsa_uses_dynamic_stack 0
		.amdhsa_system_sgpr_private_segment_wavefront_offset 0
		.amdhsa_system_sgpr_workgroup_id_x 1
		.amdhsa_system_sgpr_workgroup_id_y 0
		.amdhsa_system_sgpr_workgroup_id_z 0
		.amdhsa_system_sgpr_workgroup_info 0
		.amdhsa_system_vgpr_workitem_id 0
		.amdhsa_next_free_vgpr 1
		.amdhsa_next_free_sgpr 0
		.amdhsa_accum_offset 4
		.amdhsa_reserve_vcc 0
		.amdhsa_reserve_flat_scratch 0
		.amdhsa_float_round_mode_32 0
		.amdhsa_float_round_mode_16_64 0
		.amdhsa_float_denorm_mode_32 3
		.amdhsa_float_denorm_mode_16_64 3
		.amdhsa_dx10_clamp 1
		.amdhsa_ieee_mode 1
		.amdhsa_fp16_overflow 0
		.amdhsa_tg_split 0
		.amdhsa_exception_fp_ieee_invalid_op 0
		.amdhsa_exception_fp_denorm_src 0
		.amdhsa_exception_fp_ieee_div_zero 0
		.amdhsa_exception_fp_ieee_overflow 0
		.amdhsa_exception_fp_ieee_underflow 0
		.amdhsa_exception_fp_ieee_inexact 0
		.amdhsa_exception_int_div_zero 0
	.end_amdhsa_kernel
	.section	.text._ZN7rocprim17ROCPRIM_400000_NS6detail17trampoline_kernelINS0_14default_configENS1_29reduce_by_key_config_selectorIssN6thrust23THRUST_200600_302600_NS4plusIsEEEEZZNS1_33reduce_by_key_impl_wrapped_configILNS1_25lookback_scan_determinismE0ES3_S9_NS6_6detail15normal_iteratorINS6_10device_ptrIsEEEESG_SG_SG_PmS8_22is_equal_div_10_reduceIsEEE10hipError_tPvRmT2_T3_mT4_T5_T6_T7_T8_P12ihipStream_tbENKUlT_T0_E_clISt17integral_constantIbLb1EES10_IbLb0EEEEDaSW_SX_EUlSW_E_NS1_11comp_targetILNS1_3genE3ELNS1_11target_archE908ELNS1_3gpuE7ELNS1_3repE0EEENS1_30default_config_static_selectorELNS0_4arch9wavefront6targetE1EEEvT1_,"axG",@progbits,_ZN7rocprim17ROCPRIM_400000_NS6detail17trampoline_kernelINS0_14default_configENS1_29reduce_by_key_config_selectorIssN6thrust23THRUST_200600_302600_NS4plusIsEEEEZZNS1_33reduce_by_key_impl_wrapped_configILNS1_25lookback_scan_determinismE0ES3_S9_NS6_6detail15normal_iteratorINS6_10device_ptrIsEEEESG_SG_SG_PmS8_22is_equal_div_10_reduceIsEEE10hipError_tPvRmT2_T3_mT4_T5_T6_T7_T8_P12ihipStream_tbENKUlT_T0_E_clISt17integral_constantIbLb1EES10_IbLb0EEEEDaSW_SX_EUlSW_E_NS1_11comp_targetILNS1_3genE3ELNS1_11target_archE908ELNS1_3gpuE7ELNS1_3repE0EEENS1_30default_config_static_selectorELNS0_4arch9wavefront6targetE1EEEvT1_,comdat
.Lfunc_end682:
	.size	_ZN7rocprim17ROCPRIM_400000_NS6detail17trampoline_kernelINS0_14default_configENS1_29reduce_by_key_config_selectorIssN6thrust23THRUST_200600_302600_NS4plusIsEEEEZZNS1_33reduce_by_key_impl_wrapped_configILNS1_25lookback_scan_determinismE0ES3_S9_NS6_6detail15normal_iteratorINS6_10device_ptrIsEEEESG_SG_SG_PmS8_22is_equal_div_10_reduceIsEEE10hipError_tPvRmT2_T3_mT4_T5_T6_T7_T8_P12ihipStream_tbENKUlT_T0_E_clISt17integral_constantIbLb1EES10_IbLb0EEEEDaSW_SX_EUlSW_E_NS1_11comp_targetILNS1_3genE3ELNS1_11target_archE908ELNS1_3gpuE7ELNS1_3repE0EEENS1_30default_config_static_selectorELNS0_4arch9wavefront6targetE1EEEvT1_, .Lfunc_end682-_ZN7rocprim17ROCPRIM_400000_NS6detail17trampoline_kernelINS0_14default_configENS1_29reduce_by_key_config_selectorIssN6thrust23THRUST_200600_302600_NS4plusIsEEEEZZNS1_33reduce_by_key_impl_wrapped_configILNS1_25lookback_scan_determinismE0ES3_S9_NS6_6detail15normal_iteratorINS6_10device_ptrIsEEEESG_SG_SG_PmS8_22is_equal_div_10_reduceIsEEE10hipError_tPvRmT2_T3_mT4_T5_T6_T7_T8_P12ihipStream_tbENKUlT_T0_E_clISt17integral_constantIbLb1EES10_IbLb0EEEEDaSW_SX_EUlSW_E_NS1_11comp_targetILNS1_3genE3ELNS1_11target_archE908ELNS1_3gpuE7ELNS1_3repE0EEENS1_30default_config_static_selectorELNS0_4arch9wavefront6targetE1EEEvT1_
                                        ; -- End function
	.section	.AMDGPU.csdata,"",@progbits
; Kernel info:
; codeLenInByte = 0
; NumSgprs: 4
; NumVgprs: 0
; NumAgprs: 0
; TotalNumVgprs: 0
; ScratchSize: 0
; MemoryBound: 0
; FloatMode: 240
; IeeeMode: 1
; LDSByteSize: 0 bytes/workgroup (compile time only)
; SGPRBlocks: 0
; VGPRBlocks: 0
; NumSGPRsForWavesPerEU: 4
; NumVGPRsForWavesPerEU: 1
; AccumOffset: 4
; Occupancy: 8
; WaveLimiterHint : 0
; COMPUTE_PGM_RSRC2:SCRATCH_EN: 0
; COMPUTE_PGM_RSRC2:USER_SGPR: 6
; COMPUTE_PGM_RSRC2:TRAP_HANDLER: 0
; COMPUTE_PGM_RSRC2:TGID_X_EN: 1
; COMPUTE_PGM_RSRC2:TGID_Y_EN: 0
; COMPUTE_PGM_RSRC2:TGID_Z_EN: 0
; COMPUTE_PGM_RSRC2:TIDIG_COMP_CNT: 0
; COMPUTE_PGM_RSRC3_GFX90A:ACCUM_OFFSET: 0
; COMPUTE_PGM_RSRC3_GFX90A:TG_SPLIT: 0
	.section	.text._ZN7rocprim17ROCPRIM_400000_NS6detail17trampoline_kernelINS0_14default_configENS1_29reduce_by_key_config_selectorIssN6thrust23THRUST_200600_302600_NS4plusIsEEEEZZNS1_33reduce_by_key_impl_wrapped_configILNS1_25lookback_scan_determinismE0ES3_S9_NS6_6detail15normal_iteratorINS6_10device_ptrIsEEEESG_SG_SG_PmS8_22is_equal_div_10_reduceIsEEE10hipError_tPvRmT2_T3_mT4_T5_T6_T7_T8_P12ihipStream_tbENKUlT_T0_E_clISt17integral_constantIbLb1EES10_IbLb0EEEEDaSW_SX_EUlSW_E_NS1_11comp_targetILNS1_3genE2ELNS1_11target_archE906ELNS1_3gpuE6ELNS1_3repE0EEENS1_30default_config_static_selectorELNS0_4arch9wavefront6targetE1EEEvT1_,"axG",@progbits,_ZN7rocprim17ROCPRIM_400000_NS6detail17trampoline_kernelINS0_14default_configENS1_29reduce_by_key_config_selectorIssN6thrust23THRUST_200600_302600_NS4plusIsEEEEZZNS1_33reduce_by_key_impl_wrapped_configILNS1_25lookback_scan_determinismE0ES3_S9_NS6_6detail15normal_iteratorINS6_10device_ptrIsEEEESG_SG_SG_PmS8_22is_equal_div_10_reduceIsEEE10hipError_tPvRmT2_T3_mT4_T5_T6_T7_T8_P12ihipStream_tbENKUlT_T0_E_clISt17integral_constantIbLb1EES10_IbLb0EEEEDaSW_SX_EUlSW_E_NS1_11comp_targetILNS1_3genE2ELNS1_11target_archE906ELNS1_3gpuE6ELNS1_3repE0EEENS1_30default_config_static_selectorELNS0_4arch9wavefront6targetE1EEEvT1_,comdat
	.protected	_ZN7rocprim17ROCPRIM_400000_NS6detail17trampoline_kernelINS0_14default_configENS1_29reduce_by_key_config_selectorIssN6thrust23THRUST_200600_302600_NS4plusIsEEEEZZNS1_33reduce_by_key_impl_wrapped_configILNS1_25lookback_scan_determinismE0ES3_S9_NS6_6detail15normal_iteratorINS6_10device_ptrIsEEEESG_SG_SG_PmS8_22is_equal_div_10_reduceIsEEE10hipError_tPvRmT2_T3_mT4_T5_T6_T7_T8_P12ihipStream_tbENKUlT_T0_E_clISt17integral_constantIbLb1EES10_IbLb0EEEEDaSW_SX_EUlSW_E_NS1_11comp_targetILNS1_3genE2ELNS1_11target_archE906ELNS1_3gpuE6ELNS1_3repE0EEENS1_30default_config_static_selectorELNS0_4arch9wavefront6targetE1EEEvT1_ ; -- Begin function _ZN7rocprim17ROCPRIM_400000_NS6detail17trampoline_kernelINS0_14default_configENS1_29reduce_by_key_config_selectorIssN6thrust23THRUST_200600_302600_NS4plusIsEEEEZZNS1_33reduce_by_key_impl_wrapped_configILNS1_25lookback_scan_determinismE0ES3_S9_NS6_6detail15normal_iteratorINS6_10device_ptrIsEEEESG_SG_SG_PmS8_22is_equal_div_10_reduceIsEEE10hipError_tPvRmT2_T3_mT4_T5_T6_T7_T8_P12ihipStream_tbENKUlT_T0_E_clISt17integral_constantIbLb1EES10_IbLb0EEEEDaSW_SX_EUlSW_E_NS1_11comp_targetILNS1_3genE2ELNS1_11target_archE906ELNS1_3gpuE6ELNS1_3repE0EEENS1_30default_config_static_selectorELNS0_4arch9wavefront6targetE1EEEvT1_
	.globl	_ZN7rocprim17ROCPRIM_400000_NS6detail17trampoline_kernelINS0_14default_configENS1_29reduce_by_key_config_selectorIssN6thrust23THRUST_200600_302600_NS4plusIsEEEEZZNS1_33reduce_by_key_impl_wrapped_configILNS1_25lookback_scan_determinismE0ES3_S9_NS6_6detail15normal_iteratorINS6_10device_ptrIsEEEESG_SG_SG_PmS8_22is_equal_div_10_reduceIsEEE10hipError_tPvRmT2_T3_mT4_T5_T6_T7_T8_P12ihipStream_tbENKUlT_T0_E_clISt17integral_constantIbLb1EES10_IbLb0EEEEDaSW_SX_EUlSW_E_NS1_11comp_targetILNS1_3genE2ELNS1_11target_archE906ELNS1_3gpuE6ELNS1_3repE0EEENS1_30default_config_static_selectorELNS0_4arch9wavefront6targetE1EEEvT1_
	.p2align	8
	.type	_ZN7rocprim17ROCPRIM_400000_NS6detail17trampoline_kernelINS0_14default_configENS1_29reduce_by_key_config_selectorIssN6thrust23THRUST_200600_302600_NS4plusIsEEEEZZNS1_33reduce_by_key_impl_wrapped_configILNS1_25lookback_scan_determinismE0ES3_S9_NS6_6detail15normal_iteratorINS6_10device_ptrIsEEEESG_SG_SG_PmS8_22is_equal_div_10_reduceIsEEE10hipError_tPvRmT2_T3_mT4_T5_T6_T7_T8_P12ihipStream_tbENKUlT_T0_E_clISt17integral_constantIbLb1EES10_IbLb0EEEEDaSW_SX_EUlSW_E_NS1_11comp_targetILNS1_3genE2ELNS1_11target_archE906ELNS1_3gpuE6ELNS1_3repE0EEENS1_30default_config_static_selectorELNS0_4arch9wavefront6targetE1EEEvT1_,@function
_ZN7rocprim17ROCPRIM_400000_NS6detail17trampoline_kernelINS0_14default_configENS1_29reduce_by_key_config_selectorIssN6thrust23THRUST_200600_302600_NS4plusIsEEEEZZNS1_33reduce_by_key_impl_wrapped_configILNS1_25lookback_scan_determinismE0ES3_S9_NS6_6detail15normal_iteratorINS6_10device_ptrIsEEEESG_SG_SG_PmS8_22is_equal_div_10_reduceIsEEE10hipError_tPvRmT2_T3_mT4_T5_T6_T7_T8_P12ihipStream_tbENKUlT_T0_E_clISt17integral_constantIbLb1EES10_IbLb0EEEEDaSW_SX_EUlSW_E_NS1_11comp_targetILNS1_3genE2ELNS1_11target_archE906ELNS1_3gpuE6ELNS1_3repE0EEENS1_30default_config_static_selectorELNS0_4arch9wavefront6targetE1EEEvT1_: ; @_ZN7rocprim17ROCPRIM_400000_NS6detail17trampoline_kernelINS0_14default_configENS1_29reduce_by_key_config_selectorIssN6thrust23THRUST_200600_302600_NS4plusIsEEEEZZNS1_33reduce_by_key_impl_wrapped_configILNS1_25lookback_scan_determinismE0ES3_S9_NS6_6detail15normal_iteratorINS6_10device_ptrIsEEEESG_SG_SG_PmS8_22is_equal_div_10_reduceIsEEE10hipError_tPvRmT2_T3_mT4_T5_T6_T7_T8_P12ihipStream_tbENKUlT_T0_E_clISt17integral_constantIbLb1EES10_IbLb0EEEEDaSW_SX_EUlSW_E_NS1_11comp_targetILNS1_3genE2ELNS1_11target_archE906ELNS1_3gpuE6ELNS1_3repE0EEENS1_30default_config_static_selectorELNS0_4arch9wavefront6targetE1EEEvT1_
; %bb.0:
	.section	.rodata,"a",@progbits
	.p2align	6, 0x0
	.amdhsa_kernel _ZN7rocprim17ROCPRIM_400000_NS6detail17trampoline_kernelINS0_14default_configENS1_29reduce_by_key_config_selectorIssN6thrust23THRUST_200600_302600_NS4plusIsEEEEZZNS1_33reduce_by_key_impl_wrapped_configILNS1_25lookback_scan_determinismE0ES3_S9_NS6_6detail15normal_iteratorINS6_10device_ptrIsEEEESG_SG_SG_PmS8_22is_equal_div_10_reduceIsEEE10hipError_tPvRmT2_T3_mT4_T5_T6_T7_T8_P12ihipStream_tbENKUlT_T0_E_clISt17integral_constantIbLb1EES10_IbLb0EEEEDaSW_SX_EUlSW_E_NS1_11comp_targetILNS1_3genE2ELNS1_11target_archE906ELNS1_3gpuE6ELNS1_3repE0EEENS1_30default_config_static_selectorELNS0_4arch9wavefront6targetE1EEEvT1_
		.amdhsa_group_segment_fixed_size 0
		.amdhsa_private_segment_fixed_size 0
		.amdhsa_kernarg_size 120
		.amdhsa_user_sgpr_count 6
		.amdhsa_user_sgpr_private_segment_buffer 1
		.amdhsa_user_sgpr_dispatch_ptr 0
		.amdhsa_user_sgpr_queue_ptr 0
		.amdhsa_user_sgpr_kernarg_segment_ptr 1
		.amdhsa_user_sgpr_dispatch_id 0
		.amdhsa_user_sgpr_flat_scratch_init 0
		.amdhsa_user_sgpr_kernarg_preload_length 0
		.amdhsa_user_sgpr_kernarg_preload_offset 0
		.amdhsa_user_sgpr_private_segment_size 0
		.amdhsa_uses_dynamic_stack 0
		.amdhsa_system_sgpr_private_segment_wavefront_offset 0
		.amdhsa_system_sgpr_workgroup_id_x 1
		.amdhsa_system_sgpr_workgroup_id_y 0
		.amdhsa_system_sgpr_workgroup_id_z 0
		.amdhsa_system_sgpr_workgroup_info 0
		.amdhsa_system_vgpr_workitem_id 0
		.amdhsa_next_free_vgpr 1
		.amdhsa_next_free_sgpr 0
		.amdhsa_accum_offset 4
		.amdhsa_reserve_vcc 0
		.amdhsa_reserve_flat_scratch 0
		.amdhsa_float_round_mode_32 0
		.amdhsa_float_round_mode_16_64 0
		.amdhsa_float_denorm_mode_32 3
		.amdhsa_float_denorm_mode_16_64 3
		.amdhsa_dx10_clamp 1
		.amdhsa_ieee_mode 1
		.amdhsa_fp16_overflow 0
		.amdhsa_tg_split 0
		.amdhsa_exception_fp_ieee_invalid_op 0
		.amdhsa_exception_fp_denorm_src 0
		.amdhsa_exception_fp_ieee_div_zero 0
		.amdhsa_exception_fp_ieee_overflow 0
		.amdhsa_exception_fp_ieee_underflow 0
		.amdhsa_exception_fp_ieee_inexact 0
		.amdhsa_exception_int_div_zero 0
	.end_amdhsa_kernel
	.section	.text._ZN7rocprim17ROCPRIM_400000_NS6detail17trampoline_kernelINS0_14default_configENS1_29reduce_by_key_config_selectorIssN6thrust23THRUST_200600_302600_NS4plusIsEEEEZZNS1_33reduce_by_key_impl_wrapped_configILNS1_25lookback_scan_determinismE0ES3_S9_NS6_6detail15normal_iteratorINS6_10device_ptrIsEEEESG_SG_SG_PmS8_22is_equal_div_10_reduceIsEEE10hipError_tPvRmT2_T3_mT4_T5_T6_T7_T8_P12ihipStream_tbENKUlT_T0_E_clISt17integral_constantIbLb1EES10_IbLb0EEEEDaSW_SX_EUlSW_E_NS1_11comp_targetILNS1_3genE2ELNS1_11target_archE906ELNS1_3gpuE6ELNS1_3repE0EEENS1_30default_config_static_selectorELNS0_4arch9wavefront6targetE1EEEvT1_,"axG",@progbits,_ZN7rocprim17ROCPRIM_400000_NS6detail17trampoline_kernelINS0_14default_configENS1_29reduce_by_key_config_selectorIssN6thrust23THRUST_200600_302600_NS4plusIsEEEEZZNS1_33reduce_by_key_impl_wrapped_configILNS1_25lookback_scan_determinismE0ES3_S9_NS6_6detail15normal_iteratorINS6_10device_ptrIsEEEESG_SG_SG_PmS8_22is_equal_div_10_reduceIsEEE10hipError_tPvRmT2_T3_mT4_T5_T6_T7_T8_P12ihipStream_tbENKUlT_T0_E_clISt17integral_constantIbLb1EES10_IbLb0EEEEDaSW_SX_EUlSW_E_NS1_11comp_targetILNS1_3genE2ELNS1_11target_archE906ELNS1_3gpuE6ELNS1_3repE0EEENS1_30default_config_static_selectorELNS0_4arch9wavefront6targetE1EEEvT1_,comdat
.Lfunc_end683:
	.size	_ZN7rocprim17ROCPRIM_400000_NS6detail17trampoline_kernelINS0_14default_configENS1_29reduce_by_key_config_selectorIssN6thrust23THRUST_200600_302600_NS4plusIsEEEEZZNS1_33reduce_by_key_impl_wrapped_configILNS1_25lookback_scan_determinismE0ES3_S9_NS6_6detail15normal_iteratorINS6_10device_ptrIsEEEESG_SG_SG_PmS8_22is_equal_div_10_reduceIsEEE10hipError_tPvRmT2_T3_mT4_T5_T6_T7_T8_P12ihipStream_tbENKUlT_T0_E_clISt17integral_constantIbLb1EES10_IbLb0EEEEDaSW_SX_EUlSW_E_NS1_11comp_targetILNS1_3genE2ELNS1_11target_archE906ELNS1_3gpuE6ELNS1_3repE0EEENS1_30default_config_static_selectorELNS0_4arch9wavefront6targetE1EEEvT1_, .Lfunc_end683-_ZN7rocprim17ROCPRIM_400000_NS6detail17trampoline_kernelINS0_14default_configENS1_29reduce_by_key_config_selectorIssN6thrust23THRUST_200600_302600_NS4plusIsEEEEZZNS1_33reduce_by_key_impl_wrapped_configILNS1_25lookback_scan_determinismE0ES3_S9_NS6_6detail15normal_iteratorINS6_10device_ptrIsEEEESG_SG_SG_PmS8_22is_equal_div_10_reduceIsEEE10hipError_tPvRmT2_T3_mT4_T5_T6_T7_T8_P12ihipStream_tbENKUlT_T0_E_clISt17integral_constantIbLb1EES10_IbLb0EEEEDaSW_SX_EUlSW_E_NS1_11comp_targetILNS1_3genE2ELNS1_11target_archE906ELNS1_3gpuE6ELNS1_3repE0EEENS1_30default_config_static_selectorELNS0_4arch9wavefront6targetE1EEEvT1_
                                        ; -- End function
	.section	.AMDGPU.csdata,"",@progbits
; Kernel info:
; codeLenInByte = 0
; NumSgprs: 4
; NumVgprs: 0
; NumAgprs: 0
; TotalNumVgprs: 0
; ScratchSize: 0
; MemoryBound: 0
; FloatMode: 240
; IeeeMode: 1
; LDSByteSize: 0 bytes/workgroup (compile time only)
; SGPRBlocks: 0
; VGPRBlocks: 0
; NumSGPRsForWavesPerEU: 4
; NumVGPRsForWavesPerEU: 1
; AccumOffset: 4
; Occupancy: 8
; WaveLimiterHint : 0
; COMPUTE_PGM_RSRC2:SCRATCH_EN: 0
; COMPUTE_PGM_RSRC2:USER_SGPR: 6
; COMPUTE_PGM_RSRC2:TRAP_HANDLER: 0
; COMPUTE_PGM_RSRC2:TGID_X_EN: 1
; COMPUTE_PGM_RSRC2:TGID_Y_EN: 0
; COMPUTE_PGM_RSRC2:TGID_Z_EN: 0
; COMPUTE_PGM_RSRC2:TIDIG_COMP_CNT: 0
; COMPUTE_PGM_RSRC3_GFX90A:ACCUM_OFFSET: 0
; COMPUTE_PGM_RSRC3_GFX90A:TG_SPLIT: 0
	.section	.text._ZN7rocprim17ROCPRIM_400000_NS6detail17trampoline_kernelINS0_14default_configENS1_29reduce_by_key_config_selectorIssN6thrust23THRUST_200600_302600_NS4plusIsEEEEZZNS1_33reduce_by_key_impl_wrapped_configILNS1_25lookback_scan_determinismE0ES3_S9_NS6_6detail15normal_iteratorINS6_10device_ptrIsEEEESG_SG_SG_PmS8_22is_equal_div_10_reduceIsEEE10hipError_tPvRmT2_T3_mT4_T5_T6_T7_T8_P12ihipStream_tbENKUlT_T0_E_clISt17integral_constantIbLb1EES10_IbLb0EEEEDaSW_SX_EUlSW_E_NS1_11comp_targetILNS1_3genE10ELNS1_11target_archE1201ELNS1_3gpuE5ELNS1_3repE0EEENS1_30default_config_static_selectorELNS0_4arch9wavefront6targetE1EEEvT1_,"axG",@progbits,_ZN7rocprim17ROCPRIM_400000_NS6detail17trampoline_kernelINS0_14default_configENS1_29reduce_by_key_config_selectorIssN6thrust23THRUST_200600_302600_NS4plusIsEEEEZZNS1_33reduce_by_key_impl_wrapped_configILNS1_25lookback_scan_determinismE0ES3_S9_NS6_6detail15normal_iteratorINS6_10device_ptrIsEEEESG_SG_SG_PmS8_22is_equal_div_10_reduceIsEEE10hipError_tPvRmT2_T3_mT4_T5_T6_T7_T8_P12ihipStream_tbENKUlT_T0_E_clISt17integral_constantIbLb1EES10_IbLb0EEEEDaSW_SX_EUlSW_E_NS1_11comp_targetILNS1_3genE10ELNS1_11target_archE1201ELNS1_3gpuE5ELNS1_3repE0EEENS1_30default_config_static_selectorELNS0_4arch9wavefront6targetE1EEEvT1_,comdat
	.protected	_ZN7rocprim17ROCPRIM_400000_NS6detail17trampoline_kernelINS0_14default_configENS1_29reduce_by_key_config_selectorIssN6thrust23THRUST_200600_302600_NS4plusIsEEEEZZNS1_33reduce_by_key_impl_wrapped_configILNS1_25lookback_scan_determinismE0ES3_S9_NS6_6detail15normal_iteratorINS6_10device_ptrIsEEEESG_SG_SG_PmS8_22is_equal_div_10_reduceIsEEE10hipError_tPvRmT2_T3_mT4_T5_T6_T7_T8_P12ihipStream_tbENKUlT_T0_E_clISt17integral_constantIbLb1EES10_IbLb0EEEEDaSW_SX_EUlSW_E_NS1_11comp_targetILNS1_3genE10ELNS1_11target_archE1201ELNS1_3gpuE5ELNS1_3repE0EEENS1_30default_config_static_selectorELNS0_4arch9wavefront6targetE1EEEvT1_ ; -- Begin function _ZN7rocprim17ROCPRIM_400000_NS6detail17trampoline_kernelINS0_14default_configENS1_29reduce_by_key_config_selectorIssN6thrust23THRUST_200600_302600_NS4plusIsEEEEZZNS1_33reduce_by_key_impl_wrapped_configILNS1_25lookback_scan_determinismE0ES3_S9_NS6_6detail15normal_iteratorINS6_10device_ptrIsEEEESG_SG_SG_PmS8_22is_equal_div_10_reduceIsEEE10hipError_tPvRmT2_T3_mT4_T5_T6_T7_T8_P12ihipStream_tbENKUlT_T0_E_clISt17integral_constantIbLb1EES10_IbLb0EEEEDaSW_SX_EUlSW_E_NS1_11comp_targetILNS1_3genE10ELNS1_11target_archE1201ELNS1_3gpuE5ELNS1_3repE0EEENS1_30default_config_static_selectorELNS0_4arch9wavefront6targetE1EEEvT1_
	.globl	_ZN7rocprim17ROCPRIM_400000_NS6detail17trampoline_kernelINS0_14default_configENS1_29reduce_by_key_config_selectorIssN6thrust23THRUST_200600_302600_NS4plusIsEEEEZZNS1_33reduce_by_key_impl_wrapped_configILNS1_25lookback_scan_determinismE0ES3_S9_NS6_6detail15normal_iteratorINS6_10device_ptrIsEEEESG_SG_SG_PmS8_22is_equal_div_10_reduceIsEEE10hipError_tPvRmT2_T3_mT4_T5_T6_T7_T8_P12ihipStream_tbENKUlT_T0_E_clISt17integral_constantIbLb1EES10_IbLb0EEEEDaSW_SX_EUlSW_E_NS1_11comp_targetILNS1_3genE10ELNS1_11target_archE1201ELNS1_3gpuE5ELNS1_3repE0EEENS1_30default_config_static_selectorELNS0_4arch9wavefront6targetE1EEEvT1_
	.p2align	8
	.type	_ZN7rocprim17ROCPRIM_400000_NS6detail17trampoline_kernelINS0_14default_configENS1_29reduce_by_key_config_selectorIssN6thrust23THRUST_200600_302600_NS4plusIsEEEEZZNS1_33reduce_by_key_impl_wrapped_configILNS1_25lookback_scan_determinismE0ES3_S9_NS6_6detail15normal_iteratorINS6_10device_ptrIsEEEESG_SG_SG_PmS8_22is_equal_div_10_reduceIsEEE10hipError_tPvRmT2_T3_mT4_T5_T6_T7_T8_P12ihipStream_tbENKUlT_T0_E_clISt17integral_constantIbLb1EES10_IbLb0EEEEDaSW_SX_EUlSW_E_NS1_11comp_targetILNS1_3genE10ELNS1_11target_archE1201ELNS1_3gpuE5ELNS1_3repE0EEENS1_30default_config_static_selectorELNS0_4arch9wavefront6targetE1EEEvT1_,@function
_ZN7rocprim17ROCPRIM_400000_NS6detail17trampoline_kernelINS0_14default_configENS1_29reduce_by_key_config_selectorIssN6thrust23THRUST_200600_302600_NS4plusIsEEEEZZNS1_33reduce_by_key_impl_wrapped_configILNS1_25lookback_scan_determinismE0ES3_S9_NS6_6detail15normal_iteratorINS6_10device_ptrIsEEEESG_SG_SG_PmS8_22is_equal_div_10_reduceIsEEE10hipError_tPvRmT2_T3_mT4_T5_T6_T7_T8_P12ihipStream_tbENKUlT_T0_E_clISt17integral_constantIbLb1EES10_IbLb0EEEEDaSW_SX_EUlSW_E_NS1_11comp_targetILNS1_3genE10ELNS1_11target_archE1201ELNS1_3gpuE5ELNS1_3repE0EEENS1_30default_config_static_selectorELNS0_4arch9wavefront6targetE1EEEvT1_: ; @_ZN7rocprim17ROCPRIM_400000_NS6detail17trampoline_kernelINS0_14default_configENS1_29reduce_by_key_config_selectorIssN6thrust23THRUST_200600_302600_NS4plusIsEEEEZZNS1_33reduce_by_key_impl_wrapped_configILNS1_25lookback_scan_determinismE0ES3_S9_NS6_6detail15normal_iteratorINS6_10device_ptrIsEEEESG_SG_SG_PmS8_22is_equal_div_10_reduceIsEEE10hipError_tPvRmT2_T3_mT4_T5_T6_T7_T8_P12ihipStream_tbENKUlT_T0_E_clISt17integral_constantIbLb1EES10_IbLb0EEEEDaSW_SX_EUlSW_E_NS1_11comp_targetILNS1_3genE10ELNS1_11target_archE1201ELNS1_3gpuE5ELNS1_3repE0EEENS1_30default_config_static_selectorELNS0_4arch9wavefront6targetE1EEEvT1_
; %bb.0:
	.section	.rodata,"a",@progbits
	.p2align	6, 0x0
	.amdhsa_kernel _ZN7rocprim17ROCPRIM_400000_NS6detail17trampoline_kernelINS0_14default_configENS1_29reduce_by_key_config_selectorIssN6thrust23THRUST_200600_302600_NS4plusIsEEEEZZNS1_33reduce_by_key_impl_wrapped_configILNS1_25lookback_scan_determinismE0ES3_S9_NS6_6detail15normal_iteratorINS6_10device_ptrIsEEEESG_SG_SG_PmS8_22is_equal_div_10_reduceIsEEE10hipError_tPvRmT2_T3_mT4_T5_T6_T7_T8_P12ihipStream_tbENKUlT_T0_E_clISt17integral_constantIbLb1EES10_IbLb0EEEEDaSW_SX_EUlSW_E_NS1_11comp_targetILNS1_3genE10ELNS1_11target_archE1201ELNS1_3gpuE5ELNS1_3repE0EEENS1_30default_config_static_selectorELNS0_4arch9wavefront6targetE1EEEvT1_
		.amdhsa_group_segment_fixed_size 0
		.amdhsa_private_segment_fixed_size 0
		.amdhsa_kernarg_size 120
		.amdhsa_user_sgpr_count 6
		.amdhsa_user_sgpr_private_segment_buffer 1
		.amdhsa_user_sgpr_dispatch_ptr 0
		.amdhsa_user_sgpr_queue_ptr 0
		.amdhsa_user_sgpr_kernarg_segment_ptr 1
		.amdhsa_user_sgpr_dispatch_id 0
		.amdhsa_user_sgpr_flat_scratch_init 0
		.amdhsa_user_sgpr_kernarg_preload_length 0
		.amdhsa_user_sgpr_kernarg_preload_offset 0
		.amdhsa_user_sgpr_private_segment_size 0
		.amdhsa_uses_dynamic_stack 0
		.amdhsa_system_sgpr_private_segment_wavefront_offset 0
		.amdhsa_system_sgpr_workgroup_id_x 1
		.amdhsa_system_sgpr_workgroup_id_y 0
		.amdhsa_system_sgpr_workgroup_id_z 0
		.amdhsa_system_sgpr_workgroup_info 0
		.amdhsa_system_vgpr_workitem_id 0
		.amdhsa_next_free_vgpr 1
		.amdhsa_next_free_sgpr 0
		.amdhsa_accum_offset 4
		.amdhsa_reserve_vcc 0
		.amdhsa_reserve_flat_scratch 0
		.amdhsa_float_round_mode_32 0
		.amdhsa_float_round_mode_16_64 0
		.amdhsa_float_denorm_mode_32 3
		.amdhsa_float_denorm_mode_16_64 3
		.amdhsa_dx10_clamp 1
		.amdhsa_ieee_mode 1
		.amdhsa_fp16_overflow 0
		.amdhsa_tg_split 0
		.amdhsa_exception_fp_ieee_invalid_op 0
		.amdhsa_exception_fp_denorm_src 0
		.amdhsa_exception_fp_ieee_div_zero 0
		.amdhsa_exception_fp_ieee_overflow 0
		.amdhsa_exception_fp_ieee_underflow 0
		.amdhsa_exception_fp_ieee_inexact 0
		.amdhsa_exception_int_div_zero 0
	.end_amdhsa_kernel
	.section	.text._ZN7rocprim17ROCPRIM_400000_NS6detail17trampoline_kernelINS0_14default_configENS1_29reduce_by_key_config_selectorIssN6thrust23THRUST_200600_302600_NS4plusIsEEEEZZNS1_33reduce_by_key_impl_wrapped_configILNS1_25lookback_scan_determinismE0ES3_S9_NS6_6detail15normal_iteratorINS6_10device_ptrIsEEEESG_SG_SG_PmS8_22is_equal_div_10_reduceIsEEE10hipError_tPvRmT2_T3_mT4_T5_T6_T7_T8_P12ihipStream_tbENKUlT_T0_E_clISt17integral_constantIbLb1EES10_IbLb0EEEEDaSW_SX_EUlSW_E_NS1_11comp_targetILNS1_3genE10ELNS1_11target_archE1201ELNS1_3gpuE5ELNS1_3repE0EEENS1_30default_config_static_selectorELNS0_4arch9wavefront6targetE1EEEvT1_,"axG",@progbits,_ZN7rocprim17ROCPRIM_400000_NS6detail17trampoline_kernelINS0_14default_configENS1_29reduce_by_key_config_selectorIssN6thrust23THRUST_200600_302600_NS4plusIsEEEEZZNS1_33reduce_by_key_impl_wrapped_configILNS1_25lookback_scan_determinismE0ES3_S9_NS6_6detail15normal_iteratorINS6_10device_ptrIsEEEESG_SG_SG_PmS8_22is_equal_div_10_reduceIsEEE10hipError_tPvRmT2_T3_mT4_T5_T6_T7_T8_P12ihipStream_tbENKUlT_T0_E_clISt17integral_constantIbLb1EES10_IbLb0EEEEDaSW_SX_EUlSW_E_NS1_11comp_targetILNS1_3genE10ELNS1_11target_archE1201ELNS1_3gpuE5ELNS1_3repE0EEENS1_30default_config_static_selectorELNS0_4arch9wavefront6targetE1EEEvT1_,comdat
.Lfunc_end684:
	.size	_ZN7rocprim17ROCPRIM_400000_NS6detail17trampoline_kernelINS0_14default_configENS1_29reduce_by_key_config_selectorIssN6thrust23THRUST_200600_302600_NS4plusIsEEEEZZNS1_33reduce_by_key_impl_wrapped_configILNS1_25lookback_scan_determinismE0ES3_S9_NS6_6detail15normal_iteratorINS6_10device_ptrIsEEEESG_SG_SG_PmS8_22is_equal_div_10_reduceIsEEE10hipError_tPvRmT2_T3_mT4_T5_T6_T7_T8_P12ihipStream_tbENKUlT_T0_E_clISt17integral_constantIbLb1EES10_IbLb0EEEEDaSW_SX_EUlSW_E_NS1_11comp_targetILNS1_3genE10ELNS1_11target_archE1201ELNS1_3gpuE5ELNS1_3repE0EEENS1_30default_config_static_selectorELNS0_4arch9wavefront6targetE1EEEvT1_, .Lfunc_end684-_ZN7rocprim17ROCPRIM_400000_NS6detail17trampoline_kernelINS0_14default_configENS1_29reduce_by_key_config_selectorIssN6thrust23THRUST_200600_302600_NS4plusIsEEEEZZNS1_33reduce_by_key_impl_wrapped_configILNS1_25lookback_scan_determinismE0ES3_S9_NS6_6detail15normal_iteratorINS6_10device_ptrIsEEEESG_SG_SG_PmS8_22is_equal_div_10_reduceIsEEE10hipError_tPvRmT2_T3_mT4_T5_T6_T7_T8_P12ihipStream_tbENKUlT_T0_E_clISt17integral_constantIbLb1EES10_IbLb0EEEEDaSW_SX_EUlSW_E_NS1_11comp_targetILNS1_3genE10ELNS1_11target_archE1201ELNS1_3gpuE5ELNS1_3repE0EEENS1_30default_config_static_selectorELNS0_4arch9wavefront6targetE1EEEvT1_
                                        ; -- End function
	.section	.AMDGPU.csdata,"",@progbits
; Kernel info:
; codeLenInByte = 0
; NumSgprs: 4
; NumVgprs: 0
; NumAgprs: 0
; TotalNumVgprs: 0
; ScratchSize: 0
; MemoryBound: 0
; FloatMode: 240
; IeeeMode: 1
; LDSByteSize: 0 bytes/workgroup (compile time only)
; SGPRBlocks: 0
; VGPRBlocks: 0
; NumSGPRsForWavesPerEU: 4
; NumVGPRsForWavesPerEU: 1
; AccumOffset: 4
; Occupancy: 8
; WaveLimiterHint : 0
; COMPUTE_PGM_RSRC2:SCRATCH_EN: 0
; COMPUTE_PGM_RSRC2:USER_SGPR: 6
; COMPUTE_PGM_RSRC2:TRAP_HANDLER: 0
; COMPUTE_PGM_RSRC2:TGID_X_EN: 1
; COMPUTE_PGM_RSRC2:TGID_Y_EN: 0
; COMPUTE_PGM_RSRC2:TGID_Z_EN: 0
; COMPUTE_PGM_RSRC2:TIDIG_COMP_CNT: 0
; COMPUTE_PGM_RSRC3_GFX90A:ACCUM_OFFSET: 0
; COMPUTE_PGM_RSRC3_GFX90A:TG_SPLIT: 0
	.section	.text._ZN7rocprim17ROCPRIM_400000_NS6detail17trampoline_kernelINS0_14default_configENS1_29reduce_by_key_config_selectorIssN6thrust23THRUST_200600_302600_NS4plusIsEEEEZZNS1_33reduce_by_key_impl_wrapped_configILNS1_25lookback_scan_determinismE0ES3_S9_NS6_6detail15normal_iteratorINS6_10device_ptrIsEEEESG_SG_SG_PmS8_22is_equal_div_10_reduceIsEEE10hipError_tPvRmT2_T3_mT4_T5_T6_T7_T8_P12ihipStream_tbENKUlT_T0_E_clISt17integral_constantIbLb1EES10_IbLb0EEEEDaSW_SX_EUlSW_E_NS1_11comp_targetILNS1_3genE10ELNS1_11target_archE1200ELNS1_3gpuE4ELNS1_3repE0EEENS1_30default_config_static_selectorELNS0_4arch9wavefront6targetE1EEEvT1_,"axG",@progbits,_ZN7rocprim17ROCPRIM_400000_NS6detail17trampoline_kernelINS0_14default_configENS1_29reduce_by_key_config_selectorIssN6thrust23THRUST_200600_302600_NS4plusIsEEEEZZNS1_33reduce_by_key_impl_wrapped_configILNS1_25lookback_scan_determinismE0ES3_S9_NS6_6detail15normal_iteratorINS6_10device_ptrIsEEEESG_SG_SG_PmS8_22is_equal_div_10_reduceIsEEE10hipError_tPvRmT2_T3_mT4_T5_T6_T7_T8_P12ihipStream_tbENKUlT_T0_E_clISt17integral_constantIbLb1EES10_IbLb0EEEEDaSW_SX_EUlSW_E_NS1_11comp_targetILNS1_3genE10ELNS1_11target_archE1200ELNS1_3gpuE4ELNS1_3repE0EEENS1_30default_config_static_selectorELNS0_4arch9wavefront6targetE1EEEvT1_,comdat
	.protected	_ZN7rocprim17ROCPRIM_400000_NS6detail17trampoline_kernelINS0_14default_configENS1_29reduce_by_key_config_selectorIssN6thrust23THRUST_200600_302600_NS4plusIsEEEEZZNS1_33reduce_by_key_impl_wrapped_configILNS1_25lookback_scan_determinismE0ES3_S9_NS6_6detail15normal_iteratorINS6_10device_ptrIsEEEESG_SG_SG_PmS8_22is_equal_div_10_reduceIsEEE10hipError_tPvRmT2_T3_mT4_T5_T6_T7_T8_P12ihipStream_tbENKUlT_T0_E_clISt17integral_constantIbLb1EES10_IbLb0EEEEDaSW_SX_EUlSW_E_NS1_11comp_targetILNS1_3genE10ELNS1_11target_archE1200ELNS1_3gpuE4ELNS1_3repE0EEENS1_30default_config_static_selectorELNS0_4arch9wavefront6targetE1EEEvT1_ ; -- Begin function _ZN7rocprim17ROCPRIM_400000_NS6detail17trampoline_kernelINS0_14default_configENS1_29reduce_by_key_config_selectorIssN6thrust23THRUST_200600_302600_NS4plusIsEEEEZZNS1_33reduce_by_key_impl_wrapped_configILNS1_25lookback_scan_determinismE0ES3_S9_NS6_6detail15normal_iteratorINS6_10device_ptrIsEEEESG_SG_SG_PmS8_22is_equal_div_10_reduceIsEEE10hipError_tPvRmT2_T3_mT4_T5_T6_T7_T8_P12ihipStream_tbENKUlT_T0_E_clISt17integral_constantIbLb1EES10_IbLb0EEEEDaSW_SX_EUlSW_E_NS1_11comp_targetILNS1_3genE10ELNS1_11target_archE1200ELNS1_3gpuE4ELNS1_3repE0EEENS1_30default_config_static_selectorELNS0_4arch9wavefront6targetE1EEEvT1_
	.globl	_ZN7rocprim17ROCPRIM_400000_NS6detail17trampoline_kernelINS0_14default_configENS1_29reduce_by_key_config_selectorIssN6thrust23THRUST_200600_302600_NS4plusIsEEEEZZNS1_33reduce_by_key_impl_wrapped_configILNS1_25lookback_scan_determinismE0ES3_S9_NS6_6detail15normal_iteratorINS6_10device_ptrIsEEEESG_SG_SG_PmS8_22is_equal_div_10_reduceIsEEE10hipError_tPvRmT2_T3_mT4_T5_T6_T7_T8_P12ihipStream_tbENKUlT_T0_E_clISt17integral_constantIbLb1EES10_IbLb0EEEEDaSW_SX_EUlSW_E_NS1_11comp_targetILNS1_3genE10ELNS1_11target_archE1200ELNS1_3gpuE4ELNS1_3repE0EEENS1_30default_config_static_selectorELNS0_4arch9wavefront6targetE1EEEvT1_
	.p2align	8
	.type	_ZN7rocprim17ROCPRIM_400000_NS6detail17trampoline_kernelINS0_14default_configENS1_29reduce_by_key_config_selectorIssN6thrust23THRUST_200600_302600_NS4plusIsEEEEZZNS1_33reduce_by_key_impl_wrapped_configILNS1_25lookback_scan_determinismE0ES3_S9_NS6_6detail15normal_iteratorINS6_10device_ptrIsEEEESG_SG_SG_PmS8_22is_equal_div_10_reduceIsEEE10hipError_tPvRmT2_T3_mT4_T5_T6_T7_T8_P12ihipStream_tbENKUlT_T0_E_clISt17integral_constantIbLb1EES10_IbLb0EEEEDaSW_SX_EUlSW_E_NS1_11comp_targetILNS1_3genE10ELNS1_11target_archE1200ELNS1_3gpuE4ELNS1_3repE0EEENS1_30default_config_static_selectorELNS0_4arch9wavefront6targetE1EEEvT1_,@function
_ZN7rocprim17ROCPRIM_400000_NS6detail17trampoline_kernelINS0_14default_configENS1_29reduce_by_key_config_selectorIssN6thrust23THRUST_200600_302600_NS4plusIsEEEEZZNS1_33reduce_by_key_impl_wrapped_configILNS1_25lookback_scan_determinismE0ES3_S9_NS6_6detail15normal_iteratorINS6_10device_ptrIsEEEESG_SG_SG_PmS8_22is_equal_div_10_reduceIsEEE10hipError_tPvRmT2_T3_mT4_T5_T6_T7_T8_P12ihipStream_tbENKUlT_T0_E_clISt17integral_constantIbLb1EES10_IbLb0EEEEDaSW_SX_EUlSW_E_NS1_11comp_targetILNS1_3genE10ELNS1_11target_archE1200ELNS1_3gpuE4ELNS1_3repE0EEENS1_30default_config_static_selectorELNS0_4arch9wavefront6targetE1EEEvT1_: ; @_ZN7rocprim17ROCPRIM_400000_NS6detail17trampoline_kernelINS0_14default_configENS1_29reduce_by_key_config_selectorIssN6thrust23THRUST_200600_302600_NS4plusIsEEEEZZNS1_33reduce_by_key_impl_wrapped_configILNS1_25lookback_scan_determinismE0ES3_S9_NS6_6detail15normal_iteratorINS6_10device_ptrIsEEEESG_SG_SG_PmS8_22is_equal_div_10_reduceIsEEE10hipError_tPvRmT2_T3_mT4_T5_T6_T7_T8_P12ihipStream_tbENKUlT_T0_E_clISt17integral_constantIbLb1EES10_IbLb0EEEEDaSW_SX_EUlSW_E_NS1_11comp_targetILNS1_3genE10ELNS1_11target_archE1200ELNS1_3gpuE4ELNS1_3repE0EEENS1_30default_config_static_selectorELNS0_4arch9wavefront6targetE1EEEvT1_
; %bb.0:
	.section	.rodata,"a",@progbits
	.p2align	6, 0x0
	.amdhsa_kernel _ZN7rocprim17ROCPRIM_400000_NS6detail17trampoline_kernelINS0_14default_configENS1_29reduce_by_key_config_selectorIssN6thrust23THRUST_200600_302600_NS4plusIsEEEEZZNS1_33reduce_by_key_impl_wrapped_configILNS1_25lookback_scan_determinismE0ES3_S9_NS6_6detail15normal_iteratorINS6_10device_ptrIsEEEESG_SG_SG_PmS8_22is_equal_div_10_reduceIsEEE10hipError_tPvRmT2_T3_mT4_T5_T6_T7_T8_P12ihipStream_tbENKUlT_T0_E_clISt17integral_constantIbLb1EES10_IbLb0EEEEDaSW_SX_EUlSW_E_NS1_11comp_targetILNS1_3genE10ELNS1_11target_archE1200ELNS1_3gpuE4ELNS1_3repE0EEENS1_30default_config_static_selectorELNS0_4arch9wavefront6targetE1EEEvT1_
		.amdhsa_group_segment_fixed_size 0
		.amdhsa_private_segment_fixed_size 0
		.amdhsa_kernarg_size 120
		.amdhsa_user_sgpr_count 6
		.amdhsa_user_sgpr_private_segment_buffer 1
		.amdhsa_user_sgpr_dispatch_ptr 0
		.amdhsa_user_sgpr_queue_ptr 0
		.amdhsa_user_sgpr_kernarg_segment_ptr 1
		.amdhsa_user_sgpr_dispatch_id 0
		.amdhsa_user_sgpr_flat_scratch_init 0
		.amdhsa_user_sgpr_kernarg_preload_length 0
		.amdhsa_user_sgpr_kernarg_preload_offset 0
		.amdhsa_user_sgpr_private_segment_size 0
		.amdhsa_uses_dynamic_stack 0
		.amdhsa_system_sgpr_private_segment_wavefront_offset 0
		.amdhsa_system_sgpr_workgroup_id_x 1
		.amdhsa_system_sgpr_workgroup_id_y 0
		.amdhsa_system_sgpr_workgroup_id_z 0
		.amdhsa_system_sgpr_workgroup_info 0
		.amdhsa_system_vgpr_workitem_id 0
		.amdhsa_next_free_vgpr 1
		.amdhsa_next_free_sgpr 0
		.amdhsa_accum_offset 4
		.amdhsa_reserve_vcc 0
		.amdhsa_reserve_flat_scratch 0
		.amdhsa_float_round_mode_32 0
		.amdhsa_float_round_mode_16_64 0
		.amdhsa_float_denorm_mode_32 3
		.amdhsa_float_denorm_mode_16_64 3
		.amdhsa_dx10_clamp 1
		.amdhsa_ieee_mode 1
		.amdhsa_fp16_overflow 0
		.amdhsa_tg_split 0
		.amdhsa_exception_fp_ieee_invalid_op 0
		.amdhsa_exception_fp_denorm_src 0
		.amdhsa_exception_fp_ieee_div_zero 0
		.amdhsa_exception_fp_ieee_overflow 0
		.amdhsa_exception_fp_ieee_underflow 0
		.amdhsa_exception_fp_ieee_inexact 0
		.amdhsa_exception_int_div_zero 0
	.end_amdhsa_kernel
	.section	.text._ZN7rocprim17ROCPRIM_400000_NS6detail17trampoline_kernelINS0_14default_configENS1_29reduce_by_key_config_selectorIssN6thrust23THRUST_200600_302600_NS4plusIsEEEEZZNS1_33reduce_by_key_impl_wrapped_configILNS1_25lookback_scan_determinismE0ES3_S9_NS6_6detail15normal_iteratorINS6_10device_ptrIsEEEESG_SG_SG_PmS8_22is_equal_div_10_reduceIsEEE10hipError_tPvRmT2_T3_mT4_T5_T6_T7_T8_P12ihipStream_tbENKUlT_T0_E_clISt17integral_constantIbLb1EES10_IbLb0EEEEDaSW_SX_EUlSW_E_NS1_11comp_targetILNS1_3genE10ELNS1_11target_archE1200ELNS1_3gpuE4ELNS1_3repE0EEENS1_30default_config_static_selectorELNS0_4arch9wavefront6targetE1EEEvT1_,"axG",@progbits,_ZN7rocprim17ROCPRIM_400000_NS6detail17trampoline_kernelINS0_14default_configENS1_29reduce_by_key_config_selectorIssN6thrust23THRUST_200600_302600_NS4plusIsEEEEZZNS1_33reduce_by_key_impl_wrapped_configILNS1_25lookback_scan_determinismE0ES3_S9_NS6_6detail15normal_iteratorINS6_10device_ptrIsEEEESG_SG_SG_PmS8_22is_equal_div_10_reduceIsEEE10hipError_tPvRmT2_T3_mT4_T5_T6_T7_T8_P12ihipStream_tbENKUlT_T0_E_clISt17integral_constantIbLb1EES10_IbLb0EEEEDaSW_SX_EUlSW_E_NS1_11comp_targetILNS1_3genE10ELNS1_11target_archE1200ELNS1_3gpuE4ELNS1_3repE0EEENS1_30default_config_static_selectorELNS0_4arch9wavefront6targetE1EEEvT1_,comdat
.Lfunc_end685:
	.size	_ZN7rocprim17ROCPRIM_400000_NS6detail17trampoline_kernelINS0_14default_configENS1_29reduce_by_key_config_selectorIssN6thrust23THRUST_200600_302600_NS4plusIsEEEEZZNS1_33reduce_by_key_impl_wrapped_configILNS1_25lookback_scan_determinismE0ES3_S9_NS6_6detail15normal_iteratorINS6_10device_ptrIsEEEESG_SG_SG_PmS8_22is_equal_div_10_reduceIsEEE10hipError_tPvRmT2_T3_mT4_T5_T6_T7_T8_P12ihipStream_tbENKUlT_T0_E_clISt17integral_constantIbLb1EES10_IbLb0EEEEDaSW_SX_EUlSW_E_NS1_11comp_targetILNS1_3genE10ELNS1_11target_archE1200ELNS1_3gpuE4ELNS1_3repE0EEENS1_30default_config_static_selectorELNS0_4arch9wavefront6targetE1EEEvT1_, .Lfunc_end685-_ZN7rocprim17ROCPRIM_400000_NS6detail17trampoline_kernelINS0_14default_configENS1_29reduce_by_key_config_selectorIssN6thrust23THRUST_200600_302600_NS4plusIsEEEEZZNS1_33reduce_by_key_impl_wrapped_configILNS1_25lookback_scan_determinismE0ES3_S9_NS6_6detail15normal_iteratorINS6_10device_ptrIsEEEESG_SG_SG_PmS8_22is_equal_div_10_reduceIsEEE10hipError_tPvRmT2_T3_mT4_T5_T6_T7_T8_P12ihipStream_tbENKUlT_T0_E_clISt17integral_constantIbLb1EES10_IbLb0EEEEDaSW_SX_EUlSW_E_NS1_11comp_targetILNS1_3genE10ELNS1_11target_archE1200ELNS1_3gpuE4ELNS1_3repE0EEENS1_30default_config_static_selectorELNS0_4arch9wavefront6targetE1EEEvT1_
                                        ; -- End function
	.section	.AMDGPU.csdata,"",@progbits
; Kernel info:
; codeLenInByte = 0
; NumSgprs: 4
; NumVgprs: 0
; NumAgprs: 0
; TotalNumVgprs: 0
; ScratchSize: 0
; MemoryBound: 0
; FloatMode: 240
; IeeeMode: 1
; LDSByteSize: 0 bytes/workgroup (compile time only)
; SGPRBlocks: 0
; VGPRBlocks: 0
; NumSGPRsForWavesPerEU: 4
; NumVGPRsForWavesPerEU: 1
; AccumOffset: 4
; Occupancy: 8
; WaveLimiterHint : 0
; COMPUTE_PGM_RSRC2:SCRATCH_EN: 0
; COMPUTE_PGM_RSRC2:USER_SGPR: 6
; COMPUTE_PGM_RSRC2:TRAP_HANDLER: 0
; COMPUTE_PGM_RSRC2:TGID_X_EN: 1
; COMPUTE_PGM_RSRC2:TGID_Y_EN: 0
; COMPUTE_PGM_RSRC2:TGID_Z_EN: 0
; COMPUTE_PGM_RSRC2:TIDIG_COMP_CNT: 0
; COMPUTE_PGM_RSRC3_GFX90A:ACCUM_OFFSET: 0
; COMPUTE_PGM_RSRC3_GFX90A:TG_SPLIT: 0
	.section	.text._ZN7rocprim17ROCPRIM_400000_NS6detail17trampoline_kernelINS0_14default_configENS1_29reduce_by_key_config_selectorIssN6thrust23THRUST_200600_302600_NS4plusIsEEEEZZNS1_33reduce_by_key_impl_wrapped_configILNS1_25lookback_scan_determinismE0ES3_S9_NS6_6detail15normal_iteratorINS6_10device_ptrIsEEEESG_SG_SG_PmS8_22is_equal_div_10_reduceIsEEE10hipError_tPvRmT2_T3_mT4_T5_T6_T7_T8_P12ihipStream_tbENKUlT_T0_E_clISt17integral_constantIbLb1EES10_IbLb0EEEEDaSW_SX_EUlSW_E_NS1_11comp_targetILNS1_3genE9ELNS1_11target_archE1100ELNS1_3gpuE3ELNS1_3repE0EEENS1_30default_config_static_selectorELNS0_4arch9wavefront6targetE1EEEvT1_,"axG",@progbits,_ZN7rocprim17ROCPRIM_400000_NS6detail17trampoline_kernelINS0_14default_configENS1_29reduce_by_key_config_selectorIssN6thrust23THRUST_200600_302600_NS4plusIsEEEEZZNS1_33reduce_by_key_impl_wrapped_configILNS1_25lookback_scan_determinismE0ES3_S9_NS6_6detail15normal_iteratorINS6_10device_ptrIsEEEESG_SG_SG_PmS8_22is_equal_div_10_reduceIsEEE10hipError_tPvRmT2_T3_mT4_T5_T6_T7_T8_P12ihipStream_tbENKUlT_T0_E_clISt17integral_constantIbLb1EES10_IbLb0EEEEDaSW_SX_EUlSW_E_NS1_11comp_targetILNS1_3genE9ELNS1_11target_archE1100ELNS1_3gpuE3ELNS1_3repE0EEENS1_30default_config_static_selectorELNS0_4arch9wavefront6targetE1EEEvT1_,comdat
	.protected	_ZN7rocprim17ROCPRIM_400000_NS6detail17trampoline_kernelINS0_14default_configENS1_29reduce_by_key_config_selectorIssN6thrust23THRUST_200600_302600_NS4plusIsEEEEZZNS1_33reduce_by_key_impl_wrapped_configILNS1_25lookback_scan_determinismE0ES3_S9_NS6_6detail15normal_iteratorINS6_10device_ptrIsEEEESG_SG_SG_PmS8_22is_equal_div_10_reduceIsEEE10hipError_tPvRmT2_T3_mT4_T5_T6_T7_T8_P12ihipStream_tbENKUlT_T0_E_clISt17integral_constantIbLb1EES10_IbLb0EEEEDaSW_SX_EUlSW_E_NS1_11comp_targetILNS1_3genE9ELNS1_11target_archE1100ELNS1_3gpuE3ELNS1_3repE0EEENS1_30default_config_static_selectorELNS0_4arch9wavefront6targetE1EEEvT1_ ; -- Begin function _ZN7rocprim17ROCPRIM_400000_NS6detail17trampoline_kernelINS0_14default_configENS1_29reduce_by_key_config_selectorIssN6thrust23THRUST_200600_302600_NS4plusIsEEEEZZNS1_33reduce_by_key_impl_wrapped_configILNS1_25lookback_scan_determinismE0ES3_S9_NS6_6detail15normal_iteratorINS6_10device_ptrIsEEEESG_SG_SG_PmS8_22is_equal_div_10_reduceIsEEE10hipError_tPvRmT2_T3_mT4_T5_T6_T7_T8_P12ihipStream_tbENKUlT_T0_E_clISt17integral_constantIbLb1EES10_IbLb0EEEEDaSW_SX_EUlSW_E_NS1_11comp_targetILNS1_3genE9ELNS1_11target_archE1100ELNS1_3gpuE3ELNS1_3repE0EEENS1_30default_config_static_selectorELNS0_4arch9wavefront6targetE1EEEvT1_
	.globl	_ZN7rocprim17ROCPRIM_400000_NS6detail17trampoline_kernelINS0_14default_configENS1_29reduce_by_key_config_selectorIssN6thrust23THRUST_200600_302600_NS4plusIsEEEEZZNS1_33reduce_by_key_impl_wrapped_configILNS1_25lookback_scan_determinismE0ES3_S9_NS6_6detail15normal_iteratorINS6_10device_ptrIsEEEESG_SG_SG_PmS8_22is_equal_div_10_reduceIsEEE10hipError_tPvRmT2_T3_mT4_T5_T6_T7_T8_P12ihipStream_tbENKUlT_T0_E_clISt17integral_constantIbLb1EES10_IbLb0EEEEDaSW_SX_EUlSW_E_NS1_11comp_targetILNS1_3genE9ELNS1_11target_archE1100ELNS1_3gpuE3ELNS1_3repE0EEENS1_30default_config_static_selectorELNS0_4arch9wavefront6targetE1EEEvT1_
	.p2align	8
	.type	_ZN7rocprim17ROCPRIM_400000_NS6detail17trampoline_kernelINS0_14default_configENS1_29reduce_by_key_config_selectorIssN6thrust23THRUST_200600_302600_NS4plusIsEEEEZZNS1_33reduce_by_key_impl_wrapped_configILNS1_25lookback_scan_determinismE0ES3_S9_NS6_6detail15normal_iteratorINS6_10device_ptrIsEEEESG_SG_SG_PmS8_22is_equal_div_10_reduceIsEEE10hipError_tPvRmT2_T3_mT4_T5_T6_T7_T8_P12ihipStream_tbENKUlT_T0_E_clISt17integral_constantIbLb1EES10_IbLb0EEEEDaSW_SX_EUlSW_E_NS1_11comp_targetILNS1_3genE9ELNS1_11target_archE1100ELNS1_3gpuE3ELNS1_3repE0EEENS1_30default_config_static_selectorELNS0_4arch9wavefront6targetE1EEEvT1_,@function
_ZN7rocprim17ROCPRIM_400000_NS6detail17trampoline_kernelINS0_14default_configENS1_29reduce_by_key_config_selectorIssN6thrust23THRUST_200600_302600_NS4plusIsEEEEZZNS1_33reduce_by_key_impl_wrapped_configILNS1_25lookback_scan_determinismE0ES3_S9_NS6_6detail15normal_iteratorINS6_10device_ptrIsEEEESG_SG_SG_PmS8_22is_equal_div_10_reduceIsEEE10hipError_tPvRmT2_T3_mT4_T5_T6_T7_T8_P12ihipStream_tbENKUlT_T0_E_clISt17integral_constantIbLb1EES10_IbLb0EEEEDaSW_SX_EUlSW_E_NS1_11comp_targetILNS1_3genE9ELNS1_11target_archE1100ELNS1_3gpuE3ELNS1_3repE0EEENS1_30default_config_static_selectorELNS0_4arch9wavefront6targetE1EEEvT1_: ; @_ZN7rocprim17ROCPRIM_400000_NS6detail17trampoline_kernelINS0_14default_configENS1_29reduce_by_key_config_selectorIssN6thrust23THRUST_200600_302600_NS4plusIsEEEEZZNS1_33reduce_by_key_impl_wrapped_configILNS1_25lookback_scan_determinismE0ES3_S9_NS6_6detail15normal_iteratorINS6_10device_ptrIsEEEESG_SG_SG_PmS8_22is_equal_div_10_reduceIsEEE10hipError_tPvRmT2_T3_mT4_T5_T6_T7_T8_P12ihipStream_tbENKUlT_T0_E_clISt17integral_constantIbLb1EES10_IbLb0EEEEDaSW_SX_EUlSW_E_NS1_11comp_targetILNS1_3genE9ELNS1_11target_archE1100ELNS1_3gpuE3ELNS1_3repE0EEENS1_30default_config_static_selectorELNS0_4arch9wavefront6targetE1EEEvT1_
; %bb.0:
	.section	.rodata,"a",@progbits
	.p2align	6, 0x0
	.amdhsa_kernel _ZN7rocprim17ROCPRIM_400000_NS6detail17trampoline_kernelINS0_14default_configENS1_29reduce_by_key_config_selectorIssN6thrust23THRUST_200600_302600_NS4plusIsEEEEZZNS1_33reduce_by_key_impl_wrapped_configILNS1_25lookback_scan_determinismE0ES3_S9_NS6_6detail15normal_iteratorINS6_10device_ptrIsEEEESG_SG_SG_PmS8_22is_equal_div_10_reduceIsEEE10hipError_tPvRmT2_T3_mT4_T5_T6_T7_T8_P12ihipStream_tbENKUlT_T0_E_clISt17integral_constantIbLb1EES10_IbLb0EEEEDaSW_SX_EUlSW_E_NS1_11comp_targetILNS1_3genE9ELNS1_11target_archE1100ELNS1_3gpuE3ELNS1_3repE0EEENS1_30default_config_static_selectorELNS0_4arch9wavefront6targetE1EEEvT1_
		.amdhsa_group_segment_fixed_size 0
		.amdhsa_private_segment_fixed_size 0
		.amdhsa_kernarg_size 120
		.amdhsa_user_sgpr_count 6
		.amdhsa_user_sgpr_private_segment_buffer 1
		.amdhsa_user_sgpr_dispatch_ptr 0
		.amdhsa_user_sgpr_queue_ptr 0
		.amdhsa_user_sgpr_kernarg_segment_ptr 1
		.amdhsa_user_sgpr_dispatch_id 0
		.amdhsa_user_sgpr_flat_scratch_init 0
		.amdhsa_user_sgpr_kernarg_preload_length 0
		.amdhsa_user_sgpr_kernarg_preload_offset 0
		.amdhsa_user_sgpr_private_segment_size 0
		.amdhsa_uses_dynamic_stack 0
		.amdhsa_system_sgpr_private_segment_wavefront_offset 0
		.amdhsa_system_sgpr_workgroup_id_x 1
		.amdhsa_system_sgpr_workgroup_id_y 0
		.amdhsa_system_sgpr_workgroup_id_z 0
		.amdhsa_system_sgpr_workgroup_info 0
		.amdhsa_system_vgpr_workitem_id 0
		.amdhsa_next_free_vgpr 1
		.amdhsa_next_free_sgpr 0
		.amdhsa_accum_offset 4
		.amdhsa_reserve_vcc 0
		.amdhsa_reserve_flat_scratch 0
		.amdhsa_float_round_mode_32 0
		.amdhsa_float_round_mode_16_64 0
		.amdhsa_float_denorm_mode_32 3
		.amdhsa_float_denorm_mode_16_64 3
		.amdhsa_dx10_clamp 1
		.amdhsa_ieee_mode 1
		.amdhsa_fp16_overflow 0
		.amdhsa_tg_split 0
		.amdhsa_exception_fp_ieee_invalid_op 0
		.amdhsa_exception_fp_denorm_src 0
		.amdhsa_exception_fp_ieee_div_zero 0
		.amdhsa_exception_fp_ieee_overflow 0
		.amdhsa_exception_fp_ieee_underflow 0
		.amdhsa_exception_fp_ieee_inexact 0
		.amdhsa_exception_int_div_zero 0
	.end_amdhsa_kernel
	.section	.text._ZN7rocprim17ROCPRIM_400000_NS6detail17trampoline_kernelINS0_14default_configENS1_29reduce_by_key_config_selectorIssN6thrust23THRUST_200600_302600_NS4plusIsEEEEZZNS1_33reduce_by_key_impl_wrapped_configILNS1_25lookback_scan_determinismE0ES3_S9_NS6_6detail15normal_iteratorINS6_10device_ptrIsEEEESG_SG_SG_PmS8_22is_equal_div_10_reduceIsEEE10hipError_tPvRmT2_T3_mT4_T5_T6_T7_T8_P12ihipStream_tbENKUlT_T0_E_clISt17integral_constantIbLb1EES10_IbLb0EEEEDaSW_SX_EUlSW_E_NS1_11comp_targetILNS1_3genE9ELNS1_11target_archE1100ELNS1_3gpuE3ELNS1_3repE0EEENS1_30default_config_static_selectorELNS0_4arch9wavefront6targetE1EEEvT1_,"axG",@progbits,_ZN7rocprim17ROCPRIM_400000_NS6detail17trampoline_kernelINS0_14default_configENS1_29reduce_by_key_config_selectorIssN6thrust23THRUST_200600_302600_NS4plusIsEEEEZZNS1_33reduce_by_key_impl_wrapped_configILNS1_25lookback_scan_determinismE0ES3_S9_NS6_6detail15normal_iteratorINS6_10device_ptrIsEEEESG_SG_SG_PmS8_22is_equal_div_10_reduceIsEEE10hipError_tPvRmT2_T3_mT4_T5_T6_T7_T8_P12ihipStream_tbENKUlT_T0_E_clISt17integral_constantIbLb1EES10_IbLb0EEEEDaSW_SX_EUlSW_E_NS1_11comp_targetILNS1_3genE9ELNS1_11target_archE1100ELNS1_3gpuE3ELNS1_3repE0EEENS1_30default_config_static_selectorELNS0_4arch9wavefront6targetE1EEEvT1_,comdat
.Lfunc_end686:
	.size	_ZN7rocprim17ROCPRIM_400000_NS6detail17trampoline_kernelINS0_14default_configENS1_29reduce_by_key_config_selectorIssN6thrust23THRUST_200600_302600_NS4plusIsEEEEZZNS1_33reduce_by_key_impl_wrapped_configILNS1_25lookback_scan_determinismE0ES3_S9_NS6_6detail15normal_iteratorINS6_10device_ptrIsEEEESG_SG_SG_PmS8_22is_equal_div_10_reduceIsEEE10hipError_tPvRmT2_T3_mT4_T5_T6_T7_T8_P12ihipStream_tbENKUlT_T0_E_clISt17integral_constantIbLb1EES10_IbLb0EEEEDaSW_SX_EUlSW_E_NS1_11comp_targetILNS1_3genE9ELNS1_11target_archE1100ELNS1_3gpuE3ELNS1_3repE0EEENS1_30default_config_static_selectorELNS0_4arch9wavefront6targetE1EEEvT1_, .Lfunc_end686-_ZN7rocprim17ROCPRIM_400000_NS6detail17trampoline_kernelINS0_14default_configENS1_29reduce_by_key_config_selectorIssN6thrust23THRUST_200600_302600_NS4plusIsEEEEZZNS1_33reduce_by_key_impl_wrapped_configILNS1_25lookback_scan_determinismE0ES3_S9_NS6_6detail15normal_iteratorINS6_10device_ptrIsEEEESG_SG_SG_PmS8_22is_equal_div_10_reduceIsEEE10hipError_tPvRmT2_T3_mT4_T5_T6_T7_T8_P12ihipStream_tbENKUlT_T0_E_clISt17integral_constantIbLb1EES10_IbLb0EEEEDaSW_SX_EUlSW_E_NS1_11comp_targetILNS1_3genE9ELNS1_11target_archE1100ELNS1_3gpuE3ELNS1_3repE0EEENS1_30default_config_static_selectorELNS0_4arch9wavefront6targetE1EEEvT1_
                                        ; -- End function
	.section	.AMDGPU.csdata,"",@progbits
; Kernel info:
; codeLenInByte = 0
; NumSgprs: 4
; NumVgprs: 0
; NumAgprs: 0
; TotalNumVgprs: 0
; ScratchSize: 0
; MemoryBound: 0
; FloatMode: 240
; IeeeMode: 1
; LDSByteSize: 0 bytes/workgroup (compile time only)
; SGPRBlocks: 0
; VGPRBlocks: 0
; NumSGPRsForWavesPerEU: 4
; NumVGPRsForWavesPerEU: 1
; AccumOffset: 4
; Occupancy: 8
; WaveLimiterHint : 0
; COMPUTE_PGM_RSRC2:SCRATCH_EN: 0
; COMPUTE_PGM_RSRC2:USER_SGPR: 6
; COMPUTE_PGM_RSRC2:TRAP_HANDLER: 0
; COMPUTE_PGM_RSRC2:TGID_X_EN: 1
; COMPUTE_PGM_RSRC2:TGID_Y_EN: 0
; COMPUTE_PGM_RSRC2:TGID_Z_EN: 0
; COMPUTE_PGM_RSRC2:TIDIG_COMP_CNT: 0
; COMPUTE_PGM_RSRC3_GFX90A:ACCUM_OFFSET: 0
; COMPUTE_PGM_RSRC3_GFX90A:TG_SPLIT: 0
	.section	.text._ZN7rocprim17ROCPRIM_400000_NS6detail17trampoline_kernelINS0_14default_configENS1_29reduce_by_key_config_selectorIssN6thrust23THRUST_200600_302600_NS4plusIsEEEEZZNS1_33reduce_by_key_impl_wrapped_configILNS1_25lookback_scan_determinismE0ES3_S9_NS6_6detail15normal_iteratorINS6_10device_ptrIsEEEESG_SG_SG_PmS8_22is_equal_div_10_reduceIsEEE10hipError_tPvRmT2_T3_mT4_T5_T6_T7_T8_P12ihipStream_tbENKUlT_T0_E_clISt17integral_constantIbLb1EES10_IbLb0EEEEDaSW_SX_EUlSW_E_NS1_11comp_targetILNS1_3genE8ELNS1_11target_archE1030ELNS1_3gpuE2ELNS1_3repE0EEENS1_30default_config_static_selectorELNS0_4arch9wavefront6targetE1EEEvT1_,"axG",@progbits,_ZN7rocprim17ROCPRIM_400000_NS6detail17trampoline_kernelINS0_14default_configENS1_29reduce_by_key_config_selectorIssN6thrust23THRUST_200600_302600_NS4plusIsEEEEZZNS1_33reduce_by_key_impl_wrapped_configILNS1_25lookback_scan_determinismE0ES3_S9_NS6_6detail15normal_iteratorINS6_10device_ptrIsEEEESG_SG_SG_PmS8_22is_equal_div_10_reduceIsEEE10hipError_tPvRmT2_T3_mT4_T5_T6_T7_T8_P12ihipStream_tbENKUlT_T0_E_clISt17integral_constantIbLb1EES10_IbLb0EEEEDaSW_SX_EUlSW_E_NS1_11comp_targetILNS1_3genE8ELNS1_11target_archE1030ELNS1_3gpuE2ELNS1_3repE0EEENS1_30default_config_static_selectorELNS0_4arch9wavefront6targetE1EEEvT1_,comdat
	.protected	_ZN7rocprim17ROCPRIM_400000_NS6detail17trampoline_kernelINS0_14default_configENS1_29reduce_by_key_config_selectorIssN6thrust23THRUST_200600_302600_NS4plusIsEEEEZZNS1_33reduce_by_key_impl_wrapped_configILNS1_25lookback_scan_determinismE0ES3_S9_NS6_6detail15normal_iteratorINS6_10device_ptrIsEEEESG_SG_SG_PmS8_22is_equal_div_10_reduceIsEEE10hipError_tPvRmT2_T3_mT4_T5_T6_T7_T8_P12ihipStream_tbENKUlT_T0_E_clISt17integral_constantIbLb1EES10_IbLb0EEEEDaSW_SX_EUlSW_E_NS1_11comp_targetILNS1_3genE8ELNS1_11target_archE1030ELNS1_3gpuE2ELNS1_3repE0EEENS1_30default_config_static_selectorELNS0_4arch9wavefront6targetE1EEEvT1_ ; -- Begin function _ZN7rocprim17ROCPRIM_400000_NS6detail17trampoline_kernelINS0_14default_configENS1_29reduce_by_key_config_selectorIssN6thrust23THRUST_200600_302600_NS4plusIsEEEEZZNS1_33reduce_by_key_impl_wrapped_configILNS1_25lookback_scan_determinismE0ES3_S9_NS6_6detail15normal_iteratorINS6_10device_ptrIsEEEESG_SG_SG_PmS8_22is_equal_div_10_reduceIsEEE10hipError_tPvRmT2_T3_mT4_T5_T6_T7_T8_P12ihipStream_tbENKUlT_T0_E_clISt17integral_constantIbLb1EES10_IbLb0EEEEDaSW_SX_EUlSW_E_NS1_11comp_targetILNS1_3genE8ELNS1_11target_archE1030ELNS1_3gpuE2ELNS1_3repE0EEENS1_30default_config_static_selectorELNS0_4arch9wavefront6targetE1EEEvT1_
	.globl	_ZN7rocprim17ROCPRIM_400000_NS6detail17trampoline_kernelINS0_14default_configENS1_29reduce_by_key_config_selectorIssN6thrust23THRUST_200600_302600_NS4plusIsEEEEZZNS1_33reduce_by_key_impl_wrapped_configILNS1_25lookback_scan_determinismE0ES3_S9_NS6_6detail15normal_iteratorINS6_10device_ptrIsEEEESG_SG_SG_PmS8_22is_equal_div_10_reduceIsEEE10hipError_tPvRmT2_T3_mT4_T5_T6_T7_T8_P12ihipStream_tbENKUlT_T0_E_clISt17integral_constantIbLb1EES10_IbLb0EEEEDaSW_SX_EUlSW_E_NS1_11comp_targetILNS1_3genE8ELNS1_11target_archE1030ELNS1_3gpuE2ELNS1_3repE0EEENS1_30default_config_static_selectorELNS0_4arch9wavefront6targetE1EEEvT1_
	.p2align	8
	.type	_ZN7rocprim17ROCPRIM_400000_NS6detail17trampoline_kernelINS0_14default_configENS1_29reduce_by_key_config_selectorIssN6thrust23THRUST_200600_302600_NS4plusIsEEEEZZNS1_33reduce_by_key_impl_wrapped_configILNS1_25lookback_scan_determinismE0ES3_S9_NS6_6detail15normal_iteratorINS6_10device_ptrIsEEEESG_SG_SG_PmS8_22is_equal_div_10_reduceIsEEE10hipError_tPvRmT2_T3_mT4_T5_T6_T7_T8_P12ihipStream_tbENKUlT_T0_E_clISt17integral_constantIbLb1EES10_IbLb0EEEEDaSW_SX_EUlSW_E_NS1_11comp_targetILNS1_3genE8ELNS1_11target_archE1030ELNS1_3gpuE2ELNS1_3repE0EEENS1_30default_config_static_selectorELNS0_4arch9wavefront6targetE1EEEvT1_,@function
_ZN7rocprim17ROCPRIM_400000_NS6detail17trampoline_kernelINS0_14default_configENS1_29reduce_by_key_config_selectorIssN6thrust23THRUST_200600_302600_NS4plusIsEEEEZZNS1_33reduce_by_key_impl_wrapped_configILNS1_25lookback_scan_determinismE0ES3_S9_NS6_6detail15normal_iteratorINS6_10device_ptrIsEEEESG_SG_SG_PmS8_22is_equal_div_10_reduceIsEEE10hipError_tPvRmT2_T3_mT4_T5_T6_T7_T8_P12ihipStream_tbENKUlT_T0_E_clISt17integral_constantIbLb1EES10_IbLb0EEEEDaSW_SX_EUlSW_E_NS1_11comp_targetILNS1_3genE8ELNS1_11target_archE1030ELNS1_3gpuE2ELNS1_3repE0EEENS1_30default_config_static_selectorELNS0_4arch9wavefront6targetE1EEEvT1_: ; @_ZN7rocprim17ROCPRIM_400000_NS6detail17trampoline_kernelINS0_14default_configENS1_29reduce_by_key_config_selectorIssN6thrust23THRUST_200600_302600_NS4plusIsEEEEZZNS1_33reduce_by_key_impl_wrapped_configILNS1_25lookback_scan_determinismE0ES3_S9_NS6_6detail15normal_iteratorINS6_10device_ptrIsEEEESG_SG_SG_PmS8_22is_equal_div_10_reduceIsEEE10hipError_tPvRmT2_T3_mT4_T5_T6_T7_T8_P12ihipStream_tbENKUlT_T0_E_clISt17integral_constantIbLb1EES10_IbLb0EEEEDaSW_SX_EUlSW_E_NS1_11comp_targetILNS1_3genE8ELNS1_11target_archE1030ELNS1_3gpuE2ELNS1_3repE0EEENS1_30default_config_static_selectorELNS0_4arch9wavefront6targetE1EEEvT1_
; %bb.0:
	.section	.rodata,"a",@progbits
	.p2align	6, 0x0
	.amdhsa_kernel _ZN7rocprim17ROCPRIM_400000_NS6detail17trampoline_kernelINS0_14default_configENS1_29reduce_by_key_config_selectorIssN6thrust23THRUST_200600_302600_NS4plusIsEEEEZZNS1_33reduce_by_key_impl_wrapped_configILNS1_25lookback_scan_determinismE0ES3_S9_NS6_6detail15normal_iteratorINS6_10device_ptrIsEEEESG_SG_SG_PmS8_22is_equal_div_10_reduceIsEEE10hipError_tPvRmT2_T3_mT4_T5_T6_T7_T8_P12ihipStream_tbENKUlT_T0_E_clISt17integral_constantIbLb1EES10_IbLb0EEEEDaSW_SX_EUlSW_E_NS1_11comp_targetILNS1_3genE8ELNS1_11target_archE1030ELNS1_3gpuE2ELNS1_3repE0EEENS1_30default_config_static_selectorELNS0_4arch9wavefront6targetE1EEEvT1_
		.amdhsa_group_segment_fixed_size 0
		.amdhsa_private_segment_fixed_size 0
		.amdhsa_kernarg_size 120
		.amdhsa_user_sgpr_count 6
		.amdhsa_user_sgpr_private_segment_buffer 1
		.amdhsa_user_sgpr_dispatch_ptr 0
		.amdhsa_user_sgpr_queue_ptr 0
		.amdhsa_user_sgpr_kernarg_segment_ptr 1
		.amdhsa_user_sgpr_dispatch_id 0
		.amdhsa_user_sgpr_flat_scratch_init 0
		.amdhsa_user_sgpr_kernarg_preload_length 0
		.amdhsa_user_sgpr_kernarg_preload_offset 0
		.amdhsa_user_sgpr_private_segment_size 0
		.amdhsa_uses_dynamic_stack 0
		.amdhsa_system_sgpr_private_segment_wavefront_offset 0
		.amdhsa_system_sgpr_workgroup_id_x 1
		.amdhsa_system_sgpr_workgroup_id_y 0
		.amdhsa_system_sgpr_workgroup_id_z 0
		.amdhsa_system_sgpr_workgroup_info 0
		.amdhsa_system_vgpr_workitem_id 0
		.amdhsa_next_free_vgpr 1
		.amdhsa_next_free_sgpr 0
		.amdhsa_accum_offset 4
		.amdhsa_reserve_vcc 0
		.amdhsa_reserve_flat_scratch 0
		.amdhsa_float_round_mode_32 0
		.amdhsa_float_round_mode_16_64 0
		.amdhsa_float_denorm_mode_32 3
		.amdhsa_float_denorm_mode_16_64 3
		.amdhsa_dx10_clamp 1
		.amdhsa_ieee_mode 1
		.amdhsa_fp16_overflow 0
		.amdhsa_tg_split 0
		.amdhsa_exception_fp_ieee_invalid_op 0
		.amdhsa_exception_fp_denorm_src 0
		.amdhsa_exception_fp_ieee_div_zero 0
		.amdhsa_exception_fp_ieee_overflow 0
		.amdhsa_exception_fp_ieee_underflow 0
		.amdhsa_exception_fp_ieee_inexact 0
		.amdhsa_exception_int_div_zero 0
	.end_amdhsa_kernel
	.section	.text._ZN7rocprim17ROCPRIM_400000_NS6detail17trampoline_kernelINS0_14default_configENS1_29reduce_by_key_config_selectorIssN6thrust23THRUST_200600_302600_NS4plusIsEEEEZZNS1_33reduce_by_key_impl_wrapped_configILNS1_25lookback_scan_determinismE0ES3_S9_NS6_6detail15normal_iteratorINS6_10device_ptrIsEEEESG_SG_SG_PmS8_22is_equal_div_10_reduceIsEEE10hipError_tPvRmT2_T3_mT4_T5_T6_T7_T8_P12ihipStream_tbENKUlT_T0_E_clISt17integral_constantIbLb1EES10_IbLb0EEEEDaSW_SX_EUlSW_E_NS1_11comp_targetILNS1_3genE8ELNS1_11target_archE1030ELNS1_3gpuE2ELNS1_3repE0EEENS1_30default_config_static_selectorELNS0_4arch9wavefront6targetE1EEEvT1_,"axG",@progbits,_ZN7rocprim17ROCPRIM_400000_NS6detail17trampoline_kernelINS0_14default_configENS1_29reduce_by_key_config_selectorIssN6thrust23THRUST_200600_302600_NS4plusIsEEEEZZNS1_33reduce_by_key_impl_wrapped_configILNS1_25lookback_scan_determinismE0ES3_S9_NS6_6detail15normal_iteratorINS6_10device_ptrIsEEEESG_SG_SG_PmS8_22is_equal_div_10_reduceIsEEE10hipError_tPvRmT2_T3_mT4_T5_T6_T7_T8_P12ihipStream_tbENKUlT_T0_E_clISt17integral_constantIbLb1EES10_IbLb0EEEEDaSW_SX_EUlSW_E_NS1_11comp_targetILNS1_3genE8ELNS1_11target_archE1030ELNS1_3gpuE2ELNS1_3repE0EEENS1_30default_config_static_selectorELNS0_4arch9wavefront6targetE1EEEvT1_,comdat
.Lfunc_end687:
	.size	_ZN7rocprim17ROCPRIM_400000_NS6detail17trampoline_kernelINS0_14default_configENS1_29reduce_by_key_config_selectorIssN6thrust23THRUST_200600_302600_NS4plusIsEEEEZZNS1_33reduce_by_key_impl_wrapped_configILNS1_25lookback_scan_determinismE0ES3_S9_NS6_6detail15normal_iteratorINS6_10device_ptrIsEEEESG_SG_SG_PmS8_22is_equal_div_10_reduceIsEEE10hipError_tPvRmT2_T3_mT4_T5_T6_T7_T8_P12ihipStream_tbENKUlT_T0_E_clISt17integral_constantIbLb1EES10_IbLb0EEEEDaSW_SX_EUlSW_E_NS1_11comp_targetILNS1_3genE8ELNS1_11target_archE1030ELNS1_3gpuE2ELNS1_3repE0EEENS1_30default_config_static_selectorELNS0_4arch9wavefront6targetE1EEEvT1_, .Lfunc_end687-_ZN7rocprim17ROCPRIM_400000_NS6detail17trampoline_kernelINS0_14default_configENS1_29reduce_by_key_config_selectorIssN6thrust23THRUST_200600_302600_NS4plusIsEEEEZZNS1_33reduce_by_key_impl_wrapped_configILNS1_25lookback_scan_determinismE0ES3_S9_NS6_6detail15normal_iteratorINS6_10device_ptrIsEEEESG_SG_SG_PmS8_22is_equal_div_10_reduceIsEEE10hipError_tPvRmT2_T3_mT4_T5_T6_T7_T8_P12ihipStream_tbENKUlT_T0_E_clISt17integral_constantIbLb1EES10_IbLb0EEEEDaSW_SX_EUlSW_E_NS1_11comp_targetILNS1_3genE8ELNS1_11target_archE1030ELNS1_3gpuE2ELNS1_3repE0EEENS1_30default_config_static_selectorELNS0_4arch9wavefront6targetE1EEEvT1_
                                        ; -- End function
	.section	.AMDGPU.csdata,"",@progbits
; Kernel info:
; codeLenInByte = 0
; NumSgprs: 4
; NumVgprs: 0
; NumAgprs: 0
; TotalNumVgprs: 0
; ScratchSize: 0
; MemoryBound: 0
; FloatMode: 240
; IeeeMode: 1
; LDSByteSize: 0 bytes/workgroup (compile time only)
; SGPRBlocks: 0
; VGPRBlocks: 0
; NumSGPRsForWavesPerEU: 4
; NumVGPRsForWavesPerEU: 1
; AccumOffset: 4
; Occupancy: 8
; WaveLimiterHint : 0
; COMPUTE_PGM_RSRC2:SCRATCH_EN: 0
; COMPUTE_PGM_RSRC2:USER_SGPR: 6
; COMPUTE_PGM_RSRC2:TRAP_HANDLER: 0
; COMPUTE_PGM_RSRC2:TGID_X_EN: 1
; COMPUTE_PGM_RSRC2:TGID_Y_EN: 0
; COMPUTE_PGM_RSRC2:TGID_Z_EN: 0
; COMPUTE_PGM_RSRC2:TIDIG_COMP_CNT: 0
; COMPUTE_PGM_RSRC3_GFX90A:ACCUM_OFFSET: 0
; COMPUTE_PGM_RSRC3_GFX90A:TG_SPLIT: 0
	.section	.text._ZN7rocprim17ROCPRIM_400000_NS6detail17trampoline_kernelINS0_14default_configENS1_29reduce_by_key_config_selectorIssN6thrust23THRUST_200600_302600_NS4plusIsEEEEZZNS1_33reduce_by_key_impl_wrapped_configILNS1_25lookback_scan_determinismE0ES3_S9_NS6_6detail15normal_iteratorINS6_10device_ptrIsEEEESG_SG_SG_PmS8_22is_equal_div_10_reduceIsEEE10hipError_tPvRmT2_T3_mT4_T5_T6_T7_T8_P12ihipStream_tbENKUlT_T0_E_clISt17integral_constantIbLb0EES10_IbLb1EEEEDaSW_SX_EUlSW_E_NS1_11comp_targetILNS1_3genE0ELNS1_11target_archE4294967295ELNS1_3gpuE0ELNS1_3repE0EEENS1_30default_config_static_selectorELNS0_4arch9wavefront6targetE1EEEvT1_,"axG",@progbits,_ZN7rocprim17ROCPRIM_400000_NS6detail17trampoline_kernelINS0_14default_configENS1_29reduce_by_key_config_selectorIssN6thrust23THRUST_200600_302600_NS4plusIsEEEEZZNS1_33reduce_by_key_impl_wrapped_configILNS1_25lookback_scan_determinismE0ES3_S9_NS6_6detail15normal_iteratorINS6_10device_ptrIsEEEESG_SG_SG_PmS8_22is_equal_div_10_reduceIsEEE10hipError_tPvRmT2_T3_mT4_T5_T6_T7_T8_P12ihipStream_tbENKUlT_T0_E_clISt17integral_constantIbLb0EES10_IbLb1EEEEDaSW_SX_EUlSW_E_NS1_11comp_targetILNS1_3genE0ELNS1_11target_archE4294967295ELNS1_3gpuE0ELNS1_3repE0EEENS1_30default_config_static_selectorELNS0_4arch9wavefront6targetE1EEEvT1_,comdat
	.protected	_ZN7rocprim17ROCPRIM_400000_NS6detail17trampoline_kernelINS0_14default_configENS1_29reduce_by_key_config_selectorIssN6thrust23THRUST_200600_302600_NS4plusIsEEEEZZNS1_33reduce_by_key_impl_wrapped_configILNS1_25lookback_scan_determinismE0ES3_S9_NS6_6detail15normal_iteratorINS6_10device_ptrIsEEEESG_SG_SG_PmS8_22is_equal_div_10_reduceIsEEE10hipError_tPvRmT2_T3_mT4_T5_T6_T7_T8_P12ihipStream_tbENKUlT_T0_E_clISt17integral_constantIbLb0EES10_IbLb1EEEEDaSW_SX_EUlSW_E_NS1_11comp_targetILNS1_3genE0ELNS1_11target_archE4294967295ELNS1_3gpuE0ELNS1_3repE0EEENS1_30default_config_static_selectorELNS0_4arch9wavefront6targetE1EEEvT1_ ; -- Begin function _ZN7rocprim17ROCPRIM_400000_NS6detail17trampoline_kernelINS0_14default_configENS1_29reduce_by_key_config_selectorIssN6thrust23THRUST_200600_302600_NS4plusIsEEEEZZNS1_33reduce_by_key_impl_wrapped_configILNS1_25lookback_scan_determinismE0ES3_S9_NS6_6detail15normal_iteratorINS6_10device_ptrIsEEEESG_SG_SG_PmS8_22is_equal_div_10_reduceIsEEE10hipError_tPvRmT2_T3_mT4_T5_T6_T7_T8_P12ihipStream_tbENKUlT_T0_E_clISt17integral_constantIbLb0EES10_IbLb1EEEEDaSW_SX_EUlSW_E_NS1_11comp_targetILNS1_3genE0ELNS1_11target_archE4294967295ELNS1_3gpuE0ELNS1_3repE0EEENS1_30default_config_static_selectorELNS0_4arch9wavefront6targetE1EEEvT1_
	.globl	_ZN7rocprim17ROCPRIM_400000_NS6detail17trampoline_kernelINS0_14default_configENS1_29reduce_by_key_config_selectorIssN6thrust23THRUST_200600_302600_NS4plusIsEEEEZZNS1_33reduce_by_key_impl_wrapped_configILNS1_25lookback_scan_determinismE0ES3_S9_NS6_6detail15normal_iteratorINS6_10device_ptrIsEEEESG_SG_SG_PmS8_22is_equal_div_10_reduceIsEEE10hipError_tPvRmT2_T3_mT4_T5_T6_T7_T8_P12ihipStream_tbENKUlT_T0_E_clISt17integral_constantIbLb0EES10_IbLb1EEEEDaSW_SX_EUlSW_E_NS1_11comp_targetILNS1_3genE0ELNS1_11target_archE4294967295ELNS1_3gpuE0ELNS1_3repE0EEENS1_30default_config_static_selectorELNS0_4arch9wavefront6targetE1EEEvT1_
	.p2align	8
	.type	_ZN7rocprim17ROCPRIM_400000_NS6detail17trampoline_kernelINS0_14default_configENS1_29reduce_by_key_config_selectorIssN6thrust23THRUST_200600_302600_NS4plusIsEEEEZZNS1_33reduce_by_key_impl_wrapped_configILNS1_25lookback_scan_determinismE0ES3_S9_NS6_6detail15normal_iteratorINS6_10device_ptrIsEEEESG_SG_SG_PmS8_22is_equal_div_10_reduceIsEEE10hipError_tPvRmT2_T3_mT4_T5_T6_T7_T8_P12ihipStream_tbENKUlT_T0_E_clISt17integral_constantIbLb0EES10_IbLb1EEEEDaSW_SX_EUlSW_E_NS1_11comp_targetILNS1_3genE0ELNS1_11target_archE4294967295ELNS1_3gpuE0ELNS1_3repE0EEENS1_30default_config_static_selectorELNS0_4arch9wavefront6targetE1EEEvT1_,@function
_ZN7rocprim17ROCPRIM_400000_NS6detail17trampoline_kernelINS0_14default_configENS1_29reduce_by_key_config_selectorIssN6thrust23THRUST_200600_302600_NS4plusIsEEEEZZNS1_33reduce_by_key_impl_wrapped_configILNS1_25lookback_scan_determinismE0ES3_S9_NS6_6detail15normal_iteratorINS6_10device_ptrIsEEEESG_SG_SG_PmS8_22is_equal_div_10_reduceIsEEE10hipError_tPvRmT2_T3_mT4_T5_T6_T7_T8_P12ihipStream_tbENKUlT_T0_E_clISt17integral_constantIbLb0EES10_IbLb1EEEEDaSW_SX_EUlSW_E_NS1_11comp_targetILNS1_3genE0ELNS1_11target_archE4294967295ELNS1_3gpuE0ELNS1_3repE0EEENS1_30default_config_static_selectorELNS0_4arch9wavefront6targetE1EEEvT1_: ; @_ZN7rocprim17ROCPRIM_400000_NS6detail17trampoline_kernelINS0_14default_configENS1_29reduce_by_key_config_selectorIssN6thrust23THRUST_200600_302600_NS4plusIsEEEEZZNS1_33reduce_by_key_impl_wrapped_configILNS1_25lookback_scan_determinismE0ES3_S9_NS6_6detail15normal_iteratorINS6_10device_ptrIsEEEESG_SG_SG_PmS8_22is_equal_div_10_reduceIsEEE10hipError_tPvRmT2_T3_mT4_T5_T6_T7_T8_P12ihipStream_tbENKUlT_T0_E_clISt17integral_constantIbLb0EES10_IbLb1EEEEDaSW_SX_EUlSW_E_NS1_11comp_targetILNS1_3genE0ELNS1_11target_archE4294967295ELNS1_3gpuE0ELNS1_3repE0EEENS1_30default_config_static_selectorELNS0_4arch9wavefront6targetE1EEEvT1_
; %bb.0:
	.section	.rodata,"a",@progbits
	.p2align	6, 0x0
	.amdhsa_kernel _ZN7rocprim17ROCPRIM_400000_NS6detail17trampoline_kernelINS0_14default_configENS1_29reduce_by_key_config_selectorIssN6thrust23THRUST_200600_302600_NS4plusIsEEEEZZNS1_33reduce_by_key_impl_wrapped_configILNS1_25lookback_scan_determinismE0ES3_S9_NS6_6detail15normal_iteratorINS6_10device_ptrIsEEEESG_SG_SG_PmS8_22is_equal_div_10_reduceIsEEE10hipError_tPvRmT2_T3_mT4_T5_T6_T7_T8_P12ihipStream_tbENKUlT_T0_E_clISt17integral_constantIbLb0EES10_IbLb1EEEEDaSW_SX_EUlSW_E_NS1_11comp_targetILNS1_3genE0ELNS1_11target_archE4294967295ELNS1_3gpuE0ELNS1_3repE0EEENS1_30default_config_static_selectorELNS0_4arch9wavefront6targetE1EEEvT1_
		.amdhsa_group_segment_fixed_size 0
		.amdhsa_private_segment_fixed_size 0
		.amdhsa_kernarg_size 120
		.amdhsa_user_sgpr_count 6
		.amdhsa_user_sgpr_private_segment_buffer 1
		.amdhsa_user_sgpr_dispatch_ptr 0
		.amdhsa_user_sgpr_queue_ptr 0
		.amdhsa_user_sgpr_kernarg_segment_ptr 1
		.amdhsa_user_sgpr_dispatch_id 0
		.amdhsa_user_sgpr_flat_scratch_init 0
		.amdhsa_user_sgpr_kernarg_preload_length 0
		.amdhsa_user_sgpr_kernarg_preload_offset 0
		.amdhsa_user_sgpr_private_segment_size 0
		.amdhsa_uses_dynamic_stack 0
		.amdhsa_system_sgpr_private_segment_wavefront_offset 0
		.amdhsa_system_sgpr_workgroup_id_x 1
		.amdhsa_system_sgpr_workgroup_id_y 0
		.amdhsa_system_sgpr_workgroup_id_z 0
		.amdhsa_system_sgpr_workgroup_info 0
		.amdhsa_system_vgpr_workitem_id 0
		.amdhsa_next_free_vgpr 1
		.amdhsa_next_free_sgpr 0
		.amdhsa_accum_offset 4
		.amdhsa_reserve_vcc 0
		.amdhsa_reserve_flat_scratch 0
		.amdhsa_float_round_mode_32 0
		.amdhsa_float_round_mode_16_64 0
		.amdhsa_float_denorm_mode_32 3
		.amdhsa_float_denorm_mode_16_64 3
		.amdhsa_dx10_clamp 1
		.amdhsa_ieee_mode 1
		.amdhsa_fp16_overflow 0
		.amdhsa_tg_split 0
		.amdhsa_exception_fp_ieee_invalid_op 0
		.amdhsa_exception_fp_denorm_src 0
		.amdhsa_exception_fp_ieee_div_zero 0
		.amdhsa_exception_fp_ieee_overflow 0
		.amdhsa_exception_fp_ieee_underflow 0
		.amdhsa_exception_fp_ieee_inexact 0
		.amdhsa_exception_int_div_zero 0
	.end_amdhsa_kernel
	.section	.text._ZN7rocprim17ROCPRIM_400000_NS6detail17trampoline_kernelINS0_14default_configENS1_29reduce_by_key_config_selectorIssN6thrust23THRUST_200600_302600_NS4plusIsEEEEZZNS1_33reduce_by_key_impl_wrapped_configILNS1_25lookback_scan_determinismE0ES3_S9_NS6_6detail15normal_iteratorINS6_10device_ptrIsEEEESG_SG_SG_PmS8_22is_equal_div_10_reduceIsEEE10hipError_tPvRmT2_T3_mT4_T5_T6_T7_T8_P12ihipStream_tbENKUlT_T0_E_clISt17integral_constantIbLb0EES10_IbLb1EEEEDaSW_SX_EUlSW_E_NS1_11comp_targetILNS1_3genE0ELNS1_11target_archE4294967295ELNS1_3gpuE0ELNS1_3repE0EEENS1_30default_config_static_selectorELNS0_4arch9wavefront6targetE1EEEvT1_,"axG",@progbits,_ZN7rocprim17ROCPRIM_400000_NS6detail17trampoline_kernelINS0_14default_configENS1_29reduce_by_key_config_selectorIssN6thrust23THRUST_200600_302600_NS4plusIsEEEEZZNS1_33reduce_by_key_impl_wrapped_configILNS1_25lookback_scan_determinismE0ES3_S9_NS6_6detail15normal_iteratorINS6_10device_ptrIsEEEESG_SG_SG_PmS8_22is_equal_div_10_reduceIsEEE10hipError_tPvRmT2_T3_mT4_T5_T6_T7_T8_P12ihipStream_tbENKUlT_T0_E_clISt17integral_constantIbLb0EES10_IbLb1EEEEDaSW_SX_EUlSW_E_NS1_11comp_targetILNS1_3genE0ELNS1_11target_archE4294967295ELNS1_3gpuE0ELNS1_3repE0EEENS1_30default_config_static_selectorELNS0_4arch9wavefront6targetE1EEEvT1_,comdat
.Lfunc_end688:
	.size	_ZN7rocprim17ROCPRIM_400000_NS6detail17trampoline_kernelINS0_14default_configENS1_29reduce_by_key_config_selectorIssN6thrust23THRUST_200600_302600_NS4plusIsEEEEZZNS1_33reduce_by_key_impl_wrapped_configILNS1_25lookback_scan_determinismE0ES3_S9_NS6_6detail15normal_iteratorINS6_10device_ptrIsEEEESG_SG_SG_PmS8_22is_equal_div_10_reduceIsEEE10hipError_tPvRmT2_T3_mT4_T5_T6_T7_T8_P12ihipStream_tbENKUlT_T0_E_clISt17integral_constantIbLb0EES10_IbLb1EEEEDaSW_SX_EUlSW_E_NS1_11comp_targetILNS1_3genE0ELNS1_11target_archE4294967295ELNS1_3gpuE0ELNS1_3repE0EEENS1_30default_config_static_selectorELNS0_4arch9wavefront6targetE1EEEvT1_, .Lfunc_end688-_ZN7rocprim17ROCPRIM_400000_NS6detail17trampoline_kernelINS0_14default_configENS1_29reduce_by_key_config_selectorIssN6thrust23THRUST_200600_302600_NS4plusIsEEEEZZNS1_33reduce_by_key_impl_wrapped_configILNS1_25lookback_scan_determinismE0ES3_S9_NS6_6detail15normal_iteratorINS6_10device_ptrIsEEEESG_SG_SG_PmS8_22is_equal_div_10_reduceIsEEE10hipError_tPvRmT2_T3_mT4_T5_T6_T7_T8_P12ihipStream_tbENKUlT_T0_E_clISt17integral_constantIbLb0EES10_IbLb1EEEEDaSW_SX_EUlSW_E_NS1_11comp_targetILNS1_3genE0ELNS1_11target_archE4294967295ELNS1_3gpuE0ELNS1_3repE0EEENS1_30default_config_static_selectorELNS0_4arch9wavefront6targetE1EEEvT1_
                                        ; -- End function
	.section	.AMDGPU.csdata,"",@progbits
; Kernel info:
; codeLenInByte = 0
; NumSgprs: 4
; NumVgprs: 0
; NumAgprs: 0
; TotalNumVgprs: 0
; ScratchSize: 0
; MemoryBound: 0
; FloatMode: 240
; IeeeMode: 1
; LDSByteSize: 0 bytes/workgroup (compile time only)
; SGPRBlocks: 0
; VGPRBlocks: 0
; NumSGPRsForWavesPerEU: 4
; NumVGPRsForWavesPerEU: 1
; AccumOffset: 4
; Occupancy: 8
; WaveLimiterHint : 0
; COMPUTE_PGM_RSRC2:SCRATCH_EN: 0
; COMPUTE_PGM_RSRC2:USER_SGPR: 6
; COMPUTE_PGM_RSRC2:TRAP_HANDLER: 0
; COMPUTE_PGM_RSRC2:TGID_X_EN: 1
; COMPUTE_PGM_RSRC2:TGID_Y_EN: 0
; COMPUTE_PGM_RSRC2:TGID_Z_EN: 0
; COMPUTE_PGM_RSRC2:TIDIG_COMP_CNT: 0
; COMPUTE_PGM_RSRC3_GFX90A:ACCUM_OFFSET: 0
; COMPUTE_PGM_RSRC3_GFX90A:TG_SPLIT: 0
	.section	.text._ZN7rocprim17ROCPRIM_400000_NS6detail17trampoline_kernelINS0_14default_configENS1_29reduce_by_key_config_selectorIssN6thrust23THRUST_200600_302600_NS4plusIsEEEEZZNS1_33reduce_by_key_impl_wrapped_configILNS1_25lookback_scan_determinismE0ES3_S9_NS6_6detail15normal_iteratorINS6_10device_ptrIsEEEESG_SG_SG_PmS8_22is_equal_div_10_reduceIsEEE10hipError_tPvRmT2_T3_mT4_T5_T6_T7_T8_P12ihipStream_tbENKUlT_T0_E_clISt17integral_constantIbLb0EES10_IbLb1EEEEDaSW_SX_EUlSW_E_NS1_11comp_targetILNS1_3genE5ELNS1_11target_archE942ELNS1_3gpuE9ELNS1_3repE0EEENS1_30default_config_static_selectorELNS0_4arch9wavefront6targetE1EEEvT1_,"axG",@progbits,_ZN7rocprim17ROCPRIM_400000_NS6detail17trampoline_kernelINS0_14default_configENS1_29reduce_by_key_config_selectorIssN6thrust23THRUST_200600_302600_NS4plusIsEEEEZZNS1_33reduce_by_key_impl_wrapped_configILNS1_25lookback_scan_determinismE0ES3_S9_NS6_6detail15normal_iteratorINS6_10device_ptrIsEEEESG_SG_SG_PmS8_22is_equal_div_10_reduceIsEEE10hipError_tPvRmT2_T3_mT4_T5_T6_T7_T8_P12ihipStream_tbENKUlT_T0_E_clISt17integral_constantIbLb0EES10_IbLb1EEEEDaSW_SX_EUlSW_E_NS1_11comp_targetILNS1_3genE5ELNS1_11target_archE942ELNS1_3gpuE9ELNS1_3repE0EEENS1_30default_config_static_selectorELNS0_4arch9wavefront6targetE1EEEvT1_,comdat
	.protected	_ZN7rocprim17ROCPRIM_400000_NS6detail17trampoline_kernelINS0_14default_configENS1_29reduce_by_key_config_selectorIssN6thrust23THRUST_200600_302600_NS4plusIsEEEEZZNS1_33reduce_by_key_impl_wrapped_configILNS1_25lookback_scan_determinismE0ES3_S9_NS6_6detail15normal_iteratorINS6_10device_ptrIsEEEESG_SG_SG_PmS8_22is_equal_div_10_reduceIsEEE10hipError_tPvRmT2_T3_mT4_T5_T6_T7_T8_P12ihipStream_tbENKUlT_T0_E_clISt17integral_constantIbLb0EES10_IbLb1EEEEDaSW_SX_EUlSW_E_NS1_11comp_targetILNS1_3genE5ELNS1_11target_archE942ELNS1_3gpuE9ELNS1_3repE0EEENS1_30default_config_static_selectorELNS0_4arch9wavefront6targetE1EEEvT1_ ; -- Begin function _ZN7rocprim17ROCPRIM_400000_NS6detail17trampoline_kernelINS0_14default_configENS1_29reduce_by_key_config_selectorIssN6thrust23THRUST_200600_302600_NS4plusIsEEEEZZNS1_33reduce_by_key_impl_wrapped_configILNS1_25lookback_scan_determinismE0ES3_S9_NS6_6detail15normal_iteratorINS6_10device_ptrIsEEEESG_SG_SG_PmS8_22is_equal_div_10_reduceIsEEE10hipError_tPvRmT2_T3_mT4_T5_T6_T7_T8_P12ihipStream_tbENKUlT_T0_E_clISt17integral_constantIbLb0EES10_IbLb1EEEEDaSW_SX_EUlSW_E_NS1_11comp_targetILNS1_3genE5ELNS1_11target_archE942ELNS1_3gpuE9ELNS1_3repE0EEENS1_30default_config_static_selectorELNS0_4arch9wavefront6targetE1EEEvT1_
	.globl	_ZN7rocprim17ROCPRIM_400000_NS6detail17trampoline_kernelINS0_14default_configENS1_29reduce_by_key_config_selectorIssN6thrust23THRUST_200600_302600_NS4plusIsEEEEZZNS1_33reduce_by_key_impl_wrapped_configILNS1_25lookback_scan_determinismE0ES3_S9_NS6_6detail15normal_iteratorINS6_10device_ptrIsEEEESG_SG_SG_PmS8_22is_equal_div_10_reduceIsEEE10hipError_tPvRmT2_T3_mT4_T5_T6_T7_T8_P12ihipStream_tbENKUlT_T0_E_clISt17integral_constantIbLb0EES10_IbLb1EEEEDaSW_SX_EUlSW_E_NS1_11comp_targetILNS1_3genE5ELNS1_11target_archE942ELNS1_3gpuE9ELNS1_3repE0EEENS1_30default_config_static_selectorELNS0_4arch9wavefront6targetE1EEEvT1_
	.p2align	8
	.type	_ZN7rocprim17ROCPRIM_400000_NS6detail17trampoline_kernelINS0_14default_configENS1_29reduce_by_key_config_selectorIssN6thrust23THRUST_200600_302600_NS4plusIsEEEEZZNS1_33reduce_by_key_impl_wrapped_configILNS1_25lookback_scan_determinismE0ES3_S9_NS6_6detail15normal_iteratorINS6_10device_ptrIsEEEESG_SG_SG_PmS8_22is_equal_div_10_reduceIsEEE10hipError_tPvRmT2_T3_mT4_T5_T6_T7_T8_P12ihipStream_tbENKUlT_T0_E_clISt17integral_constantIbLb0EES10_IbLb1EEEEDaSW_SX_EUlSW_E_NS1_11comp_targetILNS1_3genE5ELNS1_11target_archE942ELNS1_3gpuE9ELNS1_3repE0EEENS1_30default_config_static_selectorELNS0_4arch9wavefront6targetE1EEEvT1_,@function
_ZN7rocprim17ROCPRIM_400000_NS6detail17trampoline_kernelINS0_14default_configENS1_29reduce_by_key_config_selectorIssN6thrust23THRUST_200600_302600_NS4plusIsEEEEZZNS1_33reduce_by_key_impl_wrapped_configILNS1_25lookback_scan_determinismE0ES3_S9_NS6_6detail15normal_iteratorINS6_10device_ptrIsEEEESG_SG_SG_PmS8_22is_equal_div_10_reduceIsEEE10hipError_tPvRmT2_T3_mT4_T5_T6_T7_T8_P12ihipStream_tbENKUlT_T0_E_clISt17integral_constantIbLb0EES10_IbLb1EEEEDaSW_SX_EUlSW_E_NS1_11comp_targetILNS1_3genE5ELNS1_11target_archE942ELNS1_3gpuE9ELNS1_3repE0EEENS1_30default_config_static_selectorELNS0_4arch9wavefront6targetE1EEEvT1_: ; @_ZN7rocprim17ROCPRIM_400000_NS6detail17trampoline_kernelINS0_14default_configENS1_29reduce_by_key_config_selectorIssN6thrust23THRUST_200600_302600_NS4plusIsEEEEZZNS1_33reduce_by_key_impl_wrapped_configILNS1_25lookback_scan_determinismE0ES3_S9_NS6_6detail15normal_iteratorINS6_10device_ptrIsEEEESG_SG_SG_PmS8_22is_equal_div_10_reduceIsEEE10hipError_tPvRmT2_T3_mT4_T5_T6_T7_T8_P12ihipStream_tbENKUlT_T0_E_clISt17integral_constantIbLb0EES10_IbLb1EEEEDaSW_SX_EUlSW_E_NS1_11comp_targetILNS1_3genE5ELNS1_11target_archE942ELNS1_3gpuE9ELNS1_3repE0EEENS1_30default_config_static_selectorELNS0_4arch9wavefront6targetE1EEEvT1_
; %bb.0:
	.section	.rodata,"a",@progbits
	.p2align	6, 0x0
	.amdhsa_kernel _ZN7rocprim17ROCPRIM_400000_NS6detail17trampoline_kernelINS0_14default_configENS1_29reduce_by_key_config_selectorIssN6thrust23THRUST_200600_302600_NS4plusIsEEEEZZNS1_33reduce_by_key_impl_wrapped_configILNS1_25lookback_scan_determinismE0ES3_S9_NS6_6detail15normal_iteratorINS6_10device_ptrIsEEEESG_SG_SG_PmS8_22is_equal_div_10_reduceIsEEE10hipError_tPvRmT2_T3_mT4_T5_T6_T7_T8_P12ihipStream_tbENKUlT_T0_E_clISt17integral_constantIbLb0EES10_IbLb1EEEEDaSW_SX_EUlSW_E_NS1_11comp_targetILNS1_3genE5ELNS1_11target_archE942ELNS1_3gpuE9ELNS1_3repE0EEENS1_30default_config_static_selectorELNS0_4arch9wavefront6targetE1EEEvT1_
		.amdhsa_group_segment_fixed_size 0
		.amdhsa_private_segment_fixed_size 0
		.amdhsa_kernarg_size 120
		.amdhsa_user_sgpr_count 6
		.amdhsa_user_sgpr_private_segment_buffer 1
		.amdhsa_user_sgpr_dispatch_ptr 0
		.amdhsa_user_sgpr_queue_ptr 0
		.amdhsa_user_sgpr_kernarg_segment_ptr 1
		.amdhsa_user_sgpr_dispatch_id 0
		.amdhsa_user_sgpr_flat_scratch_init 0
		.amdhsa_user_sgpr_kernarg_preload_length 0
		.amdhsa_user_sgpr_kernarg_preload_offset 0
		.amdhsa_user_sgpr_private_segment_size 0
		.amdhsa_uses_dynamic_stack 0
		.amdhsa_system_sgpr_private_segment_wavefront_offset 0
		.amdhsa_system_sgpr_workgroup_id_x 1
		.amdhsa_system_sgpr_workgroup_id_y 0
		.amdhsa_system_sgpr_workgroup_id_z 0
		.amdhsa_system_sgpr_workgroup_info 0
		.amdhsa_system_vgpr_workitem_id 0
		.amdhsa_next_free_vgpr 1
		.amdhsa_next_free_sgpr 0
		.amdhsa_accum_offset 4
		.amdhsa_reserve_vcc 0
		.amdhsa_reserve_flat_scratch 0
		.amdhsa_float_round_mode_32 0
		.amdhsa_float_round_mode_16_64 0
		.amdhsa_float_denorm_mode_32 3
		.amdhsa_float_denorm_mode_16_64 3
		.amdhsa_dx10_clamp 1
		.amdhsa_ieee_mode 1
		.amdhsa_fp16_overflow 0
		.amdhsa_tg_split 0
		.amdhsa_exception_fp_ieee_invalid_op 0
		.amdhsa_exception_fp_denorm_src 0
		.amdhsa_exception_fp_ieee_div_zero 0
		.amdhsa_exception_fp_ieee_overflow 0
		.amdhsa_exception_fp_ieee_underflow 0
		.amdhsa_exception_fp_ieee_inexact 0
		.amdhsa_exception_int_div_zero 0
	.end_amdhsa_kernel
	.section	.text._ZN7rocprim17ROCPRIM_400000_NS6detail17trampoline_kernelINS0_14default_configENS1_29reduce_by_key_config_selectorIssN6thrust23THRUST_200600_302600_NS4plusIsEEEEZZNS1_33reduce_by_key_impl_wrapped_configILNS1_25lookback_scan_determinismE0ES3_S9_NS6_6detail15normal_iteratorINS6_10device_ptrIsEEEESG_SG_SG_PmS8_22is_equal_div_10_reduceIsEEE10hipError_tPvRmT2_T3_mT4_T5_T6_T7_T8_P12ihipStream_tbENKUlT_T0_E_clISt17integral_constantIbLb0EES10_IbLb1EEEEDaSW_SX_EUlSW_E_NS1_11comp_targetILNS1_3genE5ELNS1_11target_archE942ELNS1_3gpuE9ELNS1_3repE0EEENS1_30default_config_static_selectorELNS0_4arch9wavefront6targetE1EEEvT1_,"axG",@progbits,_ZN7rocprim17ROCPRIM_400000_NS6detail17trampoline_kernelINS0_14default_configENS1_29reduce_by_key_config_selectorIssN6thrust23THRUST_200600_302600_NS4plusIsEEEEZZNS1_33reduce_by_key_impl_wrapped_configILNS1_25lookback_scan_determinismE0ES3_S9_NS6_6detail15normal_iteratorINS6_10device_ptrIsEEEESG_SG_SG_PmS8_22is_equal_div_10_reduceIsEEE10hipError_tPvRmT2_T3_mT4_T5_T6_T7_T8_P12ihipStream_tbENKUlT_T0_E_clISt17integral_constantIbLb0EES10_IbLb1EEEEDaSW_SX_EUlSW_E_NS1_11comp_targetILNS1_3genE5ELNS1_11target_archE942ELNS1_3gpuE9ELNS1_3repE0EEENS1_30default_config_static_selectorELNS0_4arch9wavefront6targetE1EEEvT1_,comdat
.Lfunc_end689:
	.size	_ZN7rocprim17ROCPRIM_400000_NS6detail17trampoline_kernelINS0_14default_configENS1_29reduce_by_key_config_selectorIssN6thrust23THRUST_200600_302600_NS4plusIsEEEEZZNS1_33reduce_by_key_impl_wrapped_configILNS1_25lookback_scan_determinismE0ES3_S9_NS6_6detail15normal_iteratorINS6_10device_ptrIsEEEESG_SG_SG_PmS8_22is_equal_div_10_reduceIsEEE10hipError_tPvRmT2_T3_mT4_T5_T6_T7_T8_P12ihipStream_tbENKUlT_T0_E_clISt17integral_constantIbLb0EES10_IbLb1EEEEDaSW_SX_EUlSW_E_NS1_11comp_targetILNS1_3genE5ELNS1_11target_archE942ELNS1_3gpuE9ELNS1_3repE0EEENS1_30default_config_static_selectorELNS0_4arch9wavefront6targetE1EEEvT1_, .Lfunc_end689-_ZN7rocprim17ROCPRIM_400000_NS6detail17trampoline_kernelINS0_14default_configENS1_29reduce_by_key_config_selectorIssN6thrust23THRUST_200600_302600_NS4plusIsEEEEZZNS1_33reduce_by_key_impl_wrapped_configILNS1_25lookback_scan_determinismE0ES3_S9_NS6_6detail15normal_iteratorINS6_10device_ptrIsEEEESG_SG_SG_PmS8_22is_equal_div_10_reduceIsEEE10hipError_tPvRmT2_T3_mT4_T5_T6_T7_T8_P12ihipStream_tbENKUlT_T0_E_clISt17integral_constantIbLb0EES10_IbLb1EEEEDaSW_SX_EUlSW_E_NS1_11comp_targetILNS1_3genE5ELNS1_11target_archE942ELNS1_3gpuE9ELNS1_3repE0EEENS1_30default_config_static_selectorELNS0_4arch9wavefront6targetE1EEEvT1_
                                        ; -- End function
	.section	.AMDGPU.csdata,"",@progbits
; Kernel info:
; codeLenInByte = 0
; NumSgprs: 4
; NumVgprs: 0
; NumAgprs: 0
; TotalNumVgprs: 0
; ScratchSize: 0
; MemoryBound: 0
; FloatMode: 240
; IeeeMode: 1
; LDSByteSize: 0 bytes/workgroup (compile time only)
; SGPRBlocks: 0
; VGPRBlocks: 0
; NumSGPRsForWavesPerEU: 4
; NumVGPRsForWavesPerEU: 1
; AccumOffset: 4
; Occupancy: 8
; WaveLimiterHint : 0
; COMPUTE_PGM_RSRC2:SCRATCH_EN: 0
; COMPUTE_PGM_RSRC2:USER_SGPR: 6
; COMPUTE_PGM_RSRC2:TRAP_HANDLER: 0
; COMPUTE_PGM_RSRC2:TGID_X_EN: 1
; COMPUTE_PGM_RSRC2:TGID_Y_EN: 0
; COMPUTE_PGM_RSRC2:TGID_Z_EN: 0
; COMPUTE_PGM_RSRC2:TIDIG_COMP_CNT: 0
; COMPUTE_PGM_RSRC3_GFX90A:ACCUM_OFFSET: 0
; COMPUTE_PGM_RSRC3_GFX90A:TG_SPLIT: 0
	.section	.text._ZN7rocprim17ROCPRIM_400000_NS6detail17trampoline_kernelINS0_14default_configENS1_29reduce_by_key_config_selectorIssN6thrust23THRUST_200600_302600_NS4plusIsEEEEZZNS1_33reduce_by_key_impl_wrapped_configILNS1_25lookback_scan_determinismE0ES3_S9_NS6_6detail15normal_iteratorINS6_10device_ptrIsEEEESG_SG_SG_PmS8_22is_equal_div_10_reduceIsEEE10hipError_tPvRmT2_T3_mT4_T5_T6_T7_T8_P12ihipStream_tbENKUlT_T0_E_clISt17integral_constantIbLb0EES10_IbLb1EEEEDaSW_SX_EUlSW_E_NS1_11comp_targetILNS1_3genE4ELNS1_11target_archE910ELNS1_3gpuE8ELNS1_3repE0EEENS1_30default_config_static_selectorELNS0_4arch9wavefront6targetE1EEEvT1_,"axG",@progbits,_ZN7rocprim17ROCPRIM_400000_NS6detail17trampoline_kernelINS0_14default_configENS1_29reduce_by_key_config_selectorIssN6thrust23THRUST_200600_302600_NS4plusIsEEEEZZNS1_33reduce_by_key_impl_wrapped_configILNS1_25lookback_scan_determinismE0ES3_S9_NS6_6detail15normal_iteratorINS6_10device_ptrIsEEEESG_SG_SG_PmS8_22is_equal_div_10_reduceIsEEE10hipError_tPvRmT2_T3_mT4_T5_T6_T7_T8_P12ihipStream_tbENKUlT_T0_E_clISt17integral_constantIbLb0EES10_IbLb1EEEEDaSW_SX_EUlSW_E_NS1_11comp_targetILNS1_3genE4ELNS1_11target_archE910ELNS1_3gpuE8ELNS1_3repE0EEENS1_30default_config_static_selectorELNS0_4arch9wavefront6targetE1EEEvT1_,comdat
	.protected	_ZN7rocprim17ROCPRIM_400000_NS6detail17trampoline_kernelINS0_14default_configENS1_29reduce_by_key_config_selectorIssN6thrust23THRUST_200600_302600_NS4plusIsEEEEZZNS1_33reduce_by_key_impl_wrapped_configILNS1_25lookback_scan_determinismE0ES3_S9_NS6_6detail15normal_iteratorINS6_10device_ptrIsEEEESG_SG_SG_PmS8_22is_equal_div_10_reduceIsEEE10hipError_tPvRmT2_T3_mT4_T5_T6_T7_T8_P12ihipStream_tbENKUlT_T0_E_clISt17integral_constantIbLb0EES10_IbLb1EEEEDaSW_SX_EUlSW_E_NS1_11comp_targetILNS1_3genE4ELNS1_11target_archE910ELNS1_3gpuE8ELNS1_3repE0EEENS1_30default_config_static_selectorELNS0_4arch9wavefront6targetE1EEEvT1_ ; -- Begin function _ZN7rocprim17ROCPRIM_400000_NS6detail17trampoline_kernelINS0_14default_configENS1_29reduce_by_key_config_selectorIssN6thrust23THRUST_200600_302600_NS4plusIsEEEEZZNS1_33reduce_by_key_impl_wrapped_configILNS1_25lookback_scan_determinismE0ES3_S9_NS6_6detail15normal_iteratorINS6_10device_ptrIsEEEESG_SG_SG_PmS8_22is_equal_div_10_reduceIsEEE10hipError_tPvRmT2_T3_mT4_T5_T6_T7_T8_P12ihipStream_tbENKUlT_T0_E_clISt17integral_constantIbLb0EES10_IbLb1EEEEDaSW_SX_EUlSW_E_NS1_11comp_targetILNS1_3genE4ELNS1_11target_archE910ELNS1_3gpuE8ELNS1_3repE0EEENS1_30default_config_static_selectorELNS0_4arch9wavefront6targetE1EEEvT1_
	.globl	_ZN7rocprim17ROCPRIM_400000_NS6detail17trampoline_kernelINS0_14default_configENS1_29reduce_by_key_config_selectorIssN6thrust23THRUST_200600_302600_NS4plusIsEEEEZZNS1_33reduce_by_key_impl_wrapped_configILNS1_25lookback_scan_determinismE0ES3_S9_NS6_6detail15normal_iteratorINS6_10device_ptrIsEEEESG_SG_SG_PmS8_22is_equal_div_10_reduceIsEEE10hipError_tPvRmT2_T3_mT4_T5_T6_T7_T8_P12ihipStream_tbENKUlT_T0_E_clISt17integral_constantIbLb0EES10_IbLb1EEEEDaSW_SX_EUlSW_E_NS1_11comp_targetILNS1_3genE4ELNS1_11target_archE910ELNS1_3gpuE8ELNS1_3repE0EEENS1_30default_config_static_selectorELNS0_4arch9wavefront6targetE1EEEvT1_
	.p2align	8
	.type	_ZN7rocprim17ROCPRIM_400000_NS6detail17trampoline_kernelINS0_14default_configENS1_29reduce_by_key_config_selectorIssN6thrust23THRUST_200600_302600_NS4plusIsEEEEZZNS1_33reduce_by_key_impl_wrapped_configILNS1_25lookback_scan_determinismE0ES3_S9_NS6_6detail15normal_iteratorINS6_10device_ptrIsEEEESG_SG_SG_PmS8_22is_equal_div_10_reduceIsEEE10hipError_tPvRmT2_T3_mT4_T5_T6_T7_T8_P12ihipStream_tbENKUlT_T0_E_clISt17integral_constantIbLb0EES10_IbLb1EEEEDaSW_SX_EUlSW_E_NS1_11comp_targetILNS1_3genE4ELNS1_11target_archE910ELNS1_3gpuE8ELNS1_3repE0EEENS1_30default_config_static_selectorELNS0_4arch9wavefront6targetE1EEEvT1_,@function
_ZN7rocprim17ROCPRIM_400000_NS6detail17trampoline_kernelINS0_14default_configENS1_29reduce_by_key_config_selectorIssN6thrust23THRUST_200600_302600_NS4plusIsEEEEZZNS1_33reduce_by_key_impl_wrapped_configILNS1_25lookback_scan_determinismE0ES3_S9_NS6_6detail15normal_iteratorINS6_10device_ptrIsEEEESG_SG_SG_PmS8_22is_equal_div_10_reduceIsEEE10hipError_tPvRmT2_T3_mT4_T5_T6_T7_T8_P12ihipStream_tbENKUlT_T0_E_clISt17integral_constantIbLb0EES10_IbLb1EEEEDaSW_SX_EUlSW_E_NS1_11comp_targetILNS1_3genE4ELNS1_11target_archE910ELNS1_3gpuE8ELNS1_3repE0EEENS1_30default_config_static_selectorELNS0_4arch9wavefront6targetE1EEEvT1_: ; @_ZN7rocprim17ROCPRIM_400000_NS6detail17trampoline_kernelINS0_14default_configENS1_29reduce_by_key_config_selectorIssN6thrust23THRUST_200600_302600_NS4plusIsEEEEZZNS1_33reduce_by_key_impl_wrapped_configILNS1_25lookback_scan_determinismE0ES3_S9_NS6_6detail15normal_iteratorINS6_10device_ptrIsEEEESG_SG_SG_PmS8_22is_equal_div_10_reduceIsEEE10hipError_tPvRmT2_T3_mT4_T5_T6_T7_T8_P12ihipStream_tbENKUlT_T0_E_clISt17integral_constantIbLb0EES10_IbLb1EEEEDaSW_SX_EUlSW_E_NS1_11comp_targetILNS1_3genE4ELNS1_11target_archE910ELNS1_3gpuE8ELNS1_3repE0EEENS1_30default_config_static_selectorELNS0_4arch9wavefront6targetE1EEEvT1_
; %bb.0:
	s_load_dwordx8 s[36:43], s[4:5], 0x0
	s_load_dwordx4 s[52:55], s[4:5], 0x20
	s_load_dwordx8 s[44:51], s[4:5], 0x38
	s_load_dwordx2 s[60:61], s[4:5], 0x68
	s_load_dwordx4 s[56:59], s[4:5], 0x58
	v_cmp_ne_u32_e64 s[2:3], 0, v0
	v_cmp_eq_u32_e64 s[0:1], 0, v0
	s_and_saveexec_b64 s[6:7], s[0:1]
	s_cbranch_execz .LBB690_4
; %bb.1:
	s_mov_b64 s[10:11], exec
	v_mbcnt_lo_u32_b32 v1, s10, 0
	v_mbcnt_hi_u32_b32 v1, s11, v1
	v_cmp_eq_u32_e32 vcc, 0, v1
                                        ; implicit-def: $vgpr2
	s_and_saveexec_b64 s[8:9], vcc
	s_cbranch_execz .LBB690_3
; %bb.2:
	s_load_dwordx2 s[4:5], s[4:5], 0x70
	s_bcnt1_i32_b64 s10, s[10:11]
	v_mov_b32_e32 v2, 0
	v_mov_b32_e32 v3, s10
	s_waitcnt lgkmcnt(0)
	global_atomic_add v2, v2, v3, s[4:5] glc
.LBB690_3:
	s_or_b64 exec, exec, s[8:9]
	s_waitcnt vmcnt(0)
	v_readfirstlane_b32 s4, v2
	v_add_u32_e32 v1, s4, v1
	v_mov_b32_e32 v2, 0
	ds_write_b32 v2, v1
.LBB690_4:
	s_or_b64 exec, exec, s[6:7]
	v_mov_b32_e32 v3, 0
	s_waitcnt lgkmcnt(0)
	s_lshl_b64 s[4:5], s[38:39], 1
	s_barrier
	ds_read_b32 v1, v3
	s_add_u32 s6, s36, s4
	s_addc_u32 s7, s37, s5
	s_add_u32 s4, s40, s4
	s_mul_i32 s8, s48, s47
	s_mul_hi_u32 s9, s48, s46
	s_addc_u32 s5, s41, s5
	s_add_i32 s8, s9, s8
	s_mul_i32 s9, s49, s46
	s_add_i32 s8, s8, s9
	s_mul_i32 s9, s48, s46
	s_waitcnt lgkmcnt(0)
	v_readfirstlane_b32 s62, v1
	s_movk_i32 s10, 0xf00
	v_mul_lo_u32 v2, v1, s10
	s_add_u32 s40, s9, s62
	v_lshlrev_b64 v[2:3], 1, v[2:3]
	s_addc_u32 s41, s8, 0
	v_mov_b32_e32 v1, s7
	v_add_co_u32_e32 v7, vcc, s6, v2
	s_add_u32 s6, s50, -1
	v_addc_co_u32_e32 v8, vcc, v1, v3, vcc
	s_addc_u32 s7, s51, -1
	v_mov_b32_e32 v1, s5
	v_add_co_u32_e32 v9, vcc, s4, v2
	s_cmp_eq_u64 s[40:41], s[6:7]
	v_addc_co_u32_e32 v10, vcc, v1, v3, vcc
	s_cselect_b64 s[36:37], -1, 0
	s_cmp_lg_u64 s[40:41], s[6:7]
	s_mov_b64 s[4:5], -1
	s_cselect_b64 s[48:49], -1, 0
	s_mul_i32 s33, s6, 0xfffff100
	s_and_b64 vcc, exec, s[36:37]
	v_mul_u32_u24_e32 v6, 15, v0
	s_barrier
	s_cbranch_vccnz .LBB690_6
; %bb.5:
	v_lshlrev_b32_e32 v17, 1, v0
	v_add_co_u32_e32 v2, vcc, v7, v17
	v_addc_co_u32_e32 v3, vcc, 0, v8, vcc
	flat_load_ushort v1, v[2:3]
	flat_load_ushort v4, v[2:3] offset:512
	flat_load_ushort v5, v[2:3] offset:1024
	;; [unrolled: 1-line block ×7, first 2 shown]
	v_add_co_u32_e32 v2, vcc, 0x1000, v2
	v_addc_co_u32_e32 v3, vcc, 0, v3, vcc
	flat_load_ushort v22, v[2:3]
	flat_load_ushort v23, v[2:3] offset:512
	flat_load_ushort v24, v[2:3] offset:1024
	;; [unrolled: 1-line block ×6, first 2 shown]
	v_add_co_u32_e32 v12, vcc, v9, v17
	s_movk_i32 s4, 0x1000
	v_addc_co_u32_e32 v13, vcc, 0, v10, vcc
	v_mad_u32_u24 v11, v0, 28, v17
	v_add_co_u32_e32 v18, vcc, s4, v12
	v_addc_co_u32_e32 v19, vcc, 0, v13, vcc
	s_waitcnt vmcnt(0) lgkmcnt(0)
	ds_write_b16 v17, v1
	ds_write_b16 v17, v4 offset:512
	ds_write_b16 v17, v5 offset:1024
	;; [unrolled: 1-line block ×14, first 2 shown]
	s_waitcnt lgkmcnt(0)
	s_barrier
	ds_read_u16 v1, v11
	ds_read_b128 v[2:5], v11 offset:2
	ds_read_b96 v[14:16], v11 offset:18
	s_waitcnt lgkmcnt(0)
	s_barrier
	flat_load_ushort v20, v[12:13]
	flat_load_ushort v21, v[12:13] offset:512
	flat_load_ushort v22, v[12:13] offset:1024
	;; [unrolled: 1-line block ×7, first 2 shown]
	flat_load_ushort v28, v[18:19]
	flat_load_ushort v29, v[18:19] offset:512
	flat_load_ushort v30, v[18:19] offset:1024
	;; [unrolled: 1-line block ×6, first 2 shown]
	v_mul_u32_u24_e32 v12, 15, v0
	s_waitcnt vmcnt(0) lgkmcnt(0)
	ds_write_b16 v17, v20
	ds_write_b16 v17, v21 offset:512
	ds_write_b16 v17, v22 offset:1024
	;; [unrolled: 1-line block ×14, first 2 shown]
	s_waitcnt lgkmcnt(0)
	s_barrier
	s_add_i32 s33, s33, s56
	s_cbranch_execz .LBB690_7
	s_branch .LBB690_54
.LBB690_6:
                                        ; implicit-def: $vgpr2
                                        ; implicit-def: $vgpr14
                                        ; implicit-def: $vgpr12
                                        ; implicit-def: $vgpr11
                                        ; implicit-def: $vgpr1
	s_andn2_b64 vcc, exec, s[4:5]
	s_add_i32 s33, s33, s56
	s_cbranch_vccnz .LBB690_54
.LBB690_7:
	v_cmp_gt_u32_e32 vcc, s33, v0
                                        ; implicit-def: $vgpr1
	s_and_saveexec_b64 s[6:7], vcc
	s_cbranch_execz .LBB690_9
; %bb.8:
	v_lshlrev_b32_e32 v1, 1, v0
	v_add_co_u32_e64 v2, s[4:5], v7, v1
	v_addc_co_u32_e64 v3, s[4:5], 0, v8, s[4:5]
	flat_load_ushort v1, v[2:3]
.LBB690_9:
	s_or_b64 exec, exec, s[6:7]
	v_or_b32_e32 v2, 0x100, v0
	v_cmp_gt_u32_e64 s[4:5], s33, v2
                                        ; implicit-def: $vgpr2
	s_and_saveexec_b64 s[8:9], s[4:5]
	s_cbranch_execz .LBB690_11
; %bb.10:
	v_lshlrev_b32_e32 v2, 1, v0
	v_add_co_u32_e64 v2, s[6:7], v7, v2
	v_addc_co_u32_e64 v3, s[6:7], 0, v8, s[6:7]
	flat_load_ushort v2, v[2:3] offset:512
.LBB690_11:
	s_or_b64 exec, exec, s[8:9]
	v_or_b32_e32 v3, 0x200, v0
	v_cmp_gt_u32_e64 s[6:7], s33, v3
                                        ; implicit-def: $vgpr3
	s_and_saveexec_b64 s[10:11], s[6:7]
	s_cbranch_execz .LBB690_13
; %bb.12:
	v_lshlrev_b32_e32 v3, 1, v0
	v_add_co_u32_e64 v4, s[8:9], v7, v3
	v_addc_co_u32_e64 v5, s[8:9], 0, v8, s[8:9]
	flat_load_ushort v3, v[4:5] offset:1024
.LBB690_13:
	s_or_b64 exec, exec, s[10:11]
	v_or_b32_e32 v4, 0x300, v0
	v_cmp_gt_u32_e64 s[8:9], s33, v4
                                        ; implicit-def: $vgpr4
	s_and_saveexec_b64 s[12:13], s[8:9]
	s_cbranch_execz .LBB690_15
; %bb.14:
	v_lshlrev_b32_e32 v4, 1, v0
	v_add_co_u32_e64 v4, s[10:11], v7, v4
	v_addc_co_u32_e64 v5, s[10:11], 0, v8, s[10:11]
	flat_load_ushort v4, v[4:5] offset:1536
.LBB690_15:
	s_or_b64 exec, exec, s[12:13]
	v_or_b32_e32 v5, 0x400, v0
	v_cmp_gt_u32_e64 s[10:11], s33, v5
                                        ; implicit-def: $vgpr5
	s_and_saveexec_b64 s[14:15], s[10:11]
	s_cbranch_execz .LBB690_17
; %bb.16:
	v_lshlrev_b32_e32 v5, 1, v0
	v_add_co_u32_e64 v12, s[12:13], v7, v5
	v_addc_co_u32_e64 v13, s[12:13], 0, v8, s[12:13]
	flat_load_ushort v5, v[12:13] offset:2048
.LBB690_17:
	s_or_b64 exec, exec, s[14:15]
	v_or_b32_e32 v11, 0x500, v0
	v_cmp_gt_u32_e64 s[12:13], s33, v11
                                        ; implicit-def: $vgpr11
	s_and_saveexec_b64 s[16:17], s[12:13]
	s_cbranch_execz .LBB690_19
; %bb.18:
	v_lshlrev_b32_e32 v11, 1, v0
	v_add_co_u32_e64 v12, s[14:15], v7, v11
	v_addc_co_u32_e64 v13, s[14:15], 0, v8, s[14:15]
	flat_load_ushort v11, v[12:13] offset:2560
.LBB690_19:
	s_or_b64 exec, exec, s[16:17]
	v_or_b32_e32 v12, 0x600, v0
	v_cmp_gt_u32_e64 s[14:15], s33, v12
                                        ; implicit-def: $vgpr14
	s_and_saveexec_b64 s[18:19], s[14:15]
	s_cbranch_execz .LBB690_21
; %bb.20:
	v_lshlrev_b32_e32 v12, 1, v0
	v_add_co_u32_e64 v12, s[16:17], v7, v12
	v_addc_co_u32_e64 v13, s[16:17], 0, v8, s[16:17]
	flat_load_ushort v14, v[12:13] offset:3072
.LBB690_21:
	s_or_b64 exec, exec, s[18:19]
	v_or_b32_e32 v12, 0x700, v0
	v_cmp_gt_u32_e64 s[16:17], s33, v12
                                        ; implicit-def: $vgpr15
	s_and_saveexec_b64 s[20:21], s[16:17]
	s_cbranch_execz .LBB690_23
; %bb.22:
	v_lshlrev_b32_e32 v12, 1, v0
	v_add_co_u32_e64 v12, s[18:19], v7, v12
	v_addc_co_u32_e64 v13, s[18:19], 0, v8, s[18:19]
	flat_load_ushort v15, v[12:13] offset:3584
.LBB690_23:
	s_or_b64 exec, exec, s[20:21]
	v_or_b32_e32 v12, 0x800, v0
	v_cmp_gt_u32_e64 s[18:19], s33, v12
	v_lshlrev_b32_e32 v12, 1, v12
                                        ; implicit-def: $vgpr16
	s_and_saveexec_b64 s[22:23], s[18:19]
	s_cbranch_execz .LBB690_25
; %bb.24:
	v_add_co_u32_e64 v16, s[20:21], v7, v12
	v_addc_co_u32_e64 v17, s[20:21], 0, v8, s[20:21]
	flat_load_ushort v16, v[16:17]
.LBB690_25:
	s_or_b64 exec, exec, s[22:23]
	v_or_b32_e32 v13, 0x900, v0
	v_cmp_gt_u32_e64 s[20:21], s33, v13
	v_lshlrev_b32_e32 v13, 1, v13
                                        ; implicit-def: $vgpr23
	s_and_saveexec_b64 s[24:25], s[20:21]
	s_cbranch_execz .LBB690_27
; %bb.26:
	v_add_co_u32_e64 v18, s[22:23], v7, v13
	v_addc_co_u32_e64 v19, s[22:23], 0, v8, s[22:23]
	flat_load_ushort v23, v[18:19]
.LBB690_27:
	s_or_b64 exec, exec, s[24:25]
	v_or_b32_e32 v17, 0xa00, v0
	v_cmp_gt_u32_e64 s[22:23], s33, v17
	v_lshlrev_b32_e32 v18, 1, v17
                                        ; implicit-def: $vgpr24
	s_and_saveexec_b64 s[26:27], s[22:23]
	s_cbranch_execz .LBB690_29
; %bb.28:
	v_add_co_u32_e64 v20, s[24:25], v7, v18
	v_addc_co_u32_e64 v21, s[24:25], 0, v8, s[24:25]
	flat_load_ushort v24, v[20:21]
.LBB690_29:
	s_or_b64 exec, exec, s[26:27]
	v_or_b32_e32 v17, 0xb00, v0
	v_cmp_gt_u32_e64 s[24:25], s33, v17
	v_lshlrev_b32_e32 v19, 1, v17
                                        ; implicit-def: $vgpr25
	s_and_saveexec_b64 s[28:29], s[24:25]
	s_cbranch_execz .LBB690_31
; %bb.30:
	v_add_co_u32_e64 v20, s[26:27], v7, v19
	v_addc_co_u32_e64 v21, s[26:27], 0, v8, s[26:27]
	flat_load_ushort v25, v[20:21]
.LBB690_31:
	s_or_b64 exec, exec, s[28:29]
	v_or_b32_e32 v17, 0xc00, v0
	v_cmp_gt_u32_e64 s[26:27], s33, v17
	v_lshlrev_b32_e32 v20, 1, v17
                                        ; implicit-def: $vgpr26
	s_and_saveexec_b64 s[30:31], s[26:27]
	s_cbranch_execz .LBB690_33
; %bb.32:
	v_add_co_u32_e64 v26, s[28:29], v7, v20
	v_addc_co_u32_e64 v27, s[28:29], 0, v8, s[28:29]
	flat_load_ushort v26, v[26:27]
.LBB690_33:
	s_or_b64 exec, exec, s[30:31]
	v_or_b32_e32 v17, 0xd00, v0
	v_cmp_gt_u32_e64 s[28:29], s33, v17
	v_lshlrev_b32_e32 v21, 1, v17
                                        ; implicit-def: $vgpr27
	s_and_saveexec_b64 s[34:35], s[28:29]
	s_cbranch_execz .LBB690_35
; %bb.34:
	v_add_co_u32_e64 v28, s[30:31], v7, v21
	v_addc_co_u32_e64 v29, s[30:31], 0, v8, s[30:31]
	flat_load_ushort v27, v[28:29]
.LBB690_35:
	s_or_b64 exec, exec, s[34:35]
	v_or_b32_e32 v17, 0xe00, v0
	v_cmp_gt_u32_e64 s[30:31], s33, v17
	v_lshlrev_b32_e32 v22, 1, v17
                                        ; implicit-def: $vgpr28
	s_and_saveexec_b64 s[38:39], s[30:31]
	s_cbranch_execz .LBB690_37
; %bb.36:
	v_add_co_u32_e64 v28, s[34:35], v7, v22
	v_addc_co_u32_e64 v29, s[34:35], 0, v8, s[34:35]
	flat_load_ushort v28, v[28:29]
.LBB690_37:
	s_or_b64 exec, exec, s[38:39]
	v_lshlrev_b32_e32 v17, 1, v0
	s_waitcnt vmcnt(0) lgkmcnt(0)
	ds_write_b16 v17, v1
	ds_write_b16 v17, v2 offset:512
	ds_write_b16 v17, v3 offset:1024
	;; [unrolled: 1-line block ×14, first 2 shown]
	v_mad_u32_u24 v11, v0, 28, v17
	s_waitcnt lgkmcnt(0)
	s_barrier
	ds_read_u16 v1, v11
	ds_read_b128 v[2:5], v11 offset:2
	ds_read_b96 v[14:16], v11 offset:18
	s_waitcnt lgkmcnt(0)
	s_barrier
	s_waitcnt lgkmcnt(0)
                                        ; implicit-def: $vgpr23
	s_and_saveexec_b64 s[34:35], vcc
	s_cbranch_execnz .LBB690_61
; %bb.38:
	s_or_b64 exec, exec, s[34:35]
                                        ; implicit-def: $vgpr24
	s_and_saveexec_b64 s[34:35], s[4:5]
	s_cbranch_execnz .LBB690_62
.LBB690_39:
	s_or_b64 exec, exec, s[34:35]
                                        ; implicit-def: $vgpr25
	s_and_saveexec_b64 s[4:5], s[6:7]
	s_cbranch_execnz .LBB690_63
.LBB690_40:
	s_or_b64 exec, exec, s[4:5]
                                        ; implicit-def: $vgpr26
	s_and_saveexec_b64 s[4:5], s[8:9]
	s_cbranch_execnz .LBB690_64
.LBB690_41:
	s_or_b64 exec, exec, s[4:5]
                                        ; implicit-def: $vgpr27
	s_and_saveexec_b64 s[4:5], s[10:11]
	s_cbranch_execnz .LBB690_65
.LBB690_42:
	s_or_b64 exec, exec, s[4:5]
                                        ; implicit-def: $vgpr28
	s_and_saveexec_b64 s[4:5], s[12:13]
	s_cbranch_execnz .LBB690_66
.LBB690_43:
	s_or_b64 exec, exec, s[4:5]
                                        ; implicit-def: $vgpr29
	s_and_saveexec_b64 s[4:5], s[14:15]
	s_cbranch_execnz .LBB690_67
.LBB690_44:
	s_or_b64 exec, exec, s[4:5]
                                        ; implicit-def: $vgpr30
	s_and_saveexec_b64 s[4:5], s[16:17]
	s_cbranch_execnz .LBB690_68
.LBB690_45:
	s_or_b64 exec, exec, s[4:5]
                                        ; implicit-def: $vgpr31
	s_and_saveexec_b64 s[4:5], s[18:19]
	s_cbranch_execnz .LBB690_69
.LBB690_46:
	s_or_b64 exec, exec, s[4:5]
                                        ; implicit-def: $vgpr12
	s_and_saveexec_b64 s[4:5], s[20:21]
	s_cbranch_execnz .LBB690_70
.LBB690_47:
	s_or_b64 exec, exec, s[4:5]
                                        ; implicit-def: $vgpr13
	s_and_saveexec_b64 s[4:5], s[22:23]
	s_cbranch_execnz .LBB690_71
.LBB690_48:
	s_or_b64 exec, exec, s[4:5]
                                        ; implicit-def: $vgpr18
	s_and_saveexec_b64 s[4:5], s[24:25]
	s_cbranch_execnz .LBB690_72
.LBB690_49:
	s_or_b64 exec, exec, s[4:5]
                                        ; implicit-def: $vgpr19
	s_and_saveexec_b64 s[4:5], s[26:27]
	s_cbranch_execnz .LBB690_73
.LBB690_50:
	s_or_b64 exec, exec, s[4:5]
                                        ; implicit-def: $vgpr20
	s_and_saveexec_b64 s[4:5], s[28:29]
	s_cbranch_execnz .LBB690_74
.LBB690_51:
	s_or_b64 exec, exec, s[4:5]
                                        ; implicit-def: $vgpr21
	s_and_saveexec_b64 s[4:5], s[30:31]
	s_cbranch_execz .LBB690_53
.LBB690_52:
	v_add_co_u32_e32 v32, vcc, v9, v22
	v_addc_co_u32_e32 v33, vcc, 0, v10, vcc
	flat_load_ushort v21, v[32:33]
.LBB690_53:
	s_or_b64 exec, exec, s[4:5]
	s_waitcnt vmcnt(0) lgkmcnt(0)
	ds_write_b16 v17, v23
	ds_write_b16 v17, v24 offset:512
	ds_write_b16 v17, v25 offset:1024
	;; [unrolled: 1-line block ×14, first 2 shown]
	v_mov_b32_e32 v12, v6
	s_waitcnt lgkmcnt(0)
	s_barrier
.LBB690_54:
	v_lshlrev_b32_e32 v9, 1, v12
	ds_read_u16 v77, v11
	ds_read_u16 v76, v11 offset:2
	ds_read_u16 v74, v11 offset:6
	;; [unrolled: 1-line block ×14, first 2 shown]
	s_cmp_eq_u64 s[40:41], 0
	s_cselect_b64 s[38:39], -1, 0
	s_cmp_lg_u64 s[40:41], 0
	s_mov_b64 s[4:5], 0
	s_cselect_b64 s[30:31], -1, 0
	s_and_b64 vcc, exec, s[48:49]
	s_waitcnt lgkmcnt(0)
	s_barrier
	s_cbranch_vccz .LBB690_60
; %bb.55:
	s_and_b64 vcc, exec, s[30:31]
	s_cbranch_vccz .LBB690_75
; %bb.56:
	v_add_co_u32_e32 v10, vcc, -2, v7
	v_addc_co_u32_e32 v11, vcc, -1, v8, vcc
	flat_load_ushort v10, v[10:11]
	v_lshlrev_b32_e32 v9, 1, v0
	v_lshrrev_b32_e32 v11, 16, v16
	s_movk_i32 s48, 0x6667
	ds_write_b16 v9, v11
	v_mul_i32_i24_sdwa v11, sext(v16), s48 dst_sel:DWORD dst_unused:UNUSED_PAD src0_sel:WORD_0 src1_sel:DWORD
	v_lshrrev_b32_e32 v12, 31, v11
	v_ashrrev_i32_e32 v11, 18, v11
	v_add_u16_e32 v11, v11, v12
	v_mul_i32_i24_sdwa v12, sext(v16), s48 dst_sel:DWORD dst_unused:UNUSED_PAD src0_sel:WORD_1 src1_sel:DWORD
	v_lshrrev_b32_e32 v13, 31, v12
	v_ashrrev_i32_e32 v12, 18, v12
	v_add_u16_e32 v12, v12, v13
	v_cmp_ne_u16_e32 vcc, v11, v12
	v_mul_i32_i24_sdwa v12, sext(v15), s48 dst_sel:DWORD dst_unused:UNUSED_PAD src0_sel:WORD_1 src1_sel:DWORD
	v_lshrrev_b32_e32 v13, 31, v12
	v_ashrrev_i32_e32 v12, 18, v12
	v_add_u16_e32 v12, v12, v13
	v_cmp_ne_u16_e64 s[4:5], v12, v11
	v_mul_i32_i24_sdwa v11, sext(v15), s48 dst_sel:DWORD dst_unused:UNUSED_PAD src0_sel:WORD_0 src1_sel:DWORD
	v_lshrrev_b32_e32 v13, 31, v11
	v_ashrrev_i32_e32 v11, 18, v11
	v_add_u16_e32 v11, v11, v13
	v_cmp_ne_u16_e64 s[6:7], v11, v12
	v_mul_i32_i24_sdwa v12, sext(v14), s48 dst_sel:DWORD dst_unused:UNUSED_PAD src0_sel:WORD_1 src1_sel:DWORD
	v_lshrrev_b32_e32 v13, 31, v12
	v_ashrrev_i32_e32 v12, 18, v12
	v_add_u16_e32 v12, v12, v13
	v_cmp_ne_u16_e64 s[8:9], v12, v11
	v_mul_i32_i24_sdwa v11, sext(v14), s48 dst_sel:DWORD dst_unused:UNUSED_PAD src0_sel:WORD_0 src1_sel:DWORD
	v_lshrrev_b32_e32 v13, 31, v11
	v_ashrrev_i32_e32 v11, 18, v11
	v_add_u16_e32 v11, v11, v13
	v_cmp_ne_u16_e64 s[10:11], v11, v12
	v_mul_i32_i24_sdwa v12, sext(v5), s48 dst_sel:DWORD dst_unused:UNUSED_PAD src0_sel:WORD_1 src1_sel:DWORD
	v_lshrrev_b32_e32 v13, 31, v12
	v_ashrrev_i32_e32 v12, 18, v12
	v_add_u16_e32 v12, v12, v13
	v_cmp_ne_u16_e64 s[12:13], v12, v11
	v_mul_i32_i24_sdwa v11, sext(v5), s48 dst_sel:DWORD dst_unused:UNUSED_PAD src0_sel:WORD_0 src1_sel:DWORD
	v_lshrrev_b32_e32 v13, 31, v11
	v_ashrrev_i32_e32 v11, 18, v11
	v_add_u16_e32 v11, v11, v13
	v_cmp_ne_u16_e64 s[14:15], v11, v12
	v_mul_i32_i24_sdwa v12, sext(v4), s48 dst_sel:DWORD dst_unused:UNUSED_PAD src0_sel:WORD_1 src1_sel:DWORD
	v_lshrrev_b32_e32 v13, 31, v12
	v_ashrrev_i32_e32 v12, 18, v12
	v_add_u16_e32 v12, v12, v13
	v_cmp_ne_u16_e64 s[16:17], v12, v11
	v_mul_i32_i24_sdwa v11, sext(v4), s48 dst_sel:DWORD dst_unused:UNUSED_PAD src0_sel:WORD_0 src1_sel:DWORD
	v_lshrrev_b32_e32 v13, 31, v11
	v_ashrrev_i32_e32 v11, 18, v11
	v_add_u16_e32 v11, v11, v13
	v_cmp_ne_u16_e64 s[18:19], v11, v12
	v_mul_i32_i24_sdwa v12, sext(v3), s48 dst_sel:DWORD dst_unused:UNUSED_PAD src0_sel:WORD_1 src1_sel:DWORD
	v_lshrrev_b32_e32 v13, 31, v12
	v_ashrrev_i32_e32 v12, 18, v12
	v_add_u16_e32 v12, v12, v13
	v_cmp_ne_u16_e64 s[20:21], v12, v11
	v_mul_i32_i24_sdwa v11, sext(v3), s48 dst_sel:DWORD dst_unused:UNUSED_PAD src0_sel:WORD_0 src1_sel:DWORD
	v_lshrrev_b32_e32 v13, 31, v11
	v_ashrrev_i32_e32 v11, 18, v11
	v_add_u16_e32 v11, v11, v13
	v_cmp_ne_u16_e64 s[22:23], v11, v12
	v_mul_i32_i24_sdwa v12, sext(v2), s48 dst_sel:DWORD dst_unused:UNUSED_PAD src0_sel:WORD_1 src1_sel:DWORD
	v_lshrrev_b32_e32 v13, 31, v12
	v_ashrrev_i32_e32 v12, 18, v12
	v_add_u16_e32 v12, v12, v13
	v_cmp_ne_u16_e64 s[24:25], v12, v11
	v_mul_i32_i24_sdwa v11, sext(v2), s48 dst_sel:DWORD dst_unused:UNUSED_PAD src0_sel:WORD_0 src1_sel:DWORD
	v_lshrrev_b32_e32 v13, 31, v11
	v_ashrrev_i32_e32 v11, 18, v11
	v_add_u16_e32 v13, v11, v13
	v_mul_i32_i24_sdwa v11, sext(v1), s48 dst_sel:DWORD dst_unused:UNUSED_PAD src0_sel:WORD_0 src1_sel:DWORD
	v_cmp_ne_u16_e64 s[26:27], v13, v12
	v_lshrrev_b32_e32 v12, 31, v11
	v_ashrrev_i32_e32 v11, 18, v11
	v_add_u16_e32 v11, v11, v12
	v_cmp_ne_u16_e64 s[28:29], v11, v13
	s_waitcnt lgkmcnt(0)
	s_barrier
	s_and_saveexec_b64 s[34:35], s[2:3]
	s_cbranch_execz .LBB690_58
; %bb.57:
	v_add_u32_e32 v9, -2, v9
	s_waitcnt vmcnt(0)
	ds_read_u16 v10, v9
.LBB690_58:
	s_or_b64 exec, exec, s[34:35]
	s_waitcnt vmcnt(0) lgkmcnt(0)
	v_mul_i32_i24_sdwa v10, sext(v10), s48 dst_sel:DWORD dst_unused:UNUSED_PAD src0_sel:WORD_0 src1_sel:DWORD
	v_lshrrev_b32_e32 v12, 31, v10
	v_ashrrev_i32_e32 v10, 18, v10
	v_add_u16_e32 v10, v10, v12
	v_cndmask_b32_e64 v17, 0, 1, vcc
	v_cndmask_b32_e64 v9, 0, 1, s[4:5]
	v_cndmask_b32_e64 v68, 0, 1, s[6:7]
	;; [unrolled: 1-line block ×13, first 2 shown]
	v_cmp_ne_u16_e64 s[8:9], v10, v11
	s_mov_b64 s[4:5], -1
.LBB690_59:
                                        ; implicit-def: $sgpr10
	s_branch .LBB690_79
.LBB690_60:
                                        ; implicit-def: $sgpr8_sgpr9
                                        ; implicit-def: $vgpr17
                                        ; implicit-def: $vgpr9
                                        ; implicit-def: $vgpr68
                                        ; implicit-def: $vgpr19
                                        ; implicit-def: $vgpr18
                                        ; implicit-def: $vgpr21
                                        ; implicit-def: $vgpr20
                                        ; implicit-def: $vgpr23
                                        ; implicit-def: $vgpr22
                                        ; implicit-def: $vgpr27
                                        ; implicit-def: $vgpr26
                                        ; implicit-def: $vgpr29
                                        ; implicit-def: $vgpr28
                                        ; implicit-def: $vgpr31
                                        ; implicit-def: $vgpr25
                                        ; implicit-def: $sgpr10
	s_cbranch_execnz .LBB690_80
	s_branch .LBB690_115
.LBB690_61:
	v_add_co_u32_e32 v24, vcc, v9, v17
	v_addc_co_u32_e32 v25, vcc, 0, v10, vcc
	flat_load_ushort v23, v[24:25]
	s_or_b64 exec, exec, s[34:35]
                                        ; implicit-def: $vgpr24
	s_and_saveexec_b64 s[34:35], s[4:5]
	s_cbranch_execz .LBB690_39
.LBB690_62:
	v_add_co_u32_e32 v24, vcc, v9, v17
	v_addc_co_u32_e32 v25, vcc, 0, v10, vcc
	flat_load_ushort v24, v[24:25] offset:512
	s_or_b64 exec, exec, s[34:35]
                                        ; implicit-def: $vgpr25
	s_and_saveexec_b64 s[4:5], s[6:7]
	s_cbranch_execz .LBB690_40
.LBB690_63:
	v_add_co_u32_e32 v26, vcc, v9, v17
	v_addc_co_u32_e32 v27, vcc, 0, v10, vcc
	flat_load_ushort v25, v[26:27] offset:1024
	s_or_b64 exec, exec, s[4:5]
                                        ; implicit-def: $vgpr26
	s_and_saveexec_b64 s[4:5], s[8:9]
	s_cbranch_execz .LBB690_41
.LBB690_64:
	v_add_co_u32_e32 v26, vcc, v9, v17
	v_addc_co_u32_e32 v27, vcc, 0, v10, vcc
	flat_load_ushort v26, v[26:27] offset:1536
	s_or_b64 exec, exec, s[4:5]
                                        ; implicit-def: $vgpr27
	s_and_saveexec_b64 s[4:5], s[10:11]
	s_cbranch_execz .LBB690_42
.LBB690_65:
	v_add_co_u32_e32 v28, vcc, v9, v17
	v_addc_co_u32_e32 v29, vcc, 0, v10, vcc
	flat_load_ushort v27, v[28:29] offset:2048
	s_or_b64 exec, exec, s[4:5]
                                        ; implicit-def: $vgpr28
	s_and_saveexec_b64 s[4:5], s[12:13]
	s_cbranch_execz .LBB690_43
.LBB690_66:
	v_add_co_u32_e32 v28, vcc, v9, v17
	v_addc_co_u32_e32 v29, vcc, 0, v10, vcc
	flat_load_ushort v28, v[28:29] offset:2560
	s_or_b64 exec, exec, s[4:5]
                                        ; implicit-def: $vgpr29
	s_and_saveexec_b64 s[4:5], s[14:15]
	s_cbranch_execz .LBB690_44
.LBB690_67:
	v_add_co_u32_e32 v30, vcc, v9, v17
	v_addc_co_u32_e32 v31, vcc, 0, v10, vcc
	flat_load_ushort v29, v[30:31] offset:3072
	s_or_b64 exec, exec, s[4:5]
                                        ; implicit-def: $vgpr30
	s_and_saveexec_b64 s[4:5], s[16:17]
	s_cbranch_execz .LBB690_45
.LBB690_68:
	v_add_co_u32_e32 v30, vcc, v9, v17
	v_addc_co_u32_e32 v31, vcc, 0, v10, vcc
	flat_load_ushort v30, v[30:31] offset:3584
	s_or_b64 exec, exec, s[4:5]
                                        ; implicit-def: $vgpr31
	s_and_saveexec_b64 s[4:5], s[18:19]
	s_cbranch_execz .LBB690_46
.LBB690_69:
	v_add_co_u32_e32 v32, vcc, v9, v12
	v_addc_co_u32_e32 v33, vcc, 0, v10, vcc
	flat_load_ushort v31, v[32:33]
	s_or_b64 exec, exec, s[4:5]
                                        ; implicit-def: $vgpr12
	s_and_saveexec_b64 s[4:5], s[20:21]
	s_cbranch_execz .LBB690_47
.LBB690_70:
	v_add_co_u32_e32 v12, vcc, v9, v13
	v_addc_co_u32_e32 v13, vcc, 0, v10, vcc
	flat_load_ushort v12, v[12:13]
	s_or_b64 exec, exec, s[4:5]
                                        ; implicit-def: $vgpr13
	s_and_saveexec_b64 s[4:5], s[22:23]
	s_cbranch_execz .LBB690_48
.LBB690_71:
	v_add_co_u32_e32 v32, vcc, v9, v18
	v_addc_co_u32_e32 v33, vcc, 0, v10, vcc
	flat_load_ushort v13, v[32:33]
	s_or_b64 exec, exec, s[4:5]
                                        ; implicit-def: $vgpr18
	s_and_saveexec_b64 s[4:5], s[24:25]
	s_cbranch_execz .LBB690_49
.LBB690_72:
	v_add_co_u32_e32 v18, vcc, v9, v19
	v_addc_co_u32_e32 v19, vcc, 0, v10, vcc
	flat_load_ushort v18, v[18:19]
	s_or_b64 exec, exec, s[4:5]
                                        ; implicit-def: $vgpr19
	s_and_saveexec_b64 s[4:5], s[26:27]
	s_cbranch_execz .LBB690_50
.LBB690_73:
	v_add_co_u32_e32 v32, vcc, v9, v20
	v_addc_co_u32_e32 v33, vcc, 0, v10, vcc
	flat_load_ushort v19, v[32:33]
	s_or_b64 exec, exec, s[4:5]
                                        ; implicit-def: $vgpr20
	s_and_saveexec_b64 s[4:5], s[28:29]
	s_cbranch_execz .LBB690_51
.LBB690_74:
	v_add_co_u32_e32 v20, vcc, v9, v21
	v_addc_co_u32_e32 v21, vcc, 0, v10, vcc
	flat_load_ushort v20, v[20:21]
	s_or_b64 exec, exec, s[4:5]
                                        ; implicit-def: $vgpr21
	s_and_saveexec_b64 s[4:5], s[30:31]
	s_cbranch_execnz .LBB690_52
	s_branch .LBB690_53
.LBB690_75:
                                        ; implicit-def: $sgpr8_sgpr9
                                        ; implicit-def: $vgpr17
                                        ; implicit-def: $vgpr9
                                        ; implicit-def: $vgpr68
                                        ; implicit-def: $vgpr19
                                        ; implicit-def: $vgpr18
                                        ; implicit-def: $vgpr21
                                        ; implicit-def: $vgpr20
                                        ; implicit-def: $vgpr23
                                        ; implicit-def: $vgpr22
                                        ; implicit-def: $vgpr27
                                        ; implicit-def: $vgpr26
                                        ; implicit-def: $vgpr29
                                        ; implicit-def: $vgpr28
                                        ; implicit-def: $vgpr31
	s_cbranch_execz .LBB690_59
; %bb.76:
	v_lshlrev_b32_e32 v10, 1, v0
	v_lshrrev_b32_e32 v9, 16, v16
	s_movk_i32 s6, 0x6667
	ds_write_b16 v10, v9
	v_mul_i32_i24_sdwa v9, sext(v16), s6 dst_sel:DWORD dst_unused:UNUSED_PAD src0_sel:WORD_0 src1_sel:DWORD
	v_lshrrev_b32_e32 v11, 31, v9
	v_ashrrev_i32_e32 v9, 18, v9
	v_add_u16_e32 v9, v9, v11
	v_mul_i32_i24_sdwa v11, sext(v16), s6 dst_sel:DWORD dst_unused:UNUSED_PAD src0_sel:WORD_1 src1_sel:DWORD
	v_lshrrev_b32_e32 v12, 31, v11
	v_ashrrev_i32_e32 v11, 18, v11
	v_add_u16_e32 v11, v11, v12
	v_cmp_ne_u16_e32 vcc, v9, v11
	v_mul_i32_i24_sdwa v11, sext(v15), s6 dst_sel:DWORD dst_unused:UNUSED_PAD src0_sel:WORD_1 src1_sel:DWORD
	v_lshrrev_b32_e32 v12, 31, v11
	v_ashrrev_i32_e32 v11, 18, v11
	v_add_u16_e32 v11, v11, v12
	v_mul_i32_i24_sdwa v12, sext(v15), s6 dst_sel:DWORD dst_unused:UNUSED_PAD src0_sel:WORD_0 src1_sel:DWORD
	v_lshrrev_b32_e32 v13, 31, v12
	v_ashrrev_i32_e32 v12, 18, v12
	v_cndmask_b32_e64 v17, 0, 1, vcc
	v_cmp_ne_u16_e32 vcc, v11, v9
	v_add_u16_e32 v12, v12, v13
	v_cndmask_b32_e64 v9, 0, 1, vcc
	v_cmp_ne_u16_e32 vcc, v12, v11
	v_mul_i32_i24_sdwa v11, sext(v14), s6 dst_sel:DWORD dst_unused:UNUSED_PAD src0_sel:WORD_1 src1_sel:DWORD
	v_lshrrev_b32_e32 v13, 31, v11
	v_ashrrev_i32_e32 v11, 18, v11
	v_add_u16_e32 v11, v11, v13
	v_cndmask_b32_e64 v68, 0, 1, vcc
	v_cmp_ne_u16_e32 vcc, v11, v12
	v_mul_i32_i24_sdwa v12, sext(v14), s6 dst_sel:DWORD dst_unused:UNUSED_PAD src0_sel:WORD_0 src1_sel:DWORD
	v_lshrrev_b32_e32 v13, 31, v12
	v_ashrrev_i32_e32 v12, 18, v12
	v_add_u16_e32 v12, v12, v13
	v_cndmask_b32_e64 v19, 0, 1, vcc
	v_cmp_ne_u16_e32 vcc, v12, v11
	v_mul_i32_i24_sdwa v11, sext(v5), s6 dst_sel:DWORD dst_unused:UNUSED_PAD src0_sel:WORD_1 src1_sel:DWORD
	v_lshrrev_b32_e32 v13, 31, v11
	v_ashrrev_i32_e32 v11, 18, v11
	v_add_u16_e32 v11, v11, v13
	v_cndmask_b32_e64 v18, 0, 1, vcc
	v_cmp_ne_u16_e32 vcc, v11, v12
	v_mul_i32_i24_sdwa v12, sext(v5), s6 dst_sel:DWORD dst_unused:UNUSED_PAD src0_sel:WORD_0 src1_sel:DWORD
	v_lshrrev_b32_e32 v13, 31, v12
	v_ashrrev_i32_e32 v12, 18, v12
	;; [unrolled: 12-line block ×5, first 2 shown]
	v_add_u16_e32 v12, v12, v13
	v_cndmask_b32_e64 v29, 0, 1, vcc
	v_cmp_ne_u16_e32 vcc, v12, v11
	v_mul_i32_i24_sdwa v11, sext(v1), s6 dst_sel:DWORD dst_unused:UNUSED_PAD src0_sel:WORD_0 src1_sel:DWORD
	v_lshrrev_b32_e32 v13, 31, v11
	v_ashrrev_i32_e32 v11, 18, v11
	v_add_u16_e32 v11, v11, v13
	v_cndmask_b32_e64 v28, 0, 1, vcc
	v_cmp_ne_u16_e32 vcc, v11, v12
	s_mov_b32 s10, 1
	v_cndmask_b32_e64 v31, 0, 1, vcc
	s_waitcnt lgkmcnt(0)
	s_barrier
	s_waitcnt lgkmcnt(0)
                                        ; implicit-def: $sgpr8_sgpr9
	s_and_saveexec_b64 s[6:7], s[2:3]
	s_xor_b64 s[6:7], exec, s[6:7]
	s_cbranch_execz .LBB690_78
; %bb.77:
	v_add_u32_e32 v10, -2, v10
	ds_read_i16 v10, v10
	s_or_b64 s[4:5], s[4:5], exec
	s_waitcnt lgkmcnt(0)
	v_mul_i32_i24_e32 v10, 0x6667, v10
	v_lshrrev_b32_e32 v12, 31, v10
	v_ashrrev_i32_e32 v10, 18, v10
	v_add_u16_e32 v10, v10, v12
	v_cmp_ne_u16_e32 vcc, v10, v11
	s_and_b64 s[8:9], vcc, exec
.LBB690_78:
	s_or_b64 exec, exec, s[6:7]
.LBB690_79:
	v_mov_b32_e32 v25, v9
	s_branch .LBB690_115
.LBB690_80:
	s_mul_hi_u32 s7, s40, 0xfffff100
	s_mul_i32 s6, s41, 0xfffff100
	s_sub_i32 s7, s7, s40
	s_add_i32 s7, s7, s6
	s_mul_i32 s6, s40, 0xfffff100
	s_add_u32 s6, s6, s56
	s_addc_u32 s7, s7, s57
	s_and_b64 vcc, exec, s[30:31]
	v_lshrrev_b32_e32 v10, 16, v16
	v_mad_u32_u24 v24, v0, 15, 14
	s_cbranch_vccz .LBB690_220
; %bb.81:
	v_add_co_u32_e32 v12, vcc, -2, v7
	v_addc_co_u32_e32 v13, vcc, -1, v8, vcc
	flat_load_ushort v11, v[12:13]
	v_mov_b32_e32 v9, 0
	v_mov_b32_e32 v25, v9
	v_lshlrev_b32_e32 v7, 1, v0
	v_cmp_gt_u64_e32 vcc, s[6:7], v[24:25]
	v_mov_b32_e32 v17, 0
	ds_write_b16 v7, v10
	s_and_saveexec_b64 s[4:5], vcc
; %bb.82:
	s_movk_i32 s8, 0x6667
	v_mul_i32_i24_sdwa v8, sext(v16), s8 dst_sel:DWORD dst_unused:UNUSED_PAD src0_sel:WORD_0 src1_sel:DWORD
	v_lshrrev_b32_e32 v12, 31, v8
	v_ashrrev_i32_e32 v8, 18, v8
	v_add_u16_e32 v8, v8, v12
	v_mul_i32_i24_sdwa v12, sext(v10), s8 dst_sel:DWORD dst_unused:UNUSED_PAD src0_sel:WORD_0 src1_sel:DWORD
	v_lshrrev_b32_e32 v13, 31, v12
	v_ashrrev_i32_e32 v12, 18, v12
	v_add_u16_e32 v12, v12, v13
	v_cmp_ne_u16_e32 vcc, v8, v12
	v_cndmask_b32_e64 v17, 0, 1, vcc
; %bb.83:
	s_or_b64 exec, exec, s[4:5]
	v_add_u32_e32 v8, 13, v6
	v_cmp_gt_u64_e32 vcc, s[6:7], v[8:9]
	s_and_saveexec_b64 s[4:5], vcc
; %bb.84:
	s_movk_i32 s8, 0x6667
	v_mul_i32_i24_sdwa v8, sext(v15), s8 dst_sel:DWORD dst_unused:UNUSED_PAD src0_sel:WORD_1 src1_sel:DWORD
	v_lshrrev_b32_e32 v9, 31, v8
	v_ashrrev_i32_e32 v8, 18, v8
	v_add_u16_e32 v8, v8, v9
	v_mul_i32_i24_sdwa v9, sext(v16), s8 dst_sel:DWORD dst_unused:UNUSED_PAD src0_sel:WORD_0 src1_sel:DWORD
	v_lshrrev_b32_e32 v12, 31, v9
	v_ashrrev_i32_e32 v9, 18, v9
	v_add_u16_e32 v9, v9, v12
	v_cmp_ne_u16_e32 vcc, v8, v9
	v_cndmask_b32_e64 v9, 0, 1, vcc
; %bb.85:
	s_or_b64 exec, exec, s[4:5]
	v_add_u32_e32 v18, 12, v6
	v_mov_b32_e32 v19, 0
	v_cmp_gt_u64_e32 vcc, s[6:7], v[18:19]
	v_mov_b32_e32 v68, 0
	s_and_saveexec_b64 s[4:5], vcc
; %bb.86:
	s_movk_i32 s8, 0x6667
	v_mul_i32_i24_sdwa v8, sext(v15), s8 dst_sel:DWORD dst_unused:UNUSED_PAD src0_sel:WORD_0 src1_sel:DWORD
	v_lshrrev_b32_e32 v12, 31, v8
	v_ashrrev_i32_e32 v8, 18, v8
	v_add_u16_e32 v8, v8, v12
	v_mul_i32_i24_sdwa v12, sext(v15), s8 dst_sel:DWORD dst_unused:UNUSED_PAD src0_sel:WORD_1 src1_sel:DWORD
	v_lshrrev_b32_e32 v13, 31, v12
	v_ashrrev_i32_e32 v12, 18, v12
	v_add_u16_e32 v12, v12, v13
	v_cmp_ne_u16_e32 vcc, v8, v12
	v_cndmask_b32_e64 v68, 0, 1, vcc
; %bb.87:
	s_or_b64 exec, exec, s[4:5]
	v_add_u32_e32 v18, 11, v6
	v_cmp_gt_u64_e32 vcc, s[6:7], v[18:19]
	s_and_saveexec_b64 s[4:5], vcc
; %bb.88:
	s_movk_i32 s8, 0x6667
	v_mul_i32_i24_sdwa v8, sext(v14), s8 dst_sel:DWORD dst_unused:UNUSED_PAD src0_sel:WORD_1 src1_sel:DWORD
	v_lshrrev_b32_e32 v12, 31, v8
	v_ashrrev_i32_e32 v8, 18, v8
	v_add_u16_e32 v8, v8, v12
	v_mul_i32_i24_sdwa v12, sext(v15), s8 dst_sel:DWORD dst_unused:UNUSED_PAD src0_sel:WORD_0 src1_sel:DWORD
	v_lshrrev_b32_e32 v13, 31, v12
	v_ashrrev_i32_e32 v12, 18, v12
	v_add_u16_e32 v12, v12, v13
	v_cmp_ne_u16_e32 vcc, v8, v12
	v_cndmask_b32_e64 v19, 0, 1, vcc
; %bb.89:
	s_or_b64 exec, exec, s[4:5]
	v_add_u32_e32 v20, 10, v6
	v_mov_b32_e32 v21, 0
	v_cmp_gt_u64_e32 vcc, s[6:7], v[20:21]
	v_mov_b32_e32 v18, 0
	s_and_saveexec_b64 s[4:5], vcc
; %bb.90:
	s_movk_i32 s8, 0x6667
	v_mul_i32_i24_sdwa v8, sext(v14), s8 dst_sel:DWORD dst_unused:UNUSED_PAD src0_sel:WORD_0 src1_sel:DWORD
	v_lshrrev_b32_e32 v12, 31, v8
	v_ashrrev_i32_e32 v8, 18, v8
	v_add_u16_e32 v8, v8, v12
	v_mul_i32_i24_sdwa v12, sext(v14), s8 dst_sel:DWORD dst_unused:UNUSED_PAD src0_sel:WORD_1 src1_sel:DWORD
	;; [unrolled: 36-line block ×6, first 2 shown]
	v_lshrrev_b32_e32 v13, 31, v12
	v_ashrrev_i32_e32 v12, 18, v12
	v_add_u16_e32 v12, v12, v13
	v_cmp_ne_u16_e32 vcc, v8, v12
	v_cndmask_b32_e64 v28, 0, 1, vcc
; %bb.107:
	s_or_b64 exec, exec, s[4:5]
	v_add_u32_e32 v30, 1, v6
	v_cmp_gt_u64_e32 vcc, s[6:7], v[30:31]
	s_and_saveexec_b64 s[4:5], vcc
; %bb.108:
	s_movk_i32 s8, 0x6667
	v_mul_i32_i24_sdwa v8, sext(v1), s8 dst_sel:DWORD dst_unused:UNUSED_PAD src0_sel:WORD_0 src1_sel:DWORD
	v_lshrrev_b32_e32 v12, 31, v8
	v_ashrrev_i32_e32 v8, 18, v8
	v_add_u16_e32 v8, v8, v12
	v_mul_i32_i24_sdwa v12, sext(v2), s8 dst_sel:DWORD dst_unused:UNUSED_PAD src0_sel:WORD_0 src1_sel:DWORD
	v_lshrrev_b32_e32 v13, 31, v12
	v_ashrrev_i32_e32 v12, 18, v12
	v_add_u16_e32 v12, v12, v13
	v_cmp_ne_u16_e32 vcc, v8, v12
	v_cndmask_b32_e64 v31, 0, 1, vcc
; %bb.109:
	s_or_b64 exec, exec, s[4:5]
	s_waitcnt lgkmcnt(0)
	s_barrier
	s_and_saveexec_b64 s[4:5], s[2:3]
	s_cbranch_execz .LBB690_111
; %bb.110:
	v_add_u32_e32 v7, -2, v7
	s_waitcnt vmcnt(0)
	ds_read_u16 v11, v7
.LBB690_111:
	s_or_b64 exec, exec, s[4:5]
	v_mov_b32_e32 v7, 0
	v_cmp_gt_u64_e32 vcc, s[6:7], v[6:7]
	s_mov_b64 s[10:11], 0
	s_mov_b64 s[8:9], 0
	s_and_saveexec_b64 s[4:5], vcc
	s_cbranch_execz .LBB690_113
; %bb.112:
	s_movk_i32 s8, 0x6667
	s_waitcnt vmcnt(0) lgkmcnt(0)
	v_mul_i32_i24_sdwa v7, sext(v11), s8 dst_sel:DWORD dst_unused:UNUSED_PAD src0_sel:WORD_0 src1_sel:DWORD
	v_lshrrev_b32_e32 v8, 31, v7
	v_ashrrev_i32_e32 v7, 18, v7
	v_add_u16_e32 v7, v7, v8
	v_mul_i32_i24_sdwa v8, sext(v1), s8 dst_sel:DWORD dst_unused:UNUSED_PAD src0_sel:WORD_0 src1_sel:DWORD
	v_lshrrev_b32_e32 v11, 31, v8
	v_ashrrev_i32_e32 v8, 18, v8
	v_add_u16_e32 v8, v8, v11
	v_cmp_ne_u16_e32 vcc, v7, v8
	s_and_b64 s[8:9], vcc, exec
.LBB690_113:
	s_or_b64 exec, exec, s[4:5]
	s_mov_b64 s[4:5], -1
	s_and_b64 vcc, exec, s[10:11]
	s_cbranch_vccnz .LBB690_221
.LBB690_114:
                                        ; implicit-def: $vgpr25
                                        ; implicit-def: $sgpr10
.LBB690_115:
	v_mov_b32_e32 v30, s10
	s_and_saveexec_b64 s[2:3], s[4:5]
.LBB690_116:
	v_cndmask_b32_e64 v30, 0, 1, s[8:9]
	v_mov_b32_e32 v25, v9
.LBB690_117:
	s_or_b64 exec, exec, s[2:3]
	s_cmp_eq_u64 s[46:47], 0
	v_add3_u32 v6, v31, v30, v28
	s_cselect_b64 s[30:31], -1, 0
	s_cmp_lg_u32 s62, 0
	v_cmp_eq_u32_e64 s[26:27], 0, v31
	v_cmp_eq_u32_e64 s[24:25], 0, v28
	;; [unrolled: 1-line block ×3, first 2 shown]
	v_add3_u32 v83, v6, v29, v26
	v_cmp_eq_u32_e64 s[20:21], 0, v26
	v_cmp_eq_u32_e64 s[18:19], 0, v27
	;; [unrolled: 1-line block ×10, first 2 shown]
	v_cmp_eq_u32_e32 vcc, 0, v17
	v_mbcnt_lo_u32_b32 v82, -1, 0
	v_lshrrev_b32_e32 v80, 6, v0
	v_or_b32_e32 v81, 63, v0
	s_cbranch_scc0 .LBB690_144
; %bb.118:
	v_cndmask_b32_e64 v6, 0, v77, s[26:27]
	v_add_u16_e32 v6, v6, v76
	v_cndmask_b32_e64 v6, 0, v6, s[24:25]
	v_add_u16_e32 v6, v6, v78
	;; [unrolled: 2-line block ×11, first 2 shown]
	v_cndmask_b32_e64 v6, 0, v6, s[4:5]
	v_add3_u32 v7, v83, v27, v22
	v_add_u16_e32 v6, v6, v66
	v_add3_u32 v7, v7, v23, v20
	v_cndmask_b32_e64 v6, 0, v6, s[2:3]
	v_add3_u32 v7, v7, v21, v18
	v_add_u16_e32 v6, v6, v64
	v_add3_u32 v7, v7, v19, v68
	v_cndmask_b32_e32 v6, 0, v6, vcc
	v_add3_u32 v7, v7, v25, v17
	v_add_u16_e32 v6, v6, v79
	v_mbcnt_hi_u32_b32 v33, -1, v82
	v_and_b32_e32 v8, 15, v33
	v_mov_b32_dpp v10, v6 row_shr:1 row_mask:0xf bank_mask:0xf
	v_cmp_eq_u32_e32 vcc, 0, v7
	v_mov_b32_dpp v9, v7 row_shr:1 row_mask:0xf bank_mask:0xf
	v_cndmask_b32_e32 v10, 0, v10, vcc
	v_cmp_eq_u32_e32 vcc, 0, v8
	v_add_u16_e32 v10, v10, v6
	v_cndmask_b32_e64 v9, v9, 0, vcc
	v_add_u32_e32 v7, v9, v7
	v_cndmask_b32_e32 v6, v10, v6, vcc
	v_cmp_eq_u32_e32 vcc, 0, v7
	v_mov_b32_dpp v9, v7 row_shr:2 row_mask:0xf bank_mask:0xf
	v_mov_b32_dpp v10, v6 row_shr:2 row_mask:0xf bank_mask:0xf
	v_cndmask_b32_e32 v10, 0, v10, vcc
	v_cmp_lt_u32_e32 vcc, 1, v8
	v_add_u16_e32 v10, v10, v6
	v_cndmask_b32_e32 v9, 0, v9, vcc
	v_cndmask_b32_e32 v6, v6, v10, vcc
	v_add_u32_e32 v7, v7, v9
	v_cmp_eq_u32_e32 vcc, 0, v7
	v_mov_b32_dpp v10, v6 row_shr:4 row_mask:0xf bank_mask:0xf
	v_mov_b32_dpp v9, v7 row_shr:4 row_mask:0xf bank_mask:0xf
	v_cndmask_b32_e32 v10, 0, v10, vcc
	v_cmp_lt_u32_e32 vcc, 3, v8
	v_add_u16_e32 v10, v10, v6
	v_cndmask_b32_e32 v9, 0, v9, vcc
	v_cndmask_b32_e32 v6, v6, v10, vcc
	v_add_u32_e32 v7, v9, v7
	;; [unrolled: 9-line block ×3, first 2 shown]
	v_bfe_i32 v10, v33, 4, 1
	v_mov_b32_dpp v9, v6 row_bcast:15 row_mask:0xf bank_mask:0xf
	v_mov_b32_dpp v8, v7 row_bcast:15 row_mask:0xf bank_mask:0xf
	v_cmp_eq_u32_e32 vcc, 0, v7
	s_waitcnt vmcnt(0) lgkmcnt(0)
	v_and_b32_e32 v11, 16, v33
	v_cndmask_b32_e32 v9, 0, v9, vcc
	v_and_b32_e32 v8, v10, v8
	v_add_u16_e32 v9, v9, v6
	v_add_u32_e32 v7, v8, v7
	v_cmp_eq_u32_e32 vcc, 0, v11
	v_cndmask_b32_e32 v8, v9, v6, vcc
	v_mov_b32_dpp v6, v7 row_bcast:31 row_mask:0xf bank_mask:0xf
	v_cmp_eq_u32_e32 vcc, 0, v7
	v_cmp_lt_u32_e64 s[28:29], 31, v33
	v_mov_b32_dpp v9, v8 row_bcast:31 row_mask:0xf bank_mask:0xf
	v_cndmask_b32_e64 v6, 0, v6, s[28:29]
	s_and_b64 vcc, s[28:29], vcc
	v_add_u32_e32 v6, v6, v7
	v_cndmask_b32_e32 v7, 0, v9, vcc
	v_add_u16_e32 v7, v7, v8
	v_cmp_eq_u32_e32 vcc, v81, v0
	v_lshlrev_b32_e32 v8, 3, v80
	s_and_saveexec_b64 s[28:29], vcc
	s_cbranch_execz .LBB690_120
; %bb.119:
	ds_write_b32 v8, v6 offset:1040
	ds_write_b16 v8, v7 offset:1044
.LBB690_120:
	s_or_b64 exec, exec, s[28:29]
	v_cmp_gt_u32_e32 vcc, 4, v0
	s_waitcnt lgkmcnt(0)
	s_barrier
	s_and_saveexec_b64 s[34:35], vcc
	s_cbranch_execz .LBB690_122
; %bb.121:
	v_lshlrev_b32_e32 v9, 3, v0
	ds_read_b64 v[10:11], v9 offset:1040
	v_and_b32_e32 v12, 3, v33
	s_mov_b32 s28, 0xffff0000
	s_waitcnt lgkmcnt(0)
	v_mov_b32_dpp v24, v11 row_shr:1 row_mask:0xf bank_mask:0xf
	v_cmp_eq_u32_e32 vcc, 0, v10
	v_mov_b32_dpp v13, v10 row_shr:1 row_mask:0xf bank_mask:0xf
	v_cndmask_b32_e32 v24, 0, v24, vcc
	v_cmp_eq_u32_e32 vcc, 0, v12
	v_add_u16_e32 v24, v24, v11
	v_cndmask_b32_e64 v13, v13, 0, vcc
	v_and_or_b32 v32, v11, s28, v24
	v_add_u32_e32 v10, v13, v10
	v_cndmask_b32_e32 v13, v24, v11, vcc
	v_cndmask_b32_e32 v11, v32, v11, vcc
	v_mov_b32_dpp v24, v10 row_shr:2 row_mask:0xf bank_mask:0xf
	v_cmp_eq_u32_e32 vcc, 0, v10
	v_cmp_lt_u32_e64 s[28:29], 1, v12
	v_mov_b32_dpp v11, v11 row_shr:2 row_mask:0xf bank_mask:0xf
	v_cndmask_b32_e64 v12, 0, v24, s[28:29]
	s_and_b64 vcc, s[28:29], vcc
	v_add_u32_e32 v10, v12, v10
	v_cndmask_b32_e32 v11, 0, v11, vcc
	v_add_u16_e32 v11, v13, v11
	ds_write_b32 v9, v10 offset:1040
	ds_write_b16 v9, v11 offset:1044
.LBB690_122:
	s_or_b64 exec, exec, s[34:35]
	v_cmp_gt_u32_e32 vcc, 64, v0
	v_cmp_lt_u32_e64 s[28:29], 63, v0
	v_mov_b32_e32 v24, 0
	v_mov_b32_e32 v36, 0
	s_waitcnt lgkmcnt(0)
	s_barrier
	s_and_saveexec_b64 s[34:35], s[28:29]
	s_cbranch_execz .LBB690_124
; %bb.123:
	ds_read_b32 v24, v8 offset:1032
	ds_read_u16 v36, v8 offset:1036
	v_cmp_eq_u32_e64 s[28:29], 0, v6
	s_waitcnt lgkmcnt(1)
	v_add_u32_e32 v8, v24, v6
	s_waitcnt lgkmcnt(0)
	v_cndmask_b32_e64 v6, 0, v36, s[28:29]
	v_add_u16_e32 v7, v6, v7
	v_mov_b32_e32 v6, v8
.LBB690_124:
	s_or_b64 exec, exec, s[34:35]
	v_add_u32_e32 v8, -1, v33
	v_and_b32_e32 v9, 64, v33
	v_cmp_lt_i32_e64 s[28:29], v8, v9
	v_cndmask_b32_e64 v8, v8, v33, s[28:29]
	v_and_b32_e32 v7, 0xffff, v7
	v_lshlrev_b32_e32 v8, 2, v8
	ds_bpermute_b32 v37, v8, v6
	ds_bpermute_b32 v38, v8, v7
	v_cmp_eq_u32_e64 s[28:29], 0, v33
	s_and_saveexec_b64 s[34:35], vcc
	s_cbranch_execz .LBB690_143
; %bb.125:
	v_mov_b32_e32 v9, 0
	ds_read_b64 v[6:7], v9 offset:1064
	s_waitcnt lgkmcnt(0)
	v_readfirstlane_b32 s48, v7
	s_and_saveexec_b64 s[40:41], s[28:29]
	s_cbranch_execz .LBB690_127
; %bb.126:
	s_add_i32 s46, s62, 64
	s_mov_b32 s47, 0
	s_lshl_b64 s[50:51], s[46:47], 4
	s_add_u32 s50, s44, s50
	s_addc_u32 s51, s45, s51
	s_and_b32 s57, s48, 0xff000000
	s_mov_b32 s56, s47
	s_and_b32 s65, s48, 0xff0000
	s_mov_b32 s64, s47
	s_or_b64 s[56:57], s[64:65], s[56:57]
	s_and_b32 s65, s48, 0xff00
	s_or_b64 s[56:57], s[56:57], s[64:65]
	s_and_b32 s65, s48, 0xff
	s_or_b64 s[46:47], s[56:57], s[64:65]
	v_mov_b32_e32 v7, s47
	v_mov_b32_e32 v8, 1
	v_pk_mov_b32 v[10:11], s[50:51], s[50:51] op_sel:[0,1]
	;;#ASMSTART
	global_store_dwordx4 v[10:11], v[6:9] off	
s_waitcnt vmcnt(0)
	;;#ASMEND
.LBB690_127:
	s_or_b64 exec, exec, s[40:41]
	v_xad_u32 v32, v33, -1, s62
	v_add_u32_e32 v8, 64, v32
	v_lshlrev_b64 v[10:11], 4, v[8:9]
	v_mov_b32_e32 v7, s45
	v_add_co_u32_e32 v34, vcc, s44, v10
	v_addc_co_u32_e32 v35, vcc, v7, v11, vcc
	;;#ASMSTART
	global_load_dwordx4 v[10:13], v[34:35] off glc	
s_waitcnt vmcnt(0)
	;;#ASMEND
	v_and_b32_e32 v7, 0xffffff, v10
	v_and_b32_e32 v8, 0xff000000, v10
	v_or_b32_e32 v7, v7, v8
	v_and_b32_e32 v8, 0xff, v11
	v_and_b32_e32 v10, 0xff00, v11
	v_or3_b32 v11, 0, v8, v10
	v_or3_b32 v10, v7, 0, 0
	v_cmp_eq_u16_sdwa s[46:47], v12, v9 src0_sel:BYTE_0 src1_sel:DWORD
	s_and_saveexec_b64 s[40:41], s[46:47]
	s_cbranch_execz .LBB690_131
; %bb.128:
	s_mov_b64 s[46:47], 0
	v_mov_b32_e32 v7, 0
.LBB690_129:                            ; =>This Inner Loop Header: Depth=1
	;;#ASMSTART
	global_load_dwordx4 v[10:13], v[34:35] off glc	
s_waitcnt vmcnt(0)
	;;#ASMEND
	v_cmp_ne_u16_sdwa s[50:51], v12, v7 src0_sel:BYTE_0 src1_sel:DWORD
	s_or_b64 s[46:47], s[50:51], s[46:47]
	s_andn2_b64 exec, exec, s[46:47]
	s_cbranch_execnz .LBB690_129
; %bb.130:
	s_or_b64 exec, exec, s[46:47]
	v_and_b32_e32 v11, 0xffff, v11
.LBB690_131:
	s_or_b64 exec, exec, s[40:41]
	v_mov_b32_e32 v7, 2
	v_and_b32_e32 v39, 63, v33
	v_cmp_eq_u16_sdwa s[40:41], v12, v7 src0_sel:BYTE_0 src1_sel:DWORD
	v_lshlrev_b64 v[8:9], v33, -1
	v_cmp_ne_u32_e32 vcc, 63, v39
	v_and_b32_e32 v13, s41, v9
	v_addc_co_u32_e32 v35, vcc, 0, v33, vcc
	v_or_b32_e32 v13, 0x80000000, v13
	v_lshlrev_b32_e32 v40, 2, v35
	v_and_b32_e32 v34, s40, v8
	v_ffbl_b32_e32 v13, v13
	ds_bpermute_b32 v35, v40, v11
	v_add_u32_e32 v13, 32, v13
	v_ffbl_b32_e32 v34, v34
	v_min_u32_e32 v13, v34, v13
	ds_bpermute_b32 v34, v40, v10
	v_cmp_eq_u32_e32 vcc, 0, v10
	s_waitcnt lgkmcnt(1)
	v_cndmask_b32_e32 v35, 0, v35, vcc
	v_add_u16_e32 v35, v35, v11
	v_cmp_lt_u32_e32 vcc, v39, v13
	v_cndmask_b32_e32 v11, v11, v35, vcc
	s_waitcnt lgkmcnt(0)
	v_cndmask_b32_e32 v34, 0, v34, vcc
	v_cmp_gt_u32_e32 vcc, 62, v39
	v_cndmask_b32_e64 v35, 0, 1, vcc
	v_lshlrev_b32_e32 v35, 1, v35
	v_add_lshl_u32 v41, v35, v33, 2
	ds_bpermute_b32 v35, v41, v11
	v_add_u32_e32 v10, v34, v10
	ds_bpermute_b32 v34, v41, v10
	v_cmp_eq_u32_e32 vcc, 0, v10
	v_add_u32_e32 v42, 2, v39
	s_waitcnt lgkmcnt(1)
	v_cndmask_b32_e32 v35, 0, v35, vcc
	v_add_u16_e32 v35, v35, v11
	v_cmp_gt_u32_e32 vcc, v42, v13
	v_cndmask_b32_e32 v11, v35, v11, vcc
	s_waitcnt lgkmcnt(0)
	v_cndmask_b32_e64 v34, v34, 0, vcc
	v_cmp_gt_u32_e32 vcc, 60, v39
	v_cndmask_b32_e64 v35, 0, 1, vcc
	v_lshlrev_b32_e32 v35, 2, v35
	v_add_lshl_u32 v43, v35, v33, 2
	ds_bpermute_b32 v35, v43, v11
	v_add_u32_e32 v10, v10, v34
	ds_bpermute_b32 v34, v43, v10
	v_cmp_eq_u32_e32 vcc, 0, v10
	v_add_u32_e32 v44, 4, v39
	s_waitcnt lgkmcnt(1)
	v_cndmask_b32_e32 v35, 0, v35, vcc
	v_add_u16_e32 v35, v11, v35
	v_cmp_gt_u32_e32 vcc, v44, v13
	v_cndmask_b32_e32 v11, v35, v11, vcc
	s_waitcnt lgkmcnt(0)
	v_cndmask_b32_e64 v34, v34, 0, vcc
	;; [unrolled: 16-line block ×4, first 2 shown]
	v_cmp_gt_u32_e32 vcc, 32, v39
	v_cndmask_b32_e64 v35, 0, 1, vcc
	v_lshlrev_b32_e32 v35, 5, v35
	v_add_lshl_u32 v51, v35, v33, 2
	ds_bpermute_b32 v33, v51, v11
	v_add_u32_e32 v10, v10, v34
	ds_bpermute_b32 v34, v51, v10
	v_add_u32_e32 v52, 32, v39
	v_cmp_eq_u32_e32 vcc, 0, v10
	s_waitcnt lgkmcnt(1)
	v_cndmask_b32_e32 v33, 0, v33, vcc
	v_cmp_gt_u32_e32 vcc, v52, v13
	v_cndmask_b32_e64 v13, v33, 0, vcc
	v_add_u16_e32 v11, v11, v13
	s_waitcnt lgkmcnt(0)
	v_cndmask_b32_e64 v13, v34, 0, vcc
	v_add_u32_e32 v10, v13, v10
	v_mov_b32_e32 v33, 0
	s_branch .LBB690_133
.LBB690_132:                            ;   in Loop: Header=BB690_133 Depth=1
	s_or_b64 exec, exec, s[40:41]
	v_cmp_eq_u16_sdwa s[40:41], v12, v7 src0_sel:BYTE_0 src1_sel:DWORD
	ds_bpermute_b32 v35, v40, v11
	v_and_b32_e32 v13, s41, v9
	v_or_b32_e32 v13, 0x80000000, v13
	v_and_b32_e32 v34, s40, v8
	v_ffbl_b32_e32 v13, v13
	v_add_u32_e32 v13, 32, v13
	v_ffbl_b32_e32 v34, v34
	v_cmp_eq_u32_e32 vcc, 0, v10
	v_min_u32_e32 v13, v34, v13
	ds_bpermute_b32 v34, v40, v10
	s_waitcnt lgkmcnt(1)
	v_cndmask_b32_e32 v35, 0, v35, vcc
	v_add_u16_e32 v35, v35, v11
	v_cmp_lt_u32_e32 vcc, v39, v13
	v_cndmask_b32_e32 v11, v11, v35, vcc
	ds_bpermute_b32 v35, v41, v11
	s_waitcnt lgkmcnt(1)
	v_cndmask_b32_e32 v34, 0, v34, vcc
	v_add_u32_e32 v10, v34, v10
	v_cmp_eq_u32_e32 vcc, 0, v10
	ds_bpermute_b32 v34, v41, v10
	s_waitcnt lgkmcnt(1)
	v_cndmask_b32_e32 v35, 0, v35, vcc
	v_add_u16_e32 v35, v35, v11
	v_cmp_gt_u32_e32 vcc, v42, v13
	v_cndmask_b32_e32 v11, v35, v11, vcc
	ds_bpermute_b32 v35, v43, v11
	s_waitcnt lgkmcnt(1)
	v_cndmask_b32_e64 v34, v34, 0, vcc
	v_add_u32_e32 v10, v10, v34
	v_cmp_eq_u32_e32 vcc, 0, v10
	ds_bpermute_b32 v34, v43, v10
	s_waitcnt lgkmcnt(1)
	v_cndmask_b32_e32 v35, 0, v35, vcc
	v_add_u16_e32 v35, v11, v35
	v_cmp_gt_u32_e32 vcc, v44, v13
	v_cndmask_b32_e32 v11, v35, v11, vcc
	ds_bpermute_b32 v35, v45, v11
	s_waitcnt lgkmcnt(1)
	v_cndmask_b32_e64 v34, v34, 0, vcc
	v_add_u32_e32 v10, v10, v34
	ds_bpermute_b32 v34, v45, v10
	v_cmp_eq_u32_e32 vcc, 0, v10
	s_waitcnt lgkmcnt(1)
	v_cndmask_b32_e32 v35, 0, v35, vcc
	v_add_u16_e32 v35, v11, v35
	v_cmp_gt_u32_e32 vcc, v46, v13
	v_cndmask_b32_e32 v11, v35, v11, vcc
	ds_bpermute_b32 v35, v48, v11
	s_waitcnt lgkmcnt(1)
	v_cndmask_b32_e64 v34, v34, 0, vcc
	v_add_u32_e32 v10, v10, v34
	ds_bpermute_b32 v34, v48, v10
	v_cmp_eq_u32_e32 vcc, 0, v10
	;; [unrolled: 11-line block ×3, first 2 shown]
	s_waitcnt lgkmcnt(1)
	v_cndmask_b32_e32 v35, 0, v35, vcc
	v_cmp_gt_u32_e32 vcc, v52, v13
	v_cndmask_b32_e64 v13, v35, 0, vcc
	v_add_u16_e32 v11, v11, v13
	s_waitcnt lgkmcnt(0)
	v_cndmask_b32_e64 v13, v34, 0, vcc
	v_cmp_eq_u32_e32 vcc, 0, v49
	v_cndmask_b32_e32 v11, 0, v11, vcc
	v_subrev_u32_e32 v32, 64, v32
	v_add3_u32 v10, v10, v49, v13
	v_add_u16_e32 v11, v11, v47
.LBB690_133:                            ; =>This Loop Header: Depth=1
                                        ;     Child Loop BB690_136 Depth 2
	v_cmp_ne_u16_sdwa s[40:41], v12, v7 src0_sel:BYTE_0 src1_sel:DWORD
	v_mov_b32_e32 v47, v11
	v_cndmask_b32_e64 v11, 0, 1, s[40:41]
	;;#ASMSTART
	;;#ASMEND
	v_cmp_ne_u32_e32 vcc, 0, v11
	s_cmp_lg_u64 vcc, exec
	v_mov_b32_e32 v49, v10
	s_cbranch_scc1 .LBB690_138
; %bb.134:                              ;   in Loop: Header=BB690_133 Depth=1
	v_lshlrev_b64 v[10:11], 4, v[32:33]
	v_mov_b32_e32 v12, s45
	v_add_co_u32_e32 v34, vcc, s44, v10
	v_addc_co_u32_e32 v35, vcc, v12, v11, vcc
	;;#ASMSTART
	global_load_dwordx4 v[10:13], v[34:35] off glc	
s_waitcnt vmcnt(0)
	;;#ASMEND
	v_and_b32_e32 v13, 0xffffff, v10
	v_and_b32_e32 v10, 0xff000000, v10
	v_or_b32_e32 v10, v13, v10
	v_and_b32_e32 v13, 0xff, v11
	v_and_b32_e32 v11, 0xff00, v11
	v_or3_b32 v11, 0, v13, v11
	v_or3_b32 v10, v10, 0, 0
	v_cmp_eq_u16_sdwa s[46:47], v12, v33 src0_sel:BYTE_0 src1_sel:DWORD
	s_and_saveexec_b64 s[40:41], s[46:47]
	s_cbranch_execz .LBB690_132
; %bb.135:                              ;   in Loop: Header=BB690_133 Depth=1
	s_mov_b64 s[46:47], 0
.LBB690_136:                            ;   Parent Loop BB690_133 Depth=1
                                        ; =>  This Inner Loop Header: Depth=2
	;;#ASMSTART
	global_load_dwordx4 v[10:13], v[34:35] off glc	
s_waitcnt vmcnt(0)
	;;#ASMEND
	v_cmp_ne_u16_sdwa s[50:51], v12, v33 src0_sel:BYTE_0 src1_sel:DWORD
	s_or_b64 s[46:47], s[50:51], s[46:47]
	s_andn2_b64 exec, exec, s[46:47]
	s_cbranch_execnz .LBB690_136
; %bb.137:                              ;   in Loop: Header=BB690_133 Depth=1
	s_or_b64 exec, exec, s[46:47]
	v_and_b32_e32 v11, 0xffff, v11
	s_branch .LBB690_132
.LBB690_138:                            ;   in Loop: Header=BB690_133 Depth=1
                                        ; implicit-def: $vgpr11
                                        ; implicit-def: $vgpr10
                                        ; implicit-def: $vgpr12
	s_cbranch_execz .LBB690_133
; %bb.139:
	s_and_saveexec_b64 s[40:41], s[28:29]
	s_cbranch_execz .LBB690_141
; %bb.140:
	s_mov_b32 s47, 0
	v_cmp_eq_u32_e32 vcc, 0, v6
	s_add_i32 s46, s62, 64
	v_cndmask_b32_e32 v7, 0, v47, vcc
	s_lshl_b64 s[46:47], s[46:47], 4
	v_add_u16_e32 v7, s48, v7
	s_add_u32 s46, s44, s46
	s_addc_u32 s47, s45, s47
	v_and_b32_e32 v9, 0xff00, v7
	v_add_u32_e32 v8, v49, v6
	v_mov_b32_e32 v11, 0
	v_or_b32_sdwa v9, v9, v7 dst_sel:DWORD dst_unused:UNUSED_PAD src0_sel:DWORD src1_sel:BYTE_0
	v_mov_b32_e32 v10, 2
	v_pk_mov_b32 v[12:13], s[46:47], s[46:47] op_sel:[0,1]
	;;#ASMSTART
	global_store_dwordx4 v[12:13], v[8:11] off	
s_waitcnt vmcnt(0)
	;;#ASMEND
	v_mov_b32_e32 v7, s48
	s_movk_i32 s46, 0x400
	ds_write_b16 v11, v7 offset:1028
	v_add_u32_e64 v7, s46, 0
	ds_write2_b32 v7, v6, v49 offset1:2
	ds_write_b16 v11, v47 offset:1036
.LBB690_141:
	s_or_b64 exec, exec, s[40:41]
	s_and_b64 exec, exec, s[0:1]
	s_cbranch_execz .LBB690_143
; %bb.142:
	v_mov_b32_e32 v6, 0
	ds_write_b32 v6, v49 offset:1064
	ds_write_b16 v6, v47 offset:1068
.LBB690_143:
	s_or_b64 exec, exec, s[34:35]
	v_mov_b32_e32 v8, 0
	s_waitcnt lgkmcnt(0)
	s_barrier
	ds_read_b64 v[6:7], v8 offset:1064
	v_cndmask_b32_e64 v10, v37, v24, s[28:29]
	v_cmp_eq_u32_e32 vcc, 0, v10
	v_cndmask_b32_e64 v9, v38, v36, s[28:29]
	s_waitcnt lgkmcnt(0)
	v_cndmask_b32_e32 v11, 0, v7, vcc
	v_add_u16_e32 v9, v11, v9
	v_cndmask_b32_e64 v7, v9, v7, s[0:1]
	v_cndmask_b32_e64 v9, v10, 0, s[0:1]
	v_cmp_eq_u32_e32 vcc, 0, v30
	v_add_u32_e32 v62, v6, v9
	v_cndmask_b32_e32 v6, 0, v7, vcc
	v_add_u16_e32 v61, v6, v77
	v_cndmask_b32_e64 v6, 0, v61, s[26:27]
	v_add_u16_e32 v59, v6, v76
	v_cndmask_b32_e64 v6, 0, v59, s[24:25]
	;; [unrolled: 2-line block ×8, first 2 shown]
	v_add_u32_e32 v60, v62, v30
	v_add_u16_e32 v45, v6, v71
	v_add_u32_e32 v58, v60, v31
	v_cndmask_b32_e64 v6, 0, v45, s[10:11]
	v_add_u32_e32 v56, v58, v28
	v_add_u16_e32 v43, v6, v67
	v_add_u32_e32 v54, v56, v29
	v_cndmask_b32_e64 v6, 0, v43, s[8:9]
	;; [unrolled: 4-line block ×3, first 2 shown]
	v_and_b32_e32 v63, 0xffff, v7
	v_add_u32_e32 v48, v50, v22
	v_add_u16_e32 v39, v6, v65
	s_barrier
	ds_read_b128 v[6:9], v8 offset:1024
	v_add_u32_e32 v46, v48, v23
	v_add_u32_e32 v44, v46, v20
	;; [unrolled: 1-line block ×4, first 2 shown]
	v_cndmask_b32_e64 v10, 0, v39, s[4:5]
	v_add_u32_e32 v38, v40, v19
	v_add_u16_e32 v37, v10, v66
	s_waitcnt lgkmcnt(0)
	v_cmp_eq_u32_e32 vcc, 0, v6
	v_add_u32_e32 v36, v38, v68
	v_cndmask_b32_e64 v10, 0, v37, s[2:3]
	v_cndmask_b32_e32 v9, 0, v9, vcc
	v_add_u32_e32 v34, v36, v25
	v_add_u16_e32 v35, v10, v64
	v_add_u32_e32 v24, v9, v7
	s_branch .LBB690_156
.LBB690_144:
                                        ; implicit-def: $vgpr6
                                        ; implicit-def: $vgpr24
                                        ; implicit-def: $vgpr62_vgpr63
                                        ; implicit-def: $vgpr60_vgpr61
                                        ; implicit-def: $vgpr58_vgpr59
                                        ; implicit-def: $vgpr56_vgpr57
                                        ; implicit-def: $vgpr54_vgpr55
                                        ; implicit-def: $vgpr52_vgpr53
                                        ; implicit-def: $vgpr50_vgpr51
                                        ; implicit-def: $vgpr48_vgpr49
                                        ; implicit-def: $vgpr46_vgpr47
                                        ; implicit-def: $vgpr44_vgpr45
                                        ; implicit-def: $vgpr42_vgpr43
                                        ; implicit-def: $vgpr40_vgpr41
                                        ; implicit-def: $vgpr38_vgpr39
                                        ; implicit-def: $vgpr36_vgpr37
                                        ; implicit-def: $vgpr34_vgpr35
	s_cbranch_execz .LBB690_156
; %bb.145:
	s_and_b64 s[2:3], s[30:31], exec
	s_cselect_b32 s3, 0, s61
	s_cselect_b32 s2, 0, s60
	s_cmp_eq_u64 s[2:3], 0
	v_mov_b32_e32 v7, v77
	s_cbranch_scc1 .LBB690_147
; %bb.146:
	v_mov_b32_e32 v6, 0
	global_load_ushort v7, v6, s[2:3]
.LBB690_147:
	v_cmp_eq_u32_e64 s[2:3], 0, v31
	v_cndmask_b32_e64 v6, 0, v77, s[2:3]
	v_add_u16_e32 v6, v6, v76
	v_cmp_eq_u32_e64 s[4:5], 0, v28
	v_cndmask_b32_e64 v6, 0, v6, s[4:5]
	v_add_u16_e32 v6, v6, v78
	;; [unrolled: 3-line block ×11, first 2 shown]
	v_cmp_eq_u32_e64 s[24:25], 0, v68
	v_cndmask_b32_e64 v6, 0, v6, s[24:25]
	v_add3_u32 v8, v83, v27, v22
	v_add_u16_e32 v6, v6, v66
	v_cmp_eq_u32_e32 vcc, 0, v25
	v_add3_u32 v8, v8, v23, v20
	v_cndmask_b32_e32 v6, 0, v6, vcc
	v_add3_u32 v8, v8, v21, v18
	v_add_u16_e32 v6, v6, v64
	v_cmp_eq_u32_e64 s[26:27], 0, v17
	v_add3_u32 v8, v8, v19, v68
	v_cndmask_b32_e64 v6, 0, v6, s[26:27]
	v_add3_u32 v8, v8, v25, v17
	v_add_u16_e32 v9, v6, v79
	v_mbcnt_hi_u32_b32 v6, -1, v82
	v_and_b32_e32 v10, 15, v6
	v_mov_b32_dpp v12, v9 row_shr:1 row_mask:0xf bank_mask:0xf
	v_cmp_eq_u32_e64 s[26:27], 0, v8
	s_waitcnt vmcnt(0) lgkmcnt(0)
	v_mov_b32_dpp v11, v8 row_shr:1 row_mask:0xf bank_mask:0xf
	v_cndmask_b32_e64 v12, 0, v12, s[26:27]
	v_cmp_eq_u32_e64 s[26:27], 0, v10
	v_add_u16_e32 v12, v12, v9
	v_cndmask_b32_e64 v11, v11, 0, s[26:27]
	v_add_u32_e32 v8, v11, v8
	v_cndmask_b32_e64 v9, v12, v9, s[26:27]
	v_cmp_eq_u32_e64 s[26:27], 0, v8
	v_mov_b32_dpp v11, v8 row_shr:2 row_mask:0xf bank_mask:0xf
	v_mov_b32_dpp v12, v9 row_shr:2 row_mask:0xf bank_mask:0xf
	v_cndmask_b32_e64 v12, 0, v12, s[26:27]
	v_cmp_lt_u32_e64 s[26:27], 1, v10
	v_add_u16_e32 v12, v12, v9
	v_cndmask_b32_e64 v11, 0, v11, s[26:27]
	v_cndmask_b32_e64 v9, v9, v12, s[26:27]
	v_add_u32_e32 v8, v8, v11
	v_cmp_eq_u32_e64 s[26:27], 0, v8
	v_mov_b32_dpp v12, v9 row_shr:4 row_mask:0xf bank_mask:0xf
	v_mov_b32_dpp v11, v8 row_shr:4 row_mask:0xf bank_mask:0xf
	v_cndmask_b32_e64 v12, 0, v12, s[26:27]
	v_cmp_lt_u32_e64 s[26:27], 3, v10
	v_add_u16_e32 v12, v12, v9
	v_cndmask_b32_e64 v11, 0, v11, s[26:27]
	v_cndmask_b32_e64 v9, v9, v12, s[26:27]
	v_add_u32_e32 v8, v11, v8
	;; [unrolled: 9-line block ×3, first 2 shown]
	v_bfe_i32 v12, v6, 4, 1
	v_mov_b32_dpp v11, v9 row_bcast:15 row_mask:0xf bank_mask:0xf
	v_mov_b32_dpp v10, v8 row_bcast:15 row_mask:0xf bank_mask:0xf
	v_cmp_eq_u32_e64 s[26:27], 0, v8
	v_and_b32_e32 v13, 16, v6
	v_cndmask_b32_e64 v11, 0, v11, s[26:27]
	v_and_b32_e32 v10, v12, v10
	v_add_u16_e32 v11, v11, v9
	v_add_u32_e32 v8, v10, v8
	v_cmp_eq_u32_e64 s[26:27], 0, v13
	v_cndmask_b32_e64 v9, v11, v9, s[26:27]
	v_mov_b32_dpp v10, v8 row_bcast:31 row_mask:0xf bank_mask:0xf
	v_cmp_eq_u32_e64 s[26:27], 0, v8
	v_cmp_lt_u32_e64 s[28:29], 31, v6
	v_mov_b32_dpp v11, v9 row_bcast:31 row_mask:0xf bank_mask:0xf
	v_cndmask_b32_e64 v10, 0, v10, s[28:29]
	s_and_b64 s[26:27], s[28:29], s[26:27]
	v_add_u32_e32 v8, v10, v8
	v_cndmask_b32_e64 v10, 0, v11, s[26:27]
	v_add_u16_e32 v9, v10, v9
	v_cmp_eq_u32_e64 s[26:27], v81, v0
	v_lshlrev_b32_e32 v11, 3, v80
	s_and_saveexec_b64 s[28:29], s[26:27]
	s_cbranch_execz .LBB690_149
; %bb.148:
	ds_write_b32 v11, v8 offset:1040
	ds_write_b16 v11, v9 offset:1044
.LBB690_149:
	s_or_b64 exec, exec, s[28:29]
	v_cmp_gt_u32_e64 s[26:27], 4, v0
	s_waitcnt lgkmcnt(0)
	s_barrier
	s_and_saveexec_b64 s[34:35], s[26:27]
	s_cbranch_execz .LBB690_151
; %bb.150:
	v_lshlrev_b32_e32 v10, 3, v0
	ds_read_b64 v[12:13], v10 offset:1040
	v_and_b32_e32 v24, 3, v6
	s_mov_b32 s28, 0xffff0000
	s_waitcnt lgkmcnt(0)
	v_mov_b32_dpp v33, v13 row_shr:1 row_mask:0xf bank_mask:0xf
	v_cmp_eq_u32_e64 s[26:27], 0, v12
	v_mov_b32_dpp v32, v12 row_shr:1 row_mask:0xf bank_mask:0xf
	v_cndmask_b32_e64 v33, 0, v33, s[26:27]
	v_cmp_eq_u32_e64 s[26:27], 0, v24
	v_add_u16_e32 v33, v33, v13
	v_cndmask_b32_e64 v32, v32, 0, s[26:27]
	v_and_or_b32 v34, v13, s28, v33
	v_add_u32_e32 v12, v32, v12
	v_cndmask_b32_e64 v32, v33, v13, s[26:27]
	v_cndmask_b32_e64 v13, v34, v13, s[26:27]
	v_mov_b32_dpp v33, v12 row_shr:2 row_mask:0xf bank_mask:0xf
	v_cmp_eq_u32_e64 s[26:27], 0, v12
	v_cmp_lt_u32_e64 s[28:29], 1, v24
	v_mov_b32_dpp v13, v13 row_shr:2 row_mask:0xf bank_mask:0xf
	v_cndmask_b32_e64 v24, 0, v33, s[28:29]
	s_and_b64 s[26:27], s[28:29], s[26:27]
	v_add_u32_e32 v12, v24, v12
	v_cndmask_b32_e64 v13, 0, v13, s[26:27]
	v_add_u16_e32 v13, v32, v13
	ds_write_b32 v10, v12 offset:1040
	ds_write_b16 v10, v13 offset:1044
.LBB690_151:
	s_or_b64 exec, exec, s[34:35]
	v_cmp_lt_u32_e64 s[26:27], 63, v0
	v_mov_b32_e32 v10, 0
	v_mov_b32_e32 v12, 0
	;; [unrolled: 1-line block ×3, first 2 shown]
	s_waitcnt lgkmcnt(0)
	s_barrier
	s_and_saveexec_b64 s[28:29], s[26:27]
	s_cbranch_execz .LBB690_153
; %bb.152:
	ds_read_b32 v12, v11 offset:1032
	ds_read_u16 v11, v11 offset:1036
	s_waitcnt lgkmcnt(1)
	v_cmp_eq_u32_e64 s[26:27], 0, v12
	v_cndmask_b32_e64 v13, 0, v7, s[26:27]
	s_waitcnt lgkmcnt(0)
	v_add_u16_e32 v13, v13, v11
.LBB690_153:
	s_or_b64 exec, exec, s[28:29]
	v_cmp_eq_u32_e64 s[26:27], 0, v8
	v_add_u32_e32 v11, v12, v8
	v_cndmask_b32_e64 v8, 0, v13, s[26:27]
	v_add_u16_e32 v8, v8, v9
	v_add_u32_e32 v9, -1, v6
	v_and_b32_e32 v24, 64, v6
	v_cmp_lt_i32_e64 s[26:27], v9, v24
	v_cndmask_b32_e64 v9, v9, v6, s[26:27]
	v_lshlrev_b32_e32 v9, 2, v9
	ds_bpermute_b32 v8, v9, v8
	ds_bpermute_b32 v11, v9, v11
	v_cmp_eq_u32_e64 s[26:27], 0, v6
	s_waitcnt lgkmcnt(1)
	v_cndmask_b32_e64 v8, v8, v13, s[26:27]
	s_waitcnt lgkmcnt(0)
	v_cndmask_b32_e64 v6, v11, v12, s[26:27]
	v_cndmask_b32_e64 v8, v8, v7, s[0:1]
	v_cmp_eq_u32_e64 s[26:27], 0, v30
	v_cndmask_b32_e64 v62, v6, 0, s[0:1]
	v_cndmask_b32_e64 v6, 0, v8, s[26:27]
	v_add_u16_e32 v61, v6, v77
	v_cndmask_b32_e64 v6, 0, v61, s[2:3]
	v_add_u16_e32 v59, v6, v76
	;; [unrolled: 2-line block ×9, first 2 shown]
	v_cndmask_b32_e64 v6, 0, v45, s[18:19]
	v_add_u32_e32 v60, v62, v30
	v_add_u16_e32 v43, v6, v67
	v_add_u32_e32 v58, v60, v31
	v_cndmask_b32_e64 v6, 0, v43, s[20:21]
	v_add_u32_e32 v56, v58, v28
	v_add_u16_e32 v41, v6, v69
	v_add_u32_e32 v54, v56, v29
	;; [unrolled: 4-line block ×3, first 2 shown]
	v_cndmask_b32_e64 v6, 0, v39, s[24:25]
	v_add_u32_e32 v48, v50, v22
	v_add_u16_e32 v37, v6, v66
	ds_read_b32 v6, v10 offset:1064
	v_add_u32_e32 v46, v48, v23
	v_and_b32_e32 v63, 0xffff, v8
	ds_read_u16 v8, v10 offset:1068
	v_add_u32_e32 v44, v46, v20
	v_add_u32_e32 v42, v44, v21
	;; [unrolled: 1-line block ×4, first 2 shown]
	v_cndmask_b32_e32 v9, 0, v37, vcc
	s_waitcnt lgkmcnt(1)
	v_cmp_eq_u32_e32 vcc, 0, v6
	v_add_u32_e32 v36, v38, v68
	v_cndmask_b32_e32 v7, 0, v7, vcc
	v_add_u32_e32 v34, v36, v25
	v_add_u16_e32 v35, v9, v64
	s_waitcnt lgkmcnt(0)
	v_add_u16_e32 v24, v7, v8
	s_and_saveexec_b64 s[2:3], s[0:1]
	s_cbranch_execz .LBB690_155
; %bb.154:
	s_add_u32 s4, s44, 0x400
	s_addc_u32 s5, s45, 0
	v_and_b32_e32 v7, 0xff00, v24
	v_mov_b32_e32 v9, 0
	v_or_b32_sdwa v7, v7, v24 dst_sel:DWORD dst_unused:UNUSED_PAD src0_sel:DWORD src1_sel:BYTE_0
	v_mov_b32_e32 v8, 2
	v_pk_mov_b32 v[10:11], s[4:5], s[4:5] op_sel:[0,1]
	;;#ASMSTART
	global_store_dwordx4 v[10:11], v[6:9] off	
s_waitcnt vmcnt(0)
	;;#ASMEND
.LBB690_155:
	s_or_b64 exec, exec, s[2:3]
	v_mov_b32_e32 v8, 0
.LBB690_156:
	s_and_b64 s[2:3], s[30:31], exec
	s_cselect_b32 s3, 0, s59
	s_cselect_b32 s2, 0, s58
	s_cmp_eq_u64 s[2:3], 0
	v_pk_mov_b32 v[32:33], 0, 0
	s_waitcnt lgkmcnt(0)
	s_barrier
	s_cbranch_scc1 .LBB690_158
; %bb.157:
	v_mov_b32_e32 v7, 0
	global_load_dwordx2 v[32:33], v7, s[2:3]
.LBB690_158:
	s_waitcnt vmcnt(0)
	v_lshlrev_b64 v[64:65], 1, v[32:33]
	v_mov_b32_e32 v7, s43
	v_add_co_u32_e32 v10, vcc, s42, v64
	v_mov_b32_e32 v9, 0
	v_addc_co_u32_e32 v11, vcc, v7, v65, vcc
	v_lshlrev_b64 v[66:67], 1, v[8:9]
	v_add_co_u32_e32 v7, vcc, v10, v66
	v_addc_co_u32_e32 v9, vcc, v11, v67, vcc
	v_cmp_eq_u32_e32 vcc, 0, v30
	v_cndmask_b32_e64 v10, 1, 2, vcc
	v_cmp_eq_u32_e32 vcc, 0, v31
	v_cndmask_b32_e64 v11, 1, 2, vcc
	v_cmp_eq_u32_e32 vcc, 0, v28
	v_and_b32_e32 v10, v11, v10
	v_cndmask_b32_e64 v11, 1, 2, vcc
	v_cmp_eq_u32_e32 vcc, 0, v29
	v_and_b32_e32 v10, v10, v11
	;; [unrolled: 3-line block ×13, first 2 shown]
	v_cndmask_b32_e64 v11, 1, 2, vcc
	s_movk_i32 s34, 0x100
	v_and_b32_e32 v10, v10, v11
	v_cmp_gt_u32_e32 vcc, s34, v6
	v_cmp_ne_u32_e64 s[30:31], 0, v30
	v_cmp_ne_u32_e64 s[28:29], 0, v31
	;; [unrolled: 1-line block ×15, first 2 shown]
	s_mov_b64 s[40:41], -1
	v_cmp_gt_i16_e64 s[34:35], 2, v10
	s_cbranch_vccz .LBB690_165
; %bb.159:
	s_and_saveexec_b64 s[40:41], s[34:35]
	s_cbranch_execz .LBB690_164
; %bb.160:
	v_cmp_ne_u16_e32 vcc, 1, v10
	s_mov_b64 s[42:43], 0
	s_and_saveexec_b64 s[34:35], vcc
	s_xor_b64 s[34:35], exec, s[34:35]
	s_cbranch_execnz .LBB690_254
; %bb.161:
	s_andn2_saveexec_b64 s[34:35], s[34:35]
	s_cbranch_execnz .LBB690_270
.LBB690_162:
	s_or_b64 exec, exec, s[34:35]
	s_and_b64 exec, exec, s[42:43]
	s_cbranch_execz .LBB690_164
.LBB690_163:
	v_sub_u32_e32 v12, v34, v8
	v_mov_b32_e32 v13, 0
	v_lshlrev_b64 v[12:13], 1, v[12:13]
	v_add_co_u32_e32 v12, vcc, v7, v12
	v_addc_co_u32_e32 v13, vcc, v9, v13, vcc
	global_store_short_d16_hi v[12:13], v16, off
.LBB690_164:
	s_or_b64 exec, exec, s[40:41]
	s_mov_b64 s[40:41], 0
.LBB690_165:
	s_and_b64 vcc, exec, s[40:41]
	s_cbranch_vccz .LBB690_187
; %bb.166:
	v_cmp_gt_i16_e32 vcc, 2, v10
	s_and_saveexec_b64 s[34:35], vcc
	s_cbranch_execz .LBB690_171
; %bb.167:
	v_cmp_ne_u16_e32 vcc, 1, v10
	s_mov_b64 s[42:43], 0
	s_and_saveexec_b64 s[40:41], vcc
	s_xor_b64 s[40:41], exec, s[40:41]
	s_cbranch_execnz .LBB690_271
; %bb.168:
	s_andn2_saveexec_b64 s[2:3], s[40:41]
	s_cbranch_execnz .LBB690_287
.LBB690_169:
	s_or_b64 exec, exec, s[2:3]
	s_and_b64 exec, exec, s[42:43]
	s_cbranch_execz .LBB690_171
.LBB690_170:
	v_sub_u32_e32 v1, v34, v8
	v_lshlrev_b32_e32 v1, 1, v1
	ds_write_b16_d16_hi v1, v16
.LBB690_171:
	s_or_b64 exec, exec, s[34:35]
	v_cmp_lt_u32_e32 vcc, v0, v6
	s_waitcnt lgkmcnt(0)
	s_barrier
	s_and_saveexec_b64 s[4:5], vcc
	s_cbranch_execz .LBB690_186
; %bb.172:
	v_xad_u32 v1, v0, -1, v6
	s_movk_i32 s2, 0x1700
	v_cmp_gt_u32_e64 s[6:7], s2, v1
	s_movk_i32 s2, 0x16ff
	v_cmp_lt_u32_e32 vcc, s2, v1
	v_mov_b32_e32 v2, v0
	s_and_saveexec_b64 s[8:9], vcc
	s_cbranch_execz .LBB690_183
; %bb.173:
	v_sub_u32_e32 v2, v0, v6
	v_or_b32_e32 v2, 0xff, v2
	v_cmp_ge_u32_e32 vcc, v2, v0
	s_mov_b64 s[2:3], -1
	v_mov_b32_e32 v2, v0
	s_and_saveexec_b64 s[10:11], vcc
	s_cbranch_execz .LBB690_182
; %bb.174:
	v_lshrrev_b32_e32 v14, 8, v1
	v_or_b32_e32 v3, 0x300, v0
	v_or_b32_e32 v2, 0x200, v0
	v_add_u32_e32 v4, -3, v14
	v_or_b32_e32 v1, 0x100, v0
	v_lshrrev_b32_e32 v5, 2, v4
	v_pk_mov_b32 v[12:13], v[2:3], v[2:3] op_sel:[0,1]
	v_add_u32_e32 v15, 1, v5
	v_cmp_lt_u32_e32 vcc, 11, v4
	v_mov_b32_e32 v70, 0
	v_pk_mov_b32 v[10:11], v[0:1], v[0:1] op_sel:[0,1]
	s_and_saveexec_b64 s[12:13], vcc
	s_cbranch_execz .LBB690_178
; %bb.175:
	v_pk_mov_b32 v[12:13], v[2:3], v[2:3] op_sel:[0,1]
	v_and_b32_e32 v16, 0x7ffffffc, v15
	v_lshlrev_b32_e32 v69, 1, v0
	s_mov_b32 s16, 0
	s_mov_b64 s[14:15], 0
	v_mov_b32_e32 v5, 0
	v_pk_mov_b32 v[10:11], v[0:1], v[0:1] op_sel:[0,1]
.LBB690_176:                            ; =>This Inner Loop Header: Depth=1
	v_mov_b32_e32 v4, v10
	v_lshlrev_b64 v[86:87], 1, v[4:5]
	v_add_u32_e32 v72, 0x400, v11
	v_mov_b32_e32 v73, v5
	v_add_co_u32_e64 v86, s[2:3], v7, v86
	v_lshlrev_b64 v[72:73], 1, v[72:73]
	v_addc_co_u32_e64 v87, s[2:3], v9, v87, s[2:3]
	v_add_u32_e32 v70, 0x400, v12
	v_mov_b32_e32 v71, v5
	v_add_co_u32_e64 v72, s[2:3], v7, v72
	v_lshlrev_b64 v[88:89], 1, v[70:71]
	v_addc_co_u32_e64 v73, s[2:3], v9, v73, s[2:3]
	v_add_u32_e32 v2, 0x400, v13
	v_mov_b32_e32 v3, v5
	v_add_co_u32_e64 v88, s[2:3], v7, v88
	v_add_u32_e32 v16, -4, v16
	v_mov_b32_e32 v4, v11
	v_lshlrev_b64 v[2:3], 1, v[2:3]
	v_addc_co_u32_e64 v89, s[2:3], v9, v89, s[2:3]
	v_add_u32_e32 v78, 0x800, v11
	v_mov_b32_e32 v79, v5
	s_add_i32 s16, s16, 16
	v_cmp_eq_u32_e32 vcc, 0, v16
	v_lshlrev_b64 v[90:91], 1, v[4:5]
	v_add_co_u32_e64 v2, s[2:3], v7, v2
	v_lshlrev_b64 v[78:79], 1, v[78:79]
	v_mov_b32_e32 v4, v12
	v_addc_co_u32_e64 v3, s[2:3], v9, v3, s[2:3]
	s_or_b64 s[14:15], vcc, s[14:15]
	v_add_co_u32_e32 v90, vcc, v7, v90
	v_add_u32_e32 v76, 0x800, v12
	v_mov_b32_e32 v77, v5
	v_add_co_u32_e64 v78, s[2:3], v7, v78
	v_addc_co_u32_e32 v91, vcc, v9, v91, vcc
	v_lshlrev_b64 v[92:93], 1, v[4:5]
	v_lshlrev_b64 v[76:77], 1, v[76:77]
	v_addc_co_u32_e64 v79, s[2:3], v9, v79, s[2:3]
	v_mov_b32_e32 v4, v13
	v_add_co_u32_e32 v92, vcc, v7, v92
	ds_read_u16 v1, v69
	ds_read_u16 v96, v69 offset:512
	ds_read_u16 v97, v69 offset:1024
	;; [unrolled: 1-line block ×7, first 2 shown]
	v_add_u32_e32 v74, 0x800, v13
	v_mov_b32_e32 v75, v5
	v_add_co_u32_e64 v76, s[2:3], v7, v76
	v_addc_co_u32_e32 v93, vcc, v9, v93, vcc
	v_lshlrev_b64 v[94:95], 1, v[4:5]
	v_lshlrev_b64 v[74:75], 1, v[74:75]
	v_addc_co_u32_e64 v77, s[2:3], v9, v77, s[2:3]
	v_add_u32_e32 v4, 0x400, v10
	v_add_co_u32_e32 v94, vcc, v7, v94
	v_add_u32_e32 v84, 0xc00, v11
	v_mov_b32_e32 v85, v5
	ds_read_u16 v103, v69 offset:4096
	ds_read_u16 v104, v69 offset:4608
	ds_read_u16 v105, v69 offset:5120
	ds_read_u16 v106, v69 offset:5632
	ds_read_u16 v107, v69 offset:6144
	ds_read_u16 v108, v69 offset:6656
	ds_read_u16 v109, v69 offset:7168
	ds_read_u16 v110, v69 offset:7680
	v_add_co_u32_e64 v74, s[2:3], v7, v74
	v_addc_co_u32_e32 v95, vcc, v9, v95, vcc
	s_waitcnt lgkmcnt(14)
	global_store_short v[86:87], v1, off
	global_store_short v[90:91], v96, off
	s_waitcnt lgkmcnt(13)
	global_store_short v[92:93], v97, off
	v_lshlrev_b64 v[86:87], 1, v[4:5]
	v_lshlrev_b64 v[84:85], 1, v[84:85]
	v_addc_co_u32_e64 v75, s[2:3], v9, v75, s[2:3]
	v_add_u32_e32 v4, 0x800, v10
	v_add_co_u32_e32 v86, vcc, v7, v86
	v_add_u32_e32 v82, 0xc00, v12
	v_mov_b32_e32 v83, v5
	v_add_co_u32_e64 v84, s[2:3], v7, v84
	v_addc_co_u32_e32 v87, vcc, v9, v87, vcc
	v_lshlrev_b64 v[90:91], 1, v[4:5]
	v_lshlrev_b64 v[82:83], 1, v[82:83]
	v_addc_co_u32_e64 v85, s[2:3], v9, v85, s[2:3]
	s_waitcnt lgkmcnt(12)
	global_store_short v[94:95], v98, off
	v_add_u32_e32 v4, 0xc00, v10
	s_waitcnt lgkmcnt(11)
	global_store_short v[86:87], v99, off
	s_waitcnt lgkmcnt(10)
	global_store_short v[72:73], v100, off
	;; [unrolled: 2-line block ×4, first 2 shown]
	v_add_co_u32_e32 v2, vcc, v7, v90
	v_add_u32_e32 v80, 0xc00, v13
	v_mov_b32_e32 v81, v5
	v_add_co_u32_e64 v82, s[2:3], v7, v82
	v_addc_co_u32_e32 v3, vcc, v9, v91, vcc
	v_lshlrev_b64 v[72:73], 1, v[4:5]
	v_lshlrev_b64 v[80:81], 1, v[80:81]
	v_addc_co_u32_e64 v83, s[2:3], v9, v83, s[2:3]
	s_waitcnt lgkmcnt(7)
	global_store_short v[2:3], v103, off
	s_waitcnt lgkmcnt(6)
	global_store_short v[78:79], v104, off
	;; [unrolled: 2-line block ×4, first 2 shown]
	v_add_co_u32_e32 v2, vcc, v7, v72
	v_add_u32_e32 v69, 0x2000, v69
	v_add_u32_e32 v11, 0x1000, v11
	v_mov_b32_e32 v70, s16
	v_add_co_u32_e64 v80, s[2:3], v7, v80
	v_add_u32_e32 v12, 0x1000, v12
	v_add_u32_e32 v13, 0x1000, v13
	;; [unrolled: 1-line block ×3, first 2 shown]
	v_addc_co_u32_e32 v3, vcc, v9, v73, vcc
	v_addc_co_u32_e64 v81, s[2:3], v9, v81, s[2:3]
	s_waitcnt lgkmcnt(3)
	global_store_short v[2:3], v107, off
	s_waitcnt lgkmcnt(2)
	global_store_short v[84:85], v108, off
	;; [unrolled: 2-line block ×4, first 2 shown]
	s_andn2_b64 exec, exec, s[14:15]
	s_cbranch_execnz .LBB690_176
; %bb.177:
	s_or_b64 exec, exec, s[14:15]
.LBB690_178:
	s_or_b64 exec, exec, s[12:13]
	v_and_b32_e32 v1, 3, v15
	v_cmp_ne_u32_e32 vcc, 0, v1
	s_and_saveexec_b64 s[12:13], vcc
	s_cbranch_execz .LBB690_181
; %bb.179:
	v_lshlrev_b32_e32 v2, 1, v0
	v_lshl_or_b32 v4, v70, 9, v2
	s_mov_b64 s[14:15], 0
	v_mov_b32_e32 v3, 0
.LBB690_180:                            ; =>This Inner Loop Header: Depth=1
	v_mov_b32_e32 v2, v10
	v_add_u32_e32 v1, -1, v1
	v_lshlrev_b64 v[70:71], 1, v[2:3]
	v_mov_b32_e32 v2, v11
	v_cmp_eq_u32_e32 vcc, 0, v1
	v_lshlrev_b64 v[72:73], 1, v[2:3]
	ds_read_u16 v5, v4
	ds_read_u16 v15, v4 offset:512
	ds_read_u16 v16, v4 offset:1024
	;; [unrolled: 1-line block ×3, first 2 shown]
	v_mov_b32_e32 v2, v12
	s_or_b64 s[14:15], vcc, s[14:15]
	v_add_co_u32_e32 v72, vcc, v7, v72
	v_addc_co_u32_e32 v73, vcc, v9, v73, vcc
	v_lshlrev_b64 v[74:75], 1, v[2:3]
	v_mov_b32_e32 v2, v13
	v_add_co_u32_e32 v74, vcc, v7, v74
	v_add_co_u32_e64 v70, s[2:3], v7, v70
	v_addc_co_u32_e32 v75, vcc, v9, v75, vcc
	v_lshlrev_b64 v[76:77], 1, v[2:3]
	v_add_u32_e32 v10, 0x400, v10
	v_add_u32_e32 v4, 0x800, v4
	;; [unrolled: 1-line block ×3, first 2 shown]
	v_addc_co_u32_e64 v71, s[2:3], v9, v71, s[2:3]
	v_add_u32_e32 v12, 0x400, v12
	v_add_u32_e32 v13, 0x400, v13
	v_add_co_u32_e32 v76, vcc, v7, v76
	v_addc_co_u32_e32 v77, vcc, v9, v77, vcc
	s_waitcnt lgkmcnt(3)
	global_store_short v[70:71], v5, off
	s_waitcnt lgkmcnt(2)
	global_store_short v[72:73], v15, off
	;; [unrolled: 2-line block ×4, first 2 shown]
	s_andn2_b64 exec, exec, s[14:15]
	s_cbranch_execnz .LBB690_180
.LBB690_181:
	s_or_b64 exec, exec, s[12:13]
	v_add_u32_e32 v1, 1, v14
	v_and_b32_e32 v3, 0x1fffffc, v1
	v_cmp_ne_u32_e32 vcc, v1, v3
	v_lshl_or_b32 v2, v3, 8, v0
	s_orn2_b64 s[2:3], vcc, exec
.LBB690_182:
	s_or_b64 exec, exec, s[10:11]
	s_andn2_b64 s[6:7], s[6:7], exec
	s_and_b64 s[2:3], s[2:3], exec
	s_or_b64 s[6:7], s[6:7], s[2:3]
.LBB690_183:
	s_or_b64 exec, exec, s[8:9]
	s_and_b64 exec, exec, s[6:7]
	s_cbranch_execz .LBB690_186
; %bb.184:
	v_lshlrev_b32_e32 v1, 1, v2
	s_mov_b64 s[2:3], 0
	v_mov_b32_e32 v3, 0
.LBB690_185:                            ; =>This Inner Loop Header: Depth=1
	v_lshlrev_b64 v[4:5], 1, v[2:3]
	ds_read_u16 v10, v1
	v_add_co_u32_e32 v4, vcc, v7, v4
	v_add_u32_e32 v2, 0x100, v2
	v_addc_co_u32_e32 v5, vcc, v9, v5, vcc
	v_cmp_ge_u32_e32 vcc, v2, v6
	v_add_u32_e32 v1, 0x200, v1
	s_or_b64 s[2:3], vcc, s[2:3]
	s_waitcnt lgkmcnt(0)
	global_store_short v[4:5], v10, off
	s_andn2_b64 exec, exec, s[2:3]
	s_cbranch_execnz .LBB690_185
.LBB690_186:
	s_or_b64 exec, exec, s[4:5]
.LBB690_187:
	s_cmpk_lg_i32 s33, 0xf00
	s_cselect_b64 s[2:3], -1, 0
	v_cndmask_b32_e64 v1, 0, 1, s[38:39]
	s_and_b64 s[2:3], s[2:3], s[36:37]
	v_sub_u32_e32 v3, v6, v1
	v_cndmask_b32_e64 v2, 0, 1, s[2:3]
	s_and_b64 s[0:1], s[0:1], s[38:39]
	v_add_u32_e32 v7, v3, v2
	v_cndmask_b32_e64 v3, v30, 0, s[0:1]
	s_mul_hi_u32 s0, s33, 0x88888889
	s_lshr_b32 s0, s0, 3
	v_mad_i32_i24 v4, v0, -15, s33
	v_cmp_eq_u32_e32 vcc, s0, v0
	v_cmp_ne_u32_e64 s[0:1], 0, v4
	v_cndmask_b32_e64 v5, 1, v3, s[0:1]
	v_cmp_ne_u32_e64 s[0:1], 1, v4
	v_cndmask_b32_e64 v9, 1, v31, s[0:1]
	;; [unrolled: 2-line block ×15, first 2 shown]
	s_and_b64 vcc, vcc, s[36:37]
	v_cndmask_b32_e32 v4, v17, v4, vcc
	v_cndmask_b32_e32 v17, v25, v72, vcc
	;; [unrolled: 1-line block ×15, first 2 shown]
	v_mov_b32_e32 v3, s53
	v_add_co_u32_e32 v9, vcc, s52, v64
	v_addc_co_u32_e32 v3, vcc, v3, v65, vcc
	v_add_co_u32_e32 v9, vcc, v9, v66
	v_addc_co_u32_e32 v14, vcc, v3, v67, vcc
	v_lshlrev_b32_e32 v3, 1, v1
	v_add_co_u32_e32 v3, vcc, v3, v9
	v_addc_co_u32_e32 v16, vcc, 0, v14, vcc
	v_add_co_u32_e32 v15, vcc, -2, v3
	v_addc_co_u32_e32 v16, vcc, -1, v16, vcc
	v_cmp_eq_u32_e32 vcc, 0, v5
	v_cmp_ne_u32_e64 s[28:29], 0, v5
	v_cndmask_b32_e64 v5, 1, 2, vcc
	v_cmp_eq_u32_e32 vcc, 0, v26
	v_cmp_ne_u32_e64 s[26:27], 0, v26
	v_cndmask_b32_e64 v26, 1, 2, vcc
	v_cmp_eq_u32_e32 vcc, 0, v10
	v_and_b32_e32 v5, v26, v5
	v_cmp_ne_u32_e64 s[24:25], 0, v10
	v_cndmask_b32_e64 v10, 1, 2, vcc
	v_cmp_eq_u32_e32 vcc, 0, v11
	v_and_b32_e32 v5, v5, v10
	v_cndmask_b32_e64 v10, 1, 2, vcc
	v_cmp_eq_u32_e32 vcc, 0, v12
	v_and_b32_e32 v5, v5, v10
	;; [unrolled: 3-line block ×12, first 2 shown]
	v_cmp_ne_u32_e64 s[0:1], 0, v4
	v_cndmask_b32_e64 v4, 1, 2, vcc
	s_movk_i32 s30, 0x100
	v_and_b32_e32 v4, v5, v4
	v_cmp_gt_u32_e32 vcc, s30, v7
	v_add_u32_e32 v3, v8, v1
	v_cmp_ne_u32_e64 s[22:23], 0, v11
	v_cmp_ne_u32_e64 s[20:21], 0, v12
	;; [unrolled: 1-line block ×11, first 2 shown]
	s_mov_b64 s[34:35], -1
	v_cmp_gt_i16_e64 s[30:31], 2, v4
	s_barrier
	s_cbranch_vccz .LBB690_194
; %bb.188:
	s_and_saveexec_b64 s[34:35], s[30:31]
	s_cbranch_execz .LBB690_193
; %bb.189:
	v_cmp_ne_u16_e32 vcc, 1, v4
	s_mov_b64 s[38:39], 0
	s_and_saveexec_b64 s[30:31], vcc
	s_xor_b64 s[30:31], exec, s[30:31]
	s_cbranch_execnz .LBB690_288
; %bb.190:
	s_andn2_saveexec_b64 s[30:31], s[30:31]
	s_cbranch_execnz .LBB690_304
.LBB690_191:
	s_or_b64 exec, exec, s[30:31]
	s_and_b64 exec, exec, s[38:39]
	s_cbranch_execz .LBB690_193
.LBB690_192:
	v_sub_u32_e32 v10, v34, v3
	v_mov_b32_e32 v11, 0
	v_lshlrev_b64 v[10:11], 1, v[10:11]
	v_add_co_u32_e32 v10, vcc, v15, v10
	v_addc_co_u32_e32 v11, vcc, v16, v11, vcc
	global_store_short v[10:11], v35, off
.LBB690_193:
	s_or_b64 exec, exec, s[34:35]
	s_mov_b64 s[34:35], 0
.LBB690_194:
	s_and_b64 vcc, exec, s[34:35]
	s_cbranch_vccz .LBB690_216
; %bb.195:
	v_cmp_gt_i16_e32 vcc, 2, v4
	s_and_saveexec_b64 s[30:31], vcc
	s_cbranch_execz .LBB690_200
; %bb.196:
	v_cmp_ne_u16_e32 vcc, 1, v4
	s_mov_b64 s[38:39], 0
	s_and_saveexec_b64 s[34:35], vcc
	s_xor_b64 s[34:35], exec, s[34:35]
	s_cbranch_execnz .LBB690_305
; %bb.197:
	s_andn2_saveexec_b64 s[0:1], s[34:35]
	s_cbranch_execnz .LBB690_321
.LBB690_198:
	s_or_b64 exec, exec, s[0:1]
	s_and_b64 exec, exec, s[38:39]
	s_cbranch_execz .LBB690_200
.LBB690_199:
	v_sub_u32_e32 v3, v34, v3
	v_lshlrev_b32_e32 v3, 1, v3
	ds_write_b16 v3, v35
.LBB690_200:
	s_or_b64 exec, exec, s[30:31]
	v_cmp_lt_u32_e32 vcc, v0, v7
	s_waitcnt lgkmcnt(0)
	s_barrier
	s_and_saveexec_b64 s[2:3], vcc
	s_cbranch_execz .LBB690_215
; %bb.201:
	v_add_u32_e32 v4, v6, v2
	v_xad_u32 v2, v0, -1, v4
	v_sub_u32_e32 v3, v2, v1
	s_movk_i32 s0, 0x1b00
	v_cmp_gt_u32_e64 s[4:5], s0, v3
	s_movk_i32 s0, 0x1aff
	v_cmp_lt_u32_e32 vcc, s0, v3
	v_mov_b32_e32 v2, v0
	s_and_saveexec_b64 s[6:7], vcc
	s_cbranch_execz .LBB690_212
; %bb.202:
	v_sub_u32_e32 v2, v0, v4
	v_add_u32_e32 v1, v2, v1
	v_or_b32_e32 v1, 0xff, v1
	v_cmp_ge_u32_e32 vcc, v1, v0
	s_mov_b64 s[0:1], -1
	v_mov_b32_e32 v2, v0
	s_and_saveexec_b64 s[8:9], vcc
	s_cbranch_execz .LBB690_211
; %bb.203:
	v_lshrrev_b32_e32 v17, 8, v3
	v_or_b32_e32 v3, 0x300, v0
	v_or_b32_e32 v2, 0x200, v0
	v_add_u32_e32 v4, -3, v17
	v_or_b32_e32 v1, 0x100, v0
	v_lshrrev_b32_e32 v5, 2, v4
	v_pk_mov_b32 v[12:13], v[2:3], v[2:3] op_sel:[0,1]
	v_add_u32_e32 v19, 1, v5
	v_cmp_lt_u32_e32 vcc, 11, v4
	v_mov_b32_e32 v22, 0
	v_lshlrev_b32_e32 v18, 1, v0
	v_pk_mov_b32 v[10:11], v[0:1], v[0:1] op_sel:[0,1]
	s_and_saveexec_b64 s[10:11], vcc
	s_cbranch_execz .LBB690_207
; %bb.204:
	v_pk_mov_b32 v[12:13], v[2:3], v[2:3] op_sel:[0,1]
	v_and_b32_e32 v20, 0x7ffffffc, v19
	s_mov_b32 s14, 0
	s_mov_b64 s[12:13], 0
	v_mov_b32_e32 v5, 0
	v_mov_b32_e32 v21, v18
	v_pk_mov_b32 v[10:11], v[0:1], v[0:1] op_sel:[0,1]
.LBB690_205:                            ; =>This Inner Loop Header: Depth=1
	v_mov_b32_e32 v4, v10
	v_lshlrev_b64 v[42:43], 1, v[4:5]
	v_add_u32_e32 v26, 0x400, v11
	v_mov_b32_e32 v27, v5
	v_add_co_u32_e64 v42, s[0:1], v15, v42
	v_lshlrev_b64 v[26:27], 1, v[26:27]
	v_addc_co_u32_e64 v43, s[0:1], v16, v43, s[0:1]
	v_add_u32_e32 v22, 0x400, v12
	v_mov_b32_e32 v23, v5
	v_add_co_u32_e64 v26, s[0:1], v15, v26
	v_lshlrev_b64 v[44:45], 1, v[22:23]
	v_addc_co_u32_e64 v27, s[0:1], v16, v27, s[0:1]
	v_add_u32_e32 v2, 0x400, v13
	v_mov_b32_e32 v3, v5
	v_add_co_u32_e64 v44, s[0:1], v15, v44
	v_add_u32_e32 v20, -4, v20
	v_mov_b32_e32 v4, v11
	v_lshlrev_b64 v[2:3], 1, v[2:3]
	v_addc_co_u32_e64 v45, s[0:1], v16, v45, s[0:1]
	v_add_u32_e32 v34, 0x800, v11
	v_mov_b32_e32 v35, v5
	s_add_i32 s14, s14, 16
	v_cmp_eq_u32_e32 vcc, 0, v20
	v_lshlrev_b64 v[46:47], 1, v[4:5]
	v_add_co_u32_e64 v2, s[0:1], v15, v2
	v_lshlrev_b64 v[34:35], 1, v[34:35]
	v_mov_b32_e32 v4, v12
	v_addc_co_u32_e64 v3, s[0:1], v16, v3, s[0:1]
	s_or_b64 s[12:13], vcc, s[12:13]
	v_add_co_u32_e32 v46, vcc, v15, v46
	v_add_u32_e32 v30, 0x800, v12
	v_mov_b32_e32 v31, v5
	v_add_co_u32_e64 v34, s[0:1], v15, v34
	v_addc_co_u32_e32 v47, vcc, v16, v47, vcc
	v_lshlrev_b64 v[48:49], 1, v[4:5]
	v_lshlrev_b64 v[30:31], 1, v[30:31]
	v_addc_co_u32_e64 v35, s[0:1], v16, v35, s[0:1]
	v_mov_b32_e32 v4, v13
	v_add_co_u32_e32 v48, vcc, v15, v48
	ds_read_u16 v1, v21
	ds_read_u16 v25, v21 offset:512
	ds_read_u16 v52, v21 offset:1024
	;; [unrolled: 1-line block ×7, first 2 shown]
	v_add_u32_e32 v28, 0x800, v13
	v_mov_b32_e32 v29, v5
	v_add_co_u32_e64 v30, s[0:1], v15, v30
	v_addc_co_u32_e32 v49, vcc, v16, v49, vcc
	v_lshlrev_b64 v[50:51], 1, v[4:5]
	v_lshlrev_b64 v[28:29], 1, v[28:29]
	v_addc_co_u32_e64 v31, s[0:1], v16, v31, s[0:1]
	v_add_u32_e32 v4, 0x400, v10
	v_add_co_u32_e32 v50, vcc, v15, v50
	v_add_u32_e32 v40, 0xc00, v11
	v_mov_b32_e32 v41, v5
	ds_read_u16 v58, v21 offset:4096
	ds_read_u16 v59, v21 offset:4608
	ds_read_u16 v60, v21 offset:5120
	ds_read_u16 v61, v21 offset:5632
	ds_read_u16 v62, v21 offset:6144
	ds_read_u16 v63, v21 offset:6656
	ds_read_u16 v64, v21 offset:7168
	ds_read_u16 v65, v21 offset:7680
	v_add_co_u32_e64 v28, s[0:1], v15, v28
	v_addc_co_u32_e32 v51, vcc, v16, v51, vcc
	s_waitcnt lgkmcnt(14)
	global_store_short v[42:43], v1, off
	global_store_short v[46:47], v25, off
	s_waitcnt lgkmcnt(13)
	global_store_short v[48:49], v52, off
	v_lshlrev_b64 v[42:43], 1, v[4:5]
	v_lshlrev_b64 v[40:41], 1, v[40:41]
	v_addc_co_u32_e64 v29, s[0:1], v16, v29, s[0:1]
	v_add_u32_e32 v4, 0x800, v10
	v_add_co_u32_e32 v42, vcc, v15, v42
	v_add_u32_e32 v38, 0xc00, v12
	v_mov_b32_e32 v39, v5
	v_add_co_u32_e64 v40, s[0:1], v15, v40
	v_addc_co_u32_e32 v43, vcc, v16, v43, vcc
	v_lshlrev_b64 v[46:47], 1, v[4:5]
	v_lshlrev_b64 v[38:39], 1, v[38:39]
	v_addc_co_u32_e64 v41, s[0:1], v16, v41, s[0:1]
	s_waitcnt lgkmcnt(12)
	global_store_short v[50:51], v53, off
	v_add_u32_e32 v4, 0xc00, v10
	s_waitcnt lgkmcnt(11)
	global_store_short v[42:43], v54, off
	s_waitcnt lgkmcnt(10)
	global_store_short v[26:27], v55, off
	;; [unrolled: 2-line block ×4, first 2 shown]
	v_add_co_u32_e32 v2, vcc, v15, v46
	v_add_u32_e32 v36, 0xc00, v13
	v_mov_b32_e32 v37, v5
	v_add_co_u32_e64 v38, s[0:1], v15, v38
	v_addc_co_u32_e32 v3, vcc, v16, v47, vcc
	v_lshlrev_b64 v[26:27], 1, v[4:5]
	v_lshlrev_b64 v[36:37], 1, v[36:37]
	v_addc_co_u32_e64 v39, s[0:1], v16, v39, s[0:1]
	s_waitcnt lgkmcnt(7)
	global_store_short v[2:3], v58, off
	s_waitcnt lgkmcnt(6)
	global_store_short v[34:35], v59, off
	;; [unrolled: 2-line block ×4, first 2 shown]
	v_add_co_u32_e32 v2, vcc, v15, v26
	v_add_u32_e32 v21, 0x2000, v21
	v_add_u32_e32 v11, 0x1000, v11
	v_mov_b32_e32 v22, s14
	v_add_co_u32_e64 v36, s[0:1], v15, v36
	v_add_u32_e32 v12, 0x1000, v12
	v_add_u32_e32 v13, 0x1000, v13
	;; [unrolled: 1-line block ×3, first 2 shown]
	v_addc_co_u32_e32 v3, vcc, v16, v27, vcc
	v_addc_co_u32_e64 v37, s[0:1], v16, v37, s[0:1]
	s_waitcnt lgkmcnt(3)
	global_store_short v[2:3], v62, off
	s_waitcnt lgkmcnt(2)
	global_store_short v[40:41], v63, off
	;; [unrolled: 2-line block ×4, first 2 shown]
	s_andn2_b64 exec, exec, s[12:13]
	s_cbranch_execnz .LBB690_205
; %bb.206:
	s_or_b64 exec, exec, s[12:13]
.LBB690_207:
	s_or_b64 exec, exec, s[10:11]
	v_and_b32_e32 v1, 3, v19
	v_cmp_ne_u32_e32 vcc, 0, v1
	s_and_saveexec_b64 s[10:11], vcc
	s_cbranch_execz .LBB690_210
; %bb.208:
	v_lshl_or_b32 v4, v22, 9, v18
	s_mov_b64 s[12:13], 0
	v_mov_b32_e32 v3, 0
.LBB690_209:                            ; =>This Inner Loop Header: Depth=1
	v_mov_b32_e32 v2, v10
	v_add_u32_e32 v1, -1, v1
	v_lshlrev_b64 v[18:19], 1, v[2:3]
	v_mov_b32_e32 v2, v11
	v_cmp_eq_u32_e32 vcc, 0, v1
	v_lshlrev_b64 v[20:21], 1, v[2:3]
	ds_read_u16 v5, v4
	ds_read_u16 v25, v4 offset:512
	ds_read_u16 v28, v4 offset:1024
	;; [unrolled: 1-line block ×3, first 2 shown]
	v_mov_b32_e32 v2, v12
	s_or_b64 s[12:13], vcc, s[12:13]
	v_add_co_u32_e32 v20, vcc, v15, v20
	v_addc_co_u32_e32 v21, vcc, v16, v21, vcc
	v_lshlrev_b64 v[22:23], 1, v[2:3]
	v_mov_b32_e32 v2, v13
	v_add_co_u32_e32 v22, vcc, v15, v22
	v_add_co_u32_e64 v18, s[0:1], v15, v18
	v_addc_co_u32_e32 v23, vcc, v16, v23, vcc
	v_lshlrev_b64 v[26:27], 1, v[2:3]
	v_add_u32_e32 v10, 0x400, v10
	v_add_u32_e32 v4, 0x800, v4
	;; [unrolled: 1-line block ×3, first 2 shown]
	v_addc_co_u32_e64 v19, s[0:1], v16, v19, s[0:1]
	v_add_u32_e32 v12, 0x400, v12
	v_add_u32_e32 v13, 0x400, v13
	v_add_co_u32_e32 v26, vcc, v15, v26
	v_addc_co_u32_e32 v27, vcc, v16, v27, vcc
	s_waitcnt lgkmcnt(3)
	global_store_short v[18:19], v5, off
	s_waitcnt lgkmcnt(2)
	global_store_short v[20:21], v25, off
	;; [unrolled: 2-line block ×4, first 2 shown]
	s_andn2_b64 exec, exec, s[12:13]
	s_cbranch_execnz .LBB690_209
.LBB690_210:
	s_or_b64 exec, exec, s[10:11]
	v_add_u32_e32 v1, 1, v17
	v_and_b32_e32 v3, 0x1fffffc, v1
	v_cmp_ne_u32_e32 vcc, v1, v3
	v_lshl_or_b32 v2, v3, 8, v0
	s_orn2_b64 s[0:1], vcc, exec
.LBB690_211:
	s_or_b64 exec, exec, s[8:9]
	s_andn2_b64 s[4:5], s[4:5], exec
	s_and_b64 s[0:1], s[0:1], exec
	s_or_b64 s[4:5], s[4:5], s[0:1]
.LBB690_212:
	s_or_b64 exec, exec, s[6:7]
	s_and_b64 exec, exec, s[4:5]
	s_cbranch_execz .LBB690_215
; %bb.213:
	v_lshlrev_b32_e32 v1, 1, v2
	s_mov_b64 s[0:1], 0
	v_mov_b32_e32 v3, 0
.LBB690_214:                            ; =>This Inner Loop Header: Depth=1
	v_lshlrev_b64 v[4:5], 1, v[2:3]
	ds_read_u16 v10, v1
	v_add_co_u32_e32 v4, vcc, v15, v4
	v_add_u32_e32 v2, 0x100, v2
	v_addc_co_u32_e32 v5, vcc, v16, v5, vcc
	v_cmp_ge_u32_e32 vcc, v2, v7
	v_add_u32_e32 v1, 0x200, v1
	s_or_b64 s[0:1], vcc, s[0:1]
	s_waitcnt lgkmcnt(0)
	global_store_short v[4:5], v10, off
	s_andn2_b64 exec, exec, s[0:1]
	s_cbranch_execnz .LBB690_214
.LBB690_215:
	s_or_b64 exec, exec, s[2:3]
.LBB690_216:
	s_movk_i32 s0, 0xff
	v_cmp_eq_u32_e32 vcc, s0, v0
	s_and_b64 s[0:1], vcc, s[36:37]
	s_and_saveexec_b64 s[2:3], s[0:1]
	s_cbranch_execz .LBB690_219
; %bb.217:
	v_add_co_u32_e32 v0, vcc, v6, v8
	v_addc_co_u32_e64 v1, s[0:1], 0, 0, vcc
	v_add_co_u32_e32 v0, vcc, v0, v32
	v_mov_b32_e32 v7, 0
	v_addc_co_u32_e32 v1, vcc, v1, v33, vcc
	s_cmpk_lg_i32 s33, 0xf00
	global_store_dwordx2 v7, v[0:1], s[54:55]
	s_cbranch_scc1 .LBB690_219
; %bb.218:
	v_lshlrev_b64 v[0:1], 1, v[6:7]
	v_add_co_u32_e32 v0, vcc, v9, v0
	v_addc_co_u32_e32 v1, vcc, v14, v1, vcc
	global_store_short v[0:1], v24, off offset:-2
.LBB690_219:
	s_endpgm
.LBB690_220:
                                        ; implicit-def: $sgpr8_sgpr9
                                        ; implicit-def: $vgpr17
                                        ; implicit-def: $vgpr9
                                        ; implicit-def: $vgpr68
                                        ; implicit-def: $vgpr19
                                        ; implicit-def: $vgpr18
                                        ; implicit-def: $vgpr21
                                        ; implicit-def: $vgpr20
                                        ; implicit-def: $vgpr23
                                        ; implicit-def: $vgpr22
                                        ; implicit-def: $vgpr27
                                        ; implicit-def: $vgpr26
                                        ; implicit-def: $vgpr29
                                        ; implicit-def: $vgpr28
                                        ; implicit-def: $vgpr31
	s_cbranch_execz .LBB690_114
.LBB690_221:
	v_mov_b32_e32 v25, 0
	v_lshlrev_b32_e32 v8, 1, v0
	v_cmp_gt_u64_e32 vcc, s[6:7], v[24:25]
	v_mov_b32_e32 v17, 0
	ds_write_b16 v8, v10
	s_and_saveexec_b64 s[8:9], vcc
; %bb.222:
	s_movk_i32 s10, 0x6667
	v_mul_i32_i24_sdwa v7, sext(v16), s10 dst_sel:DWORD dst_unused:UNUSED_PAD src0_sel:WORD_0 src1_sel:DWORD
	v_lshrrev_b32_e32 v9, 31, v7
	v_ashrrev_i32_e32 v7, 18, v7
	v_add_u16_e32 v7, v7, v9
	v_mul_i32_i24_sdwa v9, sext(v10), s10 dst_sel:DWORD dst_unused:UNUSED_PAD src0_sel:WORD_0 src1_sel:DWORD
	v_lshrrev_b32_e32 v10, 31, v9
	v_ashrrev_i32_e32 v9, 18, v9
	v_add_u16_e32 v9, v9, v10
	v_cmp_ne_u16_e32 vcc, v7, v9
	v_cndmask_b32_e64 v17, 0, 1, vcc
; %bb.223:
	s_or_b64 exec, exec, s[8:9]
	v_add_u32_e32 v24, 13, v6
	v_cmp_gt_u64_e32 vcc, s[6:7], v[24:25]
	s_and_saveexec_b64 s[8:9], vcc
; %bb.224:
	s_movk_i32 s10, 0x6667
	v_mul_i32_i24_sdwa v7, sext(v15), s10 dst_sel:DWORD dst_unused:UNUSED_PAD src0_sel:WORD_1 src1_sel:DWORD
	v_lshrrev_b32_e32 v9, 31, v7
	v_ashrrev_i32_e32 v7, 18, v7
	v_add_u16_e32 v7, v7, v9
	v_mul_i32_i24_sdwa v9, sext(v16), s10 dst_sel:DWORD dst_unused:UNUSED_PAD src0_sel:WORD_0 src1_sel:DWORD
	v_lshrrev_b32_e32 v10, 31, v9
	v_ashrrev_i32_e32 v9, 18, v9
	v_add_u16_e32 v9, v9, v10
	v_cmp_ne_u16_e32 vcc, v7, v9
	v_cndmask_b32_e64 v25, 0, 1, vcc
; %bb.225:
	s_or_b64 exec, exec, s[8:9]
	v_add_u32_e32 v18, 12, v6
	v_mov_b32_e32 v19, 0
	v_cmp_gt_u64_e32 vcc, s[6:7], v[18:19]
	v_mov_b32_e32 v68, 0
	s_and_saveexec_b64 s[8:9], vcc
; %bb.226:
	s_movk_i32 s10, 0x6667
	v_mul_i32_i24_sdwa v7, sext(v15), s10 dst_sel:DWORD dst_unused:UNUSED_PAD src0_sel:WORD_0 src1_sel:DWORD
	v_lshrrev_b32_e32 v9, 31, v7
	v_ashrrev_i32_e32 v7, 18, v7
	v_add_u16_e32 v7, v7, v9
	v_mul_i32_i24_sdwa v9, sext(v15), s10 dst_sel:DWORD dst_unused:UNUSED_PAD src0_sel:WORD_1 src1_sel:DWORD
	v_lshrrev_b32_e32 v10, 31, v9
	v_ashrrev_i32_e32 v9, 18, v9
	v_add_u16_e32 v9, v9, v10
	v_cmp_ne_u16_e32 vcc, v7, v9
	v_cndmask_b32_e64 v68, 0, 1, vcc
; %bb.227:
	s_or_b64 exec, exec, s[8:9]
	v_add_u32_e32 v18, 11, v6
	v_cmp_gt_u64_e32 vcc, s[6:7], v[18:19]
	s_and_saveexec_b64 s[8:9], vcc
; %bb.228:
	s_movk_i32 s10, 0x6667
	v_mul_i32_i24_sdwa v7, sext(v14), s10 dst_sel:DWORD dst_unused:UNUSED_PAD src0_sel:WORD_1 src1_sel:DWORD
	v_lshrrev_b32_e32 v9, 31, v7
	v_ashrrev_i32_e32 v7, 18, v7
	v_add_u16_e32 v7, v7, v9
	v_mul_i32_i24_sdwa v9, sext(v15), s10 dst_sel:DWORD dst_unused:UNUSED_PAD src0_sel:WORD_0 src1_sel:DWORD
	v_lshrrev_b32_e32 v10, 31, v9
	v_ashrrev_i32_e32 v9, 18, v9
	v_add_u16_e32 v9, v9, v10
	v_cmp_ne_u16_e32 vcc, v7, v9
	v_cndmask_b32_e64 v19, 0, 1, vcc
; %bb.229:
	s_or_b64 exec, exec, s[8:9]
	v_add_u32_e32 v20, 10, v6
	v_mov_b32_e32 v21, 0
	v_cmp_gt_u64_e32 vcc, s[6:7], v[20:21]
	v_mov_b32_e32 v18, 0
	s_and_saveexec_b64 s[8:9], vcc
; %bb.230:
	s_movk_i32 s10, 0x6667
	v_mul_i32_i24_sdwa v7, sext(v14), s10 dst_sel:DWORD dst_unused:UNUSED_PAD src0_sel:WORD_0 src1_sel:DWORD
	v_lshrrev_b32_e32 v9, 31, v7
	v_ashrrev_i32_e32 v7, 18, v7
	v_add_u16_e32 v7, v7, v9
	v_mul_i32_i24_sdwa v9, sext(v14), s10 dst_sel:DWORD dst_unused:UNUSED_PAD src0_sel:WORD_1 src1_sel:DWORD
	v_lshrrev_b32_e32 v10, 31, v9
	v_ashrrev_i32_e32 v9, 18, v9
	v_add_u16_e32 v9, v9, v10
	v_cmp_ne_u16_e32 vcc, v7, v9
	v_cndmask_b32_e64 v18, 0, 1, vcc
; %bb.231:
	s_or_b64 exec, exec, s[8:9]
	v_add_u32_e32 v20, 9, v6
	v_cmp_gt_u64_e32 vcc, s[6:7], v[20:21]
	s_and_saveexec_b64 s[8:9], vcc
; %bb.232:
	s_movk_i32 s10, 0x6667
	v_mul_i32_i24_sdwa v7, sext(v5), s10 dst_sel:DWORD dst_unused:UNUSED_PAD src0_sel:WORD_1 src1_sel:DWORD
	v_lshrrev_b32_e32 v9, 31, v7
	v_ashrrev_i32_e32 v7, 18, v7
	v_add_u16_e32 v7, v7, v9
	v_mul_i32_i24_sdwa v9, sext(v14), s10 dst_sel:DWORD dst_unused:UNUSED_PAD src0_sel:WORD_0 src1_sel:DWORD
	v_lshrrev_b32_e32 v10, 31, v9
	v_ashrrev_i32_e32 v9, 18, v9
	v_add_u16_e32 v9, v9, v10
	v_cmp_ne_u16_e32 vcc, v7, v9
	v_cndmask_b32_e64 v21, 0, 1, vcc
; %bb.233:
	s_or_b64 exec, exec, s[8:9]
	v_add_u32_e32 v22, 8, v6
	v_mov_b32_e32 v23, 0
	v_cmp_gt_u64_e32 vcc, s[6:7], v[22:23]
	v_mov_b32_e32 v20, 0
	s_and_saveexec_b64 s[8:9], vcc
; %bb.234:
	s_movk_i32 s10, 0x6667
	v_mul_i32_i24_sdwa v7, sext(v5), s10 dst_sel:DWORD dst_unused:UNUSED_PAD src0_sel:WORD_0 src1_sel:DWORD
	v_lshrrev_b32_e32 v9, 31, v7
	v_ashrrev_i32_e32 v7, 18, v7
	v_add_u16_e32 v7, v7, v9
	v_mul_i32_i24_sdwa v9, sext(v5), s10 dst_sel:DWORD dst_unused:UNUSED_PAD src0_sel:WORD_1 src1_sel:DWORD
	v_lshrrev_b32_e32 v10, 31, v9
	v_ashrrev_i32_e32 v9, 18, v9
	v_add_u16_e32 v9, v9, v10
	v_cmp_ne_u16_e32 vcc, v7, v9
	v_cndmask_b32_e64 v20, 0, 1, vcc
; %bb.235:
	s_or_b64 exec, exec, s[8:9]
	v_add_u32_e32 v22, 7, v6
	v_cmp_gt_u64_e32 vcc, s[6:7], v[22:23]
	s_and_saveexec_b64 s[8:9], vcc
; %bb.236:
	s_movk_i32 s10, 0x6667
	v_mul_i32_i24_sdwa v7, sext(v4), s10 dst_sel:DWORD dst_unused:UNUSED_PAD src0_sel:WORD_1 src1_sel:DWORD
	v_lshrrev_b32_e32 v9, 31, v7
	v_ashrrev_i32_e32 v7, 18, v7
	v_add_u16_e32 v7, v7, v9
	v_mul_i32_i24_sdwa v9, sext(v5), s10 dst_sel:DWORD dst_unused:UNUSED_PAD src0_sel:WORD_0 src1_sel:DWORD
	v_lshrrev_b32_e32 v10, 31, v9
	v_ashrrev_i32_e32 v9, 18, v9
	v_add_u16_e32 v9, v9, v10
	v_cmp_ne_u16_e32 vcc, v7, v9
	v_cndmask_b32_e64 v23, 0, 1, vcc
; %bb.237:
	s_or_b64 exec, exec, s[8:9]
	v_add_u32_e32 v26, 6, v6
	v_mov_b32_e32 v27, 0
	v_cmp_gt_u64_e32 vcc, s[6:7], v[26:27]
	v_mov_b32_e32 v22, 0
	s_and_saveexec_b64 s[8:9], vcc
; %bb.238:
	s_movk_i32 s10, 0x6667
	v_mul_i32_i24_sdwa v7, sext(v4), s10 dst_sel:DWORD dst_unused:UNUSED_PAD src0_sel:WORD_0 src1_sel:DWORD
	v_lshrrev_b32_e32 v9, 31, v7
	v_ashrrev_i32_e32 v7, 18, v7
	v_add_u16_e32 v7, v7, v9
	v_mul_i32_i24_sdwa v9, sext(v4), s10 dst_sel:DWORD dst_unused:UNUSED_PAD src0_sel:WORD_1 src1_sel:DWORD
	v_lshrrev_b32_e32 v10, 31, v9
	v_ashrrev_i32_e32 v9, 18, v9
	v_add_u16_e32 v9, v9, v10
	v_cmp_ne_u16_e32 vcc, v7, v9
	v_cndmask_b32_e64 v22, 0, 1, vcc
; %bb.239:
	s_or_b64 exec, exec, s[8:9]
	v_add_u32_e32 v26, 5, v6
	v_cmp_gt_u64_e32 vcc, s[6:7], v[26:27]
	s_and_saveexec_b64 s[8:9], vcc
; %bb.240:
	s_movk_i32 s10, 0x6667
	v_mul_i32_i24_sdwa v7, sext(v3), s10 dst_sel:DWORD dst_unused:UNUSED_PAD src0_sel:WORD_1 src1_sel:DWORD
	v_lshrrev_b32_e32 v9, 31, v7
	v_ashrrev_i32_e32 v7, 18, v7
	v_add_u16_e32 v7, v7, v9
	v_mul_i32_i24_sdwa v9, sext(v4), s10 dst_sel:DWORD dst_unused:UNUSED_PAD src0_sel:WORD_0 src1_sel:DWORD
	v_lshrrev_b32_e32 v10, 31, v9
	v_ashrrev_i32_e32 v9, 18, v9
	v_add_u16_e32 v9, v9, v10
	v_cmp_ne_u16_e32 vcc, v7, v9
	v_cndmask_b32_e64 v27, 0, 1, vcc
; %bb.241:
	s_or_b64 exec, exec, s[8:9]
	v_add_u32_e32 v28, 4, v6
	v_mov_b32_e32 v29, 0
	v_cmp_gt_u64_e32 vcc, s[6:7], v[28:29]
	v_mov_b32_e32 v26, 0
	s_and_saveexec_b64 s[8:9], vcc
; %bb.242:
	s_movk_i32 s10, 0x6667
	v_mul_i32_i24_sdwa v7, sext(v3), s10 dst_sel:DWORD dst_unused:UNUSED_PAD src0_sel:WORD_0 src1_sel:DWORD
	v_lshrrev_b32_e32 v9, 31, v7
	v_ashrrev_i32_e32 v7, 18, v7
	v_add_u16_e32 v7, v7, v9
	v_mul_i32_i24_sdwa v9, sext(v3), s10 dst_sel:DWORD dst_unused:UNUSED_PAD src0_sel:WORD_1 src1_sel:DWORD
	v_lshrrev_b32_e32 v10, 31, v9
	v_ashrrev_i32_e32 v9, 18, v9
	v_add_u16_e32 v9, v9, v10
	v_cmp_ne_u16_e32 vcc, v7, v9
	v_cndmask_b32_e64 v26, 0, 1, vcc
; %bb.243:
	s_or_b64 exec, exec, s[8:9]
	v_add_u32_e32 v28, 3, v6
	v_cmp_gt_u64_e32 vcc, s[6:7], v[28:29]
	s_and_saveexec_b64 s[8:9], vcc
; %bb.244:
	s_movk_i32 s10, 0x6667
	v_mul_i32_i24_sdwa v7, sext(v2), s10 dst_sel:DWORD dst_unused:UNUSED_PAD src0_sel:WORD_1 src1_sel:DWORD
	v_lshrrev_b32_e32 v9, 31, v7
	v_ashrrev_i32_e32 v7, 18, v7
	v_add_u16_e32 v7, v7, v9
	v_mul_i32_i24_sdwa v9, sext(v3), s10 dst_sel:DWORD dst_unused:UNUSED_PAD src0_sel:WORD_0 src1_sel:DWORD
	v_lshrrev_b32_e32 v10, 31, v9
	v_ashrrev_i32_e32 v9, 18, v9
	v_add_u16_e32 v9, v9, v10
	v_cmp_ne_u16_e32 vcc, v7, v9
	v_cndmask_b32_e64 v29, 0, 1, vcc
; %bb.245:
	s_or_b64 exec, exec, s[8:9]
	v_add_u32_e32 v30, 2, v6
	v_mov_b32_e32 v31, 0
	v_cmp_gt_u64_e32 vcc, s[6:7], v[30:31]
	v_mov_b32_e32 v28, 0
	s_and_saveexec_b64 s[8:9], vcc
; %bb.246:
	s_movk_i32 s10, 0x6667
	v_mul_i32_i24_sdwa v7, sext(v2), s10 dst_sel:DWORD dst_unused:UNUSED_PAD src0_sel:WORD_0 src1_sel:DWORD
	v_lshrrev_b32_e32 v9, 31, v7
	v_ashrrev_i32_e32 v7, 18, v7
	v_add_u16_e32 v7, v7, v9
	v_mul_i32_i24_sdwa v9, sext(v2), s10 dst_sel:DWORD dst_unused:UNUSED_PAD src0_sel:WORD_1 src1_sel:DWORD
	v_lshrrev_b32_e32 v10, 31, v9
	v_ashrrev_i32_e32 v9, 18, v9
	v_add_u16_e32 v9, v9, v10
	v_cmp_ne_u16_e32 vcc, v7, v9
	v_cndmask_b32_e64 v28, 0, 1, vcc
; %bb.247:
	s_or_b64 exec, exec, s[8:9]
	v_add_u32_e32 v30, 1, v6
	v_cmp_gt_u64_e32 vcc, s[6:7], v[30:31]
	s_and_saveexec_b64 s[8:9], vcc
; %bb.248:
	s_movk_i32 s10, 0x6667
	v_mul_i32_i24_sdwa v7, sext(v1), s10 dst_sel:DWORD dst_unused:UNUSED_PAD src0_sel:WORD_0 src1_sel:DWORD
	v_lshrrev_b32_e32 v9, 31, v7
	v_ashrrev_i32_e32 v7, 18, v7
	v_add_u16_e32 v7, v7, v9
	v_mul_i32_i24_sdwa v9, sext(v2), s10 dst_sel:DWORD dst_unused:UNUSED_PAD src0_sel:WORD_0 src1_sel:DWORD
	v_lshrrev_b32_e32 v10, 31, v9
	v_ashrrev_i32_e32 v9, 18, v9
	v_add_u16_e32 v9, v9, v10
	v_cmp_ne_u16_e32 vcc, v7, v9
	v_cndmask_b32_e64 v31, 0, 1, vcc
; %bb.249:
	s_or_b64 exec, exec, s[8:9]
	s_waitcnt lgkmcnt(0)
	s_barrier
	s_waitcnt lgkmcnt(0)
                                        ; implicit-def: $sgpr8_sgpr9
	s_and_saveexec_b64 s[10:11], s[2:3]
	s_cbranch_execz .LBB690_253
; %bb.250:
	v_mov_b32_e32 v7, 0
	v_cmp_gt_u64_e32 vcc, s[6:7], v[6:7]
	s_mov_b64 s[6:7], 0
	s_and_saveexec_b64 s[2:3], vcc
	s_cbranch_execz .LBB690_252
; %bb.251:
	v_add_u32_e32 v6, -2, v8
	ds_read_i16 v6, v6
	s_movk_i32 s6, 0x6667
	v_mul_i32_i24_sdwa v7, sext(v1), s6 dst_sel:DWORD dst_unused:UNUSED_PAD src0_sel:WORD_0 src1_sel:DWORD
	v_lshrrev_b32_e32 v8, 31, v7
	v_ashrrev_i32_e32 v7, 18, v7
	s_waitcnt lgkmcnt(0)
	v_mul_i32_i24_e32 v6, 0x6667, v6
	v_lshrrev_b32_e32 v9, 31, v6
	v_ashrrev_i32_e32 v6, 18, v6
	v_add_u16_e32 v6, v6, v9
	v_add_u16_e32 v7, v7, v8
	v_cmp_ne_u16_e32 vcc, v6, v7
	s_and_b64 s[6:7], vcc, exec
.LBB690_252:
	s_or_b64 exec, exec, s[2:3]
	s_and_b64 s[8:9], s[6:7], exec
	s_or_b64 s[4:5], s[4:5], exec
.LBB690_253:
	s_or_b64 exec, exec, s[10:11]
	s_mov_b32 s10, 1
	v_mov_b32_e32 v9, v25
	v_mov_b32_e32 v30, s10
	s_and_saveexec_b64 s[2:3], s[4:5]
	s_cbranch_execnz .LBB690_116
	s_branch .LBB690_117
.LBB690_254:
	s_and_saveexec_b64 s[42:43], s[30:31]
	s_cbranch_execnz .LBB690_322
; %bb.255:
	s_or_b64 exec, exec, s[42:43]
	s_and_saveexec_b64 s[42:43], s[28:29]
	s_cbranch_execnz .LBB690_323
.LBB690_256:
	s_or_b64 exec, exec, s[42:43]
	s_and_saveexec_b64 s[42:43], s[26:27]
	s_cbranch_execnz .LBB690_324
.LBB690_257:
	s_or_b64 exec, exec, s[42:43]
	s_and_saveexec_b64 s[42:43], s[24:25]
	s_cbranch_execnz .LBB690_325
.LBB690_258:
	s_or_b64 exec, exec, s[42:43]
	s_and_saveexec_b64 s[42:43], s[22:23]
	s_cbranch_execnz .LBB690_326
.LBB690_259:
	s_or_b64 exec, exec, s[42:43]
	s_and_saveexec_b64 s[42:43], s[20:21]
	s_cbranch_execnz .LBB690_327
.LBB690_260:
	s_or_b64 exec, exec, s[42:43]
	s_and_saveexec_b64 s[42:43], s[18:19]
	s_cbranch_execnz .LBB690_328
.LBB690_261:
	s_or_b64 exec, exec, s[42:43]
	s_and_saveexec_b64 s[42:43], s[16:17]
	s_cbranch_execnz .LBB690_329
.LBB690_262:
	s_or_b64 exec, exec, s[42:43]
	s_and_saveexec_b64 s[42:43], s[14:15]
	s_cbranch_execnz .LBB690_330
.LBB690_263:
	s_or_b64 exec, exec, s[42:43]
	s_and_saveexec_b64 s[42:43], s[12:13]
	s_cbranch_execnz .LBB690_331
.LBB690_264:
	s_or_b64 exec, exec, s[42:43]
	s_and_saveexec_b64 s[42:43], s[10:11]
	s_cbranch_execnz .LBB690_332
.LBB690_265:
	s_or_b64 exec, exec, s[42:43]
	s_and_saveexec_b64 s[42:43], s[8:9]
	s_cbranch_execnz .LBB690_333
.LBB690_266:
	s_or_b64 exec, exec, s[42:43]
	s_and_saveexec_b64 s[42:43], s[6:7]
	s_cbranch_execnz .LBB690_334
.LBB690_267:
	s_or_b64 exec, exec, s[42:43]
	s_and_saveexec_b64 s[42:43], s[4:5]
	s_cbranch_execz .LBB690_269
.LBB690_268:
	v_sub_u32_e32 v12, v36, v8
	v_mov_b32_e32 v13, 0
	v_lshlrev_b64 v[12:13], 1, v[12:13]
	v_add_co_u32_e32 v12, vcc, v7, v12
	v_addc_co_u32_e32 v13, vcc, v9, v13, vcc
	global_store_short v[12:13], v16, off
.LBB690_269:
	s_or_b64 exec, exec, s[42:43]
	s_and_b64 s[42:43], s[2:3], exec
	s_andn2_saveexec_b64 s[34:35], s[34:35]
	s_cbranch_execz .LBB690_162
.LBB690_270:
	v_sub_u32_e32 v12, v62, v8
	v_mov_b32_e32 v13, 0
	v_lshlrev_b64 v[70:71], 1, v[12:13]
	v_add_co_u32_e32 v70, vcc, v7, v70
	v_addc_co_u32_e32 v71, vcc, v9, v71, vcc
	v_sub_u32_e32 v12, v60, v8
	global_store_short v[70:71], v1, off
	v_lshlrev_b64 v[70:71], 1, v[12:13]
	v_add_co_u32_e32 v70, vcc, v7, v70
	v_addc_co_u32_e32 v71, vcc, v9, v71, vcc
	v_sub_u32_e32 v12, v58, v8
	global_store_short v[70:71], v2, off
	v_lshlrev_b64 v[70:71], 1, v[12:13]
	v_add_co_u32_e32 v70, vcc, v7, v70
	v_addc_co_u32_e32 v71, vcc, v9, v71, vcc
	v_sub_u32_e32 v12, v56, v8
	global_store_short_d16_hi v[70:71], v2, off
	v_lshlrev_b64 v[70:71], 1, v[12:13]
	v_add_co_u32_e32 v70, vcc, v7, v70
	v_addc_co_u32_e32 v71, vcc, v9, v71, vcc
	v_sub_u32_e32 v12, v54, v8
	global_store_short v[70:71], v3, off
	v_lshlrev_b64 v[70:71], 1, v[12:13]
	v_add_co_u32_e32 v70, vcc, v7, v70
	v_addc_co_u32_e32 v71, vcc, v9, v71, vcc
	v_sub_u32_e32 v12, v52, v8
	global_store_short_d16_hi v[70:71], v3, off
	;; [unrolled: 10-line block ×5, first 2 shown]
	v_lshlrev_b64 v[70:71], 1, v[12:13]
	v_add_co_u32_e32 v70, vcc, v7, v70
	v_addc_co_u32_e32 v71, vcc, v9, v71, vcc
	v_sub_u32_e32 v12, v38, v8
	global_store_short v[70:71], v15, off
	v_lshlrev_b64 v[70:71], 1, v[12:13]
	v_add_co_u32_e32 v70, vcc, v7, v70
	v_sub_u32_e32 v12, v36, v8
	v_addc_co_u32_e32 v71, vcc, v9, v71, vcc
	v_lshlrev_b64 v[12:13], 1, v[12:13]
	v_add_co_u32_e32 v12, vcc, v7, v12
	v_addc_co_u32_e32 v13, vcc, v9, v13, vcc
	s_or_b64 s[42:43], s[42:43], exec
	global_store_short_d16_hi v[70:71], v15, off
	global_store_short v[12:13], v16, off
	s_or_b64 exec, exec, s[34:35]
	s_and_b64 exec, exec, s[42:43]
	s_cbranch_execnz .LBB690_163
	s_branch .LBB690_164
.LBB690_271:
	s_and_saveexec_b64 s[42:43], s[30:31]
	s_cbranch_execnz .LBB690_335
; %bb.272:
	s_or_b64 exec, exec, s[42:43]
	s_and_saveexec_b64 s[30:31], s[28:29]
	s_cbranch_execnz .LBB690_336
.LBB690_273:
	s_or_b64 exec, exec, s[30:31]
	s_and_saveexec_b64 s[28:29], s[26:27]
	s_cbranch_execnz .LBB690_337
.LBB690_274:
	s_or_b64 exec, exec, s[28:29]
	s_and_saveexec_b64 s[26:27], s[24:25]
	s_cbranch_execnz .LBB690_338
.LBB690_275:
	s_or_b64 exec, exec, s[26:27]
	s_and_saveexec_b64 s[24:25], s[22:23]
	s_cbranch_execnz .LBB690_339
.LBB690_276:
	s_or_b64 exec, exec, s[24:25]
	s_and_saveexec_b64 s[22:23], s[20:21]
	s_cbranch_execnz .LBB690_340
.LBB690_277:
	s_or_b64 exec, exec, s[22:23]
	s_and_saveexec_b64 s[20:21], s[18:19]
	s_cbranch_execnz .LBB690_341
.LBB690_278:
	s_or_b64 exec, exec, s[20:21]
	s_and_saveexec_b64 s[18:19], s[16:17]
	s_cbranch_execnz .LBB690_342
.LBB690_279:
	s_or_b64 exec, exec, s[18:19]
	s_and_saveexec_b64 s[16:17], s[14:15]
	s_cbranch_execnz .LBB690_343
.LBB690_280:
	s_or_b64 exec, exec, s[16:17]
	s_and_saveexec_b64 s[14:15], s[12:13]
	s_cbranch_execnz .LBB690_344
.LBB690_281:
	s_or_b64 exec, exec, s[14:15]
	s_and_saveexec_b64 s[12:13], s[10:11]
	s_cbranch_execnz .LBB690_345
.LBB690_282:
	s_or_b64 exec, exec, s[12:13]
	s_and_saveexec_b64 s[10:11], s[8:9]
	s_cbranch_execnz .LBB690_346
.LBB690_283:
	s_or_b64 exec, exec, s[10:11]
	s_and_saveexec_b64 s[8:9], s[6:7]
	s_cbranch_execnz .LBB690_347
.LBB690_284:
	s_or_b64 exec, exec, s[8:9]
	s_and_saveexec_b64 s[6:7], s[4:5]
	s_cbranch_execz .LBB690_286
.LBB690_285:
	v_sub_u32_e32 v1, v36, v8
	v_lshlrev_b32_e32 v1, 1, v1
	ds_write_b16 v1, v16
.LBB690_286:
	s_or_b64 exec, exec, s[6:7]
	s_and_b64 s[42:43], s[2:3], exec
                                        ; implicit-def: $vgpr1
                                        ; implicit-def: $vgpr2
	s_andn2_saveexec_b64 s[2:3], s[40:41]
	s_cbranch_execz .LBB690_169
.LBB690_287:
	v_sub_u32_e32 v10, v62, v8
	v_lshlrev_b32_e32 v10, 1, v10
	ds_write_b16 v10, v1
	v_sub_u32_e32 v1, v60, v8
	v_lshlrev_b32_e32 v1, 1, v1
	ds_write_b16 v1, v2
	v_sub_u32_e32 v1, v58, v8
	v_lshlrev_b32_e32 v1, 1, v1
	ds_write_b16_d16_hi v1, v2
	v_sub_u32_e32 v1, v56, v8
	v_lshlrev_b32_e32 v1, 1, v1
	ds_write_b16 v1, v3
	v_sub_u32_e32 v1, v54, v8
	v_lshlrev_b32_e32 v1, 1, v1
	ds_write_b16_d16_hi v1, v3
	;; [unrolled: 6-line block ×6, first 2 shown]
	v_sub_u32_e32 v1, v36, v8
	v_lshlrev_b32_e32 v1, 1, v1
	s_or_b64 s[42:43], s[42:43], exec
	ds_write_b16 v1, v16
	s_or_b64 exec, exec, s[2:3]
	s_and_b64 exec, exec, s[42:43]
	s_cbranch_execnz .LBB690_170
	s_branch .LBB690_171
.LBB690_288:
	s_and_saveexec_b64 s[38:39], s[28:29]
	s_cbranch_execnz .LBB690_348
; %bb.289:
	s_or_b64 exec, exec, s[38:39]
	s_and_saveexec_b64 s[38:39], s[26:27]
	s_cbranch_execnz .LBB690_349
.LBB690_290:
	s_or_b64 exec, exec, s[38:39]
	s_and_saveexec_b64 s[38:39], s[24:25]
	s_cbranch_execnz .LBB690_350
.LBB690_291:
	s_or_b64 exec, exec, s[38:39]
	s_and_saveexec_b64 s[38:39], s[22:23]
	s_cbranch_execnz .LBB690_351
.LBB690_292:
	s_or_b64 exec, exec, s[38:39]
	s_and_saveexec_b64 s[38:39], s[20:21]
	s_cbranch_execnz .LBB690_352
.LBB690_293:
	s_or_b64 exec, exec, s[38:39]
	s_and_saveexec_b64 s[38:39], s[18:19]
	s_cbranch_execnz .LBB690_353
.LBB690_294:
	s_or_b64 exec, exec, s[38:39]
	s_and_saveexec_b64 s[38:39], s[16:17]
	s_cbranch_execnz .LBB690_354
.LBB690_295:
	s_or_b64 exec, exec, s[38:39]
	s_and_saveexec_b64 s[38:39], s[14:15]
	s_cbranch_execnz .LBB690_355
.LBB690_296:
	s_or_b64 exec, exec, s[38:39]
	s_and_saveexec_b64 s[38:39], s[12:13]
	s_cbranch_execnz .LBB690_356
.LBB690_297:
	s_or_b64 exec, exec, s[38:39]
	s_and_saveexec_b64 s[38:39], s[10:11]
	s_cbranch_execnz .LBB690_357
.LBB690_298:
	s_or_b64 exec, exec, s[38:39]
	s_and_saveexec_b64 s[38:39], s[8:9]
	s_cbranch_execnz .LBB690_358
.LBB690_299:
	s_or_b64 exec, exec, s[38:39]
	s_and_saveexec_b64 s[38:39], s[6:7]
	s_cbranch_execnz .LBB690_359
.LBB690_300:
	s_or_b64 exec, exec, s[38:39]
	s_and_saveexec_b64 s[38:39], s[4:5]
	s_cbranch_execnz .LBB690_360
.LBB690_301:
	s_or_b64 exec, exec, s[38:39]
	s_and_saveexec_b64 s[38:39], s[2:3]
	s_cbranch_execz .LBB690_303
.LBB690_302:
	v_sub_u32_e32 v10, v36, v3
	v_mov_b32_e32 v11, 0
	v_lshlrev_b64 v[10:11], 1, v[10:11]
	v_add_co_u32_e32 v10, vcc, v15, v10
	v_addc_co_u32_e32 v11, vcc, v16, v11, vcc
	global_store_short v[10:11], v37, off
.LBB690_303:
	s_or_b64 exec, exec, s[38:39]
	s_and_b64 s[38:39], s[0:1], exec
	s_andn2_saveexec_b64 s[30:31], s[30:31]
	s_cbranch_execz .LBB690_191
.LBB690_304:
	v_sub_u32_e32 v10, v62, v3
	v_mov_b32_e32 v11, 0
	v_lshlrev_b64 v[12:13], 1, v[10:11]
	v_add_co_u32_e32 v12, vcc, v15, v12
	v_addc_co_u32_e32 v13, vcc, v16, v13, vcc
	v_sub_u32_e32 v10, v60, v3
	global_store_short v[12:13], v63, off
	v_lshlrev_b64 v[12:13], 1, v[10:11]
	v_add_co_u32_e32 v12, vcc, v15, v12
	v_addc_co_u32_e32 v13, vcc, v16, v13, vcc
	v_sub_u32_e32 v10, v58, v3
	global_store_short v[12:13], v61, off
	v_lshlrev_b64 v[12:13], 1, v[10:11]
	v_add_co_u32_e32 v12, vcc, v15, v12
	v_addc_co_u32_e32 v13, vcc, v16, v13, vcc
	v_sub_u32_e32 v10, v56, v3
	global_store_short v[12:13], v59, off
	v_lshlrev_b64 v[12:13], 1, v[10:11]
	v_add_co_u32_e32 v12, vcc, v15, v12
	v_addc_co_u32_e32 v13, vcc, v16, v13, vcc
	v_sub_u32_e32 v10, v54, v3
	global_store_short v[12:13], v57, off
	v_lshlrev_b64 v[12:13], 1, v[10:11]
	v_add_co_u32_e32 v12, vcc, v15, v12
	v_addc_co_u32_e32 v13, vcc, v16, v13, vcc
	v_sub_u32_e32 v10, v52, v3
	global_store_short v[12:13], v55, off
	v_lshlrev_b64 v[12:13], 1, v[10:11]
	v_add_co_u32_e32 v12, vcc, v15, v12
	v_addc_co_u32_e32 v13, vcc, v16, v13, vcc
	v_sub_u32_e32 v10, v50, v3
	global_store_short v[12:13], v53, off
	v_lshlrev_b64 v[12:13], 1, v[10:11]
	v_add_co_u32_e32 v12, vcc, v15, v12
	v_addc_co_u32_e32 v13, vcc, v16, v13, vcc
	v_sub_u32_e32 v10, v48, v3
	global_store_short v[12:13], v51, off
	v_lshlrev_b64 v[12:13], 1, v[10:11]
	v_add_co_u32_e32 v12, vcc, v15, v12
	v_addc_co_u32_e32 v13, vcc, v16, v13, vcc
	v_sub_u32_e32 v10, v46, v3
	global_store_short v[12:13], v49, off
	v_lshlrev_b64 v[12:13], 1, v[10:11]
	v_add_co_u32_e32 v12, vcc, v15, v12
	v_addc_co_u32_e32 v13, vcc, v16, v13, vcc
	v_sub_u32_e32 v10, v44, v3
	global_store_short v[12:13], v47, off
	v_lshlrev_b64 v[12:13], 1, v[10:11]
	v_add_co_u32_e32 v12, vcc, v15, v12
	v_addc_co_u32_e32 v13, vcc, v16, v13, vcc
	v_sub_u32_e32 v10, v42, v3
	global_store_short v[12:13], v45, off
	v_lshlrev_b64 v[12:13], 1, v[10:11]
	v_add_co_u32_e32 v12, vcc, v15, v12
	v_addc_co_u32_e32 v13, vcc, v16, v13, vcc
	v_sub_u32_e32 v10, v40, v3
	global_store_short v[12:13], v43, off
	v_lshlrev_b64 v[12:13], 1, v[10:11]
	v_add_co_u32_e32 v12, vcc, v15, v12
	v_addc_co_u32_e32 v13, vcc, v16, v13, vcc
	v_sub_u32_e32 v10, v38, v3
	global_store_short v[12:13], v41, off
	v_lshlrev_b64 v[12:13], 1, v[10:11]
	v_add_co_u32_e32 v12, vcc, v15, v12
	v_sub_u32_e32 v10, v36, v3
	v_addc_co_u32_e32 v13, vcc, v16, v13, vcc
	v_lshlrev_b64 v[10:11], 1, v[10:11]
	v_add_co_u32_e32 v10, vcc, v15, v10
	v_addc_co_u32_e32 v11, vcc, v16, v11, vcc
	s_or_b64 s[38:39], s[38:39], exec
	global_store_short v[12:13], v39, off
	global_store_short v[10:11], v37, off
	s_or_b64 exec, exec, s[30:31]
	s_and_b64 exec, exec, s[38:39]
	s_cbranch_execnz .LBB690_192
	s_branch .LBB690_193
.LBB690_305:
	s_and_saveexec_b64 s[38:39], s[28:29]
	s_cbranch_execnz .LBB690_361
; %bb.306:
	s_or_b64 exec, exec, s[38:39]
	s_and_saveexec_b64 s[28:29], s[26:27]
	s_cbranch_execnz .LBB690_362
.LBB690_307:
	s_or_b64 exec, exec, s[28:29]
	s_and_saveexec_b64 s[26:27], s[24:25]
	s_cbranch_execnz .LBB690_363
.LBB690_308:
	s_or_b64 exec, exec, s[26:27]
	s_and_saveexec_b64 s[24:25], s[22:23]
	s_cbranch_execnz .LBB690_364
.LBB690_309:
	s_or_b64 exec, exec, s[24:25]
	s_and_saveexec_b64 s[22:23], s[20:21]
	s_cbranch_execnz .LBB690_365
.LBB690_310:
	s_or_b64 exec, exec, s[22:23]
	s_and_saveexec_b64 s[20:21], s[18:19]
	s_cbranch_execnz .LBB690_366
.LBB690_311:
	s_or_b64 exec, exec, s[20:21]
	s_and_saveexec_b64 s[18:19], s[16:17]
	s_cbranch_execnz .LBB690_367
.LBB690_312:
	s_or_b64 exec, exec, s[18:19]
	s_and_saveexec_b64 s[16:17], s[14:15]
	s_cbranch_execnz .LBB690_368
.LBB690_313:
	s_or_b64 exec, exec, s[16:17]
	s_and_saveexec_b64 s[14:15], s[12:13]
	s_cbranch_execnz .LBB690_369
.LBB690_314:
	s_or_b64 exec, exec, s[14:15]
	s_and_saveexec_b64 s[12:13], s[10:11]
	s_cbranch_execnz .LBB690_370
.LBB690_315:
	s_or_b64 exec, exec, s[12:13]
	s_and_saveexec_b64 s[10:11], s[8:9]
	s_cbranch_execnz .LBB690_371
.LBB690_316:
	s_or_b64 exec, exec, s[10:11]
	s_and_saveexec_b64 s[8:9], s[6:7]
	s_cbranch_execnz .LBB690_372
.LBB690_317:
	s_or_b64 exec, exec, s[8:9]
	s_and_saveexec_b64 s[6:7], s[4:5]
	s_cbranch_execnz .LBB690_373
.LBB690_318:
	s_or_b64 exec, exec, s[6:7]
	s_and_saveexec_b64 s[4:5], s[2:3]
	s_cbranch_execz .LBB690_320
.LBB690_319:
	v_sub_u32_e32 v4, v36, v3
	v_lshlrev_b32_e32 v4, 1, v4
	ds_write_b16 v4, v37
.LBB690_320:
	s_or_b64 exec, exec, s[4:5]
	s_and_b64 s[38:39], s[0:1], exec
                                        ; implicit-def: $vgpr62_vgpr63
                                        ; implicit-def: $vgpr60_vgpr61
                                        ; implicit-def: $vgpr58_vgpr59
                                        ; implicit-def: $vgpr56_vgpr57
                                        ; implicit-def: $vgpr54_vgpr55
                                        ; implicit-def: $vgpr52_vgpr53
                                        ; implicit-def: $vgpr50_vgpr51
                                        ; implicit-def: $vgpr48_vgpr49
                                        ; implicit-def: $vgpr46_vgpr47
                                        ; implicit-def: $vgpr44_vgpr45
                                        ; implicit-def: $vgpr42_vgpr43
                                        ; implicit-def: $vgpr40_vgpr41
                                        ; implicit-def: $vgpr38_vgpr39
                                        ; implicit-def: $vgpr36_vgpr37
	s_andn2_saveexec_b64 s[0:1], s[34:35]
	s_cbranch_execz .LBB690_198
.LBB690_321:
	v_sub_u32_e32 v4, v62, v3
	v_lshlrev_b32_e32 v4, 1, v4
	ds_write_b16 v4, v63
	v_sub_u32_e32 v4, v60, v3
	v_lshlrev_b32_e32 v4, 1, v4
	ds_write_b16 v4, v61
	;; [unrolled: 3-line block ×13, first 2 shown]
	v_sub_u32_e32 v4, v36, v3
	v_lshlrev_b32_e32 v4, 1, v4
	s_or_b64 s[38:39], s[38:39], exec
	ds_write_b16 v4, v37
	s_or_b64 exec, exec, s[0:1]
	s_and_b64 exec, exec, s[38:39]
	s_cbranch_execnz .LBB690_199
	s_branch .LBB690_200
.LBB690_322:
	v_sub_u32_e32 v12, v62, v8
	v_mov_b32_e32 v13, 0
	v_lshlrev_b64 v[12:13], 1, v[12:13]
	v_add_co_u32_e32 v12, vcc, v7, v12
	v_addc_co_u32_e32 v13, vcc, v9, v13, vcc
	global_store_short v[12:13], v1, off
	s_or_b64 exec, exec, s[42:43]
	s_and_saveexec_b64 s[42:43], s[28:29]
	s_cbranch_execz .LBB690_256
.LBB690_323:
	v_sub_u32_e32 v12, v60, v8
	v_mov_b32_e32 v13, 0
	v_lshlrev_b64 v[12:13], 1, v[12:13]
	v_add_co_u32_e32 v12, vcc, v7, v12
	v_addc_co_u32_e32 v13, vcc, v9, v13, vcc
	global_store_short v[12:13], v2, off
	s_or_b64 exec, exec, s[42:43]
	s_and_saveexec_b64 s[42:43], s[26:27]
	s_cbranch_execz .LBB690_257
.LBB690_324:
	v_sub_u32_e32 v12, v58, v8
	v_mov_b32_e32 v13, 0
	v_lshlrev_b64 v[12:13], 1, v[12:13]
	v_add_co_u32_e32 v12, vcc, v7, v12
	v_addc_co_u32_e32 v13, vcc, v9, v13, vcc
	global_store_short_d16_hi v[12:13], v2, off
	s_or_b64 exec, exec, s[42:43]
	s_and_saveexec_b64 s[42:43], s[24:25]
	s_cbranch_execz .LBB690_258
.LBB690_325:
	v_sub_u32_e32 v12, v56, v8
	v_mov_b32_e32 v13, 0
	v_lshlrev_b64 v[12:13], 1, v[12:13]
	v_add_co_u32_e32 v12, vcc, v7, v12
	v_addc_co_u32_e32 v13, vcc, v9, v13, vcc
	global_store_short v[12:13], v3, off
	s_or_b64 exec, exec, s[42:43]
	s_and_saveexec_b64 s[42:43], s[22:23]
	s_cbranch_execz .LBB690_259
.LBB690_326:
	v_sub_u32_e32 v12, v54, v8
	v_mov_b32_e32 v13, 0
	v_lshlrev_b64 v[12:13], 1, v[12:13]
	v_add_co_u32_e32 v12, vcc, v7, v12
	v_addc_co_u32_e32 v13, vcc, v9, v13, vcc
	global_store_short_d16_hi v[12:13], v3, off
	s_or_b64 exec, exec, s[42:43]
	s_and_saveexec_b64 s[42:43], s[20:21]
	s_cbranch_execz .LBB690_260
.LBB690_327:
	v_sub_u32_e32 v12, v52, v8
	v_mov_b32_e32 v13, 0
	v_lshlrev_b64 v[12:13], 1, v[12:13]
	v_add_co_u32_e32 v12, vcc, v7, v12
	v_addc_co_u32_e32 v13, vcc, v9, v13, vcc
	global_store_short v[12:13], v4, off
	s_or_b64 exec, exec, s[42:43]
	s_and_saveexec_b64 s[42:43], s[18:19]
	s_cbranch_execz .LBB690_261
.LBB690_328:
	v_sub_u32_e32 v12, v50, v8
	v_mov_b32_e32 v13, 0
	v_lshlrev_b64 v[12:13], 1, v[12:13]
	v_add_co_u32_e32 v12, vcc, v7, v12
	v_addc_co_u32_e32 v13, vcc, v9, v13, vcc
	global_store_short_d16_hi v[12:13], v4, off
	s_or_b64 exec, exec, s[42:43]
	s_and_saveexec_b64 s[42:43], s[16:17]
	s_cbranch_execz .LBB690_262
.LBB690_329:
	v_sub_u32_e32 v12, v48, v8
	v_mov_b32_e32 v13, 0
	v_lshlrev_b64 v[12:13], 1, v[12:13]
	v_add_co_u32_e32 v12, vcc, v7, v12
	v_addc_co_u32_e32 v13, vcc, v9, v13, vcc
	global_store_short v[12:13], v5, off
	s_or_b64 exec, exec, s[42:43]
	s_and_saveexec_b64 s[42:43], s[14:15]
	s_cbranch_execz .LBB690_263
.LBB690_330:
	v_sub_u32_e32 v12, v46, v8
	v_mov_b32_e32 v13, 0
	v_lshlrev_b64 v[12:13], 1, v[12:13]
	v_add_co_u32_e32 v12, vcc, v7, v12
	v_addc_co_u32_e32 v13, vcc, v9, v13, vcc
	global_store_short_d16_hi v[12:13], v5, off
	s_or_b64 exec, exec, s[42:43]
	s_and_saveexec_b64 s[42:43], s[12:13]
	s_cbranch_execz .LBB690_264
.LBB690_331:
	v_sub_u32_e32 v12, v44, v8
	v_mov_b32_e32 v13, 0
	v_lshlrev_b64 v[12:13], 1, v[12:13]
	v_add_co_u32_e32 v12, vcc, v7, v12
	v_addc_co_u32_e32 v13, vcc, v9, v13, vcc
	global_store_short v[12:13], v14, off
	s_or_b64 exec, exec, s[42:43]
	s_and_saveexec_b64 s[42:43], s[10:11]
	s_cbranch_execz .LBB690_265
.LBB690_332:
	v_sub_u32_e32 v12, v42, v8
	v_mov_b32_e32 v13, 0
	v_lshlrev_b64 v[12:13], 1, v[12:13]
	v_add_co_u32_e32 v12, vcc, v7, v12
	v_addc_co_u32_e32 v13, vcc, v9, v13, vcc
	global_store_short_d16_hi v[12:13], v14, off
	s_or_b64 exec, exec, s[42:43]
	s_and_saveexec_b64 s[42:43], s[8:9]
	s_cbranch_execz .LBB690_266
.LBB690_333:
	v_sub_u32_e32 v12, v40, v8
	v_mov_b32_e32 v13, 0
	v_lshlrev_b64 v[12:13], 1, v[12:13]
	v_add_co_u32_e32 v12, vcc, v7, v12
	v_addc_co_u32_e32 v13, vcc, v9, v13, vcc
	global_store_short v[12:13], v15, off
	s_or_b64 exec, exec, s[42:43]
	s_and_saveexec_b64 s[42:43], s[6:7]
	s_cbranch_execz .LBB690_267
.LBB690_334:
	v_sub_u32_e32 v12, v38, v8
	v_mov_b32_e32 v13, 0
	v_lshlrev_b64 v[12:13], 1, v[12:13]
	v_add_co_u32_e32 v12, vcc, v7, v12
	v_addc_co_u32_e32 v13, vcc, v9, v13, vcc
	global_store_short_d16_hi v[12:13], v15, off
	s_or_b64 exec, exec, s[42:43]
	s_and_saveexec_b64 s[42:43], s[4:5]
	s_cbranch_execnz .LBB690_268
	s_branch .LBB690_269
.LBB690_335:
	v_sub_u32_e32 v10, v62, v8
	v_lshlrev_b32_e32 v10, 1, v10
	ds_write_b16 v10, v1
	s_or_b64 exec, exec, s[42:43]
	s_and_saveexec_b64 s[30:31], s[28:29]
	s_cbranch_execz .LBB690_273
.LBB690_336:
	v_sub_u32_e32 v1, v60, v8
	v_lshlrev_b32_e32 v1, 1, v1
	ds_write_b16 v1, v2
	s_or_b64 exec, exec, s[30:31]
	s_and_saveexec_b64 s[28:29], s[26:27]
	s_cbranch_execz .LBB690_274
.LBB690_337:
	v_sub_u32_e32 v1, v58, v8
	v_lshlrev_b32_e32 v1, 1, v1
	ds_write_b16_d16_hi v1, v2
	s_or_b64 exec, exec, s[28:29]
	s_and_saveexec_b64 s[26:27], s[24:25]
	s_cbranch_execz .LBB690_275
.LBB690_338:
	v_sub_u32_e32 v1, v56, v8
	v_lshlrev_b32_e32 v1, 1, v1
	ds_write_b16 v1, v3
	s_or_b64 exec, exec, s[26:27]
	s_and_saveexec_b64 s[24:25], s[22:23]
	s_cbranch_execz .LBB690_276
.LBB690_339:
	v_sub_u32_e32 v1, v54, v8
	v_lshlrev_b32_e32 v1, 1, v1
	ds_write_b16_d16_hi v1, v3
	s_or_b64 exec, exec, s[24:25]
	s_and_saveexec_b64 s[22:23], s[20:21]
	s_cbranch_execz .LBB690_277
.LBB690_340:
	v_sub_u32_e32 v1, v52, v8
	v_lshlrev_b32_e32 v1, 1, v1
	ds_write_b16 v1, v4
	s_or_b64 exec, exec, s[22:23]
	s_and_saveexec_b64 s[20:21], s[18:19]
	s_cbranch_execz .LBB690_278
.LBB690_341:
	v_sub_u32_e32 v1, v50, v8
	v_lshlrev_b32_e32 v1, 1, v1
	ds_write_b16_d16_hi v1, v4
	s_or_b64 exec, exec, s[20:21]
	s_and_saveexec_b64 s[18:19], s[16:17]
	s_cbranch_execz .LBB690_279
.LBB690_342:
	v_sub_u32_e32 v1, v48, v8
	v_lshlrev_b32_e32 v1, 1, v1
	ds_write_b16 v1, v5
	s_or_b64 exec, exec, s[18:19]
	s_and_saveexec_b64 s[16:17], s[14:15]
	s_cbranch_execz .LBB690_280
.LBB690_343:
	v_sub_u32_e32 v1, v46, v8
	v_lshlrev_b32_e32 v1, 1, v1
	ds_write_b16_d16_hi v1, v5
	s_or_b64 exec, exec, s[16:17]
	s_and_saveexec_b64 s[14:15], s[12:13]
	s_cbranch_execz .LBB690_281
.LBB690_344:
	v_sub_u32_e32 v1, v44, v8
	v_lshlrev_b32_e32 v1, 1, v1
	ds_write_b16 v1, v14
	s_or_b64 exec, exec, s[14:15]
	s_and_saveexec_b64 s[12:13], s[10:11]
	s_cbranch_execz .LBB690_282
.LBB690_345:
	v_sub_u32_e32 v1, v42, v8
	v_lshlrev_b32_e32 v1, 1, v1
	ds_write_b16_d16_hi v1, v14
	s_or_b64 exec, exec, s[12:13]
	s_and_saveexec_b64 s[10:11], s[8:9]
	s_cbranch_execz .LBB690_283
.LBB690_346:
	v_sub_u32_e32 v1, v40, v8
	v_lshlrev_b32_e32 v1, 1, v1
	ds_write_b16 v1, v15
	s_or_b64 exec, exec, s[10:11]
	s_and_saveexec_b64 s[8:9], s[6:7]
	s_cbranch_execz .LBB690_284
.LBB690_347:
	v_sub_u32_e32 v1, v38, v8
	v_lshlrev_b32_e32 v1, 1, v1
	ds_write_b16_d16_hi v1, v15
	s_or_b64 exec, exec, s[8:9]
	s_and_saveexec_b64 s[6:7], s[4:5]
	s_cbranch_execnz .LBB690_285
	s_branch .LBB690_286
.LBB690_348:
	v_sub_u32_e32 v10, v62, v3
	v_mov_b32_e32 v11, 0
	v_lshlrev_b64 v[10:11], 1, v[10:11]
	v_add_co_u32_e32 v10, vcc, v15, v10
	v_addc_co_u32_e32 v11, vcc, v16, v11, vcc
	global_store_short v[10:11], v63, off
	s_or_b64 exec, exec, s[38:39]
	s_and_saveexec_b64 s[38:39], s[26:27]
	s_cbranch_execz .LBB690_290
.LBB690_349:
	v_sub_u32_e32 v10, v60, v3
	v_mov_b32_e32 v11, 0
	v_lshlrev_b64 v[10:11], 1, v[10:11]
	v_add_co_u32_e32 v10, vcc, v15, v10
	v_addc_co_u32_e32 v11, vcc, v16, v11, vcc
	global_store_short v[10:11], v61, off
	s_or_b64 exec, exec, s[38:39]
	s_and_saveexec_b64 s[38:39], s[24:25]
	s_cbranch_execz .LBB690_291
.LBB690_350:
	v_sub_u32_e32 v10, v58, v3
	v_mov_b32_e32 v11, 0
	v_lshlrev_b64 v[10:11], 1, v[10:11]
	v_add_co_u32_e32 v10, vcc, v15, v10
	v_addc_co_u32_e32 v11, vcc, v16, v11, vcc
	global_store_short v[10:11], v59, off
	s_or_b64 exec, exec, s[38:39]
	s_and_saveexec_b64 s[38:39], s[22:23]
	s_cbranch_execz .LBB690_292
.LBB690_351:
	v_sub_u32_e32 v10, v56, v3
	v_mov_b32_e32 v11, 0
	v_lshlrev_b64 v[10:11], 1, v[10:11]
	v_add_co_u32_e32 v10, vcc, v15, v10
	v_addc_co_u32_e32 v11, vcc, v16, v11, vcc
	global_store_short v[10:11], v57, off
	s_or_b64 exec, exec, s[38:39]
	s_and_saveexec_b64 s[38:39], s[20:21]
	s_cbranch_execz .LBB690_293
.LBB690_352:
	v_sub_u32_e32 v10, v54, v3
	v_mov_b32_e32 v11, 0
	v_lshlrev_b64 v[10:11], 1, v[10:11]
	v_add_co_u32_e32 v10, vcc, v15, v10
	v_addc_co_u32_e32 v11, vcc, v16, v11, vcc
	global_store_short v[10:11], v55, off
	s_or_b64 exec, exec, s[38:39]
	s_and_saveexec_b64 s[38:39], s[18:19]
	s_cbranch_execz .LBB690_294
.LBB690_353:
	v_sub_u32_e32 v10, v52, v3
	v_mov_b32_e32 v11, 0
	v_lshlrev_b64 v[10:11], 1, v[10:11]
	v_add_co_u32_e32 v10, vcc, v15, v10
	v_addc_co_u32_e32 v11, vcc, v16, v11, vcc
	global_store_short v[10:11], v53, off
	s_or_b64 exec, exec, s[38:39]
	s_and_saveexec_b64 s[38:39], s[16:17]
	s_cbranch_execz .LBB690_295
.LBB690_354:
	v_sub_u32_e32 v10, v50, v3
	v_mov_b32_e32 v11, 0
	v_lshlrev_b64 v[10:11], 1, v[10:11]
	v_add_co_u32_e32 v10, vcc, v15, v10
	v_addc_co_u32_e32 v11, vcc, v16, v11, vcc
	global_store_short v[10:11], v51, off
	s_or_b64 exec, exec, s[38:39]
	s_and_saveexec_b64 s[38:39], s[14:15]
	s_cbranch_execz .LBB690_296
.LBB690_355:
	v_sub_u32_e32 v10, v48, v3
	v_mov_b32_e32 v11, 0
	v_lshlrev_b64 v[10:11], 1, v[10:11]
	v_add_co_u32_e32 v10, vcc, v15, v10
	v_addc_co_u32_e32 v11, vcc, v16, v11, vcc
	global_store_short v[10:11], v49, off
	s_or_b64 exec, exec, s[38:39]
	s_and_saveexec_b64 s[38:39], s[12:13]
	s_cbranch_execz .LBB690_297
.LBB690_356:
	v_sub_u32_e32 v10, v46, v3
	v_mov_b32_e32 v11, 0
	v_lshlrev_b64 v[10:11], 1, v[10:11]
	v_add_co_u32_e32 v10, vcc, v15, v10
	v_addc_co_u32_e32 v11, vcc, v16, v11, vcc
	global_store_short v[10:11], v47, off
	s_or_b64 exec, exec, s[38:39]
	s_and_saveexec_b64 s[38:39], s[10:11]
	s_cbranch_execz .LBB690_298
.LBB690_357:
	v_sub_u32_e32 v10, v44, v3
	v_mov_b32_e32 v11, 0
	v_lshlrev_b64 v[10:11], 1, v[10:11]
	v_add_co_u32_e32 v10, vcc, v15, v10
	v_addc_co_u32_e32 v11, vcc, v16, v11, vcc
	global_store_short v[10:11], v45, off
	s_or_b64 exec, exec, s[38:39]
	s_and_saveexec_b64 s[38:39], s[8:9]
	s_cbranch_execz .LBB690_299
.LBB690_358:
	v_sub_u32_e32 v10, v42, v3
	v_mov_b32_e32 v11, 0
	v_lshlrev_b64 v[10:11], 1, v[10:11]
	v_add_co_u32_e32 v10, vcc, v15, v10
	v_addc_co_u32_e32 v11, vcc, v16, v11, vcc
	global_store_short v[10:11], v43, off
	s_or_b64 exec, exec, s[38:39]
	s_and_saveexec_b64 s[38:39], s[6:7]
	s_cbranch_execz .LBB690_300
.LBB690_359:
	v_sub_u32_e32 v10, v40, v3
	v_mov_b32_e32 v11, 0
	v_lshlrev_b64 v[10:11], 1, v[10:11]
	v_add_co_u32_e32 v10, vcc, v15, v10
	v_addc_co_u32_e32 v11, vcc, v16, v11, vcc
	global_store_short v[10:11], v41, off
	s_or_b64 exec, exec, s[38:39]
	s_and_saveexec_b64 s[38:39], s[4:5]
	s_cbranch_execz .LBB690_301
.LBB690_360:
	v_sub_u32_e32 v10, v38, v3
	v_mov_b32_e32 v11, 0
	v_lshlrev_b64 v[10:11], 1, v[10:11]
	v_add_co_u32_e32 v10, vcc, v15, v10
	v_addc_co_u32_e32 v11, vcc, v16, v11, vcc
	global_store_short v[10:11], v39, off
	s_or_b64 exec, exec, s[38:39]
	s_and_saveexec_b64 s[38:39], s[2:3]
	s_cbranch_execnz .LBB690_302
	s_branch .LBB690_303
.LBB690_361:
	v_sub_u32_e32 v4, v62, v3
	v_lshlrev_b32_e32 v4, 1, v4
	ds_write_b16 v4, v63
	s_or_b64 exec, exec, s[38:39]
	s_and_saveexec_b64 s[28:29], s[26:27]
	s_cbranch_execz .LBB690_307
.LBB690_362:
	v_sub_u32_e32 v4, v60, v3
	v_lshlrev_b32_e32 v4, 1, v4
	ds_write_b16 v4, v61
	s_or_b64 exec, exec, s[28:29]
	s_and_saveexec_b64 s[26:27], s[24:25]
	s_cbranch_execz .LBB690_308
.LBB690_363:
	v_sub_u32_e32 v4, v58, v3
	v_lshlrev_b32_e32 v4, 1, v4
	ds_write_b16 v4, v59
	s_or_b64 exec, exec, s[26:27]
	s_and_saveexec_b64 s[24:25], s[22:23]
	s_cbranch_execz .LBB690_309
.LBB690_364:
	v_sub_u32_e32 v4, v56, v3
	v_lshlrev_b32_e32 v4, 1, v4
	ds_write_b16 v4, v57
	s_or_b64 exec, exec, s[24:25]
	s_and_saveexec_b64 s[22:23], s[20:21]
	s_cbranch_execz .LBB690_310
.LBB690_365:
	v_sub_u32_e32 v4, v54, v3
	v_lshlrev_b32_e32 v4, 1, v4
	ds_write_b16 v4, v55
	s_or_b64 exec, exec, s[22:23]
	s_and_saveexec_b64 s[20:21], s[18:19]
	s_cbranch_execz .LBB690_311
.LBB690_366:
	v_sub_u32_e32 v4, v52, v3
	v_lshlrev_b32_e32 v4, 1, v4
	ds_write_b16 v4, v53
	s_or_b64 exec, exec, s[20:21]
	s_and_saveexec_b64 s[18:19], s[16:17]
	s_cbranch_execz .LBB690_312
.LBB690_367:
	v_sub_u32_e32 v4, v50, v3
	v_lshlrev_b32_e32 v4, 1, v4
	ds_write_b16 v4, v51
	s_or_b64 exec, exec, s[18:19]
	s_and_saveexec_b64 s[16:17], s[14:15]
	s_cbranch_execz .LBB690_313
.LBB690_368:
	v_sub_u32_e32 v4, v48, v3
	v_lshlrev_b32_e32 v4, 1, v4
	ds_write_b16 v4, v49
	s_or_b64 exec, exec, s[16:17]
	s_and_saveexec_b64 s[14:15], s[12:13]
	s_cbranch_execz .LBB690_314
.LBB690_369:
	v_sub_u32_e32 v4, v46, v3
	v_lshlrev_b32_e32 v4, 1, v4
	ds_write_b16 v4, v47
	s_or_b64 exec, exec, s[14:15]
	s_and_saveexec_b64 s[12:13], s[10:11]
	s_cbranch_execz .LBB690_315
.LBB690_370:
	v_sub_u32_e32 v4, v44, v3
	v_lshlrev_b32_e32 v4, 1, v4
	ds_write_b16 v4, v45
	s_or_b64 exec, exec, s[12:13]
	s_and_saveexec_b64 s[10:11], s[8:9]
	s_cbranch_execz .LBB690_316
.LBB690_371:
	v_sub_u32_e32 v4, v42, v3
	v_lshlrev_b32_e32 v4, 1, v4
	ds_write_b16 v4, v43
	s_or_b64 exec, exec, s[10:11]
	s_and_saveexec_b64 s[8:9], s[6:7]
	s_cbranch_execz .LBB690_317
.LBB690_372:
	v_sub_u32_e32 v4, v40, v3
	v_lshlrev_b32_e32 v4, 1, v4
	ds_write_b16 v4, v41
	s_or_b64 exec, exec, s[8:9]
	s_and_saveexec_b64 s[6:7], s[4:5]
	s_cbranch_execz .LBB690_318
.LBB690_373:
	v_sub_u32_e32 v4, v38, v3
	v_lshlrev_b32_e32 v4, 1, v4
	ds_write_b16 v4, v39
	s_or_b64 exec, exec, s[6:7]
	s_and_saveexec_b64 s[4:5], s[2:3]
	s_cbranch_execnz .LBB690_319
	s_branch .LBB690_320
	.section	.rodata,"a",@progbits
	.p2align	6, 0x0
	.amdhsa_kernel _ZN7rocprim17ROCPRIM_400000_NS6detail17trampoline_kernelINS0_14default_configENS1_29reduce_by_key_config_selectorIssN6thrust23THRUST_200600_302600_NS4plusIsEEEEZZNS1_33reduce_by_key_impl_wrapped_configILNS1_25lookback_scan_determinismE0ES3_S9_NS6_6detail15normal_iteratorINS6_10device_ptrIsEEEESG_SG_SG_PmS8_22is_equal_div_10_reduceIsEEE10hipError_tPvRmT2_T3_mT4_T5_T6_T7_T8_P12ihipStream_tbENKUlT_T0_E_clISt17integral_constantIbLb0EES10_IbLb1EEEEDaSW_SX_EUlSW_E_NS1_11comp_targetILNS1_3genE4ELNS1_11target_archE910ELNS1_3gpuE8ELNS1_3repE0EEENS1_30default_config_static_selectorELNS0_4arch9wavefront6targetE1EEEvT1_
		.amdhsa_group_segment_fixed_size 7680
		.amdhsa_private_segment_fixed_size 0
		.amdhsa_kernarg_size 120
		.amdhsa_user_sgpr_count 6
		.amdhsa_user_sgpr_private_segment_buffer 1
		.amdhsa_user_sgpr_dispatch_ptr 0
		.amdhsa_user_sgpr_queue_ptr 0
		.amdhsa_user_sgpr_kernarg_segment_ptr 1
		.amdhsa_user_sgpr_dispatch_id 0
		.amdhsa_user_sgpr_flat_scratch_init 0
		.amdhsa_user_sgpr_kernarg_preload_length 0
		.amdhsa_user_sgpr_kernarg_preload_offset 0
		.amdhsa_user_sgpr_private_segment_size 0
		.amdhsa_uses_dynamic_stack 0
		.amdhsa_system_sgpr_private_segment_wavefront_offset 0
		.amdhsa_system_sgpr_workgroup_id_x 1
		.amdhsa_system_sgpr_workgroup_id_y 0
		.amdhsa_system_sgpr_workgroup_id_z 0
		.amdhsa_system_sgpr_workgroup_info 0
		.amdhsa_system_vgpr_workitem_id 0
		.amdhsa_next_free_vgpr 111
		.amdhsa_next_free_sgpr 66
		.amdhsa_accum_offset 112
		.amdhsa_reserve_vcc 1
		.amdhsa_reserve_flat_scratch 0
		.amdhsa_float_round_mode_32 0
		.amdhsa_float_round_mode_16_64 0
		.amdhsa_float_denorm_mode_32 3
		.amdhsa_float_denorm_mode_16_64 3
		.amdhsa_dx10_clamp 1
		.amdhsa_ieee_mode 1
		.amdhsa_fp16_overflow 0
		.amdhsa_tg_split 0
		.amdhsa_exception_fp_ieee_invalid_op 0
		.amdhsa_exception_fp_denorm_src 0
		.amdhsa_exception_fp_ieee_div_zero 0
		.amdhsa_exception_fp_ieee_overflow 0
		.amdhsa_exception_fp_ieee_underflow 0
		.amdhsa_exception_fp_ieee_inexact 0
		.amdhsa_exception_int_div_zero 0
	.end_amdhsa_kernel
	.section	.text._ZN7rocprim17ROCPRIM_400000_NS6detail17trampoline_kernelINS0_14default_configENS1_29reduce_by_key_config_selectorIssN6thrust23THRUST_200600_302600_NS4plusIsEEEEZZNS1_33reduce_by_key_impl_wrapped_configILNS1_25lookback_scan_determinismE0ES3_S9_NS6_6detail15normal_iteratorINS6_10device_ptrIsEEEESG_SG_SG_PmS8_22is_equal_div_10_reduceIsEEE10hipError_tPvRmT2_T3_mT4_T5_T6_T7_T8_P12ihipStream_tbENKUlT_T0_E_clISt17integral_constantIbLb0EES10_IbLb1EEEEDaSW_SX_EUlSW_E_NS1_11comp_targetILNS1_3genE4ELNS1_11target_archE910ELNS1_3gpuE8ELNS1_3repE0EEENS1_30default_config_static_selectorELNS0_4arch9wavefront6targetE1EEEvT1_,"axG",@progbits,_ZN7rocprim17ROCPRIM_400000_NS6detail17trampoline_kernelINS0_14default_configENS1_29reduce_by_key_config_selectorIssN6thrust23THRUST_200600_302600_NS4plusIsEEEEZZNS1_33reduce_by_key_impl_wrapped_configILNS1_25lookback_scan_determinismE0ES3_S9_NS6_6detail15normal_iteratorINS6_10device_ptrIsEEEESG_SG_SG_PmS8_22is_equal_div_10_reduceIsEEE10hipError_tPvRmT2_T3_mT4_T5_T6_T7_T8_P12ihipStream_tbENKUlT_T0_E_clISt17integral_constantIbLb0EES10_IbLb1EEEEDaSW_SX_EUlSW_E_NS1_11comp_targetILNS1_3genE4ELNS1_11target_archE910ELNS1_3gpuE8ELNS1_3repE0EEENS1_30default_config_static_selectorELNS0_4arch9wavefront6targetE1EEEvT1_,comdat
.Lfunc_end690:
	.size	_ZN7rocprim17ROCPRIM_400000_NS6detail17trampoline_kernelINS0_14default_configENS1_29reduce_by_key_config_selectorIssN6thrust23THRUST_200600_302600_NS4plusIsEEEEZZNS1_33reduce_by_key_impl_wrapped_configILNS1_25lookback_scan_determinismE0ES3_S9_NS6_6detail15normal_iteratorINS6_10device_ptrIsEEEESG_SG_SG_PmS8_22is_equal_div_10_reduceIsEEE10hipError_tPvRmT2_T3_mT4_T5_T6_T7_T8_P12ihipStream_tbENKUlT_T0_E_clISt17integral_constantIbLb0EES10_IbLb1EEEEDaSW_SX_EUlSW_E_NS1_11comp_targetILNS1_3genE4ELNS1_11target_archE910ELNS1_3gpuE8ELNS1_3repE0EEENS1_30default_config_static_selectorELNS0_4arch9wavefront6targetE1EEEvT1_, .Lfunc_end690-_ZN7rocprim17ROCPRIM_400000_NS6detail17trampoline_kernelINS0_14default_configENS1_29reduce_by_key_config_selectorIssN6thrust23THRUST_200600_302600_NS4plusIsEEEEZZNS1_33reduce_by_key_impl_wrapped_configILNS1_25lookback_scan_determinismE0ES3_S9_NS6_6detail15normal_iteratorINS6_10device_ptrIsEEEESG_SG_SG_PmS8_22is_equal_div_10_reduceIsEEE10hipError_tPvRmT2_T3_mT4_T5_T6_T7_T8_P12ihipStream_tbENKUlT_T0_E_clISt17integral_constantIbLb0EES10_IbLb1EEEEDaSW_SX_EUlSW_E_NS1_11comp_targetILNS1_3genE4ELNS1_11target_archE910ELNS1_3gpuE8ELNS1_3repE0EEENS1_30default_config_static_selectorELNS0_4arch9wavefront6targetE1EEEvT1_
                                        ; -- End function
	.section	.AMDGPU.csdata,"",@progbits
; Kernel info:
; codeLenInByte = 19884
; NumSgprs: 70
; NumVgprs: 111
; NumAgprs: 0
; TotalNumVgprs: 111
; ScratchSize: 0
; MemoryBound: 0
; FloatMode: 240
; IeeeMode: 1
; LDSByteSize: 7680 bytes/workgroup (compile time only)
; SGPRBlocks: 8
; VGPRBlocks: 13
; NumSGPRsForWavesPerEU: 70
; NumVGPRsForWavesPerEU: 111
; AccumOffset: 112
; Occupancy: 4
; WaveLimiterHint : 1
; COMPUTE_PGM_RSRC2:SCRATCH_EN: 0
; COMPUTE_PGM_RSRC2:USER_SGPR: 6
; COMPUTE_PGM_RSRC2:TRAP_HANDLER: 0
; COMPUTE_PGM_RSRC2:TGID_X_EN: 1
; COMPUTE_PGM_RSRC2:TGID_Y_EN: 0
; COMPUTE_PGM_RSRC2:TGID_Z_EN: 0
; COMPUTE_PGM_RSRC2:TIDIG_COMP_CNT: 0
; COMPUTE_PGM_RSRC3_GFX90A:ACCUM_OFFSET: 27
; COMPUTE_PGM_RSRC3_GFX90A:TG_SPLIT: 0
	.section	.text._ZN7rocprim17ROCPRIM_400000_NS6detail17trampoline_kernelINS0_14default_configENS1_29reduce_by_key_config_selectorIssN6thrust23THRUST_200600_302600_NS4plusIsEEEEZZNS1_33reduce_by_key_impl_wrapped_configILNS1_25lookback_scan_determinismE0ES3_S9_NS6_6detail15normal_iteratorINS6_10device_ptrIsEEEESG_SG_SG_PmS8_22is_equal_div_10_reduceIsEEE10hipError_tPvRmT2_T3_mT4_T5_T6_T7_T8_P12ihipStream_tbENKUlT_T0_E_clISt17integral_constantIbLb0EES10_IbLb1EEEEDaSW_SX_EUlSW_E_NS1_11comp_targetILNS1_3genE3ELNS1_11target_archE908ELNS1_3gpuE7ELNS1_3repE0EEENS1_30default_config_static_selectorELNS0_4arch9wavefront6targetE1EEEvT1_,"axG",@progbits,_ZN7rocprim17ROCPRIM_400000_NS6detail17trampoline_kernelINS0_14default_configENS1_29reduce_by_key_config_selectorIssN6thrust23THRUST_200600_302600_NS4plusIsEEEEZZNS1_33reduce_by_key_impl_wrapped_configILNS1_25lookback_scan_determinismE0ES3_S9_NS6_6detail15normal_iteratorINS6_10device_ptrIsEEEESG_SG_SG_PmS8_22is_equal_div_10_reduceIsEEE10hipError_tPvRmT2_T3_mT4_T5_T6_T7_T8_P12ihipStream_tbENKUlT_T0_E_clISt17integral_constantIbLb0EES10_IbLb1EEEEDaSW_SX_EUlSW_E_NS1_11comp_targetILNS1_3genE3ELNS1_11target_archE908ELNS1_3gpuE7ELNS1_3repE0EEENS1_30default_config_static_selectorELNS0_4arch9wavefront6targetE1EEEvT1_,comdat
	.protected	_ZN7rocprim17ROCPRIM_400000_NS6detail17trampoline_kernelINS0_14default_configENS1_29reduce_by_key_config_selectorIssN6thrust23THRUST_200600_302600_NS4plusIsEEEEZZNS1_33reduce_by_key_impl_wrapped_configILNS1_25lookback_scan_determinismE0ES3_S9_NS6_6detail15normal_iteratorINS6_10device_ptrIsEEEESG_SG_SG_PmS8_22is_equal_div_10_reduceIsEEE10hipError_tPvRmT2_T3_mT4_T5_T6_T7_T8_P12ihipStream_tbENKUlT_T0_E_clISt17integral_constantIbLb0EES10_IbLb1EEEEDaSW_SX_EUlSW_E_NS1_11comp_targetILNS1_3genE3ELNS1_11target_archE908ELNS1_3gpuE7ELNS1_3repE0EEENS1_30default_config_static_selectorELNS0_4arch9wavefront6targetE1EEEvT1_ ; -- Begin function _ZN7rocprim17ROCPRIM_400000_NS6detail17trampoline_kernelINS0_14default_configENS1_29reduce_by_key_config_selectorIssN6thrust23THRUST_200600_302600_NS4plusIsEEEEZZNS1_33reduce_by_key_impl_wrapped_configILNS1_25lookback_scan_determinismE0ES3_S9_NS6_6detail15normal_iteratorINS6_10device_ptrIsEEEESG_SG_SG_PmS8_22is_equal_div_10_reduceIsEEE10hipError_tPvRmT2_T3_mT4_T5_T6_T7_T8_P12ihipStream_tbENKUlT_T0_E_clISt17integral_constantIbLb0EES10_IbLb1EEEEDaSW_SX_EUlSW_E_NS1_11comp_targetILNS1_3genE3ELNS1_11target_archE908ELNS1_3gpuE7ELNS1_3repE0EEENS1_30default_config_static_selectorELNS0_4arch9wavefront6targetE1EEEvT1_
	.globl	_ZN7rocprim17ROCPRIM_400000_NS6detail17trampoline_kernelINS0_14default_configENS1_29reduce_by_key_config_selectorIssN6thrust23THRUST_200600_302600_NS4plusIsEEEEZZNS1_33reduce_by_key_impl_wrapped_configILNS1_25lookback_scan_determinismE0ES3_S9_NS6_6detail15normal_iteratorINS6_10device_ptrIsEEEESG_SG_SG_PmS8_22is_equal_div_10_reduceIsEEE10hipError_tPvRmT2_T3_mT4_T5_T6_T7_T8_P12ihipStream_tbENKUlT_T0_E_clISt17integral_constantIbLb0EES10_IbLb1EEEEDaSW_SX_EUlSW_E_NS1_11comp_targetILNS1_3genE3ELNS1_11target_archE908ELNS1_3gpuE7ELNS1_3repE0EEENS1_30default_config_static_selectorELNS0_4arch9wavefront6targetE1EEEvT1_
	.p2align	8
	.type	_ZN7rocprim17ROCPRIM_400000_NS6detail17trampoline_kernelINS0_14default_configENS1_29reduce_by_key_config_selectorIssN6thrust23THRUST_200600_302600_NS4plusIsEEEEZZNS1_33reduce_by_key_impl_wrapped_configILNS1_25lookback_scan_determinismE0ES3_S9_NS6_6detail15normal_iteratorINS6_10device_ptrIsEEEESG_SG_SG_PmS8_22is_equal_div_10_reduceIsEEE10hipError_tPvRmT2_T3_mT4_T5_T6_T7_T8_P12ihipStream_tbENKUlT_T0_E_clISt17integral_constantIbLb0EES10_IbLb1EEEEDaSW_SX_EUlSW_E_NS1_11comp_targetILNS1_3genE3ELNS1_11target_archE908ELNS1_3gpuE7ELNS1_3repE0EEENS1_30default_config_static_selectorELNS0_4arch9wavefront6targetE1EEEvT1_,@function
_ZN7rocprim17ROCPRIM_400000_NS6detail17trampoline_kernelINS0_14default_configENS1_29reduce_by_key_config_selectorIssN6thrust23THRUST_200600_302600_NS4plusIsEEEEZZNS1_33reduce_by_key_impl_wrapped_configILNS1_25lookback_scan_determinismE0ES3_S9_NS6_6detail15normal_iteratorINS6_10device_ptrIsEEEESG_SG_SG_PmS8_22is_equal_div_10_reduceIsEEE10hipError_tPvRmT2_T3_mT4_T5_T6_T7_T8_P12ihipStream_tbENKUlT_T0_E_clISt17integral_constantIbLb0EES10_IbLb1EEEEDaSW_SX_EUlSW_E_NS1_11comp_targetILNS1_3genE3ELNS1_11target_archE908ELNS1_3gpuE7ELNS1_3repE0EEENS1_30default_config_static_selectorELNS0_4arch9wavefront6targetE1EEEvT1_: ; @_ZN7rocprim17ROCPRIM_400000_NS6detail17trampoline_kernelINS0_14default_configENS1_29reduce_by_key_config_selectorIssN6thrust23THRUST_200600_302600_NS4plusIsEEEEZZNS1_33reduce_by_key_impl_wrapped_configILNS1_25lookback_scan_determinismE0ES3_S9_NS6_6detail15normal_iteratorINS6_10device_ptrIsEEEESG_SG_SG_PmS8_22is_equal_div_10_reduceIsEEE10hipError_tPvRmT2_T3_mT4_T5_T6_T7_T8_P12ihipStream_tbENKUlT_T0_E_clISt17integral_constantIbLb0EES10_IbLb1EEEEDaSW_SX_EUlSW_E_NS1_11comp_targetILNS1_3genE3ELNS1_11target_archE908ELNS1_3gpuE7ELNS1_3repE0EEENS1_30default_config_static_selectorELNS0_4arch9wavefront6targetE1EEEvT1_
; %bb.0:
	.section	.rodata,"a",@progbits
	.p2align	6, 0x0
	.amdhsa_kernel _ZN7rocprim17ROCPRIM_400000_NS6detail17trampoline_kernelINS0_14default_configENS1_29reduce_by_key_config_selectorIssN6thrust23THRUST_200600_302600_NS4plusIsEEEEZZNS1_33reduce_by_key_impl_wrapped_configILNS1_25lookback_scan_determinismE0ES3_S9_NS6_6detail15normal_iteratorINS6_10device_ptrIsEEEESG_SG_SG_PmS8_22is_equal_div_10_reduceIsEEE10hipError_tPvRmT2_T3_mT4_T5_T6_T7_T8_P12ihipStream_tbENKUlT_T0_E_clISt17integral_constantIbLb0EES10_IbLb1EEEEDaSW_SX_EUlSW_E_NS1_11comp_targetILNS1_3genE3ELNS1_11target_archE908ELNS1_3gpuE7ELNS1_3repE0EEENS1_30default_config_static_selectorELNS0_4arch9wavefront6targetE1EEEvT1_
		.amdhsa_group_segment_fixed_size 0
		.amdhsa_private_segment_fixed_size 0
		.amdhsa_kernarg_size 120
		.amdhsa_user_sgpr_count 6
		.amdhsa_user_sgpr_private_segment_buffer 1
		.amdhsa_user_sgpr_dispatch_ptr 0
		.amdhsa_user_sgpr_queue_ptr 0
		.amdhsa_user_sgpr_kernarg_segment_ptr 1
		.amdhsa_user_sgpr_dispatch_id 0
		.amdhsa_user_sgpr_flat_scratch_init 0
		.amdhsa_user_sgpr_kernarg_preload_length 0
		.amdhsa_user_sgpr_kernarg_preload_offset 0
		.amdhsa_user_sgpr_private_segment_size 0
		.amdhsa_uses_dynamic_stack 0
		.amdhsa_system_sgpr_private_segment_wavefront_offset 0
		.amdhsa_system_sgpr_workgroup_id_x 1
		.amdhsa_system_sgpr_workgroup_id_y 0
		.amdhsa_system_sgpr_workgroup_id_z 0
		.amdhsa_system_sgpr_workgroup_info 0
		.amdhsa_system_vgpr_workitem_id 0
		.amdhsa_next_free_vgpr 1
		.amdhsa_next_free_sgpr 0
		.amdhsa_accum_offset 4
		.amdhsa_reserve_vcc 0
		.amdhsa_reserve_flat_scratch 0
		.amdhsa_float_round_mode_32 0
		.amdhsa_float_round_mode_16_64 0
		.amdhsa_float_denorm_mode_32 3
		.amdhsa_float_denorm_mode_16_64 3
		.amdhsa_dx10_clamp 1
		.amdhsa_ieee_mode 1
		.amdhsa_fp16_overflow 0
		.amdhsa_tg_split 0
		.amdhsa_exception_fp_ieee_invalid_op 0
		.amdhsa_exception_fp_denorm_src 0
		.amdhsa_exception_fp_ieee_div_zero 0
		.amdhsa_exception_fp_ieee_overflow 0
		.amdhsa_exception_fp_ieee_underflow 0
		.amdhsa_exception_fp_ieee_inexact 0
		.amdhsa_exception_int_div_zero 0
	.end_amdhsa_kernel
	.section	.text._ZN7rocprim17ROCPRIM_400000_NS6detail17trampoline_kernelINS0_14default_configENS1_29reduce_by_key_config_selectorIssN6thrust23THRUST_200600_302600_NS4plusIsEEEEZZNS1_33reduce_by_key_impl_wrapped_configILNS1_25lookback_scan_determinismE0ES3_S9_NS6_6detail15normal_iteratorINS6_10device_ptrIsEEEESG_SG_SG_PmS8_22is_equal_div_10_reduceIsEEE10hipError_tPvRmT2_T3_mT4_T5_T6_T7_T8_P12ihipStream_tbENKUlT_T0_E_clISt17integral_constantIbLb0EES10_IbLb1EEEEDaSW_SX_EUlSW_E_NS1_11comp_targetILNS1_3genE3ELNS1_11target_archE908ELNS1_3gpuE7ELNS1_3repE0EEENS1_30default_config_static_selectorELNS0_4arch9wavefront6targetE1EEEvT1_,"axG",@progbits,_ZN7rocprim17ROCPRIM_400000_NS6detail17trampoline_kernelINS0_14default_configENS1_29reduce_by_key_config_selectorIssN6thrust23THRUST_200600_302600_NS4plusIsEEEEZZNS1_33reduce_by_key_impl_wrapped_configILNS1_25lookback_scan_determinismE0ES3_S9_NS6_6detail15normal_iteratorINS6_10device_ptrIsEEEESG_SG_SG_PmS8_22is_equal_div_10_reduceIsEEE10hipError_tPvRmT2_T3_mT4_T5_T6_T7_T8_P12ihipStream_tbENKUlT_T0_E_clISt17integral_constantIbLb0EES10_IbLb1EEEEDaSW_SX_EUlSW_E_NS1_11comp_targetILNS1_3genE3ELNS1_11target_archE908ELNS1_3gpuE7ELNS1_3repE0EEENS1_30default_config_static_selectorELNS0_4arch9wavefront6targetE1EEEvT1_,comdat
.Lfunc_end691:
	.size	_ZN7rocprim17ROCPRIM_400000_NS6detail17trampoline_kernelINS0_14default_configENS1_29reduce_by_key_config_selectorIssN6thrust23THRUST_200600_302600_NS4plusIsEEEEZZNS1_33reduce_by_key_impl_wrapped_configILNS1_25lookback_scan_determinismE0ES3_S9_NS6_6detail15normal_iteratorINS6_10device_ptrIsEEEESG_SG_SG_PmS8_22is_equal_div_10_reduceIsEEE10hipError_tPvRmT2_T3_mT4_T5_T6_T7_T8_P12ihipStream_tbENKUlT_T0_E_clISt17integral_constantIbLb0EES10_IbLb1EEEEDaSW_SX_EUlSW_E_NS1_11comp_targetILNS1_3genE3ELNS1_11target_archE908ELNS1_3gpuE7ELNS1_3repE0EEENS1_30default_config_static_selectorELNS0_4arch9wavefront6targetE1EEEvT1_, .Lfunc_end691-_ZN7rocprim17ROCPRIM_400000_NS6detail17trampoline_kernelINS0_14default_configENS1_29reduce_by_key_config_selectorIssN6thrust23THRUST_200600_302600_NS4plusIsEEEEZZNS1_33reduce_by_key_impl_wrapped_configILNS1_25lookback_scan_determinismE0ES3_S9_NS6_6detail15normal_iteratorINS6_10device_ptrIsEEEESG_SG_SG_PmS8_22is_equal_div_10_reduceIsEEE10hipError_tPvRmT2_T3_mT4_T5_T6_T7_T8_P12ihipStream_tbENKUlT_T0_E_clISt17integral_constantIbLb0EES10_IbLb1EEEEDaSW_SX_EUlSW_E_NS1_11comp_targetILNS1_3genE3ELNS1_11target_archE908ELNS1_3gpuE7ELNS1_3repE0EEENS1_30default_config_static_selectorELNS0_4arch9wavefront6targetE1EEEvT1_
                                        ; -- End function
	.section	.AMDGPU.csdata,"",@progbits
; Kernel info:
; codeLenInByte = 0
; NumSgprs: 4
; NumVgprs: 0
; NumAgprs: 0
; TotalNumVgprs: 0
; ScratchSize: 0
; MemoryBound: 0
; FloatMode: 240
; IeeeMode: 1
; LDSByteSize: 0 bytes/workgroup (compile time only)
; SGPRBlocks: 0
; VGPRBlocks: 0
; NumSGPRsForWavesPerEU: 4
; NumVGPRsForWavesPerEU: 1
; AccumOffset: 4
; Occupancy: 8
; WaveLimiterHint : 0
; COMPUTE_PGM_RSRC2:SCRATCH_EN: 0
; COMPUTE_PGM_RSRC2:USER_SGPR: 6
; COMPUTE_PGM_RSRC2:TRAP_HANDLER: 0
; COMPUTE_PGM_RSRC2:TGID_X_EN: 1
; COMPUTE_PGM_RSRC2:TGID_Y_EN: 0
; COMPUTE_PGM_RSRC2:TGID_Z_EN: 0
; COMPUTE_PGM_RSRC2:TIDIG_COMP_CNT: 0
; COMPUTE_PGM_RSRC3_GFX90A:ACCUM_OFFSET: 0
; COMPUTE_PGM_RSRC3_GFX90A:TG_SPLIT: 0
	.section	.text._ZN7rocprim17ROCPRIM_400000_NS6detail17trampoline_kernelINS0_14default_configENS1_29reduce_by_key_config_selectorIssN6thrust23THRUST_200600_302600_NS4plusIsEEEEZZNS1_33reduce_by_key_impl_wrapped_configILNS1_25lookback_scan_determinismE0ES3_S9_NS6_6detail15normal_iteratorINS6_10device_ptrIsEEEESG_SG_SG_PmS8_22is_equal_div_10_reduceIsEEE10hipError_tPvRmT2_T3_mT4_T5_T6_T7_T8_P12ihipStream_tbENKUlT_T0_E_clISt17integral_constantIbLb0EES10_IbLb1EEEEDaSW_SX_EUlSW_E_NS1_11comp_targetILNS1_3genE2ELNS1_11target_archE906ELNS1_3gpuE6ELNS1_3repE0EEENS1_30default_config_static_selectorELNS0_4arch9wavefront6targetE1EEEvT1_,"axG",@progbits,_ZN7rocprim17ROCPRIM_400000_NS6detail17trampoline_kernelINS0_14default_configENS1_29reduce_by_key_config_selectorIssN6thrust23THRUST_200600_302600_NS4plusIsEEEEZZNS1_33reduce_by_key_impl_wrapped_configILNS1_25lookback_scan_determinismE0ES3_S9_NS6_6detail15normal_iteratorINS6_10device_ptrIsEEEESG_SG_SG_PmS8_22is_equal_div_10_reduceIsEEE10hipError_tPvRmT2_T3_mT4_T5_T6_T7_T8_P12ihipStream_tbENKUlT_T0_E_clISt17integral_constantIbLb0EES10_IbLb1EEEEDaSW_SX_EUlSW_E_NS1_11comp_targetILNS1_3genE2ELNS1_11target_archE906ELNS1_3gpuE6ELNS1_3repE0EEENS1_30default_config_static_selectorELNS0_4arch9wavefront6targetE1EEEvT1_,comdat
	.protected	_ZN7rocprim17ROCPRIM_400000_NS6detail17trampoline_kernelINS0_14default_configENS1_29reduce_by_key_config_selectorIssN6thrust23THRUST_200600_302600_NS4plusIsEEEEZZNS1_33reduce_by_key_impl_wrapped_configILNS1_25lookback_scan_determinismE0ES3_S9_NS6_6detail15normal_iteratorINS6_10device_ptrIsEEEESG_SG_SG_PmS8_22is_equal_div_10_reduceIsEEE10hipError_tPvRmT2_T3_mT4_T5_T6_T7_T8_P12ihipStream_tbENKUlT_T0_E_clISt17integral_constantIbLb0EES10_IbLb1EEEEDaSW_SX_EUlSW_E_NS1_11comp_targetILNS1_3genE2ELNS1_11target_archE906ELNS1_3gpuE6ELNS1_3repE0EEENS1_30default_config_static_selectorELNS0_4arch9wavefront6targetE1EEEvT1_ ; -- Begin function _ZN7rocprim17ROCPRIM_400000_NS6detail17trampoline_kernelINS0_14default_configENS1_29reduce_by_key_config_selectorIssN6thrust23THRUST_200600_302600_NS4plusIsEEEEZZNS1_33reduce_by_key_impl_wrapped_configILNS1_25lookback_scan_determinismE0ES3_S9_NS6_6detail15normal_iteratorINS6_10device_ptrIsEEEESG_SG_SG_PmS8_22is_equal_div_10_reduceIsEEE10hipError_tPvRmT2_T3_mT4_T5_T6_T7_T8_P12ihipStream_tbENKUlT_T0_E_clISt17integral_constantIbLb0EES10_IbLb1EEEEDaSW_SX_EUlSW_E_NS1_11comp_targetILNS1_3genE2ELNS1_11target_archE906ELNS1_3gpuE6ELNS1_3repE0EEENS1_30default_config_static_selectorELNS0_4arch9wavefront6targetE1EEEvT1_
	.globl	_ZN7rocprim17ROCPRIM_400000_NS6detail17trampoline_kernelINS0_14default_configENS1_29reduce_by_key_config_selectorIssN6thrust23THRUST_200600_302600_NS4plusIsEEEEZZNS1_33reduce_by_key_impl_wrapped_configILNS1_25lookback_scan_determinismE0ES3_S9_NS6_6detail15normal_iteratorINS6_10device_ptrIsEEEESG_SG_SG_PmS8_22is_equal_div_10_reduceIsEEE10hipError_tPvRmT2_T3_mT4_T5_T6_T7_T8_P12ihipStream_tbENKUlT_T0_E_clISt17integral_constantIbLb0EES10_IbLb1EEEEDaSW_SX_EUlSW_E_NS1_11comp_targetILNS1_3genE2ELNS1_11target_archE906ELNS1_3gpuE6ELNS1_3repE0EEENS1_30default_config_static_selectorELNS0_4arch9wavefront6targetE1EEEvT1_
	.p2align	8
	.type	_ZN7rocprim17ROCPRIM_400000_NS6detail17trampoline_kernelINS0_14default_configENS1_29reduce_by_key_config_selectorIssN6thrust23THRUST_200600_302600_NS4plusIsEEEEZZNS1_33reduce_by_key_impl_wrapped_configILNS1_25lookback_scan_determinismE0ES3_S9_NS6_6detail15normal_iteratorINS6_10device_ptrIsEEEESG_SG_SG_PmS8_22is_equal_div_10_reduceIsEEE10hipError_tPvRmT2_T3_mT4_T5_T6_T7_T8_P12ihipStream_tbENKUlT_T0_E_clISt17integral_constantIbLb0EES10_IbLb1EEEEDaSW_SX_EUlSW_E_NS1_11comp_targetILNS1_3genE2ELNS1_11target_archE906ELNS1_3gpuE6ELNS1_3repE0EEENS1_30default_config_static_selectorELNS0_4arch9wavefront6targetE1EEEvT1_,@function
_ZN7rocprim17ROCPRIM_400000_NS6detail17trampoline_kernelINS0_14default_configENS1_29reduce_by_key_config_selectorIssN6thrust23THRUST_200600_302600_NS4plusIsEEEEZZNS1_33reduce_by_key_impl_wrapped_configILNS1_25lookback_scan_determinismE0ES3_S9_NS6_6detail15normal_iteratorINS6_10device_ptrIsEEEESG_SG_SG_PmS8_22is_equal_div_10_reduceIsEEE10hipError_tPvRmT2_T3_mT4_T5_T6_T7_T8_P12ihipStream_tbENKUlT_T0_E_clISt17integral_constantIbLb0EES10_IbLb1EEEEDaSW_SX_EUlSW_E_NS1_11comp_targetILNS1_3genE2ELNS1_11target_archE906ELNS1_3gpuE6ELNS1_3repE0EEENS1_30default_config_static_selectorELNS0_4arch9wavefront6targetE1EEEvT1_: ; @_ZN7rocprim17ROCPRIM_400000_NS6detail17trampoline_kernelINS0_14default_configENS1_29reduce_by_key_config_selectorIssN6thrust23THRUST_200600_302600_NS4plusIsEEEEZZNS1_33reduce_by_key_impl_wrapped_configILNS1_25lookback_scan_determinismE0ES3_S9_NS6_6detail15normal_iteratorINS6_10device_ptrIsEEEESG_SG_SG_PmS8_22is_equal_div_10_reduceIsEEE10hipError_tPvRmT2_T3_mT4_T5_T6_T7_T8_P12ihipStream_tbENKUlT_T0_E_clISt17integral_constantIbLb0EES10_IbLb1EEEEDaSW_SX_EUlSW_E_NS1_11comp_targetILNS1_3genE2ELNS1_11target_archE906ELNS1_3gpuE6ELNS1_3repE0EEENS1_30default_config_static_selectorELNS0_4arch9wavefront6targetE1EEEvT1_
; %bb.0:
	.section	.rodata,"a",@progbits
	.p2align	6, 0x0
	.amdhsa_kernel _ZN7rocprim17ROCPRIM_400000_NS6detail17trampoline_kernelINS0_14default_configENS1_29reduce_by_key_config_selectorIssN6thrust23THRUST_200600_302600_NS4plusIsEEEEZZNS1_33reduce_by_key_impl_wrapped_configILNS1_25lookback_scan_determinismE0ES3_S9_NS6_6detail15normal_iteratorINS6_10device_ptrIsEEEESG_SG_SG_PmS8_22is_equal_div_10_reduceIsEEE10hipError_tPvRmT2_T3_mT4_T5_T6_T7_T8_P12ihipStream_tbENKUlT_T0_E_clISt17integral_constantIbLb0EES10_IbLb1EEEEDaSW_SX_EUlSW_E_NS1_11comp_targetILNS1_3genE2ELNS1_11target_archE906ELNS1_3gpuE6ELNS1_3repE0EEENS1_30default_config_static_selectorELNS0_4arch9wavefront6targetE1EEEvT1_
		.amdhsa_group_segment_fixed_size 0
		.amdhsa_private_segment_fixed_size 0
		.amdhsa_kernarg_size 120
		.amdhsa_user_sgpr_count 6
		.amdhsa_user_sgpr_private_segment_buffer 1
		.amdhsa_user_sgpr_dispatch_ptr 0
		.amdhsa_user_sgpr_queue_ptr 0
		.amdhsa_user_sgpr_kernarg_segment_ptr 1
		.amdhsa_user_sgpr_dispatch_id 0
		.amdhsa_user_sgpr_flat_scratch_init 0
		.amdhsa_user_sgpr_kernarg_preload_length 0
		.amdhsa_user_sgpr_kernarg_preload_offset 0
		.amdhsa_user_sgpr_private_segment_size 0
		.amdhsa_uses_dynamic_stack 0
		.amdhsa_system_sgpr_private_segment_wavefront_offset 0
		.amdhsa_system_sgpr_workgroup_id_x 1
		.amdhsa_system_sgpr_workgroup_id_y 0
		.amdhsa_system_sgpr_workgroup_id_z 0
		.amdhsa_system_sgpr_workgroup_info 0
		.amdhsa_system_vgpr_workitem_id 0
		.amdhsa_next_free_vgpr 1
		.amdhsa_next_free_sgpr 0
		.amdhsa_accum_offset 4
		.amdhsa_reserve_vcc 0
		.amdhsa_reserve_flat_scratch 0
		.amdhsa_float_round_mode_32 0
		.amdhsa_float_round_mode_16_64 0
		.amdhsa_float_denorm_mode_32 3
		.amdhsa_float_denorm_mode_16_64 3
		.amdhsa_dx10_clamp 1
		.amdhsa_ieee_mode 1
		.amdhsa_fp16_overflow 0
		.amdhsa_tg_split 0
		.amdhsa_exception_fp_ieee_invalid_op 0
		.amdhsa_exception_fp_denorm_src 0
		.amdhsa_exception_fp_ieee_div_zero 0
		.amdhsa_exception_fp_ieee_overflow 0
		.amdhsa_exception_fp_ieee_underflow 0
		.amdhsa_exception_fp_ieee_inexact 0
		.amdhsa_exception_int_div_zero 0
	.end_amdhsa_kernel
	.section	.text._ZN7rocprim17ROCPRIM_400000_NS6detail17trampoline_kernelINS0_14default_configENS1_29reduce_by_key_config_selectorIssN6thrust23THRUST_200600_302600_NS4plusIsEEEEZZNS1_33reduce_by_key_impl_wrapped_configILNS1_25lookback_scan_determinismE0ES3_S9_NS6_6detail15normal_iteratorINS6_10device_ptrIsEEEESG_SG_SG_PmS8_22is_equal_div_10_reduceIsEEE10hipError_tPvRmT2_T3_mT4_T5_T6_T7_T8_P12ihipStream_tbENKUlT_T0_E_clISt17integral_constantIbLb0EES10_IbLb1EEEEDaSW_SX_EUlSW_E_NS1_11comp_targetILNS1_3genE2ELNS1_11target_archE906ELNS1_3gpuE6ELNS1_3repE0EEENS1_30default_config_static_selectorELNS0_4arch9wavefront6targetE1EEEvT1_,"axG",@progbits,_ZN7rocprim17ROCPRIM_400000_NS6detail17trampoline_kernelINS0_14default_configENS1_29reduce_by_key_config_selectorIssN6thrust23THRUST_200600_302600_NS4plusIsEEEEZZNS1_33reduce_by_key_impl_wrapped_configILNS1_25lookback_scan_determinismE0ES3_S9_NS6_6detail15normal_iteratorINS6_10device_ptrIsEEEESG_SG_SG_PmS8_22is_equal_div_10_reduceIsEEE10hipError_tPvRmT2_T3_mT4_T5_T6_T7_T8_P12ihipStream_tbENKUlT_T0_E_clISt17integral_constantIbLb0EES10_IbLb1EEEEDaSW_SX_EUlSW_E_NS1_11comp_targetILNS1_3genE2ELNS1_11target_archE906ELNS1_3gpuE6ELNS1_3repE0EEENS1_30default_config_static_selectorELNS0_4arch9wavefront6targetE1EEEvT1_,comdat
.Lfunc_end692:
	.size	_ZN7rocprim17ROCPRIM_400000_NS6detail17trampoline_kernelINS0_14default_configENS1_29reduce_by_key_config_selectorIssN6thrust23THRUST_200600_302600_NS4plusIsEEEEZZNS1_33reduce_by_key_impl_wrapped_configILNS1_25lookback_scan_determinismE0ES3_S9_NS6_6detail15normal_iteratorINS6_10device_ptrIsEEEESG_SG_SG_PmS8_22is_equal_div_10_reduceIsEEE10hipError_tPvRmT2_T3_mT4_T5_T6_T7_T8_P12ihipStream_tbENKUlT_T0_E_clISt17integral_constantIbLb0EES10_IbLb1EEEEDaSW_SX_EUlSW_E_NS1_11comp_targetILNS1_3genE2ELNS1_11target_archE906ELNS1_3gpuE6ELNS1_3repE0EEENS1_30default_config_static_selectorELNS0_4arch9wavefront6targetE1EEEvT1_, .Lfunc_end692-_ZN7rocprim17ROCPRIM_400000_NS6detail17trampoline_kernelINS0_14default_configENS1_29reduce_by_key_config_selectorIssN6thrust23THRUST_200600_302600_NS4plusIsEEEEZZNS1_33reduce_by_key_impl_wrapped_configILNS1_25lookback_scan_determinismE0ES3_S9_NS6_6detail15normal_iteratorINS6_10device_ptrIsEEEESG_SG_SG_PmS8_22is_equal_div_10_reduceIsEEE10hipError_tPvRmT2_T3_mT4_T5_T6_T7_T8_P12ihipStream_tbENKUlT_T0_E_clISt17integral_constantIbLb0EES10_IbLb1EEEEDaSW_SX_EUlSW_E_NS1_11comp_targetILNS1_3genE2ELNS1_11target_archE906ELNS1_3gpuE6ELNS1_3repE0EEENS1_30default_config_static_selectorELNS0_4arch9wavefront6targetE1EEEvT1_
                                        ; -- End function
	.section	.AMDGPU.csdata,"",@progbits
; Kernel info:
; codeLenInByte = 0
; NumSgprs: 4
; NumVgprs: 0
; NumAgprs: 0
; TotalNumVgprs: 0
; ScratchSize: 0
; MemoryBound: 0
; FloatMode: 240
; IeeeMode: 1
; LDSByteSize: 0 bytes/workgroup (compile time only)
; SGPRBlocks: 0
; VGPRBlocks: 0
; NumSGPRsForWavesPerEU: 4
; NumVGPRsForWavesPerEU: 1
; AccumOffset: 4
; Occupancy: 8
; WaveLimiterHint : 0
; COMPUTE_PGM_RSRC2:SCRATCH_EN: 0
; COMPUTE_PGM_RSRC2:USER_SGPR: 6
; COMPUTE_PGM_RSRC2:TRAP_HANDLER: 0
; COMPUTE_PGM_RSRC2:TGID_X_EN: 1
; COMPUTE_PGM_RSRC2:TGID_Y_EN: 0
; COMPUTE_PGM_RSRC2:TGID_Z_EN: 0
; COMPUTE_PGM_RSRC2:TIDIG_COMP_CNT: 0
; COMPUTE_PGM_RSRC3_GFX90A:ACCUM_OFFSET: 0
; COMPUTE_PGM_RSRC3_GFX90A:TG_SPLIT: 0
	.section	.text._ZN7rocprim17ROCPRIM_400000_NS6detail17trampoline_kernelINS0_14default_configENS1_29reduce_by_key_config_selectorIssN6thrust23THRUST_200600_302600_NS4plusIsEEEEZZNS1_33reduce_by_key_impl_wrapped_configILNS1_25lookback_scan_determinismE0ES3_S9_NS6_6detail15normal_iteratorINS6_10device_ptrIsEEEESG_SG_SG_PmS8_22is_equal_div_10_reduceIsEEE10hipError_tPvRmT2_T3_mT4_T5_T6_T7_T8_P12ihipStream_tbENKUlT_T0_E_clISt17integral_constantIbLb0EES10_IbLb1EEEEDaSW_SX_EUlSW_E_NS1_11comp_targetILNS1_3genE10ELNS1_11target_archE1201ELNS1_3gpuE5ELNS1_3repE0EEENS1_30default_config_static_selectorELNS0_4arch9wavefront6targetE1EEEvT1_,"axG",@progbits,_ZN7rocprim17ROCPRIM_400000_NS6detail17trampoline_kernelINS0_14default_configENS1_29reduce_by_key_config_selectorIssN6thrust23THRUST_200600_302600_NS4plusIsEEEEZZNS1_33reduce_by_key_impl_wrapped_configILNS1_25lookback_scan_determinismE0ES3_S9_NS6_6detail15normal_iteratorINS6_10device_ptrIsEEEESG_SG_SG_PmS8_22is_equal_div_10_reduceIsEEE10hipError_tPvRmT2_T3_mT4_T5_T6_T7_T8_P12ihipStream_tbENKUlT_T0_E_clISt17integral_constantIbLb0EES10_IbLb1EEEEDaSW_SX_EUlSW_E_NS1_11comp_targetILNS1_3genE10ELNS1_11target_archE1201ELNS1_3gpuE5ELNS1_3repE0EEENS1_30default_config_static_selectorELNS0_4arch9wavefront6targetE1EEEvT1_,comdat
	.protected	_ZN7rocprim17ROCPRIM_400000_NS6detail17trampoline_kernelINS0_14default_configENS1_29reduce_by_key_config_selectorIssN6thrust23THRUST_200600_302600_NS4plusIsEEEEZZNS1_33reduce_by_key_impl_wrapped_configILNS1_25lookback_scan_determinismE0ES3_S9_NS6_6detail15normal_iteratorINS6_10device_ptrIsEEEESG_SG_SG_PmS8_22is_equal_div_10_reduceIsEEE10hipError_tPvRmT2_T3_mT4_T5_T6_T7_T8_P12ihipStream_tbENKUlT_T0_E_clISt17integral_constantIbLb0EES10_IbLb1EEEEDaSW_SX_EUlSW_E_NS1_11comp_targetILNS1_3genE10ELNS1_11target_archE1201ELNS1_3gpuE5ELNS1_3repE0EEENS1_30default_config_static_selectorELNS0_4arch9wavefront6targetE1EEEvT1_ ; -- Begin function _ZN7rocprim17ROCPRIM_400000_NS6detail17trampoline_kernelINS0_14default_configENS1_29reduce_by_key_config_selectorIssN6thrust23THRUST_200600_302600_NS4plusIsEEEEZZNS1_33reduce_by_key_impl_wrapped_configILNS1_25lookback_scan_determinismE0ES3_S9_NS6_6detail15normal_iteratorINS6_10device_ptrIsEEEESG_SG_SG_PmS8_22is_equal_div_10_reduceIsEEE10hipError_tPvRmT2_T3_mT4_T5_T6_T7_T8_P12ihipStream_tbENKUlT_T0_E_clISt17integral_constantIbLb0EES10_IbLb1EEEEDaSW_SX_EUlSW_E_NS1_11comp_targetILNS1_3genE10ELNS1_11target_archE1201ELNS1_3gpuE5ELNS1_3repE0EEENS1_30default_config_static_selectorELNS0_4arch9wavefront6targetE1EEEvT1_
	.globl	_ZN7rocprim17ROCPRIM_400000_NS6detail17trampoline_kernelINS0_14default_configENS1_29reduce_by_key_config_selectorIssN6thrust23THRUST_200600_302600_NS4plusIsEEEEZZNS1_33reduce_by_key_impl_wrapped_configILNS1_25lookback_scan_determinismE0ES3_S9_NS6_6detail15normal_iteratorINS6_10device_ptrIsEEEESG_SG_SG_PmS8_22is_equal_div_10_reduceIsEEE10hipError_tPvRmT2_T3_mT4_T5_T6_T7_T8_P12ihipStream_tbENKUlT_T0_E_clISt17integral_constantIbLb0EES10_IbLb1EEEEDaSW_SX_EUlSW_E_NS1_11comp_targetILNS1_3genE10ELNS1_11target_archE1201ELNS1_3gpuE5ELNS1_3repE0EEENS1_30default_config_static_selectorELNS0_4arch9wavefront6targetE1EEEvT1_
	.p2align	8
	.type	_ZN7rocprim17ROCPRIM_400000_NS6detail17trampoline_kernelINS0_14default_configENS1_29reduce_by_key_config_selectorIssN6thrust23THRUST_200600_302600_NS4plusIsEEEEZZNS1_33reduce_by_key_impl_wrapped_configILNS1_25lookback_scan_determinismE0ES3_S9_NS6_6detail15normal_iteratorINS6_10device_ptrIsEEEESG_SG_SG_PmS8_22is_equal_div_10_reduceIsEEE10hipError_tPvRmT2_T3_mT4_T5_T6_T7_T8_P12ihipStream_tbENKUlT_T0_E_clISt17integral_constantIbLb0EES10_IbLb1EEEEDaSW_SX_EUlSW_E_NS1_11comp_targetILNS1_3genE10ELNS1_11target_archE1201ELNS1_3gpuE5ELNS1_3repE0EEENS1_30default_config_static_selectorELNS0_4arch9wavefront6targetE1EEEvT1_,@function
_ZN7rocprim17ROCPRIM_400000_NS6detail17trampoline_kernelINS0_14default_configENS1_29reduce_by_key_config_selectorIssN6thrust23THRUST_200600_302600_NS4plusIsEEEEZZNS1_33reduce_by_key_impl_wrapped_configILNS1_25lookback_scan_determinismE0ES3_S9_NS6_6detail15normal_iteratorINS6_10device_ptrIsEEEESG_SG_SG_PmS8_22is_equal_div_10_reduceIsEEE10hipError_tPvRmT2_T3_mT4_T5_T6_T7_T8_P12ihipStream_tbENKUlT_T0_E_clISt17integral_constantIbLb0EES10_IbLb1EEEEDaSW_SX_EUlSW_E_NS1_11comp_targetILNS1_3genE10ELNS1_11target_archE1201ELNS1_3gpuE5ELNS1_3repE0EEENS1_30default_config_static_selectorELNS0_4arch9wavefront6targetE1EEEvT1_: ; @_ZN7rocprim17ROCPRIM_400000_NS6detail17trampoline_kernelINS0_14default_configENS1_29reduce_by_key_config_selectorIssN6thrust23THRUST_200600_302600_NS4plusIsEEEEZZNS1_33reduce_by_key_impl_wrapped_configILNS1_25lookback_scan_determinismE0ES3_S9_NS6_6detail15normal_iteratorINS6_10device_ptrIsEEEESG_SG_SG_PmS8_22is_equal_div_10_reduceIsEEE10hipError_tPvRmT2_T3_mT4_T5_T6_T7_T8_P12ihipStream_tbENKUlT_T0_E_clISt17integral_constantIbLb0EES10_IbLb1EEEEDaSW_SX_EUlSW_E_NS1_11comp_targetILNS1_3genE10ELNS1_11target_archE1201ELNS1_3gpuE5ELNS1_3repE0EEENS1_30default_config_static_selectorELNS0_4arch9wavefront6targetE1EEEvT1_
; %bb.0:
	.section	.rodata,"a",@progbits
	.p2align	6, 0x0
	.amdhsa_kernel _ZN7rocprim17ROCPRIM_400000_NS6detail17trampoline_kernelINS0_14default_configENS1_29reduce_by_key_config_selectorIssN6thrust23THRUST_200600_302600_NS4plusIsEEEEZZNS1_33reduce_by_key_impl_wrapped_configILNS1_25lookback_scan_determinismE0ES3_S9_NS6_6detail15normal_iteratorINS6_10device_ptrIsEEEESG_SG_SG_PmS8_22is_equal_div_10_reduceIsEEE10hipError_tPvRmT2_T3_mT4_T5_T6_T7_T8_P12ihipStream_tbENKUlT_T0_E_clISt17integral_constantIbLb0EES10_IbLb1EEEEDaSW_SX_EUlSW_E_NS1_11comp_targetILNS1_3genE10ELNS1_11target_archE1201ELNS1_3gpuE5ELNS1_3repE0EEENS1_30default_config_static_selectorELNS0_4arch9wavefront6targetE1EEEvT1_
		.amdhsa_group_segment_fixed_size 0
		.amdhsa_private_segment_fixed_size 0
		.amdhsa_kernarg_size 120
		.amdhsa_user_sgpr_count 6
		.amdhsa_user_sgpr_private_segment_buffer 1
		.amdhsa_user_sgpr_dispatch_ptr 0
		.amdhsa_user_sgpr_queue_ptr 0
		.amdhsa_user_sgpr_kernarg_segment_ptr 1
		.amdhsa_user_sgpr_dispatch_id 0
		.amdhsa_user_sgpr_flat_scratch_init 0
		.amdhsa_user_sgpr_kernarg_preload_length 0
		.amdhsa_user_sgpr_kernarg_preload_offset 0
		.amdhsa_user_sgpr_private_segment_size 0
		.amdhsa_uses_dynamic_stack 0
		.amdhsa_system_sgpr_private_segment_wavefront_offset 0
		.amdhsa_system_sgpr_workgroup_id_x 1
		.amdhsa_system_sgpr_workgroup_id_y 0
		.amdhsa_system_sgpr_workgroup_id_z 0
		.amdhsa_system_sgpr_workgroup_info 0
		.amdhsa_system_vgpr_workitem_id 0
		.amdhsa_next_free_vgpr 1
		.amdhsa_next_free_sgpr 0
		.amdhsa_accum_offset 4
		.amdhsa_reserve_vcc 0
		.amdhsa_reserve_flat_scratch 0
		.amdhsa_float_round_mode_32 0
		.amdhsa_float_round_mode_16_64 0
		.amdhsa_float_denorm_mode_32 3
		.amdhsa_float_denorm_mode_16_64 3
		.amdhsa_dx10_clamp 1
		.amdhsa_ieee_mode 1
		.amdhsa_fp16_overflow 0
		.amdhsa_tg_split 0
		.amdhsa_exception_fp_ieee_invalid_op 0
		.amdhsa_exception_fp_denorm_src 0
		.amdhsa_exception_fp_ieee_div_zero 0
		.amdhsa_exception_fp_ieee_overflow 0
		.amdhsa_exception_fp_ieee_underflow 0
		.amdhsa_exception_fp_ieee_inexact 0
		.amdhsa_exception_int_div_zero 0
	.end_amdhsa_kernel
	.section	.text._ZN7rocprim17ROCPRIM_400000_NS6detail17trampoline_kernelINS0_14default_configENS1_29reduce_by_key_config_selectorIssN6thrust23THRUST_200600_302600_NS4plusIsEEEEZZNS1_33reduce_by_key_impl_wrapped_configILNS1_25lookback_scan_determinismE0ES3_S9_NS6_6detail15normal_iteratorINS6_10device_ptrIsEEEESG_SG_SG_PmS8_22is_equal_div_10_reduceIsEEE10hipError_tPvRmT2_T3_mT4_T5_T6_T7_T8_P12ihipStream_tbENKUlT_T0_E_clISt17integral_constantIbLb0EES10_IbLb1EEEEDaSW_SX_EUlSW_E_NS1_11comp_targetILNS1_3genE10ELNS1_11target_archE1201ELNS1_3gpuE5ELNS1_3repE0EEENS1_30default_config_static_selectorELNS0_4arch9wavefront6targetE1EEEvT1_,"axG",@progbits,_ZN7rocprim17ROCPRIM_400000_NS6detail17trampoline_kernelINS0_14default_configENS1_29reduce_by_key_config_selectorIssN6thrust23THRUST_200600_302600_NS4plusIsEEEEZZNS1_33reduce_by_key_impl_wrapped_configILNS1_25lookback_scan_determinismE0ES3_S9_NS6_6detail15normal_iteratorINS6_10device_ptrIsEEEESG_SG_SG_PmS8_22is_equal_div_10_reduceIsEEE10hipError_tPvRmT2_T3_mT4_T5_T6_T7_T8_P12ihipStream_tbENKUlT_T0_E_clISt17integral_constantIbLb0EES10_IbLb1EEEEDaSW_SX_EUlSW_E_NS1_11comp_targetILNS1_3genE10ELNS1_11target_archE1201ELNS1_3gpuE5ELNS1_3repE0EEENS1_30default_config_static_selectorELNS0_4arch9wavefront6targetE1EEEvT1_,comdat
.Lfunc_end693:
	.size	_ZN7rocprim17ROCPRIM_400000_NS6detail17trampoline_kernelINS0_14default_configENS1_29reduce_by_key_config_selectorIssN6thrust23THRUST_200600_302600_NS4plusIsEEEEZZNS1_33reduce_by_key_impl_wrapped_configILNS1_25lookback_scan_determinismE0ES3_S9_NS6_6detail15normal_iteratorINS6_10device_ptrIsEEEESG_SG_SG_PmS8_22is_equal_div_10_reduceIsEEE10hipError_tPvRmT2_T3_mT4_T5_T6_T7_T8_P12ihipStream_tbENKUlT_T0_E_clISt17integral_constantIbLb0EES10_IbLb1EEEEDaSW_SX_EUlSW_E_NS1_11comp_targetILNS1_3genE10ELNS1_11target_archE1201ELNS1_3gpuE5ELNS1_3repE0EEENS1_30default_config_static_selectorELNS0_4arch9wavefront6targetE1EEEvT1_, .Lfunc_end693-_ZN7rocprim17ROCPRIM_400000_NS6detail17trampoline_kernelINS0_14default_configENS1_29reduce_by_key_config_selectorIssN6thrust23THRUST_200600_302600_NS4plusIsEEEEZZNS1_33reduce_by_key_impl_wrapped_configILNS1_25lookback_scan_determinismE0ES3_S9_NS6_6detail15normal_iteratorINS6_10device_ptrIsEEEESG_SG_SG_PmS8_22is_equal_div_10_reduceIsEEE10hipError_tPvRmT2_T3_mT4_T5_T6_T7_T8_P12ihipStream_tbENKUlT_T0_E_clISt17integral_constantIbLb0EES10_IbLb1EEEEDaSW_SX_EUlSW_E_NS1_11comp_targetILNS1_3genE10ELNS1_11target_archE1201ELNS1_3gpuE5ELNS1_3repE0EEENS1_30default_config_static_selectorELNS0_4arch9wavefront6targetE1EEEvT1_
                                        ; -- End function
	.section	.AMDGPU.csdata,"",@progbits
; Kernel info:
; codeLenInByte = 0
; NumSgprs: 4
; NumVgprs: 0
; NumAgprs: 0
; TotalNumVgprs: 0
; ScratchSize: 0
; MemoryBound: 0
; FloatMode: 240
; IeeeMode: 1
; LDSByteSize: 0 bytes/workgroup (compile time only)
; SGPRBlocks: 0
; VGPRBlocks: 0
; NumSGPRsForWavesPerEU: 4
; NumVGPRsForWavesPerEU: 1
; AccumOffset: 4
; Occupancy: 8
; WaveLimiterHint : 0
; COMPUTE_PGM_RSRC2:SCRATCH_EN: 0
; COMPUTE_PGM_RSRC2:USER_SGPR: 6
; COMPUTE_PGM_RSRC2:TRAP_HANDLER: 0
; COMPUTE_PGM_RSRC2:TGID_X_EN: 1
; COMPUTE_PGM_RSRC2:TGID_Y_EN: 0
; COMPUTE_PGM_RSRC2:TGID_Z_EN: 0
; COMPUTE_PGM_RSRC2:TIDIG_COMP_CNT: 0
; COMPUTE_PGM_RSRC3_GFX90A:ACCUM_OFFSET: 0
; COMPUTE_PGM_RSRC3_GFX90A:TG_SPLIT: 0
	.section	.text._ZN7rocprim17ROCPRIM_400000_NS6detail17trampoline_kernelINS0_14default_configENS1_29reduce_by_key_config_selectorIssN6thrust23THRUST_200600_302600_NS4plusIsEEEEZZNS1_33reduce_by_key_impl_wrapped_configILNS1_25lookback_scan_determinismE0ES3_S9_NS6_6detail15normal_iteratorINS6_10device_ptrIsEEEESG_SG_SG_PmS8_22is_equal_div_10_reduceIsEEE10hipError_tPvRmT2_T3_mT4_T5_T6_T7_T8_P12ihipStream_tbENKUlT_T0_E_clISt17integral_constantIbLb0EES10_IbLb1EEEEDaSW_SX_EUlSW_E_NS1_11comp_targetILNS1_3genE10ELNS1_11target_archE1200ELNS1_3gpuE4ELNS1_3repE0EEENS1_30default_config_static_selectorELNS0_4arch9wavefront6targetE1EEEvT1_,"axG",@progbits,_ZN7rocprim17ROCPRIM_400000_NS6detail17trampoline_kernelINS0_14default_configENS1_29reduce_by_key_config_selectorIssN6thrust23THRUST_200600_302600_NS4plusIsEEEEZZNS1_33reduce_by_key_impl_wrapped_configILNS1_25lookback_scan_determinismE0ES3_S9_NS6_6detail15normal_iteratorINS6_10device_ptrIsEEEESG_SG_SG_PmS8_22is_equal_div_10_reduceIsEEE10hipError_tPvRmT2_T3_mT4_T5_T6_T7_T8_P12ihipStream_tbENKUlT_T0_E_clISt17integral_constantIbLb0EES10_IbLb1EEEEDaSW_SX_EUlSW_E_NS1_11comp_targetILNS1_3genE10ELNS1_11target_archE1200ELNS1_3gpuE4ELNS1_3repE0EEENS1_30default_config_static_selectorELNS0_4arch9wavefront6targetE1EEEvT1_,comdat
	.protected	_ZN7rocprim17ROCPRIM_400000_NS6detail17trampoline_kernelINS0_14default_configENS1_29reduce_by_key_config_selectorIssN6thrust23THRUST_200600_302600_NS4plusIsEEEEZZNS1_33reduce_by_key_impl_wrapped_configILNS1_25lookback_scan_determinismE0ES3_S9_NS6_6detail15normal_iteratorINS6_10device_ptrIsEEEESG_SG_SG_PmS8_22is_equal_div_10_reduceIsEEE10hipError_tPvRmT2_T3_mT4_T5_T6_T7_T8_P12ihipStream_tbENKUlT_T0_E_clISt17integral_constantIbLb0EES10_IbLb1EEEEDaSW_SX_EUlSW_E_NS1_11comp_targetILNS1_3genE10ELNS1_11target_archE1200ELNS1_3gpuE4ELNS1_3repE0EEENS1_30default_config_static_selectorELNS0_4arch9wavefront6targetE1EEEvT1_ ; -- Begin function _ZN7rocprim17ROCPRIM_400000_NS6detail17trampoline_kernelINS0_14default_configENS1_29reduce_by_key_config_selectorIssN6thrust23THRUST_200600_302600_NS4plusIsEEEEZZNS1_33reduce_by_key_impl_wrapped_configILNS1_25lookback_scan_determinismE0ES3_S9_NS6_6detail15normal_iteratorINS6_10device_ptrIsEEEESG_SG_SG_PmS8_22is_equal_div_10_reduceIsEEE10hipError_tPvRmT2_T3_mT4_T5_T6_T7_T8_P12ihipStream_tbENKUlT_T0_E_clISt17integral_constantIbLb0EES10_IbLb1EEEEDaSW_SX_EUlSW_E_NS1_11comp_targetILNS1_3genE10ELNS1_11target_archE1200ELNS1_3gpuE4ELNS1_3repE0EEENS1_30default_config_static_selectorELNS0_4arch9wavefront6targetE1EEEvT1_
	.globl	_ZN7rocprim17ROCPRIM_400000_NS6detail17trampoline_kernelINS0_14default_configENS1_29reduce_by_key_config_selectorIssN6thrust23THRUST_200600_302600_NS4plusIsEEEEZZNS1_33reduce_by_key_impl_wrapped_configILNS1_25lookback_scan_determinismE0ES3_S9_NS6_6detail15normal_iteratorINS6_10device_ptrIsEEEESG_SG_SG_PmS8_22is_equal_div_10_reduceIsEEE10hipError_tPvRmT2_T3_mT4_T5_T6_T7_T8_P12ihipStream_tbENKUlT_T0_E_clISt17integral_constantIbLb0EES10_IbLb1EEEEDaSW_SX_EUlSW_E_NS1_11comp_targetILNS1_3genE10ELNS1_11target_archE1200ELNS1_3gpuE4ELNS1_3repE0EEENS1_30default_config_static_selectorELNS0_4arch9wavefront6targetE1EEEvT1_
	.p2align	8
	.type	_ZN7rocprim17ROCPRIM_400000_NS6detail17trampoline_kernelINS0_14default_configENS1_29reduce_by_key_config_selectorIssN6thrust23THRUST_200600_302600_NS4plusIsEEEEZZNS1_33reduce_by_key_impl_wrapped_configILNS1_25lookback_scan_determinismE0ES3_S9_NS6_6detail15normal_iteratorINS6_10device_ptrIsEEEESG_SG_SG_PmS8_22is_equal_div_10_reduceIsEEE10hipError_tPvRmT2_T3_mT4_T5_T6_T7_T8_P12ihipStream_tbENKUlT_T0_E_clISt17integral_constantIbLb0EES10_IbLb1EEEEDaSW_SX_EUlSW_E_NS1_11comp_targetILNS1_3genE10ELNS1_11target_archE1200ELNS1_3gpuE4ELNS1_3repE0EEENS1_30default_config_static_selectorELNS0_4arch9wavefront6targetE1EEEvT1_,@function
_ZN7rocprim17ROCPRIM_400000_NS6detail17trampoline_kernelINS0_14default_configENS1_29reduce_by_key_config_selectorIssN6thrust23THRUST_200600_302600_NS4plusIsEEEEZZNS1_33reduce_by_key_impl_wrapped_configILNS1_25lookback_scan_determinismE0ES3_S9_NS6_6detail15normal_iteratorINS6_10device_ptrIsEEEESG_SG_SG_PmS8_22is_equal_div_10_reduceIsEEE10hipError_tPvRmT2_T3_mT4_T5_T6_T7_T8_P12ihipStream_tbENKUlT_T0_E_clISt17integral_constantIbLb0EES10_IbLb1EEEEDaSW_SX_EUlSW_E_NS1_11comp_targetILNS1_3genE10ELNS1_11target_archE1200ELNS1_3gpuE4ELNS1_3repE0EEENS1_30default_config_static_selectorELNS0_4arch9wavefront6targetE1EEEvT1_: ; @_ZN7rocprim17ROCPRIM_400000_NS6detail17trampoline_kernelINS0_14default_configENS1_29reduce_by_key_config_selectorIssN6thrust23THRUST_200600_302600_NS4plusIsEEEEZZNS1_33reduce_by_key_impl_wrapped_configILNS1_25lookback_scan_determinismE0ES3_S9_NS6_6detail15normal_iteratorINS6_10device_ptrIsEEEESG_SG_SG_PmS8_22is_equal_div_10_reduceIsEEE10hipError_tPvRmT2_T3_mT4_T5_T6_T7_T8_P12ihipStream_tbENKUlT_T0_E_clISt17integral_constantIbLb0EES10_IbLb1EEEEDaSW_SX_EUlSW_E_NS1_11comp_targetILNS1_3genE10ELNS1_11target_archE1200ELNS1_3gpuE4ELNS1_3repE0EEENS1_30default_config_static_selectorELNS0_4arch9wavefront6targetE1EEEvT1_
; %bb.0:
	.section	.rodata,"a",@progbits
	.p2align	6, 0x0
	.amdhsa_kernel _ZN7rocprim17ROCPRIM_400000_NS6detail17trampoline_kernelINS0_14default_configENS1_29reduce_by_key_config_selectorIssN6thrust23THRUST_200600_302600_NS4plusIsEEEEZZNS1_33reduce_by_key_impl_wrapped_configILNS1_25lookback_scan_determinismE0ES3_S9_NS6_6detail15normal_iteratorINS6_10device_ptrIsEEEESG_SG_SG_PmS8_22is_equal_div_10_reduceIsEEE10hipError_tPvRmT2_T3_mT4_T5_T6_T7_T8_P12ihipStream_tbENKUlT_T0_E_clISt17integral_constantIbLb0EES10_IbLb1EEEEDaSW_SX_EUlSW_E_NS1_11comp_targetILNS1_3genE10ELNS1_11target_archE1200ELNS1_3gpuE4ELNS1_3repE0EEENS1_30default_config_static_selectorELNS0_4arch9wavefront6targetE1EEEvT1_
		.amdhsa_group_segment_fixed_size 0
		.amdhsa_private_segment_fixed_size 0
		.amdhsa_kernarg_size 120
		.amdhsa_user_sgpr_count 6
		.amdhsa_user_sgpr_private_segment_buffer 1
		.amdhsa_user_sgpr_dispatch_ptr 0
		.amdhsa_user_sgpr_queue_ptr 0
		.amdhsa_user_sgpr_kernarg_segment_ptr 1
		.amdhsa_user_sgpr_dispatch_id 0
		.amdhsa_user_sgpr_flat_scratch_init 0
		.amdhsa_user_sgpr_kernarg_preload_length 0
		.amdhsa_user_sgpr_kernarg_preload_offset 0
		.amdhsa_user_sgpr_private_segment_size 0
		.amdhsa_uses_dynamic_stack 0
		.amdhsa_system_sgpr_private_segment_wavefront_offset 0
		.amdhsa_system_sgpr_workgroup_id_x 1
		.amdhsa_system_sgpr_workgroup_id_y 0
		.amdhsa_system_sgpr_workgroup_id_z 0
		.amdhsa_system_sgpr_workgroup_info 0
		.amdhsa_system_vgpr_workitem_id 0
		.amdhsa_next_free_vgpr 1
		.amdhsa_next_free_sgpr 0
		.amdhsa_accum_offset 4
		.amdhsa_reserve_vcc 0
		.amdhsa_reserve_flat_scratch 0
		.amdhsa_float_round_mode_32 0
		.amdhsa_float_round_mode_16_64 0
		.amdhsa_float_denorm_mode_32 3
		.amdhsa_float_denorm_mode_16_64 3
		.amdhsa_dx10_clamp 1
		.amdhsa_ieee_mode 1
		.amdhsa_fp16_overflow 0
		.amdhsa_tg_split 0
		.amdhsa_exception_fp_ieee_invalid_op 0
		.amdhsa_exception_fp_denorm_src 0
		.amdhsa_exception_fp_ieee_div_zero 0
		.amdhsa_exception_fp_ieee_overflow 0
		.amdhsa_exception_fp_ieee_underflow 0
		.amdhsa_exception_fp_ieee_inexact 0
		.amdhsa_exception_int_div_zero 0
	.end_amdhsa_kernel
	.section	.text._ZN7rocprim17ROCPRIM_400000_NS6detail17trampoline_kernelINS0_14default_configENS1_29reduce_by_key_config_selectorIssN6thrust23THRUST_200600_302600_NS4plusIsEEEEZZNS1_33reduce_by_key_impl_wrapped_configILNS1_25lookback_scan_determinismE0ES3_S9_NS6_6detail15normal_iteratorINS6_10device_ptrIsEEEESG_SG_SG_PmS8_22is_equal_div_10_reduceIsEEE10hipError_tPvRmT2_T3_mT4_T5_T6_T7_T8_P12ihipStream_tbENKUlT_T0_E_clISt17integral_constantIbLb0EES10_IbLb1EEEEDaSW_SX_EUlSW_E_NS1_11comp_targetILNS1_3genE10ELNS1_11target_archE1200ELNS1_3gpuE4ELNS1_3repE0EEENS1_30default_config_static_selectorELNS0_4arch9wavefront6targetE1EEEvT1_,"axG",@progbits,_ZN7rocprim17ROCPRIM_400000_NS6detail17trampoline_kernelINS0_14default_configENS1_29reduce_by_key_config_selectorIssN6thrust23THRUST_200600_302600_NS4plusIsEEEEZZNS1_33reduce_by_key_impl_wrapped_configILNS1_25lookback_scan_determinismE0ES3_S9_NS6_6detail15normal_iteratorINS6_10device_ptrIsEEEESG_SG_SG_PmS8_22is_equal_div_10_reduceIsEEE10hipError_tPvRmT2_T3_mT4_T5_T6_T7_T8_P12ihipStream_tbENKUlT_T0_E_clISt17integral_constantIbLb0EES10_IbLb1EEEEDaSW_SX_EUlSW_E_NS1_11comp_targetILNS1_3genE10ELNS1_11target_archE1200ELNS1_3gpuE4ELNS1_3repE0EEENS1_30default_config_static_selectorELNS0_4arch9wavefront6targetE1EEEvT1_,comdat
.Lfunc_end694:
	.size	_ZN7rocprim17ROCPRIM_400000_NS6detail17trampoline_kernelINS0_14default_configENS1_29reduce_by_key_config_selectorIssN6thrust23THRUST_200600_302600_NS4plusIsEEEEZZNS1_33reduce_by_key_impl_wrapped_configILNS1_25lookback_scan_determinismE0ES3_S9_NS6_6detail15normal_iteratorINS6_10device_ptrIsEEEESG_SG_SG_PmS8_22is_equal_div_10_reduceIsEEE10hipError_tPvRmT2_T3_mT4_T5_T6_T7_T8_P12ihipStream_tbENKUlT_T0_E_clISt17integral_constantIbLb0EES10_IbLb1EEEEDaSW_SX_EUlSW_E_NS1_11comp_targetILNS1_3genE10ELNS1_11target_archE1200ELNS1_3gpuE4ELNS1_3repE0EEENS1_30default_config_static_selectorELNS0_4arch9wavefront6targetE1EEEvT1_, .Lfunc_end694-_ZN7rocprim17ROCPRIM_400000_NS6detail17trampoline_kernelINS0_14default_configENS1_29reduce_by_key_config_selectorIssN6thrust23THRUST_200600_302600_NS4plusIsEEEEZZNS1_33reduce_by_key_impl_wrapped_configILNS1_25lookback_scan_determinismE0ES3_S9_NS6_6detail15normal_iteratorINS6_10device_ptrIsEEEESG_SG_SG_PmS8_22is_equal_div_10_reduceIsEEE10hipError_tPvRmT2_T3_mT4_T5_T6_T7_T8_P12ihipStream_tbENKUlT_T0_E_clISt17integral_constantIbLb0EES10_IbLb1EEEEDaSW_SX_EUlSW_E_NS1_11comp_targetILNS1_3genE10ELNS1_11target_archE1200ELNS1_3gpuE4ELNS1_3repE0EEENS1_30default_config_static_selectorELNS0_4arch9wavefront6targetE1EEEvT1_
                                        ; -- End function
	.section	.AMDGPU.csdata,"",@progbits
; Kernel info:
; codeLenInByte = 0
; NumSgprs: 4
; NumVgprs: 0
; NumAgprs: 0
; TotalNumVgprs: 0
; ScratchSize: 0
; MemoryBound: 0
; FloatMode: 240
; IeeeMode: 1
; LDSByteSize: 0 bytes/workgroup (compile time only)
; SGPRBlocks: 0
; VGPRBlocks: 0
; NumSGPRsForWavesPerEU: 4
; NumVGPRsForWavesPerEU: 1
; AccumOffset: 4
; Occupancy: 8
; WaveLimiterHint : 0
; COMPUTE_PGM_RSRC2:SCRATCH_EN: 0
; COMPUTE_PGM_RSRC2:USER_SGPR: 6
; COMPUTE_PGM_RSRC2:TRAP_HANDLER: 0
; COMPUTE_PGM_RSRC2:TGID_X_EN: 1
; COMPUTE_PGM_RSRC2:TGID_Y_EN: 0
; COMPUTE_PGM_RSRC2:TGID_Z_EN: 0
; COMPUTE_PGM_RSRC2:TIDIG_COMP_CNT: 0
; COMPUTE_PGM_RSRC3_GFX90A:ACCUM_OFFSET: 0
; COMPUTE_PGM_RSRC3_GFX90A:TG_SPLIT: 0
	.section	.text._ZN7rocprim17ROCPRIM_400000_NS6detail17trampoline_kernelINS0_14default_configENS1_29reduce_by_key_config_selectorIssN6thrust23THRUST_200600_302600_NS4plusIsEEEEZZNS1_33reduce_by_key_impl_wrapped_configILNS1_25lookback_scan_determinismE0ES3_S9_NS6_6detail15normal_iteratorINS6_10device_ptrIsEEEESG_SG_SG_PmS8_22is_equal_div_10_reduceIsEEE10hipError_tPvRmT2_T3_mT4_T5_T6_T7_T8_P12ihipStream_tbENKUlT_T0_E_clISt17integral_constantIbLb0EES10_IbLb1EEEEDaSW_SX_EUlSW_E_NS1_11comp_targetILNS1_3genE9ELNS1_11target_archE1100ELNS1_3gpuE3ELNS1_3repE0EEENS1_30default_config_static_selectorELNS0_4arch9wavefront6targetE1EEEvT1_,"axG",@progbits,_ZN7rocprim17ROCPRIM_400000_NS6detail17trampoline_kernelINS0_14default_configENS1_29reduce_by_key_config_selectorIssN6thrust23THRUST_200600_302600_NS4plusIsEEEEZZNS1_33reduce_by_key_impl_wrapped_configILNS1_25lookback_scan_determinismE0ES3_S9_NS6_6detail15normal_iteratorINS6_10device_ptrIsEEEESG_SG_SG_PmS8_22is_equal_div_10_reduceIsEEE10hipError_tPvRmT2_T3_mT4_T5_T6_T7_T8_P12ihipStream_tbENKUlT_T0_E_clISt17integral_constantIbLb0EES10_IbLb1EEEEDaSW_SX_EUlSW_E_NS1_11comp_targetILNS1_3genE9ELNS1_11target_archE1100ELNS1_3gpuE3ELNS1_3repE0EEENS1_30default_config_static_selectorELNS0_4arch9wavefront6targetE1EEEvT1_,comdat
	.protected	_ZN7rocprim17ROCPRIM_400000_NS6detail17trampoline_kernelINS0_14default_configENS1_29reduce_by_key_config_selectorIssN6thrust23THRUST_200600_302600_NS4plusIsEEEEZZNS1_33reduce_by_key_impl_wrapped_configILNS1_25lookback_scan_determinismE0ES3_S9_NS6_6detail15normal_iteratorINS6_10device_ptrIsEEEESG_SG_SG_PmS8_22is_equal_div_10_reduceIsEEE10hipError_tPvRmT2_T3_mT4_T5_T6_T7_T8_P12ihipStream_tbENKUlT_T0_E_clISt17integral_constantIbLb0EES10_IbLb1EEEEDaSW_SX_EUlSW_E_NS1_11comp_targetILNS1_3genE9ELNS1_11target_archE1100ELNS1_3gpuE3ELNS1_3repE0EEENS1_30default_config_static_selectorELNS0_4arch9wavefront6targetE1EEEvT1_ ; -- Begin function _ZN7rocprim17ROCPRIM_400000_NS6detail17trampoline_kernelINS0_14default_configENS1_29reduce_by_key_config_selectorIssN6thrust23THRUST_200600_302600_NS4plusIsEEEEZZNS1_33reduce_by_key_impl_wrapped_configILNS1_25lookback_scan_determinismE0ES3_S9_NS6_6detail15normal_iteratorINS6_10device_ptrIsEEEESG_SG_SG_PmS8_22is_equal_div_10_reduceIsEEE10hipError_tPvRmT2_T3_mT4_T5_T6_T7_T8_P12ihipStream_tbENKUlT_T0_E_clISt17integral_constantIbLb0EES10_IbLb1EEEEDaSW_SX_EUlSW_E_NS1_11comp_targetILNS1_3genE9ELNS1_11target_archE1100ELNS1_3gpuE3ELNS1_3repE0EEENS1_30default_config_static_selectorELNS0_4arch9wavefront6targetE1EEEvT1_
	.globl	_ZN7rocprim17ROCPRIM_400000_NS6detail17trampoline_kernelINS0_14default_configENS1_29reduce_by_key_config_selectorIssN6thrust23THRUST_200600_302600_NS4plusIsEEEEZZNS1_33reduce_by_key_impl_wrapped_configILNS1_25lookback_scan_determinismE0ES3_S9_NS6_6detail15normal_iteratorINS6_10device_ptrIsEEEESG_SG_SG_PmS8_22is_equal_div_10_reduceIsEEE10hipError_tPvRmT2_T3_mT4_T5_T6_T7_T8_P12ihipStream_tbENKUlT_T0_E_clISt17integral_constantIbLb0EES10_IbLb1EEEEDaSW_SX_EUlSW_E_NS1_11comp_targetILNS1_3genE9ELNS1_11target_archE1100ELNS1_3gpuE3ELNS1_3repE0EEENS1_30default_config_static_selectorELNS0_4arch9wavefront6targetE1EEEvT1_
	.p2align	8
	.type	_ZN7rocprim17ROCPRIM_400000_NS6detail17trampoline_kernelINS0_14default_configENS1_29reduce_by_key_config_selectorIssN6thrust23THRUST_200600_302600_NS4plusIsEEEEZZNS1_33reduce_by_key_impl_wrapped_configILNS1_25lookback_scan_determinismE0ES3_S9_NS6_6detail15normal_iteratorINS6_10device_ptrIsEEEESG_SG_SG_PmS8_22is_equal_div_10_reduceIsEEE10hipError_tPvRmT2_T3_mT4_T5_T6_T7_T8_P12ihipStream_tbENKUlT_T0_E_clISt17integral_constantIbLb0EES10_IbLb1EEEEDaSW_SX_EUlSW_E_NS1_11comp_targetILNS1_3genE9ELNS1_11target_archE1100ELNS1_3gpuE3ELNS1_3repE0EEENS1_30default_config_static_selectorELNS0_4arch9wavefront6targetE1EEEvT1_,@function
_ZN7rocprim17ROCPRIM_400000_NS6detail17trampoline_kernelINS0_14default_configENS1_29reduce_by_key_config_selectorIssN6thrust23THRUST_200600_302600_NS4plusIsEEEEZZNS1_33reduce_by_key_impl_wrapped_configILNS1_25lookback_scan_determinismE0ES3_S9_NS6_6detail15normal_iteratorINS6_10device_ptrIsEEEESG_SG_SG_PmS8_22is_equal_div_10_reduceIsEEE10hipError_tPvRmT2_T3_mT4_T5_T6_T7_T8_P12ihipStream_tbENKUlT_T0_E_clISt17integral_constantIbLb0EES10_IbLb1EEEEDaSW_SX_EUlSW_E_NS1_11comp_targetILNS1_3genE9ELNS1_11target_archE1100ELNS1_3gpuE3ELNS1_3repE0EEENS1_30default_config_static_selectorELNS0_4arch9wavefront6targetE1EEEvT1_: ; @_ZN7rocprim17ROCPRIM_400000_NS6detail17trampoline_kernelINS0_14default_configENS1_29reduce_by_key_config_selectorIssN6thrust23THRUST_200600_302600_NS4plusIsEEEEZZNS1_33reduce_by_key_impl_wrapped_configILNS1_25lookback_scan_determinismE0ES3_S9_NS6_6detail15normal_iteratorINS6_10device_ptrIsEEEESG_SG_SG_PmS8_22is_equal_div_10_reduceIsEEE10hipError_tPvRmT2_T3_mT4_T5_T6_T7_T8_P12ihipStream_tbENKUlT_T0_E_clISt17integral_constantIbLb0EES10_IbLb1EEEEDaSW_SX_EUlSW_E_NS1_11comp_targetILNS1_3genE9ELNS1_11target_archE1100ELNS1_3gpuE3ELNS1_3repE0EEENS1_30default_config_static_selectorELNS0_4arch9wavefront6targetE1EEEvT1_
; %bb.0:
	.section	.rodata,"a",@progbits
	.p2align	6, 0x0
	.amdhsa_kernel _ZN7rocprim17ROCPRIM_400000_NS6detail17trampoline_kernelINS0_14default_configENS1_29reduce_by_key_config_selectorIssN6thrust23THRUST_200600_302600_NS4plusIsEEEEZZNS1_33reduce_by_key_impl_wrapped_configILNS1_25lookback_scan_determinismE0ES3_S9_NS6_6detail15normal_iteratorINS6_10device_ptrIsEEEESG_SG_SG_PmS8_22is_equal_div_10_reduceIsEEE10hipError_tPvRmT2_T3_mT4_T5_T6_T7_T8_P12ihipStream_tbENKUlT_T0_E_clISt17integral_constantIbLb0EES10_IbLb1EEEEDaSW_SX_EUlSW_E_NS1_11comp_targetILNS1_3genE9ELNS1_11target_archE1100ELNS1_3gpuE3ELNS1_3repE0EEENS1_30default_config_static_selectorELNS0_4arch9wavefront6targetE1EEEvT1_
		.amdhsa_group_segment_fixed_size 0
		.amdhsa_private_segment_fixed_size 0
		.amdhsa_kernarg_size 120
		.amdhsa_user_sgpr_count 6
		.amdhsa_user_sgpr_private_segment_buffer 1
		.amdhsa_user_sgpr_dispatch_ptr 0
		.amdhsa_user_sgpr_queue_ptr 0
		.amdhsa_user_sgpr_kernarg_segment_ptr 1
		.amdhsa_user_sgpr_dispatch_id 0
		.amdhsa_user_sgpr_flat_scratch_init 0
		.amdhsa_user_sgpr_kernarg_preload_length 0
		.amdhsa_user_sgpr_kernarg_preload_offset 0
		.amdhsa_user_sgpr_private_segment_size 0
		.amdhsa_uses_dynamic_stack 0
		.amdhsa_system_sgpr_private_segment_wavefront_offset 0
		.amdhsa_system_sgpr_workgroup_id_x 1
		.amdhsa_system_sgpr_workgroup_id_y 0
		.amdhsa_system_sgpr_workgroup_id_z 0
		.amdhsa_system_sgpr_workgroup_info 0
		.amdhsa_system_vgpr_workitem_id 0
		.amdhsa_next_free_vgpr 1
		.amdhsa_next_free_sgpr 0
		.amdhsa_accum_offset 4
		.amdhsa_reserve_vcc 0
		.amdhsa_reserve_flat_scratch 0
		.amdhsa_float_round_mode_32 0
		.amdhsa_float_round_mode_16_64 0
		.amdhsa_float_denorm_mode_32 3
		.amdhsa_float_denorm_mode_16_64 3
		.amdhsa_dx10_clamp 1
		.amdhsa_ieee_mode 1
		.amdhsa_fp16_overflow 0
		.amdhsa_tg_split 0
		.amdhsa_exception_fp_ieee_invalid_op 0
		.amdhsa_exception_fp_denorm_src 0
		.amdhsa_exception_fp_ieee_div_zero 0
		.amdhsa_exception_fp_ieee_overflow 0
		.amdhsa_exception_fp_ieee_underflow 0
		.amdhsa_exception_fp_ieee_inexact 0
		.amdhsa_exception_int_div_zero 0
	.end_amdhsa_kernel
	.section	.text._ZN7rocprim17ROCPRIM_400000_NS6detail17trampoline_kernelINS0_14default_configENS1_29reduce_by_key_config_selectorIssN6thrust23THRUST_200600_302600_NS4plusIsEEEEZZNS1_33reduce_by_key_impl_wrapped_configILNS1_25lookback_scan_determinismE0ES3_S9_NS6_6detail15normal_iteratorINS6_10device_ptrIsEEEESG_SG_SG_PmS8_22is_equal_div_10_reduceIsEEE10hipError_tPvRmT2_T3_mT4_T5_T6_T7_T8_P12ihipStream_tbENKUlT_T0_E_clISt17integral_constantIbLb0EES10_IbLb1EEEEDaSW_SX_EUlSW_E_NS1_11comp_targetILNS1_3genE9ELNS1_11target_archE1100ELNS1_3gpuE3ELNS1_3repE0EEENS1_30default_config_static_selectorELNS0_4arch9wavefront6targetE1EEEvT1_,"axG",@progbits,_ZN7rocprim17ROCPRIM_400000_NS6detail17trampoline_kernelINS0_14default_configENS1_29reduce_by_key_config_selectorIssN6thrust23THRUST_200600_302600_NS4plusIsEEEEZZNS1_33reduce_by_key_impl_wrapped_configILNS1_25lookback_scan_determinismE0ES3_S9_NS6_6detail15normal_iteratorINS6_10device_ptrIsEEEESG_SG_SG_PmS8_22is_equal_div_10_reduceIsEEE10hipError_tPvRmT2_T3_mT4_T5_T6_T7_T8_P12ihipStream_tbENKUlT_T0_E_clISt17integral_constantIbLb0EES10_IbLb1EEEEDaSW_SX_EUlSW_E_NS1_11comp_targetILNS1_3genE9ELNS1_11target_archE1100ELNS1_3gpuE3ELNS1_3repE0EEENS1_30default_config_static_selectorELNS0_4arch9wavefront6targetE1EEEvT1_,comdat
.Lfunc_end695:
	.size	_ZN7rocprim17ROCPRIM_400000_NS6detail17trampoline_kernelINS0_14default_configENS1_29reduce_by_key_config_selectorIssN6thrust23THRUST_200600_302600_NS4plusIsEEEEZZNS1_33reduce_by_key_impl_wrapped_configILNS1_25lookback_scan_determinismE0ES3_S9_NS6_6detail15normal_iteratorINS6_10device_ptrIsEEEESG_SG_SG_PmS8_22is_equal_div_10_reduceIsEEE10hipError_tPvRmT2_T3_mT4_T5_T6_T7_T8_P12ihipStream_tbENKUlT_T0_E_clISt17integral_constantIbLb0EES10_IbLb1EEEEDaSW_SX_EUlSW_E_NS1_11comp_targetILNS1_3genE9ELNS1_11target_archE1100ELNS1_3gpuE3ELNS1_3repE0EEENS1_30default_config_static_selectorELNS0_4arch9wavefront6targetE1EEEvT1_, .Lfunc_end695-_ZN7rocprim17ROCPRIM_400000_NS6detail17trampoline_kernelINS0_14default_configENS1_29reduce_by_key_config_selectorIssN6thrust23THRUST_200600_302600_NS4plusIsEEEEZZNS1_33reduce_by_key_impl_wrapped_configILNS1_25lookback_scan_determinismE0ES3_S9_NS6_6detail15normal_iteratorINS6_10device_ptrIsEEEESG_SG_SG_PmS8_22is_equal_div_10_reduceIsEEE10hipError_tPvRmT2_T3_mT4_T5_T6_T7_T8_P12ihipStream_tbENKUlT_T0_E_clISt17integral_constantIbLb0EES10_IbLb1EEEEDaSW_SX_EUlSW_E_NS1_11comp_targetILNS1_3genE9ELNS1_11target_archE1100ELNS1_3gpuE3ELNS1_3repE0EEENS1_30default_config_static_selectorELNS0_4arch9wavefront6targetE1EEEvT1_
                                        ; -- End function
	.section	.AMDGPU.csdata,"",@progbits
; Kernel info:
; codeLenInByte = 0
; NumSgprs: 4
; NumVgprs: 0
; NumAgprs: 0
; TotalNumVgprs: 0
; ScratchSize: 0
; MemoryBound: 0
; FloatMode: 240
; IeeeMode: 1
; LDSByteSize: 0 bytes/workgroup (compile time only)
; SGPRBlocks: 0
; VGPRBlocks: 0
; NumSGPRsForWavesPerEU: 4
; NumVGPRsForWavesPerEU: 1
; AccumOffset: 4
; Occupancy: 8
; WaveLimiterHint : 0
; COMPUTE_PGM_RSRC2:SCRATCH_EN: 0
; COMPUTE_PGM_RSRC2:USER_SGPR: 6
; COMPUTE_PGM_RSRC2:TRAP_HANDLER: 0
; COMPUTE_PGM_RSRC2:TGID_X_EN: 1
; COMPUTE_PGM_RSRC2:TGID_Y_EN: 0
; COMPUTE_PGM_RSRC2:TGID_Z_EN: 0
; COMPUTE_PGM_RSRC2:TIDIG_COMP_CNT: 0
; COMPUTE_PGM_RSRC3_GFX90A:ACCUM_OFFSET: 0
; COMPUTE_PGM_RSRC3_GFX90A:TG_SPLIT: 0
	.section	.text._ZN7rocprim17ROCPRIM_400000_NS6detail17trampoline_kernelINS0_14default_configENS1_29reduce_by_key_config_selectorIssN6thrust23THRUST_200600_302600_NS4plusIsEEEEZZNS1_33reduce_by_key_impl_wrapped_configILNS1_25lookback_scan_determinismE0ES3_S9_NS6_6detail15normal_iteratorINS6_10device_ptrIsEEEESG_SG_SG_PmS8_22is_equal_div_10_reduceIsEEE10hipError_tPvRmT2_T3_mT4_T5_T6_T7_T8_P12ihipStream_tbENKUlT_T0_E_clISt17integral_constantIbLb0EES10_IbLb1EEEEDaSW_SX_EUlSW_E_NS1_11comp_targetILNS1_3genE8ELNS1_11target_archE1030ELNS1_3gpuE2ELNS1_3repE0EEENS1_30default_config_static_selectorELNS0_4arch9wavefront6targetE1EEEvT1_,"axG",@progbits,_ZN7rocprim17ROCPRIM_400000_NS6detail17trampoline_kernelINS0_14default_configENS1_29reduce_by_key_config_selectorIssN6thrust23THRUST_200600_302600_NS4plusIsEEEEZZNS1_33reduce_by_key_impl_wrapped_configILNS1_25lookback_scan_determinismE0ES3_S9_NS6_6detail15normal_iteratorINS6_10device_ptrIsEEEESG_SG_SG_PmS8_22is_equal_div_10_reduceIsEEE10hipError_tPvRmT2_T3_mT4_T5_T6_T7_T8_P12ihipStream_tbENKUlT_T0_E_clISt17integral_constantIbLb0EES10_IbLb1EEEEDaSW_SX_EUlSW_E_NS1_11comp_targetILNS1_3genE8ELNS1_11target_archE1030ELNS1_3gpuE2ELNS1_3repE0EEENS1_30default_config_static_selectorELNS0_4arch9wavefront6targetE1EEEvT1_,comdat
	.protected	_ZN7rocprim17ROCPRIM_400000_NS6detail17trampoline_kernelINS0_14default_configENS1_29reduce_by_key_config_selectorIssN6thrust23THRUST_200600_302600_NS4plusIsEEEEZZNS1_33reduce_by_key_impl_wrapped_configILNS1_25lookback_scan_determinismE0ES3_S9_NS6_6detail15normal_iteratorINS6_10device_ptrIsEEEESG_SG_SG_PmS8_22is_equal_div_10_reduceIsEEE10hipError_tPvRmT2_T3_mT4_T5_T6_T7_T8_P12ihipStream_tbENKUlT_T0_E_clISt17integral_constantIbLb0EES10_IbLb1EEEEDaSW_SX_EUlSW_E_NS1_11comp_targetILNS1_3genE8ELNS1_11target_archE1030ELNS1_3gpuE2ELNS1_3repE0EEENS1_30default_config_static_selectorELNS0_4arch9wavefront6targetE1EEEvT1_ ; -- Begin function _ZN7rocprim17ROCPRIM_400000_NS6detail17trampoline_kernelINS0_14default_configENS1_29reduce_by_key_config_selectorIssN6thrust23THRUST_200600_302600_NS4plusIsEEEEZZNS1_33reduce_by_key_impl_wrapped_configILNS1_25lookback_scan_determinismE0ES3_S9_NS6_6detail15normal_iteratorINS6_10device_ptrIsEEEESG_SG_SG_PmS8_22is_equal_div_10_reduceIsEEE10hipError_tPvRmT2_T3_mT4_T5_T6_T7_T8_P12ihipStream_tbENKUlT_T0_E_clISt17integral_constantIbLb0EES10_IbLb1EEEEDaSW_SX_EUlSW_E_NS1_11comp_targetILNS1_3genE8ELNS1_11target_archE1030ELNS1_3gpuE2ELNS1_3repE0EEENS1_30default_config_static_selectorELNS0_4arch9wavefront6targetE1EEEvT1_
	.globl	_ZN7rocprim17ROCPRIM_400000_NS6detail17trampoline_kernelINS0_14default_configENS1_29reduce_by_key_config_selectorIssN6thrust23THRUST_200600_302600_NS4plusIsEEEEZZNS1_33reduce_by_key_impl_wrapped_configILNS1_25lookback_scan_determinismE0ES3_S9_NS6_6detail15normal_iteratorINS6_10device_ptrIsEEEESG_SG_SG_PmS8_22is_equal_div_10_reduceIsEEE10hipError_tPvRmT2_T3_mT4_T5_T6_T7_T8_P12ihipStream_tbENKUlT_T0_E_clISt17integral_constantIbLb0EES10_IbLb1EEEEDaSW_SX_EUlSW_E_NS1_11comp_targetILNS1_3genE8ELNS1_11target_archE1030ELNS1_3gpuE2ELNS1_3repE0EEENS1_30default_config_static_selectorELNS0_4arch9wavefront6targetE1EEEvT1_
	.p2align	8
	.type	_ZN7rocprim17ROCPRIM_400000_NS6detail17trampoline_kernelINS0_14default_configENS1_29reduce_by_key_config_selectorIssN6thrust23THRUST_200600_302600_NS4plusIsEEEEZZNS1_33reduce_by_key_impl_wrapped_configILNS1_25lookback_scan_determinismE0ES3_S9_NS6_6detail15normal_iteratorINS6_10device_ptrIsEEEESG_SG_SG_PmS8_22is_equal_div_10_reduceIsEEE10hipError_tPvRmT2_T3_mT4_T5_T6_T7_T8_P12ihipStream_tbENKUlT_T0_E_clISt17integral_constantIbLb0EES10_IbLb1EEEEDaSW_SX_EUlSW_E_NS1_11comp_targetILNS1_3genE8ELNS1_11target_archE1030ELNS1_3gpuE2ELNS1_3repE0EEENS1_30default_config_static_selectorELNS0_4arch9wavefront6targetE1EEEvT1_,@function
_ZN7rocprim17ROCPRIM_400000_NS6detail17trampoline_kernelINS0_14default_configENS1_29reduce_by_key_config_selectorIssN6thrust23THRUST_200600_302600_NS4plusIsEEEEZZNS1_33reduce_by_key_impl_wrapped_configILNS1_25lookback_scan_determinismE0ES3_S9_NS6_6detail15normal_iteratorINS6_10device_ptrIsEEEESG_SG_SG_PmS8_22is_equal_div_10_reduceIsEEE10hipError_tPvRmT2_T3_mT4_T5_T6_T7_T8_P12ihipStream_tbENKUlT_T0_E_clISt17integral_constantIbLb0EES10_IbLb1EEEEDaSW_SX_EUlSW_E_NS1_11comp_targetILNS1_3genE8ELNS1_11target_archE1030ELNS1_3gpuE2ELNS1_3repE0EEENS1_30default_config_static_selectorELNS0_4arch9wavefront6targetE1EEEvT1_: ; @_ZN7rocprim17ROCPRIM_400000_NS6detail17trampoline_kernelINS0_14default_configENS1_29reduce_by_key_config_selectorIssN6thrust23THRUST_200600_302600_NS4plusIsEEEEZZNS1_33reduce_by_key_impl_wrapped_configILNS1_25lookback_scan_determinismE0ES3_S9_NS6_6detail15normal_iteratorINS6_10device_ptrIsEEEESG_SG_SG_PmS8_22is_equal_div_10_reduceIsEEE10hipError_tPvRmT2_T3_mT4_T5_T6_T7_T8_P12ihipStream_tbENKUlT_T0_E_clISt17integral_constantIbLb0EES10_IbLb1EEEEDaSW_SX_EUlSW_E_NS1_11comp_targetILNS1_3genE8ELNS1_11target_archE1030ELNS1_3gpuE2ELNS1_3repE0EEENS1_30default_config_static_selectorELNS0_4arch9wavefront6targetE1EEEvT1_
; %bb.0:
	.section	.rodata,"a",@progbits
	.p2align	6, 0x0
	.amdhsa_kernel _ZN7rocprim17ROCPRIM_400000_NS6detail17trampoline_kernelINS0_14default_configENS1_29reduce_by_key_config_selectorIssN6thrust23THRUST_200600_302600_NS4plusIsEEEEZZNS1_33reduce_by_key_impl_wrapped_configILNS1_25lookback_scan_determinismE0ES3_S9_NS6_6detail15normal_iteratorINS6_10device_ptrIsEEEESG_SG_SG_PmS8_22is_equal_div_10_reduceIsEEE10hipError_tPvRmT2_T3_mT4_T5_T6_T7_T8_P12ihipStream_tbENKUlT_T0_E_clISt17integral_constantIbLb0EES10_IbLb1EEEEDaSW_SX_EUlSW_E_NS1_11comp_targetILNS1_3genE8ELNS1_11target_archE1030ELNS1_3gpuE2ELNS1_3repE0EEENS1_30default_config_static_selectorELNS0_4arch9wavefront6targetE1EEEvT1_
		.amdhsa_group_segment_fixed_size 0
		.amdhsa_private_segment_fixed_size 0
		.amdhsa_kernarg_size 120
		.amdhsa_user_sgpr_count 6
		.amdhsa_user_sgpr_private_segment_buffer 1
		.amdhsa_user_sgpr_dispatch_ptr 0
		.amdhsa_user_sgpr_queue_ptr 0
		.amdhsa_user_sgpr_kernarg_segment_ptr 1
		.amdhsa_user_sgpr_dispatch_id 0
		.amdhsa_user_sgpr_flat_scratch_init 0
		.amdhsa_user_sgpr_kernarg_preload_length 0
		.amdhsa_user_sgpr_kernarg_preload_offset 0
		.amdhsa_user_sgpr_private_segment_size 0
		.amdhsa_uses_dynamic_stack 0
		.amdhsa_system_sgpr_private_segment_wavefront_offset 0
		.amdhsa_system_sgpr_workgroup_id_x 1
		.amdhsa_system_sgpr_workgroup_id_y 0
		.amdhsa_system_sgpr_workgroup_id_z 0
		.amdhsa_system_sgpr_workgroup_info 0
		.amdhsa_system_vgpr_workitem_id 0
		.amdhsa_next_free_vgpr 1
		.amdhsa_next_free_sgpr 0
		.amdhsa_accum_offset 4
		.amdhsa_reserve_vcc 0
		.amdhsa_reserve_flat_scratch 0
		.amdhsa_float_round_mode_32 0
		.amdhsa_float_round_mode_16_64 0
		.amdhsa_float_denorm_mode_32 3
		.amdhsa_float_denorm_mode_16_64 3
		.amdhsa_dx10_clamp 1
		.amdhsa_ieee_mode 1
		.amdhsa_fp16_overflow 0
		.amdhsa_tg_split 0
		.amdhsa_exception_fp_ieee_invalid_op 0
		.amdhsa_exception_fp_denorm_src 0
		.amdhsa_exception_fp_ieee_div_zero 0
		.amdhsa_exception_fp_ieee_overflow 0
		.amdhsa_exception_fp_ieee_underflow 0
		.amdhsa_exception_fp_ieee_inexact 0
		.amdhsa_exception_int_div_zero 0
	.end_amdhsa_kernel
	.section	.text._ZN7rocprim17ROCPRIM_400000_NS6detail17trampoline_kernelINS0_14default_configENS1_29reduce_by_key_config_selectorIssN6thrust23THRUST_200600_302600_NS4plusIsEEEEZZNS1_33reduce_by_key_impl_wrapped_configILNS1_25lookback_scan_determinismE0ES3_S9_NS6_6detail15normal_iteratorINS6_10device_ptrIsEEEESG_SG_SG_PmS8_22is_equal_div_10_reduceIsEEE10hipError_tPvRmT2_T3_mT4_T5_T6_T7_T8_P12ihipStream_tbENKUlT_T0_E_clISt17integral_constantIbLb0EES10_IbLb1EEEEDaSW_SX_EUlSW_E_NS1_11comp_targetILNS1_3genE8ELNS1_11target_archE1030ELNS1_3gpuE2ELNS1_3repE0EEENS1_30default_config_static_selectorELNS0_4arch9wavefront6targetE1EEEvT1_,"axG",@progbits,_ZN7rocprim17ROCPRIM_400000_NS6detail17trampoline_kernelINS0_14default_configENS1_29reduce_by_key_config_selectorIssN6thrust23THRUST_200600_302600_NS4plusIsEEEEZZNS1_33reduce_by_key_impl_wrapped_configILNS1_25lookback_scan_determinismE0ES3_S9_NS6_6detail15normal_iteratorINS6_10device_ptrIsEEEESG_SG_SG_PmS8_22is_equal_div_10_reduceIsEEE10hipError_tPvRmT2_T3_mT4_T5_T6_T7_T8_P12ihipStream_tbENKUlT_T0_E_clISt17integral_constantIbLb0EES10_IbLb1EEEEDaSW_SX_EUlSW_E_NS1_11comp_targetILNS1_3genE8ELNS1_11target_archE1030ELNS1_3gpuE2ELNS1_3repE0EEENS1_30default_config_static_selectorELNS0_4arch9wavefront6targetE1EEEvT1_,comdat
.Lfunc_end696:
	.size	_ZN7rocprim17ROCPRIM_400000_NS6detail17trampoline_kernelINS0_14default_configENS1_29reduce_by_key_config_selectorIssN6thrust23THRUST_200600_302600_NS4plusIsEEEEZZNS1_33reduce_by_key_impl_wrapped_configILNS1_25lookback_scan_determinismE0ES3_S9_NS6_6detail15normal_iteratorINS6_10device_ptrIsEEEESG_SG_SG_PmS8_22is_equal_div_10_reduceIsEEE10hipError_tPvRmT2_T3_mT4_T5_T6_T7_T8_P12ihipStream_tbENKUlT_T0_E_clISt17integral_constantIbLb0EES10_IbLb1EEEEDaSW_SX_EUlSW_E_NS1_11comp_targetILNS1_3genE8ELNS1_11target_archE1030ELNS1_3gpuE2ELNS1_3repE0EEENS1_30default_config_static_selectorELNS0_4arch9wavefront6targetE1EEEvT1_, .Lfunc_end696-_ZN7rocprim17ROCPRIM_400000_NS6detail17trampoline_kernelINS0_14default_configENS1_29reduce_by_key_config_selectorIssN6thrust23THRUST_200600_302600_NS4plusIsEEEEZZNS1_33reduce_by_key_impl_wrapped_configILNS1_25lookback_scan_determinismE0ES3_S9_NS6_6detail15normal_iteratorINS6_10device_ptrIsEEEESG_SG_SG_PmS8_22is_equal_div_10_reduceIsEEE10hipError_tPvRmT2_T3_mT4_T5_T6_T7_T8_P12ihipStream_tbENKUlT_T0_E_clISt17integral_constantIbLb0EES10_IbLb1EEEEDaSW_SX_EUlSW_E_NS1_11comp_targetILNS1_3genE8ELNS1_11target_archE1030ELNS1_3gpuE2ELNS1_3repE0EEENS1_30default_config_static_selectorELNS0_4arch9wavefront6targetE1EEEvT1_
                                        ; -- End function
	.section	.AMDGPU.csdata,"",@progbits
; Kernel info:
; codeLenInByte = 0
; NumSgprs: 4
; NumVgprs: 0
; NumAgprs: 0
; TotalNumVgprs: 0
; ScratchSize: 0
; MemoryBound: 0
; FloatMode: 240
; IeeeMode: 1
; LDSByteSize: 0 bytes/workgroup (compile time only)
; SGPRBlocks: 0
; VGPRBlocks: 0
; NumSGPRsForWavesPerEU: 4
; NumVGPRsForWavesPerEU: 1
; AccumOffset: 4
; Occupancy: 8
; WaveLimiterHint : 0
; COMPUTE_PGM_RSRC2:SCRATCH_EN: 0
; COMPUTE_PGM_RSRC2:USER_SGPR: 6
; COMPUTE_PGM_RSRC2:TRAP_HANDLER: 0
; COMPUTE_PGM_RSRC2:TGID_X_EN: 1
; COMPUTE_PGM_RSRC2:TGID_Y_EN: 0
; COMPUTE_PGM_RSRC2:TGID_Z_EN: 0
; COMPUTE_PGM_RSRC2:TIDIG_COMP_CNT: 0
; COMPUTE_PGM_RSRC3_GFX90A:ACCUM_OFFSET: 0
; COMPUTE_PGM_RSRC3_GFX90A:TG_SPLIT: 0
	.section	.text._ZN7rocprim17ROCPRIM_400000_NS6detail17trampoline_kernelINS0_14default_configENS1_29reduce_by_key_config_selectorIyjN6thrust23THRUST_200600_302600_NS4plusIjEEEEZZNS1_33reduce_by_key_impl_wrapped_configILNS1_25lookback_scan_determinismE0ES3_S9_NS6_6detail15normal_iteratorINS6_10device_ptrIyEEEENSD_INSE_IjEEEESG_SI_PmS8_NS6_8equal_toIyEEEE10hipError_tPvRmT2_T3_mT4_T5_T6_T7_T8_P12ihipStream_tbENKUlT_T0_E_clISt17integral_constantIbLb0EES13_EEDaSY_SZ_EUlSY_E_NS1_11comp_targetILNS1_3genE0ELNS1_11target_archE4294967295ELNS1_3gpuE0ELNS1_3repE0EEENS1_30default_config_static_selectorELNS0_4arch9wavefront6targetE1EEEvT1_,"axG",@progbits,_ZN7rocprim17ROCPRIM_400000_NS6detail17trampoline_kernelINS0_14default_configENS1_29reduce_by_key_config_selectorIyjN6thrust23THRUST_200600_302600_NS4plusIjEEEEZZNS1_33reduce_by_key_impl_wrapped_configILNS1_25lookback_scan_determinismE0ES3_S9_NS6_6detail15normal_iteratorINS6_10device_ptrIyEEEENSD_INSE_IjEEEESG_SI_PmS8_NS6_8equal_toIyEEEE10hipError_tPvRmT2_T3_mT4_T5_T6_T7_T8_P12ihipStream_tbENKUlT_T0_E_clISt17integral_constantIbLb0EES13_EEDaSY_SZ_EUlSY_E_NS1_11comp_targetILNS1_3genE0ELNS1_11target_archE4294967295ELNS1_3gpuE0ELNS1_3repE0EEENS1_30default_config_static_selectorELNS0_4arch9wavefront6targetE1EEEvT1_,comdat
	.protected	_ZN7rocprim17ROCPRIM_400000_NS6detail17trampoline_kernelINS0_14default_configENS1_29reduce_by_key_config_selectorIyjN6thrust23THRUST_200600_302600_NS4plusIjEEEEZZNS1_33reduce_by_key_impl_wrapped_configILNS1_25lookback_scan_determinismE0ES3_S9_NS6_6detail15normal_iteratorINS6_10device_ptrIyEEEENSD_INSE_IjEEEESG_SI_PmS8_NS6_8equal_toIyEEEE10hipError_tPvRmT2_T3_mT4_T5_T6_T7_T8_P12ihipStream_tbENKUlT_T0_E_clISt17integral_constantIbLb0EES13_EEDaSY_SZ_EUlSY_E_NS1_11comp_targetILNS1_3genE0ELNS1_11target_archE4294967295ELNS1_3gpuE0ELNS1_3repE0EEENS1_30default_config_static_selectorELNS0_4arch9wavefront6targetE1EEEvT1_ ; -- Begin function _ZN7rocprim17ROCPRIM_400000_NS6detail17trampoline_kernelINS0_14default_configENS1_29reduce_by_key_config_selectorIyjN6thrust23THRUST_200600_302600_NS4plusIjEEEEZZNS1_33reduce_by_key_impl_wrapped_configILNS1_25lookback_scan_determinismE0ES3_S9_NS6_6detail15normal_iteratorINS6_10device_ptrIyEEEENSD_INSE_IjEEEESG_SI_PmS8_NS6_8equal_toIyEEEE10hipError_tPvRmT2_T3_mT4_T5_T6_T7_T8_P12ihipStream_tbENKUlT_T0_E_clISt17integral_constantIbLb0EES13_EEDaSY_SZ_EUlSY_E_NS1_11comp_targetILNS1_3genE0ELNS1_11target_archE4294967295ELNS1_3gpuE0ELNS1_3repE0EEENS1_30default_config_static_selectorELNS0_4arch9wavefront6targetE1EEEvT1_
	.globl	_ZN7rocprim17ROCPRIM_400000_NS6detail17trampoline_kernelINS0_14default_configENS1_29reduce_by_key_config_selectorIyjN6thrust23THRUST_200600_302600_NS4plusIjEEEEZZNS1_33reduce_by_key_impl_wrapped_configILNS1_25lookback_scan_determinismE0ES3_S9_NS6_6detail15normal_iteratorINS6_10device_ptrIyEEEENSD_INSE_IjEEEESG_SI_PmS8_NS6_8equal_toIyEEEE10hipError_tPvRmT2_T3_mT4_T5_T6_T7_T8_P12ihipStream_tbENKUlT_T0_E_clISt17integral_constantIbLb0EES13_EEDaSY_SZ_EUlSY_E_NS1_11comp_targetILNS1_3genE0ELNS1_11target_archE4294967295ELNS1_3gpuE0ELNS1_3repE0EEENS1_30default_config_static_selectorELNS0_4arch9wavefront6targetE1EEEvT1_
	.p2align	8
	.type	_ZN7rocprim17ROCPRIM_400000_NS6detail17trampoline_kernelINS0_14default_configENS1_29reduce_by_key_config_selectorIyjN6thrust23THRUST_200600_302600_NS4plusIjEEEEZZNS1_33reduce_by_key_impl_wrapped_configILNS1_25lookback_scan_determinismE0ES3_S9_NS6_6detail15normal_iteratorINS6_10device_ptrIyEEEENSD_INSE_IjEEEESG_SI_PmS8_NS6_8equal_toIyEEEE10hipError_tPvRmT2_T3_mT4_T5_T6_T7_T8_P12ihipStream_tbENKUlT_T0_E_clISt17integral_constantIbLb0EES13_EEDaSY_SZ_EUlSY_E_NS1_11comp_targetILNS1_3genE0ELNS1_11target_archE4294967295ELNS1_3gpuE0ELNS1_3repE0EEENS1_30default_config_static_selectorELNS0_4arch9wavefront6targetE1EEEvT1_,@function
_ZN7rocprim17ROCPRIM_400000_NS6detail17trampoline_kernelINS0_14default_configENS1_29reduce_by_key_config_selectorIyjN6thrust23THRUST_200600_302600_NS4plusIjEEEEZZNS1_33reduce_by_key_impl_wrapped_configILNS1_25lookback_scan_determinismE0ES3_S9_NS6_6detail15normal_iteratorINS6_10device_ptrIyEEEENSD_INSE_IjEEEESG_SI_PmS8_NS6_8equal_toIyEEEE10hipError_tPvRmT2_T3_mT4_T5_T6_T7_T8_P12ihipStream_tbENKUlT_T0_E_clISt17integral_constantIbLb0EES13_EEDaSY_SZ_EUlSY_E_NS1_11comp_targetILNS1_3genE0ELNS1_11target_archE4294967295ELNS1_3gpuE0ELNS1_3repE0EEENS1_30default_config_static_selectorELNS0_4arch9wavefront6targetE1EEEvT1_: ; @_ZN7rocprim17ROCPRIM_400000_NS6detail17trampoline_kernelINS0_14default_configENS1_29reduce_by_key_config_selectorIyjN6thrust23THRUST_200600_302600_NS4plusIjEEEEZZNS1_33reduce_by_key_impl_wrapped_configILNS1_25lookback_scan_determinismE0ES3_S9_NS6_6detail15normal_iteratorINS6_10device_ptrIyEEEENSD_INSE_IjEEEESG_SI_PmS8_NS6_8equal_toIyEEEE10hipError_tPvRmT2_T3_mT4_T5_T6_T7_T8_P12ihipStream_tbENKUlT_T0_E_clISt17integral_constantIbLb0EES13_EEDaSY_SZ_EUlSY_E_NS1_11comp_targetILNS1_3genE0ELNS1_11target_archE4294967295ELNS1_3gpuE0ELNS1_3repE0EEENS1_30default_config_static_selectorELNS0_4arch9wavefront6targetE1EEEvT1_
; %bb.0:
	.section	.rodata,"a",@progbits
	.p2align	6, 0x0
	.amdhsa_kernel _ZN7rocprim17ROCPRIM_400000_NS6detail17trampoline_kernelINS0_14default_configENS1_29reduce_by_key_config_selectorIyjN6thrust23THRUST_200600_302600_NS4plusIjEEEEZZNS1_33reduce_by_key_impl_wrapped_configILNS1_25lookback_scan_determinismE0ES3_S9_NS6_6detail15normal_iteratorINS6_10device_ptrIyEEEENSD_INSE_IjEEEESG_SI_PmS8_NS6_8equal_toIyEEEE10hipError_tPvRmT2_T3_mT4_T5_T6_T7_T8_P12ihipStream_tbENKUlT_T0_E_clISt17integral_constantIbLb0EES13_EEDaSY_SZ_EUlSY_E_NS1_11comp_targetILNS1_3genE0ELNS1_11target_archE4294967295ELNS1_3gpuE0ELNS1_3repE0EEENS1_30default_config_static_selectorELNS0_4arch9wavefront6targetE1EEEvT1_
		.amdhsa_group_segment_fixed_size 0
		.amdhsa_private_segment_fixed_size 0
		.amdhsa_kernarg_size 120
		.amdhsa_user_sgpr_count 6
		.amdhsa_user_sgpr_private_segment_buffer 1
		.amdhsa_user_sgpr_dispatch_ptr 0
		.amdhsa_user_sgpr_queue_ptr 0
		.amdhsa_user_sgpr_kernarg_segment_ptr 1
		.amdhsa_user_sgpr_dispatch_id 0
		.amdhsa_user_sgpr_flat_scratch_init 0
		.amdhsa_user_sgpr_kernarg_preload_length 0
		.amdhsa_user_sgpr_kernarg_preload_offset 0
		.amdhsa_user_sgpr_private_segment_size 0
		.amdhsa_uses_dynamic_stack 0
		.amdhsa_system_sgpr_private_segment_wavefront_offset 0
		.amdhsa_system_sgpr_workgroup_id_x 1
		.amdhsa_system_sgpr_workgroup_id_y 0
		.amdhsa_system_sgpr_workgroup_id_z 0
		.amdhsa_system_sgpr_workgroup_info 0
		.amdhsa_system_vgpr_workitem_id 0
		.amdhsa_next_free_vgpr 1
		.amdhsa_next_free_sgpr 0
		.amdhsa_accum_offset 4
		.amdhsa_reserve_vcc 0
		.amdhsa_reserve_flat_scratch 0
		.amdhsa_float_round_mode_32 0
		.amdhsa_float_round_mode_16_64 0
		.amdhsa_float_denorm_mode_32 3
		.amdhsa_float_denorm_mode_16_64 3
		.amdhsa_dx10_clamp 1
		.amdhsa_ieee_mode 1
		.amdhsa_fp16_overflow 0
		.amdhsa_tg_split 0
		.amdhsa_exception_fp_ieee_invalid_op 0
		.amdhsa_exception_fp_denorm_src 0
		.amdhsa_exception_fp_ieee_div_zero 0
		.amdhsa_exception_fp_ieee_overflow 0
		.amdhsa_exception_fp_ieee_underflow 0
		.amdhsa_exception_fp_ieee_inexact 0
		.amdhsa_exception_int_div_zero 0
	.end_amdhsa_kernel
	.section	.text._ZN7rocprim17ROCPRIM_400000_NS6detail17trampoline_kernelINS0_14default_configENS1_29reduce_by_key_config_selectorIyjN6thrust23THRUST_200600_302600_NS4plusIjEEEEZZNS1_33reduce_by_key_impl_wrapped_configILNS1_25lookback_scan_determinismE0ES3_S9_NS6_6detail15normal_iteratorINS6_10device_ptrIyEEEENSD_INSE_IjEEEESG_SI_PmS8_NS6_8equal_toIyEEEE10hipError_tPvRmT2_T3_mT4_T5_T6_T7_T8_P12ihipStream_tbENKUlT_T0_E_clISt17integral_constantIbLb0EES13_EEDaSY_SZ_EUlSY_E_NS1_11comp_targetILNS1_3genE0ELNS1_11target_archE4294967295ELNS1_3gpuE0ELNS1_3repE0EEENS1_30default_config_static_selectorELNS0_4arch9wavefront6targetE1EEEvT1_,"axG",@progbits,_ZN7rocprim17ROCPRIM_400000_NS6detail17trampoline_kernelINS0_14default_configENS1_29reduce_by_key_config_selectorIyjN6thrust23THRUST_200600_302600_NS4plusIjEEEEZZNS1_33reduce_by_key_impl_wrapped_configILNS1_25lookback_scan_determinismE0ES3_S9_NS6_6detail15normal_iteratorINS6_10device_ptrIyEEEENSD_INSE_IjEEEESG_SI_PmS8_NS6_8equal_toIyEEEE10hipError_tPvRmT2_T3_mT4_T5_T6_T7_T8_P12ihipStream_tbENKUlT_T0_E_clISt17integral_constantIbLb0EES13_EEDaSY_SZ_EUlSY_E_NS1_11comp_targetILNS1_3genE0ELNS1_11target_archE4294967295ELNS1_3gpuE0ELNS1_3repE0EEENS1_30default_config_static_selectorELNS0_4arch9wavefront6targetE1EEEvT1_,comdat
.Lfunc_end697:
	.size	_ZN7rocprim17ROCPRIM_400000_NS6detail17trampoline_kernelINS0_14default_configENS1_29reduce_by_key_config_selectorIyjN6thrust23THRUST_200600_302600_NS4plusIjEEEEZZNS1_33reduce_by_key_impl_wrapped_configILNS1_25lookback_scan_determinismE0ES3_S9_NS6_6detail15normal_iteratorINS6_10device_ptrIyEEEENSD_INSE_IjEEEESG_SI_PmS8_NS6_8equal_toIyEEEE10hipError_tPvRmT2_T3_mT4_T5_T6_T7_T8_P12ihipStream_tbENKUlT_T0_E_clISt17integral_constantIbLb0EES13_EEDaSY_SZ_EUlSY_E_NS1_11comp_targetILNS1_3genE0ELNS1_11target_archE4294967295ELNS1_3gpuE0ELNS1_3repE0EEENS1_30default_config_static_selectorELNS0_4arch9wavefront6targetE1EEEvT1_, .Lfunc_end697-_ZN7rocprim17ROCPRIM_400000_NS6detail17trampoline_kernelINS0_14default_configENS1_29reduce_by_key_config_selectorIyjN6thrust23THRUST_200600_302600_NS4plusIjEEEEZZNS1_33reduce_by_key_impl_wrapped_configILNS1_25lookback_scan_determinismE0ES3_S9_NS6_6detail15normal_iteratorINS6_10device_ptrIyEEEENSD_INSE_IjEEEESG_SI_PmS8_NS6_8equal_toIyEEEE10hipError_tPvRmT2_T3_mT4_T5_T6_T7_T8_P12ihipStream_tbENKUlT_T0_E_clISt17integral_constantIbLb0EES13_EEDaSY_SZ_EUlSY_E_NS1_11comp_targetILNS1_3genE0ELNS1_11target_archE4294967295ELNS1_3gpuE0ELNS1_3repE0EEENS1_30default_config_static_selectorELNS0_4arch9wavefront6targetE1EEEvT1_
                                        ; -- End function
	.section	.AMDGPU.csdata,"",@progbits
; Kernel info:
; codeLenInByte = 0
; NumSgprs: 4
; NumVgprs: 0
; NumAgprs: 0
; TotalNumVgprs: 0
; ScratchSize: 0
; MemoryBound: 0
; FloatMode: 240
; IeeeMode: 1
; LDSByteSize: 0 bytes/workgroup (compile time only)
; SGPRBlocks: 0
; VGPRBlocks: 0
; NumSGPRsForWavesPerEU: 4
; NumVGPRsForWavesPerEU: 1
; AccumOffset: 4
; Occupancy: 8
; WaveLimiterHint : 0
; COMPUTE_PGM_RSRC2:SCRATCH_EN: 0
; COMPUTE_PGM_RSRC2:USER_SGPR: 6
; COMPUTE_PGM_RSRC2:TRAP_HANDLER: 0
; COMPUTE_PGM_RSRC2:TGID_X_EN: 1
; COMPUTE_PGM_RSRC2:TGID_Y_EN: 0
; COMPUTE_PGM_RSRC2:TGID_Z_EN: 0
; COMPUTE_PGM_RSRC2:TIDIG_COMP_CNT: 0
; COMPUTE_PGM_RSRC3_GFX90A:ACCUM_OFFSET: 0
; COMPUTE_PGM_RSRC3_GFX90A:TG_SPLIT: 0
	.section	.text._ZN7rocprim17ROCPRIM_400000_NS6detail17trampoline_kernelINS0_14default_configENS1_29reduce_by_key_config_selectorIyjN6thrust23THRUST_200600_302600_NS4plusIjEEEEZZNS1_33reduce_by_key_impl_wrapped_configILNS1_25lookback_scan_determinismE0ES3_S9_NS6_6detail15normal_iteratorINS6_10device_ptrIyEEEENSD_INSE_IjEEEESG_SI_PmS8_NS6_8equal_toIyEEEE10hipError_tPvRmT2_T3_mT4_T5_T6_T7_T8_P12ihipStream_tbENKUlT_T0_E_clISt17integral_constantIbLb0EES13_EEDaSY_SZ_EUlSY_E_NS1_11comp_targetILNS1_3genE5ELNS1_11target_archE942ELNS1_3gpuE9ELNS1_3repE0EEENS1_30default_config_static_selectorELNS0_4arch9wavefront6targetE1EEEvT1_,"axG",@progbits,_ZN7rocprim17ROCPRIM_400000_NS6detail17trampoline_kernelINS0_14default_configENS1_29reduce_by_key_config_selectorIyjN6thrust23THRUST_200600_302600_NS4plusIjEEEEZZNS1_33reduce_by_key_impl_wrapped_configILNS1_25lookback_scan_determinismE0ES3_S9_NS6_6detail15normal_iteratorINS6_10device_ptrIyEEEENSD_INSE_IjEEEESG_SI_PmS8_NS6_8equal_toIyEEEE10hipError_tPvRmT2_T3_mT4_T5_T6_T7_T8_P12ihipStream_tbENKUlT_T0_E_clISt17integral_constantIbLb0EES13_EEDaSY_SZ_EUlSY_E_NS1_11comp_targetILNS1_3genE5ELNS1_11target_archE942ELNS1_3gpuE9ELNS1_3repE0EEENS1_30default_config_static_selectorELNS0_4arch9wavefront6targetE1EEEvT1_,comdat
	.protected	_ZN7rocprim17ROCPRIM_400000_NS6detail17trampoline_kernelINS0_14default_configENS1_29reduce_by_key_config_selectorIyjN6thrust23THRUST_200600_302600_NS4plusIjEEEEZZNS1_33reduce_by_key_impl_wrapped_configILNS1_25lookback_scan_determinismE0ES3_S9_NS6_6detail15normal_iteratorINS6_10device_ptrIyEEEENSD_INSE_IjEEEESG_SI_PmS8_NS6_8equal_toIyEEEE10hipError_tPvRmT2_T3_mT4_T5_T6_T7_T8_P12ihipStream_tbENKUlT_T0_E_clISt17integral_constantIbLb0EES13_EEDaSY_SZ_EUlSY_E_NS1_11comp_targetILNS1_3genE5ELNS1_11target_archE942ELNS1_3gpuE9ELNS1_3repE0EEENS1_30default_config_static_selectorELNS0_4arch9wavefront6targetE1EEEvT1_ ; -- Begin function _ZN7rocprim17ROCPRIM_400000_NS6detail17trampoline_kernelINS0_14default_configENS1_29reduce_by_key_config_selectorIyjN6thrust23THRUST_200600_302600_NS4plusIjEEEEZZNS1_33reduce_by_key_impl_wrapped_configILNS1_25lookback_scan_determinismE0ES3_S9_NS6_6detail15normal_iteratorINS6_10device_ptrIyEEEENSD_INSE_IjEEEESG_SI_PmS8_NS6_8equal_toIyEEEE10hipError_tPvRmT2_T3_mT4_T5_T6_T7_T8_P12ihipStream_tbENKUlT_T0_E_clISt17integral_constantIbLb0EES13_EEDaSY_SZ_EUlSY_E_NS1_11comp_targetILNS1_3genE5ELNS1_11target_archE942ELNS1_3gpuE9ELNS1_3repE0EEENS1_30default_config_static_selectorELNS0_4arch9wavefront6targetE1EEEvT1_
	.globl	_ZN7rocprim17ROCPRIM_400000_NS6detail17trampoline_kernelINS0_14default_configENS1_29reduce_by_key_config_selectorIyjN6thrust23THRUST_200600_302600_NS4plusIjEEEEZZNS1_33reduce_by_key_impl_wrapped_configILNS1_25lookback_scan_determinismE0ES3_S9_NS6_6detail15normal_iteratorINS6_10device_ptrIyEEEENSD_INSE_IjEEEESG_SI_PmS8_NS6_8equal_toIyEEEE10hipError_tPvRmT2_T3_mT4_T5_T6_T7_T8_P12ihipStream_tbENKUlT_T0_E_clISt17integral_constantIbLb0EES13_EEDaSY_SZ_EUlSY_E_NS1_11comp_targetILNS1_3genE5ELNS1_11target_archE942ELNS1_3gpuE9ELNS1_3repE0EEENS1_30default_config_static_selectorELNS0_4arch9wavefront6targetE1EEEvT1_
	.p2align	8
	.type	_ZN7rocprim17ROCPRIM_400000_NS6detail17trampoline_kernelINS0_14default_configENS1_29reduce_by_key_config_selectorIyjN6thrust23THRUST_200600_302600_NS4plusIjEEEEZZNS1_33reduce_by_key_impl_wrapped_configILNS1_25lookback_scan_determinismE0ES3_S9_NS6_6detail15normal_iteratorINS6_10device_ptrIyEEEENSD_INSE_IjEEEESG_SI_PmS8_NS6_8equal_toIyEEEE10hipError_tPvRmT2_T3_mT4_T5_T6_T7_T8_P12ihipStream_tbENKUlT_T0_E_clISt17integral_constantIbLb0EES13_EEDaSY_SZ_EUlSY_E_NS1_11comp_targetILNS1_3genE5ELNS1_11target_archE942ELNS1_3gpuE9ELNS1_3repE0EEENS1_30default_config_static_selectorELNS0_4arch9wavefront6targetE1EEEvT1_,@function
_ZN7rocprim17ROCPRIM_400000_NS6detail17trampoline_kernelINS0_14default_configENS1_29reduce_by_key_config_selectorIyjN6thrust23THRUST_200600_302600_NS4plusIjEEEEZZNS1_33reduce_by_key_impl_wrapped_configILNS1_25lookback_scan_determinismE0ES3_S9_NS6_6detail15normal_iteratorINS6_10device_ptrIyEEEENSD_INSE_IjEEEESG_SI_PmS8_NS6_8equal_toIyEEEE10hipError_tPvRmT2_T3_mT4_T5_T6_T7_T8_P12ihipStream_tbENKUlT_T0_E_clISt17integral_constantIbLb0EES13_EEDaSY_SZ_EUlSY_E_NS1_11comp_targetILNS1_3genE5ELNS1_11target_archE942ELNS1_3gpuE9ELNS1_3repE0EEENS1_30default_config_static_selectorELNS0_4arch9wavefront6targetE1EEEvT1_: ; @_ZN7rocprim17ROCPRIM_400000_NS6detail17trampoline_kernelINS0_14default_configENS1_29reduce_by_key_config_selectorIyjN6thrust23THRUST_200600_302600_NS4plusIjEEEEZZNS1_33reduce_by_key_impl_wrapped_configILNS1_25lookback_scan_determinismE0ES3_S9_NS6_6detail15normal_iteratorINS6_10device_ptrIyEEEENSD_INSE_IjEEEESG_SI_PmS8_NS6_8equal_toIyEEEE10hipError_tPvRmT2_T3_mT4_T5_T6_T7_T8_P12ihipStream_tbENKUlT_T0_E_clISt17integral_constantIbLb0EES13_EEDaSY_SZ_EUlSY_E_NS1_11comp_targetILNS1_3genE5ELNS1_11target_archE942ELNS1_3gpuE9ELNS1_3repE0EEENS1_30default_config_static_selectorELNS0_4arch9wavefront6targetE1EEEvT1_
; %bb.0:
	.section	.rodata,"a",@progbits
	.p2align	6, 0x0
	.amdhsa_kernel _ZN7rocprim17ROCPRIM_400000_NS6detail17trampoline_kernelINS0_14default_configENS1_29reduce_by_key_config_selectorIyjN6thrust23THRUST_200600_302600_NS4plusIjEEEEZZNS1_33reduce_by_key_impl_wrapped_configILNS1_25lookback_scan_determinismE0ES3_S9_NS6_6detail15normal_iteratorINS6_10device_ptrIyEEEENSD_INSE_IjEEEESG_SI_PmS8_NS6_8equal_toIyEEEE10hipError_tPvRmT2_T3_mT4_T5_T6_T7_T8_P12ihipStream_tbENKUlT_T0_E_clISt17integral_constantIbLb0EES13_EEDaSY_SZ_EUlSY_E_NS1_11comp_targetILNS1_3genE5ELNS1_11target_archE942ELNS1_3gpuE9ELNS1_3repE0EEENS1_30default_config_static_selectorELNS0_4arch9wavefront6targetE1EEEvT1_
		.amdhsa_group_segment_fixed_size 0
		.amdhsa_private_segment_fixed_size 0
		.amdhsa_kernarg_size 120
		.amdhsa_user_sgpr_count 6
		.amdhsa_user_sgpr_private_segment_buffer 1
		.amdhsa_user_sgpr_dispatch_ptr 0
		.amdhsa_user_sgpr_queue_ptr 0
		.amdhsa_user_sgpr_kernarg_segment_ptr 1
		.amdhsa_user_sgpr_dispatch_id 0
		.amdhsa_user_sgpr_flat_scratch_init 0
		.amdhsa_user_sgpr_kernarg_preload_length 0
		.amdhsa_user_sgpr_kernarg_preload_offset 0
		.amdhsa_user_sgpr_private_segment_size 0
		.amdhsa_uses_dynamic_stack 0
		.amdhsa_system_sgpr_private_segment_wavefront_offset 0
		.amdhsa_system_sgpr_workgroup_id_x 1
		.amdhsa_system_sgpr_workgroup_id_y 0
		.amdhsa_system_sgpr_workgroup_id_z 0
		.amdhsa_system_sgpr_workgroup_info 0
		.amdhsa_system_vgpr_workitem_id 0
		.amdhsa_next_free_vgpr 1
		.amdhsa_next_free_sgpr 0
		.amdhsa_accum_offset 4
		.amdhsa_reserve_vcc 0
		.amdhsa_reserve_flat_scratch 0
		.amdhsa_float_round_mode_32 0
		.amdhsa_float_round_mode_16_64 0
		.amdhsa_float_denorm_mode_32 3
		.amdhsa_float_denorm_mode_16_64 3
		.amdhsa_dx10_clamp 1
		.amdhsa_ieee_mode 1
		.amdhsa_fp16_overflow 0
		.amdhsa_tg_split 0
		.amdhsa_exception_fp_ieee_invalid_op 0
		.amdhsa_exception_fp_denorm_src 0
		.amdhsa_exception_fp_ieee_div_zero 0
		.amdhsa_exception_fp_ieee_overflow 0
		.amdhsa_exception_fp_ieee_underflow 0
		.amdhsa_exception_fp_ieee_inexact 0
		.amdhsa_exception_int_div_zero 0
	.end_amdhsa_kernel
	.section	.text._ZN7rocprim17ROCPRIM_400000_NS6detail17trampoline_kernelINS0_14default_configENS1_29reduce_by_key_config_selectorIyjN6thrust23THRUST_200600_302600_NS4plusIjEEEEZZNS1_33reduce_by_key_impl_wrapped_configILNS1_25lookback_scan_determinismE0ES3_S9_NS6_6detail15normal_iteratorINS6_10device_ptrIyEEEENSD_INSE_IjEEEESG_SI_PmS8_NS6_8equal_toIyEEEE10hipError_tPvRmT2_T3_mT4_T5_T6_T7_T8_P12ihipStream_tbENKUlT_T0_E_clISt17integral_constantIbLb0EES13_EEDaSY_SZ_EUlSY_E_NS1_11comp_targetILNS1_3genE5ELNS1_11target_archE942ELNS1_3gpuE9ELNS1_3repE0EEENS1_30default_config_static_selectorELNS0_4arch9wavefront6targetE1EEEvT1_,"axG",@progbits,_ZN7rocprim17ROCPRIM_400000_NS6detail17trampoline_kernelINS0_14default_configENS1_29reduce_by_key_config_selectorIyjN6thrust23THRUST_200600_302600_NS4plusIjEEEEZZNS1_33reduce_by_key_impl_wrapped_configILNS1_25lookback_scan_determinismE0ES3_S9_NS6_6detail15normal_iteratorINS6_10device_ptrIyEEEENSD_INSE_IjEEEESG_SI_PmS8_NS6_8equal_toIyEEEE10hipError_tPvRmT2_T3_mT4_T5_T6_T7_T8_P12ihipStream_tbENKUlT_T0_E_clISt17integral_constantIbLb0EES13_EEDaSY_SZ_EUlSY_E_NS1_11comp_targetILNS1_3genE5ELNS1_11target_archE942ELNS1_3gpuE9ELNS1_3repE0EEENS1_30default_config_static_selectorELNS0_4arch9wavefront6targetE1EEEvT1_,comdat
.Lfunc_end698:
	.size	_ZN7rocprim17ROCPRIM_400000_NS6detail17trampoline_kernelINS0_14default_configENS1_29reduce_by_key_config_selectorIyjN6thrust23THRUST_200600_302600_NS4plusIjEEEEZZNS1_33reduce_by_key_impl_wrapped_configILNS1_25lookback_scan_determinismE0ES3_S9_NS6_6detail15normal_iteratorINS6_10device_ptrIyEEEENSD_INSE_IjEEEESG_SI_PmS8_NS6_8equal_toIyEEEE10hipError_tPvRmT2_T3_mT4_T5_T6_T7_T8_P12ihipStream_tbENKUlT_T0_E_clISt17integral_constantIbLb0EES13_EEDaSY_SZ_EUlSY_E_NS1_11comp_targetILNS1_3genE5ELNS1_11target_archE942ELNS1_3gpuE9ELNS1_3repE0EEENS1_30default_config_static_selectorELNS0_4arch9wavefront6targetE1EEEvT1_, .Lfunc_end698-_ZN7rocprim17ROCPRIM_400000_NS6detail17trampoline_kernelINS0_14default_configENS1_29reduce_by_key_config_selectorIyjN6thrust23THRUST_200600_302600_NS4plusIjEEEEZZNS1_33reduce_by_key_impl_wrapped_configILNS1_25lookback_scan_determinismE0ES3_S9_NS6_6detail15normal_iteratorINS6_10device_ptrIyEEEENSD_INSE_IjEEEESG_SI_PmS8_NS6_8equal_toIyEEEE10hipError_tPvRmT2_T3_mT4_T5_T6_T7_T8_P12ihipStream_tbENKUlT_T0_E_clISt17integral_constantIbLb0EES13_EEDaSY_SZ_EUlSY_E_NS1_11comp_targetILNS1_3genE5ELNS1_11target_archE942ELNS1_3gpuE9ELNS1_3repE0EEENS1_30default_config_static_selectorELNS0_4arch9wavefront6targetE1EEEvT1_
                                        ; -- End function
	.section	.AMDGPU.csdata,"",@progbits
; Kernel info:
; codeLenInByte = 0
; NumSgprs: 4
; NumVgprs: 0
; NumAgprs: 0
; TotalNumVgprs: 0
; ScratchSize: 0
; MemoryBound: 0
; FloatMode: 240
; IeeeMode: 1
; LDSByteSize: 0 bytes/workgroup (compile time only)
; SGPRBlocks: 0
; VGPRBlocks: 0
; NumSGPRsForWavesPerEU: 4
; NumVGPRsForWavesPerEU: 1
; AccumOffset: 4
; Occupancy: 8
; WaveLimiterHint : 0
; COMPUTE_PGM_RSRC2:SCRATCH_EN: 0
; COMPUTE_PGM_RSRC2:USER_SGPR: 6
; COMPUTE_PGM_RSRC2:TRAP_HANDLER: 0
; COMPUTE_PGM_RSRC2:TGID_X_EN: 1
; COMPUTE_PGM_RSRC2:TGID_Y_EN: 0
; COMPUTE_PGM_RSRC2:TGID_Z_EN: 0
; COMPUTE_PGM_RSRC2:TIDIG_COMP_CNT: 0
; COMPUTE_PGM_RSRC3_GFX90A:ACCUM_OFFSET: 0
; COMPUTE_PGM_RSRC3_GFX90A:TG_SPLIT: 0
	.section	.text._ZN7rocprim17ROCPRIM_400000_NS6detail17trampoline_kernelINS0_14default_configENS1_29reduce_by_key_config_selectorIyjN6thrust23THRUST_200600_302600_NS4plusIjEEEEZZNS1_33reduce_by_key_impl_wrapped_configILNS1_25lookback_scan_determinismE0ES3_S9_NS6_6detail15normal_iteratorINS6_10device_ptrIyEEEENSD_INSE_IjEEEESG_SI_PmS8_NS6_8equal_toIyEEEE10hipError_tPvRmT2_T3_mT4_T5_T6_T7_T8_P12ihipStream_tbENKUlT_T0_E_clISt17integral_constantIbLb0EES13_EEDaSY_SZ_EUlSY_E_NS1_11comp_targetILNS1_3genE4ELNS1_11target_archE910ELNS1_3gpuE8ELNS1_3repE0EEENS1_30default_config_static_selectorELNS0_4arch9wavefront6targetE1EEEvT1_,"axG",@progbits,_ZN7rocprim17ROCPRIM_400000_NS6detail17trampoline_kernelINS0_14default_configENS1_29reduce_by_key_config_selectorIyjN6thrust23THRUST_200600_302600_NS4plusIjEEEEZZNS1_33reduce_by_key_impl_wrapped_configILNS1_25lookback_scan_determinismE0ES3_S9_NS6_6detail15normal_iteratorINS6_10device_ptrIyEEEENSD_INSE_IjEEEESG_SI_PmS8_NS6_8equal_toIyEEEE10hipError_tPvRmT2_T3_mT4_T5_T6_T7_T8_P12ihipStream_tbENKUlT_T0_E_clISt17integral_constantIbLb0EES13_EEDaSY_SZ_EUlSY_E_NS1_11comp_targetILNS1_3genE4ELNS1_11target_archE910ELNS1_3gpuE8ELNS1_3repE0EEENS1_30default_config_static_selectorELNS0_4arch9wavefront6targetE1EEEvT1_,comdat
	.protected	_ZN7rocprim17ROCPRIM_400000_NS6detail17trampoline_kernelINS0_14default_configENS1_29reduce_by_key_config_selectorIyjN6thrust23THRUST_200600_302600_NS4plusIjEEEEZZNS1_33reduce_by_key_impl_wrapped_configILNS1_25lookback_scan_determinismE0ES3_S9_NS6_6detail15normal_iteratorINS6_10device_ptrIyEEEENSD_INSE_IjEEEESG_SI_PmS8_NS6_8equal_toIyEEEE10hipError_tPvRmT2_T3_mT4_T5_T6_T7_T8_P12ihipStream_tbENKUlT_T0_E_clISt17integral_constantIbLb0EES13_EEDaSY_SZ_EUlSY_E_NS1_11comp_targetILNS1_3genE4ELNS1_11target_archE910ELNS1_3gpuE8ELNS1_3repE0EEENS1_30default_config_static_selectorELNS0_4arch9wavefront6targetE1EEEvT1_ ; -- Begin function _ZN7rocprim17ROCPRIM_400000_NS6detail17trampoline_kernelINS0_14default_configENS1_29reduce_by_key_config_selectorIyjN6thrust23THRUST_200600_302600_NS4plusIjEEEEZZNS1_33reduce_by_key_impl_wrapped_configILNS1_25lookback_scan_determinismE0ES3_S9_NS6_6detail15normal_iteratorINS6_10device_ptrIyEEEENSD_INSE_IjEEEESG_SI_PmS8_NS6_8equal_toIyEEEE10hipError_tPvRmT2_T3_mT4_T5_T6_T7_T8_P12ihipStream_tbENKUlT_T0_E_clISt17integral_constantIbLb0EES13_EEDaSY_SZ_EUlSY_E_NS1_11comp_targetILNS1_3genE4ELNS1_11target_archE910ELNS1_3gpuE8ELNS1_3repE0EEENS1_30default_config_static_selectorELNS0_4arch9wavefront6targetE1EEEvT1_
	.globl	_ZN7rocprim17ROCPRIM_400000_NS6detail17trampoline_kernelINS0_14default_configENS1_29reduce_by_key_config_selectorIyjN6thrust23THRUST_200600_302600_NS4plusIjEEEEZZNS1_33reduce_by_key_impl_wrapped_configILNS1_25lookback_scan_determinismE0ES3_S9_NS6_6detail15normal_iteratorINS6_10device_ptrIyEEEENSD_INSE_IjEEEESG_SI_PmS8_NS6_8equal_toIyEEEE10hipError_tPvRmT2_T3_mT4_T5_T6_T7_T8_P12ihipStream_tbENKUlT_T0_E_clISt17integral_constantIbLb0EES13_EEDaSY_SZ_EUlSY_E_NS1_11comp_targetILNS1_3genE4ELNS1_11target_archE910ELNS1_3gpuE8ELNS1_3repE0EEENS1_30default_config_static_selectorELNS0_4arch9wavefront6targetE1EEEvT1_
	.p2align	8
	.type	_ZN7rocprim17ROCPRIM_400000_NS6detail17trampoline_kernelINS0_14default_configENS1_29reduce_by_key_config_selectorIyjN6thrust23THRUST_200600_302600_NS4plusIjEEEEZZNS1_33reduce_by_key_impl_wrapped_configILNS1_25lookback_scan_determinismE0ES3_S9_NS6_6detail15normal_iteratorINS6_10device_ptrIyEEEENSD_INSE_IjEEEESG_SI_PmS8_NS6_8equal_toIyEEEE10hipError_tPvRmT2_T3_mT4_T5_T6_T7_T8_P12ihipStream_tbENKUlT_T0_E_clISt17integral_constantIbLb0EES13_EEDaSY_SZ_EUlSY_E_NS1_11comp_targetILNS1_3genE4ELNS1_11target_archE910ELNS1_3gpuE8ELNS1_3repE0EEENS1_30default_config_static_selectorELNS0_4arch9wavefront6targetE1EEEvT1_,@function
_ZN7rocprim17ROCPRIM_400000_NS6detail17trampoline_kernelINS0_14default_configENS1_29reduce_by_key_config_selectorIyjN6thrust23THRUST_200600_302600_NS4plusIjEEEEZZNS1_33reduce_by_key_impl_wrapped_configILNS1_25lookback_scan_determinismE0ES3_S9_NS6_6detail15normal_iteratorINS6_10device_ptrIyEEEENSD_INSE_IjEEEESG_SI_PmS8_NS6_8equal_toIyEEEE10hipError_tPvRmT2_T3_mT4_T5_T6_T7_T8_P12ihipStream_tbENKUlT_T0_E_clISt17integral_constantIbLb0EES13_EEDaSY_SZ_EUlSY_E_NS1_11comp_targetILNS1_3genE4ELNS1_11target_archE910ELNS1_3gpuE8ELNS1_3repE0EEENS1_30default_config_static_selectorELNS0_4arch9wavefront6targetE1EEEvT1_: ; @_ZN7rocprim17ROCPRIM_400000_NS6detail17trampoline_kernelINS0_14default_configENS1_29reduce_by_key_config_selectorIyjN6thrust23THRUST_200600_302600_NS4plusIjEEEEZZNS1_33reduce_by_key_impl_wrapped_configILNS1_25lookback_scan_determinismE0ES3_S9_NS6_6detail15normal_iteratorINS6_10device_ptrIyEEEENSD_INSE_IjEEEESG_SI_PmS8_NS6_8equal_toIyEEEE10hipError_tPvRmT2_T3_mT4_T5_T6_T7_T8_P12ihipStream_tbENKUlT_T0_E_clISt17integral_constantIbLb0EES13_EEDaSY_SZ_EUlSY_E_NS1_11comp_targetILNS1_3genE4ELNS1_11target_archE910ELNS1_3gpuE8ELNS1_3repE0EEENS1_30default_config_static_selectorELNS0_4arch9wavefront6targetE1EEEvT1_
; %bb.0:
	s_load_dwordx8 s[36:43], s[4:5], 0x0
	s_load_dwordx4 s[52:55], s[4:5], 0x20
	s_load_dwordx8 s[44:51], s[4:5], 0x38
	s_load_dwordx2 s[60:61], s[4:5], 0x68
	s_load_dwordx4 s[56:59], s[4:5], 0x58
	s_waitcnt lgkmcnt(0)
	s_lshl_b64 s[0:1], s[38:39], 3
	s_add_u32 s4, s36, s0
	s_addc_u32 s5, s37, s1
	s_lshl_b64 s[0:1], s[38:39], 2
	s_add_u32 s8, s40, s0
	s_addc_u32 s9, s41, s1
	s_mul_i32 s0, s48, s47
	s_mul_hi_u32 s1, s48, s46
	s_add_i32 s0, s1, s0
	s_mul_i32 s1, s49, s46
	s_add_i32 s10, s0, s1
	s_mul_i32 s0, s6, 0xf00
	s_mov_b32 s1, 0
	s_lshl_b64 s[2:3], s[0:1], 3
	s_add_u32 s7, s4, s2
	s_addc_u32 s62, s5, s3
	s_lshl_b64 s[0:1], s[0:1], 2
	s_mul_i32 s11, s48, s46
	s_add_u32 s48, s8, s0
	s_addc_u32 s49, s9, s1
	s_add_u32 s38, s11, s6
	s_addc_u32 s39, s10, 0
	s_add_u32 s2, s50, -1
	s_addc_u32 s3, s51, -1
	s_cmp_eq_u64 s[38:39], s[2:3]
	s_cselect_b64 s[34:35], -1, 0
	s_cmp_lg_u64 s[38:39], s[2:3]
	s_mov_b64 s[0:1], -1
	s_cselect_b64 s[40:41], -1, 0
	s_mul_i32 s33, s2, 0xfffff100
	s_and_b64 vcc, exec, s[34:35]
	v_mad_u32_u24 v50, v0, 15, 1
	v_mad_u32_u24 v52, v0, 15, 2
	;; [unrolled: 1-line block ×14, first 2 shown]
	s_cbranch_vccnz .LBB699_2
; %bb.1:
	v_lshlrev_b32_e32 v1, 3, v0
	v_mov_b32_e32 v3, s62
	v_add_co_u32_e32 v2, vcc, s7, v1
	v_addc_co_u32_e32 v3, vcc, 0, v3, vcc
	v_add_co_u32_e32 v4, vcc, 0x1000, v2
	v_addc_co_u32_e32 v5, vcc, 0, v3, vcc
	flat_load_dwordx2 v[6:7], v[2:3]
	flat_load_dwordx2 v[8:9], v[2:3] offset:2048
	flat_load_dwordx2 v[10:11], v[4:5]
	flat_load_dwordx2 v[12:13], v[4:5] offset:2048
	v_add_co_u32_e32 v4, vcc, 0x2000, v2
	v_addc_co_u32_e32 v5, vcc, 0, v3, vcc
	v_add_co_u32_e32 v14, vcc, 0x3000, v2
	v_addc_co_u32_e32 v15, vcc, 0, v3, vcc
	flat_load_dwordx2 v[16:17], v[4:5]
	flat_load_dwordx2 v[18:19], v[4:5] offset:2048
	flat_load_dwordx2 v[20:21], v[14:15]
	flat_load_dwordx2 v[22:23], v[14:15] offset:2048
	v_add_co_u32_e32 v4, vcc, 0x4000, v2
	v_addc_co_u32_e32 v5, vcc, 0, v3, vcc
	v_add_co_u32_e32 v14, vcc, 0x5000, v2
	v_addc_co_u32_e32 v15, vcc, 0, v3, vcc
	flat_load_dwordx2 v[24:25], v[4:5]
	flat_load_dwordx2 v[26:27], v[4:5] offset:2048
	flat_load_dwordx2 v[28:29], v[14:15]
	flat_load_dwordx2 v[30:31], v[14:15] offset:2048
	v_add_co_u32_e32 v4, vcc, 0x6000, v2
	v_addc_co_u32_e32 v5, vcc, 0, v3, vcc
	v_add_co_u32_e32 v2, vcc, 0x7000, v2
	v_addc_co_u32_e32 v3, vcc, 0, v3, vcc
	flat_load_dwordx2 v[14:15], v[4:5]
	flat_load_dwordx2 v[32:33], v[4:5] offset:2048
	flat_load_dwordx2 v[34:35], v[2:3]
	v_lshlrev_b32_e32 v2, 2, v0
	v_mov_b32_e32 v3, s49
	v_add_co_u32_e32 v36, vcc, s48, v2
	s_movk_i32 s0, 0x1000
	v_addc_co_u32_e32 v37, vcc, 0, v3, vcc
	s_movk_i32 s3, 0x70
	s_movk_i32 s1, 0x2000
	v_mad_u32_u24 v38, v0, s3, v1
	s_movk_i32 s2, 0x3000
	s_waitcnt vmcnt(0) lgkmcnt(0)
	ds_write2st64_b64 v1, v[6:7], v[8:9] offset1:4
	ds_write2st64_b64 v1, v[10:11], v[12:13] offset0:8 offset1:12
	ds_write2st64_b64 v1, v[16:17], v[18:19] offset0:16 offset1:20
	;; [unrolled: 1-line block ×6, first 2 shown]
	ds_write_b64 v1, v[34:35] offset:28672
	v_add_co_u32_e32 v30, vcc, s0, v36
	v_addc_co_u32_e32 v31, vcc, 0, v37, vcc
	s_waitcnt lgkmcnt(0)
	s_barrier
	ds_read2_b64 v[26:29], v38 offset1:1
	ds_read2_b64 v[22:25], v38 offset0:2 offset1:3
	ds_read2_b64 v[18:21], v38 offset0:4 offset1:5
	ds_read2_b64 v[14:17], v38 offset0:6 offset1:7
	ds_read2_b64 v[10:13], v38 offset0:8 offset1:9
	ds_read2_b64 v[6:9], v38 offset0:10 offset1:11
	ds_read2_b64 v[2:5], v38 offset0:12 offset1:13
	ds_read_b64 v[46:47], v38 offset:112
	s_waitcnt lgkmcnt(0)
	s_barrier
	flat_load_dword v44, v[36:37]
	flat_load_dword v45, v[36:37] offset:1024
	flat_load_dword v49, v[36:37] offset:2048
	;; [unrolled: 1-line block ×3, first 2 shown]
	flat_load_dword v53, v[30:31]
	flat_load_dword v55, v[30:31] offset:1024
	flat_load_dword v57, v[30:31] offset:2048
	;; [unrolled: 1-line block ×3, first 2 shown]
	v_add_co_u32_e32 v30, vcc, s1, v36
	v_addc_co_u32_e32 v31, vcc, 0, v37, vcc
	v_add_co_u32_e32 v32, vcc, s2, v36
	v_addc_co_u32_e32 v33, vcc, 0, v37, vcc
	flat_load_dword v61, v[30:31]
	flat_load_dword v63, v[30:31] offset:1024
	flat_load_dword v65, v[30:31] offset:2048
	;; [unrolled: 1-line block ×3, first 2 shown]
	flat_load_dword v69, v[32:33]
	flat_load_dword v71, v[32:33] offset:1024
	flat_load_dword v73, v[32:33] offset:2048
	s_movk_i32 s0, 0xff8c
	v_mul_u32_u24_e32 v1, 15, v0
	v_mad_i32_i24 v75, v0, s0, v38
	v_mov_b32_e32 v30, v26
	v_mov_b32_e32 v31, v27
	;; [unrolled: 1-line block ×14, first 2 shown]
	s_mov_b64 s[0:1], 0
	s_waitcnt vmcnt(0) lgkmcnt(0)
	ds_write2st64_b32 v75, v44, v45 offset1:4
	ds_write2st64_b32 v75, v49, v51 offset0:8 offset1:12
	ds_write2st64_b32 v75, v53, v55 offset0:16 offset1:20
	ds_write2st64_b32 v75, v57, v59 offset0:24 offset1:28
	ds_write2st64_b32 v75, v61, v63 offset0:32 offset1:36
	ds_write2st64_b32 v75, v65, v67 offset0:40 offset1:44
	ds_write2st64_b32 v75, v69, v71 offset0:48 offset1:52
	ds_write_b32 v75, v73 offset:14336
	s_waitcnt lgkmcnt(0)
	s_barrier
	s_branch .LBB699_3
.LBB699_2:
                                        ; implicit-def: $vgpr46_vgpr47
                                        ; implicit-def: $vgpr2_vgpr3
                                        ; implicit-def: $vgpr6_vgpr7
                                        ; implicit-def: $vgpr10_vgpr11
                                        ; implicit-def: $vgpr14_vgpr15
                                        ; implicit-def: $vgpr18_vgpr19
                                        ; implicit-def: $vgpr22_vgpr23
                                        ; implicit-def: $vgpr26_vgpr27
                                        ; implicit-def: $vgpr1
                                        ; implicit-def: $vgpr38_vgpr39_vgpr40_vgpr41
                                        ; implicit-def: $vgpr34_vgpr35_vgpr36_vgpr37
                                        ; implicit-def: $vgpr30_vgpr31_vgpr32_vgpr33
                                        ; implicit-def: $vgpr42_vgpr43_vgpr44_vgpr45
.LBB699_3:
	s_add_i32 s33, s33, s56
	s_andn2_b64 vcc, exec, s[0:1]
	v_mov_b32_e32 v75, v48
	v_mov_b32_e32 v76, v74
	;; [unrolled: 1-line block ×14, first 2 shown]
	s_cbranch_vccnz .LBB699_65
; %bb.4:
	v_cmp_gt_u32_e32 vcc, s33, v0
                                        ; implicit-def: $vgpr2_vgpr3
	s_and_saveexec_b64 s[2:3], vcc
	s_cbranch_execz .LBB699_6
; %bb.5:
	v_lshlrev_b32_e32 v1, 3, v0
	v_mov_b32_e32 v3, s62
	v_add_co_u32_e64 v2, s[0:1], s7, v1
	v_addc_co_u32_e64 v3, s[0:1], 0, v3, s[0:1]
	flat_load_dwordx2 v[2:3], v[2:3]
.LBB699_6:
	s_or_b64 exec, exec, s[2:3]
	v_or_b32_e32 v1, 0x100, v0
	v_cmp_gt_u32_e64 s[0:1], s33, v1
                                        ; implicit-def: $vgpr4_vgpr5
	s_and_saveexec_b64 s[4:5], s[0:1]
	s_cbranch_execz .LBB699_8
; %bb.7:
	v_lshlrev_b32_e32 v1, 3, v0
	v_mov_b32_e32 v5, s62
	v_add_co_u32_e64 v4, s[2:3], s7, v1
	v_addc_co_u32_e64 v5, s[2:3], 0, v5, s[2:3]
	flat_load_dwordx2 v[4:5], v[4:5] offset:2048
.LBB699_8:
	s_or_b64 exec, exec, s[4:5]
	v_or_b32_e32 v1, 0x200, v0
	v_cmp_gt_u32_e64 s[2:3], s33, v1
                                        ; implicit-def: $vgpr6_vgpr7
	s_and_saveexec_b64 s[8:9], s[2:3]
	s_cbranch_execz .LBB699_10
; %bb.9:
	v_lshlrev_b32_e32 v1, 3, v1
	v_mov_b32_e32 v7, s62
	v_add_co_u32_e64 v6, s[4:5], s7, v1
	v_addc_co_u32_e64 v7, s[4:5], 0, v7, s[4:5]
	flat_load_dwordx2 v[6:7], v[6:7]
.LBB699_10:
	s_or_b64 exec, exec, s[8:9]
	v_or_b32_e32 v1, 0x300, v0
	v_cmp_gt_u32_e64 s[4:5], s33, v1
                                        ; implicit-def: $vgpr8_vgpr9
	s_and_saveexec_b64 s[10:11], s[4:5]
	s_cbranch_execz .LBB699_12
; %bb.11:
	v_lshlrev_b32_e32 v1, 3, v1
	v_mov_b32_e32 v9, s62
	v_add_co_u32_e64 v8, s[8:9], s7, v1
	v_addc_co_u32_e64 v9, s[8:9], 0, v9, s[8:9]
	flat_load_dwordx2 v[8:9], v[8:9]
.LBB699_12:
	s_or_b64 exec, exec, s[10:11]
	v_or_b32_e32 v1, 0x400, v0
	v_cmp_gt_u32_e64 s[28:29], s33, v1
                                        ; implicit-def: $vgpr10_vgpr11
	s_and_saveexec_b64 s[10:11], s[28:29]
	s_cbranch_execz .LBB699_14
; %bb.13:
	v_lshlrev_b32_e32 v10, 3, v1
	v_mov_b32_e32 v11, s62
	v_add_co_u32_e64 v10, s[8:9], s7, v10
	v_addc_co_u32_e64 v11, s[8:9], 0, v11, s[8:9]
	flat_load_dwordx2 v[10:11], v[10:11]
.LBB699_14:
	s_or_b64 exec, exec, s[10:11]
	v_or_b32_e32 v33, 0x500, v0
	v_cmp_gt_u32_e64 s[8:9], s33, v33
                                        ; implicit-def: $vgpr12_vgpr13
	s_and_saveexec_b64 s[12:13], s[8:9]
	s_cbranch_execz .LBB699_16
; %bb.15:
	v_lshlrev_b32_e32 v12, 3, v33
	v_mov_b32_e32 v13, s62
	v_add_co_u32_e64 v12, s[10:11], s7, v12
	v_addc_co_u32_e64 v13, s[10:11], 0, v13, s[10:11]
	flat_load_dwordx2 v[12:13], v[12:13]
.LBB699_16:
	s_or_b64 exec, exec, s[12:13]
	v_or_b32_e32 v34, 0x600, v0
	v_cmp_gt_u32_e64 s[10:11], s33, v34
                                        ; implicit-def: $vgpr14_vgpr15
	s_and_saveexec_b64 s[14:15], s[10:11]
	s_cbranch_execz .LBB699_18
; %bb.17:
	v_lshlrev_b32_e32 v14, 3, v34
	v_mov_b32_e32 v15, s62
	v_add_co_u32_e64 v14, s[12:13], s7, v14
	v_addc_co_u32_e64 v15, s[12:13], 0, v15, s[12:13]
	flat_load_dwordx2 v[14:15], v[14:15]
.LBB699_18:
	s_or_b64 exec, exec, s[14:15]
	v_or_b32_e32 v35, 0x700, v0
	v_cmp_gt_u32_e64 s[12:13], s33, v35
                                        ; implicit-def: $vgpr16_vgpr17
	s_and_saveexec_b64 s[16:17], s[12:13]
	s_cbranch_execz .LBB699_20
; %bb.19:
	v_lshlrev_b32_e32 v16, 3, v35
	v_mov_b32_e32 v17, s62
	v_add_co_u32_e64 v16, s[14:15], s7, v16
	v_addc_co_u32_e64 v17, s[14:15], 0, v17, s[14:15]
	flat_load_dwordx2 v[16:17], v[16:17]
.LBB699_20:
	s_or_b64 exec, exec, s[16:17]
	v_or_b32_e32 v36, 0x800, v0
	v_cmp_gt_u32_e64 s[14:15], s33, v36
                                        ; implicit-def: $vgpr18_vgpr19
	s_and_saveexec_b64 s[18:19], s[14:15]
	s_cbranch_execz .LBB699_22
; %bb.21:
	v_lshlrev_b32_e32 v18, 3, v36
	v_mov_b32_e32 v19, s62
	v_add_co_u32_e64 v18, s[16:17], s7, v18
	v_addc_co_u32_e64 v19, s[16:17], 0, v19, s[16:17]
	flat_load_dwordx2 v[18:19], v[18:19]
.LBB699_22:
	s_or_b64 exec, exec, s[18:19]
	v_or_b32_e32 v37, 0x900, v0
	v_cmp_gt_u32_e64 s[16:17], s33, v37
                                        ; implicit-def: $vgpr20_vgpr21
	s_and_saveexec_b64 s[20:21], s[16:17]
	s_cbranch_execz .LBB699_24
; %bb.23:
	v_lshlrev_b32_e32 v20, 3, v37
	v_mov_b32_e32 v21, s62
	v_add_co_u32_e64 v20, s[18:19], s7, v20
	v_addc_co_u32_e64 v21, s[18:19], 0, v21, s[18:19]
	flat_load_dwordx2 v[20:21], v[20:21]
.LBB699_24:
	s_or_b64 exec, exec, s[20:21]
	v_or_b32_e32 v38, 0xa00, v0
	v_cmp_gt_u32_e64 s[18:19], s33, v38
                                        ; implicit-def: $vgpr22_vgpr23
	s_and_saveexec_b64 s[22:23], s[18:19]
	s_cbranch_execz .LBB699_26
; %bb.25:
	v_lshlrev_b32_e32 v22, 3, v38
	v_mov_b32_e32 v23, s62
	v_add_co_u32_e64 v22, s[20:21], s7, v22
	v_addc_co_u32_e64 v23, s[20:21], 0, v23, s[20:21]
	flat_load_dwordx2 v[22:23], v[22:23]
.LBB699_26:
	s_or_b64 exec, exec, s[22:23]
	v_or_b32_e32 v40, 0xb00, v0
	v_cmp_gt_u32_e64 s[20:21], s33, v40
                                        ; implicit-def: $vgpr24_vgpr25
	s_and_saveexec_b64 s[24:25], s[20:21]
	s_cbranch_execz .LBB699_28
; %bb.27:
	v_lshlrev_b32_e32 v24, 3, v40
	v_mov_b32_e32 v25, s62
	v_add_co_u32_e64 v24, s[22:23], s7, v24
	v_addc_co_u32_e64 v25, s[22:23], 0, v25, s[22:23]
	flat_load_dwordx2 v[24:25], v[24:25]
.LBB699_28:
	s_or_b64 exec, exec, s[24:25]
	v_or_b32_e32 v41, 0xc00, v0
	v_cmp_gt_u32_e64 s[22:23], s33, v41
                                        ; implicit-def: $vgpr26_vgpr27
	s_and_saveexec_b64 s[26:27], s[22:23]
	s_cbranch_execz .LBB699_30
; %bb.29:
	v_lshlrev_b32_e32 v26, 3, v41
	v_mov_b32_e32 v27, s62
	v_add_co_u32_e64 v26, s[24:25], s7, v26
	v_addc_co_u32_e64 v27, s[24:25], 0, v27, s[24:25]
	flat_load_dwordx2 v[26:27], v[26:27]
.LBB699_30:
	s_or_b64 exec, exec, s[26:27]
	v_or_b32_e32 v42, 0xd00, v0
	v_cmp_gt_u32_e64 s[24:25], s33, v42
                                        ; implicit-def: $vgpr28_vgpr29
	s_and_saveexec_b64 s[30:31], s[24:25]
	s_cbranch_execz .LBB699_32
; %bb.31:
	v_lshlrev_b32_e32 v28, 3, v42
	v_mov_b32_e32 v29, s62
	v_add_co_u32_e64 v28, s[26:27], s7, v28
	v_addc_co_u32_e64 v29, s[26:27], 0, v29, s[26:27]
	flat_load_dwordx2 v[28:29], v[28:29]
.LBB699_32:
	s_or_b64 exec, exec, s[30:31]
	v_or_b32_e32 v43, 0xe00, v0
	v_cmp_gt_u32_e64 s[26:27], s33, v43
                                        ; implicit-def: $vgpr30_vgpr31
	s_and_saveexec_b64 s[36:37], s[26:27]
	s_cbranch_execz .LBB699_34
; %bb.33:
	v_lshlrev_b32_e32 v30, 3, v43
	v_mov_b32_e32 v31, s62
	v_add_co_u32_e64 v30, s[30:31], s7, v30
	v_addc_co_u32_e64 v31, s[30:31], 0, v31, s[30:31]
	flat_load_dwordx2 v[30:31], v[30:31]
.LBB699_34:
	s_or_b64 exec, exec, s[36:37]
	v_lshlrev_b32_e32 v32, 3, v0
	s_movk_i32 s30, 0x70
	s_waitcnt vmcnt(0) lgkmcnt(0)
	ds_write2st64_b64 v32, v[2:3], v[4:5] offset1:4
	ds_write2st64_b64 v32, v[6:7], v[8:9] offset0:8 offset1:12
	ds_write2st64_b64 v32, v[10:11], v[12:13] offset0:16 offset1:20
	;; [unrolled: 1-line block ×6, first 2 shown]
	ds_write_b64 v32, v[30:31] offset:28672
	v_mad_u32_u24 v30, v0, s30, v32
	s_waitcnt lgkmcnt(0)
	s_barrier
	ds_read2_b64 v[26:29], v30 offset1:1
	ds_read2_b64 v[22:25], v30 offset0:2 offset1:3
	ds_read2_b64 v[18:21], v30 offset0:4 offset1:5
	;; [unrolled: 1-line block ×6, first 2 shown]
	ds_read_b64 v[46:47], v30 offset:112
	s_waitcnt lgkmcnt(0)
	s_barrier
	s_waitcnt lgkmcnt(0)
                                        ; implicit-def: $vgpr31
	s_and_saveexec_b64 s[30:31], vcc
	s_cbranch_execz .LBB699_48
; %bb.35:
	v_lshlrev_b32_e32 v31, 2, v0
	v_mov_b32_e32 v32, s49
	v_add_co_u32_e32 v44, vcc, s48, v31
	v_addc_co_u32_e32 v45, vcc, 0, v32, vcc
	flat_load_dword v31, v[44:45]
	s_or_b64 exec, exec, s[30:31]
                                        ; implicit-def: $vgpr32
	s_and_saveexec_b64 s[30:31], s[0:1]
	s_cbranch_execnz .LBB699_49
.LBB699_36:
	s_or_b64 exec, exec, s[30:31]
                                        ; implicit-def: $vgpr39
	s_and_saveexec_b64 s[0:1], s[2:3]
	s_cbranch_execz .LBB699_50
.LBB699_37:
	v_lshlrev_b32_e32 v39, 2, v0
	v_mov_b32_e32 v45, s49
	v_add_co_u32_e32 v44, vcc, s48, v39
	v_addc_co_u32_e32 v45, vcc, 0, v45, vcc
	flat_load_dword v39, v[44:45] offset:2048
	s_or_b64 exec, exec, s[0:1]
                                        ; implicit-def: $vgpr44
	s_and_saveexec_b64 s[0:1], s[4:5]
	s_cbranch_execnz .LBB699_51
.LBB699_38:
	s_or_b64 exec, exec, s[0:1]
                                        ; implicit-def: $vgpr45
	s_and_saveexec_b64 s[0:1], s[28:29]
	s_cbranch_execz .LBB699_52
.LBB699_39:
	v_lshlrev_b32_e32 v1, 2, v1
	v_mov_b32_e32 v45, s49
	v_add_co_u32_e32 v76, vcc, s48, v1
	v_addc_co_u32_e32 v77, vcc, 0, v45, vcc
	flat_load_dword v45, v[76:77]
	s_or_b64 exec, exec, s[0:1]
                                        ; implicit-def: $vgpr49
	s_and_saveexec_b64 s[0:1], s[8:9]
	s_cbranch_execnz .LBB699_53
.LBB699_40:
	s_or_b64 exec, exec, s[0:1]
                                        ; implicit-def: $vgpr33
	s_and_saveexec_b64 s[0:1], s[10:11]
	s_cbranch_execz .LBB699_54
.LBB699_41:
	v_lshlrev_b32_e32 v1, 2, v34
	v_mov_b32_e32 v33, s49
	v_add_co_u32_e32 v76, vcc, s48, v1
	v_addc_co_u32_e32 v77, vcc, 0, v33, vcc
	flat_load_dword v33, v[76:77]
	s_or_b64 exec, exec, s[0:1]
                                        ; implicit-def: $vgpr34
	s_and_saveexec_b64 s[0:1], s[12:13]
	s_cbranch_execnz .LBB699_55
.LBB699_42:
	s_or_b64 exec, exec, s[0:1]
                                        ; implicit-def: $vgpr35
	s_and_saveexec_b64 s[0:1], s[14:15]
	s_cbranch_execz .LBB699_56
.LBB699_43:
	v_lshlrev_b32_e32 v1, 2, v36
	v_mov_b32_e32 v35, s49
	v_add_co_u32_e32 v76, vcc, s48, v1
	v_addc_co_u32_e32 v77, vcc, 0, v35, vcc
	flat_load_dword v35, v[76:77]
	s_or_b64 exec, exec, s[0:1]
                                        ; implicit-def: $vgpr36
	s_and_saveexec_b64 s[0:1], s[16:17]
	s_cbranch_execnz .LBB699_57
.LBB699_44:
	s_or_b64 exec, exec, s[0:1]
                                        ; implicit-def: $vgpr37
	s_and_saveexec_b64 s[0:1], s[18:19]
	s_cbranch_execz .LBB699_58
.LBB699_45:
	v_lshlrev_b32_e32 v1, 2, v38
	v_mov_b32_e32 v37, s49
	v_add_co_u32_e32 v76, vcc, s48, v1
	v_addc_co_u32_e32 v77, vcc, 0, v37, vcc
	flat_load_dword v37, v[76:77]
	s_or_b64 exec, exec, s[0:1]
                                        ; implicit-def: $vgpr38
	s_and_saveexec_b64 s[0:1], s[20:21]
	s_cbranch_execnz .LBB699_59
.LBB699_46:
	s_or_b64 exec, exec, s[0:1]
                                        ; implicit-def: $vgpr40
	s_and_saveexec_b64 s[0:1], s[22:23]
	s_cbranch_execz .LBB699_60
.LBB699_47:
	v_lshlrev_b32_e32 v1, 2, v41
	v_mov_b32_e32 v41, s49
	v_add_co_u32_e32 v40, vcc, s48, v1
	v_addc_co_u32_e32 v41, vcc, 0, v41, vcc
	flat_load_dword v40, v[40:41]
	s_or_b64 exec, exec, s[0:1]
                                        ; implicit-def: $vgpr41
	s_and_saveexec_b64 s[0:1], s[24:25]
	s_cbranch_execz .LBB699_62
	s_branch .LBB699_61
.LBB699_48:
	s_or_b64 exec, exec, s[30:31]
                                        ; implicit-def: $vgpr32
	s_and_saveexec_b64 s[30:31], s[0:1]
	s_cbranch_execz .LBB699_36
.LBB699_49:
	v_lshlrev_b32_e32 v32, 2, v0
	v_mov_b32_e32 v39, s49
	v_add_co_u32_e32 v44, vcc, s48, v32
	v_addc_co_u32_e32 v45, vcc, 0, v39, vcc
	flat_load_dword v32, v[44:45] offset:1024
	s_or_b64 exec, exec, s[30:31]
                                        ; implicit-def: $vgpr39
	s_and_saveexec_b64 s[0:1], s[2:3]
	s_cbranch_execnz .LBB699_37
.LBB699_50:
	s_or_b64 exec, exec, s[0:1]
                                        ; implicit-def: $vgpr44
	s_and_saveexec_b64 s[0:1], s[4:5]
	s_cbranch_execz .LBB699_38
.LBB699_51:
	v_lshlrev_b32_e32 v44, 2, v0
	v_mov_b32_e32 v45, s49
	v_add_co_u32_e32 v44, vcc, s48, v44
	v_addc_co_u32_e32 v45, vcc, 0, v45, vcc
	flat_load_dword v44, v[44:45] offset:3072
	s_or_b64 exec, exec, s[0:1]
                                        ; implicit-def: $vgpr45
	s_and_saveexec_b64 s[0:1], s[28:29]
	s_cbranch_execnz .LBB699_39
.LBB699_52:
	s_or_b64 exec, exec, s[0:1]
                                        ; implicit-def: $vgpr49
	s_and_saveexec_b64 s[0:1], s[8:9]
	s_cbranch_execz .LBB699_40
.LBB699_53:
	v_lshlrev_b32_e32 v1, 2, v33
	v_mov_b32_e32 v33, s49
	v_add_co_u32_e32 v76, vcc, s48, v1
	v_addc_co_u32_e32 v77, vcc, 0, v33, vcc
	flat_load_dword v49, v[76:77]
	s_or_b64 exec, exec, s[0:1]
                                        ; implicit-def: $vgpr33
	s_and_saveexec_b64 s[0:1], s[10:11]
	s_cbranch_execnz .LBB699_41
.LBB699_54:
	s_or_b64 exec, exec, s[0:1]
                                        ; implicit-def: $vgpr34
	s_and_saveexec_b64 s[0:1], s[12:13]
	s_cbranch_execz .LBB699_42
.LBB699_55:
	v_lshlrev_b32_e32 v1, 2, v35
	v_mov_b32_e32 v35, s49
	v_add_co_u32_e32 v34, vcc, s48, v1
	v_addc_co_u32_e32 v35, vcc, 0, v35, vcc
	flat_load_dword v34, v[34:35]
	s_or_b64 exec, exec, s[0:1]
                                        ; implicit-def: $vgpr35
	s_and_saveexec_b64 s[0:1], s[14:15]
	s_cbranch_execnz .LBB699_43
.LBB699_56:
	s_or_b64 exec, exec, s[0:1]
                                        ; implicit-def: $vgpr36
	s_and_saveexec_b64 s[0:1], s[16:17]
	s_cbranch_execz .LBB699_44
.LBB699_57:
	v_lshlrev_b32_e32 v1, 2, v37
	v_mov_b32_e32 v37, s49
	v_add_co_u32_e32 v36, vcc, s48, v1
	v_addc_co_u32_e32 v37, vcc, 0, v37, vcc
	flat_load_dword v36, v[36:37]
	s_or_b64 exec, exec, s[0:1]
                                        ; implicit-def: $vgpr37
	s_and_saveexec_b64 s[0:1], s[18:19]
	s_cbranch_execnz .LBB699_45
.LBB699_58:
	s_or_b64 exec, exec, s[0:1]
                                        ; implicit-def: $vgpr38
	s_and_saveexec_b64 s[0:1], s[20:21]
	s_cbranch_execz .LBB699_46
.LBB699_59:
	v_lshlrev_b32_e32 v1, 2, v40
	v_mov_b32_e32 v38, s49
	v_add_co_u32_e32 v76, vcc, s48, v1
	v_addc_co_u32_e32 v77, vcc, 0, v38, vcc
	flat_load_dword v38, v[76:77]
	s_or_b64 exec, exec, s[0:1]
                                        ; implicit-def: $vgpr40
	s_and_saveexec_b64 s[0:1], s[22:23]
	s_cbranch_execnz .LBB699_47
.LBB699_60:
	s_or_b64 exec, exec, s[0:1]
                                        ; implicit-def: $vgpr41
	s_and_saveexec_b64 s[0:1], s[24:25]
	s_cbranch_execz .LBB699_62
.LBB699_61:
	v_lshlrev_b32_e32 v1, 2, v42
	v_mov_b32_e32 v41, s49
	v_add_co_u32_e32 v76, vcc, s48, v1
	v_addc_co_u32_e32 v77, vcc, 0, v41, vcc
	flat_load_dword v41, v[76:77]
.LBB699_62:
	s_or_b64 exec, exec, s[0:1]
	v_mul_u32_u24_e32 v1, 15, v0
                                        ; implicit-def: $vgpr42
	s_and_saveexec_b64 s[0:1], s[26:27]
	s_cbranch_execz .LBB699_64
; %bb.63:
	v_lshlrev_b32_e32 v42, 2, v43
	v_mov_b32_e32 v43, s49
	v_add_co_u32_e32 v42, vcc, s48, v42
	v_addc_co_u32_e32 v43, vcc, 0, v43, vcc
	flat_load_dword v42, v[42:43]
.LBB699_64:
	s_or_b64 exec, exec, s[0:1]
	s_movk_i32 s0, 0xff8c
	v_mad_i32_i24 v30, v0, s0, v30
	v_add_u32_e32 v53, 1, v1
	v_add_u32_e32 v51, 2, v1
	;; [unrolled: 1-line block ×14, first 2 shown]
	s_waitcnt vmcnt(0) lgkmcnt(0)
	ds_write2st64_b32 v30, v31, v32 offset1:4
	ds_write2st64_b32 v30, v39, v44 offset0:8 offset1:12
	ds_write2st64_b32 v30, v45, v49 offset0:16 offset1:20
	ds_write2st64_b32 v30, v33, v34 offset0:24 offset1:28
	ds_write2st64_b32 v30, v35, v36 offset0:32 offset1:36
	ds_write2st64_b32 v30, v37, v38 offset0:40 offset1:44
	ds_write2st64_b32 v30, v40, v41 offset0:48 offset1:52
	ds_write_b32 v30, v42 offset:14336
	v_mov_b32_e32 v30, v26
	v_mov_b32_e32 v31, v27
	;; [unrolled: 1-line block ×14, first 2 shown]
	s_waitcnt lgkmcnt(0)
	s_barrier
.LBB699_65:
	v_lshlrev_b32_e32 v1, 2, v1
	v_lshlrev_b32_e32 v44, 2, v53
	;; [unrolled: 1-line block ×8, first 2 shown]
	ds_read_b32 v98, v1
	ds_read_b32 v97, v44
	;; [unrolled: 1-line block ×8, first 2 shown]
	v_lshlrev_b32_e32 v1, 2, v59
	v_lshlrev_b32_e32 v44, 2, v67
	;; [unrolled: 1-line block ×7, first 2 shown]
	ds_read_b32 v96, v1
	ds_read_b32 v94, v44
	ds_read_b32 v92, v45
	ds_read_b32 v90, v49
	ds_read_b32 v86, v51
	ds_read_b32 v85, v53
	ds_read_b32 v99, v55
	s_cmp_eq_u64 s[38:39], 0
	s_cselect_b64 s[36:37], -1, 0
	s_cmp_lg_u64 s[38:39], 0
	s_mov_b64 s[48:49], 0
	s_cselect_b64 s[30:31], -1, 0
	s_and_b64 vcc, exec, s[40:41]
	s_waitcnt lgkmcnt(0)
	s_barrier
	s_cbranch_vccz .LBB699_71
; %bb.66:
	s_and_b64 vcc, exec, s[30:31]
	s_cbranch_vccz .LBB699_132
; %bb.67:
	v_mov_b32_e32 v1, s62
	v_add_co_u32_e64 v44, vcc, -8, s7
	v_addc_co_u32_e32 v45, vcc, -1, v1, vcc
	flat_load_dwordx2 v[44:45], v[44:45]
	v_lshlrev_b32_e32 v1, 3, v0
	v_cmp_ne_u64_e32 vcc, v[4:5], v[46:47]
	v_cmp_ne_u64_e64 s[0:1], v[2:3], v[4:5]
	v_cmp_ne_u64_e64 s[2:3], v[8:9], v[2:3]
	;; [unrolled: 1-line block ×13, first 2 shown]
	v_cmp_ne_u32_e64 s[28:29], 0, v0
	ds_write_b64 v1, v[46:47]
	s_waitcnt lgkmcnt(0)
	s_barrier
	s_and_saveexec_b64 s[40:41], s[28:29]
	s_cbranch_execz .LBB699_69
; %bb.68:
	v_add_u32_e32 v1, -8, v1
	s_waitcnt vmcnt(0)
	ds_read_b64 v[44:45], v1
.LBB699_69:
	s_or_b64 exec, exec, s[40:41]
	v_cndmask_b32_e64 v1, 0, 1, vcc
	v_cndmask_b32_e64 v75, 0, 1, s[0:1]
	v_cndmask_b32_e64 v73, 0, 1, s[2:3]
	;; [unrolled: 1-line block ×13, first 2 shown]
	s_waitcnt vmcnt(0) lgkmcnt(0)
	v_cmp_ne_u64_e64 s[0:1], v[44:45], v[26:27]
	s_mov_b64 s[48:49], -1
.LBB699_70:
                                        ; implicit-def: $sgpr4
	s_branch .LBB699_72
.LBB699_71:
                                        ; implicit-def: $sgpr0_sgpr1
                                        ; implicit-def: $vgpr1
                                        ; implicit-def: $vgpr75
                                        ; implicit-def: $vgpr73
                                        ; implicit-def: $vgpr71
                                        ; implicit-def: $vgpr69
                                        ; implicit-def: $vgpr76
                                        ; implicit-def: $vgpr77
                                        ; implicit-def: $vgpr78
                                        ; implicit-def: $vgpr79
                                        ; implicit-def: $vgpr80
                                        ; implicit-def: $vgpr81
                                        ; implicit-def: $vgpr82
                                        ; implicit-def: $vgpr83
                                        ; implicit-def: $vgpr84
                                        ; implicit-def: $sgpr4
	s_cbranch_execnz .LBB699_136
.LBB699_72:
	v_mov_b32_e32 v70, s4
	s_and_saveexec_b64 s[2:3], s[48:49]
.LBB699_73:
	v_cndmask_b32_e64 v70, 0, 1, s[0:1]
.LBB699_74:
	s_or_b64 exec, exec, s[2:3]
	s_cmp_eq_u64 s[46:47], 0
	v_add3_u32 v30, v84, v70, v83
	s_cselect_b64 s[38:39], -1, 0
	s_cmp_lg_u32 s6, 0
	v_cmp_eq_u32_e64 s[24:25], 0, v84
	v_cmp_eq_u32_e64 s[22:23], 0, v83
	;; [unrolled: 1-line block ×3, first 2 shown]
	v_add3_u32 v101, v30, v82, v81
	v_cmp_eq_u32_e64 s[18:19], 0, v81
	v_cmp_eq_u32_e64 s[16:17], 0, v80
	;; [unrolled: 1-line block ×10, first 2 shown]
	v_cmp_eq_u32_e32 vcc, 0, v1
	v_mbcnt_lo_u32_b32 v100, -1, 0
	v_lshrrev_b32_e32 v72, 6, v0
	v_or_b32_e32 v74, 63, v0
	s_cbranch_scc0 .LBB699_101
; %bb.75:
	v_cndmask_b32_e64 v30, 0, v98, s[24:25]
	v_add_u32_e32 v30, v30, v97
	v_cndmask_b32_e64 v30, 0, v30, s[22:23]
	v_add_u32_e32 v30, v30, v95
	;; [unrolled: 2-line block ×11, first 2 shown]
	v_cndmask_b32_e64 v30, 0, v30, s[2:3]
	v_add3_u32 v31, v101, v80, v79
	v_add_u32_e32 v30, v30, v86
	v_add3_u32 v31, v31, v78, v77
	v_cndmask_b32_e64 v30, 0, v30, s[0:1]
	v_add3_u32 v31, v31, v76, v69
	v_add_u32_e32 v30, v30, v85
	v_add3_u32 v31, v31, v71, v73
	v_cndmask_b32_e32 v30, 0, v30, vcc
	v_add3_u32 v31, v31, v75, v1
	v_add_u32_e32 v30, v30, v99
	v_mbcnt_hi_u32_b32 v39, -1, v100
	v_and_b32_e32 v32, 15, v39
	v_mov_b32_dpp v34, v30 row_shr:1 row_mask:0xf bank_mask:0xf
	v_cmp_eq_u32_e32 vcc, 0, v31
	v_mov_b32_dpp v33, v31 row_shr:1 row_mask:0xf bank_mask:0xf
	v_cndmask_b32_e32 v34, 0, v34, vcc
	v_cmp_eq_u32_e32 vcc, 0, v32
	v_cndmask_b32_e64 v33, v33, 0, vcc
	v_add_u32_e32 v31, v33, v31
	v_cndmask_b32_e64 v33, v34, 0, vcc
	v_add_u32_e32 v30, v33, v30
	v_cmp_eq_u32_e32 vcc, 0, v31
	v_mov_b32_dpp v33, v31 row_shr:2 row_mask:0xf bank_mask:0xf
	v_cmp_lt_u32_e64 s[26:27], 1, v32
	v_mov_b32_dpp v34, v30 row_shr:2 row_mask:0xf bank_mask:0xf
	v_cndmask_b32_e64 v33, 0, v33, s[26:27]
	s_and_b64 vcc, s[26:27], vcc
	v_cndmask_b32_e32 v34, 0, v34, vcc
	v_add_u32_e32 v31, v31, v33
	v_add_u32_e32 v30, v34, v30
	v_cmp_eq_u32_e32 vcc, 0, v31
	v_mov_b32_dpp v33, v31 row_shr:4 row_mask:0xf bank_mask:0xf
	v_cmp_lt_u32_e64 s[26:27], 3, v32
	v_mov_b32_dpp v34, v30 row_shr:4 row_mask:0xf bank_mask:0xf
	v_cndmask_b32_e64 v33, 0, v33, s[26:27]
	s_and_b64 vcc, s[26:27], vcc
	v_cndmask_b32_e32 v34, 0, v34, vcc
	v_add_u32_e32 v31, v33, v31
	v_add_u32_e32 v30, v30, v34
	v_cmp_eq_u32_e32 vcc, 0, v31
	v_cmp_lt_u32_e64 s[26:27], 7, v32
	v_mov_b32_dpp v33, v31 row_shr:8 row_mask:0xf bank_mask:0xf
	v_mov_b32_dpp v34, v30 row_shr:8 row_mask:0xf bank_mask:0xf
	s_and_b64 vcc, s[26:27], vcc
	v_cndmask_b32_e64 v32, 0, v33, s[26:27]
	v_cndmask_b32_e32 v33, 0, v34, vcc
	v_add_u32_e32 v30, v33, v30
	v_add_u32_e32 v31, v32, v31
	v_bfe_i32 v34, v39, 4, 1
	v_mov_b32_dpp v33, v30 row_bcast:15 row_mask:0xf bank_mask:0xf
	v_mov_b32_dpp v32, v31 row_bcast:15 row_mask:0xf bank_mask:0xf
	v_cmp_eq_u32_e32 vcc, 0, v31
	v_cndmask_b32_e32 v33, 0, v33, vcc
	v_and_b32_e32 v32, v34, v32
	v_add_u32_e32 v31, v32, v31
	v_and_b32_e32 v32, v34, v33
	v_add_u32_e32 v32, v32, v30
	v_mov_b32_dpp v30, v31 row_bcast:31 row_mask:0xf bank_mask:0xf
	v_cmp_eq_u32_e32 vcc, 0, v31
	v_cmp_lt_u32_e64 s[26:27], 31, v39
	v_mov_b32_dpp v33, v32 row_bcast:31 row_mask:0xf bank_mask:0xf
	v_cndmask_b32_e64 v30, 0, v30, s[26:27]
	s_and_b64 vcc, s[26:27], vcc
	v_add_u32_e32 v30, v30, v31
	v_cndmask_b32_e32 v31, 0, v33, vcc
	v_add_u32_e32 v31, v31, v32
	v_cmp_eq_u32_e32 vcc, v74, v0
	v_lshlrev_b32_e32 v32, 3, v72
	s_and_saveexec_b64 s[26:27], vcc
	s_cbranch_execz .LBB699_77
; %bb.76:
	ds_write_b64 v32, v[30:31] offset:4112
.LBB699_77:
	s_or_b64 exec, exec, s[26:27]
	v_cmp_gt_u32_e32 vcc, 4, v0
	s_waitcnt lgkmcnt(0)
	s_barrier
	s_and_saveexec_b64 s[30:31], vcc
	s_cbranch_execz .LBB699_79
; %bb.78:
	v_lshlrev_b32_e32 v33, 3, v0
	ds_read_b64 v[34:35], v33 offset:4112
	v_and_b32_e32 v36, 3, v39
	v_cmp_lt_u32_e64 s[26:27], 1, v36
	s_waitcnt lgkmcnt(0)
	v_mov_b32_dpp v38, v35 row_shr:1 row_mask:0xf bank_mask:0xf
	v_cmp_eq_u32_e32 vcc, 0, v34
	v_mov_b32_dpp v37, v34 row_shr:1 row_mask:0xf bank_mask:0xf
	v_cndmask_b32_e32 v38, 0, v38, vcc
	v_cmp_eq_u32_e32 vcc, 0, v36
	v_cndmask_b32_e64 v37, v37, 0, vcc
	v_add_u32_e32 v34, v37, v34
	v_cndmask_b32_e64 v37, v38, 0, vcc
	v_add_u32_e32 v35, v37, v35
	v_cmp_eq_u32_e32 vcc, 0, v34
	v_mov_b32_dpp v37, v34 row_shr:2 row_mask:0xf bank_mask:0xf
	v_mov_b32_dpp v38, v35 row_shr:2 row_mask:0xf bank_mask:0xf
	v_cndmask_b32_e64 v36, 0, v37, s[26:27]
	s_and_b64 vcc, s[26:27], vcc
	v_add_u32_e32 v34, v36, v34
	v_cndmask_b32_e32 v36, 0, v38, vcc
	v_add_u32_e32 v35, v36, v35
	ds_write_b64 v33, v[34:35] offset:4112
.LBB699_79:
	s_or_b64 exec, exec, s[30:31]
	v_cmp_gt_u32_e32 vcc, 64, v0
	v_cmp_lt_u32_e64 s[26:27], 63, v0
	v_mov_b32_e32 v36, 0
	v_mov_b32_e32 v37, 0
	s_waitcnt lgkmcnt(0)
	s_barrier
	s_and_saveexec_b64 s[30:31], s[26:27]
	s_cbranch_execz .LBB699_81
; %bb.80:
	ds_read_b64 v[36:37], v32 offset:4104
	v_cmp_eq_u32_e64 s[26:27], 0, v30
	s_waitcnt lgkmcnt(0)
	v_add_u32_e32 v32, v36, v30
	v_cndmask_b32_e64 v30, 0, v37, s[26:27]
	v_add_u32_e32 v31, v30, v31
	v_mov_b32_e32 v30, v32
.LBB699_81:
	s_or_b64 exec, exec, s[30:31]
	v_add_u32_e32 v32, -1, v39
	v_and_b32_e32 v33, 64, v39
	v_cmp_lt_i32_e64 s[26:27], v32, v33
	v_cndmask_b32_e64 v32, v32, v39, s[26:27]
	v_lshlrev_b32_e32 v32, 2, v32
	ds_bpermute_b32 v44, v32, v30
	ds_bpermute_b32 v45, v32, v31
	v_cmp_eq_u32_e64 s[26:27], 0, v39
	s_and_saveexec_b64 s[40:41], vcc
	s_cbranch_execz .LBB699_100
; %bb.82:
	v_mov_b32_e32 v35, 0
	ds_read_b64 v[30:31], v35 offset:4136
	s_waitcnt lgkmcnt(0)
	v_readfirstlane_b32 s7, v30
	v_readfirstlane_b32 s48, v31
	s_and_saveexec_b64 s[30:31], s[26:27]
	s_cbranch_execz .LBB699_84
; %bb.83:
	s_add_i32 s46, s6, 64
	s_mov_b32 s47, 0
	s_lshl_b64 s[50:51], s[46:47], 4
	s_add_u32 s50, s44, s50
	s_addc_u32 s51, s45, s51
	s_and_b32 s57, s48, 0xff000000
	s_mov_b32 s56, s47
	s_and_b32 s63, s48, 0xff0000
	s_mov_b32 s62, s47
	s_or_b64 s[56:57], s[62:63], s[56:57]
	s_and_b32 s63, s48, 0xff00
	s_or_b64 s[56:57], s[56:57], s[62:63]
	s_and_b32 s63, s48, 0xff
	s_or_b64 s[46:47], s[56:57], s[62:63]
	v_mov_b32_e32 v32, s7
	v_mov_b32_e32 v33, s47
	;; [unrolled: 1-line block ×3, first 2 shown]
	v_pk_mov_b32 v[30:31], s[50:51], s[50:51] op_sel:[0,1]
	;;#ASMSTART
	global_store_dwordx4 v[30:31], v[32:35] off	
s_waitcnt vmcnt(0)
	;;#ASMEND
.LBB699_84:
	s_or_b64 exec, exec, s[30:31]
	v_xad_u32 v38, v39, -1, s6
	v_add_u32_e32 v34, 64, v38
	v_lshlrev_b64 v[30:31], 4, v[34:35]
	v_mov_b32_e32 v32, s45
	v_add_co_u32_e32 v40, vcc, s44, v30
	v_addc_co_u32_e32 v41, vcc, v32, v31, vcc
	;;#ASMSTART
	global_load_dwordx4 v[30:33], v[40:41] off glc	
s_waitcnt vmcnt(0)
	;;#ASMEND
	v_and_b32_e32 v33, 0xff, v31
	v_and_b32_e32 v34, 0xff00, v31
	;; [unrolled: 1-line block ×3, first 2 shown]
	v_or3_b32 v33, 0, v33, v34
	v_or3_b32 v30, v30, 0, 0
	v_and_b32_e32 v31, 0xff000000, v31
	v_or3_b32 v31, v33, v42, v31
	v_or3_b32 v30, v30, 0, 0
	v_cmp_eq_u16_sdwa s[46:47], v32, v35 src0_sel:BYTE_0 src1_sel:DWORD
	s_and_saveexec_b64 s[30:31], s[46:47]
	s_cbranch_execz .LBB699_88
; %bb.85:
	s_mov_b64 s[46:47], 0
	v_mov_b32_e32 v34, 0
.LBB699_86:                             ; =>This Inner Loop Header: Depth=1
	;;#ASMSTART
	global_load_dwordx4 v[30:33], v[40:41] off glc	
s_waitcnt vmcnt(0)
	;;#ASMEND
	v_cmp_ne_u16_sdwa s[50:51], v32, v34 src0_sel:BYTE_0 src1_sel:DWORD
	s_or_b64 s[46:47], s[50:51], s[46:47]
	s_andn2_b64 exec, exec, s[46:47]
	s_cbranch_execnz .LBB699_86
; %bb.87:
	s_or_b64 exec, exec, s[46:47]
.LBB699_88:
	s_or_b64 exec, exec, s[30:31]
	v_mov_b32_e32 v48, 2
	v_cmp_eq_u16_sdwa s[30:31], v32, v48 src0_sel:BYTE_0 src1_sel:DWORD
	v_lshlrev_b64 v[40:41], v39, -1
	v_and_b32_e32 v33, s31, v41
	v_and_b32_e32 v49, 63, v39
	v_or_b32_e32 v33, 0x80000000, v33
	v_cmp_ne_u32_e32 vcc, 63, v49
	v_and_b32_e32 v34, s30, v40
	v_ffbl_b32_e32 v33, v33
	v_addc_co_u32_e32 v35, vcc, 0, v39, vcc
	v_add_u32_e32 v33, 32, v33
	v_ffbl_b32_e32 v34, v34
	v_lshlrev_b32_e32 v50, 2, v35
	v_min_u32_e32 v33, v34, v33
	ds_bpermute_b32 v34, v50, v31
	v_cmp_eq_u32_e32 vcc, 0, v30
	v_cmp_lt_u32_e64 s[30:31], v49, v33
	ds_bpermute_b32 v35, v50, v30
	s_and_b64 vcc, s[30:31], vcc
	s_waitcnt lgkmcnt(1)
	v_cndmask_b32_e32 v34, 0, v34, vcc
	v_cmp_gt_u32_e32 vcc, 62, v49
	v_add_u32_e32 v31, v34, v31
	v_cndmask_b32_e64 v34, 0, 1, vcc
	v_lshlrev_b32_e32 v34, 1, v34
	v_add_lshl_u32 v51, v34, v39, 2
	s_waitcnt lgkmcnt(0)
	v_cndmask_b32_e64 v35, 0, v35, s[30:31]
	ds_bpermute_b32 v34, v51, v31
	v_add_u32_e32 v30, v35, v30
	ds_bpermute_b32 v35, v51, v30
	v_add_u32_e32 v52, 2, v49
	v_cmp_eq_u32_e32 vcc, 0, v30
	s_waitcnt lgkmcnt(1)
	v_cndmask_b32_e32 v34, 0, v34, vcc
	v_cmp_gt_u32_e32 vcc, v52, v33
	v_cndmask_b32_e64 v34, v34, 0, vcc
	v_add_u32_e32 v31, v34, v31
	s_waitcnt lgkmcnt(0)
	v_cndmask_b32_e64 v34, v35, 0, vcc
	v_cmp_gt_u32_e32 vcc, 60, v49
	v_cndmask_b32_e64 v35, 0, 1, vcc
	v_lshlrev_b32_e32 v35, 2, v35
	v_add_lshl_u32 v53, v35, v39, 2
	ds_bpermute_b32 v35, v53, v31
	v_add_u32_e32 v30, v30, v34
	ds_bpermute_b32 v34, v53, v30
	v_add_u32_e32 v54, 4, v49
	v_cmp_eq_u32_e32 vcc, 0, v30
	s_waitcnt lgkmcnt(1)
	v_cndmask_b32_e32 v35, 0, v35, vcc
	v_cmp_gt_u32_e32 vcc, v54, v33
	v_cndmask_b32_e64 v35, v35, 0, vcc
	s_waitcnt lgkmcnt(0)
	v_cndmask_b32_e64 v34, v34, 0, vcc
	v_cmp_gt_u32_e32 vcc, 56, v49
	v_add_u32_e32 v31, v31, v35
	v_cndmask_b32_e64 v35, 0, 1, vcc
	v_lshlrev_b32_e32 v35, 3, v35
	v_add_lshl_u32 v55, v35, v39, 2
	ds_bpermute_b32 v35, v55, v31
	v_add_u32_e32 v30, v30, v34
	ds_bpermute_b32 v34, v55, v30
	v_add_u32_e32 v56, 8, v49
	v_cmp_eq_u32_e32 vcc, 0, v30
	s_waitcnt lgkmcnt(1)
	v_cndmask_b32_e32 v35, 0, v35, vcc
	v_cmp_gt_u32_e32 vcc, v56, v33
	v_cndmask_b32_e64 v35, v35, 0, vcc
	s_waitcnt lgkmcnt(0)
	v_cndmask_b32_e64 v34, v34, 0, vcc
	v_cmp_gt_u32_e32 vcc, 48, v49
	v_add_u32_e32 v31, v31, v35
	;; [unrolled: 16-line block ×3, first 2 shown]
	v_cndmask_b32_e64 v35, 0, 1, vcc
	v_lshlrev_b32_e32 v35, 5, v35
	v_add_lshl_u32 v59, v35, v39, 2
	ds_bpermute_b32 v35, v59, v31
	v_add_u32_e32 v30, v30, v34
	ds_bpermute_b32 v34, v59, v30
	v_add_u32_e32 v60, 32, v49
	v_cmp_eq_u32_e32 vcc, 0, v30
	s_waitcnt lgkmcnt(1)
	v_cndmask_b32_e32 v35, 0, v35, vcc
	v_cmp_gt_u32_e32 vcc, v60, v33
	v_cndmask_b32_e64 v33, v35, 0, vcc
	v_add_u32_e32 v31, v33, v31
	s_waitcnt lgkmcnt(0)
	v_cndmask_b32_e64 v33, v34, 0, vcc
	v_add_u32_e32 v30, v33, v30
	v_mov_b32_e32 v39, 0
	s_branch .LBB699_90
.LBB699_89:                             ;   in Loop: Header=BB699_90 Depth=1
	s_or_b64 exec, exec, s[30:31]
	v_cmp_eq_u16_sdwa s[30:31], v32, v48 src0_sel:BYTE_0 src1_sel:DWORD
	v_and_b32_e32 v33, s31, v41
	v_or_b32_e32 v33, 0x80000000, v33
	v_and_b32_e32 v42, s30, v40
	v_ffbl_b32_e32 v33, v33
	v_add_u32_e32 v33, 32, v33
	v_ffbl_b32_e32 v42, v42
	v_min_u32_e32 v33, v42, v33
	ds_bpermute_b32 v42, v50, v31
	v_cmp_eq_u32_e32 vcc, 0, v30
	v_cmp_lt_u32_e64 s[30:31], v49, v33
	ds_bpermute_b32 v43, v50, v30
	s_and_b64 vcc, s[30:31], vcc
	s_waitcnt lgkmcnt(1)
	v_cndmask_b32_e32 v42, 0, v42, vcc
	v_add_u32_e32 v31, v42, v31
	ds_bpermute_b32 v42, v51, v31
	s_waitcnt lgkmcnt(1)
	v_cndmask_b32_e64 v43, 0, v43, s[30:31]
	v_add_u32_e32 v30, v43, v30
	v_cmp_eq_u32_e32 vcc, 0, v30
	ds_bpermute_b32 v43, v51, v30
	s_waitcnt lgkmcnt(1)
	v_cndmask_b32_e32 v42, 0, v42, vcc
	v_cmp_gt_u32_e32 vcc, v52, v33
	v_cndmask_b32_e64 v42, v42, 0, vcc
	v_add_u32_e32 v31, v42, v31
	ds_bpermute_b32 v42, v53, v31
	s_waitcnt lgkmcnt(1)
	v_cndmask_b32_e64 v43, v43, 0, vcc
	v_add_u32_e32 v30, v30, v43
	v_cmp_eq_u32_e32 vcc, 0, v30
	ds_bpermute_b32 v43, v53, v30
	s_waitcnt lgkmcnt(1)
	v_cndmask_b32_e32 v42, 0, v42, vcc
	v_cmp_gt_u32_e32 vcc, v54, v33
	v_cndmask_b32_e64 v42, v42, 0, vcc
	v_add_u32_e32 v31, v31, v42
	ds_bpermute_b32 v42, v55, v31
	s_waitcnt lgkmcnt(1)
	v_cndmask_b32_e64 v43, v43, 0, vcc
	v_add_u32_e32 v30, v30, v43
	ds_bpermute_b32 v43, v55, v30
	v_cmp_eq_u32_e32 vcc, 0, v30
	s_waitcnt lgkmcnt(1)
	v_cndmask_b32_e32 v42, 0, v42, vcc
	v_cmp_gt_u32_e32 vcc, v56, v33
	v_cndmask_b32_e64 v42, v42, 0, vcc
	v_add_u32_e32 v31, v31, v42
	ds_bpermute_b32 v42, v57, v31
	s_waitcnt lgkmcnt(1)
	v_cndmask_b32_e64 v43, v43, 0, vcc
	v_add_u32_e32 v30, v30, v43
	ds_bpermute_b32 v43, v57, v30
	v_cmp_eq_u32_e32 vcc, 0, v30
	;; [unrolled: 11-line block ×3, first 2 shown]
	s_waitcnt lgkmcnt(1)
	v_cndmask_b32_e32 v42, 0, v42, vcc
	v_cmp_gt_u32_e32 vcc, v60, v33
	v_cndmask_b32_e64 v33, v42, 0, vcc
	v_add_u32_e32 v31, v33, v31
	s_waitcnt lgkmcnt(0)
	v_cndmask_b32_e64 v33, v43, 0, vcc
	v_cmp_eq_u32_e32 vcc, 0, v34
	v_cndmask_b32_e32 v31, 0, v31, vcc
	v_subrev_u32_e32 v38, 64, v38
	v_add3_u32 v30, v30, v34, v33
	v_add_u32_e32 v31, v31, v35
.LBB699_90:                             ; =>This Loop Header: Depth=1
                                        ;     Child Loop BB699_93 Depth 2
	v_cmp_ne_u16_sdwa s[30:31], v32, v48 src0_sel:BYTE_0 src1_sel:DWORD
	v_mov_b32_e32 v35, v31
	v_cndmask_b32_e64 v31, 0, 1, s[30:31]
	;;#ASMSTART
	;;#ASMEND
	v_cmp_ne_u32_e32 vcc, 0, v31
	s_cmp_lg_u64 vcc, exec
	v_mov_b32_e32 v34, v30
	s_cbranch_scc1 .LBB699_95
; %bb.91:                               ;   in Loop: Header=BB699_90 Depth=1
	v_lshlrev_b64 v[30:31], 4, v[38:39]
	v_mov_b32_e32 v32, s45
	v_add_co_u32_e32 v42, vcc, s44, v30
	v_addc_co_u32_e32 v43, vcc, v32, v31, vcc
	;;#ASMSTART
	global_load_dwordx4 v[30:33], v[42:43] off glc	
s_waitcnt vmcnt(0)
	;;#ASMEND
	v_and_b32_e32 v33, 0xff, v31
	v_and_b32_e32 v61, 0xff00, v31
	;; [unrolled: 1-line block ×3, first 2 shown]
	v_or3_b32 v33, 0, v33, v61
	v_or3_b32 v30, v30, 0, 0
	v_and_b32_e32 v31, 0xff000000, v31
	v_or3_b32 v31, v33, v62, v31
	v_or3_b32 v30, v30, 0, 0
	v_cmp_eq_u16_sdwa s[46:47], v32, v39 src0_sel:BYTE_0 src1_sel:DWORD
	s_and_saveexec_b64 s[30:31], s[46:47]
	s_cbranch_execz .LBB699_89
; %bb.92:                               ;   in Loop: Header=BB699_90 Depth=1
	s_mov_b64 s[46:47], 0
.LBB699_93:                             ;   Parent Loop BB699_90 Depth=1
                                        ; =>  This Inner Loop Header: Depth=2
	;;#ASMSTART
	global_load_dwordx4 v[30:33], v[42:43] off glc	
s_waitcnt vmcnt(0)
	;;#ASMEND
	v_cmp_ne_u16_sdwa s[50:51], v32, v39 src0_sel:BYTE_0 src1_sel:DWORD
	s_or_b64 s[46:47], s[50:51], s[46:47]
	s_andn2_b64 exec, exec, s[46:47]
	s_cbranch_execnz .LBB699_93
; %bb.94:                               ;   in Loop: Header=BB699_90 Depth=1
	s_or_b64 exec, exec, s[46:47]
	s_branch .LBB699_89
.LBB699_95:                             ;   in Loop: Header=BB699_90 Depth=1
                                        ; implicit-def: $vgpr31
                                        ; implicit-def: $vgpr30
                                        ; implicit-def: $vgpr32
	s_cbranch_execz .LBB699_90
; %bb.96:
	s_and_saveexec_b64 s[30:31], s[26:27]
	s_cbranch_execz .LBB699_98
; %bb.97:
	s_cmp_eq_u32 s7, 0
	s_cselect_b64 vcc, -1, 0
	s_mov_b32 s47, 0
	v_cndmask_b32_e32 v30, 0, v35, vcc
	s_add_i32 s46, s6, 64
	v_add_u32_e32 v30, s48, v30
	s_lshl_b64 s[46:47], s[46:47], 4
	s_add_u32 s46, s44, s46
	v_and_b32_e32 v31, 0xff000000, v30
	v_and_b32_e32 v32, 0xff0000, v30
	s_addc_u32 s47, s45, s47
	v_or_b32_e32 v31, v32, v31
	v_and_b32_e32 v32, 0xff00, v30
	v_and_b32_e32 v30, 0xff, v30
	v_add_u32_e32 v38, s7, v34
	v_mov_b32_e32 v41, 0
	v_or3_b32 v39, v31, v32, v30
	v_mov_b32_e32 v40, 2
	v_pk_mov_b32 v[30:31], s[46:47], s[46:47] op_sel:[0,1]
	;;#ASMSTART
	global_store_dwordx4 v[30:31], v[38:41] off	
s_waitcnt vmcnt(0)
	;;#ASMEND
	v_mov_b32_e32 v32, s7
	v_mov_b32_e32 v33, s48
	ds_write_b128 v41, v[32:35] offset:4096
.LBB699_98:
	s_or_b64 exec, exec, s[30:31]
	v_cmp_eq_u32_e32 vcc, 0, v0
	s_and_b64 exec, exec, vcc
	s_cbranch_execz .LBB699_100
; %bb.99:
	v_mov_b32_e32 v30, 0
	ds_write_b64 v30, v[34:35] offset:4136
.LBB699_100:
	s_or_b64 exec, exec, s[40:41]
	v_mov_b32_e32 v32, 0
	s_waitcnt lgkmcnt(0)
	s_barrier
	ds_read_b64 v[30:31], v32 offset:4136
	v_cndmask_b32_e64 v34, v44, v36, s[26:27]
	v_cmp_eq_u32_e32 vcc, 0, v34
	v_cndmask_b32_e64 v33, v45, v37, s[26:27]
	s_waitcnt lgkmcnt(0)
	v_cndmask_b32_e32 v35, 0, v31, vcc
	v_add_u32_e32 v33, v35, v33
	v_cmp_eq_u32_e32 vcc, 0, v0
	v_cndmask_b32_e32 v67, v33, v31, vcc
	v_cndmask_b32_e64 v31, v34, 0, vcc
	v_cmp_eq_u32_e32 vcc, 0, v70
	v_add_u32_e32 v66, v30, v31
	v_cndmask_b32_e32 v30, 0, v67, vcc
	v_add_u32_e32 v65, v30, v98
	v_cndmask_b32_e64 v30, 0, v65, s[24:25]
	v_add_u32_e32 v63, v30, v97
	v_cndmask_b32_e64 v30, 0, v63, s[22:23]
	;; [unrolled: 2-line block ×8, first 2 shown]
	v_add_u32_e32 v64, v66, v70
	v_add_u32_e32 v49, v30, v96
	v_add_u32_e32 v62, v64, v84
	v_cndmask_b32_e64 v30, 0, v49, s[8:9]
	v_add_u32_e32 v60, v62, v83
	v_add_u32_e32 v45, v30, v94
	v_add_u32_e32 v58, v60, v82
	v_cndmask_b32_e64 v30, 0, v45, s[28:29]
	;; [unrolled: 4-line block ×3, first 2 shown]
	v_add_u32_e32 v52, v54, v79
	v_add_u32_e32 v41, v30, v90
	s_barrier
	ds_read_b128 v[30:33], v32 offset:4096
	v_add_u32_e32 v50, v52, v78
	v_add_u32_e32 v48, v50, v77
	;; [unrolled: 1-line block ×4, first 2 shown]
	v_cndmask_b32_e64 v34, 0, v41, s[2:3]
	v_add_u32_e32 v40, v42, v71
	v_add_u32_e32 v39, v34, v86
	s_waitcnt lgkmcnt(0)
	v_cmp_eq_u32_e32 vcc, 0, v30
	v_add_u32_e32 v38, v40, v73
	v_cndmask_b32_e64 v34, 0, v39, s[0:1]
	v_cndmask_b32_e32 v33, 0, v33, vcc
	v_add_u32_e32 v36, v38, v75
	v_add_u32_e32 v37, v34, v85
	;; [unrolled: 1-line block ×3, first 2 shown]
	s_branch .LBB699_113
.LBB699_101:
                                        ; implicit-def: $vgpr30
                                        ; implicit-def: $vgpr68
                                        ; implicit-def: $vgpr66_vgpr67
                                        ; implicit-def: $vgpr64_vgpr65
                                        ; implicit-def: $vgpr62_vgpr63
                                        ; implicit-def: $vgpr60_vgpr61
                                        ; implicit-def: $vgpr58_vgpr59
                                        ; implicit-def: $vgpr56_vgpr57
                                        ; implicit-def: $vgpr54_vgpr55
                                        ; implicit-def: $vgpr52_vgpr53
                                        ; implicit-def: $vgpr50_vgpr51
                                        ; implicit-def: $vgpr48_vgpr49
                                        ; implicit-def: $vgpr44_vgpr45
                                        ; implicit-def: $vgpr42_vgpr43
                                        ; implicit-def: $vgpr40_vgpr41
                                        ; implicit-def: $vgpr38_vgpr39
                                        ; implicit-def: $vgpr36_vgpr37
	s_cbranch_execz .LBB699_113
; %bb.102:
	s_and_b64 s[0:1], s[38:39], exec
	s_cselect_b32 s1, 0, s61
	s_cselect_b32 s0, 0, s60
	s_cmp_eq_u64 s[0:1], 0
	v_mov_b32_e32 v34, v98
	s_cbranch_scc1 .LBB699_104
; %bb.103:
	v_mov_b32_e32 v30, 0
	global_load_dword v34, v30, s[0:1]
.LBB699_104:
	v_cmp_eq_u32_e64 s[0:1], 0, v84
	v_cndmask_b32_e64 v30, 0, v98, s[0:1]
	v_add_u32_e32 v30, v30, v97
	v_cmp_eq_u32_e64 s[2:3], 0, v83
	v_cndmask_b32_e64 v30, 0, v30, s[2:3]
	v_add_u32_e32 v30, v30, v95
	;; [unrolled: 3-line block ×11, first 2 shown]
	v_cmp_eq_u32_e64 s[22:23], 0, v73
	v_cndmask_b32_e64 v30, 0, v30, s[22:23]
	v_add3_u32 v31, v101, v80, v79
	v_add_u32_e32 v30, v30, v86
	v_cmp_eq_u32_e32 vcc, 0, v75
	v_add3_u32 v31, v31, v78, v77
	v_cndmask_b32_e32 v30, 0, v30, vcc
	v_add3_u32 v31, v31, v76, v69
	v_add_u32_e32 v30, v30, v85
	v_cmp_eq_u32_e64 s[24:25], 0, v1
	v_add3_u32 v31, v31, v71, v73
	v_cndmask_b32_e64 v30, 0, v30, s[24:25]
	v_add3_u32 v31, v31, v75, v1
	v_add_u32_e32 v30, v30, v99
	v_mbcnt_hi_u32_b32 v35, -1, v100
	v_and_b32_e32 v32, 15, v35
	v_mov_b32_dpp v36, v30 row_shr:1 row_mask:0xf bank_mask:0xf
	v_cmp_eq_u32_e64 s[24:25], 0, v31
	v_mov_b32_dpp v33, v31 row_shr:1 row_mask:0xf bank_mask:0xf
	v_cndmask_b32_e64 v36, 0, v36, s[24:25]
	v_cmp_eq_u32_e64 s[24:25], 0, v32
	v_cndmask_b32_e64 v33, v33, 0, s[24:25]
	v_add_u32_e32 v31, v33, v31
	v_cndmask_b32_e64 v33, v36, 0, s[24:25]
	v_add_u32_e32 v30, v33, v30
	v_cmp_eq_u32_e64 s[24:25], 0, v31
	v_mov_b32_dpp v33, v31 row_shr:2 row_mask:0xf bank_mask:0xf
	v_cmp_lt_u32_e64 s[26:27], 1, v32
	v_mov_b32_dpp v36, v30 row_shr:2 row_mask:0xf bank_mask:0xf
	v_cndmask_b32_e64 v33, 0, v33, s[26:27]
	s_and_b64 s[24:25], s[26:27], s[24:25]
	v_cndmask_b32_e64 v36, 0, v36, s[24:25]
	v_add_u32_e32 v31, v31, v33
	v_add_u32_e32 v30, v36, v30
	v_cmp_eq_u32_e64 s[24:25], 0, v31
	v_mov_b32_dpp v33, v31 row_shr:4 row_mask:0xf bank_mask:0xf
	v_cmp_lt_u32_e64 s[26:27], 3, v32
	v_mov_b32_dpp v36, v30 row_shr:4 row_mask:0xf bank_mask:0xf
	v_cndmask_b32_e64 v33, 0, v33, s[26:27]
	s_and_b64 s[24:25], s[26:27], s[24:25]
	v_cndmask_b32_e64 v36, 0, v36, s[24:25]
	v_add_u32_e32 v31, v33, v31
	v_add_u32_e32 v30, v30, v36
	v_cmp_eq_u32_e64 s[24:25], 0, v31
	v_cmp_lt_u32_e64 s[26:27], 7, v32
	v_mov_b32_dpp v33, v31 row_shr:8 row_mask:0xf bank_mask:0xf
	v_mov_b32_dpp v36, v30 row_shr:8 row_mask:0xf bank_mask:0xf
	s_and_b64 s[24:25], s[26:27], s[24:25]
	v_cndmask_b32_e64 v32, 0, v33, s[26:27]
	v_cndmask_b32_e64 v33, 0, v36, s[24:25]
	v_add_u32_e32 v30, v33, v30
	v_add_u32_e32 v31, v32, v31
	v_bfe_i32 v36, v35, 4, 1
	v_mov_b32_dpp v33, v30 row_bcast:15 row_mask:0xf bank_mask:0xf
	v_mov_b32_dpp v32, v31 row_bcast:15 row_mask:0xf bank_mask:0xf
	v_cmp_eq_u32_e64 s[24:25], 0, v31
	v_cndmask_b32_e64 v33, 0, v33, s[24:25]
	v_and_b32_e32 v32, v36, v32
	v_add_u32_e32 v31, v32, v31
	v_and_b32_e32 v32, v36, v33
	v_add_u32_e32 v32, v32, v30
	v_mov_b32_dpp v30, v31 row_bcast:31 row_mask:0xf bank_mask:0xf
	v_cmp_eq_u32_e64 s[24:25], 0, v31
	v_cmp_lt_u32_e64 s[26:27], 31, v35
	v_mov_b32_dpp v33, v32 row_bcast:31 row_mask:0xf bank_mask:0xf
	v_cndmask_b32_e64 v30, 0, v30, s[26:27]
	s_and_b64 s[24:25], s[26:27], s[24:25]
	v_add_u32_e32 v30, v30, v31
	v_cndmask_b32_e64 v31, 0, v33, s[24:25]
	v_add_u32_e32 v31, v31, v32
	v_cmp_eq_u32_e64 s[24:25], v74, v0
	v_lshlrev_b32_e32 v33, 3, v72
	s_and_saveexec_b64 s[26:27], s[24:25]
	s_cbranch_execz .LBB699_106
; %bb.105:
	ds_write_b64 v33, v[30:31] offset:4112
.LBB699_106:
	s_or_b64 exec, exec, s[26:27]
	v_cmp_gt_u32_e64 s[24:25], 4, v0
	s_waitcnt lgkmcnt(0)
	s_barrier
	s_and_saveexec_b64 s[28:29], s[24:25]
	s_cbranch_execz .LBB699_108
; %bb.107:
	v_lshlrev_b32_e32 v32, 3, v0
	ds_read_b64 v[36:37], v32 offset:4112
	v_and_b32_e32 v38, 3, v35
	v_cmp_lt_u32_e64 s[26:27], 1, v38
	s_waitcnt lgkmcnt(0)
	v_mov_b32_dpp v40, v37 row_shr:1 row_mask:0xf bank_mask:0xf
	v_cmp_eq_u32_e64 s[24:25], 0, v36
	v_mov_b32_dpp v39, v36 row_shr:1 row_mask:0xf bank_mask:0xf
	v_cndmask_b32_e64 v40, 0, v40, s[24:25]
	v_cmp_eq_u32_e64 s[24:25], 0, v38
	v_cndmask_b32_e64 v39, v39, 0, s[24:25]
	v_add_u32_e32 v36, v39, v36
	v_cndmask_b32_e64 v39, v40, 0, s[24:25]
	v_add_u32_e32 v37, v39, v37
	v_cmp_eq_u32_e64 s[24:25], 0, v36
	v_mov_b32_dpp v39, v36 row_shr:2 row_mask:0xf bank_mask:0xf
	v_mov_b32_dpp v40, v37 row_shr:2 row_mask:0xf bank_mask:0xf
	v_cndmask_b32_e64 v38, 0, v39, s[26:27]
	s_and_b64 s[24:25], s[26:27], s[24:25]
	v_add_u32_e32 v36, v38, v36
	v_cndmask_b32_e64 v38, 0, v40, s[24:25]
	v_add_u32_e32 v37, v38, v37
	ds_write_b64 v32, v[36:37] offset:4112
.LBB699_108:
	s_or_b64 exec, exec, s[28:29]
	v_cmp_lt_u32_e64 s[24:25], 63, v0
	v_mov_b32_e32 v36, 0
	v_mov_b32_e32 v32, 0
	s_waitcnt vmcnt(0)
	v_mov_b32_e32 v37, v34
	s_waitcnt lgkmcnt(0)
	s_barrier
	s_and_saveexec_b64 s[26:27], s[24:25]
	s_cbranch_execz .LBB699_110
; %bb.109:
	ds_read_b64 v[32:33], v33 offset:4104
	s_waitcnt lgkmcnt(0)
	v_cmp_eq_u32_e64 s[24:25], 0, v32
	v_cndmask_b32_e64 v37, 0, v34, s[24:25]
	v_add_u32_e32 v37, v37, v33
.LBB699_110:
	s_or_b64 exec, exec, s[26:27]
	v_cmp_eq_u32_e64 s[24:25], 0, v30
	v_add_u32_e32 v33, v32, v30
	v_cndmask_b32_e64 v30, 0, v37, s[24:25]
	v_add_u32_e32 v30, v30, v31
	v_add_u32_e32 v31, -1, v35
	v_and_b32_e32 v38, 64, v35
	v_cmp_lt_i32_e64 s[24:25], v31, v38
	v_cndmask_b32_e64 v31, v31, v35, s[24:25]
	v_lshlrev_b32_e32 v31, 2, v31
	ds_bpermute_b32 v33, v31, v33
	ds_bpermute_b32 v30, v31, v30
	v_cmp_eq_u32_e64 s[24:25], 0, v35
	v_cmp_eq_u32_e64 s[26:27], 0, v70
	s_waitcnt lgkmcnt(1)
	v_cndmask_b32_e64 v31, v33, v32, s[24:25]
	s_waitcnt lgkmcnt(0)
	v_cndmask_b32_e64 v30, v30, v37, s[24:25]
	v_cmp_eq_u32_e64 s[24:25], 0, v0
	v_cndmask_b32_e64 v67, v30, v34, s[24:25]
	v_cndmask_b32_e64 v30, 0, v67, s[26:27]
	v_add_u32_e32 v65, v30, v98
	v_cndmask_b32_e64 v30, 0, v65, s[0:1]
	v_add_u32_e32 v63, v30, v97
	;; [unrolled: 2-line block ×8, first 2 shown]
	v_cndmask_b32_e64 v66, v31, 0, s[24:25]
	v_cndmask_b32_e64 v30, 0, v51, s[14:15]
	v_add_u32_e32 v64, v66, v70
	v_add_u32_e32 v49, v30, v96
	v_add_u32_e32 v62, v64, v84
	v_cndmask_b32_e64 v30, 0, v49, s[16:17]
	v_add_u32_e32 v60, v62, v83
	v_add_u32_e32 v45, v30, v94
	v_add_u32_e32 v58, v60, v82
	;; [unrolled: 4-line block ×3, first 2 shown]
	v_cndmask_b32_e64 v30, 0, v43, s[20:21]
	v_add_u32_e32 v52, v54, v79
	v_add_u32_e32 v41, v30, v90
	ds_read_b64 v[30:31], v36 offset:4136
	v_add_u32_e32 v50, v52, v78
	v_add_u32_e32 v48, v50, v77
	;; [unrolled: 1-line block ×3, first 2 shown]
	v_cndmask_b32_e64 v32, 0, v41, s[22:23]
	v_add_u32_e32 v42, v44, v69
	v_add_u32_e32 v39, v32, v86
	v_add_u32_e32 v40, v42, v71
	v_cndmask_b32_e32 v32, 0, v39, vcc
	s_waitcnt lgkmcnt(0)
	v_cmp_eq_u32_e32 vcc, 0, v30
	v_add_u32_e32 v38, v40, v73
	v_add_u32_e32 v37, v32, v85
	v_cndmask_b32_e32 v32, 0, v34, vcc
	v_add_u32_e32 v36, v38, v75
	v_add_u32_e32 v68, v32, v31
	s_and_saveexec_b64 s[0:1], s[24:25]
	s_cbranch_execz .LBB699_112
; %bb.111:
	s_add_u32 s2, s44, 0x400
	v_and_b32_e32 v31, 0xff000000, v68
	v_and_b32_e32 v32, 0xff0000, v68
	s_addc_u32 s3, s45, 0
	v_or_b32_e32 v31, v32, v31
	v_and_b32_e32 v32, 0xff00, v68
	v_and_b32_e32 v34, 0xff, v68
	v_mov_b32_e32 v33, 0
	v_or3_b32 v31, v31, v32, v34
	v_mov_b32_e32 v32, 2
	v_pk_mov_b32 v[34:35], s[2:3], s[2:3] op_sel:[0,1]
	;;#ASMSTART
	global_store_dwordx4 v[34:35], v[30:33] off	
s_waitcnt vmcnt(0)
	;;#ASMEND
.LBB699_112:
	s_or_b64 exec, exec, s[0:1]
	v_mov_b32_e32 v32, 0
.LBB699_113:
	s_and_b64 s[0:1], s[38:39], exec
	s_cselect_b32 s1, 0, s59
	s_cselect_b32 s0, 0, s58
	s_cmp_eq_u64 s[0:1], 0
	v_pk_mov_b32 v[34:35], 0, 0
	s_barrier
	s_cbranch_scc1 .LBB699_115
; %bb.114:
	v_mov_b32_e32 v31, 0
	global_load_dwordx2 v[34:35], v31, s[0:1]
.LBB699_115:
	s_waitcnt vmcnt(0)
	v_lshlrev_b64 v[86:87], 3, v[34:35]
	v_mov_b32_e32 v31, s43
	v_add_co_u32_e32 v72, vcc, s42, v86
	v_mov_b32_e32 v33, 0
	v_addc_co_u32_e32 v74, vcc, v31, v87, vcc
	v_lshlrev_b64 v[86:87], 3, v[32:33]
	v_add_co_u32_e32 v31, vcc, v72, v86
	v_addc_co_u32_e32 v72, vcc, v74, v87, vcc
	v_cmp_eq_u32_e32 vcc, 0, v70
	v_cndmask_b32_e64 v74, 1, 2, vcc
	v_cmp_eq_u32_e32 vcc, 0, v84
	v_cndmask_b32_e64 v85, 1, 2, vcc
	v_cmp_eq_u32_e32 vcc, 0, v83
	v_and_b32_e32 v74, v85, v74
	v_cndmask_b32_e64 v85, 1, 2, vcc
	v_cmp_eq_u32_e32 vcc, 0, v82
	v_and_b32_e32 v74, v74, v85
	;; [unrolled: 3-line block ×13, first 2 shown]
	v_cndmask_b32_e64 v85, 1, 2, vcc
	s_movk_i32 s30, 0x100
	v_and_b32_e32 v74, v74, v85
	v_cmp_gt_u32_e32 vcc, s30, v30
	v_cmp_ne_u32_e64 s[28:29], 0, v70
	v_cmp_ne_u32_e64 s[26:27], 0, v84
	;; [unrolled: 1-line block ×15, first 2 shown]
	s_mov_b64 s[38:39], -1
	v_cmp_gt_i16_e64 s[30:31], 2, v74
	s_cbranch_vccz .LBB699_164
; %bb.116:
	s_and_saveexec_b64 s[38:39], s[30:31]
	s_cbranch_execz .LBB699_163
; %bb.117:
	v_cmp_ne_u16_e32 vcc, 1, v74
	s_mov_b64 s[40:41], 0
	s_and_saveexec_b64 s[30:31], vcc
	s_xor_b64 s[30:31], exec, s[30:31]
	s_cbranch_execz .LBB699_141
; %bb.118:
	s_and_saveexec_b64 s[40:41], s[28:29]
	s_cbranch_execz .LBB699_146
; %bb.119:
	v_sub_u32_e32 v86, v66, v32
	v_mov_b32_e32 v87, 0
	v_lshlrev_b64 v[86:87], 3, v[86:87]
	v_add_co_u32_e32 v86, vcc, v31, v86
	v_addc_co_u32_e32 v87, vcc, v72, v87, vcc
	global_store_dwordx2 v[86:87], v[26:27], off
	s_or_b64 exec, exec, s[40:41]
	s_and_saveexec_b64 s[40:41], s[26:27]
	s_cbranch_execnz .LBB699_147
.LBB699_120:
	s_or_b64 exec, exec, s[40:41]
	s_and_saveexec_b64 s[40:41], s[24:25]
	s_cbranch_execz .LBB699_148
.LBB699_121:
	v_sub_u32_e32 v86, v62, v32
	v_mov_b32_e32 v87, 0
	v_lshlrev_b64 v[86:87], 3, v[86:87]
	v_add_co_u32_e32 v86, vcc, v31, v86
	v_addc_co_u32_e32 v87, vcc, v72, v87, vcc
	global_store_dwordx2 v[86:87], v[22:23], off
	s_or_b64 exec, exec, s[40:41]
	s_and_saveexec_b64 s[40:41], s[22:23]
	s_cbranch_execnz .LBB699_149
.LBB699_122:
	s_or_b64 exec, exec, s[40:41]
	s_and_saveexec_b64 s[40:41], s[20:21]
	s_cbranch_execz .LBB699_150
.LBB699_123:
	v_sub_u32_e32 v86, v58, v32
	v_mov_b32_e32 v87, 0
	v_lshlrev_b64 v[86:87], 3, v[86:87]
	v_add_co_u32_e32 v86, vcc, v31, v86
	v_addc_co_u32_e32 v87, vcc, v72, v87, vcc
	global_store_dwordx2 v[86:87], v[18:19], off
	s_or_b64 exec, exec, s[40:41]
	s_and_saveexec_b64 s[40:41], s[18:19]
	s_cbranch_execnz .LBB699_151
.LBB699_124:
	s_or_b64 exec, exec, s[40:41]
	s_and_saveexec_b64 s[40:41], s[16:17]
	s_cbranch_execz .LBB699_152
.LBB699_125:
	v_sub_u32_e32 v86, v54, v32
	v_mov_b32_e32 v87, 0
	v_lshlrev_b64 v[86:87], 3, v[86:87]
	v_add_co_u32_e32 v86, vcc, v31, v86
	v_addc_co_u32_e32 v87, vcc, v72, v87, vcc
	global_store_dwordx2 v[86:87], v[14:15], off
	s_or_b64 exec, exec, s[40:41]
	s_and_saveexec_b64 s[40:41], s[14:15]
	s_cbranch_execnz .LBB699_153
.LBB699_126:
	s_or_b64 exec, exec, s[40:41]
	s_and_saveexec_b64 s[40:41], s[12:13]
	s_cbranch_execz .LBB699_154
.LBB699_127:
	v_sub_u32_e32 v86, v50, v32
	v_mov_b32_e32 v87, 0
	v_lshlrev_b64 v[86:87], 3, v[86:87]
	v_add_co_u32_e32 v86, vcc, v31, v86
	v_addc_co_u32_e32 v87, vcc, v72, v87, vcc
	global_store_dwordx2 v[86:87], v[10:11], off
	s_or_b64 exec, exec, s[40:41]
	s_and_saveexec_b64 s[40:41], s[10:11]
	s_cbranch_execnz .LBB699_155
.LBB699_128:
	s_or_b64 exec, exec, s[40:41]
	s_and_saveexec_b64 s[40:41], s[8:9]
	s_cbranch_execz .LBB699_156
.LBB699_129:
	v_sub_u32_e32 v86, v44, v32
	v_mov_b32_e32 v87, 0
	v_lshlrev_b64 v[86:87], 3, v[86:87]
	v_add_co_u32_e32 v86, vcc, v31, v86
	v_addc_co_u32_e32 v87, vcc, v72, v87, vcc
	global_store_dwordx2 v[86:87], v[6:7], off
	s_or_b64 exec, exec, s[40:41]
	s_and_saveexec_b64 s[40:41], s[6:7]
	s_cbranch_execnz .LBB699_157
.LBB699_130:
	s_or_b64 exec, exec, s[40:41]
	s_and_saveexec_b64 s[40:41], s[4:5]
	s_cbranch_execz .LBB699_158
.LBB699_131:
	v_sub_u32_e32 v86, v40, v32
	v_mov_b32_e32 v87, 0
	v_lshlrev_b64 v[86:87], 3, v[86:87]
	v_add_co_u32_e32 v86, vcc, v31, v86
	v_addc_co_u32_e32 v87, vcc, v72, v87, vcc
	global_store_dwordx2 v[86:87], v[2:3], off
	s_or_b64 exec, exec, s[40:41]
	s_and_saveexec_b64 s[40:41], s[2:3]
	s_cbranch_execnz .LBB699_159
	s_branch .LBB699_160
.LBB699_132:
                                        ; implicit-def: $sgpr0_sgpr1
                                        ; implicit-def: $vgpr1
                                        ; implicit-def: $vgpr75
                                        ; implicit-def: $vgpr73
                                        ; implicit-def: $vgpr71
                                        ; implicit-def: $vgpr69
                                        ; implicit-def: $vgpr76
                                        ; implicit-def: $vgpr77
                                        ; implicit-def: $vgpr78
                                        ; implicit-def: $vgpr79
                                        ; implicit-def: $vgpr80
                                        ; implicit-def: $vgpr81
                                        ; implicit-def: $vgpr82
                                        ; implicit-def: $vgpr83
                                        ; implicit-def: $vgpr84
	s_cbranch_execz .LBB699_70
; %bb.133:
	v_cmp_ne_u64_e32 vcc, v[28:29], v[30:31]
	v_cndmask_b32_e64 v84, 0, 1, vcc
	v_cmp_ne_u64_e32 vcc, v[28:29], v[32:33]
	v_cndmask_b32_e64 v83, 0, 1, vcc
	;; [unrolled: 2-line block ×13, first 2 shown]
	v_cmp_ne_u64_e32 vcc, v[4:5], v[46:47]
	v_lshlrev_b32_e32 v44, 3, v0
	v_cndmask_b32_e64 v1, 0, 1, vcc
	v_cmp_ne_u32_e32 vcc, 0, v0
	ds_write_b64 v44, v[46:47]
	s_waitcnt lgkmcnt(0)
	s_barrier
	s_waitcnt lgkmcnt(0)
                                        ; implicit-def: $sgpr0_sgpr1
	s_and_saveexec_b64 s[2:3], vcc
	s_xor_b64 s[2:3], exec, s[2:3]
	s_cbranch_execz .LBB699_135
; %bb.134:
	v_add_u32_e32 v30, -8, v44
	ds_read_b64 v[30:31], v30
	s_or_b64 s[48:49], s[48:49], exec
	s_waitcnt lgkmcnt(0)
	v_cmp_ne_u64_e32 vcc, v[30:31], v[26:27]
	s_and_b64 s[0:1], vcc, exec
.LBB699_135:
	s_or_b64 exec, exec, s[2:3]
	s_mov_b32 s4, 1
	s_branch .LBB699_72
.LBB699_136:
	s_mul_hi_u32 s1, s38, 0xfffff100
	s_mul_i32 s0, s39, 0xfffff100
	s_sub_i32 s1, s1, s38
	s_add_i32 s1, s1, s0
	s_mul_i32 s0, s38, 0xfffff100
	s_add_u32 s38, s0, s56
	s_addc_u32 s39, s1, s57
	s_and_b64 vcc, exec, s[30:31]
	v_cmp_ne_u64_e64 s[28:29], v[4:5], v[46:47]
	v_cmp_ne_u64_e64 s[26:27], v[2:3], v[4:5]
	;; [unrolled: 1-line block ×14, first 2 shown]
	v_cmp_ne_u32_e64 s[0:1], 0, v0
	s_cbranch_vccz .LBB699_143
; %bb.137:
	v_mov_b32_e32 v1, s62
	v_add_co_u32_e64 v30, vcc, -8, s7
	v_addc_co_u32_e32 v31, vcc, -1, v1, vcc
	flat_load_dwordx2 v[30:31], v[30:31]
	v_mov_b32_e32 v49, 0
	v_cmp_gt_u64_e32 vcc, s[38:39], v[48:49]
	v_mov_b32_e32 v75, v49
	s_and_b64 s[28:29], vcc, s[28:29]
	v_cmp_gt_u64_e32 vcc, s[38:39], v[74:75]
	v_mov_b32_e32 v73, v49
	s_and_b64 s[26:27], vcc, s[26:27]
	;; [unrolled: 3-line block ×13, first 2 shown]
	v_cmp_gt_u64_e32 vcc, s[38:39], v[50:51]
	v_lshlrev_b32_e32 v1, 3, v0
	v_mul_u32_u24_e32 v32, 15, v0
	s_and_b64 s[2:3], vcc, s[2:3]
	ds_write_b64 v1, v[46:47]
	s_waitcnt lgkmcnt(0)
	s_barrier
	s_and_saveexec_b64 s[40:41], s[0:1]
	s_cbranch_execz .LBB699_139
; %bb.138:
	v_add_u32_e32 v1, -8, v1
	s_waitcnt vmcnt(0)
	ds_read_b64 v[30:31], v1
.LBB699_139:
	s_or_b64 exec, exec, s[40:41]
	v_mov_b32_e32 v33, v49
	v_cmp_gt_u64_e32 vcc, s[38:39], v[32:33]
	s_waitcnt vmcnt(0) lgkmcnt(0)
	v_cmp_ne_u64_e64 s[0:1], v[30:31], v[26:27]
	v_cndmask_b32_e64 v1, 0, 1, s[28:29]
	v_cndmask_b32_e64 v75, 0, 1, s[26:27]
	;; [unrolled: 1-line block ×14, first 2 shown]
	s_and_b64 s[0:1], vcc, s[0:1]
	s_mov_b64 s[48:49], -1
.LBB699_140:
                                        ; implicit-def: $sgpr4
	v_mov_b32_e32 v70, s4
	s_and_saveexec_b64 s[2:3], s[48:49]
	s_cbranch_execnz .LBB699_73
	s_branch .LBB699_74
.LBB699_141:
	s_andn2_saveexec_b64 s[30:31], s[30:31]
	s_cbranch_execz .LBB699_161
.LBB699_142:
	v_sub_u32_e32 v86, v66, v32
	v_mov_b32_e32 v87, 0
	v_lshlrev_b64 v[88:89], 3, v[86:87]
	v_add_co_u32_e32 v88, vcc, v31, v88
	v_addc_co_u32_e32 v89, vcc, v72, v89, vcc
	v_sub_u32_e32 v86, v64, v32
	global_store_dwordx2 v[88:89], v[26:27], off
	v_lshlrev_b64 v[88:89], 3, v[86:87]
	v_add_co_u32_e32 v88, vcc, v31, v88
	v_addc_co_u32_e32 v89, vcc, v72, v89, vcc
	v_sub_u32_e32 v86, v62, v32
	global_store_dwordx2 v[88:89], v[28:29], off
	;; [unrolled: 5-line block ×12, first 2 shown]
	v_lshlrev_b64 v[88:89], 3, v[86:87]
	v_add_co_u32_e32 v88, vcc, v31, v88
	v_sub_u32_e32 v86, v38, v32
	v_addc_co_u32_e32 v89, vcc, v72, v89, vcc
	v_lshlrev_b64 v[86:87], 3, v[86:87]
	v_add_co_u32_e32 v86, vcc, v31, v86
	v_addc_co_u32_e32 v87, vcc, v72, v87, vcc
	s_or_b64 s[40:41], s[40:41], exec
	global_store_dwordx2 v[88:89], v[2:3], off
	global_store_dwordx2 v[86:87], v[4:5], off
	s_or_b64 exec, exec, s[30:31]
	s_and_b64 exec, exec, s[40:41]
	s_cbranch_execnz .LBB699_162
	s_branch .LBB699_163
.LBB699_143:
                                        ; implicit-def: $sgpr0_sgpr1
                                        ; implicit-def: $vgpr1
                                        ; implicit-def: $vgpr75
                                        ; implicit-def: $vgpr73
                                        ; implicit-def: $vgpr71
                                        ; implicit-def: $vgpr69
                                        ; implicit-def: $vgpr76
                                        ; implicit-def: $vgpr77
                                        ; implicit-def: $vgpr78
                                        ; implicit-def: $vgpr79
                                        ; implicit-def: $vgpr80
                                        ; implicit-def: $vgpr81
                                        ; implicit-def: $vgpr82
                                        ; implicit-def: $vgpr83
                                        ; implicit-def: $vgpr84
	s_cbranch_execz .LBB699_140
; %bb.144:
	v_mov_b32_e32 v49, 0
	v_cmp_gt_u64_e32 vcc, s[38:39], v[48:49]
	v_cmp_ne_u64_e64 s[0:1], v[4:5], v[46:47]
	s_and_b64 s[0:1], vcc, s[0:1]
	v_mov_b32_e32 v75, v49
	v_cndmask_b32_e64 v1, 0, 1, s[0:1]
	v_cmp_gt_u64_e32 vcc, s[38:39], v[74:75]
	v_cmp_ne_u64_e64 s[0:1], v[2:3], v[4:5]
	s_and_b64 s[0:1], vcc, s[0:1]
	v_mov_b32_e32 v73, v49
	v_cndmask_b32_e64 v75, 0, 1, s[0:1]
	;; [unrolled: 5-line block ×13, first 2 shown]
	v_cmp_gt_u64_e32 vcc, s[38:39], v[50:51]
	v_cmp_ne_u64_e64 s[0:1], v[26:27], v[28:29]
	s_and_b64 s[0:1], vcc, s[0:1]
	v_lshlrev_b32_e32 v30, 3, v0
	s_mov_b32 s4, 1
	v_cndmask_b32_e64 v84, 0, 1, s[0:1]
	v_cmp_ne_u32_e32 vcc, 0, v0
	ds_write_b64 v30, v[46:47]
	s_waitcnt lgkmcnt(0)
	s_barrier
	s_waitcnt lgkmcnt(0)
                                        ; implicit-def: $sgpr0_sgpr1
	s_and_saveexec_b64 s[2:3], vcc
	s_cbranch_execz .LBB699_183
; %bb.145:
	v_add_u32_e32 v30, -8, v30
	ds_read_b64 v[30:31], v30
	v_mul_u32_u24_e32 v48, 15, v0
	v_cmp_gt_u64_e32 vcc, s[38:39], v[48:49]
	s_or_b64 s[48:49], s[48:49], exec
	s_waitcnt lgkmcnt(0)
	v_cmp_ne_u64_e64 s[0:1], v[30:31], v[26:27]
	s_and_b64 s[0:1], vcc, s[0:1]
	s_and_b64 s[0:1], s[0:1], exec
	s_or_b64 exec, exec, s[2:3]
	v_mov_b32_e32 v70, s4
	s_and_saveexec_b64 s[2:3], s[48:49]
	s_cbranch_execz .LBB699_74
	s_branch .LBB699_73
.LBB699_146:
	s_or_b64 exec, exec, s[40:41]
	s_and_saveexec_b64 s[40:41], s[26:27]
	s_cbranch_execz .LBB699_120
.LBB699_147:
	v_sub_u32_e32 v86, v64, v32
	v_mov_b32_e32 v87, 0
	v_lshlrev_b64 v[86:87], 3, v[86:87]
	v_add_co_u32_e32 v86, vcc, v31, v86
	v_addc_co_u32_e32 v87, vcc, v72, v87, vcc
	global_store_dwordx2 v[86:87], v[28:29], off
	s_or_b64 exec, exec, s[40:41]
	s_and_saveexec_b64 s[40:41], s[24:25]
	s_cbranch_execnz .LBB699_121
.LBB699_148:
	s_or_b64 exec, exec, s[40:41]
	s_and_saveexec_b64 s[40:41], s[22:23]
	s_cbranch_execz .LBB699_122
.LBB699_149:
	v_sub_u32_e32 v86, v60, v32
	v_mov_b32_e32 v87, 0
	v_lshlrev_b64 v[86:87], 3, v[86:87]
	v_add_co_u32_e32 v86, vcc, v31, v86
	v_addc_co_u32_e32 v87, vcc, v72, v87, vcc
	global_store_dwordx2 v[86:87], v[24:25], off
	s_or_b64 exec, exec, s[40:41]
	s_and_saveexec_b64 s[40:41], s[20:21]
	s_cbranch_execnz .LBB699_123
.LBB699_150:
	s_or_b64 exec, exec, s[40:41]
	s_and_saveexec_b64 s[40:41], s[18:19]
	s_cbranch_execz .LBB699_124
.LBB699_151:
	v_sub_u32_e32 v86, v56, v32
	v_mov_b32_e32 v87, 0
	v_lshlrev_b64 v[86:87], 3, v[86:87]
	v_add_co_u32_e32 v86, vcc, v31, v86
	v_addc_co_u32_e32 v87, vcc, v72, v87, vcc
	global_store_dwordx2 v[86:87], v[20:21], off
	s_or_b64 exec, exec, s[40:41]
	s_and_saveexec_b64 s[40:41], s[16:17]
	s_cbranch_execnz .LBB699_125
.LBB699_152:
	s_or_b64 exec, exec, s[40:41]
	s_and_saveexec_b64 s[40:41], s[14:15]
	s_cbranch_execz .LBB699_126
.LBB699_153:
	v_sub_u32_e32 v86, v52, v32
	v_mov_b32_e32 v87, 0
	v_lshlrev_b64 v[86:87], 3, v[86:87]
	v_add_co_u32_e32 v86, vcc, v31, v86
	v_addc_co_u32_e32 v87, vcc, v72, v87, vcc
	global_store_dwordx2 v[86:87], v[16:17], off
	s_or_b64 exec, exec, s[40:41]
	s_and_saveexec_b64 s[40:41], s[12:13]
	s_cbranch_execnz .LBB699_127
.LBB699_154:
	s_or_b64 exec, exec, s[40:41]
	s_and_saveexec_b64 s[40:41], s[10:11]
	s_cbranch_execz .LBB699_128
.LBB699_155:
	v_sub_u32_e32 v86, v48, v32
	v_mov_b32_e32 v87, 0
	v_lshlrev_b64 v[86:87], 3, v[86:87]
	v_add_co_u32_e32 v86, vcc, v31, v86
	v_addc_co_u32_e32 v87, vcc, v72, v87, vcc
	global_store_dwordx2 v[86:87], v[12:13], off
	s_or_b64 exec, exec, s[40:41]
	s_and_saveexec_b64 s[40:41], s[8:9]
	s_cbranch_execnz .LBB699_129
.LBB699_156:
	s_or_b64 exec, exec, s[40:41]
	s_and_saveexec_b64 s[40:41], s[6:7]
	s_cbranch_execz .LBB699_130
.LBB699_157:
	v_sub_u32_e32 v86, v42, v32
	v_mov_b32_e32 v87, 0
	v_lshlrev_b64 v[86:87], 3, v[86:87]
	v_add_co_u32_e32 v86, vcc, v31, v86
	v_addc_co_u32_e32 v87, vcc, v72, v87, vcc
	global_store_dwordx2 v[86:87], v[8:9], off
	s_or_b64 exec, exec, s[40:41]
	s_and_saveexec_b64 s[40:41], s[4:5]
	s_cbranch_execnz .LBB699_131
.LBB699_158:
	s_or_b64 exec, exec, s[40:41]
	s_and_saveexec_b64 s[40:41], s[2:3]
	s_cbranch_execz .LBB699_160
.LBB699_159:
	v_sub_u32_e32 v86, v38, v32
	v_mov_b32_e32 v87, 0
	v_lshlrev_b64 v[86:87], 3, v[86:87]
	v_add_co_u32_e32 v86, vcc, v31, v86
	v_addc_co_u32_e32 v87, vcc, v72, v87, vcc
	global_store_dwordx2 v[86:87], v[4:5], off
.LBB699_160:
	s_or_b64 exec, exec, s[40:41]
	s_and_b64 s[40:41], s[0:1], exec
	s_andn2_saveexec_b64 s[30:31], s[30:31]
	s_cbranch_execnz .LBB699_142
.LBB699_161:
	s_or_b64 exec, exec, s[30:31]
	s_and_b64 exec, exec, s[40:41]
	s_cbranch_execz .LBB699_163
.LBB699_162:
	v_sub_u32_e32 v86, v36, v32
	v_mov_b32_e32 v87, 0
	v_lshlrev_b64 v[86:87], 3, v[86:87]
	v_add_co_u32_e32 v86, vcc, v31, v86
	v_addc_co_u32_e32 v87, vcc, v72, v87, vcc
	global_store_dwordx2 v[86:87], v[46:47], off
.LBB699_163:
	s_or_b64 exec, exec, s[38:39]
	s_mov_b64 s[38:39], 0
.LBB699_164:
	s_and_b64 vcc, exec, s[38:39]
	s_cbranch_vccz .LBB699_205
; %bb.165:
	v_cmp_gt_i16_e32 vcc, 2, v74
	s_and_saveexec_b64 s[30:31], vcc
	s_cbranch_execz .LBB699_201
; %bb.166:
	v_cmp_ne_u16_e32 vcc, 1, v74
	s_mov_b64 s[40:41], 0
	s_and_saveexec_b64 s[38:39], vcc
	s_xor_b64 s[38:39], exec, s[38:39]
	s_cbranch_execz .LBB699_181
; %bb.167:
	s_and_saveexec_b64 s[40:41], s[28:29]
	s_cbranch_execz .LBB699_184
; %bb.168:
	v_sub_u32_e32 v74, v66, v32
	v_lshlrev_b32_e32 v74, 3, v74
	ds_write_b64 v74, v[26:27]
	s_or_b64 exec, exec, s[40:41]
	s_and_saveexec_b64 s[28:29], s[26:27]
	s_cbranch_execnz .LBB699_185
.LBB699_169:
	s_or_b64 exec, exec, s[28:29]
	s_and_saveexec_b64 s[26:27], s[24:25]
	s_cbranch_execz .LBB699_186
.LBB699_170:
	v_sub_u32_e32 v26, v62, v32
	v_lshlrev_b32_e32 v26, 3, v26
	ds_write_b64 v26, v[22:23]
	s_or_b64 exec, exec, s[26:27]
	s_and_saveexec_b64 s[24:25], s[22:23]
	s_cbranch_execnz .LBB699_187
.LBB699_171:
	s_or_b64 exec, exec, s[24:25]
	s_and_saveexec_b64 s[22:23], s[20:21]
	s_cbranch_execz .LBB699_188
.LBB699_172:
	v_sub_u32_e32 v22, v58, v32
	v_lshlrev_b32_e32 v22, 3, v22
	ds_write_b64 v22, v[18:19]
	s_or_b64 exec, exec, s[22:23]
	s_and_saveexec_b64 s[20:21], s[18:19]
	s_cbranch_execnz .LBB699_189
.LBB699_173:
	s_or_b64 exec, exec, s[20:21]
	s_and_saveexec_b64 s[18:19], s[16:17]
	s_cbranch_execz .LBB699_190
.LBB699_174:
	v_sub_u32_e32 v18, v54, v32
	v_lshlrev_b32_e32 v18, 3, v18
	ds_write_b64 v18, v[14:15]
	s_or_b64 exec, exec, s[18:19]
	s_and_saveexec_b64 s[16:17], s[14:15]
	s_cbranch_execnz .LBB699_191
.LBB699_175:
	s_or_b64 exec, exec, s[16:17]
	s_and_saveexec_b64 s[14:15], s[12:13]
	s_cbranch_execz .LBB699_192
.LBB699_176:
	v_sub_u32_e32 v14, v50, v32
	v_lshlrev_b32_e32 v14, 3, v14
	ds_write_b64 v14, v[10:11]
	s_or_b64 exec, exec, s[14:15]
	s_and_saveexec_b64 s[12:13], s[10:11]
	s_cbranch_execnz .LBB699_193
.LBB699_177:
	s_or_b64 exec, exec, s[12:13]
	s_and_saveexec_b64 s[10:11], s[8:9]
	s_cbranch_execz .LBB699_194
.LBB699_178:
	v_sub_u32_e32 v10, v44, v32
	v_lshlrev_b32_e32 v10, 3, v10
	ds_write_b64 v10, v[6:7]
	s_or_b64 exec, exec, s[10:11]
	s_and_saveexec_b64 s[8:9], s[6:7]
	s_cbranch_execnz .LBB699_195
.LBB699_179:
	s_or_b64 exec, exec, s[8:9]
	s_and_saveexec_b64 s[6:7], s[4:5]
	s_cbranch_execz .LBB699_196
.LBB699_180:
	v_sub_u32_e32 v6, v40, v32
	v_lshlrev_b32_e32 v6, 3, v6
	ds_write_b64 v6, v[2:3]
	s_or_b64 exec, exec, s[6:7]
	s_and_saveexec_b64 s[4:5], s[2:3]
	s_cbranch_execnz .LBB699_197
	s_branch .LBB699_198
.LBB699_181:
	s_andn2_saveexec_b64 s[0:1], s[38:39]
	s_cbranch_execz .LBB699_199
.LBB699_182:
	v_sub_u32_e32 v74, v66, v32
	v_lshlrev_b32_e32 v74, 3, v74
	ds_write_b64 v74, v[26:27]
	v_sub_u32_e32 v26, v64, v32
	v_lshlrev_b32_e32 v26, 3, v26
	ds_write_b64 v26, v[28:29]
	;; [unrolled: 3-line block ×13, first 2 shown]
	v_sub_u32_e32 v2, v38, v32
	v_lshlrev_b32_e32 v2, 3, v2
	s_or_b64 s[40:41], s[40:41], exec
	ds_write_b64 v2, v[4:5]
	s_or_b64 exec, exec, s[0:1]
	s_and_b64 exec, exec, s[40:41]
	s_cbranch_execnz .LBB699_200
	s_branch .LBB699_201
.LBB699_183:
	s_or_b64 exec, exec, s[2:3]
	v_mov_b32_e32 v70, s4
	s_and_saveexec_b64 s[2:3], s[48:49]
	s_cbranch_execnz .LBB699_73
	s_branch .LBB699_74
.LBB699_184:
	s_or_b64 exec, exec, s[40:41]
	s_and_saveexec_b64 s[28:29], s[26:27]
	s_cbranch_execz .LBB699_169
.LBB699_185:
	v_sub_u32_e32 v26, v64, v32
	v_lshlrev_b32_e32 v26, 3, v26
	ds_write_b64 v26, v[28:29]
	s_or_b64 exec, exec, s[28:29]
	s_and_saveexec_b64 s[26:27], s[24:25]
	s_cbranch_execnz .LBB699_170
.LBB699_186:
	s_or_b64 exec, exec, s[26:27]
	s_and_saveexec_b64 s[24:25], s[22:23]
	s_cbranch_execz .LBB699_171
.LBB699_187:
	v_sub_u32_e32 v22, v60, v32
	v_lshlrev_b32_e32 v22, 3, v22
	ds_write_b64 v22, v[24:25]
	s_or_b64 exec, exec, s[24:25]
	s_and_saveexec_b64 s[22:23], s[20:21]
	s_cbranch_execnz .LBB699_172
.LBB699_188:
	s_or_b64 exec, exec, s[22:23]
	s_and_saveexec_b64 s[20:21], s[18:19]
	s_cbranch_execz .LBB699_173
.LBB699_189:
	v_sub_u32_e32 v18, v56, v32
	v_lshlrev_b32_e32 v18, 3, v18
	ds_write_b64 v18, v[20:21]
	s_or_b64 exec, exec, s[20:21]
	s_and_saveexec_b64 s[18:19], s[16:17]
	s_cbranch_execnz .LBB699_174
.LBB699_190:
	s_or_b64 exec, exec, s[18:19]
	s_and_saveexec_b64 s[16:17], s[14:15]
	s_cbranch_execz .LBB699_175
.LBB699_191:
	v_sub_u32_e32 v14, v52, v32
	v_lshlrev_b32_e32 v14, 3, v14
	ds_write_b64 v14, v[16:17]
	s_or_b64 exec, exec, s[16:17]
	s_and_saveexec_b64 s[14:15], s[12:13]
	s_cbranch_execnz .LBB699_176
.LBB699_192:
	s_or_b64 exec, exec, s[14:15]
	s_and_saveexec_b64 s[12:13], s[10:11]
	s_cbranch_execz .LBB699_177
.LBB699_193:
	v_sub_u32_e32 v10, v48, v32
	v_lshlrev_b32_e32 v10, 3, v10
	ds_write_b64 v10, v[12:13]
	s_or_b64 exec, exec, s[12:13]
	s_and_saveexec_b64 s[10:11], s[8:9]
	s_cbranch_execnz .LBB699_178
.LBB699_194:
	s_or_b64 exec, exec, s[10:11]
	s_and_saveexec_b64 s[8:9], s[6:7]
	s_cbranch_execz .LBB699_179
.LBB699_195:
	v_sub_u32_e32 v6, v42, v32
	v_lshlrev_b32_e32 v6, 3, v6
	ds_write_b64 v6, v[8:9]
	s_or_b64 exec, exec, s[8:9]
	s_and_saveexec_b64 s[6:7], s[4:5]
	s_cbranch_execnz .LBB699_180
.LBB699_196:
	s_or_b64 exec, exec, s[6:7]
	s_and_saveexec_b64 s[4:5], s[2:3]
	s_cbranch_execz .LBB699_198
.LBB699_197:
	v_sub_u32_e32 v2, v38, v32
	v_lshlrev_b32_e32 v2, 3, v2
	ds_write_b64 v2, v[4:5]
.LBB699_198:
	s_or_b64 exec, exec, s[4:5]
	s_and_b64 s[40:41], s[0:1], exec
                                        ; implicit-def: $vgpr2_vgpr3
                                        ; implicit-def: $vgpr6_vgpr7
                                        ; implicit-def: $vgpr10_vgpr11
                                        ; implicit-def: $vgpr14_vgpr15
                                        ; implicit-def: $vgpr18_vgpr19
                                        ; implicit-def: $vgpr22_vgpr23
                                        ; implicit-def: $vgpr26_vgpr27
	s_andn2_saveexec_b64 s[0:1], s[38:39]
	s_cbranch_execnz .LBB699_182
.LBB699_199:
	s_or_b64 exec, exec, s[0:1]
	s_and_b64 exec, exec, s[40:41]
	s_cbranch_execz .LBB699_201
.LBB699_200:
	v_sub_u32_e32 v2, v36, v32
	v_lshlrev_b32_e32 v2, 3, v2
	ds_write_b64 v2, v[46:47]
.LBB699_201:
	s_or_b64 exec, exec, s[30:31]
	v_cmp_lt_u32_e32 vcc, v0, v30
	s_waitcnt lgkmcnt(0)
	s_barrier
	s_and_saveexec_b64 s[0:1], vcc
	s_cbranch_execz .LBB699_204
; %bb.202:
	v_lshlrev_b32_e32 v4, 3, v0
	s_mov_b64 s[2:3], 0
	v_mov_b32_e32 v3, 0
	v_mov_b32_e32 v2, v0
.LBB699_203:                            ; =>This Inner Loop Header: Depth=1
	v_lshlrev_b64 v[6:7], 3, v[2:3]
	ds_read_b64 v[8:9], v4
	v_add_co_u32_e32 v6, vcc, v31, v6
	v_add_u32_e32 v2, 0x100, v2
	v_addc_co_u32_e32 v7, vcc, v72, v7, vcc
	v_cmp_ge_u32_e32 vcc, v2, v30
	v_add_u32_e32 v4, 0x800, v4
	s_or_b64 s[2:3], vcc, s[2:3]
	s_waitcnt lgkmcnt(0)
	global_store_dwordx2 v[6:7], v[8:9], off
	s_andn2_b64 exec, exec, s[2:3]
	s_cbranch_execnz .LBB699_203
.LBB699_204:
	s_or_b64 exec, exec, s[0:1]
.LBB699_205:
	s_cmpk_lg_i32 s33, 0xf00
	s_cselect_b64 s[0:1], -1, 0
	v_cndmask_b32_e64 v3, 0, 1, s[36:37]
	s_and_b64 s[0:1], s[34:35], s[0:1]
	v_cmp_eq_u32_e32 vcc, 0, v0
	v_sub_u32_e32 v4, v30, v3
	v_cndmask_b32_e64 v2, 0, 1, s[0:1]
	s_and_b64 s[0:1], vcc, s[36:37]
	v_add_u32_e32 v6, v4, v2
	v_cndmask_b32_e64 v4, v70, 0, s[0:1]
	s_mul_hi_u32 s0, s33, 0x88888889
	s_lshr_b32 s0, s0, 3
	v_mad_i32_i24 v5, v0, -15, s33
	v_cmp_eq_u32_e32 vcc, s0, v0
	v_cmp_ne_u32_e64 s[0:1], 0, v5
	v_cndmask_b32_e64 v7, 1, v4, s[0:1]
	v_cmp_ne_u32_e64 s[0:1], 1, v5
	v_cndmask_b32_e64 v8, 1, v84, s[0:1]
	;; [unrolled: 2-line block ×15, first 2 shown]
	s_and_b64 vcc, s[34:35], vcc
	v_cndmask_b32_e32 v21, v1, v5, vcc
	v_cndmask_b32_e32 v25, v4, v7, vcc
	v_lshlrev_b64 v[4:5], 2, v[34:35]
	v_cndmask_b32_e32 v20, v75, v20, vcc
	v_cndmask_b32_e32 v19, v73, v19, vcc
	;; [unrolled: 1-line block ×13, first 2 shown]
	v_mov_b32_e32 v1, s53
	v_add_co_u32_e32 v7, vcc, s52, v4
	v_addc_co_u32_e32 v1, vcc, v1, v5, vcc
	v_lshlrev_b64 v[4:5], 2, v[32:33]
	v_add_co_u32_e32 v7, vcc, v7, v4
	v_addc_co_u32_e32 v8, vcc, v1, v5, vcc
	v_lshlrev_b32_e32 v1, 2, v3
	v_add_co_u32_e32 v1, vcc, v1, v7
	v_addc_co_u32_e32 v4, vcc, 0, v8, vcc
	v_add_co_u32_e32 v9, vcc, -4, v1
	v_addc_co_u32_e32 v10, vcc, -1, v4, vcc
	v_cmp_eq_u32_e32 vcc, 0, v25
	v_cndmask_b32_e64 v4, 1, 2, vcc
	v_cmp_eq_u32_e32 vcc, 0, v24
	v_cndmask_b32_e64 v5, 1, 2, vcc
	v_cmp_eq_u32_e32 vcc, 0, v23
	v_and_b32_e32 v4, v5, v4
	v_cndmask_b32_e64 v5, 1, 2, vcc
	v_cmp_eq_u32_e32 vcc, 0, v22
	v_and_b32_e32 v4, v4, v5
	;; [unrolled: 3-line block ×13, first 2 shown]
	v_cndmask_b32_e64 v5, 1, 2, vcc
	s_movk_i32 s30, 0x100
	v_and_b32_e32 v4, v4, v5
	v_cmp_gt_u32_e32 vcc, s30, v6
	v_add_u32_e32 v1, v32, v3
	v_cmp_ne_u32_e64 s[28:29], 0, v25
	v_cmp_ne_u32_e64 s[26:27], 0, v24
	v_cmp_ne_u32_e64 s[24:25], 0, v23
	v_cmp_ne_u32_e64 s[22:23], 0, v22
	v_cmp_ne_u32_e64 s[20:21], 0, v11
	v_cmp_ne_u32_e64 s[18:19], 0, v12
	v_cmp_ne_u32_e64 s[16:17], 0, v13
	v_cmp_ne_u32_e64 s[14:15], 0, v14
	v_cmp_ne_u32_e64 s[12:13], 0, v15
	v_cmp_ne_u32_e64 s[10:11], 0, v16
	v_cmp_ne_u32_e64 s[8:9], 0, v17
	v_cmp_ne_u32_e64 s[6:7], 0, v18
	v_cmp_ne_u32_e64 s[4:5], 0, v19
	v_cmp_ne_u32_e64 s[2:3], 0, v20
	v_cmp_ne_u32_e64 s[0:1], 0, v21
	s_mov_b64 s[36:37], -1
	v_cmp_gt_i16_e64 s[30:31], 2, v4
	s_barrier
	s_cbranch_vccz .LBB699_242
; %bb.206:
	s_and_saveexec_b64 s[36:37], s[30:31]
	s_cbranch_execz .LBB699_241
; %bb.207:
	v_cmp_ne_u16_e32 vcc, 1, v4
	s_mov_b64 s[38:39], 0
	s_and_saveexec_b64 s[30:31], vcc
	s_xor_b64 s[30:31], exec, s[30:31]
	s_cbranch_execz .LBB699_222
; %bb.208:
	s_and_saveexec_b64 s[38:39], s[28:29]
	s_cbranch_execz .LBB699_224
; %bb.209:
	v_sub_u32_e32 v12, v66, v1
	v_mov_b32_e32 v13, 0
	v_lshlrev_b64 v[12:13], 2, v[12:13]
	v_add_co_u32_e32 v12, vcc, v9, v12
	v_addc_co_u32_e32 v13, vcc, v10, v13, vcc
	global_store_dword v[12:13], v67, off
	s_or_b64 exec, exec, s[38:39]
	s_and_saveexec_b64 s[38:39], s[26:27]
	s_cbranch_execnz .LBB699_225
.LBB699_210:
	s_or_b64 exec, exec, s[38:39]
	s_and_saveexec_b64 s[38:39], s[24:25]
	s_cbranch_execz .LBB699_226
.LBB699_211:
	v_sub_u32_e32 v12, v62, v1
	v_mov_b32_e32 v13, 0
	v_lshlrev_b64 v[12:13], 2, v[12:13]
	v_add_co_u32_e32 v12, vcc, v9, v12
	v_addc_co_u32_e32 v13, vcc, v10, v13, vcc
	global_store_dword v[12:13], v63, off
	s_or_b64 exec, exec, s[38:39]
	s_and_saveexec_b64 s[38:39], s[22:23]
	s_cbranch_execnz .LBB699_227
.LBB699_212:
	s_or_b64 exec, exec, s[38:39]
	s_and_saveexec_b64 s[38:39], s[20:21]
	s_cbranch_execz .LBB699_228
.LBB699_213:
	v_sub_u32_e32 v12, v58, v1
	v_mov_b32_e32 v13, 0
	v_lshlrev_b64 v[12:13], 2, v[12:13]
	v_add_co_u32_e32 v12, vcc, v9, v12
	v_addc_co_u32_e32 v13, vcc, v10, v13, vcc
	global_store_dword v[12:13], v59, off
	s_or_b64 exec, exec, s[38:39]
	s_and_saveexec_b64 s[38:39], s[18:19]
	s_cbranch_execnz .LBB699_229
.LBB699_214:
	s_or_b64 exec, exec, s[38:39]
	s_and_saveexec_b64 s[38:39], s[16:17]
	s_cbranch_execz .LBB699_230
.LBB699_215:
	v_sub_u32_e32 v12, v54, v1
	v_mov_b32_e32 v13, 0
	v_lshlrev_b64 v[12:13], 2, v[12:13]
	v_add_co_u32_e32 v12, vcc, v9, v12
	v_addc_co_u32_e32 v13, vcc, v10, v13, vcc
	global_store_dword v[12:13], v55, off
	s_or_b64 exec, exec, s[38:39]
	s_and_saveexec_b64 s[38:39], s[14:15]
	s_cbranch_execnz .LBB699_231
.LBB699_216:
	s_or_b64 exec, exec, s[38:39]
	s_and_saveexec_b64 s[38:39], s[12:13]
	s_cbranch_execz .LBB699_232
.LBB699_217:
	v_sub_u32_e32 v12, v50, v1
	v_mov_b32_e32 v13, 0
	v_lshlrev_b64 v[12:13], 2, v[12:13]
	v_add_co_u32_e32 v12, vcc, v9, v12
	v_addc_co_u32_e32 v13, vcc, v10, v13, vcc
	global_store_dword v[12:13], v51, off
	s_or_b64 exec, exec, s[38:39]
	s_and_saveexec_b64 s[38:39], s[10:11]
	s_cbranch_execnz .LBB699_233
.LBB699_218:
	s_or_b64 exec, exec, s[38:39]
	s_and_saveexec_b64 s[38:39], s[8:9]
	s_cbranch_execz .LBB699_234
.LBB699_219:
	v_sub_u32_e32 v12, v44, v1
	v_mov_b32_e32 v13, 0
	v_lshlrev_b64 v[12:13], 2, v[12:13]
	v_add_co_u32_e32 v12, vcc, v9, v12
	v_addc_co_u32_e32 v13, vcc, v10, v13, vcc
	global_store_dword v[12:13], v45, off
	s_or_b64 exec, exec, s[38:39]
	s_and_saveexec_b64 s[38:39], s[6:7]
	s_cbranch_execnz .LBB699_235
.LBB699_220:
	s_or_b64 exec, exec, s[38:39]
	s_and_saveexec_b64 s[38:39], s[4:5]
	s_cbranch_execz .LBB699_236
.LBB699_221:
	v_sub_u32_e32 v12, v40, v1
	v_mov_b32_e32 v13, 0
	v_lshlrev_b64 v[12:13], 2, v[12:13]
	v_add_co_u32_e32 v12, vcc, v9, v12
	v_addc_co_u32_e32 v13, vcc, v10, v13, vcc
	global_store_dword v[12:13], v41, off
	s_or_b64 exec, exec, s[38:39]
	s_and_saveexec_b64 s[38:39], s[2:3]
	s_cbranch_execnz .LBB699_237
	s_branch .LBB699_238
.LBB699_222:
	s_andn2_saveexec_b64 s[30:31], s[30:31]
	s_cbranch_execz .LBB699_239
.LBB699_223:
	v_sub_u32_e32 v12, v66, v1
	v_mov_b32_e32 v13, 0
	v_lshlrev_b64 v[14:15], 2, v[12:13]
	v_add_co_u32_e32 v14, vcc, v9, v14
	v_addc_co_u32_e32 v15, vcc, v10, v15, vcc
	v_sub_u32_e32 v12, v64, v1
	global_store_dword v[14:15], v67, off
	v_lshlrev_b64 v[14:15], 2, v[12:13]
	v_add_co_u32_e32 v14, vcc, v9, v14
	v_addc_co_u32_e32 v15, vcc, v10, v15, vcc
	v_sub_u32_e32 v12, v62, v1
	global_store_dword v[14:15], v65, off
	;; [unrolled: 5-line block ×12, first 2 shown]
	v_lshlrev_b64 v[14:15], 2, v[12:13]
	v_add_co_u32_e32 v14, vcc, v9, v14
	v_sub_u32_e32 v12, v38, v1
	v_addc_co_u32_e32 v15, vcc, v10, v15, vcc
	v_lshlrev_b64 v[12:13], 2, v[12:13]
	v_add_co_u32_e32 v12, vcc, v9, v12
	v_addc_co_u32_e32 v13, vcc, v10, v13, vcc
	s_or_b64 s[38:39], s[38:39], exec
	global_store_dword v[14:15], v41, off
	global_store_dword v[12:13], v39, off
	s_or_b64 exec, exec, s[30:31]
	s_and_b64 exec, exec, s[38:39]
	s_cbranch_execnz .LBB699_240
	s_branch .LBB699_241
.LBB699_224:
	s_or_b64 exec, exec, s[38:39]
	s_and_saveexec_b64 s[38:39], s[26:27]
	s_cbranch_execz .LBB699_210
.LBB699_225:
	v_sub_u32_e32 v12, v64, v1
	v_mov_b32_e32 v13, 0
	v_lshlrev_b64 v[12:13], 2, v[12:13]
	v_add_co_u32_e32 v12, vcc, v9, v12
	v_addc_co_u32_e32 v13, vcc, v10, v13, vcc
	global_store_dword v[12:13], v65, off
	s_or_b64 exec, exec, s[38:39]
	s_and_saveexec_b64 s[38:39], s[24:25]
	s_cbranch_execnz .LBB699_211
.LBB699_226:
	s_or_b64 exec, exec, s[38:39]
	s_and_saveexec_b64 s[38:39], s[22:23]
	s_cbranch_execz .LBB699_212
.LBB699_227:
	v_sub_u32_e32 v12, v60, v1
	v_mov_b32_e32 v13, 0
	v_lshlrev_b64 v[12:13], 2, v[12:13]
	v_add_co_u32_e32 v12, vcc, v9, v12
	v_addc_co_u32_e32 v13, vcc, v10, v13, vcc
	global_store_dword v[12:13], v61, off
	s_or_b64 exec, exec, s[38:39]
	s_and_saveexec_b64 s[38:39], s[20:21]
	s_cbranch_execnz .LBB699_213
.LBB699_228:
	s_or_b64 exec, exec, s[38:39]
	s_and_saveexec_b64 s[38:39], s[18:19]
	s_cbranch_execz .LBB699_214
.LBB699_229:
	v_sub_u32_e32 v12, v56, v1
	v_mov_b32_e32 v13, 0
	v_lshlrev_b64 v[12:13], 2, v[12:13]
	v_add_co_u32_e32 v12, vcc, v9, v12
	v_addc_co_u32_e32 v13, vcc, v10, v13, vcc
	global_store_dword v[12:13], v57, off
	s_or_b64 exec, exec, s[38:39]
	s_and_saveexec_b64 s[38:39], s[16:17]
	s_cbranch_execnz .LBB699_215
.LBB699_230:
	s_or_b64 exec, exec, s[38:39]
	s_and_saveexec_b64 s[38:39], s[14:15]
	s_cbranch_execz .LBB699_216
.LBB699_231:
	v_sub_u32_e32 v12, v52, v1
	v_mov_b32_e32 v13, 0
	v_lshlrev_b64 v[12:13], 2, v[12:13]
	v_add_co_u32_e32 v12, vcc, v9, v12
	v_addc_co_u32_e32 v13, vcc, v10, v13, vcc
	global_store_dword v[12:13], v53, off
	s_or_b64 exec, exec, s[38:39]
	s_and_saveexec_b64 s[38:39], s[12:13]
	s_cbranch_execnz .LBB699_217
.LBB699_232:
	s_or_b64 exec, exec, s[38:39]
	s_and_saveexec_b64 s[38:39], s[10:11]
	s_cbranch_execz .LBB699_218
.LBB699_233:
	v_sub_u32_e32 v12, v48, v1
	v_mov_b32_e32 v13, 0
	v_lshlrev_b64 v[12:13], 2, v[12:13]
	v_add_co_u32_e32 v12, vcc, v9, v12
	v_addc_co_u32_e32 v13, vcc, v10, v13, vcc
	global_store_dword v[12:13], v49, off
	s_or_b64 exec, exec, s[38:39]
	s_and_saveexec_b64 s[38:39], s[8:9]
	s_cbranch_execnz .LBB699_219
.LBB699_234:
	s_or_b64 exec, exec, s[38:39]
	s_and_saveexec_b64 s[38:39], s[6:7]
	s_cbranch_execz .LBB699_220
.LBB699_235:
	v_sub_u32_e32 v12, v42, v1
	v_mov_b32_e32 v13, 0
	v_lshlrev_b64 v[12:13], 2, v[12:13]
	v_add_co_u32_e32 v12, vcc, v9, v12
	v_addc_co_u32_e32 v13, vcc, v10, v13, vcc
	global_store_dword v[12:13], v43, off
	s_or_b64 exec, exec, s[38:39]
	s_and_saveexec_b64 s[38:39], s[4:5]
	s_cbranch_execnz .LBB699_221
.LBB699_236:
	s_or_b64 exec, exec, s[38:39]
	s_and_saveexec_b64 s[38:39], s[2:3]
	s_cbranch_execz .LBB699_238
.LBB699_237:
	v_sub_u32_e32 v12, v38, v1
	v_mov_b32_e32 v13, 0
	v_lshlrev_b64 v[12:13], 2, v[12:13]
	v_add_co_u32_e32 v12, vcc, v9, v12
	v_addc_co_u32_e32 v13, vcc, v10, v13, vcc
	global_store_dword v[12:13], v39, off
.LBB699_238:
	s_or_b64 exec, exec, s[38:39]
	s_and_b64 s[38:39], s[0:1], exec
	s_andn2_saveexec_b64 s[30:31], s[30:31]
	s_cbranch_execnz .LBB699_223
.LBB699_239:
	s_or_b64 exec, exec, s[30:31]
	s_and_b64 exec, exec, s[38:39]
	s_cbranch_execz .LBB699_241
.LBB699_240:
	v_sub_u32_e32 v12, v36, v1
	v_mov_b32_e32 v13, 0
	v_lshlrev_b64 v[12:13], 2, v[12:13]
	v_add_co_u32_e32 v12, vcc, v9, v12
	v_addc_co_u32_e32 v13, vcc, v10, v13, vcc
	global_store_dword v[12:13], v37, off
.LBB699_241:
	s_or_b64 exec, exec, s[36:37]
	s_mov_b64 s[36:37], 0
.LBB699_242:
	s_and_b64 vcc, exec, s[36:37]
	s_cbranch_vccz .LBB699_294
; %bb.243:
	v_cmp_gt_i16_e32 vcc, 2, v4
	s_and_saveexec_b64 s[30:31], vcc
	s_cbranch_execz .LBB699_278
; %bb.244:
	v_cmp_ne_u16_e32 vcc, 1, v4
	s_mov_b64 s[38:39], 0
	s_and_saveexec_b64 s[36:37], vcc
	s_xor_b64 s[36:37], exec, s[36:37]
	s_cbranch_execz .LBB699_259
; %bb.245:
	s_and_saveexec_b64 s[38:39], s[28:29]
	s_cbranch_execz .LBB699_261
; %bb.246:
	v_sub_u32_e32 v4, v66, v1
	v_lshlrev_b32_e32 v4, 2, v4
	ds_write_b32 v4, v67
	s_or_b64 exec, exec, s[38:39]
	s_and_saveexec_b64 s[28:29], s[26:27]
	s_cbranch_execnz .LBB699_262
.LBB699_247:
	s_or_b64 exec, exec, s[28:29]
	s_and_saveexec_b64 s[26:27], s[24:25]
	s_cbranch_execz .LBB699_263
.LBB699_248:
	v_sub_u32_e32 v4, v62, v1
	v_lshlrev_b32_e32 v4, 2, v4
	ds_write_b32 v4, v63
	s_or_b64 exec, exec, s[26:27]
	s_and_saveexec_b64 s[24:25], s[22:23]
	s_cbranch_execnz .LBB699_264
.LBB699_249:
	s_or_b64 exec, exec, s[24:25]
	s_and_saveexec_b64 s[22:23], s[20:21]
	s_cbranch_execz .LBB699_265
.LBB699_250:
	v_sub_u32_e32 v4, v58, v1
	v_lshlrev_b32_e32 v4, 2, v4
	ds_write_b32 v4, v59
	s_or_b64 exec, exec, s[22:23]
	s_and_saveexec_b64 s[20:21], s[18:19]
	s_cbranch_execnz .LBB699_266
.LBB699_251:
	s_or_b64 exec, exec, s[20:21]
	s_and_saveexec_b64 s[18:19], s[16:17]
	s_cbranch_execz .LBB699_267
.LBB699_252:
	v_sub_u32_e32 v4, v54, v1
	v_lshlrev_b32_e32 v4, 2, v4
	ds_write_b32 v4, v55
	s_or_b64 exec, exec, s[18:19]
	s_and_saveexec_b64 s[16:17], s[14:15]
	s_cbranch_execnz .LBB699_268
.LBB699_253:
	s_or_b64 exec, exec, s[16:17]
	s_and_saveexec_b64 s[14:15], s[12:13]
	s_cbranch_execz .LBB699_269
.LBB699_254:
	v_sub_u32_e32 v4, v50, v1
	v_lshlrev_b32_e32 v4, 2, v4
	ds_write_b32 v4, v51
	s_or_b64 exec, exec, s[14:15]
	s_and_saveexec_b64 s[12:13], s[10:11]
	s_cbranch_execnz .LBB699_270
.LBB699_255:
	s_or_b64 exec, exec, s[12:13]
	s_and_saveexec_b64 s[10:11], s[8:9]
	s_cbranch_execz .LBB699_271
.LBB699_256:
	v_sub_u32_e32 v4, v44, v1
	v_lshlrev_b32_e32 v4, 2, v4
	ds_write_b32 v4, v45
	s_or_b64 exec, exec, s[10:11]
	s_and_saveexec_b64 s[8:9], s[6:7]
	s_cbranch_execnz .LBB699_272
.LBB699_257:
	s_or_b64 exec, exec, s[8:9]
	s_and_saveexec_b64 s[6:7], s[4:5]
	s_cbranch_execz .LBB699_273
.LBB699_258:
	v_sub_u32_e32 v4, v40, v1
	v_lshlrev_b32_e32 v4, 2, v4
	ds_write_b32 v4, v41
	s_or_b64 exec, exec, s[6:7]
	s_and_saveexec_b64 s[4:5], s[2:3]
	s_cbranch_execnz .LBB699_274
	s_branch .LBB699_275
.LBB699_259:
	s_andn2_saveexec_b64 s[0:1], s[36:37]
	s_cbranch_execz .LBB699_276
.LBB699_260:
	v_sub_u32_e32 v4, v66, v1
	v_lshlrev_b32_e32 v4, 2, v4
	ds_write_b32 v4, v67
	v_sub_u32_e32 v4, v64, v1
	v_lshlrev_b32_e32 v4, 2, v4
	ds_write_b32 v4, v65
	;; [unrolled: 3-line block ×13, first 2 shown]
	v_sub_u32_e32 v4, v38, v1
	v_lshlrev_b32_e32 v4, 2, v4
	s_or_b64 s[38:39], s[38:39], exec
	ds_write_b32 v4, v39
	s_or_b64 exec, exec, s[0:1]
	s_and_b64 exec, exec, s[38:39]
	s_cbranch_execnz .LBB699_277
	s_branch .LBB699_278
.LBB699_261:
	s_or_b64 exec, exec, s[38:39]
	s_and_saveexec_b64 s[28:29], s[26:27]
	s_cbranch_execz .LBB699_247
.LBB699_262:
	v_sub_u32_e32 v4, v64, v1
	v_lshlrev_b32_e32 v4, 2, v4
	ds_write_b32 v4, v65
	s_or_b64 exec, exec, s[28:29]
	s_and_saveexec_b64 s[26:27], s[24:25]
	s_cbranch_execnz .LBB699_248
.LBB699_263:
	s_or_b64 exec, exec, s[26:27]
	s_and_saveexec_b64 s[24:25], s[22:23]
	s_cbranch_execz .LBB699_249
.LBB699_264:
	v_sub_u32_e32 v4, v60, v1
	v_lshlrev_b32_e32 v4, 2, v4
	ds_write_b32 v4, v61
	s_or_b64 exec, exec, s[24:25]
	s_and_saveexec_b64 s[22:23], s[20:21]
	s_cbranch_execnz .LBB699_250
.LBB699_265:
	s_or_b64 exec, exec, s[22:23]
	s_and_saveexec_b64 s[20:21], s[18:19]
	s_cbranch_execz .LBB699_251
.LBB699_266:
	v_sub_u32_e32 v4, v56, v1
	v_lshlrev_b32_e32 v4, 2, v4
	ds_write_b32 v4, v57
	s_or_b64 exec, exec, s[20:21]
	s_and_saveexec_b64 s[18:19], s[16:17]
	s_cbranch_execnz .LBB699_252
.LBB699_267:
	s_or_b64 exec, exec, s[18:19]
	s_and_saveexec_b64 s[16:17], s[14:15]
	s_cbranch_execz .LBB699_253
.LBB699_268:
	v_sub_u32_e32 v4, v52, v1
	v_lshlrev_b32_e32 v4, 2, v4
	ds_write_b32 v4, v53
	s_or_b64 exec, exec, s[16:17]
	s_and_saveexec_b64 s[14:15], s[12:13]
	s_cbranch_execnz .LBB699_254
.LBB699_269:
	s_or_b64 exec, exec, s[14:15]
	s_and_saveexec_b64 s[12:13], s[10:11]
	s_cbranch_execz .LBB699_255
.LBB699_270:
	v_sub_u32_e32 v4, v48, v1
	v_lshlrev_b32_e32 v4, 2, v4
	ds_write_b32 v4, v49
	s_or_b64 exec, exec, s[12:13]
	s_and_saveexec_b64 s[10:11], s[8:9]
	s_cbranch_execnz .LBB699_256
.LBB699_271:
	s_or_b64 exec, exec, s[10:11]
	s_and_saveexec_b64 s[8:9], s[6:7]
	s_cbranch_execz .LBB699_257
.LBB699_272:
	v_sub_u32_e32 v4, v42, v1
	v_lshlrev_b32_e32 v4, 2, v4
	ds_write_b32 v4, v43
	s_or_b64 exec, exec, s[8:9]
	s_and_saveexec_b64 s[6:7], s[4:5]
	s_cbranch_execnz .LBB699_258
.LBB699_273:
	s_or_b64 exec, exec, s[6:7]
	s_and_saveexec_b64 s[4:5], s[2:3]
	s_cbranch_execz .LBB699_275
.LBB699_274:
	v_sub_u32_e32 v4, v38, v1
	v_lshlrev_b32_e32 v4, 2, v4
	ds_write_b32 v4, v39
.LBB699_275:
	s_or_b64 exec, exec, s[4:5]
	s_and_b64 s[38:39], s[0:1], exec
                                        ; implicit-def: $vgpr66_vgpr67
                                        ; implicit-def: $vgpr64_vgpr65
                                        ; implicit-def: $vgpr62_vgpr63
                                        ; implicit-def: $vgpr60_vgpr61
                                        ; implicit-def: $vgpr58_vgpr59
                                        ; implicit-def: $vgpr56_vgpr57
                                        ; implicit-def: $vgpr54_vgpr55
                                        ; implicit-def: $vgpr52_vgpr53
                                        ; implicit-def: $vgpr50_vgpr51
                                        ; implicit-def: $vgpr48_vgpr49
                                        ; implicit-def: $vgpr44_vgpr45
                                        ; implicit-def: $vgpr42_vgpr43
                                        ; implicit-def: $vgpr40_vgpr41
                                        ; implicit-def: $vgpr38_vgpr39
	s_andn2_saveexec_b64 s[0:1], s[36:37]
	s_cbranch_execnz .LBB699_260
.LBB699_276:
	s_or_b64 exec, exec, s[0:1]
	s_and_b64 exec, exec, s[38:39]
	s_cbranch_execz .LBB699_278
.LBB699_277:
	v_sub_u32_e32 v1, v36, v1
	v_lshlrev_b32_e32 v1, 2, v1
	ds_write_b32 v1, v37
.LBB699_278:
	s_or_b64 exec, exec, s[30:31]
	v_cmp_lt_u32_e32 vcc, v0, v6
	s_waitcnt lgkmcnt(0)
	s_barrier
	s_and_saveexec_b64 s[2:3], vcc
	s_cbranch_execz .LBB699_293
; %bb.279:
	v_add_u32_e32 v4, v30, v2
	v_xad_u32 v1, v0, -1, v4
	v_sub_u32_e32 v1, v1, v3
	s_movk_i32 s0, 0x1900
	v_cmp_gt_u32_e64 s[4:5], s0, v1
	s_movk_i32 s0, 0x18ff
	v_cmp_lt_u32_e32 vcc, s0, v1
	v_mov_b32_e32 v2, v0
	s_and_saveexec_b64 s[6:7], vcc
	s_cbranch_execz .LBB699_290
; %bb.280:
	v_sub_u32_e32 v2, v0, v4
	v_add_u32_e32 v2, v2, v3
	v_or_b32_e32 v2, 0xff, v2
	v_cmp_ge_u32_e32 vcc, v2, v0
	s_mov_b64 s[0:1], -1
	v_mov_b32_e32 v2, v0
	s_and_saveexec_b64 s[8:9], vcc
	s_cbranch_execz .LBB699_289
; %bb.281:
	v_lshrrev_b32_e32 v11, 8, v1
	v_add_u32_e32 v2, -1, v11
	v_or_b32_e32 v1, 0x100, v0
	v_lshrrev_b32_e32 v3, 1, v2
	v_add_u32_e32 v13, 1, v3
	v_cmp_lt_u32_e32 vcc, 13, v2
	v_mov_b32_e32 v16, 0
	v_lshlrev_b32_e32 v12, 2, v0
	v_pk_mov_b32 v[2:3], v[0:1], v[0:1] op_sel:[0,1]
	s_and_saveexec_b64 s[10:11], vcc
	s_cbranch_execz .LBB699_285
; %bb.282:
	v_and_b32_e32 v14, -8, v13
	s_mov_b32 s14, 0
	s_mov_b64 s[12:13], 0
	v_mov_b32_e32 v5, 0
	v_mov_b32_e32 v15, v12
	v_pk_mov_b32 v[2:3], v[0:1], v[0:1] op_sel:[0,1]
.LBB699_283:                            ; =>This Inner Loop Header: Depth=1
	v_mov_b32_e32 v4, v2
	v_add_u32_e32 v14, -8, v14
	v_lshlrev_b64 v[52:53], 2, v[4:5]
	v_mov_b32_e32 v4, v3
	ds_read2st64_b32 v[18:19], v15 offset1:4
	s_add_i32 s14, s14, 16
	v_cmp_eq_u32_e32 vcc, 0, v14
	v_lshlrev_b64 v[56:57], 2, v[4:5]
	v_add_u32_e32 v4, 0x200, v2
	s_or_b64 s[12:13], vcc, s[12:13]
	v_add_co_u32_e32 v56, vcc, v9, v56
	v_add_u32_e32 v16, 0x200, v3
	v_mov_b32_e32 v17, v5
	ds_read2st64_b32 v[20:21], v15 offset0:8 offset1:12
	ds_read2st64_b32 v[24:25], v15 offset0:16 offset1:20
	v_add_co_u32_e64 v52, s[0:1], v9, v52
	v_addc_co_u32_e32 v57, vcc, v10, v57, vcc
	v_lshlrev_b64 v[58:59], 2, v[4:5]
	v_lshlrev_b64 v[54:55], 2, v[16:17]
	v_addc_co_u32_e64 v53, s[0:1], v10, v53, s[0:1]
	v_add_u32_e32 v4, 0x400, v2
	v_add_co_u32_e32 v58, vcc, v9, v58
	v_add_u32_e32 v22, 0x400, v3
	v_mov_b32_e32 v23, v5
	ds_read2st64_b32 v[28:29], v15 offset0:24 offset1:28
	v_add_co_u32_e64 v54, s[0:1], v9, v54
	v_addc_co_u32_e32 v59, vcc, v10, v59, vcc
	v_lshlrev_b64 v[60:61], 2, v[4:5]
	ds_read2st64_b32 v[38:39], v15 offset0:32 offset1:36
	ds_read2st64_b32 v[42:43], v15 offset0:40 offset1:44
	;; [unrolled: 1-line block ×4, first 2 shown]
	v_lshlrev_b64 v[22:23], 2, v[22:23]
	v_addc_co_u32_e64 v55, s[0:1], v10, v55, s[0:1]
	v_add_u32_e32 v4, 0x600, v2
	s_waitcnt lgkmcnt(7)
	global_store_dword v[52:53], v18, off
	global_store_dword v[56:57], v19, off
	s_waitcnt lgkmcnt(6)
	global_store_dword v[58:59], v20, off
	global_store_dword v[54:55], v21, off
	v_add_co_u32_e32 v18, vcc, v9, v60
	v_add_u32_e32 v26, 0x600, v3
	v_mov_b32_e32 v27, v5
	v_add_co_u32_e64 v22, s[0:1], v9, v22
	v_addc_co_u32_e32 v19, vcc, v10, v61, vcc
	v_lshlrev_b64 v[20:21], 2, v[4:5]
	v_lshlrev_b64 v[26:27], 2, v[26:27]
	v_addc_co_u32_e64 v23, s[0:1], v10, v23, s[0:1]
	v_add_u32_e32 v4, 0x800, v2
	s_waitcnt lgkmcnt(5)
	global_store_dword v[18:19], v24, off
	global_store_dword v[22:23], v25, off
	v_add_co_u32_e32 v18, vcc, v9, v20
	v_add_u32_e32 v36, 0x800, v3
	v_mov_b32_e32 v37, v5
	v_add_co_u32_e64 v26, s[0:1], v9, v26
	v_addc_co_u32_e32 v19, vcc, v10, v21, vcc
	v_lshlrev_b64 v[20:21], 2, v[4:5]
	v_lshlrev_b64 v[36:37], 2, v[36:37]
	v_addc_co_u32_e64 v27, s[0:1], v10, v27, s[0:1]
	v_add_u32_e32 v4, 0xa00, v2
	;; [unrolled: 12-line block ×4, first 2 shown]
	s_waitcnt lgkmcnt(2)
	global_store_dword v[18:19], v42, off
	global_store_dword v[40:41], v43, off
	v_add_co_u32_e32 v18, vcc, v9, v20
	v_add_u32_e32 v48, 0xe00, v3
	v_mov_b32_e32 v49, v5
	v_add_co_u32_e64 v44, s[0:1], v9, v44
	v_addc_co_u32_e32 v19, vcc, v10, v21, vcc
	v_lshlrev_b64 v[20:21], 2, v[4:5]
	v_lshlrev_b64 v[48:49], 2, v[48:49]
	v_addc_co_u32_e64 v45, s[0:1], v10, v45, s[0:1]
	s_waitcnt lgkmcnt(1)
	global_store_dword v[18:19], v46, off
	global_store_dword v[44:45], v47, off
	v_add_co_u32_e32 v18, vcc, v9, v20
	v_add_u32_e32 v15, 0x4000, v15
	v_add_u32_e32 v3, 0x1000, v3
	v_mov_b32_e32 v16, s14
	v_add_co_u32_e64 v48, s[0:1], v9, v48
	v_add_u32_e32 v2, 0x1000, v2
	v_addc_co_u32_e32 v19, vcc, v10, v21, vcc
	v_addc_co_u32_e64 v49, s[0:1], v10, v49, s[0:1]
	s_waitcnt lgkmcnt(0)
	global_store_dword v[18:19], v50, off
	global_store_dword v[48:49], v51, off
	s_andn2_b64 exec, exec, s[12:13]
	s_cbranch_execnz .LBB699_283
; %bb.284:
	s_or_b64 exec, exec, s[12:13]
.LBB699_285:
	s_or_b64 exec, exec, s[10:11]
	v_and_b32_e32 v1, 7, v13
	v_cmp_ne_u32_e32 vcc, 0, v1
	s_and_saveexec_b64 s[10:11], vcc
	s_cbranch_execz .LBB699_288
; %bb.286:
	v_lshl_or_b32 v12, v16, 10, v12
	s_mov_b64 s[12:13], 0
	v_mov_b32_e32 v5, 0
.LBB699_287:                            ; =>This Inner Loop Header: Depth=1
	ds_read2st64_b32 v[14:15], v12 offset1:4
	v_mov_b32_e32 v4, v2
	v_add_u32_e32 v1, -1, v1
	v_lshlrev_b64 v[16:17], 2, v[4:5]
	v_mov_b32_e32 v4, v3
	v_cmp_eq_u32_e32 vcc, 0, v1
	v_add_co_u32_e64 v16, s[0:1], v9, v16
	v_lshlrev_b64 v[18:19], 2, v[4:5]
	v_add_u32_e32 v2, 0x200, v2
	v_add_u32_e32 v12, 0x800, v12
	;; [unrolled: 1-line block ×3, first 2 shown]
	v_addc_co_u32_e64 v17, s[0:1], v10, v17, s[0:1]
	s_or_b64 s[12:13], vcc, s[12:13]
	v_add_co_u32_e32 v18, vcc, v9, v18
	v_addc_co_u32_e32 v19, vcc, v10, v19, vcc
	s_waitcnt lgkmcnt(0)
	global_store_dword v[16:17], v14, off
	global_store_dword v[18:19], v15, off
	s_andn2_b64 exec, exec, s[12:13]
	s_cbranch_execnz .LBB699_287
.LBB699_288:
	s_or_b64 exec, exec, s[10:11]
	v_add_u32_e32 v1, 1, v11
	v_and_b32_e32 v3, 0x1fffffe, v1
	v_cmp_ne_u32_e32 vcc, v1, v3
	v_lshl_or_b32 v2, v3, 8, v0
	s_orn2_b64 s[0:1], vcc, exec
.LBB699_289:
	s_or_b64 exec, exec, s[8:9]
	s_andn2_b64 s[4:5], s[4:5], exec
	s_and_b64 s[0:1], s[0:1], exec
	s_or_b64 s[4:5], s[4:5], s[0:1]
.LBB699_290:
	s_or_b64 exec, exec, s[6:7]
	s_and_b64 exec, exec, s[4:5]
	s_cbranch_execz .LBB699_293
; %bb.291:
	v_lshlrev_b32_e32 v1, 2, v2
	s_mov_b64 s[0:1], 0
	v_mov_b32_e32 v3, 0
.LBB699_292:                            ; =>This Inner Loop Header: Depth=1
	v_lshlrev_b64 v[4:5], 2, v[2:3]
	ds_read_b32 v11, v1
	v_add_co_u32_e32 v4, vcc, v9, v4
	v_add_u32_e32 v2, 0x100, v2
	v_addc_co_u32_e32 v5, vcc, v10, v5, vcc
	v_cmp_ge_u32_e32 vcc, v2, v6
	v_add_u32_e32 v1, 0x400, v1
	s_or_b64 s[0:1], vcc, s[0:1]
	s_waitcnt lgkmcnt(0)
	global_store_dword v[4:5], v11, off
	s_andn2_b64 exec, exec, s[0:1]
	s_cbranch_execnz .LBB699_292
.LBB699_293:
	s_or_b64 exec, exec, s[2:3]
.LBB699_294:
	s_movk_i32 s0, 0xff
	v_cmp_eq_u32_e32 vcc, s0, v0
	s_and_b64 s[0:1], vcc, s[34:35]
	s_and_saveexec_b64 s[2:3], s[0:1]
	s_cbranch_execz .LBB699_297
; %bb.295:
	v_add_co_u32_e32 v0, vcc, v30, v32
	v_addc_co_u32_e64 v1, s[0:1], 0, 0, vcc
	v_add_co_u32_e32 v0, vcc, v0, v34
	v_mov_b32_e32 v31, 0
	v_addc_co_u32_e32 v1, vcc, v1, v35, vcc
	s_cmpk_lg_i32 s33, 0xf00
	global_store_dwordx2 v31, v[0:1], s[54:55]
	s_cbranch_scc1 .LBB699_297
; %bb.296:
	v_lshlrev_b64 v[0:1], 2, v[30:31]
	v_add_co_u32_e32 v0, vcc, v7, v0
	v_addc_co_u32_e32 v1, vcc, v8, v1, vcc
	global_store_dword v[0:1], v68, off offset:-4
.LBB699_297:
	s_endpgm
	.section	.rodata,"a",@progbits
	.p2align	6, 0x0
	.amdhsa_kernel _ZN7rocprim17ROCPRIM_400000_NS6detail17trampoline_kernelINS0_14default_configENS1_29reduce_by_key_config_selectorIyjN6thrust23THRUST_200600_302600_NS4plusIjEEEEZZNS1_33reduce_by_key_impl_wrapped_configILNS1_25lookback_scan_determinismE0ES3_S9_NS6_6detail15normal_iteratorINS6_10device_ptrIyEEEENSD_INSE_IjEEEESG_SI_PmS8_NS6_8equal_toIyEEEE10hipError_tPvRmT2_T3_mT4_T5_T6_T7_T8_P12ihipStream_tbENKUlT_T0_E_clISt17integral_constantIbLb0EES13_EEDaSY_SZ_EUlSY_E_NS1_11comp_targetILNS1_3genE4ELNS1_11target_archE910ELNS1_3gpuE8ELNS1_3repE0EEENS1_30default_config_static_selectorELNS0_4arch9wavefront6targetE1EEEvT1_
		.amdhsa_group_segment_fixed_size 30720
		.amdhsa_private_segment_fixed_size 0
		.amdhsa_kernarg_size 120
		.amdhsa_user_sgpr_count 6
		.amdhsa_user_sgpr_private_segment_buffer 1
		.amdhsa_user_sgpr_dispatch_ptr 0
		.amdhsa_user_sgpr_queue_ptr 0
		.amdhsa_user_sgpr_kernarg_segment_ptr 1
		.amdhsa_user_sgpr_dispatch_id 0
		.amdhsa_user_sgpr_flat_scratch_init 0
		.amdhsa_user_sgpr_kernarg_preload_length 0
		.amdhsa_user_sgpr_kernarg_preload_offset 0
		.amdhsa_user_sgpr_private_segment_size 0
		.amdhsa_uses_dynamic_stack 0
		.amdhsa_system_sgpr_private_segment_wavefront_offset 0
		.amdhsa_system_sgpr_workgroup_id_x 1
		.amdhsa_system_sgpr_workgroup_id_y 0
		.amdhsa_system_sgpr_workgroup_id_z 0
		.amdhsa_system_sgpr_workgroup_info 0
		.amdhsa_system_vgpr_workitem_id 0
		.amdhsa_next_free_vgpr 102
		.amdhsa_next_free_sgpr 64
		.amdhsa_accum_offset 104
		.amdhsa_reserve_vcc 1
		.amdhsa_reserve_flat_scratch 0
		.amdhsa_float_round_mode_32 0
		.amdhsa_float_round_mode_16_64 0
		.amdhsa_float_denorm_mode_32 3
		.amdhsa_float_denorm_mode_16_64 3
		.amdhsa_dx10_clamp 1
		.amdhsa_ieee_mode 1
		.amdhsa_fp16_overflow 0
		.amdhsa_tg_split 0
		.amdhsa_exception_fp_ieee_invalid_op 0
		.amdhsa_exception_fp_denorm_src 0
		.amdhsa_exception_fp_ieee_div_zero 0
		.amdhsa_exception_fp_ieee_overflow 0
		.amdhsa_exception_fp_ieee_underflow 0
		.amdhsa_exception_fp_ieee_inexact 0
		.amdhsa_exception_int_div_zero 0
	.end_amdhsa_kernel
	.section	.text._ZN7rocprim17ROCPRIM_400000_NS6detail17trampoline_kernelINS0_14default_configENS1_29reduce_by_key_config_selectorIyjN6thrust23THRUST_200600_302600_NS4plusIjEEEEZZNS1_33reduce_by_key_impl_wrapped_configILNS1_25lookback_scan_determinismE0ES3_S9_NS6_6detail15normal_iteratorINS6_10device_ptrIyEEEENSD_INSE_IjEEEESG_SI_PmS8_NS6_8equal_toIyEEEE10hipError_tPvRmT2_T3_mT4_T5_T6_T7_T8_P12ihipStream_tbENKUlT_T0_E_clISt17integral_constantIbLb0EES13_EEDaSY_SZ_EUlSY_E_NS1_11comp_targetILNS1_3genE4ELNS1_11target_archE910ELNS1_3gpuE8ELNS1_3repE0EEENS1_30default_config_static_selectorELNS0_4arch9wavefront6targetE1EEEvT1_,"axG",@progbits,_ZN7rocprim17ROCPRIM_400000_NS6detail17trampoline_kernelINS0_14default_configENS1_29reduce_by_key_config_selectorIyjN6thrust23THRUST_200600_302600_NS4plusIjEEEEZZNS1_33reduce_by_key_impl_wrapped_configILNS1_25lookback_scan_determinismE0ES3_S9_NS6_6detail15normal_iteratorINS6_10device_ptrIyEEEENSD_INSE_IjEEEESG_SI_PmS8_NS6_8equal_toIyEEEE10hipError_tPvRmT2_T3_mT4_T5_T6_T7_T8_P12ihipStream_tbENKUlT_T0_E_clISt17integral_constantIbLb0EES13_EEDaSY_SZ_EUlSY_E_NS1_11comp_targetILNS1_3genE4ELNS1_11target_archE910ELNS1_3gpuE8ELNS1_3repE0EEENS1_30default_config_static_selectorELNS0_4arch9wavefront6targetE1EEEvT1_,comdat
.Lfunc_end699:
	.size	_ZN7rocprim17ROCPRIM_400000_NS6detail17trampoline_kernelINS0_14default_configENS1_29reduce_by_key_config_selectorIyjN6thrust23THRUST_200600_302600_NS4plusIjEEEEZZNS1_33reduce_by_key_impl_wrapped_configILNS1_25lookback_scan_determinismE0ES3_S9_NS6_6detail15normal_iteratorINS6_10device_ptrIyEEEENSD_INSE_IjEEEESG_SI_PmS8_NS6_8equal_toIyEEEE10hipError_tPvRmT2_T3_mT4_T5_T6_T7_T8_P12ihipStream_tbENKUlT_T0_E_clISt17integral_constantIbLb0EES13_EEDaSY_SZ_EUlSY_E_NS1_11comp_targetILNS1_3genE4ELNS1_11target_archE910ELNS1_3gpuE8ELNS1_3repE0EEENS1_30default_config_static_selectorELNS0_4arch9wavefront6targetE1EEEvT1_, .Lfunc_end699-_ZN7rocprim17ROCPRIM_400000_NS6detail17trampoline_kernelINS0_14default_configENS1_29reduce_by_key_config_selectorIyjN6thrust23THRUST_200600_302600_NS4plusIjEEEEZZNS1_33reduce_by_key_impl_wrapped_configILNS1_25lookback_scan_determinismE0ES3_S9_NS6_6detail15normal_iteratorINS6_10device_ptrIyEEEENSD_INSE_IjEEEESG_SI_PmS8_NS6_8equal_toIyEEEE10hipError_tPvRmT2_T3_mT4_T5_T6_T7_T8_P12ihipStream_tbENKUlT_T0_E_clISt17integral_constantIbLb0EES13_EEDaSY_SZ_EUlSY_E_NS1_11comp_targetILNS1_3genE4ELNS1_11target_archE910ELNS1_3gpuE8ELNS1_3repE0EEENS1_30default_config_static_selectorELNS0_4arch9wavefront6targetE1EEEvT1_
                                        ; -- End function
	.section	.AMDGPU.csdata,"",@progbits
; Kernel info:
; codeLenInByte = 16540
; NumSgprs: 68
; NumVgprs: 102
; NumAgprs: 0
; TotalNumVgprs: 102
; ScratchSize: 0
; MemoryBound: 0
; FloatMode: 240
; IeeeMode: 1
; LDSByteSize: 30720 bytes/workgroup (compile time only)
; SGPRBlocks: 8
; VGPRBlocks: 12
; NumSGPRsForWavesPerEU: 68
; NumVGPRsForWavesPerEU: 102
; AccumOffset: 104
; Occupancy: 2
; WaveLimiterHint : 1
; COMPUTE_PGM_RSRC2:SCRATCH_EN: 0
; COMPUTE_PGM_RSRC2:USER_SGPR: 6
; COMPUTE_PGM_RSRC2:TRAP_HANDLER: 0
; COMPUTE_PGM_RSRC2:TGID_X_EN: 1
; COMPUTE_PGM_RSRC2:TGID_Y_EN: 0
; COMPUTE_PGM_RSRC2:TGID_Z_EN: 0
; COMPUTE_PGM_RSRC2:TIDIG_COMP_CNT: 0
; COMPUTE_PGM_RSRC3_GFX90A:ACCUM_OFFSET: 25
; COMPUTE_PGM_RSRC3_GFX90A:TG_SPLIT: 0
	.section	.text._ZN7rocprim17ROCPRIM_400000_NS6detail17trampoline_kernelINS0_14default_configENS1_29reduce_by_key_config_selectorIyjN6thrust23THRUST_200600_302600_NS4plusIjEEEEZZNS1_33reduce_by_key_impl_wrapped_configILNS1_25lookback_scan_determinismE0ES3_S9_NS6_6detail15normal_iteratorINS6_10device_ptrIyEEEENSD_INSE_IjEEEESG_SI_PmS8_NS6_8equal_toIyEEEE10hipError_tPvRmT2_T3_mT4_T5_T6_T7_T8_P12ihipStream_tbENKUlT_T0_E_clISt17integral_constantIbLb0EES13_EEDaSY_SZ_EUlSY_E_NS1_11comp_targetILNS1_3genE3ELNS1_11target_archE908ELNS1_3gpuE7ELNS1_3repE0EEENS1_30default_config_static_selectorELNS0_4arch9wavefront6targetE1EEEvT1_,"axG",@progbits,_ZN7rocprim17ROCPRIM_400000_NS6detail17trampoline_kernelINS0_14default_configENS1_29reduce_by_key_config_selectorIyjN6thrust23THRUST_200600_302600_NS4plusIjEEEEZZNS1_33reduce_by_key_impl_wrapped_configILNS1_25lookback_scan_determinismE0ES3_S9_NS6_6detail15normal_iteratorINS6_10device_ptrIyEEEENSD_INSE_IjEEEESG_SI_PmS8_NS6_8equal_toIyEEEE10hipError_tPvRmT2_T3_mT4_T5_T6_T7_T8_P12ihipStream_tbENKUlT_T0_E_clISt17integral_constantIbLb0EES13_EEDaSY_SZ_EUlSY_E_NS1_11comp_targetILNS1_3genE3ELNS1_11target_archE908ELNS1_3gpuE7ELNS1_3repE0EEENS1_30default_config_static_selectorELNS0_4arch9wavefront6targetE1EEEvT1_,comdat
	.protected	_ZN7rocprim17ROCPRIM_400000_NS6detail17trampoline_kernelINS0_14default_configENS1_29reduce_by_key_config_selectorIyjN6thrust23THRUST_200600_302600_NS4plusIjEEEEZZNS1_33reduce_by_key_impl_wrapped_configILNS1_25lookback_scan_determinismE0ES3_S9_NS6_6detail15normal_iteratorINS6_10device_ptrIyEEEENSD_INSE_IjEEEESG_SI_PmS8_NS6_8equal_toIyEEEE10hipError_tPvRmT2_T3_mT4_T5_T6_T7_T8_P12ihipStream_tbENKUlT_T0_E_clISt17integral_constantIbLb0EES13_EEDaSY_SZ_EUlSY_E_NS1_11comp_targetILNS1_3genE3ELNS1_11target_archE908ELNS1_3gpuE7ELNS1_3repE0EEENS1_30default_config_static_selectorELNS0_4arch9wavefront6targetE1EEEvT1_ ; -- Begin function _ZN7rocprim17ROCPRIM_400000_NS6detail17trampoline_kernelINS0_14default_configENS1_29reduce_by_key_config_selectorIyjN6thrust23THRUST_200600_302600_NS4plusIjEEEEZZNS1_33reduce_by_key_impl_wrapped_configILNS1_25lookback_scan_determinismE0ES3_S9_NS6_6detail15normal_iteratorINS6_10device_ptrIyEEEENSD_INSE_IjEEEESG_SI_PmS8_NS6_8equal_toIyEEEE10hipError_tPvRmT2_T3_mT4_T5_T6_T7_T8_P12ihipStream_tbENKUlT_T0_E_clISt17integral_constantIbLb0EES13_EEDaSY_SZ_EUlSY_E_NS1_11comp_targetILNS1_3genE3ELNS1_11target_archE908ELNS1_3gpuE7ELNS1_3repE0EEENS1_30default_config_static_selectorELNS0_4arch9wavefront6targetE1EEEvT1_
	.globl	_ZN7rocprim17ROCPRIM_400000_NS6detail17trampoline_kernelINS0_14default_configENS1_29reduce_by_key_config_selectorIyjN6thrust23THRUST_200600_302600_NS4plusIjEEEEZZNS1_33reduce_by_key_impl_wrapped_configILNS1_25lookback_scan_determinismE0ES3_S9_NS6_6detail15normal_iteratorINS6_10device_ptrIyEEEENSD_INSE_IjEEEESG_SI_PmS8_NS6_8equal_toIyEEEE10hipError_tPvRmT2_T3_mT4_T5_T6_T7_T8_P12ihipStream_tbENKUlT_T0_E_clISt17integral_constantIbLb0EES13_EEDaSY_SZ_EUlSY_E_NS1_11comp_targetILNS1_3genE3ELNS1_11target_archE908ELNS1_3gpuE7ELNS1_3repE0EEENS1_30default_config_static_selectorELNS0_4arch9wavefront6targetE1EEEvT1_
	.p2align	8
	.type	_ZN7rocprim17ROCPRIM_400000_NS6detail17trampoline_kernelINS0_14default_configENS1_29reduce_by_key_config_selectorIyjN6thrust23THRUST_200600_302600_NS4plusIjEEEEZZNS1_33reduce_by_key_impl_wrapped_configILNS1_25lookback_scan_determinismE0ES3_S9_NS6_6detail15normal_iteratorINS6_10device_ptrIyEEEENSD_INSE_IjEEEESG_SI_PmS8_NS6_8equal_toIyEEEE10hipError_tPvRmT2_T3_mT4_T5_T6_T7_T8_P12ihipStream_tbENKUlT_T0_E_clISt17integral_constantIbLb0EES13_EEDaSY_SZ_EUlSY_E_NS1_11comp_targetILNS1_3genE3ELNS1_11target_archE908ELNS1_3gpuE7ELNS1_3repE0EEENS1_30default_config_static_selectorELNS0_4arch9wavefront6targetE1EEEvT1_,@function
_ZN7rocprim17ROCPRIM_400000_NS6detail17trampoline_kernelINS0_14default_configENS1_29reduce_by_key_config_selectorIyjN6thrust23THRUST_200600_302600_NS4plusIjEEEEZZNS1_33reduce_by_key_impl_wrapped_configILNS1_25lookback_scan_determinismE0ES3_S9_NS6_6detail15normal_iteratorINS6_10device_ptrIyEEEENSD_INSE_IjEEEESG_SI_PmS8_NS6_8equal_toIyEEEE10hipError_tPvRmT2_T3_mT4_T5_T6_T7_T8_P12ihipStream_tbENKUlT_T0_E_clISt17integral_constantIbLb0EES13_EEDaSY_SZ_EUlSY_E_NS1_11comp_targetILNS1_3genE3ELNS1_11target_archE908ELNS1_3gpuE7ELNS1_3repE0EEENS1_30default_config_static_selectorELNS0_4arch9wavefront6targetE1EEEvT1_: ; @_ZN7rocprim17ROCPRIM_400000_NS6detail17trampoline_kernelINS0_14default_configENS1_29reduce_by_key_config_selectorIyjN6thrust23THRUST_200600_302600_NS4plusIjEEEEZZNS1_33reduce_by_key_impl_wrapped_configILNS1_25lookback_scan_determinismE0ES3_S9_NS6_6detail15normal_iteratorINS6_10device_ptrIyEEEENSD_INSE_IjEEEESG_SI_PmS8_NS6_8equal_toIyEEEE10hipError_tPvRmT2_T3_mT4_T5_T6_T7_T8_P12ihipStream_tbENKUlT_T0_E_clISt17integral_constantIbLb0EES13_EEDaSY_SZ_EUlSY_E_NS1_11comp_targetILNS1_3genE3ELNS1_11target_archE908ELNS1_3gpuE7ELNS1_3repE0EEENS1_30default_config_static_selectorELNS0_4arch9wavefront6targetE1EEEvT1_
; %bb.0:
	.section	.rodata,"a",@progbits
	.p2align	6, 0x0
	.amdhsa_kernel _ZN7rocprim17ROCPRIM_400000_NS6detail17trampoline_kernelINS0_14default_configENS1_29reduce_by_key_config_selectorIyjN6thrust23THRUST_200600_302600_NS4plusIjEEEEZZNS1_33reduce_by_key_impl_wrapped_configILNS1_25lookback_scan_determinismE0ES3_S9_NS6_6detail15normal_iteratorINS6_10device_ptrIyEEEENSD_INSE_IjEEEESG_SI_PmS8_NS6_8equal_toIyEEEE10hipError_tPvRmT2_T3_mT4_T5_T6_T7_T8_P12ihipStream_tbENKUlT_T0_E_clISt17integral_constantIbLb0EES13_EEDaSY_SZ_EUlSY_E_NS1_11comp_targetILNS1_3genE3ELNS1_11target_archE908ELNS1_3gpuE7ELNS1_3repE0EEENS1_30default_config_static_selectorELNS0_4arch9wavefront6targetE1EEEvT1_
		.amdhsa_group_segment_fixed_size 0
		.amdhsa_private_segment_fixed_size 0
		.amdhsa_kernarg_size 120
		.amdhsa_user_sgpr_count 6
		.amdhsa_user_sgpr_private_segment_buffer 1
		.amdhsa_user_sgpr_dispatch_ptr 0
		.amdhsa_user_sgpr_queue_ptr 0
		.amdhsa_user_sgpr_kernarg_segment_ptr 1
		.amdhsa_user_sgpr_dispatch_id 0
		.amdhsa_user_sgpr_flat_scratch_init 0
		.amdhsa_user_sgpr_kernarg_preload_length 0
		.amdhsa_user_sgpr_kernarg_preload_offset 0
		.amdhsa_user_sgpr_private_segment_size 0
		.amdhsa_uses_dynamic_stack 0
		.amdhsa_system_sgpr_private_segment_wavefront_offset 0
		.amdhsa_system_sgpr_workgroup_id_x 1
		.amdhsa_system_sgpr_workgroup_id_y 0
		.amdhsa_system_sgpr_workgroup_id_z 0
		.amdhsa_system_sgpr_workgroup_info 0
		.amdhsa_system_vgpr_workitem_id 0
		.amdhsa_next_free_vgpr 1
		.amdhsa_next_free_sgpr 0
		.amdhsa_accum_offset 4
		.amdhsa_reserve_vcc 0
		.amdhsa_reserve_flat_scratch 0
		.amdhsa_float_round_mode_32 0
		.amdhsa_float_round_mode_16_64 0
		.amdhsa_float_denorm_mode_32 3
		.amdhsa_float_denorm_mode_16_64 3
		.amdhsa_dx10_clamp 1
		.amdhsa_ieee_mode 1
		.amdhsa_fp16_overflow 0
		.amdhsa_tg_split 0
		.amdhsa_exception_fp_ieee_invalid_op 0
		.amdhsa_exception_fp_denorm_src 0
		.amdhsa_exception_fp_ieee_div_zero 0
		.amdhsa_exception_fp_ieee_overflow 0
		.amdhsa_exception_fp_ieee_underflow 0
		.amdhsa_exception_fp_ieee_inexact 0
		.amdhsa_exception_int_div_zero 0
	.end_amdhsa_kernel
	.section	.text._ZN7rocprim17ROCPRIM_400000_NS6detail17trampoline_kernelINS0_14default_configENS1_29reduce_by_key_config_selectorIyjN6thrust23THRUST_200600_302600_NS4plusIjEEEEZZNS1_33reduce_by_key_impl_wrapped_configILNS1_25lookback_scan_determinismE0ES3_S9_NS6_6detail15normal_iteratorINS6_10device_ptrIyEEEENSD_INSE_IjEEEESG_SI_PmS8_NS6_8equal_toIyEEEE10hipError_tPvRmT2_T3_mT4_T5_T6_T7_T8_P12ihipStream_tbENKUlT_T0_E_clISt17integral_constantIbLb0EES13_EEDaSY_SZ_EUlSY_E_NS1_11comp_targetILNS1_3genE3ELNS1_11target_archE908ELNS1_3gpuE7ELNS1_3repE0EEENS1_30default_config_static_selectorELNS0_4arch9wavefront6targetE1EEEvT1_,"axG",@progbits,_ZN7rocprim17ROCPRIM_400000_NS6detail17trampoline_kernelINS0_14default_configENS1_29reduce_by_key_config_selectorIyjN6thrust23THRUST_200600_302600_NS4plusIjEEEEZZNS1_33reduce_by_key_impl_wrapped_configILNS1_25lookback_scan_determinismE0ES3_S9_NS6_6detail15normal_iteratorINS6_10device_ptrIyEEEENSD_INSE_IjEEEESG_SI_PmS8_NS6_8equal_toIyEEEE10hipError_tPvRmT2_T3_mT4_T5_T6_T7_T8_P12ihipStream_tbENKUlT_T0_E_clISt17integral_constantIbLb0EES13_EEDaSY_SZ_EUlSY_E_NS1_11comp_targetILNS1_3genE3ELNS1_11target_archE908ELNS1_3gpuE7ELNS1_3repE0EEENS1_30default_config_static_selectorELNS0_4arch9wavefront6targetE1EEEvT1_,comdat
.Lfunc_end700:
	.size	_ZN7rocprim17ROCPRIM_400000_NS6detail17trampoline_kernelINS0_14default_configENS1_29reduce_by_key_config_selectorIyjN6thrust23THRUST_200600_302600_NS4plusIjEEEEZZNS1_33reduce_by_key_impl_wrapped_configILNS1_25lookback_scan_determinismE0ES3_S9_NS6_6detail15normal_iteratorINS6_10device_ptrIyEEEENSD_INSE_IjEEEESG_SI_PmS8_NS6_8equal_toIyEEEE10hipError_tPvRmT2_T3_mT4_T5_T6_T7_T8_P12ihipStream_tbENKUlT_T0_E_clISt17integral_constantIbLb0EES13_EEDaSY_SZ_EUlSY_E_NS1_11comp_targetILNS1_3genE3ELNS1_11target_archE908ELNS1_3gpuE7ELNS1_3repE0EEENS1_30default_config_static_selectorELNS0_4arch9wavefront6targetE1EEEvT1_, .Lfunc_end700-_ZN7rocprim17ROCPRIM_400000_NS6detail17trampoline_kernelINS0_14default_configENS1_29reduce_by_key_config_selectorIyjN6thrust23THRUST_200600_302600_NS4plusIjEEEEZZNS1_33reduce_by_key_impl_wrapped_configILNS1_25lookback_scan_determinismE0ES3_S9_NS6_6detail15normal_iteratorINS6_10device_ptrIyEEEENSD_INSE_IjEEEESG_SI_PmS8_NS6_8equal_toIyEEEE10hipError_tPvRmT2_T3_mT4_T5_T6_T7_T8_P12ihipStream_tbENKUlT_T0_E_clISt17integral_constantIbLb0EES13_EEDaSY_SZ_EUlSY_E_NS1_11comp_targetILNS1_3genE3ELNS1_11target_archE908ELNS1_3gpuE7ELNS1_3repE0EEENS1_30default_config_static_selectorELNS0_4arch9wavefront6targetE1EEEvT1_
                                        ; -- End function
	.section	.AMDGPU.csdata,"",@progbits
; Kernel info:
; codeLenInByte = 0
; NumSgprs: 4
; NumVgprs: 0
; NumAgprs: 0
; TotalNumVgprs: 0
; ScratchSize: 0
; MemoryBound: 0
; FloatMode: 240
; IeeeMode: 1
; LDSByteSize: 0 bytes/workgroup (compile time only)
; SGPRBlocks: 0
; VGPRBlocks: 0
; NumSGPRsForWavesPerEU: 4
; NumVGPRsForWavesPerEU: 1
; AccumOffset: 4
; Occupancy: 8
; WaveLimiterHint : 0
; COMPUTE_PGM_RSRC2:SCRATCH_EN: 0
; COMPUTE_PGM_RSRC2:USER_SGPR: 6
; COMPUTE_PGM_RSRC2:TRAP_HANDLER: 0
; COMPUTE_PGM_RSRC2:TGID_X_EN: 1
; COMPUTE_PGM_RSRC2:TGID_Y_EN: 0
; COMPUTE_PGM_RSRC2:TGID_Z_EN: 0
; COMPUTE_PGM_RSRC2:TIDIG_COMP_CNT: 0
; COMPUTE_PGM_RSRC3_GFX90A:ACCUM_OFFSET: 0
; COMPUTE_PGM_RSRC3_GFX90A:TG_SPLIT: 0
	.section	.text._ZN7rocprim17ROCPRIM_400000_NS6detail17trampoline_kernelINS0_14default_configENS1_29reduce_by_key_config_selectorIyjN6thrust23THRUST_200600_302600_NS4plusIjEEEEZZNS1_33reduce_by_key_impl_wrapped_configILNS1_25lookback_scan_determinismE0ES3_S9_NS6_6detail15normal_iteratorINS6_10device_ptrIyEEEENSD_INSE_IjEEEESG_SI_PmS8_NS6_8equal_toIyEEEE10hipError_tPvRmT2_T3_mT4_T5_T6_T7_T8_P12ihipStream_tbENKUlT_T0_E_clISt17integral_constantIbLb0EES13_EEDaSY_SZ_EUlSY_E_NS1_11comp_targetILNS1_3genE2ELNS1_11target_archE906ELNS1_3gpuE6ELNS1_3repE0EEENS1_30default_config_static_selectorELNS0_4arch9wavefront6targetE1EEEvT1_,"axG",@progbits,_ZN7rocprim17ROCPRIM_400000_NS6detail17trampoline_kernelINS0_14default_configENS1_29reduce_by_key_config_selectorIyjN6thrust23THRUST_200600_302600_NS4plusIjEEEEZZNS1_33reduce_by_key_impl_wrapped_configILNS1_25lookback_scan_determinismE0ES3_S9_NS6_6detail15normal_iteratorINS6_10device_ptrIyEEEENSD_INSE_IjEEEESG_SI_PmS8_NS6_8equal_toIyEEEE10hipError_tPvRmT2_T3_mT4_T5_T6_T7_T8_P12ihipStream_tbENKUlT_T0_E_clISt17integral_constantIbLb0EES13_EEDaSY_SZ_EUlSY_E_NS1_11comp_targetILNS1_3genE2ELNS1_11target_archE906ELNS1_3gpuE6ELNS1_3repE0EEENS1_30default_config_static_selectorELNS0_4arch9wavefront6targetE1EEEvT1_,comdat
	.protected	_ZN7rocprim17ROCPRIM_400000_NS6detail17trampoline_kernelINS0_14default_configENS1_29reduce_by_key_config_selectorIyjN6thrust23THRUST_200600_302600_NS4plusIjEEEEZZNS1_33reduce_by_key_impl_wrapped_configILNS1_25lookback_scan_determinismE0ES3_S9_NS6_6detail15normal_iteratorINS6_10device_ptrIyEEEENSD_INSE_IjEEEESG_SI_PmS8_NS6_8equal_toIyEEEE10hipError_tPvRmT2_T3_mT4_T5_T6_T7_T8_P12ihipStream_tbENKUlT_T0_E_clISt17integral_constantIbLb0EES13_EEDaSY_SZ_EUlSY_E_NS1_11comp_targetILNS1_3genE2ELNS1_11target_archE906ELNS1_3gpuE6ELNS1_3repE0EEENS1_30default_config_static_selectorELNS0_4arch9wavefront6targetE1EEEvT1_ ; -- Begin function _ZN7rocprim17ROCPRIM_400000_NS6detail17trampoline_kernelINS0_14default_configENS1_29reduce_by_key_config_selectorIyjN6thrust23THRUST_200600_302600_NS4plusIjEEEEZZNS1_33reduce_by_key_impl_wrapped_configILNS1_25lookback_scan_determinismE0ES3_S9_NS6_6detail15normal_iteratorINS6_10device_ptrIyEEEENSD_INSE_IjEEEESG_SI_PmS8_NS6_8equal_toIyEEEE10hipError_tPvRmT2_T3_mT4_T5_T6_T7_T8_P12ihipStream_tbENKUlT_T0_E_clISt17integral_constantIbLb0EES13_EEDaSY_SZ_EUlSY_E_NS1_11comp_targetILNS1_3genE2ELNS1_11target_archE906ELNS1_3gpuE6ELNS1_3repE0EEENS1_30default_config_static_selectorELNS0_4arch9wavefront6targetE1EEEvT1_
	.globl	_ZN7rocprim17ROCPRIM_400000_NS6detail17trampoline_kernelINS0_14default_configENS1_29reduce_by_key_config_selectorIyjN6thrust23THRUST_200600_302600_NS4plusIjEEEEZZNS1_33reduce_by_key_impl_wrapped_configILNS1_25lookback_scan_determinismE0ES3_S9_NS6_6detail15normal_iteratorINS6_10device_ptrIyEEEENSD_INSE_IjEEEESG_SI_PmS8_NS6_8equal_toIyEEEE10hipError_tPvRmT2_T3_mT4_T5_T6_T7_T8_P12ihipStream_tbENKUlT_T0_E_clISt17integral_constantIbLb0EES13_EEDaSY_SZ_EUlSY_E_NS1_11comp_targetILNS1_3genE2ELNS1_11target_archE906ELNS1_3gpuE6ELNS1_3repE0EEENS1_30default_config_static_selectorELNS0_4arch9wavefront6targetE1EEEvT1_
	.p2align	8
	.type	_ZN7rocprim17ROCPRIM_400000_NS6detail17trampoline_kernelINS0_14default_configENS1_29reduce_by_key_config_selectorIyjN6thrust23THRUST_200600_302600_NS4plusIjEEEEZZNS1_33reduce_by_key_impl_wrapped_configILNS1_25lookback_scan_determinismE0ES3_S9_NS6_6detail15normal_iteratorINS6_10device_ptrIyEEEENSD_INSE_IjEEEESG_SI_PmS8_NS6_8equal_toIyEEEE10hipError_tPvRmT2_T3_mT4_T5_T6_T7_T8_P12ihipStream_tbENKUlT_T0_E_clISt17integral_constantIbLb0EES13_EEDaSY_SZ_EUlSY_E_NS1_11comp_targetILNS1_3genE2ELNS1_11target_archE906ELNS1_3gpuE6ELNS1_3repE0EEENS1_30default_config_static_selectorELNS0_4arch9wavefront6targetE1EEEvT1_,@function
_ZN7rocprim17ROCPRIM_400000_NS6detail17trampoline_kernelINS0_14default_configENS1_29reduce_by_key_config_selectorIyjN6thrust23THRUST_200600_302600_NS4plusIjEEEEZZNS1_33reduce_by_key_impl_wrapped_configILNS1_25lookback_scan_determinismE0ES3_S9_NS6_6detail15normal_iteratorINS6_10device_ptrIyEEEENSD_INSE_IjEEEESG_SI_PmS8_NS6_8equal_toIyEEEE10hipError_tPvRmT2_T3_mT4_T5_T6_T7_T8_P12ihipStream_tbENKUlT_T0_E_clISt17integral_constantIbLb0EES13_EEDaSY_SZ_EUlSY_E_NS1_11comp_targetILNS1_3genE2ELNS1_11target_archE906ELNS1_3gpuE6ELNS1_3repE0EEENS1_30default_config_static_selectorELNS0_4arch9wavefront6targetE1EEEvT1_: ; @_ZN7rocprim17ROCPRIM_400000_NS6detail17trampoline_kernelINS0_14default_configENS1_29reduce_by_key_config_selectorIyjN6thrust23THRUST_200600_302600_NS4plusIjEEEEZZNS1_33reduce_by_key_impl_wrapped_configILNS1_25lookback_scan_determinismE0ES3_S9_NS6_6detail15normal_iteratorINS6_10device_ptrIyEEEENSD_INSE_IjEEEESG_SI_PmS8_NS6_8equal_toIyEEEE10hipError_tPvRmT2_T3_mT4_T5_T6_T7_T8_P12ihipStream_tbENKUlT_T0_E_clISt17integral_constantIbLb0EES13_EEDaSY_SZ_EUlSY_E_NS1_11comp_targetILNS1_3genE2ELNS1_11target_archE906ELNS1_3gpuE6ELNS1_3repE0EEENS1_30default_config_static_selectorELNS0_4arch9wavefront6targetE1EEEvT1_
; %bb.0:
	.section	.rodata,"a",@progbits
	.p2align	6, 0x0
	.amdhsa_kernel _ZN7rocprim17ROCPRIM_400000_NS6detail17trampoline_kernelINS0_14default_configENS1_29reduce_by_key_config_selectorIyjN6thrust23THRUST_200600_302600_NS4plusIjEEEEZZNS1_33reduce_by_key_impl_wrapped_configILNS1_25lookback_scan_determinismE0ES3_S9_NS6_6detail15normal_iteratorINS6_10device_ptrIyEEEENSD_INSE_IjEEEESG_SI_PmS8_NS6_8equal_toIyEEEE10hipError_tPvRmT2_T3_mT4_T5_T6_T7_T8_P12ihipStream_tbENKUlT_T0_E_clISt17integral_constantIbLb0EES13_EEDaSY_SZ_EUlSY_E_NS1_11comp_targetILNS1_3genE2ELNS1_11target_archE906ELNS1_3gpuE6ELNS1_3repE0EEENS1_30default_config_static_selectorELNS0_4arch9wavefront6targetE1EEEvT1_
		.amdhsa_group_segment_fixed_size 0
		.amdhsa_private_segment_fixed_size 0
		.amdhsa_kernarg_size 120
		.amdhsa_user_sgpr_count 6
		.amdhsa_user_sgpr_private_segment_buffer 1
		.amdhsa_user_sgpr_dispatch_ptr 0
		.amdhsa_user_sgpr_queue_ptr 0
		.amdhsa_user_sgpr_kernarg_segment_ptr 1
		.amdhsa_user_sgpr_dispatch_id 0
		.amdhsa_user_sgpr_flat_scratch_init 0
		.amdhsa_user_sgpr_kernarg_preload_length 0
		.amdhsa_user_sgpr_kernarg_preload_offset 0
		.amdhsa_user_sgpr_private_segment_size 0
		.amdhsa_uses_dynamic_stack 0
		.amdhsa_system_sgpr_private_segment_wavefront_offset 0
		.amdhsa_system_sgpr_workgroup_id_x 1
		.amdhsa_system_sgpr_workgroup_id_y 0
		.amdhsa_system_sgpr_workgroup_id_z 0
		.amdhsa_system_sgpr_workgroup_info 0
		.amdhsa_system_vgpr_workitem_id 0
		.amdhsa_next_free_vgpr 1
		.amdhsa_next_free_sgpr 0
		.amdhsa_accum_offset 4
		.amdhsa_reserve_vcc 0
		.amdhsa_reserve_flat_scratch 0
		.amdhsa_float_round_mode_32 0
		.amdhsa_float_round_mode_16_64 0
		.amdhsa_float_denorm_mode_32 3
		.amdhsa_float_denorm_mode_16_64 3
		.amdhsa_dx10_clamp 1
		.amdhsa_ieee_mode 1
		.amdhsa_fp16_overflow 0
		.amdhsa_tg_split 0
		.amdhsa_exception_fp_ieee_invalid_op 0
		.amdhsa_exception_fp_denorm_src 0
		.amdhsa_exception_fp_ieee_div_zero 0
		.amdhsa_exception_fp_ieee_overflow 0
		.amdhsa_exception_fp_ieee_underflow 0
		.amdhsa_exception_fp_ieee_inexact 0
		.amdhsa_exception_int_div_zero 0
	.end_amdhsa_kernel
	.section	.text._ZN7rocprim17ROCPRIM_400000_NS6detail17trampoline_kernelINS0_14default_configENS1_29reduce_by_key_config_selectorIyjN6thrust23THRUST_200600_302600_NS4plusIjEEEEZZNS1_33reduce_by_key_impl_wrapped_configILNS1_25lookback_scan_determinismE0ES3_S9_NS6_6detail15normal_iteratorINS6_10device_ptrIyEEEENSD_INSE_IjEEEESG_SI_PmS8_NS6_8equal_toIyEEEE10hipError_tPvRmT2_T3_mT4_T5_T6_T7_T8_P12ihipStream_tbENKUlT_T0_E_clISt17integral_constantIbLb0EES13_EEDaSY_SZ_EUlSY_E_NS1_11comp_targetILNS1_3genE2ELNS1_11target_archE906ELNS1_3gpuE6ELNS1_3repE0EEENS1_30default_config_static_selectorELNS0_4arch9wavefront6targetE1EEEvT1_,"axG",@progbits,_ZN7rocprim17ROCPRIM_400000_NS6detail17trampoline_kernelINS0_14default_configENS1_29reduce_by_key_config_selectorIyjN6thrust23THRUST_200600_302600_NS4plusIjEEEEZZNS1_33reduce_by_key_impl_wrapped_configILNS1_25lookback_scan_determinismE0ES3_S9_NS6_6detail15normal_iteratorINS6_10device_ptrIyEEEENSD_INSE_IjEEEESG_SI_PmS8_NS6_8equal_toIyEEEE10hipError_tPvRmT2_T3_mT4_T5_T6_T7_T8_P12ihipStream_tbENKUlT_T0_E_clISt17integral_constantIbLb0EES13_EEDaSY_SZ_EUlSY_E_NS1_11comp_targetILNS1_3genE2ELNS1_11target_archE906ELNS1_3gpuE6ELNS1_3repE0EEENS1_30default_config_static_selectorELNS0_4arch9wavefront6targetE1EEEvT1_,comdat
.Lfunc_end701:
	.size	_ZN7rocprim17ROCPRIM_400000_NS6detail17trampoline_kernelINS0_14default_configENS1_29reduce_by_key_config_selectorIyjN6thrust23THRUST_200600_302600_NS4plusIjEEEEZZNS1_33reduce_by_key_impl_wrapped_configILNS1_25lookback_scan_determinismE0ES3_S9_NS6_6detail15normal_iteratorINS6_10device_ptrIyEEEENSD_INSE_IjEEEESG_SI_PmS8_NS6_8equal_toIyEEEE10hipError_tPvRmT2_T3_mT4_T5_T6_T7_T8_P12ihipStream_tbENKUlT_T0_E_clISt17integral_constantIbLb0EES13_EEDaSY_SZ_EUlSY_E_NS1_11comp_targetILNS1_3genE2ELNS1_11target_archE906ELNS1_3gpuE6ELNS1_3repE0EEENS1_30default_config_static_selectorELNS0_4arch9wavefront6targetE1EEEvT1_, .Lfunc_end701-_ZN7rocprim17ROCPRIM_400000_NS6detail17trampoline_kernelINS0_14default_configENS1_29reduce_by_key_config_selectorIyjN6thrust23THRUST_200600_302600_NS4plusIjEEEEZZNS1_33reduce_by_key_impl_wrapped_configILNS1_25lookback_scan_determinismE0ES3_S9_NS6_6detail15normal_iteratorINS6_10device_ptrIyEEEENSD_INSE_IjEEEESG_SI_PmS8_NS6_8equal_toIyEEEE10hipError_tPvRmT2_T3_mT4_T5_T6_T7_T8_P12ihipStream_tbENKUlT_T0_E_clISt17integral_constantIbLb0EES13_EEDaSY_SZ_EUlSY_E_NS1_11comp_targetILNS1_3genE2ELNS1_11target_archE906ELNS1_3gpuE6ELNS1_3repE0EEENS1_30default_config_static_selectorELNS0_4arch9wavefront6targetE1EEEvT1_
                                        ; -- End function
	.section	.AMDGPU.csdata,"",@progbits
; Kernel info:
; codeLenInByte = 0
; NumSgprs: 4
; NumVgprs: 0
; NumAgprs: 0
; TotalNumVgprs: 0
; ScratchSize: 0
; MemoryBound: 0
; FloatMode: 240
; IeeeMode: 1
; LDSByteSize: 0 bytes/workgroup (compile time only)
; SGPRBlocks: 0
; VGPRBlocks: 0
; NumSGPRsForWavesPerEU: 4
; NumVGPRsForWavesPerEU: 1
; AccumOffset: 4
; Occupancy: 8
; WaveLimiterHint : 0
; COMPUTE_PGM_RSRC2:SCRATCH_EN: 0
; COMPUTE_PGM_RSRC2:USER_SGPR: 6
; COMPUTE_PGM_RSRC2:TRAP_HANDLER: 0
; COMPUTE_PGM_RSRC2:TGID_X_EN: 1
; COMPUTE_PGM_RSRC2:TGID_Y_EN: 0
; COMPUTE_PGM_RSRC2:TGID_Z_EN: 0
; COMPUTE_PGM_RSRC2:TIDIG_COMP_CNT: 0
; COMPUTE_PGM_RSRC3_GFX90A:ACCUM_OFFSET: 0
; COMPUTE_PGM_RSRC3_GFX90A:TG_SPLIT: 0
	.section	.text._ZN7rocprim17ROCPRIM_400000_NS6detail17trampoline_kernelINS0_14default_configENS1_29reduce_by_key_config_selectorIyjN6thrust23THRUST_200600_302600_NS4plusIjEEEEZZNS1_33reduce_by_key_impl_wrapped_configILNS1_25lookback_scan_determinismE0ES3_S9_NS6_6detail15normal_iteratorINS6_10device_ptrIyEEEENSD_INSE_IjEEEESG_SI_PmS8_NS6_8equal_toIyEEEE10hipError_tPvRmT2_T3_mT4_T5_T6_T7_T8_P12ihipStream_tbENKUlT_T0_E_clISt17integral_constantIbLb0EES13_EEDaSY_SZ_EUlSY_E_NS1_11comp_targetILNS1_3genE10ELNS1_11target_archE1201ELNS1_3gpuE5ELNS1_3repE0EEENS1_30default_config_static_selectorELNS0_4arch9wavefront6targetE1EEEvT1_,"axG",@progbits,_ZN7rocprim17ROCPRIM_400000_NS6detail17trampoline_kernelINS0_14default_configENS1_29reduce_by_key_config_selectorIyjN6thrust23THRUST_200600_302600_NS4plusIjEEEEZZNS1_33reduce_by_key_impl_wrapped_configILNS1_25lookback_scan_determinismE0ES3_S9_NS6_6detail15normal_iteratorINS6_10device_ptrIyEEEENSD_INSE_IjEEEESG_SI_PmS8_NS6_8equal_toIyEEEE10hipError_tPvRmT2_T3_mT4_T5_T6_T7_T8_P12ihipStream_tbENKUlT_T0_E_clISt17integral_constantIbLb0EES13_EEDaSY_SZ_EUlSY_E_NS1_11comp_targetILNS1_3genE10ELNS1_11target_archE1201ELNS1_3gpuE5ELNS1_3repE0EEENS1_30default_config_static_selectorELNS0_4arch9wavefront6targetE1EEEvT1_,comdat
	.protected	_ZN7rocprim17ROCPRIM_400000_NS6detail17trampoline_kernelINS0_14default_configENS1_29reduce_by_key_config_selectorIyjN6thrust23THRUST_200600_302600_NS4plusIjEEEEZZNS1_33reduce_by_key_impl_wrapped_configILNS1_25lookback_scan_determinismE0ES3_S9_NS6_6detail15normal_iteratorINS6_10device_ptrIyEEEENSD_INSE_IjEEEESG_SI_PmS8_NS6_8equal_toIyEEEE10hipError_tPvRmT2_T3_mT4_T5_T6_T7_T8_P12ihipStream_tbENKUlT_T0_E_clISt17integral_constantIbLb0EES13_EEDaSY_SZ_EUlSY_E_NS1_11comp_targetILNS1_3genE10ELNS1_11target_archE1201ELNS1_3gpuE5ELNS1_3repE0EEENS1_30default_config_static_selectorELNS0_4arch9wavefront6targetE1EEEvT1_ ; -- Begin function _ZN7rocprim17ROCPRIM_400000_NS6detail17trampoline_kernelINS0_14default_configENS1_29reduce_by_key_config_selectorIyjN6thrust23THRUST_200600_302600_NS4plusIjEEEEZZNS1_33reduce_by_key_impl_wrapped_configILNS1_25lookback_scan_determinismE0ES3_S9_NS6_6detail15normal_iteratorINS6_10device_ptrIyEEEENSD_INSE_IjEEEESG_SI_PmS8_NS6_8equal_toIyEEEE10hipError_tPvRmT2_T3_mT4_T5_T6_T7_T8_P12ihipStream_tbENKUlT_T0_E_clISt17integral_constantIbLb0EES13_EEDaSY_SZ_EUlSY_E_NS1_11comp_targetILNS1_3genE10ELNS1_11target_archE1201ELNS1_3gpuE5ELNS1_3repE0EEENS1_30default_config_static_selectorELNS0_4arch9wavefront6targetE1EEEvT1_
	.globl	_ZN7rocprim17ROCPRIM_400000_NS6detail17trampoline_kernelINS0_14default_configENS1_29reduce_by_key_config_selectorIyjN6thrust23THRUST_200600_302600_NS4plusIjEEEEZZNS1_33reduce_by_key_impl_wrapped_configILNS1_25lookback_scan_determinismE0ES3_S9_NS6_6detail15normal_iteratorINS6_10device_ptrIyEEEENSD_INSE_IjEEEESG_SI_PmS8_NS6_8equal_toIyEEEE10hipError_tPvRmT2_T3_mT4_T5_T6_T7_T8_P12ihipStream_tbENKUlT_T0_E_clISt17integral_constantIbLb0EES13_EEDaSY_SZ_EUlSY_E_NS1_11comp_targetILNS1_3genE10ELNS1_11target_archE1201ELNS1_3gpuE5ELNS1_3repE0EEENS1_30default_config_static_selectorELNS0_4arch9wavefront6targetE1EEEvT1_
	.p2align	8
	.type	_ZN7rocprim17ROCPRIM_400000_NS6detail17trampoline_kernelINS0_14default_configENS1_29reduce_by_key_config_selectorIyjN6thrust23THRUST_200600_302600_NS4plusIjEEEEZZNS1_33reduce_by_key_impl_wrapped_configILNS1_25lookback_scan_determinismE0ES3_S9_NS6_6detail15normal_iteratorINS6_10device_ptrIyEEEENSD_INSE_IjEEEESG_SI_PmS8_NS6_8equal_toIyEEEE10hipError_tPvRmT2_T3_mT4_T5_T6_T7_T8_P12ihipStream_tbENKUlT_T0_E_clISt17integral_constantIbLb0EES13_EEDaSY_SZ_EUlSY_E_NS1_11comp_targetILNS1_3genE10ELNS1_11target_archE1201ELNS1_3gpuE5ELNS1_3repE0EEENS1_30default_config_static_selectorELNS0_4arch9wavefront6targetE1EEEvT1_,@function
_ZN7rocprim17ROCPRIM_400000_NS6detail17trampoline_kernelINS0_14default_configENS1_29reduce_by_key_config_selectorIyjN6thrust23THRUST_200600_302600_NS4plusIjEEEEZZNS1_33reduce_by_key_impl_wrapped_configILNS1_25lookback_scan_determinismE0ES3_S9_NS6_6detail15normal_iteratorINS6_10device_ptrIyEEEENSD_INSE_IjEEEESG_SI_PmS8_NS6_8equal_toIyEEEE10hipError_tPvRmT2_T3_mT4_T5_T6_T7_T8_P12ihipStream_tbENKUlT_T0_E_clISt17integral_constantIbLb0EES13_EEDaSY_SZ_EUlSY_E_NS1_11comp_targetILNS1_3genE10ELNS1_11target_archE1201ELNS1_3gpuE5ELNS1_3repE0EEENS1_30default_config_static_selectorELNS0_4arch9wavefront6targetE1EEEvT1_: ; @_ZN7rocprim17ROCPRIM_400000_NS6detail17trampoline_kernelINS0_14default_configENS1_29reduce_by_key_config_selectorIyjN6thrust23THRUST_200600_302600_NS4plusIjEEEEZZNS1_33reduce_by_key_impl_wrapped_configILNS1_25lookback_scan_determinismE0ES3_S9_NS6_6detail15normal_iteratorINS6_10device_ptrIyEEEENSD_INSE_IjEEEESG_SI_PmS8_NS6_8equal_toIyEEEE10hipError_tPvRmT2_T3_mT4_T5_T6_T7_T8_P12ihipStream_tbENKUlT_T0_E_clISt17integral_constantIbLb0EES13_EEDaSY_SZ_EUlSY_E_NS1_11comp_targetILNS1_3genE10ELNS1_11target_archE1201ELNS1_3gpuE5ELNS1_3repE0EEENS1_30default_config_static_selectorELNS0_4arch9wavefront6targetE1EEEvT1_
; %bb.0:
	.section	.rodata,"a",@progbits
	.p2align	6, 0x0
	.amdhsa_kernel _ZN7rocprim17ROCPRIM_400000_NS6detail17trampoline_kernelINS0_14default_configENS1_29reduce_by_key_config_selectorIyjN6thrust23THRUST_200600_302600_NS4plusIjEEEEZZNS1_33reduce_by_key_impl_wrapped_configILNS1_25lookback_scan_determinismE0ES3_S9_NS6_6detail15normal_iteratorINS6_10device_ptrIyEEEENSD_INSE_IjEEEESG_SI_PmS8_NS6_8equal_toIyEEEE10hipError_tPvRmT2_T3_mT4_T5_T6_T7_T8_P12ihipStream_tbENKUlT_T0_E_clISt17integral_constantIbLb0EES13_EEDaSY_SZ_EUlSY_E_NS1_11comp_targetILNS1_3genE10ELNS1_11target_archE1201ELNS1_3gpuE5ELNS1_3repE0EEENS1_30default_config_static_selectorELNS0_4arch9wavefront6targetE1EEEvT1_
		.amdhsa_group_segment_fixed_size 0
		.amdhsa_private_segment_fixed_size 0
		.amdhsa_kernarg_size 120
		.amdhsa_user_sgpr_count 6
		.amdhsa_user_sgpr_private_segment_buffer 1
		.amdhsa_user_sgpr_dispatch_ptr 0
		.amdhsa_user_sgpr_queue_ptr 0
		.amdhsa_user_sgpr_kernarg_segment_ptr 1
		.amdhsa_user_sgpr_dispatch_id 0
		.amdhsa_user_sgpr_flat_scratch_init 0
		.amdhsa_user_sgpr_kernarg_preload_length 0
		.amdhsa_user_sgpr_kernarg_preload_offset 0
		.amdhsa_user_sgpr_private_segment_size 0
		.amdhsa_uses_dynamic_stack 0
		.amdhsa_system_sgpr_private_segment_wavefront_offset 0
		.amdhsa_system_sgpr_workgroup_id_x 1
		.amdhsa_system_sgpr_workgroup_id_y 0
		.amdhsa_system_sgpr_workgroup_id_z 0
		.amdhsa_system_sgpr_workgroup_info 0
		.amdhsa_system_vgpr_workitem_id 0
		.amdhsa_next_free_vgpr 1
		.amdhsa_next_free_sgpr 0
		.amdhsa_accum_offset 4
		.amdhsa_reserve_vcc 0
		.amdhsa_reserve_flat_scratch 0
		.amdhsa_float_round_mode_32 0
		.amdhsa_float_round_mode_16_64 0
		.amdhsa_float_denorm_mode_32 3
		.amdhsa_float_denorm_mode_16_64 3
		.amdhsa_dx10_clamp 1
		.amdhsa_ieee_mode 1
		.amdhsa_fp16_overflow 0
		.amdhsa_tg_split 0
		.amdhsa_exception_fp_ieee_invalid_op 0
		.amdhsa_exception_fp_denorm_src 0
		.amdhsa_exception_fp_ieee_div_zero 0
		.amdhsa_exception_fp_ieee_overflow 0
		.amdhsa_exception_fp_ieee_underflow 0
		.amdhsa_exception_fp_ieee_inexact 0
		.amdhsa_exception_int_div_zero 0
	.end_amdhsa_kernel
	.section	.text._ZN7rocprim17ROCPRIM_400000_NS6detail17trampoline_kernelINS0_14default_configENS1_29reduce_by_key_config_selectorIyjN6thrust23THRUST_200600_302600_NS4plusIjEEEEZZNS1_33reduce_by_key_impl_wrapped_configILNS1_25lookback_scan_determinismE0ES3_S9_NS6_6detail15normal_iteratorINS6_10device_ptrIyEEEENSD_INSE_IjEEEESG_SI_PmS8_NS6_8equal_toIyEEEE10hipError_tPvRmT2_T3_mT4_T5_T6_T7_T8_P12ihipStream_tbENKUlT_T0_E_clISt17integral_constantIbLb0EES13_EEDaSY_SZ_EUlSY_E_NS1_11comp_targetILNS1_3genE10ELNS1_11target_archE1201ELNS1_3gpuE5ELNS1_3repE0EEENS1_30default_config_static_selectorELNS0_4arch9wavefront6targetE1EEEvT1_,"axG",@progbits,_ZN7rocprim17ROCPRIM_400000_NS6detail17trampoline_kernelINS0_14default_configENS1_29reduce_by_key_config_selectorIyjN6thrust23THRUST_200600_302600_NS4plusIjEEEEZZNS1_33reduce_by_key_impl_wrapped_configILNS1_25lookback_scan_determinismE0ES3_S9_NS6_6detail15normal_iteratorINS6_10device_ptrIyEEEENSD_INSE_IjEEEESG_SI_PmS8_NS6_8equal_toIyEEEE10hipError_tPvRmT2_T3_mT4_T5_T6_T7_T8_P12ihipStream_tbENKUlT_T0_E_clISt17integral_constantIbLb0EES13_EEDaSY_SZ_EUlSY_E_NS1_11comp_targetILNS1_3genE10ELNS1_11target_archE1201ELNS1_3gpuE5ELNS1_3repE0EEENS1_30default_config_static_selectorELNS0_4arch9wavefront6targetE1EEEvT1_,comdat
.Lfunc_end702:
	.size	_ZN7rocprim17ROCPRIM_400000_NS6detail17trampoline_kernelINS0_14default_configENS1_29reduce_by_key_config_selectorIyjN6thrust23THRUST_200600_302600_NS4plusIjEEEEZZNS1_33reduce_by_key_impl_wrapped_configILNS1_25lookback_scan_determinismE0ES3_S9_NS6_6detail15normal_iteratorINS6_10device_ptrIyEEEENSD_INSE_IjEEEESG_SI_PmS8_NS6_8equal_toIyEEEE10hipError_tPvRmT2_T3_mT4_T5_T6_T7_T8_P12ihipStream_tbENKUlT_T0_E_clISt17integral_constantIbLb0EES13_EEDaSY_SZ_EUlSY_E_NS1_11comp_targetILNS1_3genE10ELNS1_11target_archE1201ELNS1_3gpuE5ELNS1_3repE0EEENS1_30default_config_static_selectorELNS0_4arch9wavefront6targetE1EEEvT1_, .Lfunc_end702-_ZN7rocprim17ROCPRIM_400000_NS6detail17trampoline_kernelINS0_14default_configENS1_29reduce_by_key_config_selectorIyjN6thrust23THRUST_200600_302600_NS4plusIjEEEEZZNS1_33reduce_by_key_impl_wrapped_configILNS1_25lookback_scan_determinismE0ES3_S9_NS6_6detail15normal_iteratorINS6_10device_ptrIyEEEENSD_INSE_IjEEEESG_SI_PmS8_NS6_8equal_toIyEEEE10hipError_tPvRmT2_T3_mT4_T5_T6_T7_T8_P12ihipStream_tbENKUlT_T0_E_clISt17integral_constantIbLb0EES13_EEDaSY_SZ_EUlSY_E_NS1_11comp_targetILNS1_3genE10ELNS1_11target_archE1201ELNS1_3gpuE5ELNS1_3repE0EEENS1_30default_config_static_selectorELNS0_4arch9wavefront6targetE1EEEvT1_
                                        ; -- End function
	.section	.AMDGPU.csdata,"",@progbits
; Kernel info:
; codeLenInByte = 0
; NumSgprs: 4
; NumVgprs: 0
; NumAgprs: 0
; TotalNumVgprs: 0
; ScratchSize: 0
; MemoryBound: 0
; FloatMode: 240
; IeeeMode: 1
; LDSByteSize: 0 bytes/workgroup (compile time only)
; SGPRBlocks: 0
; VGPRBlocks: 0
; NumSGPRsForWavesPerEU: 4
; NumVGPRsForWavesPerEU: 1
; AccumOffset: 4
; Occupancy: 8
; WaveLimiterHint : 0
; COMPUTE_PGM_RSRC2:SCRATCH_EN: 0
; COMPUTE_PGM_RSRC2:USER_SGPR: 6
; COMPUTE_PGM_RSRC2:TRAP_HANDLER: 0
; COMPUTE_PGM_RSRC2:TGID_X_EN: 1
; COMPUTE_PGM_RSRC2:TGID_Y_EN: 0
; COMPUTE_PGM_RSRC2:TGID_Z_EN: 0
; COMPUTE_PGM_RSRC2:TIDIG_COMP_CNT: 0
; COMPUTE_PGM_RSRC3_GFX90A:ACCUM_OFFSET: 0
; COMPUTE_PGM_RSRC3_GFX90A:TG_SPLIT: 0
	.section	.text._ZN7rocprim17ROCPRIM_400000_NS6detail17trampoline_kernelINS0_14default_configENS1_29reduce_by_key_config_selectorIyjN6thrust23THRUST_200600_302600_NS4plusIjEEEEZZNS1_33reduce_by_key_impl_wrapped_configILNS1_25lookback_scan_determinismE0ES3_S9_NS6_6detail15normal_iteratorINS6_10device_ptrIyEEEENSD_INSE_IjEEEESG_SI_PmS8_NS6_8equal_toIyEEEE10hipError_tPvRmT2_T3_mT4_T5_T6_T7_T8_P12ihipStream_tbENKUlT_T0_E_clISt17integral_constantIbLb0EES13_EEDaSY_SZ_EUlSY_E_NS1_11comp_targetILNS1_3genE10ELNS1_11target_archE1200ELNS1_3gpuE4ELNS1_3repE0EEENS1_30default_config_static_selectorELNS0_4arch9wavefront6targetE1EEEvT1_,"axG",@progbits,_ZN7rocprim17ROCPRIM_400000_NS6detail17trampoline_kernelINS0_14default_configENS1_29reduce_by_key_config_selectorIyjN6thrust23THRUST_200600_302600_NS4plusIjEEEEZZNS1_33reduce_by_key_impl_wrapped_configILNS1_25lookback_scan_determinismE0ES3_S9_NS6_6detail15normal_iteratorINS6_10device_ptrIyEEEENSD_INSE_IjEEEESG_SI_PmS8_NS6_8equal_toIyEEEE10hipError_tPvRmT2_T3_mT4_T5_T6_T7_T8_P12ihipStream_tbENKUlT_T0_E_clISt17integral_constantIbLb0EES13_EEDaSY_SZ_EUlSY_E_NS1_11comp_targetILNS1_3genE10ELNS1_11target_archE1200ELNS1_3gpuE4ELNS1_3repE0EEENS1_30default_config_static_selectorELNS0_4arch9wavefront6targetE1EEEvT1_,comdat
	.protected	_ZN7rocprim17ROCPRIM_400000_NS6detail17trampoline_kernelINS0_14default_configENS1_29reduce_by_key_config_selectorIyjN6thrust23THRUST_200600_302600_NS4plusIjEEEEZZNS1_33reduce_by_key_impl_wrapped_configILNS1_25lookback_scan_determinismE0ES3_S9_NS6_6detail15normal_iteratorINS6_10device_ptrIyEEEENSD_INSE_IjEEEESG_SI_PmS8_NS6_8equal_toIyEEEE10hipError_tPvRmT2_T3_mT4_T5_T6_T7_T8_P12ihipStream_tbENKUlT_T0_E_clISt17integral_constantIbLb0EES13_EEDaSY_SZ_EUlSY_E_NS1_11comp_targetILNS1_3genE10ELNS1_11target_archE1200ELNS1_3gpuE4ELNS1_3repE0EEENS1_30default_config_static_selectorELNS0_4arch9wavefront6targetE1EEEvT1_ ; -- Begin function _ZN7rocprim17ROCPRIM_400000_NS6detail17trampoline_kernelINS0_14default_configENS1_29reduce_by_key_config_selectorIyjN6thrust23THRUST_200600_302600_NS4plusIjEEEEZZNS1_33reduce_by_key_impl_wrapped_configILNS1_25lookback_scan_determinismE0ES3_S9_NS6_6detail15normal_iteratorINS6_10device_ptrIyEEEENSD_INSE_IjEEEESG_SI_PmS8_NS6_8equal_toIyEEEE10hipError_tPvRmT2_T3_mT4_T5_T6_T7_T8_P12ihipStream_tbENKUlT_T0_E_clISt17integral_constantIbLb0EES13_EEDaSY_SZ_EUlSY_E_NS1_11comp_targetILNS1_3genE10ELNS1_11target_archE1200ELNS1_3gpuE4ELNS1_3repE0EEENS1_30default_config_static_selectorELNS0_4arch9wavefront6targetE1EEEvT1_
	.globl	_ZN7rocprim17ROCPRIM_400000_NS6detail17trampoline_kernelINS0_14default_configENS1_29reduce_by_key_config_selectorIyjN6thrust23THRUST_200600_302600_NS4plusIjEEEEZZNS1_33reduce_by_key_impl_wrapped_configILNS1_25lookback_scan_determinismE0ES3_S9_NS6_6detail15normal_iteratorINS6_10device_ptrIyEEEENSD_INSE_IjEEEESG_SI_PmS8_NS6_8equal_toIyEEEE10hipError_tPvRmT2_T3_mT4_T5_T6_T7_T8_P12ihipStream_tbENKUlT_T0_E_clISt17integral_constantIbLb0EES13_EEDaSY_SZ_EUlSY_E_NS1_11comp_targetILNS1_3genE10ELNS1_11target_archE1200ELNS1_3gpuE4ELNS1_3repE0EEENS1_30default_config_static_selectorELNS0_4arch9wavefront6targetE1EEEvT1_
	.p2align	8
	.type	_ZN7rocprim17ROCPRIM_400000_NS6detail17trampoline_kernelINS0_14default_configENS1_29reduce_by_key_config_selectorIyjN6thrust23THRUST_200600_302600_NS4plusIjEEEEZZNS1_33reduce_by_key_impl_wrapped_configILNS1_25lookback_scan_determinismE0ES3_S9_NS6_6detail15normal_iteratorINS6_10device_ptrIyEEEENSD_INSE_IjEEEESG_SI_PmS8_NS6_8equal_toIyEEEE10hipError_tPvRmT2_T3_mT4_T5_T6_T7_T8_P12ihipStream_tbENKUlT_T0_E_clISt17integral_constantIbLb0EES13_EEDaSY_SZ_EUlSY_E_NS1_11comp_targetILNS1_3genE10ELNS1_11target_archE1200ELNS1_3gpuE4ELNS1_3repE0EEENS1_30default_config_static_selectorELNS0_4arch9wavefront6targetE1EEEvT1_,@function
_ZN7rocprim17ROCPRIM_400000_NS6detail17trampoline_kernelINS0_14default_configENS1_29reduce_by_key_config_selectorIyjN6thrust23THRUST_200600_302600_NS4plusIjEEEEZZNS1_33reduce_by_key_impl_wrapped_configILNS1_25lookback_scan_determinismE0ES3_S9_NS6_6detail15normal_iteratorINS6_10device_ptrIyEEEENSD_INSE_IjEEEESG_SI_PmS8_NS6_8equal_toIyEEEE10hipError_tPvRmT2_T3_mT4_T5_T6_T7_T8_P12ihipStream_tbENKUlT_T0_E_clISt17integral_constantIbLb0EES13_EEDaSY_SZ_EUlSY_E_NS1_11comp_targetILNS1_3genE10ELNS1_11target_archE1200ELNS1_3gpuE4ELNS1_3repE0EEENS1_30default_config_static_selectorELNS0_4arch9wavefront6targetE1EEEvT1_: ; @_ZN7rocprim17ROCPRIM_400000_NS6detail17trampoline_kernelINS0_14default_configENS1_29reduce_by_key_config_selectorIyjN6thrust23THRUST_200600_302600_NS4plusIjEEEEZZNS1_33reduce_by_key_impl_wrapped_configILNS1_25lookback_scan_determinismE0ES3_S9_NS6_6detail15normal_iteratorINS6_10device_ptrIyEEEENSD_INSE_IjEEEESG_SI_PmS8_NS6_8equal_toIyEEEE10hipError_tPvRmT2_T3_mT4_T5_T6_T7_T8_P12ihipStream_tbENKUlT_T0_E_clISt17integral_constantIbLb0EES13_EEDaSY_SZ_EUlSY_E_NS1_11comp_targetILNS1_3genE10ELNS1_11target_archE1200ELNS1_3gpuE4ELNS1_3repE0EEENS1_30default_config_static_selectorELNS0_4arch9wavefront6targetE1EEEvT1_
; %bb.0:
	.section	.rodata,"a",@progbits
	.p2align	6, 0x0
	.amdhsa_kernel _ZN7rocprim17ROCPRIM_400000_NS6detail17trampoline_kernelINS0_14default_configENS1_29reduce_by_key_config_selectorIyjN6thrust23THRUST_200600_302600_NS4plusIjEEEEZZNS1_33reduce_by_key_impl_wrapped_configILNS1_25lookback_scan_determinismE0ES3_S9_NS6_6detail15normal_iteratorINS6_10device_ptrIyEEEENSD_INSE_IjEEEESG_SI_PmS8_NS6_8equal_toIyEEEE10hipError_tPvRmT2_T3_mT4_T5_T6_T7_T8_P12ihipStream_tbENKUlT_T0_E_clISt17integral_constantIbLb0EES13_EEDaSY_SZ_EUlSY_E_NS1_11comp_targetILNS1_3genE10ELNS1_11target_archE1200ELNS1_3gpuE4ELNS1_3repE0EEENS1_30default_config_static_selectorELNS0_4arch9wavefront6targetE1EEEvT1_
		.amdhsa_group_segment_fixed_size 0
		.amdhsa_private_segment_fixed_size 0
		.amdhsa_kernarg_size 120
		.amdhsa_user_sgpr_count 6
		.amdhsa_user_sgpr_private_segment_buffer 1
		.amdhsa_user_sgpr_dispatch_ptr 0
		.amdhsa_user_sgpr_queue_ptr 0
		.amdhsa_user_sgpr_kernarg_segment_ptr 1
		.amdhsa_user_sgpr_dispatch_id 0
		.amdhsa_user_sgpr_flat_scratch_init 0
		.amdhsa_user_sgpr_kernarg_preload_length 0
		.amdhsa_user_sgpr_kernarg_preload_offset 0
		.amdhsa_user_sgpr_private_segment_size 0
		.amdhsa_uses_dynamic_stack 0
		.amdhsa_system_sgpr_private_segment_wavefront_offset 0
		.amdhsa_system_sgpr_workgroup_id_x 1
		.amdhsa_system_sgpr_workgroup_id_y 0
		.amdhsa_system_sgpr_workgroup_id_z 0
		.amdhsa_system_sgpr_workgroup_info 0
		.amdhsa_system_vgpr_workitem_id 0
		.amdhsa_next_free_vgpr 1
		.amdhsa_next_free_sgpr 0
		.amdhsa_accum_offset 4
		.amdhsa_reserve_vcc 0
		.amdhsa_reserve_flat_scratch 0
		.amdhsa_float_round_mode_32 0
		.amdhsa_float_round_mode_16_64 0
		.amdhsa_float_denorm_mode_32 3
		.amdhsa_float_denorm_mode_16_64 3
		.amdhsa_dx10_clamp 1
		.amdhsa_ieee_mode 1
		.amdhsa_fp16_overflow 0
		.amdhsa_tg_split 0
		.amdhsa_exception_fp_ieee_invalid_op 0
		.amdhsa_exception_fp_denorm_src 0
		.amdhsa_exception_fp_ieee_div_zero 0
		.amdhsa_exception_fp_ieee_overflow 0
		.amdhsa_exception_fp_ieee_underflow 0
		.amdhsa_exception_fp_ieee_inexact 0
		.amdhsa_exception_int_div_zero 0
	.end_amdhsa_kernel
	.section	.text._ZN7rocprim17ROCPRIM_400000_NS6detail17trampoline_kernelINS0_14default_configENS1_29reduce_by_key_config_selectorIyjN6thrust23THRUST_200600_302600_NS4plusIjEEEEZZNS1_33reduce_by_key_impl_wrapped_configILNS1_25lookback_scan_determinismE0ES3_S9_NS6_6detail15normal_iteratorINS6_10device_ptrIyEEEENSD_INSE_IjEEEESG_SI_PmS8_NS6_8equal_toIyEEEE10hipError_tPvRmT2_T3_mT4_T5_T6_T7_T8_P12ihipStream_tbENKUlT_T0_E_clISt17integral_constantIbLb0EES13_EEDaSY_SZ_EUlSY_E_NS1_11comp_targetILNS1_3genE10ELNS1_11target_archE1200ELNS1_3gpuE4ELNS1_3repE0EEENS1_30default_config_static_selectorELNS0_4arch9wavefront6targetE1EEEvT1_,"axG",@progbits,_ZN7rocprim17ROCPRIM_400000_NS6detail17trampoline_kernelINS0_14default_configENS1_29reduce_by_key_config_selectorIyjN6thrust23THRUST_200600_302600_NS4plusIjEEEEZZNS1_33reduce_by_key_impl_wrapped_configILNS1_25lookback_scan_determinismE0ES3_S9_NS6_6detail15normal_iteratorINS6_10device_ptrIyEEEENSD_INSE_IjEEEESG_SI_PmS8_NS6_8equal_toIyEEEE10hipError_tPvRmT2_T3_mT4_T5_T6_T7_T8_P12ihipStream_tbENKUlT_T0_E_clISt17integral_constantIbLb0EES13_EEDaSY_SZ_EUlSY_E_NS1_11comp_targetILNS1_3genE10ELNS1_11target_archE1200ELNS1_3gpuE4ELNS1_3repE0EEENS1_30default_config_static_selectorELNS0_4arch9wavefront6targetE1EEEvT1_,comdat
.Lfunc_end703:
	.size	_ZN7rocprim17ROCPRIM_400000_NS6detail17trampoline_kernelINS0_14default_configENS1_29reduce_by_key_config_selectorIyjN6thrust23THRUST_200600_302600_NS4plusIjEEEEZZNS1_33reduce_by_key_impl_wrapped_configILNS1_25lookback_scan_determinismE0ES3_S9_NS6_6detail15normal_iteratorINS6_10device_ptrIyEEEENSD_INSE_IjEEEESG_SI_PmS8_NS6_8equal_toIyEEEE10hipError_tPvRmT2_T3_mT4_T5_T6_T7_T8_P12ihipStream_tbENKUlT_T0_E_clISt17integral_constantIbLb0EES13_EEDaSY_SZ_EUlSY_E_NS1_11comp_targetILNS1_3genE10ELNS1_11target_archE1200ELNS1_3gpuE4ELNS1_3repE0EEENS1_30default_config_static_selectorELNS0_4arch9wavefront6targetE1EEEvT1_, .Lfunc_end703-_ZN7rocprim17ROCPRIM_400000_NS6detail17trampoline_kernelINS0_14default_configENS1_29reduce_by_key_config_selectorIyjN6thrust23THRUST_200600_302600_NS4plusIjEEEEZZNS1_33reduce_by_key_impl_wrapped_configILNS1_25lookback_scan_determinismE0ES3_S9_NS6_6detail15normal_iteratorINS6_10device_ptrIyEEEENSD_INSE_IjEEEESG_SI_PmS8_NS6_8equal_toIyEEEE10hipError_tPvRmT2_T3_mT4_T5_T6_T7_T8_P12ihipStream_tbENKUlT_T0_E_clISt17integral_constantIbLb0EES13_EEDaSY_SZ_EUlSY_E_NS1_11comp_targetILNS1_3genE10ELNS1_11target_archE1200ELNS1_3gpuE4ELNS1_3repE0EEENS1_30default_config_static_selectorELNS0_4arch9wavefront6targetE1EEEvT1_
                                        ; -- End function
	.section	.AMDGPU.csdata,"",@progbits
; Kernel info:
; codeLenInByte = 0
; NumSgprs: 4
; NumVgprs: 0
; NumAgprs: 0
; TotalNumVgprs: 0
; ScratchSize: 0
; MemoryBound: 0
; FloatMode: 240
; IeeeMode: 1
; LDSByteSize: 0 bytes/workgroup (compile time only)
; SGPRBlocks: 0
; VGPRBlocks: 0
; NumSGPRsForWavesPerEU: 4
; NumVGPRsForWavesPerEU: 1
; AccumOffset: 4
; Occupancy: 8
; WaveLimiterHint : 0
; COMPUTE_PGM_RSRC2:SCRATCH_EN: 0
; COMPUTE_PGM_RSRC2:USER_SGPR: 6
; COMPUTE_PGM_RSRC2:TRAP_HANDLER: 0
; COMPUTE_PGM_RSRC2:TGID_X_EN: 1
; COMPUTE_PGM_RSRC2:TGID_Y_EN: 0
; COMPUTE_PGM_RSRC2:TGID_Z_EN: 0
; COMPUTE_PGM_RSRC2:TIDIG_COMP_CNT: 0
; COMPUTE_PGM_RSRC3_GFX90A:ACCUM_OFFSET: 0
; COMPUTE_PGM_RSRC3_GFX90A:TG_SPLIT: 0
	.section	.text._ZN7rocprim17ROCPRIM_400000_NS6detail17trampoline_kernelINS0_14default_configENS1_29reduce_by_key_config_selectorIyjN6thrust23THRUST_200600_302600_NS4plusIjEEEEZZNS1_33reduce_by_key_impl_wrapped_configILNS1_25lookback_scan_determinismE0ES3_S9_NS6_6detail15normal_iteratorINS6_10device_ptrIyEEEENSD_INSE_IjEEEESG_SI_PmS8_NS6_8equal_toIyEEEE10hipError_tPvRmT2_T3_mT4_T5_T6_T7_T8_P12ihipStream_tbENKUlT_T0_E_clISt17integral_constantIbLb0EES13_EEDaSY_SZ_EUlSY_E_NS1_11comp_targetILNS1_3genE9ELNS1_11target_archE1100ELNS1_3gpuE3ELNS1_3repE0EEENS1_30default_config_static_selectorELNS0_4arch9wavefront6targetE1EEEvT1_,"axG",@progbits,_ZN7rocprim17ROCPRIM_400000_NS6detail17trampoline_kernelINS0_14default_configENS1_29reduce_by_key_config_selectorIyjN6thrust23THRUST_200600_302600_NS4plusIjEEEEZZNS1_33reduce_by_key_impl_wrapped_configILNS1_25lookback_scan_determinismE0ES3_S9_NS6_6detail15normal_iteratorINS6_10device_ptrIyEEEENSD_INSE_IjEEEESG_SI_PmS8_NS6_8equal_toIyEEEE10hipError_tPvRmT2_T3_mT4_T5_T6_T7_T8_P12ihipStream_tbENKUlT_T0_E_clISt17integral_constantIbLb0EES13_EEDaSY_SZ_EUlSY_E_NS1_11comp_targetILNS1_3genE9ELNS1_11target_archE1100ELNS1_3gpuE3ELNS1_3repE0EEENS1_30default_config_static_selectorELNS0_4arch9wavefront6targetE1EEEvT1_,comdat
	.protected	_ZN7rocprim17ROCPRIM_400000_NS6detail17trampoline_kernelINS0_14default_configENS1_29reduce_by_key_config_selectorIyjN6thrust23THRUST_200600_302600_NS4plusIjEEEEZZNS1_33reduce_by_key_impl_wrapped_configILNS1_25lookback_scan_determinismE0ES3_S9_NS6_6detail15normal_iteratorINS6_10device_ptrIyEEEENSD_INSE_IjEEEESG_SI_PmS8_NS6_8equal_toIyEEEE10hipError_tPvRmT2_T3_mT4_T5_T6_T7_T8_P12ihipStream_tbENKUlT_T0_E_clISt17integral_constantIbLb0EES13_EEDaSY_SZ_EUlSY_E_NS1_11comp_targetILNS1_3genE9ELNS1_11target_archE1100ELNS1_3gpuE3ELNS1_3repE0EEENS1_30default_config_static_selectorELNS0_4arch9wavefront6targetE1EEEvT1_ ; -- Begin function _ZN7rocprim17ROCPRIM_400000_NS6detail17trampoline_kernelINS0_14default_configENS1_29reduce_by_key_config_selectorIyjN6thrust23THRUST_200600_302600_NS4plusIjEEEEZZNS1_33reduce_by_key_impl_wrapped_configILNS1_25lookback_scan_determinismE0ES3_S9_NS6_6detail15normal_iteratorINS6_10device_ptrIyEEEENSD_INSE_IjEEEESG_SI_PmS8_NS6_8equal_toIyEEEE10hipError_tPvRmT2_T3_mT4_T5_T6_T7_T8_P12ihipStream_tbENKUlT_T0_E_clISt17integral_constantIbLb0EES13_EEDaSY_SZ_EUlSY_E_NS1_11comp_targetILNS1_3genE9ELNS1_11target_archE1100ELNS1_3gpuE3ELNS1_3repE0EEENS1_30default_config_static_selectorELNS0_4arch9wavefront6targetE1EEEvT1_
	.globl	_ZN7rocprim17ROCPRIM_400000_NS6detail17trampoline_kernelINS0_14default_configENS1_29reduce_by_key_config_selectorIyjN6thrust23THRUST_200600_302600_NS4plusIjEEEEZZNS1_33reduce_by_key_impl_wrapped_configILNS1_25lookback_scan_determinismE0ES3_S9_NS6_6detail15normal_iteratorINS6_10device_ptrIyEEEENSD_INSE_IjEEEESG_SI_PmS8_NS6_8equal_toIyEEEE10hipError_tPvRmT2_T3_mT4_T5_T6_T7_T8_P12ihipStream_tbENKUlT_T0_E_clISt17integral_constantIbLb0EES13_EEDaSY_SZ_EUlSY_E_NS1_11comp_targetILNS1_3genE9ELNS1_11target_archE1100ELNS1_3gpuE3ELNS1_3repE0EEENS1_30default_config_static_selectorELNS0_4arch9wavefront6targetE1EEEvT1_
	.p2align	8
	.type	_ZN7rocprim17ROCPRIM_400000_NS6detail17trampoline_kernelINS0_14default_configENS1_29reduce_by_key_config_selectorIyjN6thrust23THRUST_200600_302600_NS4plusIjEEEEZZNS1_33reduce_by_key_impl_wrapped_configILNS1_25lookback_scan_determinismE0ES3_S9_NS6_6detail15normal_iteratorINS6_10device_ptrIyEEEENSD_INSE_IjEEEESG_SI_PmS8_NS6_8equal_toIyEEEE10hipError_tPvRmT2_T3_mT4_T5_T6_T7_T8_P12ihipStream_tbENKUlT_T0_E_clISt17integral_constantIbLb0EES13_EEDaSY_SZ_EUlSY_E_NS1_11comp_targetILNS1_3genE9ELNS1_11target_archE1100ELNS1_3gpuE3ELNS1_3repE0EEENS1_30default_config_static_selectorELNS0_4arch9wavefront6targetE1EEEvT1_,@function
_ZN7rocprim17ROCPRIM_400000_NS6detail17trampoline_kernelINS0_14default_configENS1_29reduce_by_key_config_selectorIyjN6thrust23THRUST_200600_302600_NS4plusIjEEEEZZNS1_33reduce_by_key_impl_wrapped_configILNS1_25lookback_scan_determinismE0ES3_S9_NS6_6detail15normal_iteratorINS6_10device_ptrIyEEEENSD_INSE_IjEEEESG_SI_PmS8_NS6_8equal_toIyEEEE10hipError_tPvRmT2_T3_mT4_T5_T6_T7_T8_P12ihipStream_tbENKUlT_T0_E_clISt17integral_constantIbLb0EES13_EEDaSY_SZ_EUlSY_E_NS1_11comp_targetILNS1_3genE9ELNS1_11target_archE1100ELNS1_3gpuE3ELNS1_3repE0EEENS1_30default_config_static_selectorELNS0_4arch9wavefront6targetE1EEEvT1_: ; @_ZN7rocprim17ROCPRIM_400000_NS6detail17trampoline_kernelINS0_14default_configENS1_29reduce_by_key_config_selectorIyjN6thrust23THRUST_200600_302600_NS4plusIjEEEEZZNS1_33reduce_by_key_impl_wrapped_configILNS1_25lookback_scan_determinismE0ES3_S9_NS6_6detail15normal_iteratorINS6_10device_ptrIyEEEENSD_INSE_IjEEEESG_SI_PmS8_NS6_8equal_toIyEEEE10hipError_tPvRmT2_T3_mT4_T5_T6_T7_T8_P12ihipStream_tbENKUlT_T0_E_clISt17integral_constantIbLb0EES13_EEDaSY_SZ_EUlSY_E_NS1_11comp_targetILNS1_3genE9ELNS1_11target_archE1100ELNS1_3gpuE3ELNS1_3repE0EEENS1_30default_config_static_selectorELNS0_4arch9wavefront6targetE1EEEvT1_
; %bb.0:
	.section	.rodata,"a",@progbits
	.p2align	6, 0x0
	.amdhsa_kernel _ZN7rocprim17ROCPRIM_400000_NS6detail17trampoline_kernelINS0_14default_configENS1_29reduce_by_key_config_selectorIyjN6thrust23THRUST_200600_302600_NS4plusIjEEEEZZNS1_33reduce_by_key_impl_wrapped_configILNS1_25lookback_scan_determinismE0ES3_S9_NS6_6detail15normal_iteratorINS6_10device_ptrIyEEEENSD_INSE_IjEEEESG_SI_PmS8_NS6_8equal_toIyEEEE10hipError_tPvRmT2_T3_mT4_T5_T6_T7_T8_P12ihipStream_tbENKUlT_T0_E_clISt17integral_constantIbLb0EES13_EEDaSY_SZ_EUlSY_E_NS1_11comp_targetILNS1_3genE9ELNS1_11target_archE1100ELNS1_3gpuE3ELNS1_3repE0EEENS1_30default_config_static_selectorELNS0_4arch9wavefront6targetE1EEEvT1_
		.amdhsa_group_segment_fixed_size 0
		.amdhsa_private_segment_fixed_size 0
		.amdhsa_kernarg_size 120
		.amdhsa_user_sgpr_count 6
		.amdhsa_user_sgpr_private_segment_buffer 1
		.amdhsa_user_sgpr_dispatch_ptr 0
		.amdhsa_user_sgpr_queue_ptr 0
		.amdhsa_user_sgpr_kernarg_segment_ptr 1
		.amdhsa_user_sgpr_dispatch_id 0
		.amdhsa_user_sgpr_flat_scratch_init 0
		.amdhsa_user_sgpr_kernarg_preload_length 0
		.amdhsa_user_sgpr_kernarg_preload_offset 0
		.amdhsa_user_sgpr_private_segment_size 0
		.amdhsa_uses_dynamic_stack 0
		.amdhsa_system_sgpr_private_segment_wavefront_offset 0
		.amdhsa_system_sgpr_workgroup_id_x 1
		.amdhsa_system_sgpr_workgroup_id_y 0
		.amdhsa_system_sgpr_workgroup_id_z 0
		.amdhsa_system_sgpr_workgroup_info 0
		.amdhsa_system_vgpr_workitem_id 0
		.amdhsa_next_free_vgpr 1
		.amdhsa_next_free_sgpr 0
		.amdhsa_accum_offset 4
		.amdhsa_reserve_vcc 0
		.amdhsa_reserve_flat_scratch 0
		.amdhsa_float_round_mode_32 0
		.amdhsa_float_round_mode_16_64 0
		.amdhsa_float_denorm_mode_32 3
		.amdhsa_float_denorm_mode_16_64 3
		.amdhsa_dx10_clamp 1
		.amdhsa_ieee_mode 1
		.amdhsa_fp16_overflow 0
		.amdhsa_tg_split 0
		.amdhsa_exception_fp_ieee_invalid_op 0
		.amdhsa_exception_fp_denorm_src 0
		.amdhsa_exception_fp_ieee_div_zero 0
		.amdhsa_exception_fp_ieee_overflow 0
		.amdhsa_exception_fp_ieee_underflow 0
		.amdhsa_exception_fp_ieee_inexact 0
		.amdhsa_exception_int_div_zero 0
	.end_amdhsa_kernel
	.section	.text._ZN7rocprim17ROCPRIM_400000_NS6detail17trampoline_kernelINS0_14default_configENS1_29reduce_by_key_config_selectorIyjN6thrust23THRUST_200600_302600_NS4plusIjEEEEZZNS1_33reduce_by_key_impl_wrapped_configILNS1_25lookback_scan_determinismE0ES3_S9_NS6_6detail15normal_iteratorINS6_10device_ptrIyEEEENSD_INSE_IjEEEESG_SI_PmS8_NS6_8equal_toIyEEEE10hipError_tPvRmT2_T3_mT4_T5_T6_T7_T8_P12ihipStream_tbENKUlT_T0_E_clISt17integral_constantIbLb0EES13_EEDaSY_SZ_EUlSY_E_NS1_11comp_targetILNS1_3genE9ELNS1_11target_archE1100ELNS1_3gpuE3ELNS1_3repE0EEENS1_30default_config_static_selectorELNS0_4arch9wavefront6targetE1EEEvT1_,"axG",@progbits,_ZN7rocprim17ROCPRIM_400000_NS6detail17trampoline_kernelINS0_14default_configENS1_29reduce_by_key_config_selectorIyjN6thrust23THRUST_200600_302600_NS4plusIjEEEEZZNS1_33reduce_by_key_impl_wrapped_configILNS1_25lookback_scan_determinismE0ES3_S9_NS6_6detail15normal_iteratorINS6_10device_ptrIyEEEENSD_INSE_IjEEEESG_SI_PmS8_NS6_8equal_toIyEEEE10hipError_tPvRmT2_T3_mT4_T5_T6_T7_T8_P12ihipStream_tbENKUlT_T0_E_clISt17integral_constantIbLb0EES13_EEDaSY_SZ_EUlSY_E_NS1_11comp_targetILNS1_3genE9ELNS1_11target_archE1100ELNS1_3gpuE3ELNS1_3repE0EEENS1_30default_config_static_selectorELNS0_4arch9wavefront6targetE1EEEvT1_,comdat
.Lfunc_end704:
	.size	_ZN7rocprim17ROCPRIM_400000_NS6detail17trampoline_kernelINS0_14default_configENS1_29reduce_by_key_config_selectorIyjN6thrust23THRUST_200600_302600_NS4plusIjEEEEZZNS1_33reduce_by_key_impl_wrapped_configILNS1_25lookback_scan_determinismE0ES3_S9_NS6_6detail15normal_iteratorINS6_10device_ptrIyEEEENSD_INSE_IjEEEESG_SI_PmS8_NS6_8equal_toIyEEEE10hipError_tPvRmT2_T3_mT4_T5_T6_T7_T8_P12ihipStream_tbENKUlT_T0_E_clISt17integral_constantIbLb0EES13_EEDaSY_SZ_EUlSY_E_NS1_11comp_targetILNS1_3genE9ELNS1_11target_archE1100ELNS1_3gpuE3ELNS1_3repE0EEENS1_30default_config_static_selectorELNS0_4arch9wavefront6targetE1EEEvT1_, .Lfunc_end704-_ZN7rocprim17ROCPRIM_400000_NS6detail17trampoline_kernelINS0_14default_configENS1_29reduce_by_key_config_selectorIyjN6thrust23THRUST_200600_302600_NS4plusIjEEEEZZNS1_33reduce_by_key_impl_wrapped_configILNS1_25lookback_scan_determinismE0ES3_S9_NS6_6detail15normal_iteratorINS6_10device_ptrIyEEEENSD_INSE_IjEEEESG_SI_PmS8_NS6_8equal_toIyEEEE10hipError_tPvRmT2_T3_mT4_T5_T6_T7_T8_P12ihipStream_tbENKUlT_T0_E_clISt17integral_constantIbLb0EES13_EEDaSY_SZ_EUlSY_E_NS1_11comp_targetILNS1_3genE9ELNS1_11target_archE1100ELNS1_3gpuE3ELNS1_3repE0EEENS1_30default_config_static_selectorELNS0_4arch9wavefront6targetE1EEEvT1_
                                        ; -- End function
	.section	.AMDGPU.csdata,"",@progbits
; Kernel info:
; codeLenInByte = 0
; NumSgprs: 4
; NumVgprs: 0
; NumAgprs: 0
; TotalNumVgprs: 0
; ScratchSize: 0
; MemoryBound: 0
; FloatMode: 240
; IeeeMode: 1
; LDSByteSize: 0 bytes/workgroup (compile time only)
; SGPRBlocks: 0
; VGPRBlocks: 0
; NumSGPRsForWavesPerEU: 4
; NumVGPRsForWavesPerEU: 1
; AccumOffset: 4
; Occupancy: 8
; WaveLimiterHint : 0
; COMPUTE_PGM_RSRC2:SCRATCH_EN: 0
; COMPUTE_PGM_RSRC2:USER_SGPR: 6
; COMPUTE_PGM_RSRC2:TRAP_HANDLER: 0
; COMPUTE_PGM_RSRC2:TGID_X_EN: 1
; COMPUTE_PGM_RSRC2:TGID_Y_EN: 0
; COMPUTE_PGM_RSRC2:TGID_Z_EN: 0
; COMPUTE_PGM_RSRC2:TIDIG_COMP_CNT: 0
; COMPUTE_PGM_RSRC3_GFX90A:ACCUM_OFFSET: 0
; COMPUTE_PGM_RSRC3_GFX90A:TG_SPLIT: 0
	.section	.text._ZN7rocprim17ROCPRIM_400000_NS6detail17trampoline_kernelINS0_14default_configENS1_29reduce_by_key_config_selectorIyjN6thrust23THRUST_200600_302600_NS4plusIjEEEEZZNS1_33reduce_by_key_impl_wrapped_configILNS1_25lookback_scan_determinismE0ES3_S9_NS6_6detail15normal_iteratorINS6_10device_ptrIyEEEENSD_INSE_IjEEEESG_SI_PmS8_NS6_8equal_toIyEEEE10hipError_tPvRmT2_T3_mT4_T5_T6_T7_T8_P12ihipStream_tbENKUlT_T0_E_clISt17integral_constantIbLb0EES13_EEDaSY_SZ_EUlSY_E_NS1_11comp_targetILNS1_3genE8ELNS1_11target_archE1030ELNS1_3gpuE2ELNS1_3repE0EEENS1_30default_config_static_selectorELNS0_4arch9wavefront6targetE1EEEvT1_,"axG",@progbits,_ZN7rocprim17ROCPRIM_400000_NS6detail17trampoline_kernelINS0_14default_configENS1_29reduce_by_key_config_selectorIyjN6thrust23THRUST_200600_302600_NS4plusIjEEEEZZNS1_33reduce_by_key_impl_wrapped_configILNS1_25lookback_scan_determinismE0ES3_S9_NS6_6detail15normal_iteratorINS6_10device_ptrIyEEEENSD_INSE_IjEEEESG_SI_PmS8_NS6_8equal_toIyEEEE10hipError_tPvRmT2_T3_mT4_T5_T6_T7_T8_P12ihipStream_tbENKUlT_T0_E_clISt17integral_constantIbLb0EES13_EEDaSY_SZ_EUlSY_E_NS1_11comp_targetILNS1_3genE8ELNS1_11target_archE1030ELNS1_3gpuE2ELNS1_3repE0EEENS1_30default_config_static_selectorELNS0_4arch9wavefront6targetE1EEEvT1_,comdat
	.protected	_ZN7rocprim17ROCPRIM_400000_NS6detail17trampoline_kernelINS0_14default_configENS1_29reduce_by_key_config_selectorIyjN6thrust23THRUST_200600_302600_NS4plusIjEEEEZZNS1_33reduce_by_key_impl_wrapped_configILNS1_25lookback_scan_determinismE0ES3_S9_NS6_6detail15normal_iteratorINS6_10device_ptrIyEEEENSD_INSE_IjEEEESG_SI_PmS8_NS6_8equal_toIyEEEE10hipError_tPvRmT2_T3_mT4_T5_T6_T7_T8_P12ihipStream_tbENKUlT_T0_E_clISt17integral_constantIbLb0EES13_EEDaSY_SZ_EUlSY_E_NS1_11comp_targetILNS1_3genE8ELNS1_11target_archE1030ELNS1_3gpuE2ELNS1_3repE0EEENS1_30default_config_static_selectorELNS0_4arch9wavefront6targetE1EEEvT1_ ; -- Begin function _ZN7rocprim17ROCPRIM_400000_NS6detail17trampoline_kernelINS0_14default_configENS1_29reduce_by_key_config_selectorIyjN6thrust23THRUST_200600_302600_NS4plusIjEEEEZZNS1_33reduce_by_key_impl_wrapped_configILNS1_25lookback_scan_determinismE0ES3_S9_NS6_6detail15normal_iteratorINS6_10device_ptrIyEEEENSD_INSE_IjEEEESG_SI_PmS8_NS6_8equal_toIyEEEE10hipError_tPvRmT2_T3_mT4_T5_T6_T7_T8_P12ihipStream_tbENKUlT_T0_E_clISt17integral_constantIbLb0EES13_EEDaSY_SZ_EUlSY_E_NS1_11comp_targetILNS1_3genE8ELNS1_11target_archE1030ELNS1_3gpuE2ELNS1_3repE0EEENS1_30default_config_static_selectorELNS0_4arch9wavefront6targetE1EEEvT1_
	.globl	_ZN7rocprim17ROCPRIM_400000_NS6detail17trampoline_kernelINS0_14default_configENS1_29reduce_by_key_config_selectorIyjN6thrust23THRUST_200600_302600_NS4plusIjEEEEZZNS1_33reduce_by_key_impl_wrapped_configILNS1_25lookback_scan_determinismE0ES3_S9_NS6_6detail15normal_iteratorINS6_10device_ptrIyEEEENSD_INSE_IjEEEESG_SI_PmS8_NS6_8equal_toIyEEEE10hipError_tPvRmT2_T3_mT4_T5_T6_T7_T8_P12ihipStream_tbENKUlT_T0_E_clISt17integral_constantIbLb0EES13_EEDaSY_SZ_EUlSY_E_NS1_11comp_targetILNS1_3genE8ELNS1_11target_archE1030ELNS1_3gpuE2ELNS1_3repE0EEENS1_30default_config_static_selectorELNS0_4arch9wavefront6targetE1EEEvT1_
	.p2align	8
	.type	_ZN7rocprim17ROCPRIM_400000_NS6detail17trampoline_kernelINS0_14default_configENS1_29reduce_by_key_config_selectorIyjN6thrust23THRUST_200600_302600_NS4plusIjEEEEZZNS1_33reduce_by_key_impl_wrapped_configILNS1_25lookback_scan_determinismE0ES3_S9_NS6_6detail15normal_iteratorINS6_10device_ptrIyEEEENSD_INSE_IjEEEESG_SI_PmS8_NS6_8equal_toIyEEEE10hipError_tPvRmT2_T3_mT4_T5_T6_T7_T8_P12ihipStream_tbENKUlT_T0_E_clISt17integral_constantIbLb0EES13_EEDaSY_SZ_EUlSY_E_NS1_11comp_targetILNS1_3genE8ELNS1_11target_archE1030ELNS1_3gpuE2ELNS1_3repE0EEENS1_30default_config_static_selectorELNS0_4arch9wavefront6targetE1EEEvT1_,@function
_ZN7rocprim17ROCPRIM_400000_NS6detail17trampoline_kernelINS0_14default_configENS1_29reduce_by_key_config_selectorIyjN6thrust23THRUST_200600_302600_NS4plusIjEEEEZZNS1_33reduce_by_key_impl_wrapped_configILNS1_25lookback_scan_determinismE0ES3_S9_NS6_6detail15normal_iteratorINS6_10device_ptrIyEEEENSD_INSE_IjEEEESG_SI_PmS8_NS6_8equal_toIyEEEE10hipError_tPvRmT2_T3_mT4_T5_T6_T7_T8_P12ihipStream_tbENKUlT_T0_E_clISt17integral_constantIbLb0EES13_EEDaSY_SZ_EUlSY_E_NS1_11comp_targetILNS1_3genE8ELNS1_11target_archE1030ELNS1_3gpuE2ELNS1_3repE0EEENS1_30default_config_static_selectorELNS0_4arch9wavefront6targetE1EEEvT1_: ; @_ZN7rocprim17ROCPRIM_400000_NS6detail17trampoline_kernelINS0_14default_configENS1_29reduce_by_key_config_selectorIyjN6thrust23THRUST_200600_302600_NS4plusIjEEEEZZNS1_33reduce_by_key_impl_wrapped_configILNS1_25lookback_scan_determinismE0ES3_S9_NS6_6detail15normal_iteratorINS6_10device_ptrIyEEEENSD_INSE_IjEEEESG_SI_PmS8_NS6_8equal_toIyEEEE10hipError_tPvRmT2_T3_mT4_T5_T6_T7_T8_P12ihipStream_tbENKUlT_T0_E_clISt17integral_constantIbLb0EES13_EEDaSY_SZ_EUlSY_E_NS1_11comp_targetILNS1_3genE8ELNS1_11target_archE1030ELNS1_3gpuE2ELNS1_3repE0EEENS1_30default_config_static_selectorELNS0_4arch9wavefront6targetE1EEEvT1_
; %bb.0:
	.section	.rodata,"a",@progbits
	.p2align	6, 0x0
	.amdhsa_kernel _ZN7rocprim17ROCPRIM_400000_NS6detail17trampoline_kernelINS0_14default_configENS1_29reduce_by_key_config_selectorIyjN6thrust23THRUST_200600_302600_NS4plusIjEEEEZZNS1_33reduce_by_key_impl_wrapped_configILNS1_25lookback_scan_determinismE0ES3_S9_NS6_6detail15normal_iteratorINS6_10device_ptrIyEEEENSD_INSE_IjEEEESG_SI_PmS8_NS6_8equal_toIyEEEE10hipError_tPvRmT2_T3_mT4_T5_T6_T7_T8_P12ihipStream_tbENKUlT_T0_E_clISt17integral_constantIbLb0EES13_EEDaSY_SZ_EUlSY_E_NS1_11comp_targetILNS1_3genE8ELNS1_11target_archE1030ELNS1_3gpuE2ELNS1_3repE0EEENS1_30default_config_static_selectorELNS0_4arch9wavefront6targetE1EEEvT1_
		.amdhsa_group_segment_fixed_size 0
		.amdhsa_private_segment_fixed_size 0
		.amdhsa_kernarg_size 120
		.amdhsa_user_sgpr_count 6
		.amdhsa_user_sgpr_private_segment_buffer 1
		.amdhsa_user_sgpr_dispatch_ptr 0
		.amdhsa_user_sgpr_queue_ptr 0
		.amdhsa_user_sgpr_kernarg_segment_ptr 1
		.amdhsa_user_sgpr_dispatch_id 0
		.amdhsa_user_sgpr_flat_scratch_init 0
		.amdhsa_user_sgpr_kernarg_preload_length 0
		.amdhsa_user_sgpr_kernarg_preload_offset 0
		.amdhsa_user_sgpr_private_segment_size 0
		.amdhsa_uses_dynamic_stack 0
		.amdhsa_system_sgpr_private_segment_wavefront_offset 0
		.amdhsa_system_sgpr_workgroup_id_x 1
		.amdhsa_system_sgpr_workgroup_id_y 0
		.amdhsa_system_sgpr_workgroup_id_z 0
		.amdhsa_system_sgpr_workgroup_info 0
		.amdhsa_system_vgpr_workitem_id 0
		.amdhsa_next_free_vgpr 1
		.amdhsa_next_free_sgpr 0
		.amdhsa_accum_offset 4
		.amdhsa_reserve_vcc 0
		.amdhsa_reserve_flat_scratch 0
		.amdhsa_float_round_mode_32 0
		.amdhsa_float_round_mode_16_64 0
		.amdhsa_float_denorm_mode_32 3
		.amdhsa_float_denorm_mode_16_64 3
		.amdhsa_dx10_clamp 1
		.amdhsa_ieee_mode 1
		.amdhsa_fp16_overflow 0
		.amdhsa_tg_split 0
		.amdhsa_exception_fp_ieee_invalid_op 0
		.amdhsa_exception_fp_denorm_src 0
		.amdhsa_exception_fp_ieee_div_zero 0
		.amdhsa_exception_fp_ieee_overflow 0
		.amdhsa_exception_fp_ieee_underflow 0
		.amdhsa_exception_fp_ieee_inexact 0
		.amdhsa_exception_int_div_zero 0
	.end_amdhsa_kernel
	.section	.text._ZN7rocprim17ROCPRIM_400000_NS6detail17trampoline_kernelINS0_14default_configENS1_29reduce_by_key_config_selectorIyjN6thrust23THRUST_200600_302600_NS4plusIjEEEEZZNS1_33reduce_by_key_impl_wrapped_configILNS1_25lookback_scan_determinismE0ES3_S9_NS6_6detail15normal_iteratorINS6_10device_ptrIyEEEENSD_INSE_IjEEEESG_SI_PmS8_NS6_8equal_toIyEEEE10hipError_tPvRmT2_T3_mT4_T5_T6_T7_T8_P12ihipStream_tbENKUlT_T0_E_clISt17integral_constantIbLb0EES13_EEDaSY_SZ_EUlSY_E_NS1_11comp_targetILNS1_3genE8ELNS1_11target_archE1030ELNS1_3gpuE2ELNS1_3repE0EEENS1_30default_config_static_selectorELNS0_4arch9wavefront6targetE1EEEvT1_,"axG",@progbits,_ZN7rocprim17ROCPRIM_400000_NS6detail17trampoline_kernelINS0_14default_configENS1_29reduce_by_key_config_selectorIyjN6thrust23THRUST_200600_302600_NS4plusIjEEEEZZNS1_33reduce_by_key_impl_wrapped_configILNS1_25lookback_scan_determinismE0ES3_S9_NS6_6detail15normal_iteratorINS6_10device_ptrIyEEEENSD_INSE_IjEEEESG_SI_PmS8_NS6_8equal_toIyEEEE10hipError_tPvRmT2_T3_mT4_T5_T6_T7_T8_P12ihipStream_tbENKUlT_T0_E_clISt17integral_constantIbLb0EES13_EEDaSY_SZ_EUlSY_E_NS1_11comp_targetILNS1_3genE8ELNS1_11target_archE1030ELNS1_3gpuE2ELNS1_3repE0EEENS1_30default_config_static_selectorELNS0_4arch9wavefront6targetE1EEEvT1_,comdat
.Lfunc_end705:
	.size	_ZN7rocprim17ROCPRIM_400000_NS6detail17trampoline_kernelINS0_14default_configENS1_29reduce_by_key_config_selectorIyjN6thrust23THRUST_200600_302600_NS4plusIjEEEEZZNS1_33reduce_by_key_impl_wrapped_configILNS1_25lookback_scan_determinismE0ES3_S9_NS6_6detail15normal_iteratorINS6_10device_ptrIyEEEENSD_INSE_IjEEEESG_SI_PmS8_NS6_8equal_toIyEEEE10hipError_tPvRmT2_T3_mT4_T5_T6_T7_T8_P12ihipStream_tbENKUlT_T0_E_clISt17integral_constantIbLb0EES13_EEDaSY_SZ_EUlSY_E_NS1_11comp_targetILNS1_3genE8ELNS1_11target_archE1030ELNS1_3gpuE2ELNS1_3repE0EEENS1_30default_config_static_selectorELNS0_4arch9wavefront6targetE1EEEvT1_, .Lfunc_end705-_ZN7rocprim17ROCPRIM_400000_NS6detail17trampoline_kernelINS0_14default_configENS1_29reduce_by_key_config_selectorIyjN6thrust23THRUST_200600_302600_NS4plusIjEEEEZZNS1_33reduce_by_key_impl_wrapped_configILNS1_25lookback_scan_determinismE0ES3_S9_NS6_6detail15normal_iteratorINS6_10device_ptrIyEEEENSD_INSE_IjEEEESG_SI_PmS8_NS6_8equal_toIyEEEE10hipError_tPvRmT2_T3_mT4_T5_T6_T7_T8_P12ihipStream_tbENKUlT_T0_E_clISt17integral_constantIbLb0EES13_EEDaSY_SZ_EUlSY_E_NS1_11comp_targetILNS1_3genE8ELNS1_11target_archE1030ELNS1_3gpuE2ELNS1_3repE0EEENS1_30default_config_static_selectorELNS0_4arch9wavefront6targetE1EEEvT1_
                                        ; -- End function
	.section	.AMDGPU.csdata,"",@progbits
; Kernel info:
; codeLenInByte = 0
; NumSgprs: 4
; NumVgprs: 0
; NumAgprs: 0
; TotalNumVgprs: 0
; ScratchSize: 0
; MemoryBound: 0
; FloatMode: 240
; IeeeMode: 1
; LDSByteSize: 0 bytes/workgroup (compile time only)
; SGPRBlocks: 0
; VGPRBlocks: 0
; NumSGPRsForWavesPerEU: 4
; NumVGPRsForWavesPerEU: 1
; AccumOffset: 4
; Occupancy: 8
; WaveLimiterHint : 0
; COMPUTE_PGM_RSRC2:SCRATCH_EN: 0
; COMPUTE_PGM_RSRC2:USER_SGPR: 6
; COMPUTE_PGM_RSRC2:TRAP_HANDLER: 0
; COMPUTE_PGM_RSRC2:TGID_X_EN: 1
; COMPUTE_PGM_RSRC2:TGID_Y_EN: 0
; COMPUTE_PGM_RSRC2:TGID_Z_EN: 0
; COMPUTE_PGM_RSRC2:TIDIG_COMP_CNT: 0
; COMPUTE_PGM_RSRC3_GFX90A:ACCUM_OFFSET: 0
; COMPUTE_PGM_RSRC3_GFX90A:TG_SPLIT: 0
	.section	.text._ZN7rocprim17ROCPRIM_400000_NS6detail17trampoline_kernelINS0_14default_configENS1_29reduce_by_key_config_selectorIyjN6thrust23THRUST_200600_302600_NS4plusIjEEEEZZNS1_33reduce_by_key_impl_wrapped_configILNS1_25lookback_scan_determinismE0ES3_S9_NS6_6detail15normal_iteratorINS6_10device_ptrIyEEEENSD_INSE_IjEEEESG_SI_PmS8_NS6_8equal_toIyEEEE10hipError_tPvRmT2_T3_mT4_T5_T6_T7_T8_P12ihipStream_tbENKUlT_T0_E_clISt17integral_constantIbLb1EES13_EEDaSY_SZ_EUlSY_E_NS1_11comp_targetILNS1_3genE0ELNS1_11target_archE4294967295ELNS1_3gpuE0ELNS1_3repE0EEENS1_30default_config_static_selectorELNS0_4arch9wavefront6targetE1EEEvT1_,"axG",@progbits,_ZN7rocprim17ROCPRIM_400000_NS6detail17trampoline_kernelINS0_14default_configENS1_29reduce_by_key_config_selectorIyjN6thrust23THRUST_200600_302600_NS4plusIjEEEEZZNS1_33reduce_by_key_impl_wrapped_configILNS1_25lookback_scan_determinismE0ES3_S9_NS6_6detail15normal_iteratorINS6_10device_ptrIyEEEENSD_INSE_IjEEEESG_SI_PmS8_NS6_8equal_toIyEEEE10hipError_tPvRmT2_T3_mT4_T5_T6_T7_T8_P12ihipStream_tbENKUlT_T0_E_clISt17integral_constantIbLb1EES13_EEDaSY_SZ_EUlSY_E_NS1_11comp_targetILNS1_3genE0ELNS1_11target_archE4294967295ELNS1_3gpuE0ELNS1_3repE0EEENS1_30default_config_static_selectorELNS0_4arch9wavefront6targetE1EEEvT1_,comdat
	.protected	_ZN7rocprim17ROCPRIM_400000_NS6detail17trampoline_kernelINS0_14default_configENS1_29reduce_by_key_config_selectorIyjN6thrust23THRUST_200600_302600_NS4plusIjEEEEZZNS1_33reduce_by_key_impl_wrapped_configILNS1_25lookback_scan_determinismE0ES3_S9_NS6_6detail15normal_iteratorINS6_10device_ptrIyEEEENSD_INSE_IjEEEESG_SI_PmS8_NS6_8equal_toIyEEEE10hipError_tPvRmT2_T3_mT4_T5_T6_T7_T8_P12ihipStream_tbENKUlT_T0_E_clISt17integral_constantIbLb1EES13_EEDaSY_SZ_EUlSY_E_NS1_11comp_targetILNS1_3genE0ELNS1_11target_archE4294967295ELNS1_3gpuE0ELNS1_3repE0EEENS1_30default_config_static_selectorELNS0_4arch9wavefront6targetE1EEEvT1_ ; -- Begin function _ZN7rocprim17ROCPRIM_400000_NS6detail17trampoline_kernelINS0_14default_configENS1_29reduce_by_key_config_selectorIyjN6thrust23THRUST_200600_302600_NS4plusIjEEEEZZNS1_33reduce_by_key_impl_wrapped_configILNS1_25lookback_scan_determinismE0ES3_S9_NS6_6detail15normal_iteratorINS6_10device_ptrIyEEEENSD_INSE_IjEEEESG_SI_PmS8_NS6_8equal_toIyEEEE10hipError_tPvRmT2_T3_mT4_T5_T6_T7_T8_P12ihipStream_tbENKUlT_T0_E_clISt17integral_constantIbLb1EES13_EEDaSY_SZ_EUlSY_E_NS1_11comp_targetILNS1_3genE0ELNS1_11target_archE4294967295ELNS1_3gpuE0ELNS1_3repE0EEENS1_30default_config_static_selectorELNS0_4arch9wavefront6targetE1EEEvT1_
	.globl	_ZN7rocprim17ROCPRIM_400000_NS6detail17trampoline_kernelINS0_14default_configENS1_29reduce_by_key_config_selectorIyjN6thrust23THRUST_200600_302600_NS4plusIjEEEEZZNS1_33reduce_by_key_impl_wrapped_configILNS1_25lookback_scan_determinismE0ES3_S9_NS6_6detail15normal_iteratorINS6_10device_ptrIyEEEENSD_INSE_IjEEEESG_SI_PmS8_NS6_8equal_toIyEEEE10hipError_tPvRmT2_T3_mT4_T5_T6_T7_T8_P12ihipStream_tbENKUlT_T0_E_clISt17integral_constantIbLb1EES13_EEDaSY_SZ_EUlSY_E_NS1_11comp_targetILNS1_3genE0ELNS1_11target_archE4294967295ELNS1_3gpuE0ELNS1_3repE0EEENS1_30default_config_static_selectorELNS0_4arch9wavefront6targetE1EEEvT1_
	.p2align	8
	.type	_ZN7rocprim17ROCPRIM_400000_NS6detail17trampoline_kernelINS0_14default_configENS1_29reduce_by_key_config_selectorIyjN6thrust23THRUST_200600_302600_NS4plusIjEEEEZZNS1_33reduce_by_key_impl_wrapped_configILNS1_25lookback_scan_determinismE0ES3_S9_NS6_6detail15normal_iteratorINS6_10device_ptrIyEEEENSD_INSE_IjEEEESG_SI_PmS8_NS6_8equal_toIyEEEE10hipError_tPvRmT2_T3_mT4_T5_T6_T7_T8_P12ihipStream_tbENKUlT_T0_E_clISt17integral_constantIbLb1EES13_EEDaSY_SZ_EUlSY_E_NS1_11comp_targetILNS1_3genE0ELNS1_11target_archE4294967295ELNS1_3gpuE0ELNS1_3repE0EEENS1_30default_config_static_selectorELNS0_4arch9wavefront6targetE1EEEvT1_,@function
_ZN7rocprim17ROCPRIM_400000_NS6detail17trampoline_kernelINS0_14default_configENS1_29reduce_by_key_config_selectorIyjN6thrust23THRUST_200600_302600_NS4plusIjEEEEZZNS1_33reduce_by_key_impl_wrapped_configILNS1_25lookback_scan_determinismE0ES3_S9_NS6_6detail15normal_iteratorINS6_10device_ptrIyEEEENSD_INSE_IjEEEESG_SI_PmS8_NS6_8equal_toIyEEEE10hipError_tPvRmT2_T3_mT4_T5_T6_T7_T8_P12ihipStream_tbENKUlT_T0_E_clISt17integral_constantIbLb1EES13_EEDaSY_SZ_EUlSY_E_NS1_11comp_targetILNS1_3genE0ELNS1_11target_archE4294967295ELNS1_3gpuE0ELNS1_3repE0EEENS1_30default_config_static_selectorELNS0_4arch9wavefront6targetE1EEEvT1_: ; @_ZN7rocprim17ROCPRIM_400000_NS6detail17trampoline_kernelINS0_14default_configENS1_29reduce_by_key_config_selectorIyjN6thrust23THRUST_200600_302600_NS4plusIjEEEEZZNS1_33reduce_by_key_impl_wrapped_configILNS1_25lookback_scan_determinismE0ES3_S9_NS6_6detail15normal_iteratorINS6_10device_ptrIyEEEENSD_INSE_IjEEEESG_SI_PmS8_NS6_8equal_toIyEEEE10hipError_tPvRmT2_T3_mT4_T5_T6_T7_T8_P12ihipStream_tbENKUlT_T0_E_clISt17integral_constantIbLb1EES13_EEDaSY_SZ_EUlSY_E_NS1_11comp_targetILNS1_3genE0ELNS1_11target_archE4294967295ELNS1_3gpuE0ELNS1_3repE0EEENS1_30default_config_static_selectorELNS0_4arch9wavefront6targetE1EEEvT1_
; %bb.0:
	.section	.rodata,"a",@progbits
	.p2align	6, 0x0
	.amdhsa_kernel _ZN7rocprim17ROCPRIM_400000_NS6detail17trampoline_kernelINS0_14default_configENS1_29reduce_by_key_config_selectorIyjN6thrust23THRUST_200600_302600_NS4plusIjEEEEZZNS1_33reduce_by_key_impl_wrapped_configILNS1_25lookback_scan_determinismE0ES3_S9_NS6_6detail15normal_iteratorINS6_10device_ptrIyEEEENSD_INSE_IjEEEESG_SI_PmS8_NS6_8equal_toIyEEEE10hipError_tPvRmT2_T3_mT4_T5_T6_T7_T8_P12ihipStream_tbENKUlT_T0_E_clISt17integral_constantIbLb1EES13_EEDaSY_SZ_EUlSY_E_NS1_11comp_targetILNS1_3genE0ELNS1_11target_archE4294967295ELNS1_3gpuE0ELNS1_3repE0EEENS1_30default_config_static_selectorELNS0_4arch9wavefront6targetE1EEEvT1_
		.amdhsa_group_segment_fixed_size 0
		.amdhsa_private_segment_fixed_size 0
		.amdhsa_kernarg_size 120
		.amdhsa_user_sgpr_count 6
		.amdhsa_user_sgpr_private_segment_buffer 1
		.amdhsa_user_sgpr_dispatch_ptr 0
		.amdhsa_user_sgpr_queue_ptr 0
		.amdhsa_user_sgpr_kernarg_segment_ptr 1
		.amdhsa_user_sgpr_dispatch_id 0
		.amdhsa_user_sgpr_flat_scratch_init 0
		.amdhsa_user_sgpr_kernarg_preload_length 0
		.amdhsa_user_sgpr_kernarg_preload_offset 0
		.amdhsa_user_sgpr_private_segment_size 0
		.amdhsa_uses_dynamic_stack 0
		.amdhsa_system_sgpr_private_segment_wavefront_offset 0
		.amdhsa_system_sgpr_workgroup_id_x 1
		.amdhsa_system_sgpr_workgroup_id_y 0
		.amdhsa_system_sgpr_workgroup_id_z 0
		.amdhsa_system_sgpr_workgroup_info 0
		.amdhsa_system_vgpr_workitem_id 0
		.amdhsa_next_free_vgpr 1
		.amdhsa_next_free_sgpr 0
		.amdhsa_accum_offset 4
		.amdhsa_reserve_vcc 0
		.amdhsa_reserve_flat_scratch 0
		.amdhsa_float_round_mode_32 0
		.amdhsa_float_round_mode_16_64 0
		.amdhsa_float_denorm_mode_32 3
		.amdhsa_float_denorm_mode_16_64 3
		.amdhsa_dx10_clamp 1
		.amdhsa_ieee_mode 1
		.amdhsa_fp16_overflow 0
		.amdhsa_tg_split 0
		.amdhsa_exception_fp_ieee_invalid_op 0
		.amdhsa_exception_fp_denorm_src 0
		.amdhsa_exception_fp_ieee_div_zero 0
		.amdhsa_exception_fp_ieee_overflow 0
		.amdhsa_exception_fp_ieee_underflow 0
		.amdhsa_exception_fp_ieee_inexact 0
		.amdhsa_exception_int_div_zero 0
	.end_amdhsa_kernel
	.section	.text._ZN7rocprim17ROCPRIM_400000_NS6detail17trampoline_kernelINS0_14default_configENS1_29reduce_by_key_config_selectorIyjN6thrust23THRUST_200600_302600_NS4plusIjEEEEZZNS1_33reduce_by_key_impl_wrapped_configILNS1_25lookback_scan_determinismE0ES3_S9_NS6_6detail15normal_iteratorINS6_10device_ptrIyEEEENSD_INSE_IjEEEESG_SI_PmS8_NS6_8equal_toIyEEEE10hipError_tPvRmT2_T3_mT4_T5_T6_T7_T8_P12ihipStream_tbENKUlT_T0_E_clISt17integral_constantIbLb1EES13_EEDaSY_SZ_EUlSY_E_NS1_11comp_targetILNS1_3genE0ELNS1_11target_archE4294967295ELNS1_3gpuE0ELNS1_3repE0EEENS1_30default_config_static_selectorELNS0_4arch9wavefront6targetE1EEEvT1_,"axG",@progbits,_ZN7rocprim17ROCPRIM_400000_NS6detail17trampoline_kernelINS0_14default_configENS1_29reduce_by_key_config_selectorIyjN6thrust23THRUST_200600_302600_NS4plusIjEEEEZZNS1_33reduce_by_key_impl_wrapped_configILNS1_25lookback_scan_determinismE0ES3_S9_NS6_6detail15normal_iteratorINS6_10device_ptrIyEEEENSD_INSE_IjEEEESG_SI_PmS8_NS6_8equal_toIyEEEE10hipError_tPvRmT2_T3_mT4_T5_T6_T7_T8_P12ihipStream_tbENKUlT_T0_E_clISt17integral_constantIbLb1EES13_EEDaSY_SZ_EUlSY_E_NS1_11comp_targetILNS1_3genE0ELNS1_11target_archE4294967295ELNS1_3gpuE0ELNS1_3repE0EEENS1_30default_config_static_selectorELNS0_4arch9wavefront6targetE1EEEvT1_,comdat
.Lfunc_end706:
	.size	_ZN7rocprim17ROCPRIM_400000_NS6detail17trampoline_kernelINS0_14default_configENS1_29reduce_by_key_config_selectorIyjN6thrust23THRUST_200600_302600_NS4plusIjEEEEZZNS1_33reduce_by_key_impl_wrapped_configILNS1_25lookback_scan_determinismE0ES3_S9_NS6_6detail15normal_iteratorINS6_10device_ptrIyEEEENSD_INSE_IjEEEESG_SI_PmS8_NS6_8equal_toIyEEEE10hipError_tPvRmT2_T3_mT4_T5_T6_T7_T8_P12ihipStream_tbENKUlT_T0_E_clISt17integral_constantIbLb1EES13_EEDaSY_SZ_EUlSY_E_NS1_11comp_targetILNS1_3genE0ELNS1_11target_archE4294967295ELNS1_3gpuE0ELNS1_3repE0EEENS1_30default_config_static_selectorELNS0_4arch9wavefront6targetE1EEEvT1_, .Lfunc_end706-_ZN7rocprim17ROCPRIM_400000_NS6detail17trampoline_kernelINS0_14default_configENS1_29reduce_by_key_config_selectorIyjN6thrust23THRUST_200600_302600_NS4plusIjEEEEZZNS1_33reduce_by_key_impl_wrapped_configILNS1_25lookback_scan_determinismE0ES3_S9_NS6_6detail15normal_iteratorINS6_10device_ptrIyEEEENSD_INSE_IjEEEESG_SI_PmS8_NS6_8equal_toIyEEEE10hipError_tPvRmT2_T3_mT4_T5_T6_T7_T8_P12ihipStream_tbENKUlT_T0_E_clISt17integral_constantIbLb1EES13_EEDaSY_SZ_EUlSY_E_NS1_11comp_targetILNS1_3genE0ELNS1_11target_archE4294967295ELNS1_3gpuE0ELNS1_3repE0EEENS1_30default_config_static_selectorELNS0_4arch9wavefront6targetE1EEEvT1_
                                        ; -- End function
	.section	.AMDGPU.csdata,"",@progbits
; Kernel info:
; codeLenInByte = 0
; NumSgprs: 4
; NumVgprs: 0
; NumAgprs: 0
; TotalNumVgprs: 0
; ScratchSize: 0
; MemoryBound: 0
; FloatMode: 240
; IeeeMode: 1
; LDSByteSize: 0 bytes/workgroup (compile time only)
; SGPRBlocks: 0
; VGPRBlocks: 0
; NumSGPRsForWavesPerEU: 4
; NumVGPRsForWavesPerEU: 1
; AccumOffset: 4
; Occupancy: 8
; WaveLimiterHint : 0
; COMPUTE_PGM_RSRC2:SCRATCH_EN: 0
; COMPUTE_PGM_RSRC2:USER_SGPR: 6
; COMPUTE_PGM_RSRC2:TRAP_HANDLER: 0
; COMPUTE_PGM_RSRC2:TGID_X_EN: 1
; COMPUTE_PGM_RSRC2:TGID_Y_EN: 0
; COMPUTE_PGM_RSRC2:TGID_Z_EN: 0
; COMPUTE_PGM_RSRC2:TIDIG_COMP_CNT: 0
; COMPUTE_PGM_RSRC3_GFX90A:ACCUM_OFFSET: 0
; COMPUTE_PGM_RSRC3_GFX90A:TG_SPLIT: 0
	.section	.text._ZN7rocprim17ROCPRIM_400000_NS6detail17trampoline_kernelINS0_14default_configENS1_29reduce_by_key_config_selectorIyjN6thrust23THRUST_200600_302600_NS4plusIjEEEEZZNS1_33reduce_by_key_impl_wrapped_configILNS1_25lookback_scan_determinismE0ES3_S9_NS6_6detail15normal_iteratorINS6_10device_ptrIyEEEENSD_INSE_IjEEEESG_SI_PmS8_NS6_8equal_toIyEEEE10hipError_tPvRmT2_T3_mT4_T5_T6_T7_T8_P12ihipStream_tbENKUlT_T0_E_clISt17integral_constantIbLb1EES13_EEDaSY_SZ_EUlSY_E_NS1_11comp_targetILNS1_3genE5ELNS1_11target_archE942ELNS1_3gpuE9ELNS1_3repE0EEENS1_30default_config_static_selectorELNS0_4arch9wavefront6targetE1EEEvT1_,"axG",@progbits,_ZN7rocprim17ROCPRIM_400000_NS6detail17trampoline_kernelINS0_14default_configENS1_29reduce_by_key_config_selectorIyjN6thrust23THRUST_200600_302600_NS4plusIjEEEEZZNS1_33reduce_by_key_impl_wrapped_configILNS1_25lookback_scan_determinismE0ES3_S9_NS6_6detail15normal_iteratorINS6_10device_ptrIyEEEENSD_INSE_IjEEEESG_SI_PmS8_NS6_8equal_toIyEEEE10hipError_tPvRmT2_T3_mT4_T5_T6_T7_T8_P12ihipStream_tbENKUlT_T0_E_clISt17integral_constantIbLb1EES13_EEDaSY_SZ_EUlSY_E_NS1_11comp_targetILNS1_3genE5ELNS1_11target_archE942ELNS1_3gpuE9ELNS1_3repE0EEENS1_30default_config_static_selectorELNS0_4arch9wavefront6targetE1EEEvT1_,comdat
	.protected	_ZN7rocprim17ROCPRIM_400000_NS6detail17trampoline_kernelINS0_14default_configENS1_29reduce_by_key_config_selectorIyjN6thrust23THRUST_200600_302600_NS4plusIjEEEEZZNS1_33reduce_by_key_impl_wrapped_configILNS1_25lookback_scan_determinismE0ES3_S9_NS6_6detail15normal_iteratorINS6_10device_ptrIyEEEENSD_INSE_IjEEEESG_SI_PmS8_NS6_8equal_toIyEEEE10hipError_tPvRmT2_T3_mT4_T5_T6_T7_T8_P12ihipStream_tbENKUlT_T0_E_clISt17integral_constantIbLb1EES13_EEDaSY_SZ_EUlSY_E_NS1_11comp_targetILNS1_3genE5ELNS1_11target_archE942ELNS1_3gpuE9ELNS1_3repE0EEENS1_30default_config_static_selectorELNS0_4arch9wavefront6targetE1EEEvT1_ ; -- Begin function _ZN7rocprim17ROCPRIM_400000_NS6detail17trampoline_kernelINS0_14default_configENS1_29reduce_by_key_config_selectorIyjN6thrust23THRUST_200600_302600_NS4plusIjEEEEZZNS1_33reduce_by_key_impl_wrapped_configILNS1_25lookback_scan_determinismE0ES3_S9_NS6_6detail15normal_iteratorINS6_10device_ptrIyEEEENSD_INSE_IjEEEESG_SI_PmS8_NS6_8equal_toIyEEEE10hipError_tPvRmT2_T3_mT4_T5_T6_T7_T8_P12ihipStream_tbENKUlT_T0_E_clISt17integral_constantIbLb1EES13_EEDaSY_SZ_EUlSY_E_NS1_11comp_targetILNS1_3genE5ELNS1_11target_archE942ELNS1_3gpuE9ELNS1_3repE0EEENS1_30default_config_static_selectorELNS0_4arch9wavefront6targetE1EEEvT1_
	.globl	_ZN7rocprim17ROCPRIM_400000_NS6detail17trampoline_kernelINS0_14default_configENS1_29reduce_by_key_config_selectorIyjN6thrust23THRUST_200600_302600_NS4plusIjEEEEZZNS1_33reduce_by_key_impl_wrapped_configILNS1_25lookback_scan_determinismE0ES3_S9_NS6_6detail15normal_iteratorINS6_10device_ptrIyEEEENSD_INSE_IjEEEESG_SI_PmS8_NS6_8equal_toIyEEEE10hipError_tPvRmT2_T3_mT4_T5_T6_T7_T8_P12ihipStream_tbENKUlT_T0_E_clISt17integral_constantIbLb1EES13_EEDaSY_SZ_EUlSY_E_NS1_11comp_targetILNS1_3genE5ELNS1_11target_archE942ELNS1_3gpuE9ELNS1_3repE0EEENS1_30default_config_static_selectorELNS0_4arch9wavefront6targetE1EEEvT1_
	.p2align	8
	.type	_ZN7rocprim17ROCPRIM_400000_NS6detail17trampoline_kernelINS0_14default_configENS1_29reduce_by_key_config_selectorIyjN6thrust23THRUST_200600_302600_NS4plusIjEEEEZZNS1_33reduce_by_key_impl_wrapped_configILNS1_25lookback_scan_determinismE0ES3_S9_NS6_6detail15normal_iteratorINS6_10device_ptrIyEEEENSD_INSE_IjEEEESG_SI_PmS8_NS6_8equal_toIyEEEE10hipError_tPvRmT2_T3_mT4_T5_T6_T7_T8_P12ihipStream_tbENKUlT_T0_E_clISt17integral_constantIbLb1EES13_EEDaSY_SZ_EUlSY_E_NS1_11comp_targetILNS1_3genE5ELNS1_11target_archE942ELNS1_3gpuE9ELNS1_3repE0EEENS1_30default_config_static_selectorELNS0_4arch9wavefront6targetE1EEEvT1_,@function
_ZN7rocprim17ROCPRIM_400000_NS6detail17trampoline_kernelINS0_14default_configENS1_29reduce_by_key_config_selectorIyjN6thrust23THRUST_200600_302600_NS4plusIjEEEEZZNS1_33reduce_by_key_impl_wrapped_configILNS1_25lookback_scan_determinismE0ES3_S9_NS6_6detail15normal_iteratorINS6_10device_ptrIyEEEENSD_INSE_IjEEEESG_SI_PmS8_NS6_8equal_toIyEEEE10hipError_tPvRmT2_T3_mT4_T5_T6_T7_T8_P12ihipStream_tbENKUlT_T0_E_clISt17integral_constantIbLb1EES13_EEDaSY_SZ_EUlSY_E_NS1_11comp_targetILNS1_3genE5ELNS1_11target_archE942ELNS1_3gpuE9ELNS1_3repE0EEENS1_30default_config_static_selectorELNS0_4arch9wavefront6targetE1EEEvT1_: ; @_ZN7rocprim17ROCPRIM_400000_NS6detail17trampoline_kernelINS0_14default_configENS1_29reduce_by_key_config_selectorIyjN6thrust23THRUST_200600_302600_NS4plusIjEEEEZZNS1_33reduce_by_key_impl_wrapped_configILNS1_25lookback_scan_determinismE0ES3_S9_NS6_6detail15normal_iteratorINS6_10device_ptrIyEEEENSD_INSE_IjEEEESG_SI_PmS8_NS6_8equal_toIyEEEE10hipError_tPvRmT2_T3_mT4_T5_T6_T7_T8_P12ihipStream_tbENKUlT_T0_E_clISt17integral_constantIbLb1EES13_EEDaSY_SZ_EUlSY_E_NS1_11comp_targetILNS1_3genE5ELNS1_11target_archE942ELNS1_3gpuE9ELNS1_3repE0EEENS1_30default_config_static_selectorELNS0_4arch9wavefront6targetE1EEEvT1_
; %bb.0:
	.section	.rodata,"a",@progbits
	.p2align	6, 0x0
	.amdhsa_kernel _ZN7rocprim17ROCPRIM_400000_NS6detail17trampoline_kernelINS0_14default_configENS1_29reduce_by_key_config_selectorIyjN6thrust23THRUST_200600_302600_NS4plusIjEEEEZZNS1_33reduce_by_key_impl_wrapped_configILNS1_25lookback_scan_determinismE0ES3_S9_NS6_6detail15normal_iteratorINS6_10device_ptrIyEEEENSD_INSE_IjEEEESG_SI_PmS8_NS6_8equal_toIyEEEE10hipError_tPvRmT2_T3_mT4_T5_T6_T7_T8_P12ihipStream_tbENKUlT_T0_E_clISt17integral_constantIbLb1EES13_EEDaSY_SZ_EUlSY_E_NS1_11comp_targetILNS1_3genE5ELNS1_11target_archE942ELNS1_3gpuE9ELNS1_3repE0EEENS1_30default_config_static_selectorELNS0_4arch9wavefront6targetE1EEEvT1_
		.amdhsa_group_segment_fixed_size 0
		.amdhsa_private_segment_fixed_size 0
		.amdhsa_kernarg_size 120
		.amdhsa_user_sgpr_count 6
		.amdhsa_user_sgpr_private_segment_buffer 1
		.amdhsa_user_sgpr_dispatch_ptr 0
		.amdhsa_user_sgpr_queue_ptr 0
		.amdhsa_user_sgpr_kernarg_segment_ptr 1
		.amdhsa_user_sgpr_dispatch_id 0
		.amdhsa_user_sgpr_flat_scratch_init 0
		.amdhsa_user_sgpr_kernarg_preload_length 0
		.amdhsa_user_sgpr_kernarg_preload_offset 0
		.amdhsa_user_sgpr_private_segment_size 0
		.amdhsa_uses_dynamic_stack 0
		.amdhsa_system_sgpr_private_segment_wavefront_offset 0
		.amdhsa_system_sgpr_workgroup_id_x 1
		.amdhsa_system_sgpr_workgroup_id_y 0
		.amdhsa_system_sgpr_workgroup_id_z 0
		.amdhsa_system_sgpr_workgroup_info 0
		.amdhsa_system_vgpr_workitem_id 0
		.amdhsa_next_free_vgpr 1
		.amdhsa_next_free_sgpr 0
		.amdhsa_accum_offset 4
		.amdhsa_reserve_vcc 0
		.amdhsa_reserve_flat_scratch 0
		.amdhsa_float_round_mode_32 0
		.amdhsa_float_round_mode_16_64 0
		.amdhsa_float_denorm_mode_32 3
		.amdhsa_float_denorm_mode_16_64 3
		.amdhsa_dx10_clamp 1
		.amdhsa_ieee_mode 1
		.amdhsa_fp16_overflow 0
		.amdhsa_tg_split 0
		.amdhsa_exception_fp_ieee_invalid_op 0
		.amdhsa_exception_fp_denorm_src 0
		.amdhsa_exception_fp_ieee_div_zero 0
		.amdhsa_exception_fp_ieee_overflow 0
		.amdhsa_exception_fp_ieee_underflow 0
		.amdhsa_exception_fp_ieee_inexact 0
		.amdhsa_exception_int_div_zero 0
	.end_amdhsa_kernel
	.section	.text._ZN7rocprim17ROCPRIM_400000_NS6detail17trampoline_kernelINS0_14default_configENS1_29reduce_by_key_config_selectorIyjN6thrust23THRUST_200600_302600_NS4plusIjEEEEZZNS1_33reduce_by_key_impl_wrapped_configILNS1_25lookback_scan_determinismE0ES3_S9_NS6_6detail15normal_iteratorINS6_10device_ptrIyEEEENSD_INSE_IjEEEESG_SI_PmS8_NS6_8equal_toIyEEEE10hipError_tPvRmT2_T3_mT4_T5_T6_T7_T8_P12ihipStream_tbENKUlT_T0_E_clISt17integral_constantIbLb1EES13_EEDaSY_SZ_EUlSY_E_NS1_11comp_targetILNS1_3genE5ELNS1_11target_archE942ELNS1_3gpuE9ELNS1_3repE0EEENS1_30default_config_static_selectorELNS0_4arch9wavefront6targetE1EEEvT1_,"axG",@progbits,_ZN7rocprim17ROCPRIM_400000_NS6detail17trampoline_kernelINS0_14default_configENS1_29reduce_by_key_config_selectorIyjN6thrust23THRUST_200600_302600_NS4plusIjEEEEZZNS1_33reduce_by_key_impl_wrapped_configILNS1_25lookback_scan_determinismE0ES3_S9_NS6_6detail15normal_iteratorINS6_10device_ptrIyEEEENSD_INSE_IjEEEESG_SI_PmS8_NS6_8equal_toIyEEEE10hipError_tPvRmT2_T3_mT4_T5_T6_T7_T8_P12ihipStream_tbENKUlT_T0_E_clISt17integral_constantIbLb1EES13_EEDaSY_SZ_EUlSY_E_NS1_11comp_targetILNS1_3genE5ELNS1_11target_archE942ELNS1_3gpuE9ELNS1_3repE0EEENS1_30default_config_static_selectorELNS0_4arch9wavefront6targetE1EEEvT1_,comdat
.Lfunc_end707:
	.size	_ZN7rocprim17ROCPRIM_400000_NS6detail17trampoline_kernelINS0_14default_configENS1_29reduce_by_key_config_selectorIyjN6thrust23THRUST_200600_302600_NS4plusIjEEEEZZNS1_33reduce_by_key_impl_wrapped_configILNS1_25lookback_scan_determinismE0ES3_S9_NS6_6detail15normal_iteratorINS6_10device_ptrIyEEEENSD_INSE_IjEEEESG_SI_PmS8_NS6_8equal_toIyEEEE10hipError_tPvRmT2_T3_mT4_T5_T6_T7_T8_P12ihipStream_tbENKUlT_T0_E_clISt17integral_constantIbLb1EES13_EEDaSY_SZ_EUlSY_E_NS1_11comp_targetILNS1_3genE5ELNS1_11target_archE942ELNS1_3gpuE9ELNS1_3repE0EEENS1_30default_config_static_selectorELNS0_4arch9wavefront6targetE1EEEvT1_, .Lfunc_end707-_ZN7rocprim17ROCPRIM_400000_NS6detail17trampoline_kernelINS0_14default_configENS1_29reduce_by_key_config_selectorIyjN6thrust23THRUST_200600_302600_NS4plusIjEEEEZZNS1_33reduce_by_key_impl_wrapped_configILNS1_25lookback_scan_determinismE0ES3_S9_NS6_6detail15normal_iteratorINS6_10device_ptrIyEEEENSD_INSE_IjEEEESG_SI_PmS8_NS6_8equal_toIyEEEE10hipError_tPvRmT2_T3_mT4_T5_T6_T7_T8_P12ihipStream_tbENKUlT_T0_E_clISt17integral_constantIbLb1EES13_EEDaSY_SZ_EUlSY_E_NS1_11comp_targetILNS1_3genE5ELNS1_11target_archE942ELNS1_3gpuE9ELNS1_3repE0EEENS1_30default_config_static_selectorELNS0_4arch9wavefront6targetE1EEEvT1_
                                        ; -- End function
	.section	.AMDGPU.csdata,"",@progbits
; Kernel info:
; codeLenInByte = 0
; NumSgprs: 4
; NumVgprs: 0
; NumAgprs: 0
; TotalNumVgprs: 0
; ScratchSize: 0
; MemoryBound: 0
; FloatMode: 240
; IeeeMode: 1
; LDSByteSize: 0 bytes/workgroup (compile time only)
; SGPRBlocks: 0
; VGPRBlocks: 0
; NumSGPRsForWavesPerEU: 4
; NumVGPRsForWavesPerEU: 1
; AccumOffset: 4
; Occupancy: 8
; WaveLimiterHint : 0
; COMPUTE_PGM_RSRC2:SCRATCH_EN: 0
; COMPUTE_PGM_RSRC2:USER_SGPR: 6
; COMPUTE_PGM_RSRC2:TRAP_HANDLER: 0
; COMPUTE_PGM_RSRC2:TGID_X_EN: 1
; COMPUTE_PGM_RSRC2:TGID_Y_EN: 0
; COMPUTE_PGM_RSRC2:TGID_Z_EN: 0
; COMPUTE_PGM_RSRC2:TIDIG_COMP_CNT: 0
; COMPUTE_PGM_RSRC3_GFX90A:ACCUM_OFFSET: 0
; COMPUTE_PGM_RSRC3_GFX90A:TG_SPLIT: 0
	.section	.text._ZN7rocprim17ROCPRIM_400000_NS6detail17trampoline_kernelINS0_14default_configENS1_29reduce_by_key_config_selectorIyjN6thrust23THRUST_200600_302600_NS4plusIjEEEEZZNS1_33reduce_by_key_impl_wrapped_configILNS1_25lookback_scan_determinismE0ES3_S9_NS6_6detail15normal_iteratorINS6_10device_ptrIyEEEENSD_INSE_IjEEEESG_SI_PmS8_NS6_8equal_toIyEEEE10hipError_tPvRmT2_T3_mT4_T5_T6_T7_T8_P12ihipStream_tbENKUlT_T0_E_clISt17integral_constantIbLb1EES13_EEDaSY_SZ_EUlSY_E_NS1_11comp_targetILNS1_3genE4ELNS1_11target_archE910ELNS1_3gpuE8ELNS1_3repE0EEENS1_30default_config_static_selectorELNS0_4arch9wavefront6targetE1EEEvT1_,"axG",@progbits,_ZN7rocprim17ROCPRIM_400000_NS6detail17trampoline_kernelINS0_14default_configENS1_29reduce_by_key_config_selectorIyjN6thrust23THRUST_200600_302600_NS4plusIjEEEEZZNS1_33reduce_by_key_impl_wrapped_configILNS1_25lookback_scan_determinismE0ES3_S9_NS6_6detail15normal_iteratorINS6_10device_ptrIyEEEENSD_INSE_IjEEEESG_SI_PmS8_NS6_8equal_toIyEEEE10hipError_tPvRmT2_T3_mT4_T5_T6_T7_T8_P12ihipStream_tbENKUlT_T0_E_clISt17integral_constantIbLb1EES13_EEDaSY_SZ_EUlSY_E_NS1_11comp_targetILNS1_3genE4ELNS1_11target_archE910ELNS1_3gpuE8ELNS1_3repE0EEENS1_30default_config_static_selectorELNS0_4arch9wavefront6targetE1EEEvT1_,comdat
	.protected	_ZN7rocprim17ROCPRIM_400000_NS6detail17trampoline_kernelINS0_14default_configENS1_29reduce_by_key_config_selectorIyjN6thrust23THRUST_200600_302600_NS4plusIjEEEEZZNS1_33reduce_by_key_impl_wrapped_configILNS1_25lookback_scan_determinismE0ES3_S9_NS6_6detail15normal_iteratorINS6_10device_ptrIyEEEENSD_INSE_IjEEEESG_SI_PmS8_NS6_8equal_toIyEEEE10hipError_tPvRmT2_T3_mT4_T5_T6_T7_T8_P12ihipStream_tbENKUlT_T0_E_clISt17integral_constantIbLb1EES13_EEDaSY_SZ_EUlSY_E_NS1_11comp_targetILNS1_3genE4ELNS1_11target_archE910ELNS1_3gpuE8ELNS1_3repE0EEENS1_30default_config_static_selectorELNS0_4arch9wavefront6targetE1EEEvT1_ ; -- Begin function _ZN7rocprim17ROCPRIM_400000_NS6detail17trampoline_kernelINS0_14default_configENS1_29reduce_by_key_config_selectorIyjN6thrust23THRUST_200600_302600_NS4plusIjEEEEZZNS1_33reduce_by_key_impl_wrapped_configILNS1_25lookback_scan_determinismE0ES3_S9_NS6_6detail15normal_iteratorINS6_10device_ptrIyEEEENSD_INSE_IjEEEESG_SI_PmS8_NS6_8equal_toIyEEEE10hipError_tPvRmT2_T3_mT4_T5_T6_T7_T8_P12ihipStream_tbENKUlT_T0_E_clISt17integral_constantIbLb1EES13_EEDaSY_SZ_EUlSY_E_NS1_11comp_targetILNS1_3genE4ELNS1_11target_archE910ELNS1_3gpuE8ELNS1_3repE0EEENS1_30default_config_static_selectorELNS0_4arch9wavefront6targetE1EEEvT1_
	.globl	_ZN7rocprim17ROCPRIM_400000_NS6detail17trampoline_kernelINS0_14default_configENS1_29reduce_by_key_config_selectorIyjN6thrust23THRUST_200600_302600_NS4plusIjEEEEZZNS1_33reduce_by_key_impl_wrapped_configILNS1_25lookback_scan_determinismE0ES3_S9_NS6_6detail15normal_iteratorINS6_10device_ptrIyEEEENSD_INSE_IjEEEESG_SI_PmS8_NS6_8equal_toIyEEEE10hipError_tPvRmT2_T3_mT4_T5_T6_T7_T8_P12ihipStream_tbENKUlT_T0_E_clISt17integral_constantIbLb1EES13_EEDaSY_SZ_EUlSY_E_NS1_11comp_targetILNS1_3genE4ELNS1_11target_archE910ELNS1_3gpuE8ELNS1_3repE0EEENS1_30default_config_static_selectorELNS0_4arch9wavefront6targetE1EEEvT1_
	.p2align	8
	.type	_ZN7rocprim17ROCPRIM_400000_NS6detail17trampoline_kernelINS0_14default_configENS1_29reduce_by_key_config_selectorIyjN6thrust23THRUST_200600_302600_NS4plusIjEEEEZZNS1_33reduce_by_key_impl_wrapped_configILNS1_25lookback_scan_determinismE0ES3_S9_NS6_6detail15normal_iteratorINS6_10device_ptrIyEEEENSD_INSE_IjEEEESG_SI_PmS8_NS6_8equal_toIyEEEE10hipError_tPvRmT2_T3_mT4_T5_T6_T7_T8_P12ihipStream_tbENKUlT_T0_E_clISt17integral_constantIbLb1EES13_EEDaSY_SZ_EUlSY_E_NS1_11comp_targetILNS1_3genE4ELNS1_11target_archE910ELNS1_3gpuE8ELNS1_3repE0EEENS1_30default_config_static_selectorELNS0_4arch9wavefront6targetE1EEEvT1_,@function
_ZN7rocprim17ROCPRIM_400000_NS6detail17trampoline_kernelINS0_14default_configENS1_29reduce_by_key_config_selectorIyjN6thrust23THRUST_200600_302600_NS4plusIjEEEEZZNS1_33reduce_by_key_impl_wrapped_configILNS1_25lookback_scan_determinismE0ES3_S9_NS6_6detail15normal_iteratorINS6_10device_ptrIyEEEENSD_INSE_IjEEEESG_SI_PmS8_NS6_8equal_toIyEEEE10hipError_tPvRmT2_T3_mT4_T5_T6_T7_T8_P12ihipStream_tbENKUlT_T0_E_clISt17integral_constantIbLb1EES13_EEDaSY_SZ_EUlSY_E_NS1_11comp_targetILNS1_3genE4ELNS1_11target_archE910ELNS1_3gpuE8ELNS1_3repE0EEENS1_30default_config_static_selectorELNS0_4arch9wavefront6targetE1EEEvT1_: ; @_ZN7rocprim17ROCPRIM_400000_NS6detail17trampoline_kernelINS0_14default_configENS1_29reduce_by_key_config_selectorIyjN6thrust23THRUST_200600_302600_NS4plusIjEEEEZZNS1_33reduce_by_key_impl_wrapped_configILNS1_25lookback_scan_determinismE0ES3_S9_NS6_6detail15normal_iteratorINS6_10device_ptrIyEEEENSD_INSE_IjEEEESG_SI_PmS8_NS6_8equal_toIyEEEE10hipError_tPvRmT2_T3_mT4_T5_T6_T7_T8_P12ihipStream_tbENKUlT_T0_E_clISt17integral_constantIbLb1EES13_EEDaSY_SZ_EUlSY_E_NS1_11comp_targetILNS1_3genE4ELNS1_11target_archE910ELNS1_3gpuE8ELNS1_3repE0EEENS1_30default_config_static_selectorELNS0_4arch9wavefront6targetE1EEEvT1_
; %bb.0:
	s_load_dwordx8 s[36:43], s[4:5], 0x0
	s_load_dwordx4 s[52:55], s[4:5], 0x20
	s_load_dwordx8 s[44:51], s[4:5], 0x38
	s_load_dwordx2 s[60:61], s[4:5], 0x68
	s_load_dwordx4 s[56:59], s[4:5], 0x58
	v_cmp_ne_u32_e64 s[2:3], 0, v0
	v_cmp_eq_u32_e64 s[0:1], 0, v0
	s_and_saveexec_b64 s[6:7], s[0:1]
	s_cbranch_execz .LBB708_4
; %bb.1:
	s_mov_b64 s[10:11], exec
	v_mbcnt_lo_u32_b32 v1, s10, 0
	v_mbcnt_hi_u32_b32 v1, s11, v1
	v_cmp_eq_u32_e32 vcc, 0, v1
                                        ; implicit-def: $vgpr2
	s_and_saveexec_b64 s[8:9], vcc
	s_cbranch_execz .LBB708_3
; %bb.2:
	s_load_dwordx2 s[4:5], s[4:5], 0x70
	s_bcnt1_i32_b64 s10, s[10:11]
	v_mov_b32_e32 v2, 0
	v_mov_b32_e32 v3, s10
	s_waitcnt lgkmcnt(0)
	global_atomic_add v2, v2, v3, s[4:5] glc
.LBB708_3:
	s_or_b64 exec, exec, s[8:9]
	s_waitcnt vmcnt(0)
	v_readfirstlane_b32 s4, v2
	v_add_u32_e32 v1, s4, v1
	v_mov_b32_e32 v2, 0
	ds_write_b32 v2, v1
.LBB708_4:
	s_or_b64 exec, exec, s[6:7]
	v_mov_b32_e32 v3, 0
	s_waitcnt lgkmcnt(0)
	s_lshl_b64 s[4:5], s[38:39], 3
	s_barrier
	ds_read_b32 v1, v3
	s_add_u32 s6, s36, s4
	s_addc_u32 s7, s37, s5
	s_lshl_b64 s[4:5], s[38:39], 2
	s_add_u32 s4, s40, s4
	s_mul_i32 s8, s48, s47
	s_mul_hi_u32 s9, s48, s46
	s_addc_u32 s5, s41, s5
	s_add_i32 s8, s9, s8
	s_mul_i32 s9, s49, s46
	s_add_i32 s8, s8, s9
	s_mul_i32 s9, s48, s46
	s_waitcnt lgkmcnt(0)
	v_readfirstlane_b32 s62, v1
	s_movk_i32 s10, 0xf00
	v_mul_lo_u32 v2, v1, s10
	s_add_u32 s40, s9, s62
	v_lshlrev_b64 v[4:5], 3, v[2:3]
	s_addc_u32 s41, s8, 0
	v_mov_b32_e32 v1, s7
	v_add_co_u32_e32 v48, vcc, s6, v4
	s_add_u32 s6, s50, -1
	v_addc_co_u32_e32 v49, vcc, v1, v5, vcc
	v_lshlrev_b64 v[2:3], 2, v[2:3]
	s_addc_u32 s7, s51, -1
	v_mov_b32_e32 v4, s5
	v_add_co_u32_e32 v1, vcc, s4, v2
	s_cmp_eq_u64 s[40:41], s[6:7]
	v_addc_co_u32_e32 v50, vcc, v4, v3, vcc
	s_cselect_b64 s[36:37], -1, 0
	s_cmp_lg_u64 s[40:41], s[6:7]
	s_mov_b64 s[4:5], -1
	s_cselect_b64 s[48:49], -1, 0
	s_mul_i32 s33, s6, 0xfffff100
	s_and_b64 vcc, exec, s[36:37]
	s_barrier
	s_cbranch_vccnz .LBB708_6
; %bb.5:
	v_lshlrev_b32_e32 v40, 3, v0
	v_add_co_u32_e32 v2, vcc, v48, v40
	v_addc_co_u32_e32 v3, vcc, 0, v49, vcc
	v_add_co_u32_e32 v4, vcc, 0x1000, v2
	v_addc_co_u32_e32 v5, vcc, 0, v3, vcc
	flat_load_dwordx2 v[6:7], v[2:3]
	flat_load_dwordx2 v[8:9], v[2:3] offset:2048
	flat_load_dwordx2 v[10:11], v[4:5]
	flat_load_dwordx2 v[12:13], v[4:5] offset:2048
	v_add_co_u32_e32 v4, vcc, 0x2000, v2
	v_addc_co_u32_e32 v5, vcc, 0, v3, vcc
	v_add_co_u32_e32 v14, vcc, 0x3000, v2
	v_addc_co_u32_e32 v15, vcc, 0, v3, vcc
	flat_load_dwordx2 v[16:17], v[4:5]
	flat_load_dwordx2 v[18:19], v[4:5] offset:2048
	flat_load_dwordx2 v[20:21], v[14:15]
	flat_load_dwordx2 v[22:23], v[14:15] offset:2048
	;; [unrolled: 8-line block ×3, first 2 shown]
	v_add_co_u32_e32 v4, vcc, 0x6000, v2
	v_addc_co_u32_e32 v5, vcc, 0, v3, vcc
	v_add_co_u32_e32 v2, vcc, 0x7000, v2
	v_addc_co_u32_e32 v3, vcc, 0, v3, vcc
	flat_load_dwordx2 v[14:15], v[4:5]
	flat_load_dwordx2 v[32:33], v[4:5] offset:2048
	flat_load_dwordx2 v[34:35], v[2:3]
	v_lshlrev_b32_e32 v2, 2, v0
	v_add_co_u32_e32 v36, vcc, v1, v2
	s_movk_i32 s4, 0x1000
	v_addc_co_u32_e32 v37, vcc, 0, v50, vcc
	v_add_co_u32_e32 v38, vcc, s4, v36
	s_movk_i32 s5, 0x2000
	v_addc_co_u32_e32 v39, vcc, 0, v37, vcc
	s_movk_i32 s6, 0x3000
	s_movk_i32 s7, 0x70
	v_mad_u32_u24 v41, v0, s7, v40
	s_movk_i32 s4, 0xff8c
	v_mul_u32_u24_e32 v51, 15, v0
	v_mad_u32_u24 v53, v0, 15, 1
	v_mad_u32_u24 v52, v0, 15, 2
	;; [unrolled: 1-line block ×14, first 2 shown]
	v_mad_i32_i24 v79, v0, s4, v41
	s_waitcnt vmcnt(0) lgkmcnt(0)
	ds_write2st64_b64 v40, v[6:7], v[8:9] offset1:4
	ds_write2st64_b64 v40, v[10:11], v[12:13] offset0:8 offset1:12
	ds_write2st64_b64 v40, v[16:17], v[18:19] offset0:16 offset1:20
	;; [unrolled: 1-line block ×6, first 2 shown]
	ds_write_b64 v40, v[34:35] offset:28672
	v_add_co_u32_e32 v30, vcc, s5, v36
	v_addc_co_u32_e32 v31, vcc, 0, v37, vcc
	v_add_co_u32_e32 v32, vcc, s6, v36
	s_waitcnt lgkmcnt(0)
	s_barrier
	ds_read2_b64 v[26:29], v41 offset1:1
	ds_read2_b64 v[22:25], v41 offset0:2 offset1:3
	ds_read2_b64 v[18:21], v41 offset0:4 offset1:5
	;; [unrolled: 1-line block ×6, first 2 shown]
	ds_read_b64 v[46:47], v41 offset:112
	s_waitcnt lgkmcnt(0)
	s_barrier
	flat_load_dword v44, v[36:37]
	flat_load_dword v45, v[36:37] offset:1024
	flat_load_dword v66, v[36:37] offset:2048
	;; [unrolled: 1-line block ×3, first 2 shown]
	flat_load_dword v68, v[38:39]
	flat_load_dword v69, v[38:39] offset:1024
	flat_load_dword v70, v[38:39] offset:2048
	;; [unrolled: 1-line block ×3, first 2 shown]
	v_addc_co_u32_e32 v33, vcc, 0, v37, vcc
	flat_load_dword v72, v[30:31]
	flat_load_dword v73, v[30:31] offset:1024
	flat_load_dword v74, v[30:31] offset:2048
	;; [unrolled: 1-line block ×3, first 2 shown]
	flat_load_dword v76, v[32:33]
	flat_load_dword v77, v[32:33] offset:1024
	flat_load_dword v78, v[32:33] offset:2048
	v_mov_b32_e32 v30, v26
	v_mov_b32_e32 v31, v27
	;; [unrolled: 1-line block ×14, first 2 shown]
	s_waitcnt vmcnt(0) lgkmcnt(0)
	ds_write2st64_b32 v79, v44, v45 offset1:4
	ds_write2st64_b32 v79, v66, v67 offset0:8 offset1:12
	ds_write2st64_b32 v79, v68, v69 offset0:16 offset1:20
	;; [unrolled: 1-line block ×6, first 2 shown]
	ds_write_b32 v79, v78 offset:14336
	s_waitcnt lgkmcnt(0)
	s_barrier
	s_add_i32 s33, s33, s56
	s_cbranch_execz .LBB708_7
	s_branch .LBB708_68
.LBB708_6:
                                        ; implicit-def: $vgpr46_vgpr47
                                        ; implicit-def: $vgpr2_vgpr3
                                        ; implicit-def: $vgpr6_vgpr7
                                        ; implicit-def: $vgpr10_vgpr11
                                        ; implicit-def: $vgpr14_vgpr15
                                        ; implicit-def: $vgpr18_vgpr19
                                        ; implicit-def: $vgpr22_vgpr23
                                        ; implicit-def: $vgpr26_vgpr27
                                        ; implicit-def: $vgpr64
                                        ; implicit-def: $vgpr65
                                        ; implicit-def: $vgpr62
                                        ; implicit-def: $vgpr63
                                        ; implicit-def: $vgpr59
                                        ; implicit-def: $vgpr61
                                        ; implicit-def: $vgpr57
                                        ; implicit-def: $vgpr60
                                        ; implicit-def: $vgpr56
                                        ; implicit-def: $vgpr58
                                        ; implicit-def: $vgpr54
                                        ; implicit-def: $vgpr55
                                        ; implicit-def: $vgpr52
                                        ; implicit-def: $vgpr53
                                        ; implicit-def: $vgpr51
                                        ; implicit-def: $vgpr38_vgpr39_vgpr40_vgpr41
                                        ; implicit-def: $vgpr34_vgpr35_vgpr36_vgpr37
                                        ; implicit-def: $vgpr30_vgpr31_vgpr32_vgpr33
                                        ; implicit-def: $vgpr42_vgpr43_vgpr44_vgpr45
	s_andn2_b64 vcc, exec, s[4:5]
	s_add_i32 s33, s33, s56
	s_cbranch_vccnz .LBB708_68
.LBB708_7:
	v_cmp_gt_u32_e32 vcc, s33, v0
                                        ; implicit-def: $vgpr2_vgpr3
	s_and_saveexec_b64 s[6:7], vcc
	s_cbranch_execz .LBB708_9
; %bb.8:
	v_lshlrev_b32_e32 v2, 3, v0
	v_add_co_u32_e64 v2, s[4:5], v48, v2
	v_addc_co_u32_e64 v3, s[4:5], 0, v49, s[4:5]
	flat_load_dwordx2 v[2:3], v[2:3]
.LBB708_9:
	s_or_b64 exec, exec, s[6:7]
	v_or_b32_e32 v4, 0x100, v0
	v_cmp_gt_u32_e64 s[4:5], s33, v4
                                        ; implicit-def: $vgpr4_vgpr5
	s_and_saveexec_b64 s[8:9], s[4:5]
	s_cbranch_execz .LBB708_11
; %bb.10:
	v_lshlrev_b32_e32 v4, 3, v0
	v_add_co_u32_e64 v4, s[6:7], v48, v4
	v_addc_co_u32_e64 v5, s[6:7], 0, v49, s[6:7]
	flat_load_dwordx2 v[4:5], v[4:5] offset:2048
.LBB708_11:
	s_or_b64 exec, exec, s[8:9]
	v_or_b32_e32 v8, 0x200, v0
	v_cmp_gt_u32_e64 s[6:7], s33, v8
                                        ; implicit-def: $vgpr6_vgpr7
	s_and_saveexec_b64 s[10:11], s[6:7]
	s_cbranch_execz .LBB708_13
; %bb.12:
	v_lshlrev_b32_e32 v6, 3, v8
	v_add_co_u32_e64 v6, s[8:9], v48, v6
	v_addc_co_u32_e64 v7, s[8:9], 0, v49, s[8:9]
	flat_load_dwordx2 v[6:7], v[6:7]
.LBB708_13:
	s_or_b64 exec, exec, s[10:11]
	v_or_b32_e32 v10, 0x300, v0
	v_cmp_gt_u32_e64 s[8:9], s33, v10
                                        ; implicit-def: $vgpr8_vgpr9
	s_and_saveexec_b64 s[12:13], s[8:9]
	s_cbranch_execz .LBB708_15
; %bb.14:
	v_lshlrev_b32_e32 v8, 3, v10
	v_add_co_u32_e64 v8, s[10:11], v48, v8
	v_addc_co_u32_e64 v9, s[10:11], 0, v49, s[10:11]
	flat_load_dwordx2 v[8:9], v[8:9]
.LBB708_15:
	s_or_b64 exec, exec, s[12:13]
	v_or_b32_e32 v33, 0x400, v0
	v_cmp_gt_u32_e64 s[10:11], s33, v33
                                        ; implicit-def: $vgpr10_vgpr11
	s_and_saveexec_b64 s[14:15], s[10:11]
	s_cbranch_execz .LBB708_17
; %bb.16:
	v_lshlrev_b32_e32 v10, 3, v33
	v_add_co_u32_e64 v10, s[12:13], v48, v10
	v_addc_co_u32_e64 v11, s[12:13], 0, v49, s[12:13]
	flat_load_dwordx2 v[10:11], v[10:11]
.LBB708_17:
	s_or_b64 exec, exec, s[14:15]
	v_or_b32_e32 v34, 0x500, v0
	v_cmp_gt_u32_e64 s[12:13], s33, v34
                                        ; implicit-def: $vgpr12_vgpr13
	s_and_saveexec_b64 s[16:17], s[12:13]
	s_cbranch_execz .LBB708_19
; %bb.18:
	v_lshlrev_b32_e32 v12, 3, v34
	v_add_co_u32_e64 v12, s[14:15], v48, v12
	v_addc_co_u32_e64 v13, s[14:15], 0, v49, s[14:15]
	flat_load_dwordx2 v[12:13], v[12:13]
.LBB708_19:
	s_or_b64 exec, exec, s[16:17]
	v_or_b32_e32 v35, 0x600, v0
	v_cmp_gt_u32_e64 s[14:15], s33, v35
                                        ; implicit-def: $vgpr14_vgpr15
	s_and_saveexec_b64 s[18:19], s[14:15]
	s_cbranch_execz .LBB708_21
; %bb.20:
	v_lshlrev_b32_e32 v14, 3, v35
	v_add_co_u32_e64 v14, s[16:17], v48, v14
	v_addc_co_u32_e64 v15, s[16:17], 0, v49, s[16:17]
	flat_load_dwordx2 v[14:15], v[14:15]
.LBB708_21:
	s_or_b64 exec, exec, s[18:19]
	v_or_b32_e32 v36, 0x700, v0
	v_cmp_gt_u32_e64 s[16:17], s33, v36
                                        ; implicit-def: $vgpr16_vgpr17
	s_and_saveexec_b64 s[20:21], s[16:17]
	s_cbranch_execz .LBB708_23
; %bb.22:
	v_lshlrev_b32_e32 v16, 3, v36
	v_add_co_u32_e64 v16, s[18:19], v48, v16
	v_addc_co_u32_e64 v17, s[18:19], 0, v49, s[18:19]
	flat_load_dwordx2 v[16:17], v[16:17]
.LBB708_23:
	s_or_b64 exec, exec, s[20:21]
	v_or_b32_e32 v38, 0x800, v0
	v_cmp_gt_u32_e64 s[18:19], s33, v38
                                        ; implicit-def: $vgpr18_vgpr19
	s_and_saveexec_b64 s[22:23], s[18:19]
	s_cbranch_execz .LBB708_25
; %bb.24:
	v_lshlrev_b32_e32 v18, 3, v38
	v_add_co_u32_e64 v18, s[20:21], v48, v18
	v_addc_co_u32_e64 v19, s[20:21], 0, v49, s[20:21]
	flat_load_dwordx2 v[18:19], v[18:19]
.LBB708_25:
	s_or_b64 exec, exec, s[22:23]
	v_or_b32_e32 v39, 0x900, v0
	v_cmp_gt_u32_e64 s[20:21], s33, v39
                                        ; implicit-def: $vgpr20_vgpr21
	s_and_saveexec_b64 s[24:25], s[20:21]
	s_cbranch_execz .LBB708_27
; %bb.26:
	v_lshlrev_b32_e32 v20, 3, v39
	v_add_co_u32_e64 v20, s[22:23], v48, v20
	v_addc_co_u32_e64 v21, s[22:23], 0, v49, s[22:23]
	flat_load_dwordx2 v[20:21], v[20:21]
.LBB708_27:
	s_or_b64 exec, exec, s[24:25]
	v_or_b32_e32 v40, 0xa00, v0
	v_cmp_gt_u32_e64 s[22:23], s33, v40
                                        ; implicit-def: $vgpr22_vgpr23
	s_and_saveexec_b64 s[26:27], s[22:23]
	s_cbranch_execz .LBB708_29
; %bb.28:
	v_lshlrev_b32_e32 v22, 3, v40
	v_add_co_u32_e64 v22, s[24:25], v48, v22
	v_addc_co_u32_e64 v23, s[24:25], 0, v49, s[24:25]
	flat_load_dwordx2 v[22:23], v[22:23]
.LBB708_29:
	s_or_b64 exec, exec, s[26:27]
	v_or_b32_e32 v41, 0xb00, v0
	v_cmp_gt_u32_e64 s[24:25], s33, v41
                                        ; implicit-def: $vgpr24_vgpr25
	s_and_saveexec_b64 s[28:29], s[24:25]
	s_cbranch_execz .LBB708_31
; %bb.30:
	v_lshlrev_b32_e32 v24, 3, v41
	v_add_co_u32_e64 v24, s[26:27], v48, v24
	v_addc_co_u32_e64 v25, s[26:27], 0, v49, s[26:27]
	flat_load_dwordx2 v[24:25], v[24:25]
.LBB708_31:
	s_or_b64 exec, exec, s[28:29]
	v_or_b32_e32 v42, 0xc00, v0
	v_cmp_gt_u32_e64 s[26:27], s33, v42
                                        ; implicit-def: $vgpr26_vgpr27
	s_and_saveexec_b64 s[30:31], s[26:27]
	s_cbranch_execz .LBB708_33
; %bb.32:
	v_lshlrev_b32_e32 v26, 3, v42
	v_add_co_u32_e64 v26, s[28:29], v48, v26
	v_addc_co_u32_e64 v27, s[28:29], 0, v49, s[28:29]
	flat_load_dwordx2 v[26:27], v[26:27]
.LBB708_33:
	s_or_b64 exec, exec, s[30:31]
	v_or_b32_e32 v43, 0xd00, v0
	v_cmp_gt_u32_e64 s[28:29], s33, v43
                                        ; implicit-def: $vgpr28_vgpr29
	s_and_saveexec_b64 s[34:35], s[28:29]
	s_cbranch_execz .LBB708_35
; %bb.34:
	v_lshlrev_b32_e32 v28, 3, v43
	v_add_co_u32_e64 v28, s[30:31], v48, v28
	v_addc_co_u32_e64 v29, s[30:31], 0, v49, s[30:31]
	flat_load_dwordx2 v[28:29], v[28:29]
.LBB708_35:
	s_or_b64 exec, exec, s[34:35]
	v_or_b32_e32 v44, 0xe00, v0
	v_cmp_gt_u32_e64 s[30:31], s33, v44
                                        ; implicit-def: $vgpr30_vgpr31
	s_and_saveexec_b64 s[38:39], s[30:31]
	s_cbranch_execz .LBB708_37
; %bb.36:
	v_lshlrev_b32_e32 v30, 3, v44
	v_add_co_u32_e64 v30, s[34:35], v48, v30
	v_addc_co_u32_e64 v31, s[34:35], 0, v49, s[34:35]
	flat_load_dwordx2 v[30:31], v[30:31]
.LBB708_37:
	s_or_b64 exec, exec, s[38:39]
	v_lshlrev_b32_e32 v32, 3, v0
	s_movk_i32 s34, 0x70
	s_waitcnt vmcnt(0) lgkmcnt(0)
	ds_write2st64_b64 v32, v[2:3], v[4:5] offset1:4
	ds_write2st64_b64 v32, v[6:7], v[8:9] offset0:8 offset1:12
	ds_write2st64_b64 v32, v[10:11], v[12:13] offset0:16 offset1:20
	;; [unrolled: 1-line block ×6, first 2 shown]
	ds_write_b64 v32, v[30:31] offset:28672
	v_mad_u32_u24 v30, v0, s34, v32
	s_waitcnt lgkmcnt(0)
	s_barrier
	ds_read2_b64 v[26:29], v30 offset1:1
	ds_read2_b64 v[22:25], v30 offset0:2 offset1:3
	ds_read2_b64 v[18:21], v30 offset0:4 offset1:5
	;; [unrolled: 1-line block ×6, first 2 shown]
	ds_read_b64 v[46:47], v30 offset:112
	s_waitcnt lgkmcnt(0)
	s_barrier
	s_waitcnt lgkmcnt(0)
                                        ; implicit-def: $vgpr31
	s_and_saveexec_b64 s[34:35], vcc
	s_cbranch_execz .LBB708_51
; %bb.38:
	v_lshlrev_b32_e32 v31, 2, v0
	v_add_co_u32_e32 v52, vcc, v1, v31
	v_addc_co_u32_e32 v53, vcc, 0, v50, vcc
	flat_load_dword v31, v[52:53]
	s_or_b64 exec, exec, s[34:35]
                                        ; implicit-def: $vgpr32
	s_and_saveexec_b64 s[34:35], s[4:5]
	s_cbranch_execnz .LBB708_52
.LBB708_39:
	s_or_b64 exec, exec, s[34:35]
                                        ; implicit-def: $vgpr37
	s_and_saveexec_b64 s[4:5], s[6:7]
	s_cbranch_execz .LBB708_53
.LBB708_40:
	v_lshlrev_b32_e32 v37, 2, v0
	v_add_co_u32_e32 v52, vcc, v1, v37
	v_addc_co_u32_e32 v53, vcc, 0, v50, vcc
	flat_load_dword v37, v[52:53] offset:2048
	s_or_b64 exec, exec, s[4:5]
                                        ; implicit-def: $vgpr45
	s_and_saveexec_b64 s[4:5], s[8:9]
	s_cbranch_execnz .LBB708_54
.LBB708_41:
	s_or_b64 exec, exec, s[4:5]
                                        ; implicit-def: $vgpr66
	s_and_saveexec_b64 s[4:5], s[10:11]
	s_cbranch_execz .LBB708_55
.LBB708_42:
	v_lshlrev_b32_e32 v33, 2, v33
	v_add_co_u32_e32 v52, vcc, v1, v33
	v_addc_co_u32_e32 v53, vcc, 0, v50, vcc
	flat_load_dword v66, v[52:53]
	s_or_b64 exec, exec, s[4:5]
                                        ; implicit-def: $vgpr33
	s_and_saveexec_b64 s[4:5], s[12:13]
	s_cbranch_execnz .LBB708_56
.LBB708_43:
	s_or_b64 exec, exec, s[4:5]
                                        ; implicit-def: $vgpr34
	s_and_saveexec_b64 s[4:5], s[14:15]
	s_cbranch_execz .LBB708_57
.LBB708_44:
	v_lshlrev_b32_e32 v34, 2, v35
	v_add_co_u32_e32 v34, vcc, v1, v34
	v_addc_co_u32_e32 v35, vcc, 0, v50, vcc
	flat_load_dword v34, v[34:35]
	s_or_b64 exec, exec, s[4:5]
                                        ; implicit-def: $vgpr35
	s_and_saveexec_b64 s[4:5], s[16:17]
	s_cbranch_execnz .LBB708_58
.LBB708_45:
	s_or_b64 exec, exec, s[4:5]
                                        ; implicit-def: $vgpr36
	s_and_saveexec_b64 s[4:5], s[18:19]
	s_cbranch_execz .LBB708_59
.LBB708_46:
	v_lshlrev_b32_e32 v36, 2, v38
	v_add_co_u32_e32 v52, vcc, v1, v36
	v_addc_co_u32_e32 v53, vcc, 0, v50, vcc
	flat_load_dword v36, v[52:53]
	s_or_b64 exec, exec, s[4:5]
                                        ; implicit-def: $vgpr38
	s_and_saveexec_b64 s[4:5], s[20:21]
	s_cbranch_execnz .LBB708_60
.LBB708_47:
	s_or_b64 exec, exec, s[4:5]
                                        ; implicit-def: $vgpr39
	s_and_saveexec_b64 s[4:5], s[22:23]
	s_cbranch_execz .LBB708_61
.LBB708_48:
	v_lshlrev_b32_e32 v39, 2, v40
	v_add_co_u32_e32 v52, vcc, v1, v39
	v_addc_co_u32_e32 v53, vcc, 0, v50, vcc
	flat_load_dword v39, v[52:53]
	s_or_b64 exec, exec, s[4:5]
                                        ; implicit-def: $vgpr40
	s_and_saveexec_b64 s[4:5], s[24:25]
	s_cbranch_execnz .LBB708_62
.LBB708_49:
	s_or_b64 exec, exec, s[4:5]
                                        ; implicit-def: $vgpr41
	s_and_saveexec_b64 s[4:5], s[26:27]
	s_cbranch_execz .LBB708_63
.LBB708_50:
	v_lshlrev_b32_e32 v41, 2, v42
	v_add_co_u32_e32 v52, vcc, v1, v41
	v_addc_co_u32_e32 v53, vcc, 0, v50, vcc
	flat_load_dword v41, v[52:53]
	s_or_b64 exec, exec, s[4:5]
                                        ; implicit-def: $vgpr42
	s_and_saveexec_b64 s[4:5], s[28:29]
	s_cbranch_execz .LBB708_65
	s_branch .LBB708_64
.LBB708_51:
	s_or_b64 exec, exec, s[34:35]
                                        ; implicit-def: $vgpr32
	s_and_saveexec_b64 s[34:35], s[4:5]
	s_cbranch_execz .LBB708_39
.LBB708_52:
	v_lshlrev_b32_e32 v32, 2, v0
	v_add_co_u32_e32 v52, vcc, v1, v32
	v_addc_co_u32_e32 v53, vcc, 0, v50, vcc
	flat_load_dword v32, v[52:53] offset:1024
	s_or_b64 exec, exec, s[34:35]
                                        ; implicit-def: $vgpr37
	s_and_saveexec_b64 s[4:5], s[6:7]
	s_cbranch_execnz .LBB708_40
.LBB708_53:
	s_or_b64 exec, exec, s[4:5]
                                        ; implicit-def: $vgpr45
	s_and_saveexec_b64 s[4:5], s[8:9]
	s_cbranch_execz .LBB708_41
.LBB708_54:
	v_lshlrev_b32_e32 v45, 2, v0
	v_add_co_u32_e32 v52, vcc, v1, v45
	v_addc_co_u32_e32 v53, vcc, 0, v50, vcc
	flat_load_dword v45, v[52:53] offset:3072
	s_or_b64 exec, exec, s[4:5]
                                        ; implicit-def: $vgpr66
	s_and_saveexec_b64 s[4:5], s[10:11]
	s_cbranch_execnz .LBB708_42
.LBB708_55:
	s_or_b64 exec, exec, s[4:5]
                                        ; implicit-def: $vgpr33
	s_and_saveexec_b64 s[4:5], s[12:13]
	s_cbranch_execz .LBB708_43
.LBB708_56:
	v_lshlrev_b32_e32 v33, 2, v34
	v_add_co_u32_e32 v52, vcc, v1, v33
	v_addc_co_u32_e32 v53, vcc, 0, v50, vcc
	flat_load_dword v33, v[52:53]
	s_or_b64 exec, exec, s[4:5]
                                        ; implicit-def: $vgpr34
	s_and_saveexec_b64 s[4:5], s[14:15]
	s_cbranch_execnz .LBB708_44
.LBB708_57:
	s_or_b64 exec, exec, s[4:5]
                                        ; implicit-def: $vgpr35
	s_and_saveexec_b64 s[4:5], s[16:17]
	s_cbranch_execz .LBB708_45
.LBB708_58:
	v_lshlrev_b32_e32 v35, 2, v36
	v_add_co_u32_e32 v52, vcc, v1, v35
	v_addc_co_u32_e32 v53, vcc, 0, v50, vcc
	flat_load_dword v35, v[52:53]
	s_or_b64 exec, exec, s[4:5]
                                        ; implicit-def: $vgpr36
	s_and_saveexec_b64 s[4:5], s[18:19]
	s_cbranch_execnz .LBB708_46
.LBB708_59:
	s_or_b64 exec, exec, s[4:5]
                                        ; implicit-def: $vgpr38
	s_and_saveexec_b64 s[4:5], s[20:21]
	s_cbranch_execz .LBB708_47
.LBB708_60:
	v_lshlrev_b32_e32 v38, 2, v39
	v_add_co_u32_e32 v38, vcc, v1, v38
	v_addc_co_u32_e32 v39, vcc, 0, v50, vcc
	flat_load_dword v38, v[38:39]
	s_or_b64 exec, exec, s[4:5]
                                        ; implicit-def: $vgpr39
	s_and_saveexec_b64 s[4:5], s[22:23]
	s_cbranch_execnz .LBB708_48
.LBB708_61:
	s_or_b64 exec, exec, s[4:5]
                                        ; implicit-def: $vgpr40
	s_and_saveexec_b64 s[4:5], s[24:25]
	s_cbranch_execz .LBB708_49
.LBB708_62:
	v_lshlrev_b32_e32 v40, 2, v41
	v_add_co_u32_e32 v40, vcc, v1, v40
	v_addc_co_u32_e32 v41, vcc, 0, v50, vcc
	flat_load_dword v40, v[40:41]
	s_or_b64 exec, exec, s[4:5]
                                        ; implicit-def: $vgpr41
	s_and_saveexec_b64 s[4:5], s[26:27]
	s_cbranch_execnz .LBB708_50
.LBB708_63:
	s_or_b64 exec, exec, s[4:5]
                                        ; implicit-def: $vgpr42
	s_and_saveexec_b64 s[4:5], s[28:29]
	s_cbranch_execz .LBB708_65
.LBB708_64:
	v_lshlrev_b32_e32 v42, 2, v43
	v_add_co_u32_e32 v42, vcc, v1, v42
	v_addc_co_u32_e32 v43, vcc, 0, v50, vcc
	flat_load_dword v42, v[42:43]
.LBB708_65:
	s_or_b64 exec, exec, s[4:5]
	v_mul_u32_u24_e32 v51, 15, v0
                                        ; implicit-def: $vgpr43
	s_and_saveexec_b64 s[4:5], s[30:31]
	s_cbranch_execz .LBB708_67
; %bb.66:
	v_lshlrev_b32_e32 v43, 2, v44
	v_add_co_u32_e32 v52, vcc, v1, v43
	v_addc_co_u32_e32 v53, vcc, 0, v50, vcc
	flat_load_dword v43, v[52:53]
.LBB708_67:
	s_or_b64 exec, exec, s[4:5]
	s_movk_i32 s4, 0xff8c
	v_mad_i32_i24 v1, v0, s4, v30
	v_add_u32_e32 v53, 1, v51
	v_add_u32_e32 v52, 2, v51
	;; [unrolled: 1-line block ×14, first 2 shown]
	s_waitcnt vmcnt(0) lgkmcnt(0)
	ds_write2st64_b32 v1, v31, v32 offset1:4
	ds_write2st64_b32 v1, v37, v45 offset0:8 offset1:12
	ds_write2st64_b32 v1, v66, v33 offset0:16 offset1:20
	ds_write2st64_b32 v1, v34, v35 offset0:24 offset1:28
	ds_write2st64_b32 v1, v36, v38 offset0:32 offset1:36
	ds_write2st64_b32 v1, v39, v40 offset0:40 offset1:44
	ds_write2st64_b32 v1, v41, v42 offset0:48 offset1:52
	ds_write_b32 v1, v43 offset:14336
	v_mov_b32_e32 v30, v26
	v_mov_b32_e32 v31, v27
	;; [unrolled: 1-line block ×14, first 2 shown]
	s_waitcnt lgkmcnt(0)
	s_barrier
.LBB708_68:
	v_lshlrev_b32_e32 v1, 2, v51
	v_lshlrev_b32_e32 v44, 2, v53
	;; [unrolled: 1-line block ×8, first 2 shown]
	ds_read_b32 v95, v1
	ds_read_b32 v94, v44
	;; [unrolled: 1-line block ×8, first 2 shown]
	v_lshlrev_b32_e32 v1, 2, v57
	v_lshlrev_b32_e32 v44, 2, v61
	;; [unrolled: 1-line block ×7, first 2 shown]
	ds_read_b32 v93, v1
	ds_read_b32 v91, v44
	;; [unrolled: 1-line block ×7, first 2 shown]
	s_cmp_eq_u64 s[40:41], 0
	s_cselect_b64 s[38:39], -1, 0
	s_cmp_lg_u64 s[40:41], 0
	s_mov_b64 s[6:7], 0
	s_cselect_b64 s[30:31], -1, 0
	s_and_b64 vcc, exec, s[48:49]
	s_waitcnt lgkmcnt(0)
	s_barrier
	s_cbranch_vccz .LBB708_74
; %bb.69:
	s_and_b64 vcc, exec, s[30:31]
	s_cbranch_vccz .LBB708_139
; %bb.70:
	v_add_co_u32_e32 v44, vcc, -8, v48
	v_addc_co_u32_e32 v45, vcc, -1, v49, vcc
	flat_load_dwordx2 v[44:45], v[44:45]
	v_lshlrev_b32_e32 v1, 3, v0
	v_cmp_ne_u64_e32 vcc, v[4:5], v[46:47]
	v_cmp_ne_u64_e64 s[4:5], v[2:3], v[4:5]
	v_cmp_ne_u64_e64 s[6:7], v[8:9], v[2:3]
	;; [unrolled: 1-line block ×13, first 2 shown]
	ds_write_b64 v1, v[46:47]
	s_waitcnt lgkmcnt(0)
	s_barrier
	s_and_saveexec_b64 s[34:35], s[2:3]
	s_cbranch_execz .LBB708_72
; %bb.71:
	v_add_u32_e32 v1, -8, v1
	s_waitcnt vmcnt(0)
	ds_read_b64 v[44:45], v1
.LBB708_72:
	s_or_b64 exec, exec, s[34:35]
	v_cndmask_b32_e64 v1, 0, 1, vcc
	v_cndmask_b32_e64 v68, 0, 1, s[4:5]
	v_cndmask_b32_e64 v69, 0, 1, s[6:7]
	;; [unrolled: 1-line block ×13, first 2 shown]
	s_waitcnt vmcnt(0) lgkmcnt(0)
	v_cmp_ne_u64_e64 s[4:5], v[44:45], v[26:27]
	s_mov_b64 s[6:7], -1
.LBB708_73:
                                        ; implicit-def: $sgpr12
	s_branch .LBB708_75
.LBB708_74:
                                        ; implicit-def: $sgpr4_sgpr5
                                        ; implicit-def: $vgpr1
                                        ; implicit-def: $vgpr68
                                        ; implicit-def: $vgpr69
                                        ; implicit-def: $vgpr70
                                        ; implicit-def: $vgpr71
                                        ; implicit-def: $vgpr72
                                        ; implicit-def: $vgpr73
                                        ; implicit-def: $vgpr74
                                        ; implicit-def: $vgpr75
                                        ; implicit-def: $vgpr76
                                        ; implicit-def: $vgpr77
                                        ; implicit-def: $vgpr78
                                        ; implicit-def: $vgpr79
                                        ; implicit-def: $vgpr80
                                        ; implicit-def: $sgpr12
	s_cbranch_execnz .LBB708_143
.LBB708_75:
	v_mov_b32_e32 v96, s12
	s_and_saveexec_b64 s[2:3], s[6:7]
.LBB708_76:
	v_cndmask_b32_e64 v96, 0, 1, s[4:5]
.LBB708_77:
	s_or_b64 exec, exec, s[2:3]
	s_cmp_eq_u64 s[46:47], 0
	v_add3_u32 v30, v80, v96, v79
	s_cselect_b64 s[34:35], -1, 0
	s_cmp_lg_u32 s62, 0
	v_cmp_eq_u32_e64 s[26:27], 0, v80
	v_cmp_eq_u32_e64 s[24:25], 0, v79
	;; [unrolled: 1-line block ×3, first 2 shown]
	v_add3_u32 v101, v30, v78, v77
	v_cmp_eq_u32_e64 s[20:21], 0, v77
	v_cmp_eq_u32_e64 s[18:19], 0, v76
	v_cmp_eq_u32_e64 s[16:17], 0, v75
	v_cmp_eq_u32_e64 s[14:15], 0, v74
	v_cmp_eq_u32_e64 s[12:13], 0, v73
	v_cmp_eq_u32_e64 s[10:11], 0, v72
	v_cmp_eq_u32_e64 s[8:9], 0, v71
	v_cmp_eq_u32_e64 s[6:7], 0, v70
	v_cmp_eq_u32_e64 s[4:5], 0, v69
	v_cmp_eq_u32_e64 s[2:3], 0, v68
	v_cmp_eq_u32_e32 vcc, 0, v1
	v_mbcnt_lo_u32_b32 v100, -1, 0
	v_lshrrev_b32_e32 v98, 6, v0
	v_or_b32_e32 v99, 63, v0
	s_cbranch_scc0 .LBB708_108
; %bb.78:
	v_cndmask_b32_e64 v30, 0, v95, s[26:27]
	v_add_u32_e32 v30, v30, v94
	v_cndmask_b32_e64 v30, 0, v30, s[24:25]
	v_add_u32_e32 v30, v30, v92
	;; [unrolled: 2-line block ×11, first 2 shown]
	v_cndmask_b32_e64 v30, 0, v30, s[4:5]
	v_add3_u32 v31, v101, v76, v75
	v_add_u32_e32 v30, v30, v83
	v_add3_u32 v31, v31, v74, v73
	v_cndmask_b32_e64 v30, 0, v30, s[2:3]
	v_add3_u32 v31, v31, v72, v71
	v_add_u32_e32 v30, v30, v82
	v_add3_u32 v31, v31, v70, v69
	v_cndmask_b32_e32 v30, 0, v30, vcc
	v_add3_u32 v31, v31, v68, v1
	v_add_u32_e32 v30, v30, v97
	v_mbcnt_hi_u32_b32 v39, -1, v100
	v_and_b32_e32 v32, 15, v39
	v_mov_b32_dpp v34, v30 row_shr:1 row_mask:0xf bank_mask:0xf
	v_cmp_eq_u32_e32 vcc, 0, v31
	v_mov_b32_dpp v33, v31 row_shr:1 row_mask:0xf bank_mask:0xf
	v_cndmask_b32_e32 v34, 0, v34, vcc
	v_cmp_eq_u32_e32 vcc, 0, v32
	v_cndmask_b32_e64 v33, v33, 0, vcc
	v_add_u32_e32 v31, v33, v31
	v_cndmask_b32_e64 v33, v34, 0, vcc
	v_add_u32_e32 v30, v33, v30
	v_cmp_eq_u32_e32 vcc, 0, v31
	v_mov_b32_dpp v33, v31 row_shr:2 row_mask:0xf bank_mask:0xf
	v_cmp_lt_u32_e64 s[28:29], 1, v32
	v_mov_b32_dpp v34, v30 row_shr:2 row_mask:0xf bank_mask:0xf
	v_cndmask_b32_e64 v33, 0, v33, s[28:29]
	s_and_b64 vcc, s[28:29], vcc
	v_cndmask_b32_e32 v34, 0, v34, vcc
	v_add_u32_e32 v31, v31, v33
	v_add_u32_e32 v30, v34, v30
	v_cmp_eq_u32_e32 vcc, 0, v31
	v_mov_b32_dpp v33, v31 row_shr:4 row_mask:0xf bank_mask:0xf
	v_cmp_lt_u32_e64 s[28:29], 3, v32
	v_mov_b32_dpp v34, v30 row_shr:4 row_mask:0xf bank_mask:0xf
	v_cndmask_b32_e64 v33, 0, v33, s[28:29]
	s_and_b64 vcc, s[28:29], vcc
	v_cndmask_b32_e32 v34, 0, v34, vcc
	v_add_u32_e32 v31, v33, v31
	v_add_u32_e32 v30, v30, v34
	v_cmp_eq_u32_e32 vcc, 0, v31
	v_cmp_lt_u32_e64 s[28:29], 7, v32
	v_mov_b32_dpp v33, v31 row_shr:8 row_mask:0xf bank_mask:0xf
	v_mov_b32_dpp v34, v30 row_shr:8 row_mask:0xf bank_mask:0xf
	s_and_b64 vcc, s[28:29], vcc
	v_cndmask_b32_e64 v32, 0, v33, s[28:29]
	v_cndmask_b32_e32 v33, 0, v34, vcc
	v_add_u32_e32 v30, v33, v30
	v_add_u32_e32 v31, v32, v31
	v_bfe_i32 v34, v39, 4, 1
	v_mov_b32_dpp v33, v30 row_bcast:15 row_mask:0xf bank_mask:0xf
	v_mov_b32_dpp v32, v31 row_bcast:15 row_mask:0xf bank_mask:0xf
	v_cmp_eq_u32_e32 vcc, 0, v31
	v_cndmask_b32_e32 v33, 0, v33, vcc
	v_and_b32_e32 v32, v34, v32
	v_add_u32_e32 v31, v32, v31
	v_and_b32_e32 v32, v34, v33
	v_add_u32_e32 v32, v32, v30
	v_mov_b32_dpp v30, v31 row_bcast:31 row_mask:0xf bank_mask:0xf
	v_cmp_eq_u32_e32 vcc, 0, v31
	v_cmp_lt_u32_e64 s[28:29], 31, v39
	v_mov_b32_dpp v33, v32 row_bcast:31 row_mask:0xf bank_mask:0xf
	v_cndmask_b32_e64 v30, 0, v30, s[28:29]
	s_and_b64 vcc, s[28:29], vcc
	v_add_u32_e32 v30, v30, v31
	v_cndmask_b32_e32 v31, 0, v33, vcc
	v_add_u32_e32 v31, v31, v32
	v_cmp_eq_u32_e32 vcc, v99, v0
	v_lshlrev_b32_e32 v32, 3, v98
	s_and_saveexec_b64 s[28:29], vcc
	s_cbranch_execz .LBB708_80
; %bb.79:
	ds_write_b64 v32, v[30:31] offset:4112
.LBB708_80:
	s_or_b64 exec, exec, s[28:29]
	v_cmp_gt_u32_e32 vcc, 4, v0
	s_waitcnt lgkmcnt(0)
	s_barrier
	s_and_saveexec_b64 s[30:31], vcc
	s_cbranch_execz .LBB708_82
; %bb.81:
	v_lshlrev_b32_e32 v33, 3, v0
	ds_read_b64 v[34:35], v33 offset:4112
	v_and_b32_e32 v36, 3, v39
	v_cmp_lt_u32_e64 s[28:29], 1, v36
	s_waitcnt lgkmcnt(0)
	v_mov_b32_dpp v38, v35 row_shr:1 row_mask:0xf bank_mask:0xf
	v_cmp_eq_u32_e32 vcc, 0, v34
	v_mov_b32_dpp v37, v34 row_shr:1 row_mask:0xf bank_mask:0xf
	v_cndmask_b32_e32 v38, 0, v38, vcc
	v_cmp_eq_u32_e32 vcc, 0, v36
	v_cndmask_b32_e64 v37, v37, 0, vcc
	v_add_u32_e32 v34, v37, v34
	v_cndmask_b32_e64 v37, v38, 0, vcc
	v_add_u32_e32 v35, v37, v35
	v_cmp_eq_u32_e32 vcc, 0, v34
	v_mov_b32_dpp v37, v34 row_shr:2 row_mask:0xf bank_mask:0xf
	v_mov_b32_dpp v38, v35 row_shr:2 row_mask:0xf bank_mask:0xf
	v_cndmask_b32_e64 v36, 0, v37, s[28:29]
	s_and_b64 vcc, s[28:29], vcc
	v_add_u32_e32 v34, v36, v34
	v_cndmask_b32_e32 v36, 0, v38, vcc
	v_add_u32_e32 v35, v36, v35
	ds_write_b64 v33, v[34:35] offset:4112
.LBB708_82:
	s_or_b64 exec, exec, s[30:31]
	v_cmp_gt_u32_e32 vcc, 64, v0
	v_cmp_lt_u32_e64 s[28:29], 63, v0
	v_mov_b32_e32 v36, 0
	v_mov_b32_e32 v37, 0
	s_waitcnt lgkmcnt(0)
	s_barrier
	s_and_saveexec_b64 s[30:31], s[28:29]
	s_cbranch_execz .LBB708_84
; %bb.83:
	ds_read_b64 v[36:37], v32 offset:4104
	v_cmp_eq_u32_e64 s[28:29], 0, v30
	s_waitcnt lgkmcnt(0)
	v_add_u32_e32 v32, v36, v30
	v_cndmask_b32_e64 v30, 0, v37, s[28:29]
	v_add_u32_e32 v31, v30, v31
	v_mov_b32_e32 v30, v32
.LBB708_84:
	s_or_b64 exec, exec, s[30:31]
	v_add_u32_e32 v32, -1, v39
	v_and_b32_e32 v33, 64, v39
	v_cmp_lt_i32_e64 s[28:29], v32, v33
	v_cndmask_b32_e64 v32, v32, v39, s[28:29]
	v_lshlrev_b32_e32 v32, 2, v32
	ds_bpermute_b32 v44, v32, v30
	ds_bpermute_b32 v45, v32, v31
	v_cmp_eq_u32_e64 s[28:29], 0, v39
	s_and_saveexec_b64 s[40:41], vcc
	s_cbranch_execz .LBB708_107
; %bb.85:
	v_mov_b32_e32 v35, 0
	ds_read_b64 v[30:31], v35 offset:4136
	s_waitcnt lgkmcnt(0)
	v_readfirstlane_b32 s48, v30
	v_readfirstlane_b32 s49, v31
	s_and_saveexec_b64 s[30:31], s[28:29]
	s_cbranch_execz .LBB708_87
; %bb.86:
	s_add_i32 s46, s62, 64
	s_mov_b32 s47, 0
	s_lshl_b64 s[50:51], s[46:47], 4
	s_add_u32 s50, s44, s50
	s_addc_u32 s51, s45, s51
	s_and_b32 s57, s49, 0xff000000
	s_mov_b32 s56, s47
	s_and_b32 s65, s49, 0xff0000
	s_mov_b32 s64, s47
	s_or_b64 s[56:57], s[64:65], s[56:57]
	s_and_b32 s65, s49, 0xff00
	s_or_b64 s[56:57], s[56:57], s[64:65]
	s_and_b32 s65, s49, 0xff
	s_or_b64 s[46:47], s[56:57], s[64:65]
	v_mov_b32_e32 v32, s48
	v_mov_b32_e32 v33, s47
	;; [unrolled: 1-line block ×3, first 2 shown]
	v_pk_mov_b32 v[30:31], s[50:51], s[50:51] op_sel:[0,1]
	;;#ASMSTART
	global_store_dwordx4 v[30:31], v[32:35] off	
s_waitcnt vmcnt(0)
	;;#ASMEND
.LBB708_87:
	s_or_b64 exec, exec, s[30:31]
	v_xad_u32 v38, v39, -1, s62
	v_add_u32_e32 v34, 64, v38
	v_lshlrev_b64 v[30:31], 4, v[34:35]
	v_mov_b32_e32 v32, s45
	v_add_co_u32_e32 v40, vcc, s44, v30
	v_addc_co_u32_e32 v41, vcc, v32, v31, vcc
	;;#ASMSTART
	global_load_dwordx4 v[30:33], v[40:41] off glc	
s_waitcnt vmcnt(0)
	;;#ASMEND
	v_and_b32_e32 v33, 0xff, v31
	v_and_b32_e32 v34, 0xff00, v31
	;; [unrolled: 1-line block ×3, first 2 shown]
	v_or3_b32 v33, 0, v33, v34
	v_or3_b32 v30, v30, 0, 0
	v_and_b32_e32 v31, 0xff000000, v31
	v_or3_b32 v31, v33, v42, v31
	v_or3_b32 v30, v30, 0, 0
	v_cmp_eq_u16_sdwa s[46:47], v32, v35 src0_sel:BYTE_0 src1_sel:DWORD
	s_and_saveexec_b64 s[30:31], s[46:47]
	s_cbranch_execz .LBB708_93
; %bb.88:
	s_mov_b32 s50, 1
	s_mov_b64 s[46:47], 0
	v_mov_b32_e32 v34, 0
.LBB708_89:                             ; =>This Loop Header: Depth=1
                                        ;     Child Loop BB708_90 Depth 2
	s_max_u32 s51, s50, 1
.LBB708_90:                             ;   Parent Loop BB708_89 Depth=1
                                        ; =>  This Inner Loop Header: Depth=2
	s_add_i32 s51, s51, -1
	s_cmp_eq_u32 s51, 0
	s_sleep 1
	s_cbranch_scc0 .LBB708_90
; %bb.91:                               ;   in Loop: Header=BB708_89 Depth=1
	s_cmp_lt_u32 s50, 32
	s_cselect_b64 s[56:57], -1, 0
	s_cmp_lg_u64 s[56:57], 0
	s_addc_u32 s50, s50, 0
	;;#ASMSTART
	global_load_dwordx4 v[30:33], v[40:41] off glc	
s_waitcnt vmcnt(0)
	;;#ASMEND
	v_cmp_ne_u16_sdwa s[56:57], v32, v34 src0_sel:BYTE_0 src1_sel:DWORD
	s_or_b64 s[46:47], s[56:57], s[46:47]
	s_andn2_b64 exec, exec, s[46:47]
	s_cbranch_execnz .LBB708_89
; %bb.92:
	s_or_b64 exec, exec, s[46:47]
.LBB708_93:
	s_or_b64 exec, exec, s[30:31]
	v_mov_b32_e32 v48, 2
	v_cmp_eq_u16_sdwa s[30:31], v32, v48 src0_sel:BYTE_0 src1_sel:DWORD
	v_lshlrev_b64 v[40:41], v39, -1
	v_and_b32_e32 v33, s31, v41
	v_and_b32_e32 v49, 63, v39
	v_or_b32_e32 v33, 0x80000000, v33
	v_cmp_ne_u32_e32 vcc, 63, v49
	v_and_b32_e32 v34, s30, v40
	v_ffbl_b32_e32 v33, v33
	v_addc_co_u32_e32 v35, vcc, 0, v39, vcc
	v_add_u32_e32 v33, 32, v33
	v_ffbl_b32_e32 v34, v34
	v_lshlrev_b32_e32 v50, 2, v35
	v_min_u32_e32 v33, v34, v33
	ds_bpermute_b32 v34, v50, v31
	v_cmp_eq_u32_e32 vcc, 0, v30
	v_cmp_lt_u32_e64 s[30:31], v49, v33
	ds_bpermute_b32 v35, v50, v30
	s_and_b64 vcc, s[30:31], vcc
	s_waitcnt lgkmcnt(1)
	v_cndmask_b32_e32 v34, 0, v34, vcc
	v_cmp_gt_u32_e32 vcc, 62, v49
	v_add_u32_e32 v31, v34, v31
	v_cndmask_b32_e64 v34, 0, 1, vcc
	v_lshlrev_b32_e32 v34, 1, v34
	v_add_lshl_u32 v51, v34, v39, 2
	s_waitcnt lgkmcnt(0)
	v_cndmask_b32_e64 v35, 0, v35, s[30:31]
	ds_bpermute_b32 v34, v51, v31
	v_add_u32_e32 v30, v35, v30
	ds_bpermute_b32 v35, v51, v30
	v_add_u32_e32 v52, 2, v49
	v_cmp_eq_u32_e32 vcc, 0, v30
	s_waitcnt lgkmcnt(1)
	v_cndmask_b32_e32 v34, 0, v34, vcc
	v_cmp_gt_u32_e32 vcc, v52, v33
	v_cndmask_b32_e64 v34, v34, 0, vcc
	v_add_u32_e32 v31, v34, v31
	s_waitcnt lgkmcnt(0)
	v_cndmask_b32_e64 v34, v35, 0, vcc
	v_cmp_gt_u32_e32 vcc, 60, v49
	v_cndmask_b32_e64 v35, 0, 1, vcc
	v_lshlrev_b32_e32 v35, 2, v35
	v_add_lshl_u32 v53, v35, v39, 2
	ds_bpermute_b32 v35, v53, v31
	v_add_u32_e32 v30, v30, v34
	ds_bpermute_b32 v34, v53, v30
	v_add_u32_e32 v54, 4, v49
	v_cmp_eq_u32_e32 vcc, 0, v30
	s_waitcnt lgkmcnt(1)
	v_cndmask_b32_e32 v35, 0, v35, vcc
	v_cmp_gt_u32_e32 vcc, v54, v33
	v_cndmask_b32_e64 v35, v35, 0, vcc
	s_waitcnt lgkmcnt(0)
	v_cndmask_b32_e64 v34, v34, 0, vcc
	v_cmp_gt_u32_e32 vcc, 56, v49
	v_add_u32_e32 v31, v31, v35
	v_cndmask_b32_e64 v35, 0, 1, vcc
	v_lshlrev_b32_e32 v35, 3, v35
	v_add_lshl_u32 v55, v35, v39, 2
	ds_bpermute_b32 v35, v55, v31
	v_add_u32_e32 v30, v30, v34
	ds_bpermute_b32 v34, v55, v30
	v_add_u32_e32 v56, 8, v49
	v_cmp_eq_u32_e32 vcc, 0, v30
	s_waitcnt lgkmcnt(1)
	v_cndmask_b32_e32 v35, 0, v35, vcc
	v_cmp_gt_u32_e32 vcc, v56, v33
	v_cndmask_b32_e64 v35, v35, 0, vcc
	s_waitcnt lgkmcnt(0)
	v_cndmask_b32_e64 v34, v34, 0, vcc
	v_cmp_gt_u32_e32 vcc, 48, v49
	v_add_u32_e32 v31, v31, v35
	;; [unrolled: 16-line block ×3, first 2 shown]
	v_cndmask_b32_e64 v35, 0, 1, vcc
	v_lshlrev_b32_e32 v35, 5, v35
	v_add_lshl_u32 v59, v35, v39, 2
	ds_bpermute_b32 v35, v59, v31
	v_add_u32_e32 v30, v30, v34
	ds_bpermute_b32 v34, v59, v30
	v_add_u32_e32 v60, 32, v49
	v_cmp_eq_u32_e32 vcc, 0, v30
	s_waitcnt lgkmcnt(1)
	v_cndmask_b32_e32 v35, 0, v35, vcc
	v_cmp_gt_u32_e32 vcc, v60, v33
	v_cndmask_b32_e64 v33, v35, 0, vcc
	v_add_u32_e32 v31, v33, v31
	s_waitcnt lgkmcnt(0)
	v_cndmask_b32_e64 v33, v34, 0, vcc
	v_add_u32_e32 v30, v33, v30
	v_mov_b32_e32 v39, 0
	s_branch .LBB708_95
.LBB708_94:                             ;   in Loop: Header=BB708_95 Depth=1
	s_or_b64 exec, exec, s[30:31]
	v_cmp_eq_u16_sdwa s[30:31], v32, v48 src0_sel:BYTE_0 src1_sel:DWORD
	v_and_b32_e32 v33, s31, v41
	v_or_b32_e32 v33, 0x80000000, v33
	v_and_b32_e32 v42, s30, v40
	v_ffbl_b32_e32 v33, v33
	v_add_u32_e32 v33, 32, v33
	v_ffbl_b32_e32 v42, v42
	v_min_u32_e32 v33, v42, v33
	ds_bpermute_b32 v42, v50, v31
	v_cmp_eq_u32_e32 vcc, 0, v30
	v_cmp_lt_u32_e64 s[30:31], v49, v33
	ds_bpermute_b32 v43, v50, v30
	s_and_b64 vcc, s[30:31], vcc
	s_waitcnt lgkmcnt(1)
	v_cndmask_b32_e32 v42, 0, v42, vcc
	v_add_u32_e32 v31, v42, v31
	ds_bpermute_b32 v42, v51, v31
	s_waitcnt lgkmcnt(1)
	v_cndmask_b32_e64 v43, 0, v43, s[30:31]
	v_add_u32_e32 v30, v43, v30
	v_cmp_eq_u32_e32 vcc, 0, v30
	ds_bpermute_b32 v43, v51, v30
	s_waitcnt lgkmcnt(1)
	v_cndmask_b32_e32 v42, 0, v42, vcc
	v_cmp_gt_u32_e32 vcc, v52, v33
	v_cndmask_b32_e64 v42, v42, 0, vcc
	v_add_u32_e32 v31, v42, v31
	ds_bpermute_b32 v42, v53, v31
	s_waitcnt lgkmcnt(1)
	v_cndmask_b32_e64 v43, v43, 0, vcc
	v_add_u32_e32 v30, v30, v43
	v_cmp_eq_u32_e32 vcc, 0, v30
	ds_bpermute_b32 v43, v53, v30
	s_waitcnt lgkmcnt(1)
	v_cndmask_b32_e32 v42, 0, v42, vcc
	v_cmp_gt_u32_e32 vcc, v54, v33
	v_cndmask_b32_e64 v42, v42, 0, vcc
	v_add_u32_e32 v31, v31, v42
	ds_bpermute_b32 v42, v55, v31
	s_waitcnt lgkmcnt(1)
	v_cndmask_b32_e64 v43, v43, 0, vcc
	v_add_u32_e32 v30, v30, v43
	ds_bpermute_b32 v43, v55, v30
	v_cmp_eq_u32_e32 vcc, 0, v30
	s_waitcnt lgkmcnt(1)
	v_cndmask_b32_e32 v42, 0, v42, vcc
	v_cmp_gt_u32_e32 vcc, v56, v33
	v_cndmask_b32_e64 v42, v42, 0, vcc
	v_add_u32_e32 v31, v31, v42
	ds_bpermute_b32 v42, v57, v31
	s_waitcnt lgkmcnt(1)
	v_cndmask_b32_e64 v43, v43, 0, vcc
	v_add_u32_e32 v30, v30, v43
	ds_bpermute_b32 v43, v57, v30
	v_cmp_eq_u32_e32 vcc, 0, v30
	;; [unrolled: 11-line block ×3, first 2 shown]
	s_waitcnt lgkmcnt(1)
	v_cndmask_b32_e32 v42, 0, v42, vcc
	v_cmp_gt_u32_e32 vcc, v60, v33
	v_cndmask_b32_e64 v33, v42, 0, vcc
	v_add_u32_e32 v31, v33, v31
	s_waitcnt lgkmcnt(0)
	v_cndmask_b32_e64 v33, v43, 0, vcc
	v_cmp_eq_u32_e32 vcc, 0, v34
	v_cndmask_b32_e32 v31, 0, v31, vcc
	v_subrev_u32_e32 v38, 64, v38
	v_add3_u32 v30, v30, v34, v33
	v_add_u32_e32 v31, v31, v35
.LBB708_95:                             ; =>This Loop Header: Depth=1
                                        ;     Child Loop BB708_98 Depth 2
                                        ;       Child Loop BB708_99 Depth 3
	v_cmp_ne_u16_sdwa s[30:31], v32, v48 src0_sel:BYTE_0 src1_sel:DWORD
	v_mov_b32_e32 v35, v31
	v_cndmask_b32_e64 v31, 0, 1, s[30:31]
	;;#ASMSTART
	;;#ASMEND
	v_cmp_ne_u32_e32 vcc, 0, v31
	s_cmp_lg_u64 vcc, exec
	v_mov_b32_e32 v34, v30
	s_cbranch_scc1 .LBB708_102
; %bb.96:                               ;   in Loop: Header=BB708_95 Depth=1
	v_lshlrev_b64 v[30:31], 4, v[38:39]
	v_mov_b32_e32 v32, s45
	v_add_co_u32_e32 v42, vcc, s44, v30
	v_addc_co_u32_e32 v43, vcc, v32, v31, vcc
	;;#ASMSTART
	global_load_dwordx4 v[30:33], v[42:43] off glc	
s_waitcnt vmcnt(0)
	;;#ASMEND
	v_and_b32_e32 v33, 0xff, v31
	v_and_b32_e32 v61, 0xff00, v31
	;; [unrolled: 1-line block ×3, first 2 shown]
	v_or3_b32 v33, 0, v33, v61
	v_or3_b32 v30, v30, 0, 0
	v_and_b32_e32 v31, 0xff000000, v31
	v_or3_b32 v31, v33, v62, v31
	v_or3_b32 v30, v30, 0, 0
	v_cmp_eq_u16_sdwa s[46:47], v32, v39 src0_sel:BYTE_0 src1_sel:DWORD
	s_and_saveexec_b64 s[30:31], s[46:47]
	s_cbranch_execz .LBB708_94
; %bb.97:                               ;   in Loop: Header=BB708_95 Depth=1
	s_mov_b32 s50, 1
	s_mov_b64 s[46:47], 0
.LBB708_98:                             ;   Parent Loop BB708_95 Depth=1
                                        ; =>  This Loop Header: Depth=2
                                        ;       Child Loop BB708_99 Depth 3
	s_max_u32 s51, s50, 1
.LBB708_99:                             ;   Parent Loop BB708_95 Depth=1
                                        ;     Parent Loop BB708_98 Depth=2
                                        ; =>    This Inner Loop Header: Depth=3
	s_add_i32 s51, s51, -1
	s_cmp_eq_u32 s51, 0
	s_sleep 1
	s_cbranch_scc0 .LBB708_99
; %bb.100:                              ;   in Loop: Header=BB708_98 Depth=2
	s_cmp_lt_u32 s50, 32
	s_cselect_b64 s[56:57], -1, 0
	s_cmp_lg_u64 s[56:57], 0
	s_addc_u32 s50, s50, 0
	;;#ASMSTART
	global_load_dwordx4 v[30:33], v[42:43] off glc	
s_waitcnt vmcnt(0)
	;;#ASMEND
	v_cmp_ne_u16_sdwa s[56:57], v32, v39 src0_sel:BYTE_0 src1_sel:DWORD
	s_or_b64 s[46:47], s[56:57], s[46:47]
	s_andn2_b64 exec, exec, s[46:47]
	s_cbranch_execnz .LBB708_98
; %bb.101:                              ;   in Loop: Header=BB708_95 Depth=1
	s_or_b64 exec, exec, s[46:47]
	s_branch .LBB708_94
.LBB708_102:                            ;   in Loop: Header=BB708_95 Depth=1
                                        ; implicit-def: $vgpr31
                                        ; implicit-def: $vgpr30
                                        ; implicit-def: $vgpr32
	s_cbranch_execz .LBB708_95
; %bb.103:
	s_and_saveexec_b64 s[30:31], s[28:29]
	s_cbranch_execz .LBB708_105
; %bb.104:
	s_cmp_eq_u32 s48, 0
	s_cselect_b64 vcc, -1, 0
	s_mov_b32 s47, 0
	v_cndmask_b32_e32 v30, 0, v35, vcc
	s_add_i32 s46, s62, 64
	v_add_u32_e32 v30, s49, v30
	s_lshl_b64 s[46:47], s[46:47], 4
	s_add_u32 s46, s44, s46
	v_and_b32_e32 v31, 0xff000000, v30
	v_and_b32_e32 v32, 0xff0000, v30
	s_addc_u32 s47, s45, s47
	v_or_b32_e32 v31, v32, v31
	v_and_b32_e32 v32, 0xff00, v30
	v_and_b32_e32 v30, 0xff, v30
	v_add_u32_e32 v38, s48, v34
	v_mov_b32_e32 v41, 0
	v_or3_b32 v39, v31, v32, v30
	v_mov_b32_e32 v40, 2
	v_pk_mov_b32 v[30:31], s[46:47], s[46:47] op_sel:[0,1]
	;;#ASMSTART
	global_store_dwordx4 v[30:31], v[38:41] off	
s_waitcnt vmcnt(0)
	;;#ASMEND
	v_mov_b32_e32 v32, s48
	v_mov_b32_e32 v33, s49
	ds_write_b128 v41, v[32:35] offset:4096
.LBB708_105:
	s_or_b64 exec, exec, s[30:31]
	s_and_b64 exec, exec, s[0:1]
	s_cbranch_execz .LBB708_107
; %bb.106:
	v_mov_b32_e32 v30, 0
	ds_write_b64 v30, v[34:35] offset:4136
.LBB708_107:
	s_or_b64 exec, exec, s[40:41]
	v_mov_b32_e32 v32, 0
	s_waitcnt lgkmcnt(0)
	s_barrier
	ds_read_b64 v[30:31], v32 offset:4136
	v_cndmask_b32_e64 v34, v44, v36, s[28:29]
	v_cmp_eq_u32_e32 vcc, 0, v34
	v_cndmask_b32_e64 v33, v45, v37, s[28:29]
	s_waitcnt lgkmcnt(0)
	v_cndmask_b32_e32 v35, 0, v31, vcc
	v_add_u32_e32 v33, v35, v33
	v_cndmask_b32_e64 v67, v33, v31, s[0:1]
	v_cndmask_b32_e64 v31, v34, 0, s[0:1]
	v_cmp_eq_u32_e32 vcc, 0, v96
	v_add_u32_e32 v66, v30, v31
	v_cndmask_b32_e32 v30, 0, v67, vcc
	v_add_u32_e32 v65, v30, v95
	v_cndmask_b32_e64 v30, 0, v65, s[26:27]
	v_add_u32_e32 v63, v30, v94
	v_cndmask_b32_e64 v30, 0, v63, s[24:25]
	;; [unrolled: 2-line block ×8, first 2 shown]
	v_add_u32_e32 v64, v66, v96
	v_add_u32_e32 v49, v30, v93
	v_add_u32_e32 v62, v64, v80
	v_cndmask_b32_e64 v30, 0, v49, s[10:11]
	v_add_u32_e32 v60, v62, v79
	v_add_u32_e32 v45, v30, v91
	v_add_u32_e32 v58, v60, v78
	v_cndmask_b32_e64 v30, 0, v45, s[8:9]
	;; [unrolled: 4-line block ×3, first 2 shown]
	v_add_u32_e32 v52, v54, v75
	v_add_u32_e32 v41, v30, v87
	s_barrier
	ds_read_b128 v[30:33], v32 offset:4096
	v_add_u32_e32 v50, v52, v74
	v_add_u32_e32 v48, v50, v73
	;; [unrolled: 1-line block ×4, first 2 shown]
	v_cndmask_b32_e64 v34, 0, v41, s[4:5]
	v_add_u32_e32 v40, v42, v70
	v_add_u32_e32 v39, v34, v83
	s_waitcnt lgkmcnt(0)
	v_cmp_eq_u32_e32 vcc, 0, v30
	v_add_u32_e32 v38, v40, v69
	v_cndmask_b32_e64 v34, 0, v39, s[2:3]
	v_cndmask_b32_e32 v33, 0, v33, vcc
	v_add_u32_e32 v36, v38, v68
	v_add_u32_e32 v37, v34, v82
	;; [unrolled: 1-line block ×3, first 2 shown]
	s_branch .LBB708_120
.LBB708_108:
                                        ; implicit-def: $vgpr30
                                        ; implicit-def: $vgpr81
                                        ; implicit-def: $vgpr66_vgpr67
                                        ; implicit-def: $vgpr64_vgpr65
                                        ; implicit-def: $vgpr62_vgpr63
                                        ; implicit-def: $vgpr60_vgpr61
                                        ; implicit-def: $vgpr58_vgpr59
                                        ; implicit-def: $vgpr56_vgpr57
                                        ; implicit-def: $vgpr54_vgpr55
                                        ; implicit-def: $vgpr52_vgpr53
                                        ; implicit-def: $vgpr50_vgpr51
                                        ; implicit-def: $vgpr48_vgpr49
                                        ; implicit-def: $vgpr44_vgpr45
                                        ; implicit-def: $vgpr42_vgpr43
                                        ; implicit-def: $vgpr40_vgpr41
                                        ; implicit-def: $vgpr38_vgpr39
                                        ; implicit-def: $vgpr36_vgpr37
	s_cbranch_execz .LBB708_120
; %bb.109:
	s_and_b64 s[2:3], s[34:35], exec
	s_cselect_b32 s3, 0, s61
	s_cselect_b32 s2, 0, s60
	s_cmp_eq_u64 s[2:3], 0
	v_mov_b32_e32 v34, v95
	s_cbranch_scc1 .LBB708_111
; %bb.110:
	v_mov_b32_e32 v30, 0
	global_load_dword v34, v30, s[2:3]
.LBB708_111:
	v_cmp_eq_u32_e64 s[2:3], 0, v80
	v_cndmask_b32_e64 v30, 0, v95, s[2:3]
	v_add_u32_e32 v30, v30, v94
	v_cmp_eq_u32_e64 s[4:5], 0, v79
	v_cndmask_b32_e64 v30, 0, v30, s[4:5]
	v_add_u32_e32 v30, v30, v92
	;; [unrolled: 3-line block ×11, first 2 shown]
	v_cmp_eq_u32_e64 s[24:25], 0, v69
	v_cndmask_b32_e64 v30, 0, v30, s[24:25]
	v_add3_u32 v31, v101, v76, v75
	v_add_u32_e32 v30, v30, v83
	v_cmp_eq_u32_e32 vcc, 0, v68
	v_add3_u32 v31, v31, v74, v73
	v_cndmask_b32_e32 v30, 0, v30, vcc
	v_add3_u32 v31, v31, v72, v71
	v_add_u32_e32 v30, v30, v82
	v_cmp_eq_u32_e64 s[26:27], 0, v1
	v_add3_u32 v31, v31, v70, v69
	v_cndmask_b32_e64 v30, 0, v30, s[26:27]
	v_add3_u32 v31, v31, v68, v1
	v_add_u32_e32 v30, v30, v97
	v_mbcnt_hi_u32_b32 v35, -1, v100
	v_and_b32_e32 v32, 15, v35
	v_mov_b32_dpp v36, v30 row_shr:1 row_mask:0xf bank_mask:0xf
	v_cmp_eq_u32_e64 s[26:27], 0, v31
	v_mov_b32_dpp v33, v31 row_shr:1 row_mask:0xf bank_mask:0xf
	v_cndmask_b32_e64 v36, 0, v36, s[26:27]
	v_cmp_eq_u32_e64 s[26:27], 0, v32
	v_cndmask_b32_e64 v33, v33, 0, s[26:27]
	v_add_u32_e32 v31, v33, v31
	v_cndmask_b32_e64 v33, v36, 0, s[26:27]
	v_add_u32_e32 v30, v33, v30
	v_cmp_eq_u32_e64 s[26:27], 0, v31
	v_mov_b32_dpp v33, v31 row_shr:2 row_mask:0xf bank_mask:0xf
	v_cmp_lt_u32_e64 s[28:29], 1, v32
	v_mov_b32_dpp v36, v30 row_shr:2 row_mask:0xf bank_mask:0xf
	v_cndmask_b32_e64 v33, 0, v33, s[28:29]
	s_and_b64 s[26:27], s[28:29], s[26:27]
	v_cndmask_b32_e64 v36, 0, v36, s[26:27]
	v_add_u32_e32 v31, v31, v33
	v_add_u32_e32 v30, v36, v30
	v_cmp_eq_u32_e64 s[26:27], 0, v31
	v_mov_b32_dpp v33, v31 row_shr:4 row_mask:0xf bank_mask:0xf
	v_cmp_lt_u32_e64 s[28:29], 3, v32
	v_mov_b32_dpp v36, v30 row_shr:4 row_mask:0xf bank_mask:0xf
	v_cndmask_b32_e64 v33, 0, v33, s[28:29]
	s_and_b64 s[26:27], s[28:29], s[26:27]
	v_cndmask_b32_e64 v36, 0, v36, s[26:27]
	v_add_u32_e32 v31, v33, v31
	v_add_u32_e32 v30, v30, v36
	v_cmp_eq_u32_e64 s[26:27], 0, v31
	v_cmp_lt_u32_e64 s[28:29], 7, v32
	v_mov_b32_dpp v33, v31 row_shr:8 row_mask:0xf bank_mask:0xf
	v_mov_b32_dpp v36, v30 row_shr:8 row_mask:0xf bank_mask:0xf
	s_and_b64 s[26:27], s[28:29], s[26:27]
	v_cndmask_b32_e64 v32, 0, v33, s[28:29]
	v_cndmask_b32_e64 v33, 0, v36, s[26:27]
	v_add_u32_e32 v30, v33, v30
	v_add_u32_e32 v31, v32, v31
	v_bfe_i32 v36, v35, 4, 1
	v_mov_b32_dpp v33, v30 row_bcast:15 row_mask:0xf bank_mask:0xf
	v_mov_b32_dpp v32, v31 row_bcast:15 row_mask:0xf bank_mask:0xf
	v_cmp_eq_u32_e64 s[26:27], 0, v31
	v_cndmask_b32_e64 v33, 0, v33, s[26:27]
	v_and_b32_e32 v32, v36, v32
	v_add_u32_e32 v31, v32, v31
	v_and_b32_e32 v32, v36, v33
	v_add_u32_e32 v32, v32, v30
	v_mov_b32_dpp v30, v31 row_bcast:31 row_mask:0xf bank_mask:0xf
	v_cmp_eq_u32_e64 s[26:27], 0, v31
	v_cmp_lt_u32_e64 s[28:29], 31, v35
	v_mov_b32_dpp v33, v32 row_bcast:31 row_mask:0xf bank_mask:0xf
	v_cndmask_b32_e64 v30, 0, v30, s[28:29]
	s_and_b64 s[26:27], s[28:29], s[26:27]
	v_add_u32_e32 v30, v30, v31
	v_cndmask_b32_e64 v31, 0, v33, s[26:27]
	v_add_u32_e32 v31, v31, v32
	v_cmp_eq_u32_e64 s[26:27], v99, v0
	s_and_saveexec_b64 s[28:29], s[26:27]
	s_cbranch_execz .LBB708_113
; %bb.112:
	v_lshlrev_b32_e32 v32, 3, v98
	ds_write_b64 v32, v[30:31] offset:4112
.LBB708_113:
	s_or_b64 exec, exec, s[28:29]
	v_cmp_gt_u32_e64 s[26:27], 4, v0
	s_waitcnt lgkmcnt(0)
	s_barrier
	s_and_saveexec_b64 s[30:31], s[26:27]
	s_cbranch_execz .LBB708_115
; %bb.114:
	v_lshlrev_b32_e32 v36, 3, v0
	ds_read_b64 v[32:33], v36 offset:4112
	v_and_b32_e32 v37, 3, v35
	v_cmp_lt_u32_e64 s[28:29], 1, v37
	s_waitcnt lgkmcnt(0)
	v_mov_b32_dpp v39, v33 row_shr:1 row_mask:0xf bank_mask:0xf
	v_cmp_eq_u32_e64 s[26:27], 0, v32
	v_mov_b32_dpp v38, v32 row_shr:1 row_mask:0xf bank_mask:0xf
	v_cndmask_b32_e64 v39, 0, v39, s[26:27]
	v_cmp_eq_u32_e64 s[26:27], 0, v37
	v_cndmask_b32_e64 v38, v38, 0, s[26:27]
	v_add_u32_e32 v32, v38, v32
	v_cndmask_b32_e64 v38, v39, 0, s[26:27]
	v_add_u32_e32 v33, v38, v33
	v_cmp_eq_u32_e64 s[26:27], 0, v32
	v_mov_b32_dpp v38, v32 row_shr:2 row_mask:0xf bank_mask:0xf
	v_mov_b32_dpp v39, v33 row_shr:2 row_mask:0xf bank_mask:0xf
	v_cndmask_b32_e64 v37, 0, v38, s[28:29]
	s_and_b64 s[26:27], s[28:29], s[26:27]
	v_add_u32_e32 v32, v37, v32
	v_cndmask_b32_e64 v37, 0, v39, s[26:27]
	v_add_u32_e32 v33, v37, v33
	ds_write_b64 v36, v[32:33] offset:4112
.LBB708_115:
	s_or_b64 exec, exec, s[30:31]
	v_cmp_lt_u32_e64 s[26:27], 63, v0
	v_mov_b32_e32 v36, 0
	v_mov_b32_e32 v32, 0
	s_waitcnt vmcnt(0)
	v_mov_b32_e32 v33, v34
	s_waitcnt lgkmcnt(0)
	s_barrier
	s_and_saveexec_b64 s[28:29], s[26:27]
	s_cbranch_execz .LBB708_117
; %bb.116:
	v_lshlrev_b32_e32 v32, 3, v98
	ds_read_b64 v[32:33], v32 offset:4104
	s_waitcnt lgkmcnt(0)
	v_cmp_eq_u32_e64 s[26:27], 0, v32
	v_cndmask_b32_e64 v37, 0, v34, s[26:27]
	v_add_u32_e32 v33, v37, v33
.LBB708_117:
	s_or_b64 exec, exec, s[28:29]
	v_cmp_eq_u32_e64 s[26:27], 0, v30
	v_add_u32_e32 v37, v32, v30
	v_cndmask_b32_e64 v30, 0, v33, s[26:27]
	v_add_u32_e32 v30, v30, v31
	v_add_u32_e32 v31, -1, v35
	v_and_b32_e32 v38, 64, v35
	v_cmp_lt_i32_e64 s[26:27], v31, v38
	v_cndmask_b32_e64 v31, v31, v35, s[26:27]
	v_lshlrev_b32_e32 v31, 2, v31
	ds_bpermute_b32 v30, v31, v30
	ds_bpermute_b32 v37, v31, v37
	v_cmp_eq_u32_e64 s[26:27], 0, v35
	s_waitcnt lgkmcnt(1)
	v_cndmask_b32_e64 v30, v30, v33, s[26:27]
	s_waitcnt lgkmcnt(0)
	v_cndmask_b32_e64 v31, v37, v32, s[26:27]
	v_cndmask_b32_e64 v67, v30, v34, s[0:1]
	v_cmp_eq_u32_e64 s[26:27], 0, v96
	v_cndmask_b32_e64 v30, 0, v67, s[26:27]
	v_add_u32_e32 v65, v30, v95
	v_cndmask_b32_e64 v30, 0, v65, s[2:3]
	v_add_u32_e32 v63, v30, v94
	;; [unrolled: 2-line block ×8, first 2 shown]
	v_cndmask_b32_e64 v66, v31, 0, s[0:1]
	v_cndmask_b32_e64 v30, 0, v51, s[16:17]
	v_add_u32_e32 v64, v66, v96
	v_add_u32_e32 v49, v30, v93
	v_add_u32_e32 v62, v64, v80
	v_cndmask_b32_e64 v30, 0, v49, s[18:19]
	v_add_u32_e32 v60, v62, v79
	v_add_u32_e32 v45, v30, v91
	v_add_u32_e32 v58, v60, v78
	;; [unrolled: 4-line block ×3, first 2 shown]
	v_cndmask_b32_e64 v30, 0, v43, s[22:23]
	v_add_u32_e32 v52, v54, v75
	v_add_u32_e32 v41, v30, v87
	ds_read_b64 v[30:31], v36 offset:4136
	v_add_u32_e32 v50, v52, v74
	v_add_u32_e32 v48, v50, v73
	;; [unrolled: 1-line block ×3, first 2 shown]
	v_cndmask_b32_e64 v32, 0, v41, s[24:25]
	v_add_u32_e32 v42, v44, v71
	v_add_u32_e32 v39, v32, v83
	;; [unrolled: 1-line block ×3, first 2 shown]
	v_cndmask_b32_e32 v32, 0, v39, vcc
	s_waitcnt lgkmcnt(0)
	v_cmp_eq_u32_e32 vcc, 0, v30
	v_add_u32_e32 v38, v40, v69
	v_add_u32_e32 v37, v32, v82
	v_cndmask_b32_e32 v32, 0, v34, vcc
	v_add_u32_e32 v36, v38, v68
	v_add_u32_e32 v81, v32, v31
	s_and_saveexec_b64 s[2:3], s[0:1]
	s_cbranch_execz .LBB708_119
; %bb.118:
	s_add_u32 s4, s44, 0x400
	v_and_b32_e32 v31, 0xff000000, v81
	v_and_b32_e32 v32, 0xff0000, v81
	s_addc_u32 s5, s45, 0
	v_or_b32_e32 v31, v32, v31
	v_and_b32_e32 v32, 0xff00, v81
	v_and_b32_e32 v34, 0xff, v81
	v_mov_b32_e32 v33, 0
	v_or3_b32 v31, v31, v32, v34
	v_mov_b32_e32 v32, 2
	v_pk_mov_b32 v[34:35], s[4:5], s[4:5] op_sel:[0,1]
	;;#ASMSTART
	global_store_dwordx4 v[34:35], v[30:33] off	
s_waitcnt vmcnt(0)
	;;#ASMEND
.LBB708_119:
	s_or_b64 exec, exec, s[2:3]
	v_mov_b32_e32 v32, 0
.LBB708_120:
	s_and_b64 s[2:3], s[34:35], exec
	s_cselect_b32 s3, 0, s59
	s_cselect_b32 s2, 0, s58
	s_cmp_eq_u64 s[2:3], 0
	v_pk_mov_b32 v[34:35], 0, 0
	s_barrier
	s_cbranch_scc1 .LBB708_122
; %bb.121:
	v_mov_b32_e32 v31, 0
	global_load_dwordx2 v[34:35], v31, s[2:3]
.LBB708_122:
	s_waitcnt vmcnt(0)
	v_lshlrev_b64 v[82:83], 3, v[34:35]
	v_mov_b32_e32 v31, s43
	v_add_co_u32_e32 v84, vcc, s42, v82
	v_mov_b32_e32 v33, 0
	v_addc_co_u32_e32 v85, vcc, v31, v83, vcc
	v_lshlrev_b64 v[82:83], 3, v[32:33]
	v_add_co_u32_e32 v31, vcc, v84, v82
	v_addc_co_u32_e32 v82, vcc, v85, v83, vcc
	v_cmp_eq_u32_e32 vcc, 0, v96
	v_cndmask_b32_e64 v83, 1, 2, vcc
	v_cmp_eq_u32_e32 vcc, 0, v80
	v_cndmask_b32_e64 v84, 1, 2, vcc
	v_cmp_eq_u32_e32 vcc, 0, v79
	v_and_b32_e32 v83, v84, v83
	v_cndmask_b32_e64 v84, 1, 2, vcc
	v_cmp_eq_u32_e32 vcc, 0, v78
	v_and_b32_e32 v83, v83, v84
	;; [unrolled: 3-line block ×13, first 2 shown]
	v_cndmask_b32_e64 v84, 1, 2, vcc
	s_movk_i32 s34, 0x100
	v_and_b32_e32 v83, v83, v84
	v_cmp_gt_u32_e32 vcc, s34, v30
	v_cmp_ne_u32_e64 s[30:31], 0, v96
	v_cmp_ne_u32_e64 s[28:29], 0, v80
	;; [unrolled: 1-line block ×15, first 2 shown]
	s_mov_b64 s[40:41], -1
	v_cmp_gt_i16_e64 s[34:35], 2, v83
	s_cbranch_vccz .LBB708_171
; %bb.123:
	s_and_saveexec_b64 s[40:41], s[34:35]
	s_cbranch_execz .LBB708_170
; %bb.124:
	v_cmp_ne_u16_e32 vcc, 1, v83
	s_mov_b64 s[42:43], 0
	s_and_saveexec_b64 s[34:35], vcc
	s_xor_b64 s[34:35], exec, s[34:35]
	s_cbranch_execz .LBB708_148
; %bb.125:
	s_and_saveexec_b64 s[42:43], s[30:31]
	s_cbranch_execz .LBB708_153
; %bb.126:
	v_sub_u32_e32 v84, v66, v32
	v_mov_b32_e32 v85, 0
	v_lshlrev_b64 v[84:85], 3, v[84:85]
	v_add_co_u32_e32 v84, vcc, v31, v84
	v_addc_co_u32_e32 v85, vcc, v82, v85, vcc
	global_store_dwordx2 v[84:85], v[26:27], off
	s_or_b64 exec, exec, s[42:43]
	s_and_saveexec_b64 s[42:43], s[28:29]
	s_cbranch_execnz .LBB708_154
.LBB708_127:
	s_or_b64 exec, exec, s[42:43]
	s_and_saveexec_b64 s[42:43], s[26:27]
	s_cbranch_execz .LBB708_155
.LBB708_128:
	v_sub_u32_e32 v84, v62, v32
	v_mov_b32_e32 v85, 0
	v_lshlrev_b64 v[84:85], 3, v[84:85]
	v_add_co_u32_e32 v84, vcc, v31, v84
	v_addc_co_u32_e32 v85, vcc, v82, v85, vcc
	global_store_dwordx2 v[84:85], v[22:23], off
	s_or_b64 exec, exec, s[42:43]
	s_and_saveexec_b64 s[42:43], s[24:25]
	s_cbranch_execnz .LBB708_156
.LBB708_129:
	s_or_b64 exec, exec, s[42:43]
	s_and_saveexec_b64 s[42:43], s[22:23]
	s_cbranch_execz .LBB708_157
.LBB708_130:
	v_sub_u32_e32 v84, v58, v32
	v_mov_b32_e32 v85, 0
	v_lshlrev_b64 v[84:85], 3, v[84:85]
	v_add_co_u32_e32 v84, vcc, v31, v84
	v_addc_co_u32_e32 v85, vcc, v82, v85, vcc
	global_store_dwordx2 v[84:85], v[18:19], off
	s_or_b64 exec, exec, s[42:43]
	s_and_saveexec_b64 s[42:43], s[20:21]
	s_cbranch_execnz .LBB708_158
.LBB708_131:
	s_or_b64 exec, exec, s[42:43]
	s_and_saveexec_b64 s[42:43], s[18:19]
	s_cbranch_execz .LBB708_159
.LBB708_132:
	v_sub_u32_e32 v84, v54, v32
	v_mov_b32_e32 v85, 0
	v_lshlrev_b64 v[84:85], 3, v[84:85]
	v_add_co_u32_e32 v84, vcc, v31, v84
	v_addc_co_u32_e32 v85, vcc, v82, v85, vcc
	global_store_dwordx2 v[84:85], v[14:15], off
	s_or_b64 exec, exec, s[42:43]
	s_and_saveexec_b64 s[42:43], s[16:17]
	s_cbranch_execnz .LBB708_160
.LBB708_133:
	s_or_b64 exec, exec, s[42:43]
	s_and_saveexec_b64 s[42:43], s[14:15]
	s_cbranch_execz .LBB708_161
.LBB708_134:
	v_sub_u32_e32 v84, v50, v32
	v_mov_b32_e32 v85, 0
	v_lshlrev_b64 v[84:85], 3, v[84:85]
	v_add_co_u32_e32 v84, vcc, v31, v84
	v_addc_co_u32_e32 v85, vcc, v82, v85, vcc
	global_store_dwordx2 v[84:85], v[10:11], off
	s_or_b64 exec, exec, s[42:43]
	s_and_saveexec_b64 s[42:43], s[12:13]
	s_cbranch_execnz .LBB708_162
.LBB708_135:
	s_or_b64 exec, exec, s[42:43]
	s_and_saveexec_b64 s[42:43], s[10:11]
	s_cbranch_execz .LBB708_163
.LBB708_136:
	v_sub_u32_e32 v84, v44, v32
	v_mov_b32_e32 v85, 0
	v_lshlrev_b64 v[84:85], 3, v[84:85]
	v_add_co_u32_e32 v84, vcc, v31, v84
	v_addc_co_u32_e32 v85, vcc, v82, v85, vcc
	global_store_dwordx2 v[84:85], v[6:7], off
	s_or_b64 exec, exec, s[42:43]
	s_and_saveexec_b64 s[42:43], s[8:9]
	s_cbranch_execnz .LBB708_164
.LBB708_137:
	s_or_b64 exec, exec, s[42:43]
	s_and_saveexec_b64 s[42:43], s[6:7]
	s_cbranch_execz .LBB708_165
.LBB708_138:
	v_sub_u32_e32 v84, v40, v32
	v_mov_b32_e32 v85, 0
	v_lshlrev_b64 v[84:85], 3, v[84:85]
	v_add_co_u32_e32 v84, vcc, v31, v84
	v_addc_co_u32_e32 v85, vcc, v82, v85, vcc
	global_store_dwordx2 v[84:85], v[2:3], off
	s_or_b64 exec, exec, s[42:43]
	s_and_saveexec_b64 s[42:43], s[4:5]
	s_cbranch_execnz .LBB708_166
	s_branch .LBB708_167
.LBB708_139:
                                        ; implicit-def: $sgpr4_sgpr5
                                        ; implicit-def: $vgpr1
                                        ; implicit-def: $vgpr68
                                        ; implicit-def: $vgpr69
                                        ; implicit-def: $vgpr70
                                        ; implicit-def: $vgpr71
                                        ; implicit-def: $vgpr72
                                        ; implicit-def: $vgpr73
                                        ; implicit-def: $vgpr74
                                        ; implicit-def: $vgpr75
                                        ; implicit-def: $vgpr76
                                        ; implicit-def: $vgpr77
                                        ; implicit-def: $vgpr78
                                        ; implicit-def: $vgpr79
                                        ; implicit-def: $vgpr80
	s_cbranch_execz .LBB708_73
; %bb.140:
	v_cmp_ne_u64_e32 vcc, v[28:29], v[30:31]
	v_cndmask_b32_e64 v80, 0, 1, vcc
	v_cmp_ne_u64_e32 vcc, v[28:29], v[32:33]
	v_cndmask_b32_e64 v79, 0, 1, vcc
	;; [unrolled: 2-line block ×13, first 2 shown]
	v_cmp_ne_u64_e32 vcc, v[4:5], v[46:47]
	v_lshlrev_b32_e32 v44, 3, v0
	v_cndmask_b32_e64 v1, 0, 1, vcc
	ds_write_b64 v44, v[46:47]
	s_waitcnt lgkmcnt(0)
	s_barrier
	s_waitcnt lgkmcnt(0)
                                        ; implicit-def: $sgpr4_sgpr5
	s_and_saveexec_b64 s[8:9], s[2:3]
	s_xor_b64 s[8:9], exec, s[8:9]
	s_cbranch_execz .LBB708_142
; %bb.141:
	v_add_u32_e32 v30, -8, v44
	ds_read_b64 v[30:31], v30
	s_or_b64 s[6:7], s[6:7], exec
	s_waitcnt lgkmcnt(0)
	v_cmp_ne_u64_e32 vcc, v[30:31], v[26:27]
	s_and_b64 s[4:5], vcc, exec
.LBB708_142:
	s_or_b64 exec, exec, s[8:9]
	s_mov_b32 s12, 1
	s_branch .LBB708_75
.LBB708_143:
	s_mul_hi_u32 s5, s40, 0xfffff100
	s_mul_i32 s4, s41, 0xfffff100
	s_sub_i32 s5, s5, s40
	s_add_i32 s5, s5, s4
	s_mul_i32 s4, s40, 0xfffff100
	s_add_u32 s8, s4, s56
	s_addc_u32 s9, s5, s57
	s_and_b64 vcc, exec, s[30:31]
	s_cbranch_vccz .LBB708_150
; %bb.144:
	v_add_co_u32_e32 v30, vcc, -8, v48
	v_addc_co_u32_e32 v31, vcc, -1, v49, vcc
	flat_load_dwordx2 v[30:31], v[30:31]
	v_mad_u32_u24 v34, v0, 15, 14
	v_mov_b32_e32 v35, 0
	v_cmp_gt_u64_e32 vcc, s[8:9], v[34:35]
	v_cmp_ne_u64_e64 s[4:5], v[4:5], v[46:47]
	v_mad_u32_u24 v34, v0, 15, 13
	s_and_b64 s[6:7], vcc, s[4:5]
	v_cmp_gt_u64_e32 vcc, s[8:9], v[34:35]
	v_cmp_ne_u64_e64 s[4:5], v[2:3], v[4:5]
	v_mad_u32_u24 v34, v0, 15, 12
	s_and_b64 s[10:11], vcc, s[4:5]
	v_cmp_gt_u64_e32 vcc, s[8:9], v[34:35]
	v_cmp_ne_u64_e64 s[4:5], v[8:9], v[2:3]
	v_mad_u32_u24 v34, v0, 15, 11
	s_and_b64 s[12:13], vcc, s[4:5]
	v_cmp_gt_u64_e32 vcc, s[8:9], v[34:35]
	v_cmp_ne_u64_e64 s[4:5], v[6:7], v[8:9]
	v_mad_u32_u24 v34, v0, 15, 10
	s_and_b64 s[14:15], vcc, s[4:5]
	v_cmp_gt_u64_e32 vcc, s[8:9], v[34:35]
	v_cmp_ne_u64_e64 s[4:5], v[12:13], v[6:7]
	v_mad_u32_u24 v34, v0, 15, 9
	s_and_b64 s[16:17], vcc, s[4:5]
	v_cmp_gt_u64_e32 vcc, s[8:9], v[34:35]
	v_cmp_ne_u64_e64 s[4:5], v[10:11], v[12:13]
	v_mad_u32_u24 v34, v0, 15, 8
	s_and_b64 s[18:19], vcc, s[4:5]
	v_cmp_gt_u64_e32 vcc, s[8:9], v[34:35]
	v_cmp_ne_u64_e64 s[4:5], v[16:17], v[10:11]
	v_mad_u32_u24 v34, v0, 15, 7
	s_and_b64 s[20:21], vcc, s[4:5]
	v_cmp_gt_u64_e32 vcc, s[8:9], v[34:35]
	v_cmp_ne_u64_e64 s[4:5], v[14:15], v[16:17]
	v_mad_u32_u24 v34, v0, 15, 6
	s_and_b64 s[22:23], vcc, s[4:5]
	v_cmp_gt_u64_e32 vcc, s[8:9], v[34:35]
	v_cmp_ne_u64_e64 s[4:5], v[20:21], v[14:15]
	v_mad_u32_u24 v34, v0, 15, 5
	s_and_b64 s[24:25], vcc, s[4:5]
	v_cmp_gt_u64_e32 vcc, s[8:9], v[34:35]
	v_cmp_ne_u64_e64 s[4:5], v[18:19], v[20:21]
	v_mad_u32_u24 v34, v0, 15, 4
	s_and_b64 s[26:27], vcc, s[4:5]
	v_cmp_gt_u64_e32 vcc, s[8:9], v[34:35]
	v_cmp_ne_u64_e64 s[4:5], v[24:25], v[18:19]
	v_mad_u32_u24 v34, v0, 15, 3
	s_and_b64 s[28:29], vcc, s[4:5]
	v_cmp_gt_u64_e32 vcc, s[8:9], v[34:35]
	v_cmp_ne_u64_e64 s[4:5], v[22:23], v[24:25]
	v_mad_u32_u24 v34, v0, 15, 2
	s_and_b64 s[30:31], vcc, s[4:5]
	v_cmp_gt_u64_e32 vcc, s[8:9], v[34:35]
	v_cmp_ne_u64_e64 s[4:5], v[28:29], v[22:23]
	v_mad_u32_u24 v34, v0, 15, 1
	s_and_b64 s[34:35], vcc, s[4:5]
	v_cmp_gt_u64_e32 vcc, s[8:9], v[34:35]
	v_cmp_ne_u64_e64 s[4:5], v[26:27], v[28:29]
	v_lshlrev_b32_e32 v1, 3, v0
	v_mul_u32_u24_e32 v32, 15, v0
	s_and_b64 s[4:5], vcc, s[4:5]
	ds_write_b64 v1, v[46:47]
	s_waitcnt lgkmcnt(0)
	s_barrier
	s_and_saveexec_b64 s[40:41], s[2:3]
	s_cbranch_execz .LBB708_146
; %bb.145:
	v_add_u32_e32 v1, -8, v1
	s_waitcnt vmcnt(0)
	ds_read_b64 v[30:31], v1
.LBB708_146:
	s_or_b64 exec, exec, s[40:41]
	v_mov_b32_e32 v33, v35
	v_cndmask_b32_e64 v80, 0, 1, s[4:5]
	v_cmp_gt_u64_e32 vcc, s[8:9], v[32:33]
	s_waitcnt vmcnt(0) lgkmcnt(0)
	v_cmp_ne_u64_e64 s[4:5], v[30:31], v[26:27]
	v_cndmask_b32_e64 v1, 0, 1, s[6:7]
	v_cndmask_b32_e64 v68, 0, 1, s[10:11]
	;; [unrolled: 1-line block ×13, first 2 shown]
	s_and_b64 s[4:5], vcc, s[4:5]
	s_mov_b64 s[6:7], -1
.LBB708_147:
                                        ; implicit-def: $sgpr12
	v_mov_b32_e32 v96, s12
	s_and_saveexec_b64 s[2:3], s[6:7]
	s_cbranch_execnz .LBB708_76
	s_branch .LBB708_77
.LBB708_148:
	s_andn2_saveexec_b64 s[34:35], s[34:35]
	s_cbranch_execz .LBB708_168
.LBB708_149:
	v_sub_u32_e32 v84, v66, v32
	v_mov_b32_e32 v85, 0
	v_lshlrev_b64 v[86:87], 3, v[84:85]
	v_add_co_u32_e32 v86, vcc, v31, v86
	v_addc_co_u32_e32 v87, vcc, v82, v87, vcc
	v_sub_u32_e32 v84, v64, v32
	global_store_dwordx2 v[86:87], v[26:27], off
	v_lshlrev_b64 v[86:87], 3, v[84:85]
	v_add_co_u32_e32 v86, vcc, v31, v86
	v_addc_co_u32_e32 v87, vcc, v82, v87, vcc
	v_sub_u32_e32 v84, v62, v32
	global_store_dwordx2 v[86:87], v[28:29], off
	;; [unrolled: 5-line block ×12, first 2 shown]
	v_lshlrev_b64 v[86:87], 3, v[84:85]
	v_add_co_u32_e32 v86, vcc, v31, v86
	v_sub_u32_e32 v84, v38, v32
	v_addc_co_u32_e32 v87, vcc, v82, v87, vcc
	v_lshlrev_b64 v[84:85], 3, v[84:85]
	v_add_co_u32_e32 v84, vcc, v31, v84
	v_addc_co_u32_e32 v85, vcc, v82, v85, vcc
	s_or_b64 s[42:43], s[42:43], exec
	global_store_dwordx2 v[86:87], v[2:3], off
	global_store_dwordx2 v[84:85], v[4:5], off
	s_or_b64 exec, exec, s[34:35]
	s_and_b64 exec, exec, s[42:43]
	s_cbranch_execnz .LBB708_169
	s_branch .LBB708_170
.LBB708_150:
                                        ; implicit-def: $sgpr4_sgpr5
                                        ; implicit-def: $vgpr1
                                        ; implicit-def: $vgpr68
                                        ; implicit-def: $vgpr69
                                        ; implicit-def: $vgpr70
                                        ; implicit-def: $vgpr71
                                        ; implicit-def: $vgpr72
                                        ; implicit-def: $vgpr73
                                        ; implicit-def: $vgpr74
                                        ; implicit-def: $vgpr75
                                        ; implicit-def: $vgpr76
                                        ; implicit-def: $vgpr77
                                        ; implicit-def: $vgpr78
                                        ; implicit-def: $vgpr79
                                        ; implicit-def: $vgpr80
	s_cbranch_execz .LBB708_147
; %bb.151:
	v_mad_u32_u24 v30, v0, 15, 14
	v_mov_b32_e32 v31, 0
	v_cmp_gt_u64_e32 vcc, s[8:9], v[30:31]
	v_cmp_ne_u64_e64 s[4:5], v[4:5], v[46:47]
	s_and_b64 s[4:5], vcc, s[4:5]
	v_mad_u32_u24 v30, v0, 15, 13
	v_cndmask_b32_e64 v1, 0, 1, s[4:5]
	v_cmp_gt_u64_e32 vcc, s[8:9], v[30:31]
	v_cmp_ne_u64_e64 s[4:5], v[2:3], v[4:5]
	s_and_b64 s[4:5], vcc, s[4:5]
	v_mad_u32_u24 v30, v0, 15, 12
	v_cndmask_b32_e64 v68, 0, 1, s[4:5]
	;; [unrolled: 5-line block ×13, first 2 shown]
	v_cmp_gt_u64_e32 vcc, s[8:9], v[30:31]
	v_cmp_ne_u64_e64 s[4:5], v[26:27], v[28:29]
	s_and_b64 s[4:5], vcc, s[4:5]
	v_lshlrev_b32_e32 v32, 3, v0
	s_mov_b32 s12, 1
	v_cndmask_b32_e64 v80, 0, 1, s[4:5]
	ds_write_b64 v32, v[46:47]
	s_waitcnt lgkmcnt(0)
	s_barrier
	s_waitcnt lgkmcnt(0)
                                        ; implicit-def: $sgpr4_sgpr5
	s_and_saveexec_b64 s[10:11], s[2:3]
	s_cbranch_execz .LBB708_190
; %bb.152:
	v_add_u32_e32 v30, -8, v32
	ds_read_b64 v[32:33], v30
	v_mul_u32_u24_e32 v30, 15, v0
	v_cmp_gt_u64_e32 vcc, s[8:9], v[30:31]
	s_or_b64 s[6:7], s[6:7], exec
	s_waitcnt lgkmcnt(0)
	v_cmp_ne_u64_e64 s[2:3], v[32:33], v[26:27]
	s_and_b64 s[2:3], vcc, s[2:3]
	s_and_b64 s[4:5], s[2:3], exec
	s_or_b64 exec, exec, s[10:11]
	v_mov_b32_e32 v96, s12
	s_and_saveexec_b64 s[2:3], s[6:7]
	s_cbranch_execz .LBB708_77
	s_branch .LBB708_76
.LBB708_153:
	s_or_b64 exec, exec, s[42:43]
	s_and_saveexec_b64 s[42:43], s[28:29]
	s_cbranch_execz .LBB708_127
.LBB708_154:
	v_sub_u32_e32 v84, v64, v32
	v_mov_b32_e32 v85, 0
	v_lshlrev_b64 v[84:85], 3, v[84:85]
	v_add_co_u32_e32 v84, vcc, v31, v84
	v_addc_co_u32_e32 v85, vcc, v82, v85, vcc
	global_store_dwordx2 v[84:85], v[28:29], off
	s_or_b64 exec, exec, s[42:43]
	s_and_saveexec_b64 s[42:43], s[26:27]
	s_cbranch_execnz .LBB708_128
.LBB708_155:
	s_or_b64 exec, exec, s[42:43]
	s_and_saveexec_b64 s[42:43], s[24:25]
	s_cbranch_execz .LBB708_129
.LBB708_156:
	v_sub_u32_e32 v84, v60, v32
	v_mov_b32_e32 v85, 0
	v_lshlrev_b64 v[84:85], 3, v[84:85]
	v_add_co_u32_e32 v84, vcc, v31, v84
	v_addc_co_u32_e32 v85, vcc, v82, v85, vcc
	global_store_dwordx2 v[84:85], v[24:25], off
	s_or_b64 exec, exec, s[42:43]
	s_and_saveexec_b64 s[42:43], s[22:23]
	s_cbranch_execnz .LBB708_130
.LBB708_157:
	s_or_b64 exec, exec, s[42:43]
	s_and_saveexec_b64 s[42:43], s[20:21]
	s_cbranch_execz .LBB708_131
.LBB708_158:
	v_sub_u32_e32 v84, v56, v32
	v_mov_b32_e32 v85, 0
	v_lshlrev_b64 v[84:85], 3, v[84:85]
	v_add_co_u32_e32 v84, vcc, v31, v84
	v_addc_co_u32_e32 v85, vcc, v82, v85, vcc
	global_store_dwordx2 v[84:85], v[20:21], off
	s_or_b64 exec, exec, s[42:43]
	s_and_saveexec_b64 s[42:43], s[18:19]
	s_cbranch_execnz .LBB708_132
.LBB708_159:
	s_or_b64 exec, exec, s[42:43]
	s_and_saveexec_b64 s[42:43], s[16:17]
	s_cbranch_execz .LBB708_133
.LBB708_160:
	v_sub_u32_e32 v84, v52, v32
	v_mov_b32_e32 v85, 0
	v_lshlrev_b64 v[84:85], 3, v[84:85]
	v_add_co_u32_e32 v84, vcc, v31, v84
	v_addc_co_u32_e32 v85, vcc, v82, v85, vcc
	global_store_dwordx2 v[84:85], v[16:17], off
	s_or_b64 exec, exec, s[42:43]
	s_and_saveexec_b64 s[42:43], s[14:15]
	s_cbranch_execnz .LBB708_134
.LBB708_161:
	s_or_b64 exec, exec, s[42:43]
	s_and_saveexec_b64 s[42:43], s[12:13]
	s_cbranch_execz .LBB708_135
.LBB708_162:
	v_sub_u32_e32 v84, v48, v32
	v_mov_b32_e32 v85, 0
	v_lshlrev_b64 v[84:85], 3, v[84:85]
	v_add_co_u32_e32 v84, vcc, v31, v84
	v_addc_co_u32_e32 v85, vcc, v82, v85, vcc
	global_store_dwordx2 v[84:85], v[12:13], off
	s_or_b64 exec, exec, s[42:43]
	s_and_saveexec_b64 s[42:43], s[10:11]
	s_cbranch_execnz .LBB708_136
.LBB708_163:
	s_or_b64 exec, exec, s[42:43]
	s_and_saveexec_b64 s[42:43], s[8:9]
	s_cbranch_execz .LBB708_137
.LBB708_164:
	v_sub_u32_e32 v84, v42, v32
	v_mov_b32_e32 v85, 0
	v_lshlrev_b64 v[84:85], 3, v[84:85]
	v_add_co_u32_e32 v84, vcc, v31, v84
	v_addc_co_u32_e32 v85, vcc, v82, v85, vcc
	global_store_dwordx2 v[84:85], v[8:9], off
	s_or_b64 exec, exec, s[42:43]
	s_and_saveexec_b64 s[42:43], s[6:7]
	s_cbranch_execnz .LBB708_138
.LBB708_165:
	s_or_b64 exec, exec, s[42:43]
	s_and_saveexec_b64 s[42:43], s[4:5]
	s_cbranch_execz .LBB708_167
.LBB708_166:
	v_sub_u32_e32 v84, v38, v32
	v_mov_b32_e32 v85, 0
	v_lshlrev_b64 v[84:85], 3, v[84:85]
	v_add_co_u32_e32 v84, vcc, v31, v84
	v_addc_co_u32_e32 v85, vcc, v82, v85, vcc
	global_store_dwordx2 v[84:85], v[4:5], off
.LBB708_167:
	s_or_b64 exec, exec, s[42:43]
	s_and_b64 s[42:43], s[2:3], exec
	s_andn2_saveexec_b64 s[34:35], s[34:35]
	s_cbranch_execnz .LBB708_149
.LBB708_168:
	s_or_b64 exec, exec, s[34:35]
	s_and_b64 exec, exec, s[42:43]
	s_cbranch_execz .LBB708_170
.LBB708_169:
	v_sub_u32_e32 v84, v36, v32
	v_mov_b32_e32 v85, 0
	v_lshlrev_b64 v[84:85], 3, v[84:85]
	v_add_co_u32_e32 v84, vcc, v31, v84
	v_addc_co_u32_e32 v85, vcc, v82, v85, vcc
	global_store_dwordx2 v[84:85], v[46:47], off
.LBB708_170:
	s_or_b64 exec, exec, s[40:41]
	s_mov_b64 s[40:41], 0
.LBB708_171:
	s_and_b64 vcc, exec, s[40:41]
	s_cbranch_vccz .LBB708_212
; %bb.172:
	v_cmp_gt_i16_e32 vcc, 2, v83
	s_and_saveexec_b64 s[34:35], vcc
	s_cbranch_execz .LBB708_208
; %bb.173:
	v_cmp_ne_u16_e32 vcc, 1, v83
	s_mov_b64 s[42:43], 0
	s_and_saveexec_b64 s[40:41], vcc
	s_xor_b64 s[40:41], exec, s[40:41]
	s_cbranch_execz .LBB708_188
; %bb.174:
	s_and_saveexec_b64 s[42:43], s[30:31]
	s_cbranch_execz .LBB708_191
; %bb.175:
	v_sub_u32_e32 v83, v66, v32
	v_lshlrev_b32_e32 v83, 3, v83
	ds_write_b64 v83, v[26:27]
	s_or_b64 exec, exec, s[42:43]
	s_and_saveexec_b64 s[30:31], s[28:29]
	s_cbranch_execnz .LBB708_192
.LBB708_176:
	s_or_b64 exec, exec, s[30:31]
	s_and_saveexec_b64 s[28:29], s[26:27]
	s_cbranch_execz .LBB708_193
.LBB708_177:
	v_sub_u32_e32 v26, v62, v32
	v_lshlrev_b32_e32 v26, 3, v26
	ds_write_b64 v26, v[22:23]
	s_or_b64 exec, exec, s[28:29]
	s_and_saveexec_b64 s[26:27], s[24:25]
	s_cbranch_execnz .LBB708_194
.LBB708_178:
	s_or_b64 exec, exec, s[26:27]
	s_and_saveexec_b64 s[24:25], s[22:23]
	s_cbranch_execz .LBB708_195
.LBB708_179:
	v_sub_u32_e32 v22, v58, v32
	v_lshlrev_b32_e32 v22, 3, v22
	ds_write_b64 v22, v[18:19]
	s_or_b64 exec, exec, s[24:25]
	s_and_saveexec_b64 s[22:23], s[20:21]
	s_cbranch_execnz .LBB708_196
.LBB708_180:
	s_or_b64 exec, exec, s[22:23]
	s_and_saveexec_b64 s[20:21], s[18:19]
	s_cbranch_execz .LBB708_197
.LBB708_181:
	v_sub_u32_e32 v18, v54, v32
	v_lshlrev_b32_e32 v18, 3, v18
	ds_write_b64 v18, v[14:15]
	s_or_b64 exec, exec, s[20:21]
	s_and_saveexec_b64 s[18:19], s[16:17]
	s_cbranch_execnz .LBB708_198
.LBB708_182:
	s_or_b64 exec, exec, s[18:19]
	s_and_saveexec_b64 s[16:17], s[14:15]
	s_cbranch_execz .LBB708_199
.LBB708_183:
	v_sub_u32_e32 v14, v50, v32
	v_lshlrev_b32_e32 v14, 3, v14
	ds_write_b64 v14, v[10:11]
	s_or_b64 exec, exec, s[16:17]
	s_and_saveexec_b64 s[14:15], s[12:13]
	s_cbranch_execnz .LBB708_200
.LBB708_184:
	s_or_b64 exec, exec, s[14:15]
	s_and_saveexec_b64 s[12:13], s[10:11]
	s_cbranch_execz .LBB708_201
.LBB708_185:
	v_sub_u32_e32 v10, v44, v32
	v_lshlrev_b32_e32 v10, 3, v10
	ds_write_b64 v10, v[6:7]
	s_or_b64 exec, exec, s[12:13]
	s_and_saveexec_b64 s[10:11], s[8:9]
	s_cbranch_execnz .LBB708_202
.LBB708_186:
	s_or_b64 exec, exec, s[10:11]
	s_and_saveexec_b64 s[8:9], s[6:7]
	s_cbranch_execz .LBB708_203
.LBB708_187:
	v_sub_u32_e32 v6, v40, v32
	v_lshlrev_b32_e32 v6, 3, v6
	ds_write_b64 v6, v[2:3]
	s_or_b64 exec, exec, s[8:9]
	s_and_saveexec_b64 s[6:7], s[4:5]
	s_cbranch_execnz .LBB708_204
	s_branch .LBB708_205
.LBB708_188:
	s_andn2_saveexec_b64 s[2:3], s[40:41]
	s_cbranch_execz .LBB708_206
.LBB708_189:
	v_sub_u32_e32 v83, v66, v32
	v_lshlrev_b32_e32 v83, 3, v83
	ds_write_b64 v83, v[26:27]
	v_sub_u32_e32 v26, v64, v32
	v_lshlrev_b32_e32 v26, 3, v26
	ds_write_b64 v26, v[28:29]
	;; [unrolled: 3-line block ×13, first 2 shown]
	v_sub_u32_e32 v2, v38, v32
	v_lshlrev_b32_e32 v2, 3, v2
	s_or_b64 s[42:43], s[42:43], exec
	ds_write_b64 v2, v[4:5]
	s_or_b64 exec, exec, s[2:3]
	s_and_b64 exec, exec, s[42:43]
	s_cbranch_execnz .LBB708_207
	s_branch .LBB708_208
.LBB708_190:
	s_or_b64 exec, exec, s[10:11]
	v_mov_b32_e32 v96, s12
	s_and_saveexec_b64 s[2:3], s[6:7]
	s_cbranch_execnz .LBB708_76
	s_branch .LBB708_77
.LBB708_191:
	s_or_b64 exec, exec, s[42:43]
	s_and_saveexec_b64 s[30:31], s[28:29]
	s_cbranch_execz .LBB708_176
.LBB708_192:
	v_sub_u32_e32 v26, v64, v32
	v_lshlrev_b32_e32 v26, 3, v26
	ds_write_b64 v26, v[28:29]
	s_or_b64 exec, exec, s[30:31]
	s_and_saveexec_b64 s[28:29], s[26:27]
	s_cbranch_execnz .LBB708_177
.LBB708_193:
	s_or_b64 exec, exec, s[28:29]
	s_and_saveexec_b64 s[26:27], s[24:25]
	s_cbranch_execz .LBB708_178
.LBB708_194:
	v_sub_u32_e32 v22, v60, v32
	v_lshlrev_b32_e32 v22, 3, v22
	ds_write_b64 v22, v[24:25]
	s_or_b64 exec, exec, s[26:27]
	s_and_saveexec_b64 s[24:25], s[22:23]
	s_cbranch_execnz .LBB708_179
.LBB708_195:
	s_or_b64 exec, exec, s[24:25]
	s_and_saveexec_b64 s[22:23], s[20:21]
	s_cbranch_execz .LBB708_180
.LBB708_196:
	v_sub_u32_e32 v18, v56, v32
	v_lshlrev_b32_e32 v18, 3, v18
	ds_write_b64 v18, v[20:21]
	s_or_b64 exec, exec, s[22:23]
	s_and_saveexec_b64 s[20:21], s[18:19]
	s_cbranch_execnz .LBB708_181
.LBB708_197:
	s_or_b64 exec, exec, s[20:21]
	s_and_saveexec_b64 s[18:19], s[16:17]
	s_cbranch_execz .LBB708_182
.LBB708_198:
	v_sub_u32_e32 v14, v52, v32
	v_lshlrev_b32_e32 v14, 3, v14
	ds_write_b64 v14, v[16:17]
	s_or_b64 exec, exec, s[18:19]
	s_and_saveexec_b64 s[16:17], s[14:15]
	s_cbranch_execnz .LBB708_183
.LBB708_199:
	s_or_b64 exec, exec, s[16:17]
	s_and_saveexec_b64 s[14:15], s[12:13]
	s_cbranch_execz .LBB708_184
.LBB708_200:
	v_sub_u32_e32 v10, v48, v32
	v_lshlrev_b32_e32 v10, 3, v10
	ds_write_b64 v10, v[12:13]
	s_or_b64 exec, exec, s[14:15]
	s_and_saveexec_b64 s[12:13], s[10:11]
	s_cbranch_execnz .LBB708_185
.LBB708_201:
	s_or_b64 exec, exec, s[12:13]
	s_and_saveexec_b64 s[10:11], s[8:9]
	s_cbranch_execz .LBB708_186
.LBB708_202:
	v_sub_u32_e32 v6, v42, v32
	v_lshlrev_b32_e32 v6, 3, v6
	ds_write_b64 v6, v[8:9]
	s_or_b64 exec, exec, s[10:11]
	s_and_saveexec_b64 s[8:9], s[6:7]
	s_cbranch_execnz .LBB708_187
.LBB708_203:
	s_or_b64 exec, exec, s[8:9]
	s_and_saveexec_b64 s[6:7], s[4:5]
	s_cbranch_execz .LBB708_205
.LBB708_204:
	v_sub_u32_e32 v2, v38, v32
	v_lshlrev_b32_e32 v2, 3, v2
	ds_write_b64 v2, v[4:5]
.LBB708_205:
	s_or_b64 exec, exec, s[6:7]
	s_and_b64 s[42:43], s[2:3], exec
                                        ; implicit-def: $vgpr2_vgpr3
                                        ; implicit-def: $vgpr6_vgpr7
                                        ; implicit-def: $vgpr10_vgpr11
                                        ; implicit-def: $vgpr14_vgpr15
                                        ; implicit-def: $vgpr18_vgpr19
                                        ; implicit-def: $vgpr22_vgpr23
                                        ; implicit-def: $vgpr26_vgpr27
	s_andn2_saveexec_b64 s[2:3], s[40:41]
	s_cbranch_execnz .LBB708_189
.LBB708_206:
	s_or_b64 exec, exec, s[2:3]
	s_and_b64 exec, exec, s[42:43]
	s_cbranch_execz .LBB708_208
.LBB708_207:
	v_sub_u32_e32 v2, v36, v32
	v_lshlrev_b32_e32 v2, 3, v2
	ds_write_b64 v2, v[46:47]
.LBB708_208:
	s_or_b64 exec, exec, s[34:35]
	v_cmp_lt_u32_e32 vcc, v0, v30
	s_waitcnt lgkmcnt(0)
	s_barrier
	s_and_saveexec_b64 s[2:3], vcc
	s_cbranch_execz .LBB708_211
; %bb.209:
	v_lshlrev_b32_e32 v4, 3, v0
	s_mov_b64 s[4:5], 0
	v_mov_b32_e32 v3, 0
	v_mov_b32_e32 v2, v0
.LBB708_210:                            ; =>This Inner Loop Header: Depth=1
	v_lshlrev_b64 v[6:7], 3, v[2:3]
	ds_read_b64 v[8:9], v4
	v_add_co_u32_e32 v6, vcc, v31, v6
	v_add_u32_e32 v2, 0x100, v2
	v_addc_co_u32_e32 v7, vcc, v82, v7, vcc
	v_cmp_ge_u32_e32 vcc, v2, v30
	v_add_u32_e32 v4, 0x800, v4
	s_or_b64 s[4:5], vcc, s[4:5]
	s_waitcnt lgkmcnt(0)
	global_store_dwordx2 v[6:7], v[8:9], off
	s_andn2_b64 exec, exec, s[4:5]
	s_cbranch_execnz .LBB708_210
.LBB708_211:
	s_or_b64 exec, exec, s[2:3]
.LBB708_212:
	s_cmpk_lg_i32 s33, 0xf00
	s_cselect_b64 s[2:3], -1, 0
	v_cndmask_b32_e64 v3, 0, 1, s[38:39]
	s_and_b64 s[2:3], s[2:3], s[36:37]
	v_sub_u32_e32 v4, v30, v3
	v_cndmask_b32_e64 v2, 0, 1, s[2:3]
	s_and_b64 s[0:1], s[0:1], s[38:39]
	v_add_u32_e32 v6, v4, v2
	v_cndmask_b32_e64 v4, v96, 0, s[0:1]
	s_mul_hi_u32 s0, s33, 0x88888889
	s_lshr_b32 s0, s0, 3
	v_mad_i32_i24 v5, v0, -15, s33
	v_cmp_eq_u32_e32 vcc, s0, v0
	v_cmp_ne_u32_e64 s[0:1], 0, v5
	v_cndmask_b32_e64 v7, 1, v4, s[0:1]
	v_cmp_ne_u32_e64 s[0:1], 1, v5
	v_cndmask_b32_e64 v8, 1, v80, s[0:1]
	;; [unrolled: 2-line block ×15, first 2 shown]
	s_and_b64 vcc, vcc, s[36:37]
	v_cndmask_b32_e32 v21, v1, v5, vcc
	v_cndmask_b32_e32 v25, v4, v7, vcc
	v_lshlrev_b64 v[4:5], 2, v[34:35]
	v_cndmask_b32_e32 v20, v68, v20, vcc
	v_cndmask_b32_e32 v19, v69, v19, vcc
	;; [unrolled: 1-line block ×13, first 2 shown]
	v_mov_b32_e32 v1, s53
	v_add_co_u32_e32 v7, vcc, s52, v4
	v_addc_co_u32_e32 v1, vcc, v1, v5, vcc
	v_lshlrev_b64 v[4:5], 2, v[32:33]
	v_add_co_u32_e32 v7, vcc, v7, v4
	v_addc_co_u32_e32 v8, vcc, v1, v5, vcc
	v_lshlrev_b32_e32 v1, 2, v3
	v_add_co_u32_e32 v1, vcc, v1, v7
	v_addc_co_u32_e32 v4, vcc, 0, v8, vcc
	v_add_co_u32_e32 v9, vcc, -4, v1
	v_addc_co_u32_e32 v10, vcc, -1, v4, vcc
	v_cmp_eq_u32_e32 vcc, 0, v25
	v_cndmask_b32_e64 v4, 1, 2, vcc
	v_cmp_eq_u32_e32 vcc, 0, v24
	v_cndmask_b32_e64 v5, 1, 2, vcc
	v_cmp_eq_u32_e32 vcc, 0, v23
	v_and_b32_e32 v4, v5, v4
	v_cndmask_b32_e64 v5, 1, 2, vcc
	v_cmp_eq_u32_e32 vcc, 0, v22
	v_and_b32_e32 v4, v4, v5
	;; [unrolled: 3-line block ×13, first 2 shown]
	v_cndmask_b32_e64 v5, 1, 2, vcc
	s_movk_i32 s30, 0x100
	v_and_b32_e32 v4, v4, v5
	v_cmp_gt_u32_e32 vcc, s30, v6
	v_add_u32_e32 v1, v32, v3
	v_cmp_ne_u32_e64 s[28:29], 0, v25
	v_cmp_ne_u32_e64 s[26:27], 0, v24
	;; [unrolled: 1-line block ×15, first 2 shown]
	s_mov_b64 s[34:35], -1
	v_cmp_gt_i16_e64 s[30:31], 2, v4
	s_barrier
	s_cbranch_vccz .LBB708_249
; %bb.213:
	s_and_saveexec_b64 s[34:35], s[30:31]
	s_cbranch_execz .LBB708_248
; %bb.214:
	v_cmp_ne_u16_e32 vcc, 1, v4
	s_mov_b64 s[38:39], 0
	s_and_saveexec_b64 s[30:31], vcc
	s_xor_b64 s[30:31], exec, s[30:31]
	s_cbranch_execz .LBB708_229
; %bb.215:
	s_and_saveexec_b64 s[38:39], s[28:29]
	s_cbranch_execz .LBB708_231
; %bb.216:
	v_sub_u32_e32 v12, v66, v1
	v_mov_b32_e32 v13, 0
	v_lshlrev_b64 v[12:13], 2, v[12:13]
	v_add_co_u32_e32 v12, vcc, v9, v12
	v_addc_co_u32_e32 v13, vcc, v10, v13, vcc
	global_store_dword v[12:13], v67, off
	s_or_b64 exec, exec, s[38:39]
	s_and_saveexec_b64 s[38:39], s[26:27]
	s_cbranch_execnz .LBB708_232
.LBB708_217:
	s_or_b64 exec, exec, s[38:39]
	s_and_saveexec_b64 s[38:39], s[24:25]
	s_cbranch_execz .LBB708_233
.LBB708_218:
	v_sub_u32_e32 v12, v62, v1
	v_mov_b32_e32 v13, 0
	v_lshlrev_b64 v[12:13], 2, v[12:13]
	v_add_co_u32_e32 v12, vcc, v9, v12
	v_addc_co_u32_e32 v13, vcc, v10, v13, vcc
	global_store_dword v[12:13], v63, off
	s_or_b64 exec, exec, s[38:39]
	s_and_saveexec_b64 s[38:39], s[22:23]
	s_cbranch_execnz .LBB708_234
.LBB708_219:
	s_or_b64 exec, exec, s[38:39]
	s_and_saveexec_b64 s[38:39], s[20:21]
	s_cbranch_execz .LBB708_235
.LBB708_220:
	v_sub_u32_e32 v12, v58, v1
	v_mov_b32_e32 v13, 0
	v_lshlrev_b64 v[12:13], 2, v[12:13]
	v_add_co_u32_e32 v12, vcc, v9, v12
	v_addc_co_u32_e32 v13, vcc, v10, v13, vcc
	global_store_dword v[12:13], v59, off
	s_or_b64 exec, exec, s[38:39]
	s_and_saveexec_b64 s[38:39], s[18:19]
	s_cbranch_execnz .LBB708_236
.LBB708_221:
	s_or_b64 exec, exec, s[38:39]
	s_and_saveexec_b64 s[38:39], s[16:17]
	s_cbranch_execz .LBB708_237
.LBB708_222:
	v_sub_u32_e32 v12, v54, v1
	v_mov_b32_e32 v13, 0
	v_lshlrev_b64 v[12:13], 2, v[12:13]
	v_add_co_u32_e32 v12, vcc, v9, v12
	v_addc_co_u32_e32 v13, vcc, v10, v13, vcc
	global_store_dword v[12:13], v55, off
	s_or_b64 exec, exec, s[38:39]
	s_and_saveexec_b64 s[38:39], s[14:15]
	s_cbranch_execnz .LBB708_238
.LBB708_223:
	s_or_b64 exec, exec, s[38:39]
	s_and_saveexec_b64 s[38:39], s[12:13]
	s_cbranch_execz .LBB708_239
.LBB708_224:
	v_sub_u32_e32 v12, v50, v1
	v_mov_b32_e32 v13, 0
	v_lshlrev_b64 v[12:13], 2, v[12:13]
	v_add_co_u32_e32 v12, vcc, v9, v12
	v_addc_co_u32_e32 v13, vcc, v10, v13, vcc
	global_store_dword v[12:13], v51, off
	s_or_b64 exec, exec, s[38:39]
	s_and_saveexec_b64 s[38:39], s[10:11]
	s_cbranch_execnz .LBB708_240
.LBB708_225:
	s_or_b64 exec, exec, s[38:39]
	s_and_saveexec_b64 s[38:39], s[8:9]
	s_cbranch_execz .LBB708_241
.LBB708_226:
	v_sub_u32_e32 v12, v44, v1
	v_mov_b32_e32 v13, 0
	v_lshlrev_b64 v[12:13], 2, v[12:13]
	v_add_co_u32_e32 v12, vcc, v9, v12
	v_addc_co_u32_e32 v13, vcc, v10, v13, vcc
	global_store_dword v[12:13], v45, off
	s_or_b64 exec, exec, s[38:39]
	s_and_saveexec_b64 s[38:39], s[6:7]
	s_cbranch_execnz .LBB708_242
.LBB708_227:
	s_or_b64 exec, exec, s[38:39]
	s_and_saveexec_b64 s[38:39], s[4:5]
	s_cbranch_execz .LBB708_243
.LBB708_228:
	v_sub_u32_e32 v12, v40, v1
	v_mov_b32_e32 v13, 0
	v_lshlrev_b64 v[12:13], 2, v[12:13]
	v_add_co_u32_e32 v12, vcc, v9, v12
	v_addc_co_u32_e32 v13, vcc, v10, v13, vcc
	global_store_dword v[12:13], v41, off
	s_or_b64 exec, exec, s[38:39]
	s_and_saveexec_b64 s[38:39], s[2:3]
	s_cbranch_execnz .LBB708_244
	s_branch .LBB708_245
.LBB708_229:
	s_andn2_saveexec_b64 s[30:31], s[30:31]
	s_cbranch_execz .LBB708_246
.LBB708_230:
	v_sub_u32_e32 v12, v66, v1
	v_mov_b32_e32 v13, 0
	v_lshlrev_b64 v[14:15], 2, v[12:13]
	v_add_co_u32_e32 v14, vcc, v9, v14
	v_addc_co_u32_e32 v15, vcc, v10, v15, vcc
	v_sub_u32_e32 v12, v64, v1
	global_store_dword v[14:15], v67, off
	v_lshlrev_b64 v[14:15], 2, v[12:13]
	v_add_co_u32_e32 v14, vcc, v9, v14
	v_addc_co_u32_e32 v15, vcc, v10, v15, vcc
	v_sub_u32_e32 v12, v62, v1
	global_store_dword v[14:15], v65, off
	;; [unrolled: 5-line block ×12, first 2 shown]
	v_lshlrev_b64 v[14:15], 2, v[12:13]
	v_add_co_u32_e32 v14, vcc, v9, v14
	v_sub_u32_e32 v12, v38, v1
	v_addc_co_u32_e32 v15, vcc, v10, v15, vcc
	v_lshlrev_b64 v[12:13], 2, v[12:13]
	v_add_co_u32_e32 v12, vcc, v9, v12
	v_addc_co_u32_e32 v13, vcc, v10, v13, vcc
	s_or_b64 s[38:39], s[38:39], exec
	global_store_dword v[14:15], v41, off
	global_store_dword v[12:13], v39, off
	s_or_b64 exec, exec, s[30:31]
	s_and_b64 exec, exec, s[38:39]
	s_cbranch_execnz .LBB708_247
	s_branch .LBB708_248
.LBB708_231:
	s_or_b64 exec, exec, s[38:39]
	s_and_saveexec_b64 s[38:39], s[26:27]
	s_cbranch_execz .LBB708_217
.LBB708_232:
	v_sub_u32_e32 v12, v64, v1
	v_mov_b32_e32 v13, 0
	v_lshlrev_b64 v[12:13], 2, v[12:13]
	v_add_co_u32_e32 v12, vcc, v9, v12
	v_addc_co_u32_e32 v13, vcc, v10, v13, vcc
	global_store_dword v[12:13], v65, off
	s_or_b64 exec, exec, s[38:39]
	s_and_saveexec_b64 s[38:39], s[24:25]
	s_cbranch_execnz .LBB708_218
.LBB708_233:
	s_or_b64 exec, exec, s[38:39]
	s_and_saveexec_b64 s[38:39], s[22:23]
	s_cbranch_execz .LBB708_219
.LBB708_234:
	v_sub_u32_e32 v12, v60, v1
	v_mov_b32_e32 v13, 0
	v_lshlrev_b64 v[12:13], 2, v[12:13]
	v_add_co_u32_e32 v12, vcc, v9, v12
	v_addc_co_u32_e32 v13, vcc, v10, v13, vcc
	global_store_dword v[12:13], v61, off
	s_or_b64 exec, exec, s[38:39]
	s_and_saveexec_b64 s[38:39], s[20:21]
	s_cbranch_execnz .LBB708_220
.LBB708_235:
	s_or_b64 exec, exec, s[38:39]
	s_and_saveexec_b64 s[38:39], s[18:19]
	s_cbranch_execz .LBB708_221
.LBB708_236:
	v_sub_u32_e32 v12, v56, v1
	v_mov_b32_e32 v13, 0
	v_lshlrev_b64 v[12:13], 2, v[12:13]
	v_add_co_u32_e32 v12, vcc, v9, v12
	v_addc_co_u32_e32 v13, vcc, v10, v13, vcc
	global_store_dword v[12:13], v57, off
	s_or_b64 exec, exec, s[38:39]
	s_and_saveexec_b64 s[38:39], s[16:17]
	s_cbranch_execnz .LBB708_222
.LBB708_237:
	s_or_b64 exec, exec, s[38:39]
	s_and_saveexec_b64 s[38:39], s[14:15]
	s_cbranch_execz .LBB708_223
.LBB708_238:
	v_sub_u32_e32 v12, v52, v1
	v_mov_b32_e32 v13, 0
	v_lshlrev_b64 v[12:13], 2, v[12:13]
	v_add_co_u32_e32 v12, vcc, v9, v12
	v_addc_co_u32_e32 v13, vcc, v10, v13, vcc
	global_store_dword v[12:13], v53, off
	s_or_b64 exec, exec, s[38:39]
	s_and_saveexec_b64 s[38:39], s[12:13]
	s_cbranch_execnz .LBB708_224
.LBB708_239:
	s_or_b64 exec, exec, s[38:39]
	s_and_saveexec_b64 s[38:39], s[10:11]
	s_cbranch_execz .LBB708_225
.LBB708_240:
	v_sub_u32_e32 v12, v48, v1
	v_mov_b32_e32 v13, 0
	v_lshlrev_b64 v[12:13], 2, v[12:13]
	v_add_co_u32_e32 v12, vcc, v9, v12
	v_addc_co_u32_e32 v13, vcc, v10, v13, vcc
	global_store_dword v[12:13], v49, off
	s_or_b64 exec, exec, s[38:39]
	s_and_saveexec_b64 s[38:39], s[8:9]
	s_cbranch_execnz .LBB708_226
.LBB708_241:
	s_or_b64 exec, exec, s[38:39]
	s_and_saveexec_b64 s[38:39], s[6:7]
	s_cbranch_execz .LBB708_227
.LBB708_242:
	v_sub_u32_e32 v12, v42, v1
	v_mov_b32_e32 v13, 0
	v_lshlrev_b64 v[12:13], 2, v[12:13]
	v_add_co_u32_e32 v12, vcc, v9, v12
	v_addc_co_u32_e32 v13, vcc, v10, v13, vcc
	global_store_dword v[12:13], v43, off
	s_or_b64 exec, exec, s[38:39]
	s_and_saveexec_b64 s[38:39], s[4:5]
	s_cbranch_execnz .LBB708_228
.LBB708_243:
	s_or_b64 exec, exec, s[38:39]
	s_and_saveexec_b64 s[38:39], s[2:3]
	s_cbranch_execz .LBB708_245
.LBB708_244:
	v_sub_u32_e32 v12, v38, v1
	v_mov_b32_e32 v13, 0
	v_lshlrev_b64 v[12:13], 2, v[12:13]
	v_add_co_u32_e32 v12, vcc, v9, v12
	v_addc_co_u32_e32 v13, vcc, v10, v13, vcc
	global_store_dword v[12:13], v39, off
.LBB708_245:
	s_or_b64 exec, exec, s[38:39]
	s_and_b64 s[38:39], s[0:1], exec
	s_andn2_saveexec_b64 s[30:31], s[30:31]
	s_cbranch_execnz .LBB708_230
.LBB708_246:
	s_or_b64 exec, exec, s[30:31]
	s_and_b64 exec, exec, s[38:39]
	s_cbranch_execz .LBB708_248
.LBB708_247:
	v_sub_u32_e32 v12, v36, v1
	v_mov_b32_e32 v13, 0
	v_lshlrev_b64 v[12:13], 2, v[12:13]
	v_add_co_u32_e32 v12, vcc, v9, v12
	v_addc_co_u32_e32 v13, vcc, v10, v13, vcc
	global_store_dword v[12:13], v37, off
.LBB708_248:
	s_or_b64 exec, exec, s[34:35]
	s_mov_b64 s[34:35], 0
.LBB708_249:
	s_and_b64 vcc, exec, s[34:35]
	s_cbranch_vccz .LBB708_301
; %bb.250:
	v_cmp_gt_i16_e32 vcc, 2, v4
	s_and_saveexec_b64 s[30:31], vcc
	s_cbranch_execz .LBB708_285
; %bb.251:
	v_cmp_ne_u16_e32 vcc, 1, v4
	s_mov_b64 s[38:39], 0
	s_and_saveexec_b64 s[34:35], vcc
	s_xor_b64 s[34:35], exec, s[34:35]
	s_cbranch_execz .LBB708_266
; %bb.252:
	s_and_saveexec_b64 s[38:39], s[28:29]
	s_cbranch_execz .LBB708_268
; %bb.253:
	v_sub_u32_e32 v4, v66, v1
	v_lshlrev_b32_e32 v4, 2, v4
	ds_write_b32 v4, v67
	s_or_b64 exec, exec, s[38:39]
	s_and_saveexec_b64 s[28:29], s[26:27]
	s_cbranch_execnz .LBB708_269
.LBB708_254:
	s_or_b64 exec, exec, s[28:29]
	s_and_saveexec_b64 s[26:27], s[24:25]
	s_cbranch_execz .LBB708_270
.LBB708_255:
	v_sub_u32_e32 v4, v62, v1
	v_lshlrev_b32_e32 v4, 2, v4
	ds_write_b32 v4, v63
	s_or_b64 exec, exec, s[26:27]
	s_and_saveexec_b64 s[24:25], s[22:23]
	s_cbranch_execnz .LBB708_271
.LBB708_256:
	s_or_b64 exec, exec, s[24:25]
	s_and_saveexec_b64 s[22:23], s[20:21]
	s_cbranch_execz .LBB708_272
.LBB708_257:
	v_sub_u32_e32 v4, v58, v1
	v_lshlrev_b32_e32 v4, 2, v4
	ds_write_b32 v4, v59
	s_or_b64 exec, exec, s[22:23]
	s_and_saveexec_b64 s[20:21], s[18:19]
	s_cbranch_execnz .LBB708_273
.LBB708_258:
	s_or_b64 exec, exec, s[20:21]
	s_and_saveexec_b64 s[18:19], s[16:17]
	s_cbranch_execz .LBB708_274
.LBB708_259:
	v_sub_u32_e32 v4, v54, v1
	v_lshlrev_b32_e32 v4, 2, v4
	ds_write_b32 v4, v55
	s_or_b64 exec, exec, s[18:19]
	s_and_saveexec_b64 s[16:17], s[14:15]
	s_cbranch_execnz .LBB708_275
.LBB708_260:
	s_or_b64 exec, exec, s[16:17]
	s_and_saveexec_b64 s[14:15], s[12:13]
	s_cbranch_execz .LBB708_276
.LBB708_261:
	v_sub_u32_e32 v4, v50, v1
	v_lshlrev_b32_e32 v4, 2, v4
	ds_write_b32 v4, v51
	s_or_b64 exec, exec, s[14:15]
	s_and_saveexec_b64 s[12:13], s[10:11]
	s_cbranch_execnz .LBB708_277
.LBB708_262:
	s_or_b64 exec, exec, s[12:13]
	s_and_saveexec_b64 s[10:11], s[8:9]
	s_cbranch_execz .LBB708_278
.LBB708_263:
	v_sub_u32_e32 v4, v44, v1
	v_lshlrev_b32_e32 v4, 2, v4
	ds_write_b32 v4, v45
	s_or_b64 exec, exec, s[10:11]
	s_and_saveexec_b64 s[8:9], s[6:7]
	s_cbranch_execnz .LBB708_279
.LBB708_264:
	s_or_b64 exec, exec, s[8:9]
	s_and_saveexec_b64 s[6:7], s[4:5]
	s_cbranch_execz .LBB708_280
.LBB708_265:
	v_sub_u32_e32 v4, v40, v1
	v_lshlrev_b32_e32 v4, 2, v4
	ds_write_b32 v4, v41
	s_or_b64 exec, exec, s[6:7]
	s_and_saveexec_b64 s[4:5], s[2:3]
	s_cbranch_execnz .LBB708_281
	s_branch .LBB708_282
.LBB708_266:
	s_andn2_saveexec_b64 s[0:1], s[34:35]
	s_cbranch_execz .LBB708_283
.LBB708_267:
	v_sub_u32_e32 v4, v66, v1
	v_lshlrev_b32_e32 v4, 2, v4
	ds_write_b32 v4, v67
	v_sub_u32_e32 v4, v64, v1
	v_lshlrev_b32_e32 v4, 2, v4
	ds_write_b32 v4, v65
	;; [unrolled: 3-line block ×13, first 2 shown]
	v_sub_u32_e32 v4, v38, v1
	v_lshlrev_b32_e32 v4, 2, v4
	s_or_b64 s[38:39], s[38:39], exec
	ds_write_b32 v4, v39
	s_or_b64 exec, exec, s[0:1]
	s_and_b64 exec, exec, s[38:39]
	s_cbranch_execnz .LBB708_284
	s_branch .LBB708_285
.LBB708_268:
	s_or_b64 exec, exec, s[38:39]
	s_and_saveexec_b64 s[28:29], s[26:27]
	s_cbranch_execz .LBB708_254
.LBB708_269:
	v_sub_u32_e32 v4, v64, v1
	v_lshlrev_b32_e32 v4, 2, v4
	ds_write_b32 v4, v65
	s_or_b64 exec, exec, s[28:29]
	s_and_saveexec_b64 s[26:27], s[24:25]
	s_cbranch_execnz .LBB708_255
.LBB708_270:
	s_or_b64 exec, exec, s[26:27]
	s_and_saveexec_b64 s[24:25], s[22:23]
	s_cbranch_execz .LBB708_256
.LBB708_271:
	v_sub_u32_e32 v4, v60, v1
	v_lshlrev_b32_e32 v4, 2, v4
	ds_write_b32 v4, v61
	s_or_b64 exec, exec, s[24:25]
	s_and_saveexec_b64 s[22:23], s[20:21]
	s_cbranch_execnz .LBB708_257
.LBB708_272:
	s_or_b64 exec, exec, s[22:23]
	s_and_saveexec_b64 s[20:21], s[18:19]
	s_cbranch_execz .LBB708_258
.LBB708_273:
	v_sub_u32_e32 v4, v56, v1
	v_lshlrev_b32_e32 v4, 2, v4
	ds_write_b32 v4, v57
	s_or_b64 exec, exec, s[20:21]
	s_and_saveexec_b64 s[18:19], s[16:17]
	s_cbranch_execnz .LBB708_259
.LBB708_274:
	s_or_b64 exec, exec, s[18:19]
	s_and_saveexec_b64 s[16:17], s[14:15]
	s_cbranch_execz .LBB708_260
.LBB708_275:
	v_sub_u32_e32 v4, v52, v1
	v_lshlrev_b32_e32 v4, 2, v4
	ds_write_b32 v4, v53
	s_or_b64 exec, exec, s[16:17]
	s_and_saveexec_b64 s[14:15], s[12:13]
	s_cbranch_execnz .LBB708_261
.LBB708_276:
	s_or_b64 exec, exec, s[14:15]
	s_and_saveexec_b64 s[12:13], s[10:11]
	s_cbranch_execz .LBB708_262
.LBB708_277:
	v_sub_u32_e32 v4, v48, v1
	v_lshlrev_b32_e32 v4, 2, v4
	ds_write_b32 v4, v49
	s_or_b64 exec, exec, s[12:13]
	s_and_saveexec_b64 s[10:11], s[8:9]
	s_cbranch_execnz .LBB708_263
.LBB708_278:
	s_or_b64 exec, exec, s[10:11]
	s_and_saveexec_b64 s[8:9], s[6:7]
	s_cbranch_execz .LBB708_264
.LBB708_279:
	v_sub_u32_e32 v4, v42, v1
	v_lshlrev_b32_e32 v4, 2, v4
	ds_write_b32 v4, v43
	s_or_b64 exec, exec, s[8:9]
	s_and_saveexec_b64 s[6:7], s[4:5]
	s_cbranch_execnz .LBB708_265
.LBB708_280:
	s_or_b64 exec, exec, s[6:7]
	s_and_saveexec_b64 s[4:5], s[2:3]
	s_cbranch_execz .LBB708_282
.LBB708_281:
	v_sub_u32_e32 v4, v38, v1
	v_lshlrev_b32_e32 v4, 2, v4
	ds_write_b32 v4, v39
.LBB708_282:
	s_or_b64 exec, exec, s[4:5]
	s_and_b64 s[38:39], s[0:1], exec
                                        ; implicit-def: $vgpr66_vgpr67
                                        ; implicit-def: $vgpr64_vgpr65
                                        ; implicit-def: $vgpr62_vgpr63
                                        ; implicit-def: $vgpr60_vgpr61
                                        ; implicit-def: $vgpr58_vgpr59
                                        ; implicit-def: $vgpr56_vgpr57
                                        ; implicit-def: $vgpr54_vgpr55
                                        ; implicit-def: $vgpr52_vgpr53
                                        ; implicit-def: $vgpr50_vgpr51
                                        ; implicit-def: $vgpr48_vgpr49
                                        ; implicit-def: $vgpr44_vgpr45
                                        ; implicit-def: $vgpr42_vgpr43
                                        ; implicit-def: $vgpr40_vgpr41
                                        ; implicit-def: $vgpr38_vgpr39
	s_andn2_saveexec_b64 s[0:1], s[34:35]
	s_cbranch_execnz .LBB708_267
.LBB708_283:
	s_or_b64 exec, exec, s[0:1]
	s_and_b64 exec, exec, s[38:39]
	s_cbranch_execz .LBB708_285
.LBB708_284:
	v_sub_u32_e32 v1, v36, v1
	v_lshlrev_b32_e32 v1, 2, v1
	ds_write_b32 v1, v37
.LBB708_285:
	s_or_b64 exec, exec, s[30:31]
	v_cmp_lt_u32_e32 vcc, v0, v6
	s_waitcnt lgkmcnt(0)
	s_barrier
	s_and_saveexec_b64 s[2:3], vcc
	s_cbranch_execz .LBB708_300
; %bb.286:
	v_add_u32_e32 v4, v30, v2
	v_xad_u32 v1, v0, -1, v4
	v_sub_u32_e32 v1, v1, v3
	s_movk_i32 s0, 0x1900
	v_cmp_gt_u32_e64 s[4:5], s0, v1
	s_movk_i32 s0, 0x18ff
	v_cmp_lt_u32_e32 vcc, s0, v1
	v_mov_b32_e32 v2, v0
	s_and_saveexec_b64 s[6:7], vcc
	s_cbranch_execz .LBB708_297
; %bb.287:
	v_sub_u32_e32 v2, v0, v4
	v_add_u32_e32 v2, v2, v3
	v_or_b32_e32 v2, 0xff, v2
	v_cmp_ge_u32_e32 vcc, v2, v0
	s_mov_b64 s[0:1], -1
	v_mov_b32_e32 v2, v0
	s_and_saveexec_b64 s[8:9], vcc
	s_cbranch_execz .LBB708_296
; %bb.288:
	v_lshrrev_b32_e32 v11, 8, v1
	v_add_u32_e32 v2, -1, v11
	v_or_b32_e32 v1, 0x100, v0
	v_lshrrev_b32_e32 v3, 1, v2
	v_add_u32_e32 v13, 1, v3
	v_cmp_lt_u32_e32 vcc, 13, v2
	v_mov_b32_e32 v16, 0
	v_lshlrev_b32_e32 v12, 2, v0
	v_pk_mov_b32 v[2:3], v[0:1], v[0:1] op_sel:[0,1]
	s_and_saveexec_b64 s[10:11], vcc
	s_cbranch_execz .LBB708_292
; %bb.289:
	v_and_b32_e32 v14, -8, v13
	s_mov_b32 s14, 0
	s_mov_b64 s[12:13], 0
	v_mov_b32_e32 v5, 0
	v_mov_b32_e32 v15, v12
	v_pk_mov_b32 v[2:3], v[0:1], v[0:1] op_sel:[0,1]
.LBB708_290:                            ; =>This Inner Loop Header: Depth=1
	v_mov_b32_e32 v4, v2
	v_add_u32_e32 v14, -8, v14
	v_lshlrev_b64 v[52:53], 2, v[4:5]
	v_mov_b32_e32 v4, v3
	ds_read2st64_b32 v[18:19], v15 offset1:4
	s_add_i32 s14, s14, 16
	v_cmp_eq_u32_e32 vcc, 0, v14
	v_lshlrev_b64 v[56:57], 2, v[4:5]
	v_add_u32_e32 v4, 0x200, v2
	s_or_b64 s[12:13], vcc, s[12:13]
	v_add_co_u32_e32 v56, vcc, v9, v56
	v_add_u32_e32 v16, 0x200, v3
	v_mov_b32_e32 v17, v5
	ds_read2st64_b32 v[20:21], v15 offset0:8 offset1:12
	ds_read2st64_b32 v[24:25], v15 offset0:16 offset1:20
	v_add_co_u32_e64 v52, s[0:1], v9, v52
	v_addc_co_u32_e32 v57, vcc, v10, v57, vcc
	v_lshlrev_b64 v[58:59], 2, v[4:5]
	v_lshlrev_b64 v[54:55], 2, v[16:17]
	v_addc_co_u32_e64 v53, s[0:1], v10, v53, s[0:1]
	v_add_u32_e32 v4, 0x400, v2
	v_add_co_u32_e32 v58, vcc, v9, v58
	v_add_u32_e32 v22, 0x400, v3
	v_mov_b32_e32 v23, v5
	ds_read2st64_b32 v[28:29], v15 offset0:24 offset1:28
	v_add_co_u32_e64 v54, s[0:1], v9, v54
	v_addc_co_u32_e32 v59, vcc, v10, v59, vcc
	v_lshlrev_b64 v[60:61], 2, v[4:5]
	ds_read2st64_b32 v[38:39], v15 offset0:32 offset1:36
	ds_read2st64_b32 v[42:43], v15 offset0:40 offset1:44
	;; [unrolled: 1-line block ×4, first 2 shown]
	v_lshlrev_b64 v[22:23], 2, v[22:23]
	v_addc_co_u32_e64 v55, s[0:1], v10, v55, s[0:1]
	v_add_u32_e32 v4, 0x600, v2
	s_waitcnt lgkmcnt(7)
	global_store_dword v[52:53], v18, off
	global_store_dword v[56:57], v19, off
	s_waitcnt lgkmcnt(6)
	global_store_dword v[58:59], v20, off
	global_store_dword v[54:55], v21, off
	v_add_co_u32_e32 v18, vcc, v9, v60
	v_add_u32_e32 v26, 0x600, v3
	v_mov_b32_e32 v27, v5
	v_add_co_u32_e64 v22, s[0:1], v9, v22
	v_addc_co_u32_e32 v19, vcc, v10, v61, vcc
	v_lshlrev_b64 v[20:21], 2, v[4:5]
	v_lshlrev_b64 v[26:27], 2, v[26:27]
	v_addc_co_u32_e64 v23, s[0:1], v10, v23, s[0:1]
	v_add_u32_e32 v4, 0x800, v2
	s_waitcnt lgkmcnt(5)
	global_store_dword v[18:19], v24, off
	global_store_dword v[22:23], v25, off
	v_add_co_u32_e32 v18, vcc, v9, v20
	v_add_u32_e32 v36, 0x800, v3
	v_mov_b32_e32 v37, v5
	v_add_co_u32_e64 v26, s[0:1], v9, v26
	v_addc_co_u32_e32 v19, vcc, v10, v21, vcc
	v_lshlrev_b64 v[20:21], 2, v[4:5]
	v_lshlrev_b64 v[36:37], 2, v[36:37]
	v_addc_co_u32_e64 v27, s[0:1], v10, v27, s[0:1]
	v_add_u32_e32 v4, 0xa00, v2
	s_waitcnt lgkmcnt(4)
	global_store_dword v[18:19], v28, off
	global_store_dword v[26:27], v29, off
	v_add_co_u32_e32 v18, vcc, v9, v20
	v_add_u32_e32 v40, 0xa00, v3
	v_mov_b32_e32 v41, v5
	v_add_co_u32_e64 v36, s[0:1], v9, v36
	v_addc_co_u32_e32 v19, vcc, v10, v21, vcc
	v_lshlrev_b64 v[20:21], 2, v[4:5]
	v_lshlrev_b64 v[40:41], 2, v[40:41]
	v_addc_co_u32_e64 v37, s[0:1], v10, v37, s[0:1]
	v_add_u32_e32 v4, 0xc00, v2
	s_waitcnt lgkmcnt(3)
	global_store_dword v[18:19], v38, off
	global_store_dword v[36:37], v39, off
	v_add_co_u32_e32 v18, vcc, v9, v20
	v_add_u32_e32 v44, 0xc00, v3
	v_mov_b32_e32 v45, v5
	v_add_co_u32_e64 v40, s[0:1], v9, v40
	v_addc_co_u32_e32 v19, vcc, v10, v21, vcc
	v_lshlrev_b64 v[20:21], 2, v[4:5]
	v_lshlrev_b64 v[44:45], 2, v[44:45]
	v_addc_co_u32_e64 v41, s[0:1], v10, v41, s[0:1]
	v_add_u32_e32 v4, 0xe00, v2
	s_waitcnt lgkmcnt(2)
	global_store_dword v[18:19], v42, off
	global_store_dword v[40:41], v43, off
	v_add_co_u32_e32 v18, vcc, v9, v20
	v_add_u32_e32 v48, 0xe00, v3
	v_mov_b32_e32 v49, v5
	v_add_co_u32_e64 v44, s[0:1], v9, v44
	v_addc_co_u32_e32 v19, vcc, v10, v21, vcc
	v_lshlrev_b64 v[20:21], 2, v[4:5]
	v_lshlrev_b64 v[48:49], 2, v[48:49]
	v_addc_co_u32_e64 v45, s[0:1], v10, v45, s[0:1]
	s_waitcnt lgkmcnt(1)
	global_store_dword v[18:19], v46, off
	global_store_dword v[44:45], v47, off
	v_add_co_u32_e32 v18, vcc, v9, v20
	v_add_u32_e32 v15, 0x4000, v15
	v_add_u32_e32 v3, 0x1000, v3
	v_mov_b32_e32 v16, s14
	v_add_co_u32_e64 v48, s[0:1], v9, v48
	v_add_u32_e32 v2, 0x1000, v2
	v_addc_co_u32_e32 v19, vcc, v10, v21, vcc
	v_addc_co_u32_e64 v49, s[0:1], v10, v49, s[0:1]
	s_waitcnt lgkmcnt(0)
	global_store_dword v[18:19], v50, off
	global_store_dword v[48:49], v51, off
	s_andn2_b64 exec, exec, s[12:13]
	s_cbranch_execnz .LBB708_290
; %bb.291:
	s_or_b64 exec, exec, s[12:13]
.LBB708_292:
	s_or_b64 exec, exec, s[10:11]
	v_and_b32_e32 v1, 7, v13
	v_cmp_ne_u32_e32 vcc, 0, v1
	s_and_saveexec_b64 s[10:11], vcc
	s_cbranch_execz .LBB708_295
; %bb.293:
	v_lshl_or_b32 v12, v16, 10, v12
	s_mov_b64 s[12:13], 0
	v_mov_b32_e32 v5, 0
.LBB708_294:                            ; =>This Inner Loop Header: Depth=1
	ds_read2st64_b32 v[14:15], v12 offset1:4
	v_mov_b32_e32 v4, v2
	v_add_u32_e32 v1, -1, v1
	v_lshlrev_b64 v[16:17], 2, v[4:5]
	v_mov_b32_e32 v4, v3
	v_cmp_eq_u32_e32 vcc, 0, v1
	v_add_co_u32_e64 v16, s[0:1], v9, v16
	v_lshlrev_b64 v[18:19], 2, v[4:5]
	v_add_u32_e32 v2, 0x200, v2
	v_add_u32_e32 v12, 0x800, v12
	;; [unrolled: 1-line block ×3, first 2 shown]
	v_addc_co_u32_e64 v17, s[0:1], v10, v17, s[0:1]
	s_or_b64 s[12:13], vcc, s[12:13]
	v_add_co_u32_e32 v18, vcc, v9, v18
	v_addc_co_u32_e32 v19, vcc, v10, v19, vcc
	s_waitcnt lgkmcnt(0)
	global_store_dword v[16:17], v14, off
	global_store_dword v[18:19], v15, off
	s_andn2_b64 exec, exec, s[12:13]
	s_cbranch_execnz .LBB708_294
.LBB708_295:
	s_or_b64 exec, exec, s[10:11]
	v_add_u32_e32 v1, 1, v11
	v_and_b32_e32 v3, 0x1fffffe, v1
	v_cmp_ne_u32_e32 vcc, v1, v3
	v_lshl_or_b32 v2, v3, 8, v0
	s_orn2_b64 s[0:1], vcc, exec
.LBB708_296:
	s_or_b64 exec, exec, s[8:9]
	s_andn2_b64 s[4:5], s[4:5], exec
	s_and_b64 s[0:1], s[0:1], exec
	s_or_b64 s[4:5], s[4:5], s[0:1]
.LBB708_297:
	s_or_b64 exec, exec, s[6:7]
	s_and_b64 exec, exec, s[4:5]
	s_cbranch_execz .LBB708_300
; %bb.298:
	v_lshlrev_b32_e32 v1, 2, v2
	s_mov_b64 s[0:1], 0
	v_mov_b32_e32 v3, 0
.LBB708_299:                            ; =>This Inner Loop Header: Depth=1
	v_lshlrev_b64 v[4:5], 2, v[2:3]
	ds_read_b32 v11, v1
	v_add_co_u32_e32 v4, vcc, v9, v4
	v_add_u32_e32 v2, 0x100, v2
	v_addc_co_u32_e32 v5, vcc, v10, v5, vcc
	v_cmp_ge_u32_e32 vcc, v2, v6
	v_add_u32_e32 v1, 0x400, v1
	s_or_b64 s[0:1], vcc, s[0:1]
	s_waitcnt lgkmcnt(0)
	global_store_dword v[4:5], v11, off
	s_andn2_b64 exec, exec, s[0:1]
	s_cbranch_execnz .LBB708_299
.LBB708_300:
	s_or_b64 exec, exec, s[2:3]
.LBB708_301:
	s_movk_i32 s0, 0xff
	v_cmp_eq_u32_e32 vcc, s0, v0
	s_and_b64 s[0:1], vcc, s[36:37]
	s_and_saveexec_b64 s[2:3], s[0:1]
	s_cbranch_execz .LBB708_304
; %bb.302:
	v_add_co_u32_e32 v0, vcc, v30, v32
	v_addc_co_u32_e64 v1, s[0:1], 0, 0, vcc
	v_add_co_u32_e32 v0, vcc, v0, v34
	v_mov_b32_e32 v31, 0
	v_addc_co_u32_e32 v1, vcc, v1, v35, vcc
	s_cmpk_lg_i32 s33, 0xf00
	global_store_dwordx2 v31, v[0:1], s[54:55]
	s_cbranch_scc1 .LBB708_304
; %bb.303:
	v_lshlrev_b64 v[0:1], 2, v[30:31]
	v_add_co_u32_e32 v0, vcc, v7, v0
	v_addc_co_u32_e32 v1, vcc, v8, v1, vcc
	global_store_dword v[0:1], v81, off offset:-4
.LBB708_304:
	s_endpgm
	.section	.rodata,"a",@progbits
	.p2align	6, 0x0
	.amdhsa_kernel _ZN7rocprim17ROCPRIM_400000_NS6detail17trampoline_kernelINS0_14default_configENS1_29reduce_by_key_config_selectorIyjN6thrust23THRUST_200600_302600_NS4plusIjEEEEZZNS1_33reduce_by_key_impl_wrapped_configILNS1_25lookback_scan_determinismE0ES3_S9_NS6_6detail15normal_iteratorINS6_10device_ptrIyEEEENSD_INSE_IjEEEESG_SI_PmS8_NS6_8equal_toIyEEEE10hipError_tPvRmT2_T3_mT4_T5_T6_T7_T8_P12ihipStream_tbENKUlT_T0_E_clISt17integral_constantIbLb1EES13_EEDaSY_SZ_EUlSY_E_NS1_11comp_targetILNS1_3genE4ELNS1_11target_archE910ELNS1_3gpuE8ELNS1_3repE0EEENS1_30default_config_static_selectorELNS0_4arch9wavefront6targetE1EEEvT1_
		.amdhsa_group_segment_fixed_size 30720
		.amdhsa_private_segment_fixed_size 0
		.amdhsa_kernarg_size 120
		.amdhsa_user_sgpr_count 6
		.amdhsa_user_sgpr_private_segment_buffer 1
		.amdhsa_user_sgpr_dispatch_ptr 0
		.amdhsa_user_sgpr_queue_ptr 0
		.amdhsa_user_sgpr_kernarg_segment_ptr 1
		.amdhsa_user_sgpr_dispatch_id 0
		.amdhsa_user_sgpr_flat_scratch_init 0
		.amdhsa_user_sgpr_kernarg_preload_length 0
		.amdhsa_user_sgpr_kernarg_preload_offset 0
		.amdhsa_user_sgpr_private_segment_size 0
		.amdhsa_uses_dynamic_stack 0
		.amdhsa_system_sgpr_private_segment_wavefront_offset 0
		.amdhsa_system_sgpr_workgroup_id_x 1
		.amdhsa_system_sgpr_workgroup_id_y 0
		.amdhsa_system_sgpr_workgroup_id_z 0
		.amdhsa_system_sgpr_workgroup_info 0
		.amdhsa_system_vgpr_workitem_id 0
		.amdhsa_next_free_vgpr 102
		.amdhsa_next_free_sgpr 66
		.amdhsa_accum_offset 104
		.amdhsa_reserve_vcc 1
		.amdhsa_reserve_flat_scratch 0
		.amdhsa_float_round_mode_32 0
		.amdhsa_float_round_mode_16_64 0
		.amdhsa_float_denorm_mode_32 3
		.amdhsa_float_denorm_mode_16_64 3
		.amdhsa_dx10_clamp 1
		.amdhsa_ieee_mode 1
		.amdhsa_fp16_overflow 0
		.amdhsa_tg_split 0
		.amdhsa_exception_fp_ieee_invalid_op 0
		.amdhsa_exception_fp_denorm_src 0
		.amdhsa_exception_fp_ieee_div_zero 0
		.amdhsa_exception_fp_ieee_overflow 0
		.amdhsa_exception_fp_ieee_underflow 0
		.amdhsa_exception_fp_ieee_inexact 0
		.amdhsa_exception_int_div_zero 0
	.end_amdhsa_kernel
	.section	.text._ZN7rocprim17ROCPRIM_400000_NS6detail17trampoline_kernelINS0_14default_configENS1_29reduce_by_key_config_selectorIyjN6thrust23THRUST_200600_302600_NS4plusIjEEEEZZNS1_33reduce_by_key_impl_wrapped_configILNS1_25lookback_scan_determinismE0ES3_S9_NS6_6detail15normal_iteratorINS6_10device_ptrIyEEEENSD_INSE_IjEEEESG_SI_PmS8_NS6_8equal_toIyEEEE10hipError_tPvRmT2_T3_mT4_T5_T6_T7_T8_P12ihipStream_tbENKUlT_T0_E_clISt17integral_constantIbLb1EES13_EEDaSY_SZ_EUlSY_E_NS1_11comp_targetILNS1_3genE4ELNS1_11target_archE910ELNS1_3gpuE8ELNS1_3repE0EEENS1_30default_config_static_selectorELNS0_4arch9wavefront6targetE1EEEvT1_,"axG",@progbits,_ZN7rocprim17ROCPRIM_400000_NS6detail17trampoline_kernelINS0_14default_configENS1_29reduce_by_key_config_selectorIyjN6thrust23THRUST_200600_302600_NS4plusIjEEEEZZNS1_33reduce_by_key_impl_wrapped_configILNS1_25lookback_scan_determinismE0ES3_S9_NS6_6detail15normal_iteratorINS6_10device_ptrIyEEEENSD_INSE_IjEEEESG_SI_PmS8_NS6_8equal_toIyEEEE10hipError_tPvRmT2_T3_mT4_T5_T6_T7_T8_P12ihipStream_tbENKUlT_T0_E_clISt17integral_constantIbLb1EES13_EEDaSY_SZ_EUlSY_E_NS1_11comp_targetILNS1_3genE4ELNS1_11target_archE910ELNS1_3gpuE8ELNS1_3repE0EEENS1_30default_config_static_selectorELNS0_4arch9wavefront6targetE1EEEvT1_,comdat
.Lfunc_end708:
	.size	_ZN7rocprim17ROCPRIM_400000_NS6detail17trampoline_kernelINS0_14default_configENS1_29reduce_by_key_config_selectorIyjN6thrust23THRUST_200600_302600_NS4plusIjEEEEZZNS1_33reduce_by_key_impl_wrapped_configILNS1_25lookback_scan_determinismE0ES3_S9_NS6_6detail15normal_iteratorINS6_10device_ptrIyEEEENSD_INSE_IjEEEESG_SI_PmS8_NS6_8equal_toIyEEEE10hipError_tPvRmT2_T3_mT4_T5_T6_T7_T8_P12ihipStream_tbENKUlT_T0_E_clISt17integral_constantIbLb1EES13_EEDaSY_SZ_EUlSY_E_NS1_11comp_targetILNS1_3genE4ELNS1_11target_archE910ELNS1_3gpuE8ELNS1_3repE0EEENS1_30default_config_static_selectorELNS0_4arch9wavefront6targetE1EEEvT1_, .Lfunc_end708-_ZN7rocprim17ROCPRIM_400000_NS6detail17trampoline_kernelINS0_14default_configENS1_29reduce_by_key_config_selectorIyjN6thrust23THRUST_200600_302600_NS4plusIjEEEEZZNS1_33reduce_by_key_impl_wrapped_configILNS1_25lookback_scan_determinismE0ES3_S9_NS6_6detail15normal_iteratorINS6_10device_ptrIyEEEENSD_INSE_IjEEEESG_SI_PmS8_NS6_8equal_toIyEEEE10hipError_tPvRmT2_T3_mT4_T5_T6_T7_T8_P12ihipStream_tbENKUlT_T0_E_clISt17integral_constantIbLb1EES13_EEDaSY_SZ_EUlSY_E_NS1_11comp_targetILNS1_3genE4ELNS1_11target_archE910ELNS1_3gpuE8ELNS1_3repE0EEENS1_30default_config_static_selectorELNS0_4arch9wavefront6targetE1EEEvT1_
                                        ; -- End function
	.section	.AMDGPU.csdata,"",@progbits
; Kernel info:
; codeLenInByte = 16672
; NumSgprs: 70
; NumVgprs: 102
; NumAgprs: 0
; TotalNumVgprs: 102
; ScratchSize: 0
; MemoryBound: 0
; FloatMode: 240
; IeeeMode: 1
; LDSByteSize: 30720 bytes/workgroup (compile time only)
; SGPRBlocks: 8
; VGPRBlocks: 12
; NumSGPRsForWavesPerEU: 70
; NumVGPRsForWavesPerEU: 102
; AccumOffset: 104
; Occupancy: 2
; WaveLimiterHint : 1
; COMPUTE_PGM_RSRC2:SCRATCH_EN: 0
; COMPUTE_PGM_RSRC2:USER_SGPR: 6
; COMPUTE_PGM_RSRC2:TRAP_HANDLER: 0
; COMPUTE_PGM_RSRC2:TGID_X_EN: 1
; COMPUTE_PGM_RSRC2:TGID_Y_EN: 0
; COMPUTE_PGM_RSRC2:TGID_Z_EN: 0
; COMPUTE_PGM_RSRC2:TIDIG_COMP_CNT: 0
; COMPUTE_PGM_RSRC3_GFX90A:ACCUM_OFFSET: 25
; COMPUTE_PGM_RSRC3_GFX90A:TG_SPLIT: 0
	.section	.text._ZN7rocprim17ROCPRIM_400000_NS6detail17trampoline_kernelINS0_14default_configENS1_29reduce_by_key_config_selectorIyjN6thrust23THRUST_200600_302600_NS4plusIjEEEEZZNS1_33reduce_by_key_impl_wrapped_configILNS1_25lookback_scan_determinismE0ES3_S9_NS6_6detail15normal_iteratorINS6_10device_ptrIyEEEENSD_INSE_IjEEEESG_SI_PmS8_NS6_8equal_toIyEEEE10hipError_tPvRmT2_T3_mT4_T5_T6_T7_T8_P12ihipStream_tbENKUlT_T0_E_clISt17integral_constantIbLb1EES13_EEDaSY_SZ_EUlSY_E_NS1_11comp_targetILNS1_3genE3ELNS1_11target_archE908ELNS1_3gpuE7ELNS1_3repE0EEENS1_30default_config_static_selectorELNS0_4arch9wavefront6targetE1EEEvT1_,"axG",@progbits,_ZN7rocprim17ROCPRIM_400000_NS6detail17trampoline_kernelINS0_14default_configENS1_29reduce_by_key_config_selectorIyjN6thrust23THRUST_200600_302600_NS4plusIjEEEEZZNS1_33reduce_by_key_impl_wrapped_configILNS1_25lookback_scan_determinismE0ES3_S9_NS6_6detail15normal_iteratorINS6_10device_ptrIyEEEENSD_INSE_IjEEEESG_SI_PmS8_NS6_8equal_toIyEEEE10hipError_tPvRmT2_T3_mT4_T5_T6_T7_T8_P12ihipStream_tbENKUlT_T0_E_clISt17integral_constantIbLb1EES13_EEDaSY_SZ_EUlSY_E_NS1_11comp_targetILNS1_3genE3ELNS1_11target_archE908ELNS1_3gpuE7ELNS1_3repE0EEENS1_30default_config_static_selectorELNS0_4arch9wavefront6targetE1EEEvT1_,comdat
	.protected	_ZN7rocprim17ROCPRIM_400000_NS6detail17trampoline_kernelINS0_14default_configENS1_29reduce_by_key_config_selectorIyjN6thrust23THRUST_200600_302600_NS4plusIjEEEEZZNS1_33reduce_by_key_impl_wrapped_configILNS1_25lookback_scan_determinismE0ES3_S9_NS6_6detail15normal_iteratorINS6_10device_ptrIyEEEENSD_INSE_IjEEEESG_SI_PmS8_NS6_8equal_toIyEEEE10hipError_tPvRmT2_T3_mT4_T5_T6_T7_T8_P12ihipStream_tbENKUlT_T0_E_clISt17integral_constantIbLb1EES13_EEDaSY_SZ_EUlSY_E_NS1_11comp_targetILNS1_3genE3ELNS1_11target_archE908ELNS1_3gpuE7ELNS1_3repE0EEENS1_30default_config_static_selectorELNS0_4arch9wavefront6targetE1EEEvT1_ ; -- Begin function _ZN7rocprim17ROCPRIM_400000_NS6detail17trampoline_kernelINS0_14default_configENS1_29reduce_by_key_config_selectorIyjN6thrust23THRUST_200600_302600_NS4plusIjEEEEZZNS1_33reduce_by_key_impl_wrapped_configILNS1_25lookback_scan_determinismE0ES3_S9_NS6_6detail15normal_iteratorINS6_10device_ptrIyEEEENSD_INSE_IjEEEESG_SI_PmS8_NS6_8equal_toIyEEEE10hipError_tPvRmT2_T3_mT4_T5_T6_T7_T8_P12ihipStream_tbENKUlT_T0_E_clISt17integral_constantIbLb1EES13_EEDaSY_SZ_EUlSY_E_NS1_11comp_targetILNS1_3genE3ELNS1_11target_archE908ELNS1_3gpuE7ELNS1_3repE0EEENS1_30default_config_static_selectorELNS0_4arch9wavefront6targetE1EEEvT1_
	.globl	_ZN7rocprim17ROCPRIM_400000_NS6detail17trampoline_kernelINS0_14default_configENS1_29reduce_by_key_config_selectorIyjN6thrust23THRUST_200600_302600_NS4plusIjEEEEZZNS1_33reduce_by_key_impl_wrapped_configILNS1_25lookback_scan_determinismE0ES3_S9_NS6_6detail15normal_iteratorINS6_10device_ptrIyEEEENSD_INSE_IjEEEESG_SI_PmS8_NS6_8equal_toIyEEEE10hipError_tPvRmT2_T3_mT4_T5_T6_T7_T8_P12ihipStream_tbENKUlT_T0_E_clISt17integral_constantIbLb1EES13_EEDaSY_SZ_EUlSY_E_NS1_11comp_targetILNS1_3genE3ELNS1_11target_archE908ELNS1_3gpuE7ELNS1_3repE0EEENS1_30default_config_static_selectorELNS0_4arch9wavefront6targetE1EEEvT1_
	.p2align	8
	.type	_ZN7rocprim17ROCPRIM_400000_NS6detail17trampoline_kernelINS0_14default_configENS1_29reduce_by_key_config_selectorIyjN6thrust23THRUST_200600_302600_NS4plusIjEEEEZZNS1_33reduce_by_key_impl_wrapped_configILNS1_25lookback_scan_determinismE0ES3_S9_NS6_6detail15normal_iteratorINS6_10device_ptrIyEEEENSD_INSE_IjEEEESG_SI_PmS8_NS6_8equal_toIyEEEE10hipError_tPvRmT2_T3_mT4_T5_T6_T7_T8_P12ihipStream_tbENKUlT_T0_E_clISt17integral_constantIbLb1EES13_EEDaSY_SZ_EUlSY_E_NS1_11comp_targetILNS1_3genE3ELNS1_11target_archE908ELNS1_3gpuE7ELNS1_3repE0EEENS1_30default_config_static_selectorELNS0_4arch9wavefront6targetE1EEEvT1_,@function
_ZN7rocprim17ROCPRIM_400000_NS6detail17trampoline_kernelINS0_14default_configENS1_29reduce_by_key_config_selectorIyjN6thrust23THRUST_200600_302600_NS4plusIjEEEEZZNS1_33reduce_by_key_impl_wrapped_configILNS1_25lookback_scan_determinismE0ES3_S9_NS6_6detail15normal_iteratorINS6_10device_ptrIyEEEENSD_INSE_IjEEEESG_SI_PmS8_NS6_8equal_toIyEEEE10hipError_tPvRmT2_T3_mT4_T5_T6_T7_T8_P12ihipStream_tbENKUlT_T0_E_clISt17integral_constantIbLb1EES13_EEDaSY_SZ_EUlSY_E_NS1_11comp_targetILNS1_3genE3ELNS1_11target_archE908ELNS1_3gpuE7ELNS1_3repE0EEENS1_30default_config_static_selectorELNS0_4arch9wavefront6targetE1EEEvT1_: ; @_ZN7rocprim17ROCPRIM_400000_NS6detail17trampoline_kernelINS0_14default_configENS1_29reduce_by_key_config_selectorIyjN6thrust23THRUST_200600_302600_NS4plusIjEEEEZZNS1_33reduce_by_key_impl_wrapped_configILNS1_25lookback_scan_determinismE0ES3_S9_NS6_6detail15normal_iteratorINS6_10device_ptrIyEEEENSD_INSE_IjEEEESG_SI_PmS8_NS6_8equal_toIyEEEE10hipError_tPvRmT2_T3_mT4_T5_T6_T7_T8_P12ihipStream_tbENKUlT_T0_E_clISt17integral_constantIbLb1EES13_EEDaSY_SZ_EUlSY_E_NS1_11comp_targetILNS1_3genE3ELNS1_11target_archE908ELNS1_3gpuE7ELNS1_3repE0EEENS1_30default_config_static_selectorELNS0_4arch9wavefront6targetE1EEEvT1_
; %bb.0:
	.section	.rodata,"a",@progbits
	.p2align	6, 0x0
	.amdhsa_kernel _ZN7rocprim17ROCPRIM_400000_NS6detail17trampoline_kernelINS0_14default_configENS1_29reduce_by_key_config_selectorIyjN6thrust23THRUST_200600_302600_NS4plusIjEEEEZZNS1_33reduce_by_key_impl_wrapped_configILNS1_25lookback_scan_determinismE0ES3_S9_NS6_6detail15normal_iteratorINS6_10device_ptrIyEEEENSD_INSE_IjEEEESG_SI_PmS8_NS6_8equal_toIyEEEE10hipError_tPvRmT2_T3_mT4_T5_T6_T7_T8_P12ihipStream_tbENKUlT_T0_E_clISt17integral_constantIbLb1EES13_EEDaSY_SZ_EUlSY_E_NS1_11comp_targetILNS1_3genE3ELNS1_11target_archE908ELNS1_3gpuE7ELNS1_3repE0EEENS1_30default_config_static_selectorELNS0_4arch9wavefront6targetE1EEEvT1_
		.amdhsa_group_segment_fixed_size 0
		.amdhsa_private_segment_fixed_size 0
		.amdhsa_kernarg_size 120
		.amdhsa_user_sgpr_count 6
		.amdhsa_user_sgpr_private_segment_buffer 1
		.amdhsa_user_sgpr_dispatch_ptr 0
		.amdhsa_user_sgpr_queue_ptr 0
		.amdhsa_user_sgpr_kernarg_segment_ptr 1
		.amdhsa_user_sgpr_dispatch_id 0
		.amdhsa_user_sgpr_flat_scratch_init 0
		.amdhsa_user_sgpr_kernarg_preload_length 0
		.amdhsa_user_sgpr_kernarg_preload_offset 0
		.amdhsa_user_sgpr_private_segment_size 0
		.amdhsa_uses_dynamic_stack 0
		.amdhsa_system_sgpr_private_segment_wavefront_offset 0
		.amdhsa_system_sgpr_workgroup_id_x 1
		.amdhsa_system_sgpr_workgroup_id_y 0
		.amdhsa_system_sgpr_workgroup_id_z 0
		.amdhsa_system_sgpr_workgroup_info 0
		.amdhsa_system_vgpr_workitem_id 0
		.amdhsa_next_free_vgpr 1
		.amdhsa_next_free_sgpr 0
		.amdhsa_accum_offset 4
		.amdhsa_reserve_vcc 0
		.amdhsa_reserve_flat_scratch 0
		.amdhsa_float_round_mode_32 0
		.amdhsa_float_round_mode_16_64 0
		.amdhsa_float_denorm_mode_32 3
		.amdhsa_float_denorm_mode_16_64 3
		.amdhsa_dx10_clamp 1
		.amdhsa_ieee_mode 1
		.amdhsa_fp16_overflow 0
		.amdhsa_tg_split 0
		.amdhsa_exception_fp_ieee_invalid_op 0
		.amdhsa_exception_fp_denorm_src 0
		.amdhsa_exception_fp_ieee_div_zero 0
		.amdhsa_exception_fp_ieee_overflow 0
		.amdhsa_exception_fp_ieee_underflow 0
		.amdhsa_exception_fp_ieee_inexact 0
		.amdhsa_exception_int_div_zero 0
	.end_amdhsa_kernel
	.section	.text._ZN7rocprim17ROCPRIM_400000_NS6detail17trampoline_kernelINS0_14default_configENS1_29reduce_by_key_config_selectorIyjN6thrust23THRUST_200600_302600_NS4plusIjEEEEZZNS1_33reduce_by_key_impl_wrapped_configILNS1_25lookback_scan_determinismE0ES3_S9_NS6_6detail15normal_iteratorINS6_10device_ptrIyEEEENSD_INSE_IjEEEESG_SI_PmS8_NS6_8equal_toIyEEEE10hipError_tPvRmT2_T3_mT4_T5_T6_T7_T8_P12ihipStream_tbENKUlT_T0_E_clISt17integral_constantIbLb1EES13_EEDaSY_SZ_EUlSY_E_NS1_11comp_targetILNS1_3genE3ELNS1_11target_archE908ELNS1_3gpuE7ELNS1_3repE0EEENS1_30default_config_static_selectorELNS0_4arch9wavefront6targetE1EEEvT1_,"axG",@progbits,_ZN7rocprim17ROCPRIM_400000_NS6detail17trampoline_kernelINS0_14default_configENS1_29reduce_by_key_config_selectorIyjN6thrust23THRUST_200600_302600_NS4plusIjEEEEZZNS1_33reduce_by_key_impl_wrapped_configILNS1_25lookback_scan_determinismE0ES3_S9_NS6_6detail15normal_iteratorINS6_10device_ptrIyEEEENSD_INSE_IjEEEESG_SI_PmS8_NS6_8equal_toIyEEEE10hipError_tPvRmT2_T3_mT4_T5_T6_T7_T8_P12ihipStream_tbENKUlT_T0_E_clISt17integral_constantIbLb1EES13_EEDaSY_SZ_EUlSY_E_NS1_11comp_targetILNS1_3genE3ELNS1_11target_archE908ELNS1_3gpuE7ELNS1_3repE0EEENS1_30default_config_static_selectorELNS0_4arch9wavefront6targetE1EEEvT1_,comdat
.Lfunc_end709:
	.size	_ZN7rocprim17ROCPRIM_400000_NS6detail17trampoline_kernelINS0_14default_configENS1_29reduce_by_key_config_selectorIyjN6thrust23THRUST_200600_302600_NS4plusIjEEEEZZNS1_33reduce_by_key_impl_wrapped_configILNS1_25lookback_scan_determinismE0ES3_S9_NS6_6detail15normal_iteratorINS6_10device_ptrIyEEEENSD_INSE_IjEEEESG_SI_PmS8_NS6_8equal_toIyEEEE10hipError_tPvRmT2_T3_mT4_T5_T6_T7_T8_P12ihipStream_tbENKUlT_T0_E_clISt17integral_constantIbLb1EES13_EEDaSY_SZ_EUlSY_E_NS1_11comp_targetILNS1_3genE3ELNS1_11target_archE908ELNS1_3gpuE7ELNS1_3repE0EEENS1_30default_config_static_selectorELNS0_4arch9wavefront6targetE1EEEvT1_, .Lfunc_end709-_ZN7rocprim17ROCPRIM_400000_NS6detail17trampoline_kernelINS0_14default_configENS1_29reduce_by_key_config_selectorIyjN6thrust23THRUST_200600_302600_NS4plusIjEEEEZZNS1_33reduce_by_key_impl_wrapped_configILNS1_25lookback_scan_determinismE0ES3_S9_NS6_6detail15normal_iteratorINS6_10device_ptrIyEEEENSD_INSE_IjEEEESG_SI_PmS8_NS6_8equal_toIyEEEE10hipError_tPvRmT2_T3_mT4_T5_T6_T7_T8_P12ihipStream_tbENKUlT_T0_E_clISt17integral_constantIbLb1EES13_EEDaSY_SZ_EUlSY_E_NS1_11comp_targetILNS1_3genE3ELNS1_11target_archE908ELNS1_3gpuE7ELNS1_3repE0EEENS1_30default_config_static_selectorELNS0_4arch9wavefront6targetE1EEEvT1_
                                        ; -- End function
	.section	.AMDGPU.csdata,"",@progbits
; Kernel info:
; codeLenInByte = 0
; NumSgprs: 4
; NumVgprs: 0
; NumAgprs: 0
; TotalNumVgprs: 0
; ScratchSize: 0
; MemoryBound: 0
; FloatMode: 240
; IeeeMode: 1
; LDSByteSize: 0 bytes/workgroup (compile time only)
; SGPRBlocks: 0
; VGPRBlocks: 0
; NumSGPRsForWavesPerEU: 4
; NumVGPRsForWavesPerEU: 1
; AccumOffset: 4
; Occupancy: 8
; WaveLimiterHint : 0
; COMPUTE_PGM_RSRC2:SCRATCH_EN: 0
; COMPUTE_PGM_RSRC2:USER_SGPR: 6
; COMPUTE_PGM_RSRC2:TRAP_HANDLER: 0
; COMPUTE_PGM_RSRC2:TGID_X_EN: 1
; COMPUTE_PGM_RSRC2:TGID_Y_EN: 0
; COMPUTE_PGM_RSRC2:TGID_Z_EN: 0
; COMPUTE_PGM_RSRC2:TIDIG_COMP_CNT: 0
; COMPUTE_PGM_RSRC3_GFX90A:ACCUM_OFFSET: 0
; COMPUTE_PGM_RSRC3_GFX90A:TG_SPLIT: 0
	.section	.text._ZN7rocprim17ROCPRIM_400000_NS6detail17trampoline_kernelINS0_14default_configENS1_29reduce_by_key_config_selectorIyjN6thrust23THRUST_200600_302600_NS4plusIjEEEEZZNS1_33reduce_by_key_impl_wrapped_configILNS1_25lookback_scan_determinismE0ES3_S9_NS6_6detail15normal_iteratorINS6_10device_ptrIyEEEENSD_INSE_IjEEEESG_SI_PmS8_NS6_8equal_toIyEEEE10hipError_tPvRmT2_T3_mT4_T5_T6_T7_T8_P12ihipStream_tbENKUlT_T0_E_clISt17integral_constantIbLb1EES13_EEDaSY_SZ_EUlSY_E_NS1_11comp_targetILNS1_3genE2ELNS1_11target_archE906ELNS1_3gpuE6ELNS1_3repE0EEENS1_30default_config_static_selectorELNS0_4arch9wavefront6targetE1EEEvT1_,"axG",@progbits,_ZN7rocprim17ROCPRIM_400000_NS6detail17trampoline_kernelINS0_14default_configENS1_29reduce_by_key_config_selectorIyjN6thrust23THRUST_200600_302600_NS4plusIjEEEEZZNS1_33reduce_by_key_impl_wrapped_configILNS1_25lookback_scan_determinismE0ES3_S9_NS6_6detail15normal_iteratorINS6_10device_ptrIyEEEENSD_INSE_IjEEEESG_SI_PmS8_NS6_8equal_toIyEEEE10hipError_tPvRmT2_T3_mT4_T5_T6_T7_T8_P12ihipStream_tbENKUlT_T0_E_clISt17integral_constantIbLb1EES13_EEDaSY_SZ_EUlSY_E_NS1_11comp_targetILNS1_3genE2ELNS1_11target_archE906ELNS1_3gpuE6ELNS1_3repE0EEENS1_30default_config_static_selectorELNS0_4arch9wavefront6targetE1EEEvT1_,comdat
	.protected	_ZN7rocprim17ROCPRIM_400000_NS6detail17trampoline_kernelINS0_14default_configENS1_29reduce_by_key_config_selectorIyjN6thrust23THRUST_200600_302600_NS4plusIjEEEEZZNS1_33reduce_by_key_impl_wrapped_configILNS1_25lookback_scan_determinismE0ES3_S9_NS6_6detail15normal_iteratorINS6_10device_ptrIyEEEENSD_INSE_IjEEEESG_SI_PmS8_NS6_8equal_toIyEEEE10hipError_tPvRmT2_T3_mT4_T5_T6_T7_T8_P12ihipStream_tbENKUlT_T0_E_clISt17integral_constantIbLb1EES13_EEDaSY_SZ_EUlSY_E_NS1_11comp_targetILNS1_3genE2ELNS1_11target_archE906ELNS1_3gpuE6ELNS1_3repE0EEENS1_30default_config_static_selectorELNS0_4arch9wavefront6targetE1EEEvT1_ ; -- Begin function _ZN7rocprim17ROCPRIM_400000_NS6detail17trampoline_kernelINS0_14default_configENS1_29reduce_by_key_config_selectorIyjN6thrust23THRUST_200600_302600_NS4plusIjEEEEZZNS1_33reduce_by_key_impl_wrapped_configILNS1_25lookback_scan_determinismE0ES3_S9_NS6_6detail15normal_iteratorINS6_10device_ptrIyEEEENSD_INSE_IjEEEESG_SI_PmS8_NS6_8equal_toIyEEEE10hipError_tPvRmT2_T3_mT4_T5_T6_T7_T8_P12ihipStream_tbENKUlT_T0_E_clISt17integral_constantIbLb1EES13_EEDaSY_SZ_EUlSY_E_NS1_11comp_targetILNS1_3genE2ELNS1_11target_archE906ELNS1_3gpuE6ELNS1_3repE0EEENS1_30default_config_static_selectorELNS0_4arch9wavefront6targetE1EEEvT1_
	.globl	_ZN7rocprim17ROCPRIM_400000_NS6detail17trampoline_kernelINS0_14default_configENS1_29reduce_by_key_config_selectorIyjN6thrust23THRUST_200600_302600_NS4plusIjEEEEZZNS1_33reduce_by_key_impl_wrapped_configILNS1_25lookback_scan_determinismE0ES3_S9_NS6_6detail15normal_iteratorINS6_10device_ptrIyEEEENSD_INSE_IjEEEESG_SI_PmS8_NS6_8equal_toIyEEEE10hipError_tPvRmT2_T3_mT4_T5_T6_T7_T8_P12ihipStream_tbENKUlT_T0_E_clISt17integral_constantIbLb1EES13_EEDaSY_SZ_EUlSY_E_NS1_11comp_targetILNS1_3genE2ELNS1_11target_archE906ELNS1_3gpuE6ELNS1_3repE0EEENS1_30default_config_static_selectorELNS0_4arch9wavefront6targetE1EEEvT1_
	.p2align	8
	.type	_ZN7rocprim17ROCPRIM_400000_NS6detail17trampoline_kernelINS0_14default_configENS1_29reduce_by_key_config_selectorIyjN6thrust23THRUST_200600_302600_NS4plusIjEEEEZZNS1_33reduce_by_key_impl_wrapped_configILNS1_25lookback_scan_determinismE0ES3_S9_NS6_6detail15normal_iteratorINS6_10device_ptrIyEEEENSD_INSE_IjEEEESG_SI_PmS8_NS6_8equal_toIyEEEE10hipError_tPvRmT2_T3_mT4_T5_T6_T7_T8_P12ihipStream_tbENKUlT_T0_E_clISt17integral_constantIbLb1EES13_EEDaSY_SZ_EUlSY_E_NS1_11comp_targetILNS1_3genE2ELNS1_11target_archE906ELNS1_3gpuE6ELNS1_3repE0EEENS1_30default_config_static_selectorELNS0_4arch9wavefront6targetE1EEEvT1_,@function
_ZN7rocprim17ROCPRIM_400000_NS6detail17trampoline_kernelINS0_14default_configENS1_29reduce_by_key_config_selectorIyjN6thrust23THRUST_200600_302600_NS4plusIjEEEEZZNS1_33reduce_by_key_impl_wrapped_configILNS1_25lookback_scan_determinismE0ES3_S9_NS6_6detail15normal_iteratorINS6_10device_ptrIyEEEENSD_INSE_IjEEEESG_SI_PmS8_NS6_8equal_toIyEEEE10hipError_tPvRmT2_T3_mT4_T5_T6_T7_T8_P12ihipStream_tbENKUlT_T0_E_clISt17integral_constantIbLb1EES13_EEDaSY_SZ_EUlSY_E_NS1_11comp_targetILNS1_3genE2ELNS1_11target_archE906ELNS1_3gpuE6ELNS1_3repE0EEENS1_30default_config_static_selectorELNS0_4arch9wavefront6targetE1EEEvT1_: ; @_ZN7rocprim17ROCPRIM_400000_NS6detail17trampoline_kernelINS0_14default_configENS1_29reduce_by_key_config_selectorIyjN6thrust23THRUST_200600_302600_NS4plusIjEEEEZZNS1_33reduce_by_key_impl_wrapped_configILNS1_25lookback_scan_determinismE0ES3_S9_NS6_6detail15normal_iteratorINS6_10device_ptrIyEEEENSD_INSE_IjEEEESG_SI_PmS8_NS6_8equal_toIyEEEE10hipError_tPvRmT2_T3_mT4_T5_T6_T7_T8_P12ihipStream_tbENKUlT_T0_E_clISt17integral_constantIbLb1EES13_EEDaSY_SZ_EUlSY_E_NS1_11comp_targetILNS1_3genE2ELNS1_11target_archE906ELNS1_3gpuE6ELNS1_3repE0EEENS1_30default_config_static_selectorELNS0_4arch9wavefront6targetE1EEEvT1_
; %bb.0:
	.section	.rodata,"a",@progbits
	.p2align	6, 0x0
	.amdhsa_kernel _ZN7rocprim17ROCPRIM_400000_NS6detail17trampoline_kernelINS0_14default_configENS1_29reduce_by_key_config_selectorIyjN6thrust23THRUST_200600_302600_NS4plusIjEEEEZZNS1_33reduce_by_key_impl_wrapped_configILNS1_25lookback_scan_determinismE0ES3_S9_NS6_6detail15normal_iteratorINS6_10device_ptrIyEEEENSD_INSE_IjEEEESG_SI_PmS8_NS6_8equal_toIyEEEE10hipError_tPvRmT2_T3_mT4_T5_T6_T7_T8_P12ihipStream_tbENKUlT_T0_E_clISt17integral_constantIbLb1EES13_EEDaSY_SZ_EUlSY_E_NS1_11comp_targetILNS1_3genE2ELNS1_11target_archE906ELNS1_3gpuE6ELNS1_3repE0EEENS1_30default_config_static_selectorELNS0_4arch9wavefront6targetE1EEEvT1_
		.amdhsa_group_segment_fixed_size 0
		.amdhsa_private_segment_fixed_size 0
		.amdhsa_kernarg_size 120
		.amdhsa_user_sgpr_count 6
		.amdhsa_user_sgpr_private_segment_buffer 1
		.amdhsa_user_sgpr_dispatch_ptr 0
		.amdhsa_user_sgpr_queue_ptr 0
		.amdhsa_user_sgpr_kernarg_segment_ptr 1
		.amdhsa_user_sgpr_dispatch_id 0
		.amdhsa_user_sgpr_flat_scratch_init 0
		.amdhsa_user_sgpr_kernarg_preload_length 0
		.amdhsa_user_sgpr_kernarg_preload_offset 0
		.amdhsa_user_sgpr_private_segment_size 0
		.amdhsa_uses_dynamic_stack 0
		.amdhsa_system_sgpr_private_segment_wavefront_offset 0
		.amdhsa_system_sgpr_workgroup_id_x 1
		.amdhsa_system_sgpr_workgroup_id_y 0
		.amdhsa_system_sgpr_workgroup_id_z 0
		.amdhsa_system_sgpr_workgroup_info 0
		.amdhsa_system_vgpr_workitem_id 0
		.amdhsa_next_free_vgpr 1
		.amdhsa_next_free_sgpr 0
		.amdhsa_accum_offset 4
		.amdhsa_reserve_vcc 0
		.amdhsa_reserve_flat_scratch 0
		.amdhsa_float_round_mode_32 0
		.amdhsa_float_round_mode_16_64 0
		.amdhsa_float_denorm_mode_32 3
		.amdhsa_float_denorm_mode_16_64 3
		.amdhsa_dx10_clamp 1
		.amdhsa_ieee_mode 1
		.amdhsa_fp16_overflow 0
		.amdhsa_tg_split 0
		.amdhsa_exception_fp_ieee_invalid_op 0
		.amdhsa_exception_fp_denorm_src 0
		.amdhsa_exception_fp_ieee_div_zero 0
		.amdhsa_exception_fp_ieee_overflow 0
		.amdhsa_exception_fp_ieee_underflow 0
		.amdhsa_exception_fp_ieee_inexact 0
		.amdhsa_exception_int_div_zero 0
	.end_amdhsa_kernel
	.section	.text._ZN7rocprim17ROCPRIM_400000_NS6detail17trampoline_kernelINS0_14default_configENS1_29reduce_by_key_config_selectorIyjN6thrust23THRUST_200600_302600_NS4plusIjEEEEZZNS1_33reduce_by_key_impl_wrapped_configILNS1_25lookback_scan_determinismE0ES3_S9_NS6_6detail15normal_iteratorINS6_10device_ptrIyEEEENSD_INSE_IjEEEESG_SI_PmS8_NS6_8equal_toIyEEEE10hipError_tPvRmT2_T3_mT4_T5_T6_T7_T8_P12ihipStream_tbENKUlT_T0_E_clISt17integral_constantIbLb1EES13_EEDaSY_SZ_EUlSY_E_NS1_11comp_targetILNS1_3genE2ELNS1_11target_archE906ELNS1_3gpuE6ELNS1_3repE0EEENS1_30default_config_static_selectorELNS0_4arch9wavefront6targetE1EEEvT1_,"axG",@progbits,_ZN7rocprim17ROCPRIM_400000_NS6detail17trampoline_kernelINS0_14default_configENS1_29reduce_by_key_config_selectorIyjN6thrust23THRUST_200600_302600_NS4plusIjEEEEZZNS1_33reduce_by_key_impl_wrapped_configILNS1_25lookback_scan_determinismE0ES3_S9_NS6_6detail15normal_iteratorINS6_10device_ptrIyEEEENSD_INSE_IjEEEESG_SI_PmS8_NS6_8equal_toIyEEEE10hipError_tPvRmT2_T3_mT4_T5_T6_T7_T8_P12ihipStream_tbENKUlT_T0_E_clISt17integral_constantIbLb1EES13_EEDaSY_SZ_EUlSY_E_NS1_11comp_targetILNS1_3genE2ELNS1_11target_archE906ELNS1_3gpuE6ELNS1_3repE0EEENS1_30default_config_static_selectorELNS0_4arch9wavefront6targetE1EEEvT1_,comdat
.Lfunc_end710:
	.size	_ZN7rocprim17ROCPRIM_400000_NS6detail17trampoline_kernelINS0_14default_configENS1_29reduce_by_key_config_selectorIyjN6thrust23THRUST_200600_302600_NS4plusIjEEEEZZNS1_33reduce_by_key_impl_wrapped_configILNS1_25lookback_scan_determinismE0ES3_S9_NS6_6detail15normal_iteratorINS6_10device_ptrIyEEEENSD_INSE_IjEEEESG_SI_PmS8_NS6_8equal_toIyEEEE10hipError_tPvRmT2_T3_mT4_T5_T6_T7_T8_P12ihipStream_tbENKUlT_T0_E_clISt17integral_constantIbLb1EES13_EEDaSY_SZ_EUlSY_E_NS1_11comp_targetILNS1_3genE2ELNS1_11target_archE906ELNS1_3gpuE6ELNS1_3repE0EEENS1_30default_config_static_selectorELNS0_4arch9wavefront6targetE1EEEvT1_, .Lfunc_end710-_ZN7rocprim17ROCPRIM_400000_NS6detail17trampoline_kernelINS0_14default_configENS1_29reduce_by_key_config_selectorIyjN6thrust23THRUST_200600_302600_NS4plusIjEEEEZZNS1_33reduce_by_key_impl_wrapped_configILNS1_25lookback_scan_determinismE0ES3_S9_NS6_6detail15normal_iteratorINS6_10device_ptrIyEEEENSD_INSE_IjEEEESG_SI_PmS8_NS6_8equal_toIyEEEE10hipError_tPvRmT2_T3_mT4_T5_T6_T7_T8_P12ihipStream_tbENKUlT_T0_E_clISt17integral_constantIbLb1EES13_EEDaSY_SZ_EUlSY_E_NS1_11comp_targetILNS1_3genE2ELNS1_11target_archE906ELNS1_3gpuE6ELNS1_3repE0EEENS1_30default_config_static_selectorELNS0_4arch9wavefront6targetE1EEEvT1_
                                        ; -- End function
	.section	.AMDGPU.csdata,"",@progbits
; Kernel info:
; codeLenInByte = 0
; NumSgprs: 4
; NumVgprs: 0
; NumAgprs: 0
; TotalNumVgprs: 0
; ScratchSize: 0
; MemoryBound: 0
; FloatMode: 240
; IeeeMode: 1
; LDSByteSize: 0 bytes/workgroup (compile time only)
; SGPRBlocks: 0
; VGPRBlocks: 0
; NumSGPRsForWavesPerEU: 4
; NumVGPRsForWavesPerEU: 1
; AccumOffset: 4
; Occupancy: 8
; WaveLimiterHint : 0
; COMPUTE_PGM_RSRC2:SCRATCH_EN: 0
; COMPUTE_PGM_RSRC2:USER_SGPR: 6
; COMPUTE_PGM_RSRC2:TRAP_HANDLER: 0
; COMPUTE_PGM_RSRC2:TGID_X_EN: 1
; COMPUTE_PGM_RSRC2:TGID_Y_EN: 0
; COMPUTE_PGM_RSRC2:TGID_Z_EN: 0
; COMPUTE_PGM_RSRC2:TIDIG_COMP_CNT: 0
; COMPUTE_PGM_RSRC3_GFX90A:ACCUM_OFFSET: 0
; COMPUTE_PGM_RSRC3_GFX90A:TG_SPLIT: 0
	.section	.text._ZN7rocprim17ROCPRIM_400000_NS6detail17trampoline_kernelINS0_14default_configENS1_29reduce_by_key_config_selectorIyjN6thrust23THRUST_200600_302600_NS4plusIjEEEEZZNS1_33reduce_by_key_impl_wrapped_configILNS1_25lookback_scan_determinismE0ES3_S9_NS6_6detail15normal_iteratorINS6_10device_ptrIyEEEENSD_INSE_IjEEEESG_SI_PmS8_NS6_8equal_toIyEEEE10hipError_tPvRmT2_T3_mT4_T5_T6_T7_T8_P12ihipStream_tbENKUlT_T0_E_clISt17integral_constantIbLb1EES13_EEDaSY_SZ_EUlSY_E_NS1_11comp_targetILNS1_3genE10ELNS1_11target_archE1201ELNS1_3gpuE5ELNS1_3repE0EEENS1_30default_config_static_selectorELNS0_4arch9wavefront6targetE1EEEvT1_,"axG",@progbits,_ZN7rocprim17ROCPRIM_400000_NS6detail17trampoline_kernelINS0_14default_configENS1_29reduce_by_key_config_selectorIyjN6thrust23THRUST_200600_302600_NS4plusIjEEEEZZNS1_33reduce_by_key_impl_wrapped_configILNS1_25lookback_scan_determinismE0ES3_S9_NS6_6detail15normal_iteratorINS6_10device_ptrIyEEEENSD_INSE_IjEEEESG_SI_PmS8_NS6_8equal_toIyEEEE10hipError_tPvRmT2_T3_mT4_T5_T6_T7_T8_P12ihipStream_tbENKUlT_T0_E_clISt17integral_constantIbLb1EES13_EEDaSY_SZ_EUlSY_E_NS1_11comp_targetILNS1_3genE10ELNS1_11target_archE1201ELNS1_3gpuE5ELNS1_3repE0EEENS1_30default_config_static_selectorELNS0_4arch9wavefront6targetE1EEEvT1_,comdat
	.protected	_ZN7rocprim17ROCPRIM_400000_NS6detail17trampoline_kernelINS0_14default_configENS1_29reduce_by_key_config_selectorIyjN6thrust23THRUST_200600_302600_NS4plusIjEEEEZZNS1_33reduce_by_key_impl_wrapped_configILNS1_25lookback_scan_determinismE0ES3_S9_NS6_6detail15normal_iteratorINS6_10device_ptrIyEEEENSD_INSE_IjEEEESG_SI_PmS8_NS6_8equal_toIyEEEE10hipError_tPvRmT2_T3_mT4_T5_T6_T7_T8_P12ihipStream_tbENKUlT_T0_E_clISt17integral_constantIbLb1EES13_EEDaSY_SZ_EUlSY_E_NS1_11comp_targetILNS1_3genE10ELNS1_11target_archE1201ELNS1_3gpuE5ELNS1_3repE0EEENS1_30default_config_static_selectorELNS0_4arch9wavefront6targetE1EEEvT1_ ; -- Begin function _ZN7rocprim17ROCPRIM_400000_NS6detail17trampoline_kernelINS0_14default_configENS1_29reduce_by_key_config_selectorIyjN6thrust23THRUST_200600_302600_NS4plusIjEEEEZZNS1_33reduce_by_key_impl_wrapped_configILNS1_25lookback_scan_determinismE0ES3_S9_NS6_6detail15normal_iteratorINS6_10device_ptrIyEEEENSD_INSE_IjEEEESG_SI_PmS8_NS6_8equal_toIyEEEE10hipError_tPvRmT2_T3_mT4_T5_T6_T7_T8_P12ihipStream_tbENKUlT_T0_E_clISt17integral_constantIbLb1EES13_EEDaSY_SZ_EUlSY_E_NS1_11comp_targetILNS1_3genE10ELNS1_11target_archE1201ELNS1_3gpuE5ELNS1_3repE0EEENS1_30default_config_static_selectorELNS0_4arch9wavefront6targetE1EEEvT1_
	.globl	_ZN7rocprim17ROCPRIM_400000_NS6detail17trampoline_kernelINS0_14default_configENS1_29reduce_by_key_config_selectorIyjN6thrust23THRUST_200600_302600_NS4plusIjEEEEZZNS1_33reduce_by_key_impl_wrapped_configILNS1_25lookback_scan_determinismE0ES3_S9_NS6_6detail15normal_iteratorINS6_10device_ptrIyEEEENSD_INSE_IjEEEESG_SI_PmS8_NS6_8equal_toIyEEEE10hipError_tPvRmT2_T3_mT4_T5_T6_T7_T8_P12ihipStream_tbENKUlT_T0_E_clISt17integral_constantIbLb1EES13_EEDaSY_SZ_EUlSY_E_NS1_11comp_targetILNS1_3genE10ELNS1_11target_archE1201ELNS1_3gpuE5ELNS1_3repE0EEENS1_30default_config_static_selectorELNS0_4arch9wavefront6targetE1EEEvT1_
	.p2align	8
	.type	_ZN7rocprim17ROCPRIM_400000_NS6detail17trampoline_kernelINS0_14default_configENS1_29reduce_by_key_config_selectorIyjN6thrust23THRUST_200600_302600_NS4plusIjEEEEZZNS1_33reduce_by_key_impl_wrapped_configILNS1_25lookback_scan_determinismE0ES3_S9_NS6_6detail15normal_iteratorINS6_10device_ptrIyEEEENSD_INSE_IjEEEESG_SI_PmS8_NS6_8equal_toIyEEEE10hipError_tPvRmT2_T3_mT4_T5_T6_T7_T8_P12ihipStream_tbENKUlT_T0_E_clISt17integral_constantIbLb1EES13_EEDaSY_SZ_EUlSY_E_NS1_11comp_targetILNS1_3genE10ELNS1_11target_archE1201ELNS1_3gpuE5ELNS1_3repE0EEENS1_30default_config_static_selectorELNS0_4arch9wavefront6targetE1EEEvT1_,@function
_ZN7rocprim17ROCPRIM_400000_NS6detail17trampoline_kernelINS0_14default_configENS1_29reduce_by_key_config_selectorIyjN6thrust23THRUST_200600_302600_NS4plusIjEEEEZZNS1_33reduce_by_key_impl_wrapped_configILNS1_25lookback_scan_determinismE0ES3_S9_NS6_6detail15normal_iteratorINS6_10device_ptrIyEEEENSD_INSE_IjEEEESG_SI_PmS8_NS6_8equal_toIyEEEE10hipError_tPvRmT2_T3_mT4_T5_T6_T7_T8_P12ihipStream_tbENKUlT_T0_E_clISt17integral_constantIbLb1EES13_EEDaSY_SZ_EUlSY_E_NS1_11comp_targetILNS1_3genE10ELNS1_11target_archE1201ELNS1_3gpuE5ELNS1_3repE0EEENS1_30default_config_static_selectorELNS0_4arch9wavefront6targetE1EEEvT1_: ; @_ZN7rocprim17ROCPRIM_400000_NS6detail17trampoline_kernelINS0_14default_configENS1_29reduce_by_key_config_selectorIyjN6thrust23THRUST_200600_302600_NS4plusIjEEEEZZNS1_33reduce_by_key_impl_wrapped_configILNS1_25lookback_scan_determinismE0ES3_S9_NS6_6detail15normal_iteratorINS6_10device_ptrIyEEEENSD_INSE_IjEEEESG_SI_PmS8_NS6_8equal_toIyEEEE10hipError_tPvRmT2_T3_mT4_T5_T6_T7_T8_P12ihipStream_tbENKUlT_T0_E_clISt17integral_constantIbLb1EES13_EEDaSY_SZ_EUlSY_E_NS1_11comp_targetILNS1_3genE10ELNS1_11target_archE1201ELNS1_3gpuE5ELNS1_3repE0EEENS1_30default_config_static_selectorELNS0_4arch9wavefront6targetE1EEEvT1_
; %bb.0:
	.section	.rodata,"a",@progbits
	.p2align	6, 0x0
	.amdhsa_kernel _ZN7rocprim17ROCPRIM_400000_NS6detail17trampoline_kernelINS0_14default_configENS1_29reduce_by_key_config_selectorIyjN6thrust23THRUST_200600_302600_NS4plusIjEEEEZZNS1_33reduce_by_key_impl_wrapped_configILNS1_25lookback_scan_determinismE0ES3_S9_NS6_6detail15normal_iteratorINS6_10device_ptrIyEEEENSD_INSE_IjEEEESG_SI_PmS8_NS6_8equal_toIyEEEE10hipError_tPvRmT2_T3_mT4_T5_T6_T7_T8_P12ihipStream_tbENKUlT_T0_E_clISt17integral_constantIbLb1EES13_EEDaSY_SZ_EUlSY_E_NS1_11comp_targetILNS1_3genE10ELNS1_11target_archE1201ELNS1_3gpuE5ELNS1_3repE0EEENS1_30default_config_static_selectorELNS0_4arch9wavefront6targetE1EEEvT1_
		.amdhsa_group_segment_fixed_size 0
		.amdhsa_private_segment_fixed_size 0
		.amdhsa_kernarg_size 120
		.amdhsa_user_sgpr_count 6
		.amdhsa_user_sgpr_private_segment_buffer 1
		.amdhsa_user_sgpr_dispatch_ptr 0
		.amdhsa_user_sgpr_queue_ptr 0
		.amdhsa_user_sgpr_kernarg_segment_ptr 1
		.amdhsa_user_sgpr_dispatch_id 0
		.amdhsa_user_sgpr_flat_scratch_init 0
		.amdhsa_user_sgpr_kernarg_preload_length 0
		.amdhsa_user_sgpr_kernarg_preload_offset 0
		.amdhsa_user_sgpr_private_segment_size 0
		.amdhsa_uses_dynamic_stack 0
		.amdhsa_system_sgpr_private_segment_wavefront_offset 0
		.amdhsa_system_sgpr_workgroup_id_x 1
		.amdhsa_system_sgpr_workgroup_id_y 0
		.amdhsa_system_sgpr_workgroup_id_z 0
		.amdhsa_system_sgpr_workgroup_info 0
		.amdhsa_system_vgpr_workitem_id 0
		.amdhsa_next_free_vgpr 1
		.amdhsa_next_free_sgpr 0
		.amdhsa_accum_offset 4
		.amdhsa_reserve_vcc 0
		.amdhsa_reserve_flat_scratch 0
		.amdhsa_float_round_mode_32 0
		.amdhsa_float_round_mode_16_64 0
		.amdhsa_float_denorm_mode_32 3
		.amdhsa_float_denorm_mode_16_64 3
		.amdhsa_dx10_clamp 1
		.amdhsa_ieee_mode 1
		.amdhsa_fp16_overflow 0
		.amdhsa_tg_split 0
		.amdhsa_exception_fp_ieee_invalid_op 0
		.amdhsa_exception_fp_denorm_src 0
		.amdhsa_exception_fp_ieee_div_zero 0
		.amdhsa_exception_fp_ieee_overflow 0
		.amdhsa_exception_fp_ieee_underflow 0
		.amdhsa_exception_fp_ieee_inexact 0
		.amdhsa_exception_int_div_zero 0
	.end_amdhsa_kernel
	.section	.text._ZN7rocprim17ROCPRIM_400000_NS6detail17trampoline_kernelINS0_14default_configENS1_29reduce_by_key_config_selectorIyjN6thrust23THRUST_200600_302600_NS4plusIjEEEEZZNS1_33reduce_by_key_impl_wrapped_configILNS1_25lookback_scan_determinismE0ES3_S9_NS6_6detail15normal_iteratorINS6_10device_ptrIyEEEENSD_INSE_IjEEEESG_SI_PmS8_NS6_8equal_toIyEEEE10hipError_tPvRmT2_T3_mT4_T5_T6_T7_T8_P12ihipStream_tbENKUlT_T0_E_clISt17integral_constantIbLb1EES13_EEDaSY_SZ_EUlSY_E_NS1_11comp_targetILNS1_3genE10ELNS1_11target_archE1201ELNS1_3gpuE5ELNS1_3repE0EEENS1_30default_config_static_selectorELNS0_4arch9wavefront6targetE1EEEvT1_,"axG",@progbits,_ZN7rocprim17ROCPRIM_400000_NS6detail17trampoline_kernelINS0_14default_configENS1_29reduce_by_key_config_selectorIyjN6thrust23THRUST_200600_302600_NS4plusIjEEEEZZNS1_33reduce_by_key_impl_wrapped_configILNS1_25lookback_scan_determinismE0ES3_S9_NS6_6detail15normal_iteratorINS6_10device_ptrIyEEEENSD_INSE_IjEEEESG_SI_PmS8_NS6_8equal_toIyEEEE10hipError_tPvRmT2_T3_mT4_T5_T6_T7_T8_P12ihipStream_tbENKUlT_T0_E_clISt17integral_constantIbLb1EES13_EEDaSY_SZ_EUlSY_E_NS1_11comp_targetILNS1_3genE10ELNS1_11target_archE1201ELNS1_3gpuE5ELNS1_3repE0EEENS1_30default_config_static_selectorELNS0_4arch9wavefront6targetE1EEEvT1_,comdat
.Lfunc_end711:
	.size	_ZN7rocprim17ROCPRIM_400000_NS6detail17trampoline_kernelINS0_14default_configENS1_29reduce_by_key_config_selectorIyjN6thrust23THRUST_200600_302600_NS4plusIjEEEEZZNS1_33reduce_by_key_impl_wrapped_configILNS1_25lookback_scan_determinismE0ES3_S9_NS6_6detail15normal_iteratorINS6_10device_ptrIyEEEENSD_INSE_IjEEEESG_SI_PmS8_NS6_8equal_toIyEEEE10hipError_tPvRmT2_T3_mT4_T5_T6_T7_T8_P12ihipStream_tbENKUlT_T0_E_clISt17integral_constantIbLb1EES13_EEDaSY_SZ_EUlSY_E_NS1_11comp_targetILNS1_3genE10ELNS1_11target_archE1201ELNS1_3gpuE5ELNS1_3repE0EEENS1_30default_config_static_selectorELNS0_4arch9wavefront6targetE1EEEvT1_, .Lfunc_end711-_ZN7rocprim17ROCPRIM_400000_NS6detail17trampoline_kernelINS0_14default_configENS1_29reduce_by_key_config_selectorIyjN6thrust23THRUST_200600_302600_NS4plusIjEEEEZZNS1_33reduce_by_key_impl_wrapped_configILNS1_25lookback_scan_determinismE0ES3_S9_NS6_6detail15normal_iteratorINS6_10device_ptrIyEEEENSD_INSE_IjEEEESG_SI_PmS8_NS6_8equal_toIyEEEE10hipError_tPvRmT2_T3_mT4_T5_T6_T7_T8_P12ihipStream_tbENKUlT_T0_E_clISt17integral_constantIbLb1EES13_EEDaSY_SZ_EUlSY_E_NS1_11comp_targetILNS1_3genE10ELNS1_11target_archE1201ELNS1_3gpuE5ELNS1_3repE0EEENS1_30default_config_static_selectorELNS0_4arch9wavefront6targetE1EEEvT1_
                                        ; -- End function
	.section	.AMDGPU.csdata,"",@progbits
; Kernel info:
; codeLenInByte = 0
; NumSgprs: 4
; NumVgprs: 0
; NumAgprs: 0
; TotalNumVgprs: 0
; ScratchSize: 0
; MemoryBound: 0
; FloatMode: 240
; IeeeMode: 1
; LDSByteSize: 0 bytes/workgroup (compile time only)
; SGPRBlocks: 0
; VGPRBlocks: 0
; NumSGPRsForWavesPerEU: 4
; NumVGPRsForWavesPerEU: 1
; AccumOffset: 4
; Occupancy: 8
; WaveLimiterHint : 0
; COMPUTE_PGM_RSRC2:SCRATCH_EN: 0
; COMPUTE_PGM_RSRC2:USER_SGPR: 6
; COMPUTE_PGM_RSRC2:TRAP_HANDLER: 0
; COMPUTE_PGM_RSRC2:TGID_X_EN: 1
; COMPUTE_PGM_RSRC2:TGID_Y_EN: 0
; COMPUTE_PGM_RSRC2:TGID_Z_EN: 0
; COMPUTE_PGM_RSRC2:TIDIG_COMP_CNT: 0
; COMPUTE_PGM_RSRC3_GFX90A:ACCUM_OFFSET: 0
; COMPUTE_PGM_RSRC3_GFX90A:TG_SPLIT: 0
	.section	.text._ZN7rocprim17ROCPRIM_400000_NS6detail17trampoline_kernelINS0_14default_configENS1_29reduce_by_key_config_selectorIyjN6thrust23THRUST_200600_302600_NS4plusIjEEEEZZNS1_33reduce_by_key_impl_wrapped_configILNS1_25lookback_scan_determinismE0ES3_S9_NS6_6detail15normal_iteratorINS6_10device_ptrIyEEEENSD_INSE_IjEEEESG_SI_PmS8_NS6_8equal_toIyEEEE10hipError_tPvRmT2_T3_mT4_T5_T6_T7_T8_P12ihipStream_tbENKUlT_T0_E_clISt17integral_constantIbLb1EES13_EEDaSY_SZ_EUlSY_E_NS1_11comp_targetILNS1_3genE10ELNS1_11target_archE1200ELNS1_3gpuE4ELNS1_3repE0EEENS1_30default_config_static_selectorELNS0_4arch9wavefront6targetE1EEEvT1_,"axG",@progbits,_ZN7rocprim17ROCPRIM_400000_NS6detail17trampoline_kernelINS0_14default_configENS1_29reduce_by_key_config_selectorIyjN6thrust23THRUST_200600_302600_NS4plusIjEEEEZZNS1_33reduce_by_key_impl_wrapped_configILNS1_25lookback_scan_determinismE0ES3_S9_NS6_6detail15normal_iteratorINS6_10device_ptrIyEEEENSD_INSE_IjEEEESG_SI_PmS8_NS6_8equal_toIyEEEE10hipError_tPvRmT2_T3_mT4_T5_T6_T7_T8_P12ihipStream_tbENKUlT_T0_E_clISt17integral_constantIbLb1EES13_EEDaSY_SZ_EUlSY_E_NS1_11comp_targetILNS1_3genE10ELNS1_11target_archE1200ELNS1_3gpuE4ELNS1_3repE0EEENS1_30default_config_static_selectorELNS0_4arch9wavefront6targetE1EEEvT1_,comdat
	.protected	_ZN7rocprim17ROCPRIM_400000_NS6detail17trampoline_kernelINS0_14default_configENS1_29reduce_by_key_config_selectorIyjN6thrust23THRUST_200600_302600_NS4plusIjEEEEZZNS1_33reduce_by_key_impl_wrapped_configILNS1_25lookback_scan_determinismE0ES3_S9_NS6_6detail15normal_iteratorINS6_10device_ptrIyEEEENSD_INSE_IjEEEESG_SI_PmS8_NS6_8equal_toIyEEEE10hipError_tPvRmT2_T3_mT4_T5_T6_T7_T8_P12ihipStream_tbENKUlT_T0_E_clISt17integral_constantIbLb1EES13_EEDaSY_SZ_EUlSY_E_NS1_11comp_targetILNS1_3genE10ELNS1_11target_archE1200ELNS1_3gpuE4ELNS1_3repE0EEENS1_30default_config_static_selectorELNS0_4arch9wavefront6targetE1EEEvT1_ ; -- Begin function _ZN7rocprim17ROCPRIM_400000_NS6detail17trampoline_kernelINS0_14default_configENS1_29reduce_by_key_config_selectorIyjN6thrust23THRUST_200600_302600_NS4plusIjEEEEZZNS1_33reduce_by_key_impl_wrapped_configILNS1_25lookback_scan_determinismE0ES3_S9_NS6_6detail15normal_iteratorINS6_10device_ptrIyEEEENSD_INSE_IjEEEESG_SI_PmS8_NS6_8equal_toIyEEEE10hipError_tPvRmT2_T3_mT4_T5_T6_T7_T8_P12ihipStream_tbENKUlT_T0_E_clISt17integral_constantIbLb1EES13_EEDaSY_SZ_EUlSY_E_NS1_11comp_targetILNS1_3genE10ELNS1_11target_archE1200ELNS1_3gpuE4ELNS1_3repE0EEENS1_30default_config_static_selectorELNS0_4arch9wavefront6targetE1EEEvT1_
	.globl	_ZN7rocprim17ROCPRIM_400000_NS6detail17trampoline_kernelINS0_14default_configENS1_29reduce_by_key_config_selectorIyjN6thrust23THRUST_200600_302600_NS4plusIjEEEEZZNS1_33reduce_by_key_impl_wrapped_configILNS1_25lookback_scan_determinismE0ES3_S9_NS6_6detail15normal_iteratorINS6_10device_ptrIyEEEENSD_INSE_IjEEEESG_SI_PmS8_NS6_8equal_toIyEEEE10hipError_tPvRmT2_T3_mT4_T5_T6_T7_T8_P12ihipStream_tbENKUlT_T0_E_clISt17integral_constantIbLb1EES13_EEDaSY_SZ_EUlSY_E_NS1_11comp_targetILNS1_3genE10ELNS1_11target_archE1200ELNS1_3gpuE4ELNS1_3repE0EEENS1_30default_config_static_selectorELNS0_4arch9wavefront6targetE1EEEvT1_
	.p2align	8
	.type	_ZN7rocprim17ROCPRIM_400000_NS6detail17trampoline_kernelINS0_14default_configENS1_29reduce_by_key_config_selectorIyjN6thrust23THRUST_200600_302600_NS4plusIjEEEEZZNS1_33reduce_by_key_impl_wrapped_configILNS1_25lookback_scan_determinismE0ES3_S9_NS6_6detail15normal_iteratorINS6_10device_ptrIyEEEENSD_INSE_IjEEEESG_SI_PmS8_NS6_8equal_toIyEEEE10hipError_tPvRmT2_T3_mT4_T5_T6_T7_T8_P12ihipStream_tbENKUlT_T0_E_clISt17integral_constantIbLb1EES13_EEDaSY_SZ_EUlSY_E_NS1_11comp_targetILNS1_3genE10ELNS1_11target_archE1200ELNS1_3gpuE4ELNS1_3repE0EEENS1_30default_config_static_selectorELNS0_4arch9wavefront6targetE1EEEvT1_,@function
_ZN7rocprim17ROCPRIM_400000_NS6detail17trampoline_kernelINS0_14default_configENS1_29reduce_by_key_config_selectorIyjN6thrust23THRUST_200600_302600_NS4plusIjEEEEZZNS1_33reduce_by_key_impl_wrapped_configILNS1_25lookback_scan_determinismE0ES3_S9_NS6_6detail15normal_iteratorINS6_10device_ptrIyEEEENSD_INSE_IjEEEESG_SI_PmS8_NS6_8equal_toIyEEEE10hipError_tPvRmT2_T3_mT4_T5_T6_T7_T8_P12ihipStream_tbENKUlT_T0_E_clISt17integral_constantIbLb1EES13_EEDaSY_SZ_EUlSY_E_NS1_11comp_targetILNS1_3genE10ELNS1_11target_archE1200ELNS1_3gpuE4ELNS1_3repE0EEENS1_30default_config_static_selectorELNS0_4arch9wavefront6targetE1EEEvT1_: ; @_ZN7rocprim17ROCPRIM_400000_NS6detail17trampoline_kernelINS0_14default_configENS1_29reduce_by_key_config_selectorIyjN6thrust23THRUST_200600_302600_NS4plusIjEEEEZZNS1_33reduce_by_key_impl_wrapped_configILNS1_25lookback_scan_determinismE0ES3_S9_NS6_6detail15normal_iteratorINS6_10device_ptrIyEEEENSD_INSE_IjEEEESG_SI_PmS8_NS6_8equal_toIyEEEE10hipError_tPvRmT2_T3_mT4_T5_T6_T7_T8_P12ihipStream_tbENKUlT_T0_E_clISt17integral_constantIbLb1EES13_EEDaSY_SZ_EUlSY_E_NS1_11comp_targetILNS1_3genE10ELNS1_11target_archE1200ELNS1_3gpuE4ELNS1_3repE0EEENS1_30default_config_static_selectorELNS0_4arch9wavefront6targetE1EEEvT1_
; %bb.0:
	.section	.rodata,"a",@progbits
	.p2align	6, 0x0
	.amdhsa_kernel _ZN7rocprim17ROCPRIM_400000_NS6detail17trampoline_kernelINS0_14default_configENS1_29reduce_by_key_config_selectorIyjN6thrust23THRUST_200600_302600_NS4plusIjEEEEZZNS1_33reduce_by_key_impl_wrapped_configILNS1_25lookback_scan_determinismE0ES3_S9_NS6_6detail15normal_iteratorINS6_10device_ptrIyEEEENSD_INSE_IjEEEESG_SI_PmS8_NS6_8equal_toIyEEEE10hipError_tPvRmT2_T3_mT4_T5_T6_T7_T8_P12ihipStream_tbENKUlT_T0_E_clISt17integral_constantIbLb1EES13_EEDaSY_SZ_EUlSY_E_NS1_11comp_targetILNS1_3genE10ELNS1_11target_archE1200ELNS1_3gpuE4ELNS1_3repE0EEENS1_30default_config_static_selectorELNS0_4arch9wavefront6targetE1EEEvT1_
		.amdhsa_group_segment_fixed_size 0
		.amdhsa_private_segment_fixed_size 0
		.amdhsa_kernarg_size 120
		.amdhsa_user_sgpr_count 6
		.amdhsa_user_sgpr_private_segment_buffer 1
		.amdhsa_user_sgpr_dispatch_ptr 0
		.amdhsa_user_sgpr_queue_ptr 0
		.amdhsa_user_sgpr_kernarg_segment_ptr 1
		.amdhsa_user_sgpr_dispatch_id 0
		.amdhsa_user_sgpr_flat_scratch_init 0
		.amdhsa_user_sgpr_kernarg_preload_length 0
		.amdhsa_user_sgpr_kernarg_preload_offset 0
		.amdhsa_user_sgpr_private_segment_size 0
		.amdhsa_uses_dynamic_stack 0
		.amdhsa_system_sgpr_private_segment_wavefront_offset 0
		.amdhsa_system_sgpr_workgroup_id_x 1
		.amdhsa_system_sgpr_workgroup_id_y 0
		.amdhsa_system_sgpr_workgroup_id_z 0
		.amdhsa_system_sgpr_workgroup_info 0
		.amdhsa_system_vgpr_workitem_id 0
		.amdhsa_next_free_vgpr 1
		.amdhsa_next_free_sgpr 0
		.amdhsa_accum_offset 4
		.amdhsa_reserve_vcc 0
		.amdhsa_reserve_flat_scratch 0
		.amdhsa_float_round_mode_32 0
		.amdhsa_float_round_mode_16_64 0
		.amdhsa_float_denorm_mode_32 3
		.amdhsa_float_denorm_mode_16_64 3
		.amdhsa_dx10_clamp 1
		.amdhsa_ieee_mode 1
		.amdhsa_fp16_overflow 0
		.amdhsa_tg_split 0
		.amdhsa_exception_fp_ieee_invalid_op 0
		.amdhsa_exception_fp_denorm_src 0
		.amdhsa_exception_fp_ieee_div_zero 0
		.amdhsa_exception_fp_ieee_overflow 0
		.amdhsa_exception_fp_ieee_underflow 0
		.amdhsa_exception_fp_ieee_inexact 0
		.amdhsa_exception_int_div_zero 0
	.end_amdhsa_kernel
	.section	.text._ZN7rocprim17ROCPRIM_400000_NS6detail17trampoline_kernelINS0_14default_configENS1_29reduce_by_key_config_selectorIyjN6thrust23THRUST_200600_302600_NS4plusIjEEEEZZNS1_33reduce_by_key_impl_wrapped_configILNS1_25lookback_scan_determinismE0ES3_S9_NS6_6detail15normal_iteratorINS6_10device_ptrIyEEEENSD_INSE_IjEEEESG_SI_PmS8_NS6_8equal_toIyEEEE10hipError_tPvRmT2_T3_mT4_T5_T6_T7_T8_P12ihipStream_tbENKUlT_T0_E_clISt17integral_constantIbLb1EES13_EEDaSY_SZ_EUlSY_E_NS1_11comp_targetILNS1_3genE10ELNS1_11target_archE1200ELNS1_3gpuE4ELNS1_3repE0EEENS1_30default_config_static_selectorELNS0_4arch9wavefront6targetE1EEEvT1_,"axG",@progbits,_ZN7rocprim17ROCPRIM_400000_NS6detail17trampoline_kernelINS0_14default_configENS1_29reduce_by_key_config_selectorIyjN6thrust23THRUST_200600_302600_NS4plusIjEEEEZZNS1_33reduce_by_key_impl_wrapped_configILNS1_25lookback_scan_determinismE0ES3_S9_NS6_6detail15normal_iteratorINS6_10device_ptrIyEEEENSD_INSE_IjEEEESG_SI_PmS8_NS6_8equal_toIyEEEE10hipError_tPvRmT2_T3_mT4_T5_T6_T7_T8_P12ihipStream_tbENKUlT_T0_E_clISt17integral_constantIbLb1EES13_EEDaSY_SZ_EUlSY_E_NS1_11comp_targetILNS1_3genE10ELNS1_11target_archE1200ELNS1_3gpuE4ELNS1_3repE0EEENS1_30default_config_static_selectorELNS0_4arch9wavefront6targetE1EEEvT1_,comdat
.Lfunc_end712:
	.size	_ZN7rocprim17ROCPRIM_400000_NS6detail17trampoline_kernelINS0_14default_configENS1_29reduce_by_key_config_selectorIyjN6thrust23THRUST_200600_302600_NS4plusIjEEEEZZNS1_33reduce_by_key_impl_wrapped_configILNS1_25lookback_scan_determinismE0ES3_S9_NS6_6detail15normal_iteratorINS6_10device_ptrIyEEEENSD_INSE_IjEEEESG_SI_PmS8_NS6_8equal_toIyEEEE10hipError_tPvRmT2_T3_mT4_T5_T6_T7_T8_P12ihipStream_tbENKUlT_T0_E_clISt17integral_constantIbLb1EES13_EEDaSY_SZ_EUlSY_E_NS1_11comp_targetILNS1_3genE10ELNS1_11target_archE1200ELNS1_3gpuE4ELNS1_3repE0EEENS1_30default_config_static_selectorELNS0_4arch9wavefront6targetE1EEEvT1_, .Lfunc_end712-_ZN7rocprim17ROCPRIM_400000_NS6detail17trampoline_kernelINS0_14default_configENS1_29reduce_by_key_config_selectorIyjN6thrust23THRUST_200600_302600_NS4plusIjEEEEZZNS1_33reduce_by_key_impl_wrapped_configILNS1_25lookback_scan_determinismE0ES3_S9_NS6_6detail15normal_iteratorINS6_10device_ptrIyEEEENSD_INSE_IjEEEESG_SI_PmS8_NS6_8equal_toIyEEEE10hipError_tPvRmT2_T3_mT4_T5_T6_T7_T8_P12ihipStream_tbENKUlT_T0_E_clISt17integral_constantIbLb1EES13_EEDaSY_SZ_EUlSY_E_NS1_11comp_targetILNS1_3genE10ELNS1_11target_archE1200ELNS1_3gpuE4ELNS1_3repE0EEENS1_30default_config_static_selectorELNS0_4arch9wavefront6targetE1EEEvT1_
                                        ; -- End function
	.section	.AMDGPU.csdata,"",@progbits
; Kernel info:
; codeLenInByte = 0
; NumSgprs: 4
; NumVgprs: 0
; NumAgprs: 0
; TotalNumVgprs: 0
; ScratchSize: 0
; MemoryBound: 0
; FloatMode: 240
; IeeeMode: 1
; LDSByteSize: 0 bytes/workgroup (compile time only)
; SGPRBlocks: 0
; VGPRBlocks: 0
; NumSGPRsForWavesPerEU: 4
; NumVGPRsForWavesPerEU: 1
; AccumOffset: 4
; Occupancy: 8
; WaveLimiterHint : 0
; COMPUTE_PGM_RSRC2:SCRATCH_EN: 0
; COMPUTE_PGM_RSRC2:USER_SGPR: 6
; COMPUTE_PGM_RSRC2:TRAP_HANDLER: 0
; COMPUTE_PGM_RSRC2:TGID_X_EN: 1
; COMPUTE_PGM_RSRC2:TGID_Y_EN: 0
; COMPUTE_PGM_RSRC2:TGID_Z_EN: 0
; COMPUTE_PGM_RSRC2:TIDIG_COMP_CNT: 0
; COMPUTE_PGM_RSRC3_GFX90A:ACCUM_OFFSET: 0
; COMPUTE_PGM_RSRC3_GFX90A:TG_SPLIT: 0
	.section	.text._ZN7rocprim17ROCPRIM_400000_NS6detail17trampoline_kernelINS0_14default_configENS1_29reduce_by_key_config_selectorIyjN6thrust23THRUST_200600_302600_NS4plusIjEEEEZZNS1_33reduce_by_key_impl_wrapped_configILNS1_25lookback_scan_determinismE0ES3_S9_NS6_6detail15normal_iteratorINS6_10device_ptrIyEEEENSD_INSE_IjEEEESG_SI_PmS8_NS6_8equal_toIyEEEE10hipError_tPvRmT2_T3_mT4_T5_T6_T7_T8_P12ihipStream_tbENKUlT_T0_E_clISt17integral_constantIbLb1EES13_EEDaSY_SZ_EUlSY_E_NS1_11comp_targetILNS1_3genE9ELNS1_11target_archE1100ELNS1_3gpuE3ELNS1_3repE0EEENS1_30default_config_static_selectorELNS0_4arch9wavefront6targetE1EEEvT1_,"axG",@progbits,_ZN7rocprim17ROCPRIM_400000_NS6detail17trampoline_kernelINS0_14default_configENS1_29reduce_by_key_config_selectorIyjN6thrust23THRUST_200600_302600_NS4plusIjEEEEZZNS1_33reduce_by_key_impl_wrapped_configILNS1_25lookback_scan_determinismE0ES3_S9_NS6_6detail15normal_iteratorINS6_10device_ptrIyEEEENSD_INSE_IjEEEESG_SI_PmS8_NS6_8equal_toIyEEEE10hipError_tPvRmT2_T3_mT4_T5_T6_T7_T8_P12ihipStream_tbENKUlT_T0_E_clISt17integral_constantIbLb1EES13_EEDaSY_SZ_EUlSY_E_NS1_11comp_targetILNS1_3genE9ELNS1_11target_archE1100ELNS1_3gpuE3ELNS1_3repE0EEENS1_30default_config_static_selectorELNS0_4arch9wavefront6targetE1EEEvT1_,comdat
	.protected	_ZN7rocprim17ROCPRIM_400000_NS6detail17trampoline_kernelINS0_14default_configENS1_29reduce_by_key_config_selectorIyjN6thrust23THRUST_200600_302600_NS4plusIjEEEEZZNS1_33reduce_by_key_impl_wrapped_configILNS1_25lookback_scan_determinismE0ES3_S9_NS6_6detail15normal_iteratorINS6_10device_ptrIyEEEENSD_INSE_IjEEEESG_SI_PmS8_NS6_8equal_toIyEEEE10hipError_tPvRmT2_T3_mT4_T5_T6_T7_T8_P12ihipStream_tbENKUlT_T0_E_clISt17integral_constantIbLb1EES13_EEDaSY_SZ_EUlSY_E_NS1_11comp_targetILNS1_3genE9ELNS1_11target_archE1100ELNS1_3gpuE3ELNS1_3repE0EEENS1_30default_config_static_selectorELNS0_4arch9wavefront6targetE1EEEvT1_ ; -- Begin function _ZN7rocprim17ROCPRIM_400000_NS6detail17trampoline_kernelINS0_14default_configENS1_29reduce_by_key_config_selectorIyjN6thrust23THRUST_200600_302600_NS4plusIjEEEEZZNS1_33reduce_by_key_impl_wrapped_configILNS1_25lookback_scan_determinismE0ES3_S9_NS6_6detail15normal_iteratorINS6_10device_ptrIyEEEENSD_INSE_IjEEEESG_SI_PmS8_NS6_8equal_toIyEEEE10hipError_tPvRmT2_T3_mT4_T5_T6_T7_T8_P12ihipStream_tbENKUlT_T0_E_clISt17integral_constantIbLb1EES13_EEDaSY_SZ_EUlSY_E_NS1_11comp_targetILNS1_3genE9ELNS1_11target_archE1100ELNS1_3gpuE3ELNS1_3repE0EEENS1_30default_config_static_selectorELNS0_4arch9wavefront6targetE1EEEvT1_
	.globl	_ZN7rocprim17ROCPRIM_400000_NS6detail17trampoline_kernelINS0_14default_configENS1_29reduce_by_key_config_selectorIyjN6thrust23THRUST_200600_302600_NS4plusIjEEEEZZNS1_33reduce_by_key_impl_wrapped_configILNS1_25lookback_scan_determinismE0ES3_S9_NS6_6detail15normal_iteratorINS6_10device_ptrIyEEEENSD_INSE_IjEEEESG_SI_PmS8_NS6_8equal_toIyEEEE10hipError_tPvRmT2_T3_mT4_T5_T6_T7_T8_P12ihipStream_tbENKUlT_T0_E_clISt17integral_constantIbLb1EES13_EEDaSY_SZ_EUlSY_E_NS1_11comp_targetILNS1_3genE9ELNS1_11target_archE1100ELNS1_3gpuE3ELNS1_3repE0EEENS1_30default_config_static_selectorELNS0_4arch9wavefront6targetE1EEEvT1_
	.p2align	8
	.type	_ZN7rocprim17ROCPRIM_400000_NS6detail17trampoline_kernelINS0_14default_configENS1_29reduce_by_key_config_selectorIyjN6thrust23THRUST_200600_302600_NS4plusIjEEEEZZNS1_33reduce_by_key_impl_wrapped_configILNS1_25lookback_scan_determinismE0ES3_S9_NS6_6detail15normal_iteratorINS6_10device_ptrIyEEEENSD_INSE_IjEEEESG_SI_PmS8_NS6_8equal_toIyEEEE10hipError_tPvRmT2_T3_mT4_T5_T6_T7_T8_P12ihipStream_tbENKUlT_T0_E_clISt17integral_constantIbLb1EES13_EEDaSY_SZ_EUlSY_E_NS1_11comp_targetILNS1_3genE9ELNS1_11target_archE1100ELNS1_3gpuE3ELNS1_3repE0EEENS1_30default_config_static_selectorELNS0_4arch9wavefront6targetE1EEEvT1_,@function
_ZN7rocprim17ROCPRIM_400000_NS6detail17trampoline_kernelINS0_14default_configENS1_29reduce_by_key_config_selectorIyjN6thrust23THRUST_200600_302600_NS4plusIjEEEEZZNS1_33reduce_by_key_impl_wrapped_configILNS1_25lookback_scan_determinismE0ES3_S9_NS6_6detail15normal_iteratorINS6_10device_ptrIyEEEENSD_INSE_IjEEEESG_SI_PmS8_NS6_8equal_toIyEEEE10hipError_tPvRmT2_T3_mT4_T5_T6_T7_T8_P12ihipStream_tbENKUlT_T0_E_clISt17integral_constantIbLb1EES13_EEDaSY_SZ_EUlSY_E_NS1_11comp_targetILNS1_3genE9ELNS1_11target_archE1100ELNS1_3gpuE3ELNS1_3repE0EEENS1_30default_config_static_selectorELNS0_4arch9wavefront6targetE1EEEvT1_: ; @_ZN7rocprim17ROCPRIM_400000_NS6detail17trampoline_kernelINS0_14default_configENS1_29reduce_by_key_config_selectorIyjN6thrust23THRUST_200600_302600_NS4plusIjEEEEZZNS1_33reduce_by_key_impl_wrapped_configILNS1_25lookback_scan_determinismE0ES3_S9_NS6_6detail15normal_iteratorINS6_10device_ptrIyEEEENSD_INSE_IjEEEESG_SI_PmS8_NS6_8equal_toIyEEEE10hipError_tPvRmT2_T3_mT4_T5_T6_T7_T8_P12ihipStream_tbENKUlT_T0_E_clISt17integral_constantIbLb1EES13_EEDaSY_SZ_EUlSY_E_NS1_11comp_targetILNS1_3genE9ELNS1_11target_archE1100ELNS1_3gpuE3ELNS1_3repE0EEENS1_30default_config_static_selectorELNS0_4arch9wavefront6targetE1EEEvT1_
; %bb.0:
	.section	.rodata,"a",@progbits
	.p2align	6, 0x0
	.amdhsa_kernel _ZN7rocprim17ROCPRIM_400000_NS6detail17trampoline_kernelINS0_14default_configENS1_29reduce_by_key_config_selectorIyjN6thrust23THRUST_200600_302600_NS4plusIjEEEEZZNS1_33reduce_by_key_impl_wrapped_configILNS1_25lookback_scan_determinismE0ES3_S9_NS6_6detail15normal_iteratorINS6_10device_ptrIyEEEENSD_INSE_IjEEEESG_SI_PmS8_NS6_8equal_toIyEEEE10hipError_tPvRmT2_T3_mT4_T5_T6_T7_T8_P12ihipStream_tbENKUlT_T0_E_clISt17integral_constantIbLb1EES13_EEDaSY_SZ_EUlSY_E_NS1_11comp_targetILNS1_3genE9ELNS1_11target_archE1100ELNS1_3gpuE3ELNS1_3repE0EEENS1_30default_config_static_selectorELNS0_4arch9wavefront6targetE1EEEvT1_
		.amdhsa_group_segment_fixed_size 0
		.amdhsa_private_segment_fixed_size 0
		.amdhsa_kernarg_size 120
		.amdhsa_user_sgpr_count 6
		.amdhsa_user_sgpr_private_segment_buffer 1
		.amdhsa_user_sgpr_dispatch_ptr 0
		.amdhsa_user_sgpr_queue_ptr 0
		.amdhsa_user_sgpr_kernarg_segment_ptr 1
		.amdhsa_user_sgpr_dispatch_id 0
		.amdhsa_user_sgpr_flat_scratch_init 0
		.amdhsa_user_sgpr_kernarg_preload_length 0
		.amdhsa_user_sgpr_kernarg_preload_offset 0
		.amdhsa_user_sgpr_private_segment_size 0
		.amdhsa_uses_dynamic_stack 0
		.amdhsa_system_sgpr_private_segment_wavefront_offset 0
		.amdhsa_system_sgpr_workgroup_id_x 1
		.amdhsa_system_sgpr_workgroup_id_y 0
		.amdhsa_system_sgpr_workgroup_id_z 0
		.amdhsa_system_sgpr_workgroup_info 0
		.amdhsa_system_vgpr_workitem_id 0
		.amdhsa_next_free_vgpr 1
		.amdhsa_next_free_sgpr 0
		.amdhsa_accum_offset 4
		.amdhsa_reserve_vcc 0
		.amdhsa_reserve_flat_scratch 0
		.amdhsa_float_round_mode_32 0
		.amdhsa_float_round_mode_16_64 0
		.amdhsa_float_denorm_mode_32 3
		.amdhsa_float_denorm_mode_16_64 3
		.amdhsa_dx10_clamp 1
		.amdhsa_ieee_mode 1
		.amdhsa_fp16_overflow 0
		.amdhsa_tg_split 0
		.amdhsa_exception_fp_ieee_invalid_op 0
		.amdhsa_exception_fp_denorm_src 0
		.amdhsa_exception_fp_ieee_div_zero 0
		.amdhsa_exception_fp_ieee_overflow 0
		.amdhsa_exception_fp_ieee_underflow 0
		.amdhsa_exception_fp_ieee_inexact 0
		.amdhsa_exception_int_div_zero 0
	.end_amdhsa_kernel
	.section	.text._ZN7rocprim17ROCPRIM_400000_NS6detail17trampoline_kernelINS0_14default_configENS1_29reduce_by_key_config_selectorIyjN6thrust23THRUST_200600_302600_NS4plusIjEEEEZZNS1_33reduce_by_key_impl_wrapped_configILNS1_25lookback_scan_determinismE0ES3_S9_NS6_6detail15normal_iteratorINS6_10device_ptrIyEEEENSD_INSE_IjEEEESG_SI_PmS8_NS6_8equal_toIyEEEE10hipError_tPvRmT2_T3_mT4_T5_T6_T7_T8_P12ihipStream_tbENKUlT_T0_E_clISt17integral_constantIbLb1EES13_EEDaSY_SZ_EUlSY_E_NS1_11comp_targetILNS1_3genE9ELNS1_11target_archE1100ELNS1_3gpuE3ELNS1_3repE0EEENS1_30default_config_static_selectorELNS0_4arch9wavefront6targetE1EEEvT1_,"axG",@progbits,_ZN7rocprim17ROCPRIM_400000_NS6detail17trampoline_kernelINS0_14default_configENS1_29reduce_by_key_config_selectorIyjN6thrust23THRUST_200600_302600_NS4plusIjEEEEZZNS1_33reduce_by_key_impl_wrapped_configILNS1_25lookback_scan_determinismE0ES3_S9_NS6_6detail15normal_iteratorINS6_10device_ptrIyEEEENSD_INSE_IjEEEESG_SI_PmS8_NS6_8equal_toIyEEEE10hipError_tPvRmT2_T3_mT4_T5_T6_T7_T8_P12ihipStream_tbENKUlT_T0_E_clISt17integral_constantIbLb1EES13_EEDaSY_SZ_EUlSY_E_NS1_11comp_targetILNS1_3genE9ELNS1_11target_archE1100ELNS1_3gpuE3ELNS1_3repE0EEENS1_30default_config_static_selectorELNS0_4arch9wavefront6targetE1EEEvT1_,comdat
.Lfunc_end713:
	.size	_ZN7rocprim17ROCPRIM_400000_NS6detail17trampoline_kernelINS0_14default_configENS1_29reduce_by_key_config_selectorIyjN6thrust23THRUST_200600_302600_NS4plusIjEEEEZZNS1_33reduce_by_key_impl_wrapped_configILNS1_25lookback_scan_determinismE0ES3_S9_NS6_6detail15normal_iteratorINS6_10device_ptrIyEEEENSD_INSE_IjEEEESG_SI_PmS8_NS6_8equal_toIyEEEE10hipError_tPvRmT2_T3_mT4_T5_T6_T7_T8_P12ihipStream_tbENKUlT_T0_E_clISt17integral_constantIbLb1EES13_EEDaSY_SZ_EUlSY_E_NS1_11comp_targetILNS1_3genE9ELNS1_11target_archE1100ELNS1_3gpuE3ELNS1_3repE0EEENS1_30default_config_static_selectorELNS0_4arch9wavefront6targetE1EEEvT1_, .Lfunc_end713-_ZN7rocprim17ROCPRIM_400000_NS6detail17trampoline_kernelINS0_14default_configENS1_29reduce_by_key_config_selectorIyjN6thrust23THRUST_200600_302600_NS4plusIjEEEEZZNS1_33reduce_by_key_impl_wrapped_configILNS1_25lookback_scan_determinismE0ES3_S9_NS6_6detail15normal_iteratorINS6_10device_ptrIyEEEENSD_INSE_IjEEEESG_SI_PmS8_NS6_8equal_toIyEEEE10hipError_tPvRmT2_T3_mT4_T5_T6_T7_T8_P12ihipStream_tbENKUlT_T0_E_clISt17integral_constantIbLb1EES13_EEDaSY_SZ_EUlSY_E_NS1_11comp_targetILNS1_3genE9ELNS1_11target_archE1100ELNS1_3gpuE3ELNS1_3repE0EEENS1_30default_config_static_selectorELNS0_4arch9wavefront6targetE1EEEvT1_
                                        ; -- End function
	.section	.AMDGPU.csdata,"",@progbits
; Kernel info:
; codeLenInByte = 0
; NumSgprs: 4
; NumVgprs: 0
; NumAgprs: 0
; TotalNumVgprs: 0
; ScratchSize: 0
; MemoryBound: 0
; FloatMode: 240
; IeeeMode: 1
; LDSByteSize: 0 bytes/workgroup (compile time only)
; SGPRBlocks: 0
; VGPRBlocks: 0
; NumSGPRsForWavesPerEU: 4
; NumVGPRsForWavesPerEU: 1
; AccumOffset: 4
; Occupancy: 8
; WaveLimiterHint : 0
; COMPUTE_PGM_RSRC2:SCRATCH_EN: 0
; COMPUTE_PGM_RSRC2:USER_SGPR: 6
; COMPUTE_PGM_RSRC2:TRAP_HANDLER: 0
; COMPUTE_PGM_RSRC2:TGID_X_EN: 1
; COMPUTE_PGM_RSRC2:TGID_Y_EN: 0
; COMPUTE_PGM_RSRC2:TGID_Z_EN: 0
; COMPUTE_PGM_RSRC2:TIDIG_COMP_CNT: 0
; COMPUTE_PGM_RSRC3_GFX90A:ACCUM_OFFSET: 0
; COMPUTE_PGM_RSRC3_GFX90A:TG_SPLIT: 0
	.section	.text._ZN7rocprim17ROCPRIM_400000_NS6detail17trampoline_kernelINS0_14default_configENS1_29reduce_by_key_config_selectorIyjN6thrust23THRUST_200600_302600_NS4plusIjEEEEZZNS1_33reduce_by_key_impl_wrapped_configILNS1_25lookback_scan_determinismE0ES3_S9_NS6_6detail15normal_iteratorINS6_10device_ptrIyEEEENSD_INSE_IjEEEESG_SI_PmS8_NS6_8equal_toIyEEEE10hipError_tPvRmT2_T3_mT4_T5_T6_T7_T8_P12ihipStream_tbENKUlT_T0_E_clISt17integral_constantIbLb1EES13_EEDaSY_SZ_EUlSY_E_NS1_11comp_targetILNS1_3genE8ELNS1_11target_archE1030ELNS1_3gpuE2ELNS1_3repE0EEENS1_30default_config_static_selectorELNS0_4arch9wavefront6targetE1EEEvT1_,"axG",@progbits,_ZN7rocprim17ROCPRIM_400000_NS6detail17trampoline_kernelINS0_14default_configENS1_29reduce_by_key_config_selectorIyjN6thrust23THRUST_200600_302600_NS4plusIjEEEEZZNS1_33reduce_by_key_impl_wrapped_configILNS1_25lookback_scan_determinismE0ES3_S9_NS6_6detail15normal_iteratorINS6_10device_ptrIyEEEENSD_INSE_IjEEEESG_SI_PmS8_NS6_8equal_toIyEEEE10hipError_tPvRmT2_T3_mT4_T5_T6_T7_T8_P12ihipStream_tbENKUlT_T0_E_clISt17integral_constantIbLb1EES13_EEDaSY_SZ_EUlSY_E_NS1_11comp_targetILNS1_3genE8ELNS1_11target_archE1030ELNS1_3gpuE2ELNS1_3repE0EEENS1_30default_config_static_selectorELNS0_4arch9wavefront6targetE1EEEvT1_,comdat
	.protected	_ZN7rocprim17ROCPRIM_400000_NS6detail17trampoline_kernelINS0_14default_configENS1_29reduce_by_key_config_selectorIyjN6thrust23THRUST_200600_302600_NS4plusIjEEEEZZNS1_33reduce_by_key_impl_wrapped_configILNS1_25lookback_scan_determinismE0ES3_S9_NS6_6detail15normal_iteratorINS6_10device_ptrIyEEEENSD_INSE_IjEEEESG_SI_PmS8_NS6_8equal_toIyEEEE10hipError_tPvRmT2_T3_mT4_T5_T6_T7_T8_P12ihipStream_tbENKUlT_T0_E_clISt17integral_constantIbLb1EES13_EEDaSY_SZ_EUlSY_E_NS1_11comp_targetILNS1_3genE8ELNS1_11target_archE1030ELNS1_3gpuE2ELNS1_3repE0EEENS1_30default_config_static_selectorELNS0_4arch9wavefront6targetE1EEEvT1_ ; -- Begin function _ZN7rocprim17ROCPRIM_400000_NS6detail17trampoline_kernelINS0_14default_configENS1_29reduce_by_key_config_selectorIyjN6thrust23THRUST_200600_302600_NS4plusIjEEEEZZNS1_33reduce_by_key_impl_wrapped_configILNS1_25lookback_scan_determinismE0ES3_S9_NS6_6detail15normal_iteratorINS6_10device_ptrIyEEEENSD_INSE_IjEEEESG_SI_PmS8_NS6_8equal_toIyEEEE10hipError_tPvRmT2_T3_mT4_T5_T6_T7_T8_P12ihipStream_tbENKUlT_T0_E_clISt17integral_constantIbLb1EES13_EEDaSY_SZ_EUlSY_E_NS1_11comp_targetILNS1_3genE8ELNS1_11target_archE1030ELNS1_3gpuE2ELNS1_3repE0EEENS1_30default_config_static_selectorELNS0_4arch9wavefront6targetE1EEEvT1_
	.globl	_ZN7rocprim17ROCPRIM_400000_NS6detail17trampoline_kernelINS0_14default_configENS1_29reduce_by_key_config_selectorIyjN6thrust23THRUST_200600_302600_NS4plusIjEEEEZZNS1_33reduce_by_key_impl_wrapped_configILNS1_25lookback_scan_determinismE0ES3_S9_NS6_6detail15normal_iteratorINS6_10device_ptrIyEEEENSD_INSE_IjEEEESG_SI_PmS8_NS6_8equal_toIyEEEE10hipError_tPvRmT2_T3_mT4_T5_T6_T7_T8_P12ihipStream_tbENKUlT_T0_E_clISt17integral_constantIbLb1EES13_EEDaSY_SZ_EUlSY_E_NS1_11comp_targetILNS1_3genE8ELNS1_11target_archE1030ELNS1_3gpuE2ELNS1_3repE0EEENS1_30default_config_static_selectorELNS0_4arch9wavefront6targetE1EEEvT1_
	.p2align	8
	.type	_ZN7rocprim17ROCPRIM_400000_NS6detail17trampoline_kernelINS0_14default_configENS1_29reduce_by_key_config_selectorIyjN6thrust23THRUST_200600_302600_NS4plusIjEEEEZZNS1_33reduce_by_key_impl_wrapped_configILNS1_25lookback_scan_determinismE0ES3_S9_NS6_6detail15normal_iteratorINS6_10device_ptrIyEEEENSD_INSE_IjEEEESG_SI_PmS8_NS6_8equal_toIyEEEE10hipError_tPvRmT2_T3_mT4_T5_T6_T7_T8_P12ihipStream_tbENKUlT_T0_E_clISt17integral_constantIbLb1EES13_EEDaSY_SZ_EUlSY_E_NS1_11comp_targetILNS1_3genE8ELNS1_11target_archE1030ELNS1_3gpuE2ELNS1_3repE0EEENS1_30default_config_static_selectorELNS0_4arch9wavefront6targetE1EEEvT1_,@function
_ZN7rocprim17ROCPRIM_400000_NS6detail17trampoline_kernelINS0_14default_configENS1_29reduce_by_key_config_selectorIyjN6thrust23THRUST_200600_302600_NS4plusIjEEEEZZNS1_33reduce_by_key_impl_wrapped_configILNS1_25lookback_scan_determinismE0ES3_S9_NS6_6detail15normal_iteratorINS6_10device_ptrIyEEEENSD_INSE_IjEEEESG_SI_PmS8_NS6_8equal_toIyEEEE10hipError_tPvRmT2_T3_mT4_T5_T6_T7_T8_P12ihipStream_tbENKUlT_T0_E_clISt17integral_constantIbLb1EES13_EEDaSY_SZ_EUlSY_E_NS1_11comp_targetILNS1_3genE8ELNS1_11target_archE1030ELNS1_3gpuE2ELNS1_3repE0EEENS1_30default_config_static_selectorELNS0_4arch9wavefront6targetE1EEEvT1_: ; @_ZN7rocprim17ROCPRIM_400000_NS6detail17trampoline_kernelINS0_14default_configENS1_29reduce_by_key_config_selectorIyjN6thrust23THRUST_200600_302600_NS4plusIjEEEEZZNS1_33reduce_by_key_impl_wrapped_configILNS1_25lookback_scan_determinismE0ES3_S9_NS6_6detail15normal_iteratorINS6_10device_ptrIyEEEENSD_INSE_IjEEEESG_SI_PmS8_NS6_8equal_toIyEEEE10hipError_tPvRmT2_T3_mT4_T5_T6_T7_T8_P12ihipStream_tbENKUlT_T0_E_clISt17integral_constantIbLb1EES13_EEDaSY_SZ_EUlSY_E_NS1_11comp_targetILNS1_3genE8ELNS1_11target_archE1030ELNS1_3gpuE2ELNS1_3repE0EEENS1_30default_config_static_selectorELNS0_4arch9wavefront6targetE1EEEvT1_
; %bb.0:
	.section	.rodata,"a",@progbits
	.p2align	6, 0x0
	.amdhsa_kernel _ZN7rocprim17ROCPRIM_400000_NS6detail17trampoline_kernelINS0_14default_configENS1_29reduce_by_key_config_selectorIyjN6thrust23THRUST_200600_302600_NS4plusIjEEEEZZNS1_33reduce_by_key_impl_wrapped_configILNS1_25lookback_scan_determinismE0ES3_S9_NS6_6detail15normal_iteratorINS6_10device_ptrIyEEEENSD_INSE_IjEEEESG_SI_PmS8_NS6_8equal_toIyEEEE10hipError_tPvRmT2_T3_mT4_T5_T6_T7_T8_P12ihipStream_tbENKUlT_T0_E_clISt17integral_constantIbLb1EES13_EEDaSY_SZ_EUlSY_E_NS1_11comp_targetILNS1_3genE8ELNS1_11target_archE1030ELNS1_3gpuE2ELNS1_3repE0EEENS1_30default_config_static_selectorELNS0_4arch9wavefront6targetE1EEEvT1_
		.amdhsa_group_segment_fixed_size 0
		.amdhsa_private_segment_fixed_size 0
		.amdhsa_kernarg_size 120
		.amdhsa_user_sgpr_count 6
		.amdhsa_user_sgpr_private_segment_buffer 1
		.amdhsa_user_sgpr_dispatch_ptr 0
		.amdhsa_user_sgpr_queue_ptr 0
		.amdhsa_user_sgpr_kernarg_segment_ptr 1
		.amdhsa_user_sgpr_dispatch_id 0
		.amdhsa_user_sgpr_flat_scratch_init 0
		.amdhsa_user_sgpr_kernarg_preload_length 0
		.amdhsa_user_sgpr_kernarg_preload_offset 0
		.amdhsa_user_sgpr_private_segment_size 0
		.amdhsa_uses_dynamic_stack 0
		.amdhsa_system_sgpr_private_segment_wavefront_offset 0
		.amdhsa_system_sgpr_workgroup_id_x 1
		.amdhsa_system_sgpr_workgroup_id_y 0
		.amdhsa_system_sgpr_workgroup_id_z 0
		.amdhsa_system_sgpr_workgroup_info 0
		.amdhsa_system_vgpr_workitem_id 0
		.amdhsa_next_free_vgpr 1
		.amdhsa_next_free_sgpr 0
		.amdhsa_accum_offset 4
		.amdhsa_reserve_vcc 0
		.amdhsa_reserve_flat_scratch 0
		.amdhsa_float_round_mode_32 0
		.amdhsa_float_round_mode_16_64 0
		.amdhsa_float_denorm_mode_32 3
		.amdhsa_float_denorm_mode_16_64 3
		.amdhsa_dx10_clamp 1
		.amdhsa_ieee_mode 1
		.amdhsa_fp16_overflow 0
		.amdhsa_tg_split 0
		.amdhsa_exception_fp_ieee_invalid_op 0
		.amdhsa_exception_fp_denorm_src 0
		.amdhsa_exception_fp_ieee_div_zero 0
		.amdhsa_exception_fp_ieee_overflow 0
		.amdhsa_exception_fp_ieee_underflow 0
		.amdhsa_exception_fp_ieee_inexact 0
		.amdhsa_exception_int_div_zero 0
	.end_amdhsa_kernel
	.section	.text._ZN7rocprim17ROCPRIM_400000_NS6detail17trampoline_kernelINS0_14default_configENS1_29reduce_by_key_config_selectorIyjN6thrust23THRUST_200600_302600_NS4plusIjEEEEZZNS1_33reduce_by_key_impl_wrapped_configILNS1_25lookback_scan_determinismE0ES3_S9_NS6_6detail15normal_iteratorINS6_10device_ptrIyEEEENSD_INSE_IjEEEESG_SI_PmS8_NS6_8equal_toIyEEEE10hipError_tPvRmT2_T3_mT4_T5_T6_T7_T8_P12ihipStream_tbENKUlT_T0_E_clISt17integral_constantIbLb1EES13_EEDaSY_SZ_EUlSY_E_NS1_11comp_targetILNS1_3genE8ELNS1_11target_archE1030ELNS1_3gpuE2ELNS1_3repE0EEENS1_30default_config_static_selectorELNS0_4arch9wavefront6targetE1EEEvT1_,"axG",@progbits,_ZN7rocprim17ROCPRIM_400000_NS6detail17trampoline_kernelINS0_14default_configENS1_29reduce_by_key_config_selectorIyjN6thrust23THRUST_200600_302600_NS4plusIjEEEEZZNS1_33reduce_by_key_impl_wrapped_configILNS1_25lookback_scan_determinismE0ES3_S9_NS6_6detail15normal_iteratorINS6_10device_ptrIyEEEENSD_INSE_IjEEEESG_SI_PmS8_NS6_8equal_toIyEEEE10hipError_tPvRmT2_T3_mT4_T5_T6_T7_T8_P12ihipStream_tbENKUlT_T0_E_clISt17integral_constantIbLb1EES13_EEDaSY_SZ_EUlSY_E_NS1_11comp_targetILNS1_3genE8ELNS1_11target_archE1030ELNS1_3gpuE2ELNS1_3repE0EEENS1_30default_config_static_selectorELNS0_4arch9wavefront6targetE1EEEvT1_,comdat
.Lfunc_end714:
	.size	_ZN7rocprim17ROCPRIM_400000_NS6detail17trampoline_kernelINS0_14default_configENS1_29reduce_by_key_config_selectorIyjN6thrust23THRUST_200600_302600_NS4plusIjEEEEZZNS1_33reduce_by_key_impl_wrapped_configILNS1_25lookback_scan_determinismE0ES3_S9_NS6_6detail15normal_iteratorINS6_10device_ptrIyEEEENSD_INSE_IjEEEESG_SI_PmS8_NS6_8equal_toIyEEEE10hipError_tPvRmT2_T3_mT4_T5_T6_T7_T8_P12ihipStream_tbENKUlT_T0_E_clISt17integral_constantIbLb1EES13_EEDaSY_SZ_EUlSY_E_NS1_11comp_targetILNS1_3genE8ELNS1_11target_archE1030ELNS1_3gpuE2ELNS1_3repE0EEENS1_30default_config_static_selectorELNS0_4arch9wavefront6targetE1EEEvT1_, .Lfunc_end714-_ZN7rocprim17ROCPRIM_400000_NS6detail17trampoline_kernelINS0_14default_configENS1_29reduce_by_key_config_selectorIyjN6thrust23THRUST_200600_302600_NS4plusIjEEEEZZNS1_33reduce_by_key_impl_wrapped_configILNS1_25lookback_scan_determinismE0ES3_S9_NS6_6detail15normal_iteratorINS6_10device_ptrIyEEEENSD_INSE_IjEEEESG_SI_PmS8_NS6_8equal_toIyEEEE10hipError_tPvRmT2_T3_mT4_T5_T6_T7_T8_P12ihipStream_tbENKUlT_T0_E_clISt17integral_constantIbLb1EES13_EEDaSY_SZ_EUlSY_E_NS1_11comp_targetILNS1_3genE8ELNS1_11target_archE1030ELNS1_3gpuE2ELNS1_3repE0EEENS1_30default_config_static_selectorELNS0_4arch9wavefront6targetE1EEEvT1_
                                        ; -- End function
	.section	.AMDGPU.csdata,"",@progbits
; Kernel info:
; codeLenInByte = 0
; NumSgprs: 4
; NumVgprs: 0
; NumAgprs: 0
; TotalNumVgprs: 0
; ScratchSize: 0
; MemoryBound: 0
; FloatMode: 240
; IeeeMode: 1
; LDSByteSize: 0 bytes/workgroup (compile time only)
; SGPRBlocks: 0
; VGPRBlocks: 0
; NumSGPRsForWavesPerEU: 4
; NumVGPRsForWavesPerEU: 1
; AccumOffset: 4
; Occupancy: 8
; WaveLimiterHint : 0
; COMPUTE_PGM_RSRC2:SCRATCH_EN: 0
; COMPUTE_PGM_RSRC2:USER_SGPR: 6
; COMPUTE_PGM_RSRC2:TRAP_HANDLER: 0
; COMPUTE_PGM_RSRC2:TGID_X_EN: 1
; COMPUTE_PGM_RSRC2:TGID_Y_EN: 0
; COMPUTE_PGM_RSRC2:TGID_Z_EN: 0
; COMPUTE_PGM_RSRC2:TIDIG_COMP_CNT: 0
; COMPUTE_PGM_RSRC3_GFX90A:ACCUM_OFFSET: 0
; COMPUTE_PGM_RSRC3_GFX90A:TG_SPLIT: 0
	.section	.text._ZN7rocprim17ROCPRIM_400000_NS6detail17trampoline_kernelINS0_14default_configENS1_29reduce_by_key_config_selectorIyjN6thrust23THRUST_200600_302600_NS4plusIjEEEEZZNS1_33reduce_by_key_impl_wrapped_configILNS1_25lookback_scan_determinismE0ES3_S9_NS6_6detail15normal_iteratorINS6_10device_ptrIyEEEENSD_INSE_IjEEEESG_SI_PmS8_NS6_8equal_toIyEEEE10hipError_tPvRmT2_T3_mT4_T5_T6_T7_T8_P12ihipStream_tbENKUlT_T0_E_clISt17integral_constantIbLb1EES12_IbLb0EEEEDaSY_SZ_EUlSY_E_NS1_11comp_targetILNS1_3genE0ELNS1_11target_archE4294967295ELNS1_3gpuE0ELNS1_3repE0EEENS1_30default_config_static_selectorELNS0_4arch9wavefront6targetE1EEEvT1_,"axG",@progbits,_ZN7rocprim17ROCPRIM_400000_NS6detail17trampoline_kernelINS0_14default_configENS1_29reduce_by_key_config_selectorIyjN6thrust23THRUST_200600_302600_NS4plusIjEEEEZZNS1_33reduce_by_key_impl_wrapped_configILNS1_25lookback_scan_determinismE0ES3_S9_NS6_6detail15normal_iteratorINS6_10device_ptrIyEEEENSD_INSE_IjEEEESG_SI_PmS8_NS6_8equal_toIyEEEE10hipError_tPvRmT2_T3_mT4_T5_T6_T7_T8_P12ihipStream_tbENKUlT_T0_E_clISt17integral_constantIbLb1EES12_IbLb0EEEEDaSY_SZ_EUlSY_E_NS1_11comp_targetILNS1_3genE0ELNS1_11target_archE4294967295ELNS1_3gpuE0ELNS1_3repE0EEENS1_30default_config_static_selectorELNS0_4arch9wavefront6targetE1EEEvT1_,comdat
	.protected	_ZN7rocprim17ROCPRIM_400000_NS6detail17trampoline_kernelINS0_14default_configENS1_29reduce_by_key_config_selectorIyjN6thrust23THRUST_200600_302600_NS4plusIjEEEEZZNS1_33reduce_by_key_impl_wrapped_configILNS1_25lookback_scan_determinismE0ES3_S9_NS6_6detail15normal_iteratorINS6_10device_ptrIyEEEENSD_INSE_IjEEEESG_SI_PmS8_NS6_8equal_toIyEEEE10hipError_tPvRmT2_T3_mT4_T5_T6_T7_T8_P12ihipStream_tbENKUlT_T0_E_clISt17integral_constantIbLb1EES12_IbLb0EEEEDaSY_SZ_EUlSY_E_NS1_11comp_targetILNS1_3genE0ELNS1_11target_archE4294967295ELNS1_3gpuE0ELNS1_3repE0EEENS1_30default_config_static_selectorELNS0_4arch9wavefront6targetE1EEEvT1_ ; -- Begin function _ZN7rocprim17ROCPRIM_400000_NS6detail17trampoline_kernelINS0_14default_configENS1_29reduce_by_key_config_selectorIyjN6thrust23THRUST_200600_302600_NS4plusIjEEEEZZNS1_33reduce_by_key_impl_wrapped_configILNS1_25lookback_scan_determinismE0ES3_S9_NS6_6detail15normal_iteratorINS6_10device_ptrIyEEEENSD_INSE_IjEEEESG_SI_PmS8_NS6_8equal_toIyEEEE10hipError_tPvRmT2_T3_mT4_T5_T6_T7_T8_P12ihipStream_tbENKUlT_T0_E_clISt17integral_constantIbLb1EES12_IbLb0EEEEDaSY_SZ_EUlSY_E_NS1_11comp_targetILNS1_3genE0ELNS1_11target_archE4294967295ELNS1_3gpuE0ELNS1_3repE0EEENS1_30default_config_static_selectorELNS0_4arch9wavefront6targetE1EEEvT1_
	.globl	_ZN7rocprim17ROCPRIM_400000_NS6detail17trampoline_kernelINS0_14default_configENS1_29reduce_by_key_config_selectorIyjN6thrust23THRUST_200600_302600_NS4plusIjEEEEZZNS1_33reduce_by_key_impl_wrapped_configILNS1_25lookback_scan_determinismE0ES3_S9_NS6_6detail15normal_iteratorINS6_10device_ptrIyEEEENSD_INSE_IjEEEESG_SI_PmS8_NS6_8equal_toIyEEEE10hipError_tPvRmT2_T3_mT4_T5_T6_T7_T8_P12ihipStream_tbENKUlT_T0_E_clISt17integral_constantIbLb1EES12_IbLb0EEEEDaSY_SZ_EUlSY_E_NS1_11comp_targetILNS1_3genE0ELNS1_11target_archE4294967295ELNS1_3gpuE0ELNS1_3repE0EEENS1_30default_config_static_selectorELNS0_4arch9wavefront6targetE1EEEvT1_
	.p2align	8
	.type	_ZN7rocprim17ROCPRIM_400000_NS6detail17trampoline_kernelINS0_14default_configENS1_29reduce_by_key_config_selectorIyjN6thrust23THRUST_200600_302600_NS4plusIjEEEEZZNS1_33reduce_by_key_impl_wrapped_configILNS1_25lookback_scan_determinismE0ES3_S9_NS6_6detail15normal_iteratorINS6_10device_ptrIyEEEENSD_INSE_IjEEEESG_SI_PmS8_NS6_8equal_toIyEEEE10hipError_tPvRmT2_T3_mT4_T5_T6_T7_T8_P12ihipStream_tbENKUlT_T0_E_clISt17integral_constantIbLb1EES12_IbLb0EEEEDaSY_SZ_EUlSY_E_NS1_11comp_targetILNS1_3genE0ELNS1_11target_archE4294967295ELNS1_3gpuE0ELNS1_3repE0EEENS1_30default_config_static_selectorELNS0_4arch9wavefront6targetE1EEEvT1_,@function
_ZN7rocprim17ROCPRIM_400000_NS6detail17trampoline_kernelINS0_14default_configENS1_29reduce_by_key_config_selectorIyjN6thrust23THRUST_200600_302600_NS4plusIjEEEEZZNS1_33reduce_by_key_impl_wrapped_configILNS1_25lookback_scan_determinismE0ES3_S9_NS6_6detail15normal_iteratorINS6_10device_ptrIyEEEENSD_INSE_IjEEEESG_SI_PmS8_NS6_8equal_toIyEEEE10hipError_tPvRmT2_T3_mT4_T5_T6_T7_T8_P12ihipStream_tbENKUlT_T0_E_clISt17integral_constantIbLb1EES12_IbLb0EEEEDaSY_SZ_EUlSY_E_NS1_11comp_targetILNS1_3genE0ELNS1_11target_archE4294967295ELNS1_3gpuE0ELNS1_3repE0EEENS1_30default_config_static_selectorELNS0_4arch9wavefront6targetE1EEEvT1_: ; @_ZN7rocprim17ROCPRIM_400000_NS6detail17trampoline_kernelINS0_14default_configENS1_29reduce_by_key_config_selectorIyjN6thrust23THRUST_200600_302600_NS4plusIjEEEEZZNS1_33reduce_by_key_impl_wrapped_configILNS1_25lookback_scan_determinismE0ES3_S9_NS6_6detail15normal_iteratorINS6_10device_ptrIyEEEENSD_INSE_IjEEEESG_SI_PmS8_NS6_8equal_toIyEEEE10hipError_tPvRmT2_T3_mT4_T5_T6_T7_T8_P12ihipStream_tbENKUlT_T0_E_clISt17integral_constantIbLb1EES12_IbLb0EEEEDaSY_SZ_EUlSY_E_NS1_11comp_targetILNS1_3genE0ELNS1_11target_archE4294967295ELNS1_3gpuE0ELNS1_3repE0EEENS1_30default_config_static_selectorELNS0_4arch9wavefront6targetE1EEEvT1_
; %bb.0:
	.section	.rodata,"a",@progbits
	.p2align	6, 0x0
	.amdhsa_kernel _ZN7rocprim17ROCPRIM_400000_NS6detail17trampoline_kernelINS0_14default_configENS1_29reduce_by_key_config_selectorIyjN6thrust23THRUST_200600_302600_NS4plusIjEEEEZZNS1_33reduce_by_key_impl_wrapped_configILNS1_25lookback_scan_determinismE0ES3_S9_NS6_6detail15normal_iteratorINS6_10device_ptrIyEEEENSD_INSE_IjEEEESG_SI_PmS8_NS6_8equal_toIyEEEE10hipError_tPvRmT2_T3_mT4_T5_T6_T7_T8_P12ihipStream_tbENKUlT_T0_E_clISt17integral_constantIbLb1EES12_IbLb0EEEEDaSY_SZ_EUlSY_E_NS1_11comp_targetILNS1_3genE0ELNS1_11target_archE4294967295ELNS1_3gpuE0ELNS1_3repE0EEENS1_30default_config_static_selectorELNS0_4arch9wavefront6targetE1EEEvT1_
		.amdhsa_group_segment_fixed_size 0
		.amdhsa_private_segment_fixed_size 0
		.amdhsa_kernarg_size 120
		.amdhsa_user_sgpr_count 6
		.amdhsa_user_sgpr_private_segment_buffer 1
		.amdhsa_user_sgpr_dispatch_ptr 0
		.amdhsa_user_sgpr_queue_ptr 0
		.amdhsa_user_sgpr_kernarg_segment_ptr 1
		.amdhsa_user_sgpr_dispatch_id 0
		.amdhsa_user_sgpr_flat_scratch_init 0
		.amdhsa_user_sgpr_kernarg_preload_length 0
		.amdhsa_user_sgpr_kernarg_preload_offset 0
		.amdhsa_user_sgpr_private_segment_size 0
		.amdhsa_uses_dynamic_stack 0
		.amdhsa_system_sgpr_private_segment_wavefront_offset 0
		.amdhsa_system_sgpr_workgroup_id_x 1
		.amdhsa_system_sgpr_workgroup_id_y 0
		.amdhsa_system_sgpr_workgroup_id_z 0
		.amdhsa_system_sgpr_workgroup_info 0
		.amdhsa_system_vgpr_workitem_id 0
		.amdhsa_next_free_vgpr 1
		.amdhsa_next_free_sgpr 0
		.amdhsa_accum_offset 4
		.amdhsa_reserve_vcc 0
		.amdhsa_reserve_flat_scratch 0
		.amdhsa_float_round_mode_32 0
		.amdhsa_float_round_mode_16_64 0
		.amdhsa_float_denorm_mode_32 3
		.amdhsa_float_denorm_mode_16_64 3
		.amdhsa_dx10_clamp 1
		.amdhsa_ieee_mode 1
		.amdhsa_fp16_overflow 0
		.amdhsa_tg_split 0
		.amdhsa_exception_fp_ieee_invalid_op 0
		.amdhsa_exception_fp_denorm_src 0
		.amdhsa_exception_fp_ieee_div_zero 0
		.amdhsa_exception_fp_ieee_overflow 0
		.amdhsa_exception_fp_ieee_underflow 0
		.amdhsa_exception_fp_ieee_inexact 0
		.amdhsa_exception_int_div_zero 0
	.end_amdhsa_kernel
	.section	.text._ZN7rocprim17ROCPRIM_400000_NS6detail17trampoline_kernelINS0_14default_configENS1_29reduce_by_key_config_selectorIyjN6thrust23THRUST_200600_302600_NS4plusIjEEEEZZNS1_33reduce_by_key_impl_wrapped_configILNS1_25lookback_scan_determinismE0ES3_S9_NS6_6detail15normal_iteratorINS6_10device_ptrIyEEEENSD_INSE_IjEEEESG_SI_PmS8_NS6_8equal_toIyEEEE10hipError_tPvRmT2_T3_mT4_T5_T6_T7_T8_P12ihipStream_tbENKUlT_T0_E_clISt17integral_constantIbLb1EES12_IbLb0EEEEDaSY_SZ_EUlSY_E_NS1_11comp_targetILNS1_3genE0ELNS1_11target_archE4294967295ELNS1_3gpuE0ELNS1_3repE0EEENS1_30default_config_static_selectorELNS0_4arch9wavefront6targetE1EEEvT1_,"axG",@progbits,_ZN7rocprim17ROCPRIM_400000_NS6detail17trampoline_kernelINS0_14default_configENS1_29reduce_by_key_config_selectorIyjN6thrust23THRUST_200600_302600_NS4plusIjEEEEZZNS1_33reduce_by_key_impl_wrapped_configILNS1_25lookback_scan_determinismE0ES3_S9_NS6_6detail15normal_iteratorINS6_10device_ptrIyEEEENSD_INSE_IjEEEESG_SI_PmS8_NS6_8equal_toIyEEEE10hipError_tPvRmT2_T3_mT4_T5_T6_T7_T8_P12ihipStream_tbENKUlT_T0_E_clISt17integral_constantIbLb1EES12_IbLb0EEEEDaSY_SZ_EUlSY_E_NS1_11comp_targetILNS1_3genE0ELNS1_11target_archE4294967295ELNS1_3gpuE0ELNS1_3repE0EEENS1_30default_config_static_selectorELNS0_4arch9wavefront6targetE1EEEvT1_,comdat
.Lfunc_end715:
	.size	_ZN7rocprim17ROCPRIM_400000_NS6detail17trampoline_kernelINS0_14default_configENS1_29reduce_by_key_config_selectorIyjN6thrust23THRUST_200600_302600_NS4plusIjEEEEZZNS1_33reduce_by_key_impl_wrapped_configILNS1_25lookback_scan_determinismE0ES3_S9_NS6_6detail15normal_iteratorINS6_10device_ptrIyEEEENSD_INSE_IjEEEESG_SI_PmS8_NS6_8equal_toIyEEEE10hipError_tPvRmT2_T3_mT4_T5_T6_T7_T8_P12ihipStream_tbENKUlT_T0_E_clISt17integral_constantIbLb1EES12_IbLb0EEEEDaSY_SZ_EUlSY_E_NS1_11comp_targetILNS1_3genE0ELNS1_11target_archE4294967295ELNS1_3gpuE0ELNS1_3repE0EEENS1_30default_config_static_selectorELNS0_4arch9wavefront6targetE1EEEvT1_, .Lfunc_end715-_ZN7rocprim17ROCPRIM_400000_NS6detail17trampoline_kernelINS0_14default_configENS1_29reduce_by_key_config_selectorIyjN6thrust23THRUST_200600_302600_NS4plusIjEEEEZZNS1_33reduce_by_key_impl_wrapped_configILNS1_25lookback_scan_determinismE0ES3_S9_NS6_6detail15normal_iteratorINS6_10device_ptrIyEEEENSD_INSE_IjEEEESG_SI_PmS8_NS6_8equal_toIyEEEE10hipError_tPvRmT2_T3_mT4_T5_T6_T7_T8_P12ihipStream_tbENKUlT_T0_E_clISt17integral_constantIbLb1EES12_IbLb0EEEEDaSY_SZ_EUlSY_E_NS1_11comp_targetILNS1_3genE0ELNS1_11target_archE4294967295ELNS1_3gpuE0ELNS1_3repE0EEENS1_30default_config_static_selectorELNS0_4arch9wavefront6targetE1EEEvT1_
                                        ; -- End function
	.section	.AMDGPU.csdata,"",@progbits
; Kernel info:
; codeLenInByte = 0
; NumSgprs: 4
; NumVgprs: 0
; NumAgprs: 0
; TotalNumVgprs: 0
; ScratchSize: 0
; MemoryBound: 0
; FloatMode: 240
; IeeeMode: 1
; LDSByteSize: 0 bytes/workgroup (compile time only)
; SGPRBlocks: 0
; VGPRBlocks: 0
; NumSGPRsForWavesPerEU: 4
; NumVGPRsForWavesPerEU: 1
; AccumOffset: 4
; Occupancy: 8
; WaveLimiterHint : 0
; COMPUTE_PGM_RSRC2:SCRATCH_EN: 0
; COMPUTE_PGM_RSRC2:USER_SGPR: 6
; COMPUTE_PGM_RSRC2:TRAP_HANDLER: 0
; COMPUTE_PGM_RSRC2:TGID_X_EN: 1
; COMPUTE_PGM_RSRC2:TGID_Y_EN: 0
; COMPUTE_PGM_RSRC2:TGID_Z_EN: 0
; COMPUTE_PGM_RSRC2:TIDIG_COMP_CNT: 0
; COMPUTE_PGM_RSRC3_GFX90A:ACCUM_OFFSET: 0
; COMPUTE_PGM_RSRC3_GFX90A:TG_SPLIT: 0
	.section	.text._ZN7rocprim17ROCPRIM_400000_NS6detail17trampoline_kernelINS0_14default_configENS1_29reduce_by_key_config_selectorIyjN6thrust23THRUST_200600_302600_NS4plusIjEEEEZZNS1_33reduce_by_key_impl_wrapped_configILNS1_25lookback_scan_determinismE0ES3_S9_NS6_6detail15normal_iteratorINS6_10device_ptrIyEEEENSD_INSE_IjEEEESG_SI_PmS8_NS6_8equal_toIyEEEE10hipError_tPvRmT2_T3_mT4_T5_T6_T7_T8_P12ihipStream_tbENKUlT_T0_E_clISt17integral_constantIbLb1EES12_IbLb0EEEEDaSY_SZ_EUlSY_E_NS1_11comp_targetILNS1_3genE5ELNS1_11target_archE942ELNS1_3gpuE9ELNS1_3repE0EEENS1_30default_config_static_selectorELNS0_4arch9wavefront6targetE1EEEvT1_,"axG",@progbits,_ZN7rocprim17ROCPRIM_400000_NS6detail17trampoline_kernelINS0_14default_configENS1_29reduce_by_key_config_selectorIyjN6thrust23THRUST_200600_302600_NS4plusIjEEEEZZNS1_33reduce_by_key_impl_wrapped_configILNS1_25lookback_scan_determinismE0ES3_S9_NS6_6detail15normal_iteratorINS6_10device_ptrIyEEEENSD_INSE_IjEEEESG_SI_PmS8_NS6_8equal_toIyEEEE10hipError_tPvRmT2_T3_mT4_T5_T6_T7_T8_P12ihipStream_tbENKUlT_T0_E_clISt17integral_constantIbLb1EES12_IbLb0EEEEDaSY_SZ_EUlSY_E_NS1_11comp_targetILNS1_3genE5ELNS1_11target_archE942ELNS1_3gpuE9ELNS1_3repE0EEENS1_30default_config_static_selectorELNS0_4arch9wavefront6targetE1EEEvT1_,comdat
	.protected	_ZN7rocprim17ROCPRIM_400000_NS6detail17trampoline_kernelINS0_14default_configENS1_29reduce_by_key_config_selectorIyjN6thrust23THRUST_200600_302600_NS4plusIjEEEEZZNS1_33reduce_by_key_impl_wrapped_configILNS1_25lookback_scan_determinismE0ES3_S9_NS6_6detail15normal_iteratorINS6_10device_ptrIyEEEENSD_INSE_IjEEEESG_SI_PmS8_NS6_8equal_toIyEEEE10hipError_tPvRmT2_T3_mT4_T5_T6_T7_T8_P12ihipStream_tbENKUlT_T0_E_clISt17integral_constantIbLb1EES12_IbLb0EEEEDaSY_SZ_EUlSY_E_NS1_11comp_targetILNS1_3genE5ELNS1_11target_archE942ELNS1_3gpuE9ELNS1_3repE0EEENS1_30default_config_static_selectorELNS0_4arch9wavefront6targetE1EEEvT1_ ; -- Begin function _ZN7rocprim17ROCPRIM_400000_NS6detail17trampoline_kernelINS0_14default_configENS1_29reduce_by_key_config_selectorIyjN6thrust23THRUST_200600_302600_NS4plusIjEEEEZZNS1_33reduce_by_key_impl_wrapped_configILNS1_25lookback_scan_determinismE0ES3_S9_NS6_6detail15normal_iteratorINS6_10device_ptrIyEEEENSD_INSE_IjEEEESG_SI_PmS8_NS6_8equal_toIyEEEE10hipError_tPvRmT2_T3_mT4_T5_T6_T7_T8_P12ihipStream_tbENKUlT_T0_E_clISt17integral_constantIbLb1EES12_IbLb0EEEEDaSY_SZ_EUlSY_E_NS1_11comp_targetILNS1_3genE5ELNS1_11target_archE942ELNS1_3gpuE9ELNS1_3repE0EEENS1_30default_config_static_selectorELNS0_4arch9wavefront6targetE1EEEvT1_
	.globl	_ZN7rocprim17ROCPRIM_400000_NS6detail17trampoline_kernelINS0_14default_configENS1_29reduce_by_key_config_selectorIyjN6thrust23THRUST_200600_302600_NS4plusIjEEEEZZNS1_33reduce_by_key_impl_wrapped_configILNS1_25lookback_scan_determinismE0ES3_S9_NS6_6detail15normal_iteratorINS6_10device_ptrIyEEEENSD_INSE_IjEEEESG_SI_PmS8_NS6_8equal_toIyEEEE10hipError_tPvRmT2_T3_mT4_T5_T6_T7_T8_P12ihipStream_tbENKUlT_T0_E_clISt17integral_constantIbLb1EES12_IbLb0EEEEDaSY_SZ_EUlSY_E_NS1_11comp_targetILNS1_3genE5ELNS1_11target_archE942ELNS1_3gpuE9ELNS1_3repE0EEENS1_30default_config_static_selectorELNS0_4arch9wavefront6targetE1EEEvT1_
	.p2align	8
	.type	_ZN7rocprim17ROCPRIM_400000_NS6detail17trampoline_kernelINS0_14default_configENS1_29reduce_by_key_config_selectorIyjN6thrust23THRUST_200600_302600_NS4plusIjEEEEZZNS1_33reduce_by_key_impl_wrapped_configILNS1_25lookback_scan_determinismE0ES3_S9_NS6_6detail15normal_iteratorINS6_10device_ptrIyEEEENSD_INSE_IjEEEESG_SI_PmS8_NS6_8equal_toIyEEEE10hipError_tPvRmT2_T3_mT4_T5_T6_T7_T8_P12ihipStream_tbENKUlT_T0_E_clISt17integral_constantIbLb1EES12_IbLb0EEEEDaSY_SZ_EUlSY_E_NS1_11comp_targetILNS1_3genE5ELNS1_11target_archE942ELNS1_3gpuE9ELNS1_3repE0EEENS1_30default_config_static_selectorELNS0_4arch9wavefront6targetE1EEEvT1_,@function
_ZN7rocprim17ROCPRIM_400000_NS6detail17trampoline_kernelINS0_14default_configENS1_29reduce_by_key_config_selectorIyjN6thrust23THRUST_200600_302600_NS4plusIjEEEEZZNS1_33reduce_by_key_impl_wrapped_configILNS1_25lookback_scan_determinismE0ES3_S9_NS6_6detail15normal_iteratorINS6_10device_ptrIyEEEENSD_INSE_IjEEEESG_SI_PmS8_NS6_8equal_toIyEEEE10hipError_tPvRmT2_T3_mT4_T5_T6_T7_T8_P12ihipStream_tbENKUlT_T0_E_clISt17integral_constantIbLb1EES12_IbLb0EEEEDaSY_SZ_EUlSY_E_NS1_11comp_targetILNS1_3genE5ELNS1_11target_archE942ELNS1_3gpuE9ELNS1_3repE0EEENS1_30default_config_static_selectorELNS0_4arch9wavefront6targetE1EEEvT1_: ; @_ZN7rocprim17ROCPRIM_400000_NS6detail17trampoline_kernelINS0_14default_configENS1_29reduce_by_key_config_selectorIyjN6thrust23THRUST_200600_302600_NS4plusIjEEEEZZNS1_33reduce_by_key_impl_wrapped_configILNS1_25lookback_scan_determinismE0ES3_S9_NS6_6detail15normal_iteratorINS6_10device_ptrIyEEEENSD_INSE_IjEEEESG_SI_PmS8_NS6_8equal_toIyEEEE10hipError_tPvRmT2_T3_mT4_T5_T6_T7_T8_P12ihipStream_tbENKUlT_T0_E_clISt17integral_constantIbLb1EES12_IbLb0EEEEDaSY_SZ_EUlSY_E_NS1_11comp_targetILNS1_3genE5ELNS1_11target_archE942ELNS1_3gpuE9ELNS1_3repE0EEENS1_30default_config_static_selectorELNS0_4arch9wavefront6targetE1EEEvT1_
; %bb.0:
	.section	.rodata,"a",@progbits
	.p2align	6, 0x0
	.amdhsa_kernel _ZN7rocprim17ROCPRIM_400000_NS6detail17trampoline_kernelINS0_14default_configENS1_29reduce_by_key_config_selectorIyjN6thrust23THRUST_200600_302600_NS4plusIjEEEEZZNS1_33reduce_by_key_impl_wrapped_configILNS1_25lookback_scan_determinismE0ES3_S9_NS6_6detail15normal_iteratorINS6_10device_ptrIyEEEENSD_INSE_IjEEEESG_SI_PmS8_NS6_8equal_toIyEEEE10hipError_tPvRmT2_T3_mT4_T5_T6_T7_T8_P12ihipStream_tbENKUlT_T0_E_clISt17integral_constantIbLb1EES12_IbLb0EEEEDaSY_SZ_EUlSY_E_NS1_11comp_targetILNS1_3genE5ELNS1_11target_archE942ELNS1_3gpuE9ELNS1_3repE0EEENS1_30default_config_static_selectorELNS0_4arch9wavefront6targetE1EEEvT1_
		.amdhsa_group_segment_fixed_size 0
		.amdhsa_private_segment_fixed_size 0
		.amdhsa_kernarg_size 120
		.amdhsa_user_sgpr_count 6
		.amdhsa_user_sgpr_private_segment_buffer 1
		.amdhsa_user_sgpr_dispatch_ptr 0
		.amdhsa_user_sgpr_queue_ptr 0
		.amdhsa_user_sgpr_kernarg_segment_ptr 1
		.amdhsa_user_sgpr_dispatch_id 0
		.amdhsa_user_sgpr_flat_scratch_init 0
		.amdhsa_user_sgpr_kernarg_preload_length 0
		.amdhsa_user_sgpr_kernarg_preload_offset 0
		.amdhsa_user_sgpr_private_segment_size 0
		.amdhsa_uses_dynamic_stack 0
		.amdhsa_system_sgpr_private_segment_wavefront_offset 0
		.amdhsa_system_sgpr_workgroup_id_x 1
		.amdhsa_system_sgpr_workgroup_id_y 0
		.amdhsa_system_sgpr_workgroup_id_z 0
		.amdhsa_system_sgpr_workgroup_info 0
		.amdhsa_system_vgpr_workitem_id 0
		.amdhsa_next_free_vgpr 1
		.amdhsa_next_free_sgpr 0
		.amdhsa_accum_offset 4
		.amdhsa_reserve_vcc 0
		.amdhsa_reserve_flat_scratch 0
		.amdhsa_float_round_mode_32 0
		.amdhsa_float_round_mode_16_64 0
		.amdhsa_float_denorm_mode_32 3
		.amdhsa_float_denorm_mode_16_64 3
		.amdhsa_dx10_clamp 1
		.amdhsa_ieee_mode 1
		.amdhsa_fp16_overflow 0
		.amdhsa_tg_split 0
		.amdhsa_exception_fp_ieee_invalid_op 0
		.amdhsa_exception_fp_denorm_src 0
		.amdhsa_exception_fp_ieee_div_zero 0
		.amdhsa_exception_fp_ieee_overflow 0
		.amdhsa_exception_fp_ieee_underflow 0
		.amdhsa_exception_fp_ieee_inexact 0
		.amdhsa_exception_int_div_zero 0
	.end_amdhsa_kernel
	.section	.text._ZN7rocprim17ROCPRIM_400000_NS6detail17trampoline_kernelINS0_14default_configENS1_29reduce_by_key_config_selectorIyjN6thrust23THRUST_200600_302600_NS4plusIjEEEEZZNS1_33reduce_by_key_impl_wrapped_configILNS1_25lookback_scan_determinismE0ES3_S9_NS6_6detail15normal_iteratorINS6_10device_ptrIyEEEENSD_INSE_IjEEEESG_SI_PmS8_NS6_8equal_toIyEEEE10hipError_tPvRmT2_T3_mT4_T5_T6_T7_T8_P12ihipStream_tbENKUlT_T0_E_clISt17integral_constantIbLb1EES12_IbLb0EEEEDaSY_SZ_EUlSY_E_NS1_11comp_targetILNS1_3genE5ELNS1_11target_archE942ELNS1_3gpuE9ELNS1_3repE0EEENS1_30default_config_static_selectorELNS0_4arch9wavefront6targetE1EEEvT1_,"axG",@progbits,_ZN7rocprim17ROCPRIM_400000_NS6detail17trampoline_kernelINS0_14default_configENS1_29reduce_by_key_config_selectorIyjN6thrust23THRUST_200600_302600_NS4plusIjEEEEZZNS1_33reduce_by_key_impl_wrapped_configILNS1_25lookback_scan_determinismE0ES3_S9_NS6_6detail15normal_iteratorINS6_10device_ptrIyEEEENSD_INSE_IjEEEESG_SI_PmS8_NS6_8equal_toIyEEEE10hipError_tPvRmT2_T3_mT4_T5_T6_T7_T8_P12ihipStream_tbENKUlT_T0_E_clISt17integral_constantIbLb1EES12_IbLb0EEEEDaSY_SZ_EUlSY_E_NS1_11comp_targetILNS1_3genE5ELNS1_11target_archE942ELNS1_3gpuE9ELNS1_3repE0EEENS1_30default_config_static_selectorELNS0_4arch9wavefront6targetE1EEEvT1_,comdat
.Lfunc_end716:
	.size	_ZN7rocprim17ROCPRIM_400000_NS6detail17trampoline_kernelINS0_14default_configENS1_29reduce_by_key_config_selectorIyjN6thrust23THRUST_200600_302600_NS4plusIjEEEEZZNS1_33reduce_by_key_impl_wrapped_configILNS1_25lookback_scan_determinismE0ES3_S9_NS6_6detail15normal_iteratorINS6_10device_ptrIyEEEENSD_INSE_IjEEEESG_SI_PmS8_NS6_8equal_toIyEEEE10hipError_tPvRmT2_T3_mT4_T5_T6_T7_T8_P12ihipStream_tbENKUlT_T0_E_clISt17integral_constantIbLb1EES12_IbLb0EEEEDaSY_SZ_EUlSY_E_NS1_11comp_targetILNS1_3genE5ELNS1_11target_archE942ELNS1_3gpuE9ELNS1_3repE0EEENS1_30default_config_static_selectorELNS0_4arch9wavefront6targetE1EEEvT1_, .Lfunc_end716-_ZN7rocprim17ROCPRIM_400000_NS6detail17trampoline_kernelINS0_14default_configENS1_29reduce_by_key_config_selectorIyjN6thrust23THRUST_200600_302600_NS4plusIjEEEEZZNS1_33reduce_by_key_impl_wrapped_configILNS1_25lookback_scan_determinismE0ES3_S9_NS6_6detail15normal_iteratorINS6_10device_ptrIyEEEENSD_INSE_IjEEEESG_SI_PmS8_NS6_8equal_toIyEEEE10hipError_tPvRmT2_T3_mT4_T5_T6_T7_T8_P12ihipStream_tbENKUlT_T0_E_clISt17integral_constantIbLb1EES12_IbLb0EEEEDaSY_SZ_EUlSY_E_NS1_11comp_targetILNS1_3genE5ELNS1_11target_archE942ELNS1_3gpuE9ELNS1_3repE0EEENS1_30default_config_static_selectorELNS0_4arch9wavefront6targetE1EEEvT1_
                                        ; -- End function
	.section	.AMDGPU.csdata,"",@progbits
; Kernel info:
; codeLenInByte = 0
; NumSgprs: 4
; NumVgprs: 0
; NumAgprs: 0
; TotalNumVgprs: 0
; ScratchSize: 0
; MemoryBound: 0
; FloatMode: 240
; IeeeMode: 1
; LDSByteSize: 0 bytes/workgroup (compile time only)
; SGPRBlocks: 0
; VGPRBlocks: 0
; NumSGPRsForWavesPerEU: 4
; NumVGPRsForWavesPerEU: 1
; AccumOffset: 4
; Occupancy: 8
; WaveLimiterHint : 0
; COMPUTE_PGM_RSRC2:SCRATCH_EN: 0
; COMPUTE_PGM_RSRC2:USER_SGPR: 6
; COMPUTE_PGM_RSRC2:TRAP_HANDLER: 0
; COMPUTE_PGM_RSRC2:TGID_X_EN: 1
; COMPUTE_PGM_RSRC2:TGID_Y_EN: 0
; COMPUTE_PGM_RSRC2:TGID_Z_EN: 0
; COMPUTE_PGM_RSRC2:TIDIG_COMP_CNT: 0
; COMPUTE_PGM_RSRC3_GFX90A:ACCUM_OFFSET: 0
; COMPUTE_PGM_RSRC3_GFX90A:TG_SPLIT: 0
	.section	.text._ZN7rocprim17ROCPRIM_400000_NS6detail17trampoline_kernelINS0_14default_configENS1_29reduce_by_key_config_selectorIyjN6thrust23THRUST_200600_302600_NS4plusIjEEEEZZNS1_33reduce_by_key_impl_wrapped_configILNS1_25lookback_scan_determinismE0ES3_S9_NS6_6detail15normal_iteratorINS6_10device_ptrIyEEEENSD_INSE_IjEEEESG_SI_PmS8_NS6_8equal_toIyEEEE10hipError_tPvRmT2_T3_mT4_T5_T6_T7_T8_P12ihipStream_tbENKUlT_T0_E_clISt17integral_constantIbLb1EES12_IbLb0EEEEDaSY_SZ_EUlSY_E_NS1_11comp_targetILNS1_3genE4ELNS1_11target_archE910ELNS1_3gpuE8ELNS1_3repE0EEENS1_30default_config_static_selectorELNS0_4arch9wavefront6targetE1EEEvT1_,"axG",@progbits,_ZN7rocprim17ROCPRIM_400000_NS6detail17trampoline_kernelINS0_14default_configENS1_29reduce_by_key_config_selectorIyjN6thrust23THRUST_200600_302600_NS4plusIjEEEEZZNS1_33reduce_by_key_impl_wrapped_configILNS1_25lookback_scan_determinismE0ES3_S9_NS6_6detail15normal_iteratorINS6_10device_ptrIyEEEENSD_INSE_IjEEEESG_SI_PmS8_NS6_8equal_toIyEEEE10hipError_tPvRmT2_T3_mT4_T5_T6_T7_T8_P12ihipStream_tbENKUlT_T0_E_clISt17integral_constantIbLb1EES12_IbLb0EEEEDaSY_SZ_EUlSY_E_NS1_11comp_targetILNS1_3genE4ELNS1_11target_archE910ELNS1_3gpuE8ELNS1_3repE0EEENS1_30default_config_static_selectorELNS0_4arch9wavefront6targetE1EEEvT1_,comdat
	.protected	_ZN7rocprim17ROCPRIM_400000_NS6detail17trampoline_kernelINS0_14default_configENS1_29reduce_by_key_config_selectorIyjN6thrust23THRUST_200600_302600_NS4plusIjEEEEZZNS1_33reduce_by_key_impl_wrapped_configILNS1_25lookback_scan_determinismE0ES3_S9_NS6_6detail15normal_iteratorINS6_10device_ptrIyEEEENSD_INSE_IjEEEESG_SI_PmS8_NS6_8equal_toIyEEEE10hipError_tPvRmT2_T3_mT4_T5_T6_T7_T8_P12ihipStream_tbENKUlT_T0_E_clISt17integral_constantIbLb1EES12_IbLb0EEEEDaSY_SZ_EUlSY_E_NS1_11comp_targetILNS1_3genE4ELNS1_11target_archE910ELNS1_3gpuE8ELNS1_3repE0EEENS1_30default_config_static_selectorELNS0_4arch9wavefront6targetE1EEEvT1_ ; -- Begin function _ZN7rocprim17ROCPRIM_400000_NS6detail17trampoline_kernelINS0_14default_configENS1_29reduce_by_key_config_selectorIyjN6thrust23THRUST_200600_302600_NS4plusIjEEEEZZNS1_33reduce_by_key_impl_wrapped_configILNS1_25lookback_scan_determinismE0ES3_S9_NS6_6detail15normal_iteratorINS6_10device_ptrIyEEEENSD_INSE_IjEEEESG_SI_PmS8_NS6_8equal_toIyEEEE10hipError_tPvRmT2_T3_mT4_T5_T6_T7_T8_P12ihipStream_tbENKUlT_T0_E_clISt17integral_constantIbLb1EES12_IbLb0EEEEDaSY_SZ_EUlSY_E_NS1_11comp_targetILNS1_3genE4ELNS1_11target_archE910ELNS1_3gpuE8ELNS1_3repE0EEENS1_30default_config_static_selectorELNS0_4arch9wavefront6targetE1EEEvT1_
	.globl	_ZN7rocprim17ROCPRIM_400000_NS6detail17trampoline_kernelINS0_14default_configENS1_29reduce_by_key_config_selectorIyjN6thrust23THRUST_200600_302600_NS4plusIjEEEEZZNS1_33reduce_by_key_impl_wrapped_configILNS1_25lookback_scan_determinismE0ES3_S9_NS6_6detail15normal_iteratorINS6_10device_ptrIyEEEENSD_INSE_IjEEEESG_SI_PmS8_NS6_8equal_toIyEEEE10hipError_tPvRmT2_T3_mT4_T5_T6_T7_T8_P12ihipStream_tbENKUlT_T0_E_clISt17integral_constantIbLb1EES12_IbLb0EEEEDaSY_SZ_EUlSY_E_NS1_11comp_targetILNS1_3genE4ELNS1_11target_archE910ELNS1_3gpuE8ELNS1_3repE0EEENS1_30default_config_static_selectorELNS0_4arch9wavefront6targetE1EEEvT1_
	.p2align	8
	.type	_ZN7rocprim17ROCPRIM_400000_NS6detail17trampoline_kernelINS0_14default_configENS1_29reduce_by_key_config_selectorIyjN6thrust23THRUST_200600_302600_NS4plusIjEEEEZZNS1_33reduce_by_key_impl_wrapped_configILNS1_25lookback_scan_determinismE0ES3_S9_NS6_6detail15normal_iteratorINS6_10device_ptrIyEEEENSD_INSE_IjEEEESG_SI_PmS8_NS6_8equal_toIyEEEE10hipError_tPvRmT2_T3_mT4_T5_T6_T7_T8_P12ihipStream_tbENKUlT_T0_E_clISt17integral_constantIbLb1EES12_IbLb0EEEEDaSY_SZ_EUlSY_E_NS1_11comp_targetILNS1_3genE4ELNS1_11target_archE910ELNS1_3gpuE8ELNS1_3repE0EEENS1_30default_config_static_selectorELNS0_4arch9wavefront6targetE1EEEvT1_,@function
_ZN7rocprim17ROCPRIM_400000_NS6detail17trampoline_kernelINS0_14default_configENS1_29reduce_by_key_config_selectorIyjN6thrust23THRUST_200600_302600_NS4plusIjEEEEZZNS1_33reduce_by_key_impl_wrapped_configILNS1_25lookback_scan_determinismE0ES3_S9_NS6_6detail15normal_iteratorINS6_10device_ptrIyEEEENSD_INSE_IjEEEESG_SI_PmS8_NS6_8equal_toIyEEEE10hipError_tPvRmT2_T3_mT4_T5_T6_T7_T8_P12ihipStream_tbENKUlT_T0_E_clISt17integral_constantIbLb1EES12_IbLb0EEEEDaSY_SZ_EUlSY_E_NS1_11comp_targetILNS1_3genE4ELNS1_11target_archE910ELNS1_3gpuE8ELNS1_3repE0EEENS1_30default_config_static_selectorELNS0_4arch9wavefront6targetE1EEEvT1_: ; @_ZN7rocprim17ROCPRIM_400000_NS6detail17trampoline_kernelINS0_14default_configENS1_29reduce_by_key_config_selectorIyjN6thrust23THRUST_200600_302600_NS4plusIjEEEEZZNS1_33reduce_by_key_impl_wrapped_configILNS1_25lookback_scan_determinismE0ES3_S9_NS6_6detail15normal_iteratorINS6_10device_ptrIyEEEENSD_INSE_IjEEEESG_SI_PmS8_NS6_8equal_toIyEEEE10hipError_tPvRmT2_T3_mT4_T5_T6_T7_T8_P12ihipStream_tbENKUlT_T0_E_clISt17integral_constantIbLb1EES12_IbLb0EEEEDaSY_SZ_EUlSY_E_NS1_11comp_targetILNS1_3genE4ELNS1_11target_archE910ELNS1_3gpuE8ELNS1_3repE0EEENS1_30default_config_static_selectorELNS0_4arch9wavefront6targetE1EEEvT1_
; %bb.0:
	s_load_dwordx8 s[36:43], s[4:5], 0x0
	s_load_dwordx4 s[52:55], s[4:5], 0x20
	s_load_dwordx8 s[44:51], s[4:5], 0x38
	s_load_dwordx2 s[60:61], s[4:5], 0x68
	s_load_dwordx4 s[56:59], s[4:5], 0x58
	s_waitcnt lgkmcnt(0)
	s_lshl_b64 s[0:1], s[38:39], 3
	s_add_u32 s4, s36, s0
	s_addc_u32 s5, s37, s1
	s_lshl_b64 s[0:1], s[38:39], 2
	s_add_u32 s8, s40, s0
	s_addc_u32 s9, s41, s1
	s_mul_i32 s0, s48, s47
	s_mul_hi_u32 s1, s48, s46
	s_add_i32 s0, s1, s0
	s_mul_i32 s1, s49, s46
	s_add_i32 s10, s0, s1
	s_mul_i32 s0, s6, 0xf00
	s_mov_b32 s1, 0
	s_lshl_b64 s[2:3], s[0:1], 3
	s_add_u32 s7, s4, s2
	s_mul_i32 s11, s48, s46
	s_addc_u32 s48, s5, s3
	s_lshl_b64 s[0:1], s[0:1], 2
	s_add_u32 s49, s8, s0
	s_addc_u32 s62, s9, s1
	s_add_u32 s38, s11, s6
	s_addc_u32 s39, s10, 0
	s_add_u32 s2, s50, -1
	s_addc_u32 s3, s51, -1
	s_cmp_eq_u64 s[38:39], s[2:3]
	s_cselect_b64 s[34:35], -1, 0
	s_cmp_lg_u64 s[38:39], s[2:3]
	s_mov_b64 s[0:1], -1
	s_cselect_b64 s[40:41], -1, 0
	s_mul_i32 s33, s2, 0xfffff100
	s_and_b64 vcc, exec, s[34:35]
	s_cbranch_vccnz .LBB717_2
; %bb.1:
	v_lshlrev_b32_e32 v1, 3, v0
	v_mov_b32_e32 v3, s48
	v_add_co_u32_e32 v2, vcc, s7, v1
	v_addc_co_u32_e32 v3, vcc, 0, v3, vcc
	v_add_co_u32_e32 v4, vcc, 0x1000, v2
	v_addc_co_u32_e32 v5, vcc, 0, v3, vcc
	flat_load_dwordx2 v[6:7], v[2:3]
	flat_load_dwordx2 v[8:9], v[2:3] offset:2048
	flat_load_dwordx2 v[10:11], v[4:5]
	flat_load_dwordx2 v[12:13], v[4:5] offset:2048
	v_add_co_u32_e32 v4, vcc, 0x2000, v2
	v_addc_co_u32_e32 v5, vcc, 0, v3, vcc
	v_add_co_u32_e32 v14, vcc, 0x3000, v2
	v_addc_co_u32_e32 v15, vcc, 0, v3, vcc
	flat_load_dwordx2 v[16:17], v[4:5]
	flat_load_dwordx2 v[18:19], v[4:5] offset:2048
	flat_load_dwordx2 v[20:21], v[14:15]
	flat_load_dwordx2 v[22:23], v[14:15] offset:2048
	;; [unrolled: 8-line block ×3, first 2 shown]
	v_add_co_u32_e32 v4, vcc, 0x6000, v2
	v_addc_co_u32_e32 v5, vcc, 0, v3, vcc
	v_add_co_u32_e32 v2, vcc, 0x7000, v2
	v_addc_co_u32_e32 v3, vcc, 0, v3, vcc
	flat_load_dwordx2 v[14:15], v[4:5]
	flat_load_dwordx2 v[32:33], v[4:5] offset:2048
	flat_load_dwordx2 v[34:35], v[2:3]
	v_lshlrev_b32_e32 v2, 2, v0
	v_mov_b32_e32 v3, s62
	v_add_co_u32_e32 v36, vcc, s49, v2
	s_movk_i32 s0, 0x1000
	v_addc_co_u32_e32 v37, vcc, 0, v3, vcc
	s_movk_i32 s3, 0x70
	s_movk_i32 s1, 0x2000
	v_mad_u32_u24 v38, v0, s3, v1
	s_movk_i32 s2, 0x3000
	v_mad_u32_u24 v49, v0, 15, 1
	v_mad_u32_u24 v48, v0, 15, 2
	v_mad_u32_u24 v51, v0, 15, 3
	v_mad_u32_u24 v50, v0, 15, 4
	v_mad_u32_u24 v54, v0, 15, 5
	v_mad_u32_u24 v52, v0, 15, 6
	v_mad_u32_u24 v56, v0, 15, 7
	v_mad_u32_u24 v53, v0, 15, 8
	v_mad_u32_u24 v57, v0, 15, 9
	v_mad_u32_u24 v55, v0, 15, 10
	v_mad_u32_u24 v59, v0, 15, 11
	v_mad_u32_u24 v58, v0, 15, 12
	v_mad_u32_u24 v61, v0, 15, 13
	v_mad_u32_u24 v60, v0, 15, 14
	s_waitcnt vmcnt(0) lgkmcnt(0)
	ds_write2st64_b64 v1, v[6:7], v[8:9] offset1:4
	ds_write2st64_b64 v1, v[10:11], v[12:13] offset0:8 offset1:12
	ds_write2st64_b64 v1, v[16:17], v[18:19] offset0:16 offset1:20
	;; [unrolled: 1-line block ×6, first 2 shown]
	ds_write_b64 v1, v[34:35] offset:28672
	v_add_co_u32_e32 v30, vcc, s0, v36
	v_addc_co_u32_e32 v31, vcc, 0, v37, vcc
	s_waitcnt lgkmcnt(0)
	s_barrier
	ds_read2_b64 v[26:29], v38 offset1:1
	ds_read2_b64 v[22:25], v38 offset0:2 offset1:3
	ds_read2_b64 v[18:21], v38 offset0:4 offset1:5
	;; [unrolled: 1-line block ×6, first 2 shown]
	ds_read_b64 v[46:47], v38 offset:112
	s_waitcnt lgkmcnt(0)
	s_barrier
	flat_load_dword v44, v[36:37]
	flat_load_dword v45, v[36:37] offset:1024
	flat_load_dword v62, v[36:37] offset:2048
	;; [unrolled: 1-line block ×3, first 2 shown]
	flat_load_dword v64, v[30:31]
	flat_load_dword v65, v[30:31] offset:1024
	flat_load_dword v66, v[30:31] offset:2048
	;; [unrolled: 1-line block ×3, first 2 shown]
	v_add_co_u32_e32 v30, vcc, s1, v36
	v_addc_co_u32_e32 v31, vcc, 0, v37, vcc
	v_add_co_u32_e32 v32, vcc, s2, v36
	v_addc_co_u32_e32 v33, vcc, 0, v37, vcc
	flat_load_dword v68, v[30:31]
	flat_load_dword v69, v[30:31] offset:1024
	flat_load_dword v70, v[30:31] offset:2048
	flat_load_dword v71, v[30:31] offset:3072
	flat_load_dword v72, v[32:33]
	flat_load_dword v73, v[32:33] offset:1024
	flat_load_dword v74, v[32:33] offset:2048
	s_movk_i32 s0, 0xff8c
	v_mul_u32_u24_e32 v1, 15, v0
	v_mad_i32_i24 v75, v0, s0, v38
	v_mov_b32_e32 v30, v26
	v_mov_b32_e32 v31, v27
	;; [unrolled: 1-line block ×14, first 2 shown]
	s_waitcnt vmcnt(0) lgkmcnt(0)
	ds_write2st64_b32 v75, v44, v45 offset1:4
	ds_write2st64_b32 v75, v62, v63 offset0:8 offset1:12
	ds_write2st64_b32 v75, v64, v65 offset0:16 offset1:20
	;; [unrolled: 1-line block ×6, first 2 shown]
	ds_write_b32 v75, v74 offset:14336
	s_waitcnt lgkmcnt(0)
	s_barrier
	s_add_i32 s33, s33, s56
	s_cbranch_execz .LBB717_3
	s_branch .LBB717_64
.LBB717_2:
                                        ; implicit-def: $vgpr46_vgpr47
                                        ; implicit-def: $vgpr2_vgpr3
                                        ; implicit-def: $vgpr6_vgpr7
                                        ; implicit-def: $vgpr10_vgpr11
                                        ; implicit-def: $vgpr14_vgpr15
                                        ; implicit-def: $vgpr18_vgpr19
                                        ; implicit-def: $vgpr22_vgpr23
                                        ; implicit-def: $vgpr26_vgpr27
                                        ; implicit-def: $vgpr60
                                        ; implicit-def: $vgpr61
                                        ; implicit-def: $vgpr58
                                        ; implicit-def: $vgpr59
                                        ; implicit-def: $vgpr55
                                        ; implicit-def: $vgpr57
                                        ; implicit-def: $vgpr53
                                        ; implicit-def: $vgpr56
                                        ; implicit-def: $vgpr52
                                        ; implicit-def: $vgpr54
                                        ; implicit-def: $vgpr50
                                        ; implicit-def: $vgpr51
                                        ; implicit-def: $vgpr48
                                        ; implicit-def: $vgpr49
                                        ; implicit-def: $vgpr1
                                        ; implicit-def: $vgpr38_vgpr39_vgpr40_vgpr41
                                        ; implicit-def: $vgpr34_vgpr35_vgpr36_vgpr37
                                        ; implicit-def: $vgpr30_vgpr31_vgpr32_vgpr33
                                        ; implicit-def: $vgpr42_vgpr43_vgpr44_vgpr45
	s_andn2_b64 vcc, exec, s[0:1]
	s_add_i32 s33, s33, s56
	s_cbranch_vccnz .LBB717_64
.LBB717_3:
	v_cmp_gt_u32_e32 vcc, s33, v0
                                        ; implicit-def: $vgpr2_vgpr3
	s_and_saveexec_b64 s[2:3], vcc
	s_cbranch_execz .LBB717_5
; %bb.4:
	v_lshlrev_b32_e32 v1, 3, v0
	v_mov_b32_e32 v3, s48
	v_add_co_u32_e64 v2, s[0:1], s7, v1
	v_addc_co_u32_e64 v3, s[0:1], 0, v3, s[0:1]
	flat_load_dwordx2 v[2:3], v[2:3]
.LBB717_5:
	s_or_b64 exec, exec, s[2:3]
	v_or_b32_e32 v1, 0x100, v0
	v_cmp_gt_u32_e64 s[0:1], s33, v1
                                        ; implicit-def: $vgpr4_vgpr5
	s_and_saveexec_b64 s[4:5], s[0:1]
	s_cbranch_execz .LBB717_7
; %bb.6:
	v_lshlrev_b32_e32 v1, 3, v0
	v_mov_b32_e32 v5, s48
	v_add_co_u32_e64 v4, s[2:3], s7, v1
	v_addc_co_u32_e64 v5, s[2:3], 0, v5, s[2:3]
	flat_load_dwordx2 v[4:5], v[4:5] offset:2048
.LBB717_7:
	s_or_b64 exec, exec, s[4:5]
	v_or_b32_e32 v1, 0x200, v0
	v_cmp_gt_u32_e64 s[2:3], s33, v1
                                        ; implicit-def: $vgpr6_vgpr7
	s_and_saveexec_b64 s[8:9], s[2:3]
	s_cbranch_execz .LBB717_9
; %bb.8:
	v_lshlrev_b32_e32 v1, 3, v1
	v_mov_b32_e32 v7, s48
	v_add_co_u32_e64 v6, s[4:5], s7, v1
	v_addc_co_u32_e64 v7, s[4:5], 0, v7, s[4:5]
	flat_load_dwordx2 v[6:7], v[6:7]
.LBB717_9:
	s_or_b64 exec, exec, s[8:9]
	v_or_b32_e32 v1, 0x300, v0
	v_cmp_gt_u32_e64 s[4:5], s33, v1
                                        ; implicit-def: $vgpr8_vgpr9
	s_and_saveexec_b64 s[10:11], s[4:5]
	s_cbranch_execz .LBB717_11
; %bb.10:
	v_lshlrev_b32_e32 v1, 3, v1
	v_mov_b32_e32 v9, s48
	v_add_co_u32_e64 v8, s[8:9], s7, v1
	v_addc_co_u32_e64 v9, s[8:9], 0, v9, s[8:9]
	flat_load_dwordx2 v[8:9], v[8:9]
.LBB717_11:
	s_or_b64 exec, exec, s[10:11]
	v_or_b32_e32 v1, 0x400, v0
	v_cmp_gt_u32_e64 s[28:29], s33, v1
                                        ; implicit-def: $vgpr10_vgpr11
	s_and_saveexec_b64 s[10:11], s[28:29]
	s_cbranch_execz .LBB717_13
; %bb.12:
	v_lshlrev_b32_e32 v10, 3, v1
	v_mov_b32_e32 v11, s48
	v_add_co_u32_e64 v10, s[8:9], s7, v10
	v_addc_co_u32_e64 v11, s[8:9], 0, v11, s[8:9]
	flat_load_dwordx2 v[10:11], v[10:11]
.LBB717_13:
	s_or_b64 exec, exec, s[10:11]
	v_or_b32_e32 v33, 0x500, v0
	v_cmp_gt_u32_e64 s[8:9], s33, v33
                                        ; implicit-def: $vgpr12_vgpr13
	s_and_saveexec_b64 s[12:13], s[8:9]
	s_cbranch_execz .LBB717_15
; %bb.14:
	v_lshlrev_b32_e32 v12, 3, v33
	v_mov_b32_e32 v13, s48
	v_add_co_u32_e64 v12, s[10:11], s7, v12
	v_addc_co_u32_e64 v13, s[10:11], 0, v13, s[10:11]
	flat_load_dwordx2 v[12:13], v[12:13]
.LBB717_15:
	s_or_b64 exec, exec, s[12:13]
	v_or_b32_e32 v34, 0x600, v0
	v_cmp_gt_u32_e64 s[10:11], s33, v34
                                        ; implicit-def: $vgpr14_vgpr15
	s_and_saveexec_b64 s[14:15], s[10:11]
	s_cbranch_execz .LBB717_17
; %bb.16:
	v_lshlrev_b32_e32 v14, 3, v34
	v_mov_b32_e32 v15, s48
	v_add_co_u32_e64 v14, s[12:13], s7, v14
	v_addc_co_u32_e64 v15, s[12:13], 0, v15, s[12:13]
	flat_load_dwordx2 v[14:15], v[14:15]
.LBB717_17:
	s_or_b64 exec, exec, s[14:15]
	v_or_b32_e32 v35, 0x700, v0
	v_cmp_gt_u32_e64 s[12:13], s33, v35
                                        ; implicit-def: $vgpr16_vgpr17
	s_and_saveexec_b64 s[16:17], s[12:13]
	s_cbranch_execz .LBB717_19
; %bb.18:
	v_lshlrev_b32_e32 v16, 3, v35
	v_mov_b32_e32 v17, s48
	v_add_co_u32_e64 v16, s[14:15], s7, v16
	v_addc_co_u32_e64 v17, s[14:15], 0, v17, s[14:15]
	flat_load_dwordx2 v[16:17], v[16:17]
.LBB717_19:
	s_or_b64 exec, exec, s[16:17]
	v_or_b32_e32 v36, 0x800, v0
	v_cmp_gt_u32_e64 s[14:15], s33, v36
                                        ; implicit-def: $vgpr18_vgpr19
	s_and_saveexec_b64 s[18:19], s[14:15]
	s_cbranch_execz .LBB717_21
; %bb.20:
	v_lshlrev_b32_e32 v18, 3, v36
	v_mov_b32_e32 v19, s48
	v_add_co_u32_e64 v18, s[16:17], s7, v18
	v_addc_co_u32_e64 v19, s[16:17], 0, v19, s[16:17]
	flat_load_dwordx2 v[18:19], v[18:19]
.LBB717_21:
	s_or_b64 exec, exec, s[18:19]
	v_or_b32_e32 v37, 0x900, v0
	v_cmp_gt_u32_e64 s[16:17], s33, v37
                                        ; implicit-def: $vgpr20_vgpr21
	s_and_saveexec_b64 s[20:21], s[16:17]
	s_cbranch_execz .LBB717_23
; %bb.22:
	v_lshlrev_b32_e32 v20, 3, v37
	v_mov_b32_e32 v21, s48
	v_add_co_u32_e64 v20, s[18:19], s7, v20
	v_addc_co_u32_e64 v21, s[18:19], 0, v21, s[18:19]
	flat_load_dwordx2 v[20:21], v[20:21]
.LBB717_23:
	s_or_b64 exec, exec, s[20:21]
	v_or_b32_e32 v38, 0xa00, v0
	v_cmp_gt_u32_e64 s[18:19], s33, v38
                                        ; implicit-def: $vgpr22_vgpr23
	s_and_saveexec_b64 s[22:23], s[18:19]
	s_cbranch_execz .LBB717_25
; %bb.24:
	v_lshlrev_b32_e32 v22, 3, v38
	v_mov_b32_e32 v23, s48
	v_add_co_u32_e64 v22, s[20:21], s7, v22
	v_addc_co_u32_e64 v23, s[20:21], 0, v23, s[20:21]
	flat_load_dwordx2 v[22:23], v[22:23]
.LBB717_25:
	s_or_b64 exec, exec, s[22:23]
	v_or_b32_e32 v40, 0xb00, v0
	v_cmp_gt_u32_e64 s[20:21], s33, v40
                                        ; implicit-def: $vgpr24_vgpr25
	s_and_saveexec_b64 s[24:25], s[20:21]
	s_cbranch_execz .LBB717_27
; %bb.26:
	v_lshlrev_b32_e32 v24, 3, v40
	v_mov_b32_e32 v25, s48
	v_add_co_u32_e64 v24, s[22:23], s7, v24
	v_addc_co_u32_e64 v25, s[22:23], 0, v25, s[22:23]
	flat_load_dwordx2 v[24:25], v[24:25]
.LBB717_27:
	s_or_b64 exec, exec, s[24:25]
	v_or_b32_e32 v41, 0xc00, v0
	v_cmp_gt_u32_e64 s[22:23], s33, v41
                                        ; implicit-def: $vgpr26_vgpr27
	s_and_saveexec_b64 s[26:27], s[22:23]
	s_cbranch_execz .LBB717_29
; %bb.28:
	v_lshlrev_b32_e32 v26, 3, v41
	v_mov_b32_e32 v27, s48
	v_add_co_u32_e64 v26, s[24:25], s7, v26
	v_addc_co_u32_e64 v27, s[24:25], 0, v27, s[24:25]
	flat_load_dwordx2 v[26:27], v[26:27]
.LBB717_29:
	s_or_b64 exec, exec, s[26:27]
	v_or_b32_e32 v42, 0xd00, v0
	v_cmp_gt_u32_e64 s[24:25], s33, v42
                                        ; implicit-def: $vgpr28_vgpr29
	s_and_saveexec_b64 s[30:31], s[24:25]
	s_cbranch_execz .LBB717_31
; %bb.30:
	v_lshlrev_b32_e32 v28, 3, v42
	v_mov_b32_e32 v29, s48
	v_add_co_u32_e64 v28, s[26:27], s7, v28
	v_addc_co_u32_e64 v29, s[26:27], 0, v29, s[26:27]
	flat_load_dwordx2 v[28:29], v[28:29]
.LBB717_31:
	s_or_b64 exec, exec, s[30:31]
	v_or_b32_e32 v43, 0xe00, v0
	v_cmp_gt_u32_e64 s[26:27], s33, v43
                                        ; implicit-def: $vgpr30_vgpr31
	s_and_saveexec_b64 s[36:37], s[26:27]
	s_cbranch_execz .LBB717_33
; %bb.32:
	v_lshlrev_b32_e32 v30, 3, v43
	v_mov_b32_e32 v31, s48
	v_add_co_u32_e64 v30, s[30:31], s7, v30
	v_addc_co_u32_e64 v31, s[30:31], 0, v31, s[30:31]
	flat_load_dwordx2 v[30:31], v[30:31]
.LBB717_33:
	s_or_b64 exec, exec, s[36:37]
	v_lshlrev_b32_e32 v32, 3, v0
	s_movk_i32 s30, 0x70
	s_waitcnt vmcnt(0) lgkmcnt(0)
	ds_write2st64_b64 v32, v[2:3], v[4:5] offset1:4
	ds_write2st64_b64 v32, v[6:7], v[8:9] offset0:8 offset1:12
	ds_write2st64_b64 v32, v[10:11], v[12:13] offset0:16 offset1:20
	ds_write2st64_b64 v32, v[14:15], v[16:17] offset0:24 offset1:28
	ds_write2st64_b64 v32, v[18:19], v[20:21] offset0:32 offset1:36
	ds_write2st64_b64 v32, v[22:23], v[24:25] offset0:40 offset1:44
	ds_write2st64_b64 v32, v[26:27], v[28:29] offset0:48 offset1:52
	ds_write_b64 v32, v[30:31] offset:28672
	v_mad_u32_u24 v30, v0, s30, v32
	s_waitcnt lgkmcnt(0)
	s_barrier
	ds_read2_b64 v[26:29], v30 offset1:1
	ds_read2_b64 v[22:25], v30 offset0:2 offset1:3
	ds_read2_b64 v[18:21], v30 offset0:4 offset1:5
	;; [unrolled: 1-line block ×6, first 2 shown]
	ds_read_b64 v[46:47], v30 offset:112
	s_waitcnt lgkmcnt(0)
	s_barrier
	s_waitcnt lgkmcnt(0)
                                        ; implicit-def: $vgpr31
	s_and_saveexec_b64 s[30:31], vcc
	s_cbranch_execz .LBB717_47
; %bb.34:
	v_lshlrev_b32_e32 v31, 2, v0
	v_mov_b32_e32 v32, s62
	v_add_co_u32_e32 v44, vcc, s49, v31
	v_addc_co_u32_e32 v45, vcc, 0, v32, vcc
	flat_load_dword v31, v[44:45]
	s_or_b64 exec, exec, s[30:31]
                                        ; implicit-def: $vgpr32
	s_and_saveexec_b64 s[30:31], s[0:1]
	s_cbranch_execnz .LBB717_48
.LBB717_35:
	s_or_b64 exec, exec, s[30:31]
                                        ; implicit-def: $vgpr39
	s_and_saveexec_b64 s[0:1], s[2:3]
	s_cbranch_execz .LBB717_49
.LBB717_36:
	v_lshlrev_b32_e32 v39, 2, v0
	v_mov_b32_e32 v45, s62
	v_add_co_u32_e32 v44, vcc, s49, v39
	v_addc_co_u32_e32 v45, vcc, 0, v45, vcc
	flat_load_dword v39, v[44:45] offset:2048
	s_or_b64 exec, exec, s[0:1]
                                        ; implicit-def: $vgpr44
	s_and_saveexec_b64 s[0:1], s[4:5]
	s_cbranch_execnz .LBB717_50
.LBB717_37:
	s_or_b64 exec, exec, s[0:1]
                                        ; implicit-def: $vgpr45
	s_and_saveexec_b64 s[0:1], s[28:29]
	s_cbranch_execz .LBB717_51
.LBB717_38:
	v_lshlrev_b32_e32 v1, 2, v1
	v_mov_b32_e32 v45, s62
	v_add_co_u32_e32 v48, vcc, s49, v1
	v_addc_co_u32_e32 v49, vcc, 0, v45, vcc
	flat_load_dword v45, v[48:49]
	s_or_b64 exec, exec, s[0:1]
                                        ; implicit-def: $vgpr62
	s_and_saveexec_b64 s[0:1], s[8:9]
	s_cbranch_execnz .LBB717_52
.LBB717_39:
	s_or_b64 exec, exec, s[0:1]
                                        ; implicit-def: $vgpr33
	s_and_saveexec_b64 s[0:1], s[10:11]
	s_cbranch_execz .LBB717_53
.LBB717_40:
	v_lshlrev_b32_e32 v1, 2, v34
	v_mov_b32_e32 v33, s62
	v_add_co_u32_e32 v48, vcc, s49, v1
	v_addc_co_u32_e32 v49, vcc, 0, v33, vcc
	flat_load_dword v33, v[48:49]
	s_or_b64 exec, exec, s[0:1]
                                        ; implicit-def: $vgpr34
	s_and_saveexec_b64 s[0:1], s[12:13]
	s_cbranch_execnz .LBB717_54
.LBB717_41:
	s_or_b64 exec, exec, s[0:1]
                                        ; implicit-def: $vgpr35
	s_and_saveexec_b64 s[0:1], s[14:15]
	s_cbranch_execz .LBB717_55
.LBB717_42:
	v_lshlrev_b32_e32 v1, 2, v36
	v_mov_b32_e32 v35, s62
	v_add_co_u32_e32 v48, vcc, s49, v1
	v_addc_co_u32_e32 v49, vcc, 0, v35, vcc
	flat_load_dword v35, v[48:49]
	s_or_b64 exec, exec, s[0:1]
                                        ; implicit-def: $vgpr36
	s_and_saveexec_b64 s[0:1], s[16:17]
	s_cbranch_execnz .LBB717_56
.LBB717_43:
	s_or_b64 exec, exec, s[0:1]
                                        ; implicit-def: $vgpr37
	s_and_saveexec_b64 s[0:1], s[18:19]
	s_cbranch_execz .LBB717_57
.LBB717_44:
	v_lshlrev_b32_e32 v1, 2, v38
	v_mov_b32_e32 v37, s62
	v_add_co_u32_e32 v48, vcc, s49, v1
	v_addc_co_u32_e32 v49, vcc, 0, v37, vcc
	flat_load_dword v37, v[48:49]
	s_or_b64 exec, exec, s[0:1]
                                        ; implicit-def: $vgpr38
	s_and_saveexec_b64 s[0:1], s[20:21]
	s_cbranch_execnz .LBB717_58
.LBB717_45:
	s_or_b64 exec, exec, s[0:1]
                                        ; implicit-def: $vgpr40
	s_and_saveexec_b64 s[0:1], s[22:23]
	s_cbranch_execz .LBB717_59
.LBB717_46:
	v_lshlrev_b32_e32 v1, 2, v41
	v_mov_b32_e32 v41, s62
	v_add_co_u32_e32 v40, vcc, s49, v1
	v_addc_co_u32_e32 v41, vcc, 0, v41, vcc
	flat_load_dword v40, v[40:41]
	s_or_b64 exec, exec, s[0:1]
                                        ; implicit-def: $vgpr41
	s_and_saveexec_b64 s[0:1], s[24:25]
	s_cbranch_execz .LBB717_61
	s_branch .LBB717_60
.LBB717_47:
	s_or_b64 exec, exec, s[30:31]
                                        ; implicit-def: $vgpr32
	s_and_saveexec_b64 s[30:31], s[0:1]
	s_cbranch_execz .LBB717_35
.LBB717_48:
	v_lshlrev_b32_e32 v32, 2, v0
	v_mov_b32_e32 v39, s62
	v_add_co_u32_e32 v44, vcc, s49, v32
	v_addc_co_u32_e32 v45, vcc, 0, v39, vcc
	flat_load_dword v32, v[44:45] offset:1024
	s_or_b64 exec, exec, s[30:31]
                                        ; implicit-def: $vgpr39
	s_and_saveexec_b64 s[0:1], s[2:3]
	s_cbranch_execnz .LBB717_36
.LBB717_49:
	s_or_b64 exec, exec, s[0:1]
                                        ; implicit-def: $vgpr44
	s_and_saveexec_b64 s[0:1], s[4:5]
	s_cbranch_execz .LBB717_37
.LBB717_50:
	v_lshlrev_b32_e32 v44, 2, v0
	v_mov_b32_e32 v45, s62
	v_add_co_u32_e32 v44, vcc, s49, v44
	v_addc_co_u32_e32 v45, vcc, 0, v45, vcc
	flat_load_dword v44, v[44:45] offset:3072
	s_or_b64 exec, exec, s[0:1]
                                        ; implicit-def: $vgpr45
	s_and_saveexec_b64 s[0:1], s[28:29]
	s_cbranch_execnz .LBB717_38
.LBB717_51:
	s_or_b64 exec, exec, s[0:1]
                                        ; implicit-def: $vgpr62
	s_and_saveexec_b64 s[0:1], s[8:9]
	s_cbranch_execz .LBB717_39
.LBB717_52:
	v_lshlrev_b32_e32 v1, 2, v33
	v_mov_b32_e32 v33, s62
	v_add_co_u32_e32 v48, vcc, s49, v1
	v_addc_co_u32_e32 v49, vcc, 0, v33, vcc
	flat_load_dword v62, v[48:49]
	s_or_b64 exec, exec, s[0:1]
                                        ; implicit-def: $vgpr33
	s_and_saveexec_b64 s[0:1], s[10:11]
	s_cbranch_execnz .LBB717_40
.LBB717_53:
	s_or_b64 exec, exec, s[0:1]
                                        ; implicit-def: $vgpr34
	s_and_saveexec_b64 s[0:1], s[12:13]
	s_cbranch_execz .LBB717_41
.LBB717_54:
	v_lshlrev_b32_e32 v1, 2, v35
	v_mov_b32_e32 v35, s62
	v_add_co_u32_e32 v34, vcc, s49, v1
	v_addc_co_u32_e32 v35, vcc, 0, v35, vcc
	flat_load_dword v34, v[34:35]
	s_or_b64 exec, exec, s[0:1]
                                        ; implicit-def: $vgpr35
	s_and_saveexec_b64 s[0:1], s[14:15]
	s_cbranch_execnz .LBB717_42
.LBB717_55:
	s_or_b64 exec, exec, s[0:1]
                                        ; implicit-def: $vgpr36
	s_and_saveexec_b64 s[0:1], s[16:17]
	s_cbranch_execz .LBB717_43
.LBB717_56:
	v_lshlrev_b32_e32 v1, 2, v37
	v_mov_b32_e32 v37, s62
	v_add_co_u32_e32 v36, vcc, s49, v1
	v_addc_co_u32_e32 v37, vcc, 0, v37, vcc
	flat_load_dword v36, v[36:37]
	s_or_b64 exec, exec, s[0:1]
                                        ; implicit-def: $vgpr37
	s_and_saveexec_b64 s[0:1], s[18:19]
	s_cbranch_execnz .LBB717_44
.LBB717_57:
	s_or_b64 exec, exec, s[0:1]
                                        ; implicit-def: $vgpr38
	s_and_saveexec_b64 s[0:1], s[20:21]
	s_cbranch_execz .LBB717_45
.LBB717_58:
	v_lshlrev_b32_e32 v1, 2, v40
	v_mov_b32_e32 v38, s62
	v_add_co_u32_e32 v48, vcc, s49, v1
	v_addc_co_u32_e32 v49, vcc, 0, v38, vcc
	flat_load_dword v38, v[48:49]
	s_or_b64 exec, exec, s[0:1]
                                        ; implicit-def: $vgpr40
	s_and_saveexec_b64 s[0:1], s[22:23]
	s_cbranch_execnz .LBB717_46
.LBB717_59:
	s_or_b64 exec, exec, s[0:1]
                                        ; implicit-def: $vgpr41
	s_and_saveexec_b64 s[0:1], s[24:25]
	s_cbranch_execz .LBB717_61
.LBB717_60:
	v_lshlrev_b32_e32 v1, 2, v42
	v_mov_b32_e32 v41, s62
	v_add_co_u32_e32 v48, vcc, s49, v1
	v_addc_co_u32_e32 v49, vcc, 0, v41, vcc
	flat_load_dword v41, v[48:49]
.LBB717_61:
	s_or_b64 exec, exec, s[0:1]
	v_mul_u32_u24_e32 v1, 15, v0
                                        ; implicit-def: $vgpr42
	s_and_saveexec_b64 s[0:1], s[26:27]
	s_cbranch_execz .LBB717_63
; %bb.62:
	v_lshlrev_b32_e32 v42, 2, v43
	v_mov_b32_e32 v43, s62
	v_add_co_u32_e32 v42, vcc, s49, v42
	v_addc_co_u32_e32 v43, vcc, 0, v43, vcc
	flat_load_dword v42, v[42:43]
.LBB717_63:
	s_or_b64 exec, exec, s[0:1]
	s_movk_i32 s0, 0xff8c
	v_mad_i32_i24 v30, v0, s0, v30
	v_add_u32_e32 v49, 1, v1
	v_add_u32_e32 v48, 2, v1
	;; [unrolled: 1-line block ×14, first 2 shown]
	s_waitcnt vmcnt(0) lgkmcnt(0)
	ds_write2st64_b32 v30, v31, v32 offset1:4
	ds_write2st64_b32 v30, v39, v44 offset0:8 offset1:12
	ds_write2st64_b32 v30, v45, v62 offset0:16 offset1:20
	ds_write2st64_b32 v30, v33, v34 offset0:24 offset1:28
	ds_write2st64_b32 v30, v35, v36 offset0:32 offset1:36
	ds_write2st64_b32 v30, v37, v38 offset0:40 offset1:44
	ds_write2st64_b32 v30, v40, v41 offset0:48 offset1:52
	ds_write_b32 v30, v42 offset:14336
	v_mov_b32_e32 v30, v26
	v_mov_b32_e32 v31, v27
	;; [unrolled: 1-line block ×14, first 2 shown]
	s_waitcnt lgkmcnt(0)
	s_barrier
.LBB717_64:
	v_lshlrev_b32_e32 v1, 2, v1
	v_lshlrev_b32_e32 v44, 2, v49
	;; [unrolled: 1-line block ×8, first 2 shown]
	ds_read_b32 v95, v1
	ds_read_b32 v94, v44
	;; [unrolled: 1-line block ×8, first 2 shown]
	v_lshlrev_b32_e32 v1, 2, v53
	v_lshlrev_b32_e32 v44, 2, v57
	;; [unrolled: 1-line block ×7, first 2 shown]
	ds_read_b32 v93, v1
	ds_read_b32 v91, v44
	;; [unrolled: 1-line block ×7, first 2 shown]
	s_cmp_eq_u64 s[38:39], 0
	s_cselect_b64 s[36:37], -1, 0
	s_cmp_lg_u64 s[38:39], 0
	s_mov_b64 s[2:3], 0
	s_cselect_b64 s[30:31], -1, 0
	s_and_b64 vcc, exec, s[40:41]
	s_waitcnt lgkmcnt(0)
	s_barrier
	s_cbranch_vccz .LBB717_70
; %bb.65:
	s_and_b64 vcc, exec, s[30:31]
	s_cbranch_vccz .LBB717_135
; %bb.66:
	v_mov_b32_e32 v1, s48
	v_add_co_u32_e64 v44, vcc, -8, s7
	v_addc_co_u32_e32 v45, vcc, -1, v1, vcc
	flat_load_dwordx2 v[44:45], v[44:45]
	v_lshlrev_b32_e32 v1, 3, v0
	v_cmp_ne_u64_e32 vcc, v[4:5], v[46:47]
	v_cmp_ne_u64_e64 s[0:1], v[2:3], v[4:5]
	v_cmp_ne_u64_e64 s[2:3], v[8:9], v[2:3]
	;; [unrolled: 1-line block ×13, first 2 shown]
	v_cmp_ne_u32_e64 s[28:29], 0, v0
	ds_write_b64 v1, v[46:47]
	s_waitcnt lgkmcnt(0)
	s_barrier
	s_and_saveexec_b64 s[40:41], s[28:29]
	s_cbranch_execz .LBB717_68
; %bb.67:
	v_add_u32_e32 v1, -8, v1
	s_waitcnt vmcnt(0)
	ds_read_b64 v[44:45], v1
.LBB717_68:
	s_or_b64 exec, exec, s[40:41]
	v_cndmask_b32_e64 v1, 0, 1, vcc
	v_cndmask_b32_e64 v68, 0, 1, s[0:1]
	v_cndmask_b32_e64 v69, 0, 1, s[2:3]
	;; [unrolled: 1-line block ×13, first 2 shown]
	s_waitcnt vmcnt(0) lgkmcnt(0)
	v_cmp_ne_u64_e64 s[0:1], v[44:45], v[26:27]
	s_mov_b64 s[2:3], -1
.LBB717_69:
                                        ; implicit-def: $sgpr10
	s_branch .LBB717_71
.LBB717_70:
                                        ; implicit-def: $sgpr0_sgpr1
                                        ; implicit-def: $vgpr1
                                        ; implicit-def: $vgpr68
                                        ; implicit-def: $vgpr69
                                        ; implicit-def: $vgpr70
                                        ; implicit-def: $vgpr71
                                        ; implicit-def: $vgpr72
                                        ; implicit-def: $vgpr73
                                        ; implicit-def: $vgpr74
                                        ; implicit-def: $vgpr75
                                        ; implicit-def: $vgpr76
                                        ; implicit-def: $vgpr77
                                        ; implicit-def: $vgpr78
                                        ; implicit-def: $vgpr79
                                        ; implicit-def: $vgpr80
                                        ; implicit-def: $sgpr10
	s_cbranch_execnz .LBB717_139
.LBB717_71:
	v_mov_b32_e32 v96, s10
	s_and_saveexec_b64 s[4:5], s[2:3]
.LBB717_72:
	v_cndmask_b32_e64 v96, 0, 1, s[0:1]
.LBB717_73:
	s_or_b64 exec, exec, s[4:5]
	s_cmp_eq_u64 s[46:47], 0
	v_add3_u32 v30, v80, v96, v79
	s_cselect_b64 s[38:39], -1, 0
	s_cmp_lg_u32 s6, 0
	v_cmp_eq_u32_e64 s[24:25], 0, v80
	v_cmp_eq_u32_e64 s[22:23], 0, v79
	;; [unrolled: 1-line block ×3, first 2 shown]
	v_add3_u32 v101, v30, v78, v77
	v_cmp_eq_u32_e64 s[18:19], 0, v77
	v_cmp_eq_u32_e64 s[16:17], 0, v76
	;; [unrolled: 1-line block ×10, first 2 shown]
	v_cmp_eq_u32_e32 vcc, 0, v1
	v_mbcnt_lo_u32_b32 v100, -1, 0
	v_lshrrev_b32_e32 v98, 6, v0
	v_or_b32_e32 v99, 63, v0
	s_cbranch_scc0 .LBB717_104
; %bb.74:
	v_cndmask_b32_e64 v30, 0, v95, s[24:25]
	v_add_u32_e32 v30, v30, v94
	v_cndmask_b32_e64 v30, 0, v30, s[22:23]
	v_add_u32_e32 v30, v30, v92
	;; [unrolled: 2-line block ×11, first 2 shown]
	v_cndmask_b32_e64 v30, 0, v30, s[2:3]
	v_add3_u32 v31, v101, v76, v75
	v_add_u32_e32 v30, v30, v82
	v_add3_u32 v31, v31, v74, v73
	v_cndmask_b32_e64 v30, 0, v30, s[0:1]
	v_add3_u32 v31, v31, v72, v71
	v_add_u32_e32 v30, v30, v81
	v_add3_u32 v31, v31, v70, v69
	v_cndmask_b32_e32 v30, 0, v30, vcc
	v_add3_u32 v31, v31, v68, v1
	v_add_u32_e32 v30, v30, v97
	v_mbcnt_hi_u32_b32 v39, -1, v100
	v_and_b32_e32 v32, 15, v39
	v_mov_b32_dpp v34, v30 row_shr:1 row_mask:0xf bank_mask:0xf
	v_cmp_eq_u32_e32 vcc, 0, v31
	v_mov_b32_dpp v33, v31 row_shr:1 row_mask:0xf bank_mask:0xf
	v_cndmask_b32_e32 v34, 0, v34, vcc
	v_cmp_eq_u32_e32 vcc, 0, v32
	v_cndmask_b32_e64 v33, v33, 0, vcc
	v_add_u32_e32 v31, v33, v31
	v_cndmask_b32_e64 v33, v34, 0, vcc
	v_add_u32_e32 v30, v33, v30
	v_cmp_eq_u32_e32 vcc, 0, v31
	v_mov_b32_dpp v33, v31 row_shr:2 row_mask:0xf bank_mask:0xf
	v_cmp_lt_u32_e64 s[26:27], 1, v32
	v_mov_b32_dpp v34, v30 row_shr:2 row_mask:0xf bank_mask:0xf
	v_cndmask_b32_e64 v33, 0, v33, s[26:27]
	s_and_b64 vcc, s[26:27], vcc
	v_cndmask_b32_e32 v34, 0, v34, vcc
	v_add_u32_e32 v31, v31, v33
	v_add_u32_e32 v30, v34, v30
	v_cmp_eq_u32_e32 vcc, 0, v31
	v_mov_b32_dpp v33, v31 row_shr:4 row_mask:0xf bank_mask:0xf
	v_cmp_lt_u32_e64 s[26:27], 3, v32
	v_mov_b32_dpp v34, v30 row_shr:4 row_mask:0xf bank_mask:0xf
	v_cndmask_b32_e64 v33, 0, v33, s[26:27]
	s_and_b64 vcc, s[26:27], vcc
	v_cndmask_b32_e32 v34, 0, v34, vcc
	v_add_u32_e32 v31, v33, v31
	v_add_u32_e32 v30, v30, v34
	v_cmp_eq_u32_e32 vcc, 0, v31
	v_cmp_lt_u32_e64 s[26:27], 7, v32
	v_mov_b32_dpp v33, v31 row_shr:8 row_mask:0xf bank_mask:0xf
	v_mov_b32_dpp v34, v30 row_shr:8 row_mask:0xf bank_mask:0xf
	s_and_b64 vcc, s[26:27], vcc
	v_cndmask_b32_e64 v32, 0, v33, s[26:27]
	v_cndmask_b32_e32 v33, 0, v34, vcc
	v_add_u32_e32 v30, v33, v30
	v_add_u32_e32 v31, v32, v31
	v_bfe_i32 v34, v39, 4, 1
	v_mov_b32_dpp v33, v30 row_bcast:15 row_mask:0xf bank_mask:0xf
	v_mov_b32_dpp v32, v31 row_bcast:15 row_mask:0xf bank_mask:0xf
	v_cmp_eq_u32_e32 vcc, 0, v31
	v_cndmask_b32_e32 v33, 0, v33, vcc
	v_and_b32_e32 v32, v34, v32
	v_add_u32_e32 v31, v32, v31
	v_and_b32_e32 v32, v34, v33
	v_add_u32_e32 v32, v32, v30
	v_mov_b32_dpp v30, v31 row_bcast:31 row_mask:0xf bank_mask:0xf
	v_cmp_eq_u32_e32 vcc, 0, v31
	v_cmp_lt_u32_e64 s[26:27], 31, v39
	v_mov_b32_dpp v33, v32 row_bcast:31 row_mask:0xf bank_mask:0xf
	v_cndmask_b32_e64 v30, 0, v30, s[26:27]
	s_and_b64 vcc, s[26:27], vcc
	v_add_u32_e32 v30, v30, v31
	v_cndmask_b32_e32 v31, 0, v33, vcc
	v_add_u32_e32 v31, v31, v32
	v_cmp_eq_u32_e32 vcc, v99, v0
	v_lshlrev_b32_e32 v32, 3, v98
	s_and_saveexec_b64 s[26:27], vcc
	s_cbranch_execz .LBB717_76
; %bb.75:
	ds_write_b64 v32, v[30:31] offset:4112
.LBB717_76:
	s_or_b64 exec, exec, s[26:27]
	v_cmp_gt_u32_e32 vcc, 4, v0
	s_waitcnt lgkmcnt(0)
	s_barrier
	s_and_saveexec_b64 s[30:31], vcc
	s_cbranch_execz .LBB717_78
; %bb.77:
	v_lshlrev_b32_e32 v33, 3, v0
	ds_read_b64 v[34:35], v33 offset:4112
	v_and_b32_e32 v36, 3, v39
	v_cmp_lt_u32_e64 s[26:27], 1, v36
	s_waitcnt lgkmcnt(0)
	v_mov_b32_dpp v38, v35 row_shr:1 row_mask:0xf bank_mask:0xf
	v_cmp_eq_u32_e32 vcc, 0, v34
	v_mov_b32_dpp v37, v34 row_shr:1 row_mask:0xf bank_mask:0xf
	v_cndmask_b32_e32 v38, 0, v38, vcc
	v_cmp_eq_u32_e32 vcc, 0, v36
	v_cndmask_b32_e64 v37, v37, 0, vcc
	v_add_u32_e32 v34, v37, v34
	v_cndmask_b32_e64 v37, v38, 0, vcc
	v_add_u32_e32 v35, v37, v35
	v_cmp_eq_u32_e32 vcc, 0, v34
	v_mov_b32_dpp v37, v34 row_shr:2 row_mask:0xf bank_mask:0xf
	v_mov_b32_dpp v38, v35 row_shr:2 row_mask:0xf bank_mask:0xf
	v_cndmask_b32_e64 v36, 0, v37, s[26:27]
	s_and_b64 vcc, s[26:27], vcc
	v_add_u32_e32 v34, v36, v34
	v_cndmask_b32_e32 v36, 0, v38, vcc
	v_add_u32_e32 v35, v36, v35
	ds_write_b64 v33, v[34:35] offset:4112
.LBB717_78:
	s_or_b64 exec, exec, s[30:31]
	v_cmp_gt_u32_e32 vcc, 64, v0
	v_cmp_lt_u32_e64 s[26:27], 63, v0
	v_mov_b32_e32 v36, 0
	v_mov_b32_e32 v37, 0
	s_waitcnt lgkmcnt(0)
	s_barrier
	s_and_saveexec_b64 s[30:31], s[26:27]
	s_cbranch_execz .LBB717_80
; %bb.79:
	ds_read_b64 v[36:37], v32 offset:4104
	v_cmp_eq_u32_e64 s[26:27], 0, v30
	s_waitcnt lgkmcnt(0)
	v_add_u32_e32 v32, v36, v30
	v_cndmask_b32_e64 v30, 0, v37, s[26:27]
	v_add_u32_e32 v31, v30, v31
	v_mov_b32_e32 v30, v32
.LBB717_80:
	s_or_b64 exec, exec, s[30:31]
	v_add_u32_e32 v32, -1, v39
	v_and_b32_e32 v33, 64, v39
	v_cmp_lt_i32_e64 s[26:27], v32, v33
	v_cndmask_b32_e64 v32, v32, v39, s[26:27]
	v_lshlrev_b32_e32 v32, 2, v32
	ds_bpermute_b32 v44, v32, v30
	ds_bpermute_b32 v45, v32, v31
	v_cmp_eq_u32_e64 s[26:27], 0, v39
	s_and_saveexec_b64 s[40:41], vcc
	s_cbranch_execz .LBB717_103
; %bb.81:
	v_mov_b32_e32 v35, 0
	ds_read_b64 v[30:31], v35 offset:4136
	s_waitcnt lgkmcnt(0)
	v_readfirstlane_b32 s7, v30
	v_readfirstlane_b32 s48, v31
	s_and_saveexec_b64 s[30:31], s[26:27]
	s_cbranch_execz .LBB717_83
; %bb.82:
	s_add_i32 s46, s6, 64
	s_mov_b32 s47, 0
	s_lshl_b64 s[50:51], s[46:47], 4
	s_add_u32 s50, s44, s50
	s_addc_u32 s51, s45, s51
	s_and_b32 s57, s48, 0xff000000
	s_mov_b32 s56, s47
	s_and_b32 s63, s48, 0xff0000
	s_mov_b32 s62, s47
	s_or_b64 s[56:57], s[62:63], s[56:57]
	s_and_b32 s63, s48, 0xff00
	s_or_b64 s[56:57], s[56:57], s[62:63]
	s_and_b32 s63, s48, 0xff
	s_or_b64 s[46:47], s[56:57], s[62:63]
	v_mov_b32_e32 v32, s7
	v_mov_b32_e32 v33, s47
	;; [unrolled: 1-line block ×3, first 2 shown]
	v_pk_mov_b32 v[30:31], s[50:51], s[50:51] op_sel:[0,1]
	;;#ASMSTART
	global_store_dwordx4 v[30:31], v[32:35] off	
s_waitcnt vmcnt(0)
	;;#ASMEND
.LBB717_83:
	s_or_b64 exec, exec, s[30:31]
	v_xad_u32 v38, v39, -1, s6
	v_add_u32_e32 v34, 64, v38
	v_lshlrev_b64 v[30:31], 4, v[34:35]
	v_mov_b32_e32 v32, s45
	v_add_co_u32_e32 v40, vcc, s44, v30
	v_addc_co_u32_e32 v41, vcc, v32, v31, vcc
	;;#ASMSTART
	global_load_dwordx4 v[30:33], v[40:41] off glc	
s_waitcnt vmcnt(0)
	;;#ASMEND
	v_and_b32_e32 v33, 0xff, v31
	v_and_b32_e32 v34, 0xff00, v31
	;; [unrolled: 1-line block ×3, first 2 shown]
	v_or3_b32 v33, 0, v33, v34
	v_or3_b32 v30, v30, 0, 0
	v_and_b32_e32 v31, 0xff000000, v31
	v_or3_b32 v31, v33, v42, v31
	v_or3_b32 v30, v30, 0, 0
	v_cmp_eq_u16_sdwa s[46:47], v32, v35 src0_sel:BYTE_0 src1_sel:DWORD
	s_and_saveexec_b64 s[30:31], s[46:47]
	s_cbranch_execz .LBB717_89
; %bb.84:
	s_mov_b32 s49, 1
	s_mov_b64 s[46:47], 0
	v_mov_b32_e32 v34, 0
.LBB717_85:                             ; =>This Loop Header: Depth=1
                                        ;     Child Loop BB717_86 Depth 2
	s_max_u32 s50, s49, 1
.LBB717_86:                             ;   Parent Loop BB717_85 Depth=1
                                        ; =>  This Inner Loop Header: Depth=2
	s_add_i32 s50, s50, -1
	s_cmp_eq_u32 s50, 0
	s_sleep 1
	s_cbranch_scc0 .LBB717_86
; %bb.87:                               ;   in Loop: Header=BB717_85 Depth=1
	s_cmp_lt_u32 s49, 32
	s_cselect_b64 s[50:51], -1, 0
	s_cmp_lg_u64 s[50:51], 0
	s_addc_u32 s49, s49, 0
	;;#ASMSTART
	global_load_dwordx4 v[30:33], v[40:41] off glc	
s_waitcnt vmcnt(0)
	;;#ASMEND
	v_cmp_ne_u16_sdwa s[50:51], v32, v34 src0_sel:BYTE_0 src1_sel:DWORD
	s_or_b64 s[46:47], s[50:51], s[46:47]
	s_andn2_b64 exec, exec, s[46:47]
	s_cbranch_execnz .LBB717_85
; %bb.88:
	s_or_b64 exec, exec, s[46:47]
.LBB717_89:
	s_or_b64 exec, exec, s[30:31]
	v_mov_b32_e32 v48, 2
	v_cmp_eq_u16_sdwa s[30:31], v32, v48 src0_sel:BYTE_0 src1_sel:DWORD
	v_lshlrev_b64 v[40:41], v39, -1
	v_and_b32_e32 v33, s31, v41
	v_and_b32_e32 v49, 63, v39
	v_or_b32_e32 v33, 0x80000000, v33
	v_cmp_ne_u32_e32 vcc, 63, v49
	v_and_b32_e32 v34, s30, v40
	v_ffbl_b32_e32 v33, v33
	v_addc_co_u32_e32 v35, vcc, 0, v39, vcc
	v_add_u32_e32 v33, 32, v33
	v_ffbl_b32_e32 v34, v34
	v_lshlrev_b32_e32 v50, 2, v35
	v_min_u32_e32 v33, v34, v33
	ds_bpermute_b32 v34, v50, v31
	v_cmp_eq_u32_e32 vcc, 0, v30
	v_cmp_lt_u32_e64 s[30:31], v49, v33
	ds_bpermute_b32 v35, v50, v30
	s_and_b64 vcc, s[30:31], vcc
	s_waitcnt lgkmcnt(1)
	v_cndmask_b32_e32 v34, 0, v34, vcc
	v_cmp_gt_u32_e32 vcc, 62, v49
	v_add_u32_e32 v31, v34, v31
	v_cndmask_b32_e64 v34, 0, 1, vcc
	v_lshlrev_b32_e32 v34, 1, v34
	v_add_lshl_u32 v51, v34, v39, 2
	s_waitcnt lgkmcnt(0)
	v_cndmask_b32_e64 v35, 0, v35, s[30:31]
	ds_bpermute_b32 v34, v51, v31
	v_add_u32_e32 v30, v35, v30
	ds_bpermute_b32 v35, v51, v30
	v_add_u32_e32 v52, 2, v49
	v_cmp_eq_u32_e32 vcc, 0, v30
	s_waitcnt lgkmcnt(1)
	v_cndmask_b32_e32 v34, 0, v34, vcc
	v_cmp_gt_u32_e32 vcc, v52, v33
	v_cndmask_b32_e64 v34, v34, 0, vcc
	v_add_u32_e32 v31, v34, v31
	s_waitcnt lgkmcnt(0)
	v_cndmask_b32_e64 v34, v35, 0, vcc
	v_cmp_gt_u32_e32 vcc, 60, v49
	v_cndmask_b32_e64 v35, 0, 1, vcc
	v_lshlrev_b32_e32 v35, 2, v35
	v_add_lshl_u32 v53, v35, v39, 2
	ds_bpermute_b32 v35, v53, v31
	v_add_u32_e32 v30, v30, v34
	ds_bpermute_b32 v34, v53, v30
	v_add_u32_e32 v54, 4, v49
	v_cmp_eq_u32_e32 vcc, 0, v30
	s_waitcnt lgkmcnt(1)
	v_cndmask_b32_e32 v35, 0, v35, vcc
	v_cmp_gt_u32_e32 vcc, v54, v33
	v_cndmask_b32_e64 v35, v35, 0, vcc
	s_waitcnt lgkmcnt(0)
	v_cndmask_b32_e64 v34, v34, 0, vcc
	v_cmp_gt_u32_e32 vcc, 56, v49
	v_add_u32_e32 v31, v31, v35
	v_cndmask_b32_e64 v35, 0, 1, vcc
	v_lshlrev_b32_e32 v35, 3, v35
	v_add_lshl_u32 v55, v35, v39, 2
	ds_bpermute_b32 v35, v55, v31
	v_add_u32_e32 v30, v30, v34
	ds_bpermute_b32 v34, v55, v30
	v_add_u32_e32 v56, 8, v49
	v_cmp_eq_u32_e32 vcc, 0, v30
	s_waitcnt lgkmcnt(1)
	v_cndmask_b32_e32 v35, 0, v35, vcc
	v_cmp_gt_u32_e32 vcc, v56, v33
	v_cndmask_b32_e64 v35, v35, 0, vcc
	s_waitcnt lgkmcnt(0)
	v_cndmask_b32_e64 v34, v34, 0, vcc
	v_cmp_gt_u32_e32 vcc, 48, v49
	v_add_u32_e32 v31, v31, v35
	;; [unrolled: 16-line block ×3, first 2 shown]
	v_cndmask_b32_e64 v35, 0, 1, vcc
	v_lshlrev_b32_e32 v35, 5, v35
	v_add_lshl_u32 v59, v35, v39, 2
	ds_bpermute_b32 v35, v59, v31
	v_add_u32_e32 v30, v30, v34
	ds_bpermute_b32 v34, v59, v30
	v_add_u32_e32 v60, 32, v49
	v_cmp_eq_u32_e32 vcc, 0, v30
	s_waitcnt lgkmcnt(1)
	v_cndmask_b32_e32 v35, 0, v35, vcc
	v_cmp_gt_u32_e32 vcc, v60, v33
	v_cndmask_b32_e64 v33, v35, 0, vcc
	v_add_u32_e32 v31, v33, v31
	s_waitcnt lgkmcnt(0)
	v_cndmask_b32_e64 v33, v34, 0, vcc
	v_add_u32_e32 v30, v33, v30
	v_mov_b32_e32 v39, 0
	s_branch .LBB717_91
.LBB717_90:                             ;   in Loop: Header=BB717_91 Depth=1
	s_or_b64 exec, exec, s[30:31]
	v_cmp_eq_u16_sdwa s[30:31], v32, v48 src0_sel:BYTE_0 src1_sel:DWORD
	v_and_b32_e32 v33, s31, v41
	v_or_b32_e32 v33, 0x80000000, v33
	v_and_b32_e32 v42, s30, v40
	v_ffbl_b32_e32 v33, v33
	v_add_u32_e32 v33, 32, v33
	v_ffbl_b32_e32 v42, v42
	v_min_u32_e32 v33, v42, v33
	ds_bpermute_b32 v42, v50, v31
	v_cmp_eq_u32_e32 vcc, 0, v30
	v_cmp_lt_u32_e64 s[30:31], v49, v33
	ds_bpermute_b32 v43, v50, v30
	s_and_b64 vcc, s[30:31], vcc
	s_waitcnt lgkmcnt(1)
	v_cndmask_b32_e32 v42, 0, v42, vcc
	v_add_u32_e32 v31, v42, v31
	ds_bpermute_b32 v42, v51, v31
	s_waitcnt lgkmcnt(1)
	v_cndmask_b32_e64 v43, 0, v43, s[30:31]
	v_add_u32_e32 v30, v43, v30
	v_cmp_eq_u32_e32 vcc, 0, v30
	ds_bpermute_b32 v43, v51, v30
	s_waitcnt lgkmcnt(1)
	v_cndmask_b32_e32 v42, 0, v42, vcc
	v_cmp_gt_u32_e32 vcc, v52, v33
	v_cndmask_b32_e64 v42, v42, 0, vcc
	v_add_u32_e32 v31, v42, v31
	ds_bpermute_b32 v42, v53, v31
	s_waitcnt lgkmcnt(1)
	v_cndmask_b32_e64 v43, v43, 0, vcc
	v_add_u32_e32 v30, v30, v43
	v_cmp_eq_u32_e32 vcc, 0, v30
	ds_bpermute_b32 v43, v53, v30
	s_waitcnt lgkmcnt(1)
	v_cndmask_b32_e32 v42, 0, v42, vcc
	v_cmp_gt_u32_e32 vcc, v54, v33
	v_cndmask_b32_e64 v42, v42, 0, vcc
	v_add_u32_e32 v31, v31, v42
	ds_bpermute_b32 v42, v55, v31
	s_waitcnt lgkmcnt(1)
	v_cndmask_b32_e64 v43, v43, 0, vcc
	v_add_u32_e32 v30, v30, v43
	ds_bpermute_b32 v43, v55, v30
	v_cmp_eq_u32_e32 vcc, 0, v30
	s_waitcnt lgkmcnt(1)
	v_cndmask_b32_e32 v42, 0, v42, vcc
	v_cmp_gt_u32_e32 vcc, v56, v33
	v_cndmask_b32_e64 v42, v42, 0, vcc
	v_add_u32_e32 v31, v31, v42
	ds_bpermute_b32 v42, v57, v31
	s_waitcnt lgkmcnt(1)
	v_cndmask_b32_e64 v43, v43, 0, vcc
	v_add_u32_e32 v30, v30, v43
	ds_bpermute_b32 v43, v57, v30
	v_cmp_eq_u32_e32 vcc, 0, v30
	;; [unrolled: 11-line block ×3, first 2 shown]
	s_waitcnt lgkmcnt(1)
	v_cndmask_b32_e32 v42, 0, v42, vcc
	v_cmp_gt_u32_e32 vcc, v60, v33
	v_cndmask_b32_e64 v33, v42, 0, vcc
	v_add_u32_e32 v31, v33, v31
	s_waitcnt lgkmcnt(0)
	v_cndmask_b32_e64 v33, v43, 0, vcc
	v_cmp_eq_u32_e32 vcc, 0, v34
	v_cndmask_b32_e32 v31, 0, v31, vcc
	v_subrev_u32_e32 v38, 64, v38
	v_add3_u32 v30, v30, v34, v33
	v_add_u32_e32 v31, v31, v35
.LBB717_91:                             ; =>This Loop Header: Depth=1
                                        ;     Child Loop BB717_94 Depth 2
                                        ;       Child Loop BB717_95 Depth 3
	v_cmp_ne_u16_sdwa s[30:31], v32, v48 src0_sel:BYTE_0 src1_sel:DWORD
	v_mov_b32_e32 v35, v31
	v_cndmask_b32_e64 v31, 0, 1, s[30:31]
	;;#ASMSTART
	;;#ASMEND
	v_cmp_ne_u32_e32 vcc, 0, v31
	s_cmp_lg_u64 vcc, exec
	v_mov_b32_e32 v34, v30
	s_cbranch_scc1 .LBB717_98
; %bb.92:                               ;   in Loop: Header=BB717_91 Depth=1
	v_lshlrev_b64 v[30:31], 4, v[38:39]
	v_mov_b32_e32 v32, s45
	v_add_co_u32_e32 v42, vcc, s44, v30
	v_addc_co_u32_e32 v43, vcc, v32, v31, vcc
	;;#ASMSTART
	global_load_dwordx4 v[30:33], v[42:43] off glc	
s_waitcnt vmcnt(0)
	;;#ASMEND
	v_and_b32_e32 v33, 0xff, v31
	v_and_b32_e32 v61, 0xff00, v31
	;; [unrolled: 1-line block ×3, first 2 shown]
	v_or3_b32 v33, 0, v33, v61
	v_or3_b32 v30, v30, 0, 0
	v_and_b32_e32 v31, 0xff000000, v31
	v_or3_b32 v31, v33, v62, v31
	v_or3_b32 v30, v30, 0, 0
	v_cmp_eq_u16_sdwa s[46:47], v32, v39 src0_sel:BYTE_0 src1_sel:DWORD
	s_and_saveexec_b64 s[30:31], s[46:47]
	s_cbranch_execz .LBB717_90
; %bb.93:                               ;   in Loop: Header=BB717_91 Depth=1
	s_mov_b32 s49, 1
	s_mov_b64 s[46:47], 0
.LBB717_94:                             ;   Parent Loop BB717_91 Depth=1
                                        ; =>  This Loop Header: Depth=2
                                        ;       Child Loop BB717_95 Depth 3
	s_max_u32 s50, s49, 1
.LBB717_95:                             ;   Parent Loop BB717_91 Depth=1
                                        ;     Parent Loop BB717_94 Depth=2
                                        ; =>    This Inner Loop Header: Depth=3
	s_add_i32 s50, s50, -1
	s_cmp_eq_u32 s50, 0
	s_sleep 1
	s_cbranch_scc0 .LBB717_95
; %bb.96:                               ;   in Loop: Header=BB717_94 Depth=2
	s_cmp_lt_u32 s49, 32
	s_cselect_b64 s[50:51], -1, 0
	s_cmp_lg_u64 s[50:51], 0
	s_addc_u32 s49, s49, 0
	;;#ASMSTART
	global_load_dwordx4 v[30:33], v[42:43] off glc	
s_waitcnt vmcnt(0)
	;;#ASMEND
	v_cmp_ne_u16_sdwa s[50:51], v32, v39 src0_sel:BYTE_0 src1_sel:DWORD
	s_or_b64 s[46:47], s[50:51], s[46:47]
	s_andn2_b64 exec, exec, s[46:47]
	s_cbranch_execnz .LBB717_94
; %bb.97:                               ;   in Loop: Header=BB717_91 Depth=1
	s_or_b64 exec, exec, s[46:47]
	s_branch .LBB717_90
.LBB717_98:                             ;   in Loop: Header=BB717_91 Depth=1
                                        ; implicit-def: $vgpr31
                                        ; implicit-def: $vgpr30
                                        ; implicit-def: $vgpr32
	s_cbranch_execz .LBB717_91
; %bb.99:
	s_and_saveexec_b64 s[30:31], s[26:27]
	s_cbranch_execz .LBB717_101
; %bb.100:
	s_cmp_eq_u32 s7, 0
	s_cselect_b64 vcc, -1, 0
	s_mov_b32 s47, 0
	v_cndmask_b32_e32 v30, 0, v35, vcc
	s_add_i32 s46, s6, 64
	v_add_u32_e32 v30, s48, v30
	s_lshl_b64 s[46:47], s[46:47], 4
	s_add_u32 s46, s44, s46
	v_and_b32_e32 v31, 0xff000000, v30
	v_and_b32_e32 v32, 0xff0000, v30
	s_addc_u32 s47, s45, s47
	v_or_b32_e32 v31, v32, v31
	v_and_b32_e32 v32, 0xff00, v30
	v_and_b32_e32 v30, 0xff, v30
	v_add_u32_e32 v38, s7, v34
	v_mov_b32_e32 v41, 0
	v_or3_b32 v39, v31, v32, v30
	v_mov_b32_e32 v40, 2
	v_pk_mov_b32 v[30:31], s[46:47], s[46:47] op_sel:[0,1]
	;;#ASMSTART
	global_store_dwordx4 v[30:31], v[38:41] off	
s_waitcnt vmcnt(0)
	;;#ASMEND
	v_mov_b32_e32 v32, s7
	v_mov_b32_e32 v33, s48
	ds_write_b128 v41, v[32:35] offset:4096
.LBB717_101:
	s_or_b64 exec, exec, s[30:31]
	v_cmp_eq_u32_e32 vcc, 0, v0
	s_and_b64 exec, exec, vcc
	s_cbranch_execz .LBB717_103
; %bb.102:
	v_mov_b32_e32 v30, 0
	ds_write_b64 v30, v[34:35] offset:4136
.LBB717_103:
	s_or_b64 exec, exec, s[40:41]
	v_mov_b32_e32 v32, 0
	s_waitcnt lgkmcnt(0)
	s_barrier
	ds_read_b64 v[30:31], v32 offset:4136
	v_cndmask_b32_e64 v34, v44, v36, s[26:27]
	v_cmp_eq_u32_e32 vcc, 0, v34
	v_cndmask_b32_e64 v33, v45, v37, s[26:27]
	s_waitcnt lgkmcnt(0)
	v_cndmask_b32_e32 v35, 0, v31, vcc
	v_add_u32_e32 v33, v35, v33
	v_cmp_eq_u32_e32 vcc, 0, v0
	v_cndmask_b32_e32 v67, v33, v31, vcc
	v_cndmask_b32_e64 v31, v34, 0, vcc
	v_cmp_eq_u32_e32 vcc, 0, v96
	v_add_u32_e32 v66, v30, v31
	v_cndmask_b32_e32 v30, 0, v67, vcc
	v_add_u32_e32 v65, v30, v95
	v_cndmask_b32_e64 v30, 0, v65, s[24:25]
	v_add_u32_e32 v63, v30, v94
	v_cndmask_b32_e64 v30, 0, v63, s[22:23]
	;; [unrolled: 2-line block ×8, first 2 shown]
	v_add_u32_e32 v64, v66, v96
	v_add_u32_e32 v49, v30, v93
	v_add_u32_e32 v62, v64, v80
	v_cndmask_b32_e64 v30, 0, v49, s[8:9]
	v_add_u32_e32 v60, v62, v79
	v_add_u32_e32 v45, v30, v91
	v_add_u32_e32 v58, v60, v78
	v_cndmask_b32_e64 v30, 0, v45, s[28:29]
	;; [unrolled: 4-line block ×3, first 2 shown]
	v_add_u32_e32 v52, v54, v75
	v_add_u32_e32 v41, v30, v87
	s_barrier
	ds_read_b128 v[30:33], v32 offset:4096
	v_add_u32_e32 v50, v52, v74
	v_add_u32_e32 v48, v50, v73
	;; [unrolled: 1-line block ×4, first 2 shown]
	v_cndmask_b32_e64 v34, 0, v41, s[2:3]
	v_add_u32_e32 v40, v42, v70
	v_add_u32_e32 v39, v34, v82
	s_waitcnt lgkmcnt(0)
	v_cmp_eq_u32_e32 vcc, 0, v30
	v_add_u32_e32 v38, v40, v69
	v_cndmask_b32_e64 v34, 0, v39, s[0:1]
	v_cndmask_b32_e32 v33, 0, v33, vcc
	v_add_u32_e32 v36, v38, v68
	v_add_u32_e32 v37, v34, v81
	;; [unrolled: 1-line block ×3, first 2 shown]
	s_branch .LBB717_116
.LBB717_104:
                                        ; implicit-def: $vgpr30
                                        ; implicit-def: $vgpr85
                                        ; implicit-def: $vgpr66_vgpr67
                                        ; implicit-def: $vgpr64_vgpr65
                                        ; implicit-def: $vgpr62_vgpr63
                                        ; implicit-def: $vgpr60_vgpr61
                                        ; implicit-def: $vgpr58_vgpr59
                                        ; implicit-def: $vgpr56_vgpr57
                                        ; implicit-def: $vgpr54_vgpr55
                                        ; implicit-def: $vgpr52_vgpr53
                                        ; implicit-def: $vgpr50_vgpr51
                                        ; implicit-def: $vgpr48_vgpr49
                                        ; implicit-def: $vgpr44_vgpr45
                                        ; implicit-def: $vgpr42_vgpr43
                                        ; implicit-def: $vgpr40_vgpr41
                                        ; implicit-def: $vgpr38_vgpr39
                                        ; implicit-def: $vgpr36_vgpr37
	s_cbranch_execz .LBB717_116
; %bb.105:
	s_and_b64 s[0:1], s[38:39], exec
	s_cselect_b32 s1, 0, s61
	s_cselect_b32 s0, 0, s60
	s_cmp_eq_u64 s[0:1], 0
	v_mov_b32_e32 v34, v95
	s_cbranch_scc1 .LBB717_107
; %bb.106:
	v_mov_b32_e32 v30, 0
	global_load_dword v34, v30, s[0:1]
.LBB717_107:
	v_cmp_eq_u32_e64 s[0:1], 0, v80
	v_cndmask_b32_e64 v30, 0, v95, s[0:1]
	v_add_u32_e32 v30, v30, v94
	v_cmp_eq_u32_e64 s[2:3], 0, v79
	v_cndmask_b32_e64 v30, 0, v30, s[2:3]
	v_add_u32_e32 v30, v30, v92
	;; [unrolled: 3-line block ×11, first 2 shown]
	v_cmp_eq_u32_e64 s[22:23], 0, v69
	v_cndmask_b32_e64 v30, 0, v30, s[22:23]
	v_add3_u32 v31, v101, v76, v75
	v_add_u32_e32 v30, v30, v82
	v_cmp_eq_u32_e32 vcc, 0, v68
	v_add3_u32 v31, v31, v74, v73
	v_cndmask_b32_e32 v30, 0, v30, vcc
	v_add3_u32 v31, v31, v72, v71
	v_add_u32_e32 v30, v30, v81
	v_cmp_eq_u32_e64 s[24:25], 0, v1
	v_add3_u32 v31, v31, v70, v69
	v_cndmask_b32_e64 v30, 0, v30, s[24:25]
	v_add3_u32 v31, v31, v68, v1
	v_add_u32_e32 v30, v30, v97
	v_mbcnt_hi_u32_b32 v35, -1, v100
	v_and_b32_e32 v32, 15, v35
	v_mov_b32_dpp v36, v30 row_shr:1 row_mask:0xf bank_mask:0xf
	v_cmp_eq_u32_e64 s[24:25], 0, v31
	v_mov_b32_dpp v33, v31 row_shr:1 row_mask:0xf bank_mask:0xf
	v_cndmask_b32_e64 v36, 0, v36, s[24:25]
	v_cmp_eq_u32_e64 s[24:25], 0, v32
	v_cndmask_b32_e64 v33, v33, 0, s[24:25]
	v_add_u32_e32 v31, v33, v31
	v_cndmask_b32_e64 v33, v36, 0, s[24:25]
	v_add_u32_e32 v30, v33, v30
	v_cmp_eq_u32_e64 s[24:25], 0, v31
	v_mov_b32_dpp v33, v31 row_shr:2 row_mask:0xf bank_mask:0xf
	v_cmp_lt_u32_e64 s[26:27], 1, v32
	v_mov_b32_dpp v36, v30 row_shr:2 row_mask:0xf bank_mask:0xf
	v_cndmask_b32_e64 v33, 0, v33, s[26:27]
	s_and_b64 s[24:25], s[26:27], s[24:25]
	v_cndmask_b32_e64 v36, 0, v36, s[24:25]
	v_add_u32_e32 v31, v31, v33
	v_add_u32_e32 v30, v36, v30
	v_cmp_eq_u32_e64 s[24:25], 0, v31
	v_mov_b32_dpp v33, v31 row_shr:4 row_mask:0xf bank_mask:0xf
	v_cmp_lt_u32_e64 s[26:27], 3, v32
	v_mov_b32_dpp v36, v30 row_shr:4 row_mask:0xf bank_mask:0xf
	v_cndmask_b32_e64 v33, 0, v33, s[26:27]
	s_and_b64 s[24:25], s[26:27], s[24:25]
	v_cndmask_b32_e64 v36, 0, v36, s[24:25]
	v_add_u32_e32 v31, v33, v31
	v_add_u32_e32 v30, v30, v36
	v_cmp_eq_u32_e64 s[24:25], 0, v31
	v_cmp_lt_u32_e64 s[26:27], 7, v32
	v_mov_b32_dpp v33, v31 row_shr:8 row_mask:0xf bank_mask:0xf
	v_mov_b32_dpp v36, v30 row_shr:8 row_mask:0xf bank_mask:0xf
	s_and_b64 s[24:25], s[26:27], s[24:25]
	v_cndmask_b32_e64 v32, 0, v33, s[26:27]
	v_cndmask_b32_e64 v33, 0, v36, s[24:25]
	v_add_u32_e32 v30, v33, v30
	v_add_u32_e32 v31, v32, v31
	v_bfe_i32 v36, v35, 4, 1
	v_mov_b32_dpp v33, v30 row_bcast:15 row_mask:0xf bank_mask:0xf
	v_mov_b32_dpp v32, v31 row_bcast:15 row_mask:0xf bank_mask:0xf
	v_cmp_eq_u32_e64 s[24:25], 0, v31
	v_cndmask_b32_e64 v33, 0, v33, s[24:25]
	v_and_b32_e32 v32, v36, v32
	v_add_u32_e32 v31, v32, v31
	v_and_b32_e32 v32, v36, v33
	v_add_u32_e32 v32, v32, v30
	v_mov_b32_dpp v30, v31 row_bcast:31 row_mask:0xf bank_mask:0xf
	v_cmp_eq_u32_e64 s[24:25], 0, v31
	v_cmp_lt_u32_e64 s[26:27], 31, v35
	v_mov_b32_dpp v33, v32 row_bcast:31 row_mask:0xf bank_mask:0xf
	v_cndmask_b32_e64 v30, 0, v30, s[26:27]
	s_and_b64 s[24:25], s[26:27], s[24:25]
	v_add_u32_e32 v30, v30, v31
	v_cndmask_b32_e64 v31, 0, v33, s[24:25]
	v_add_u32_e32 v31, v31, v32
	v_cmp_eq_u32_e64 s[24:25], v99, v0
	s_and_saveexec_b64 s[26:27], s[24:25]
	s_cbranch_execz .LBB717_109
; %bb.108:
	v_lshlrev_b32_e32 v32, 3, v98
	ds_write_b64 v32, v[30:31] offset:4112
.LBB717_109:
	s_or_b64 exec, exec, s[26:27]
	v_cmp_gt_u32_e64 s[24:25], 4, v0
	s_waitcnt lgkmcnt(0)
	s_barrier
	s_and_saveexec_b64 s[28:29], s[24:25]
	s_cbranch_execz .LBB717_111
; %bb.110:
	v_lshlrev_b32_e32 v36, 3, v0
	ds_read_b64 v[32:33], v36 offset:4112
	v_and_b32_e32 v37, 3, v35
	v_cmp_lt_u32_e64 s[26:27], 1, v37
	s_waitcnt lgkmcnt(0)
	v_mov_b32_dpp v39, v33 row_shr:1 row_mask:0xf bank_mask:0xf
	v_cmp_eq_u32_e64 s[24:25], 0, v32
	v_mov_b32_dpp v38, v32 row_shr:1 row_mask:0xf bank_mask:0xf
	v_cndmask_b32_e64 v39, 0, v39, s[24:25]
	v_cmp_eq_u32_e64 s[24:25], 0, v37
	v_cndmask_b32_e64 v38, v38, 0, s[24:25]
	v_add_u32_e32 v32, v38, v32
	v_cndmask_b32_e64 v38, v39, 0, s[24:25]
	v_add_u32_e32 v33, v38, v33
	v_cmp_eq_u32_e64 s[24:25], 0, v32
	v_mov_b32_dpp v38, v32 row_shr:2 row_mask:0xf bank_mask:0xf
	v_mov_b32_dpp v39, v33 row_shr:2 row_mask:0xf bank_mask:0xf
	v_cndmask_b32_e64 v37, 0, v38, s[26:27]
	s_and_b64 s[24:25], s[26:27], s[24:25]
	v_add_u32_e32 v32, v37, v32
	v_cndmask_b32_e64 v37, 0, v39, s[24:25]
	v_add_u32_e32 v33, v37, v33
	ds_write_b64 v36, v[32:33] offset:4112
.LBB717_111:
	s_or_b64 exec, exec, s[28:29]
	v_cmp_lt_u32_e64 s[24:25], 63, v0
	v_mov_b32_e32 v36, 0
	v_mov_b32_e32 v32, 0
	s_waitcnt vmcnt(0)
	v_mov_b32_e32 v33, v34
	s_waitcnt lgkmcnt(0)
	s_barrier
	s_and_saveexec_b64 s[26:27], s[24:25]
	s_cbranch_execz .LBB717_113
; %bb.112:
	v_lshlrev_b32_e32 v32, 3, v98
	ds_read_b64 v[32:33], v32 offset:4104
	s_waitcnt lgkmcnt(0)
	v_cmp_eq_u32_e64 s[24:25], 0, v32
	v_cndmask_b32_e64 v37, 0, v34, s[24:25]
	v_add_u32_e32 v33, v37, v33
.LBB717_113:
	s_or_b64 exec, exec, s[26:27]
	v_cmp_eq_u32_e64 s[24:25], 0, v30
	v_add_u32_e32 v37, v32, v30
	v_cndmask_b32_e64 v30, 0, v33, s[24:25]
	v_add_u32_e32 v30, v30, v31
	v_add_u32_e32 v31, -1, v35
	v_and_b32_e32 v38, 64, v35
	v_cmp_lt_i32_e64 s[24:25], v31, v38
	v_cndmask_b32_e64 v31, v31, v35, s[24:25]
	v_lshlrev_b32_e32 v31, 2, v31
	ds_bpermute_b32 v37, v31, v37
	ds_bpermute_b32 v30, v31, v30
	v_cmp_eq_u32_e64 s[24:25], 0, v35
	v_cmp_eq_u32_e64 s[26:27], 0, v96
	s_waitcnt lgkmcnt(1)
	v_cndmask_b32_e64 v31, v37, v32, s[24:25]
	s_waitcnt lgkmcnt(0)
	v_cndmask_b32_e64 v30, v30, v33, s[24:25]
	v_cmp_eq_u32_e64 s[24:25], 0, v0
	v_cndmask_b32_e64 v67, v30, v34, s[24:25]
	v_cndmask_b32_e64 v30, 0, v67, s[26:27]
	v_add_u32_e32 v65, v30, v95
	v_cndmask_b32_e64 v30, 0, v65, s[0:1]
	v_add_u32_e32 v63, v30, v94
	;; [unrolled: 2-line block ×8, first 2 shown]
	v_cndmask_b32_e64 v66, v31, 0, s[24:25]
	v_cndmask_b32_e64 v30, 0, v51, s[14:15]
	v_add_u32_e32 v64, v66, v96
	v_add_u32_e32 v49, v30, v93
	v_add_u32_e32 v62, v64, v80
	v_cndmask_b32_e64 v30, 0, v49, s[16:17]
	v_add_u32_e32 v60, v62, v79
	v_add_u32_e32 v45, v30, v91
	v_add_u32_e32 v58, v60, v78
	;; [unrolled: 4-line block ×3, first 2 shown]
	v_cndmask_b32_e64 v30, 0, v43, s[20:21]
	v_add_u32_e32 v52, v54, v75
	v_add_u32_e32 v41, v30, v87
	ds_read_b64 v[30:31], v36 offset:4136
	v_add_u32_e32 v50, v52, v74
	v_add_u32_e32 v48, v50, v73
	;; [unrolled: 1-line block ×3, first 2 shown]
	v_cndmask_b32_e64 v32, 0, v41, s[22:23]
	v_add_u32_e32 v42, v44, v71
	v_add_u32_e32 v39, v32, v82
	;; [unrolled: 1-line block ×3, first 2 shown]
	v_cndmask_b32_e32 v32, 0, v39, vcc
	s_waitcnt lgkmcnt(0)
	v_cmp_eq_u32_e32 vcc, 0, v30
	v_add_u32_e32 v38, v40, v69
	v_add_u32_e32 v37, v32, v81
	v_cndmask_b32_e32 v32, 0, v34, vcc
	v_add_u32_e32 v36, v38, v68
	v_add_u32_e32 v85, v32, v31
	s_and_saveexec_b64 s[0:1], s[24:25]
	s_cbranch_execz .LBB717_115
; %bb.114:
	s_add_u32 s2, s44, 0x400
	v_and_b32_e32 v31, 0xff000000, v85
	v_and_b32_e32 v32, 0xff0000, v85
	s_addc_u32 s3, s45, 0
	v_or_b32_e32 v31, v32, v31
	v_and_b32_e32 v32, 0xff00, v85
	v_and_b32_e32 v34, 0xff, v85
	v_mov_b32_e32 v33, 0
	v_or3_b32 v31, v31, v32, v34
	v_mov_b32_e32 v32, 2
	v_pk_mov_b32 v[34:35], s[2:3], s[2:3] op_sel:[0,1]
	;;#ASMSTART
	global_store_dwordx4 v[34:35], v[30:33] off	
s_waitcnt vmcnt(0)
	;;#ASMEND
.LBB717_115:
	s_or_b64 exec, exec, s[0:1]
	v_mov_b32_e32 v32, 0
.LBB717_116:
	s_and_b64 s[0:1], s[38:39], exec
	s_cselect_b32 s1, 0, s59
	s_cselect_b32 s0, 0, s58
	s_cmp_eq_u64 s[0:1], 0
	v_pk_mov_b32 v[34:35], 0, 0
	s_barrier
	s_cbranch_scc1 .LBB717_118
; %bb.117:
	v_mov_b32_e32 v31, 0
	global_load_dwordx2 v[34:35], v31, s[0:1]
.LBB717_118:
	s_waitcnt vmcnt(0)
	v_lshlrev_b64 v[82:83], 3, v[34:35]
	v_mov_b32_e32 v31, s43
	v_add_co_u32_e32 v81, vcc, s42, v82
	v_mov_b32_e32 v33, 0
	v_addc_co_u32_e32 v84, vcc, v31, v83, vcc
	v_lshlrev_b64 v[82:83], 3, v[32:33]
	v_add_co_u32_e32 v31, vcc, v81, v82
	v_addc_co_u32_e32 v81, vcc, v84, v83, vcc
	v_cmp_eq_u32_e32 vcc, 0, v96
	v_cndmask_b32_e64 v82, 1, 2, vcc
	v_cmp_eq_u32_e32 vcc, 0, v80
	v_cndmask_b32_e64 v83, 1, 2, vcc
	v_cmp_eq_u32_e32 vcc, 0, v79
	v_and_b32_e32 v82, v83, v82
	v_cndmask_b32_e64 v83, 1, 2, vcc
	v_cmp_eq_u32_e32 vcc, 0, v78
	v_and_b32_e32 v82, v82, v83
	;; [unrolled: 3-line block ×13, first 2 shown]
	v_cndmask_b32_e64 v83, 1, 2, vcc
	s_movk_i32 s30, 0x100
	v_and_b32_e32 v82, v82, v83
	v_cmp_gt_u32_e32 vcc, s30, v30
	v_cmp_ne_u32_e64 s[28:29], 0, v96
	v_cmp_ne_u32_e64 s[26:27], 0, v80
	;; [unrolled: 1-line block ×15, first 2 shown]
	s_mov_b64 s[38:39], -1
	v_cmp_gt_i16_e64 s[30:31], 2, v82
	s_cbranch_vccz .LBB717_167
; %bb.119:
	s_and_saveexec_b64 s[38:39], s[30:31]
	s_cbranch_execz .LBB717_166
; %bb.120:
	v_cmp_ne_u16_e32 vcc, 1, v82
	s_mov_b64 s[40:41], 0
	s_and_saveexec_b64 s[30:31], vcc
	s_xor_b64 s[30:31], exec, s[30:31]
	s_cbranch_execz .LBB717_144
; %bb.121:
	s_and_saveexec_b64 s[40:41], s[28:29]
	s_cbranch_execz .LBB717_149
; %bb.122:
	v_sub_u32_e32 v86, v66, v32
	v_mov_b32_e32 v87, 0
	v_lshlrev_b64 v[86:87], 3, v[86:87]
	v_add_co_u32_e32 v86, vcc, v31, v86
	v_addc_co_u32_e32 v87, vcc, v81, v87, vcc
	global_store_dwordx2 v[86:87], v[26:27], off
	s_or_b64 exec, exec, s[40:41]
	s_and_saveexec_b64 s[40:41], s[26:27]
	s_cbranch_execnz .LBB717_150
.LBB717_123:
	s_or_b64 exec, exec, s[40:41]
	s_and_saveexec_b64 s[40:41], s[24:25]
	s_cbranch_execz .LBB717_151
.LBB717_124:
	v_sub_u32_e32 v86, v62, v32
	v_mov_b32_e32 v87, 0
	v_lshlrev_b64 v[86:87], 3, v[86:87]
	v_add_co_u32_e32 v86, vcc, v31, v86
	v_addc_co_u32_e32 v87, vcc, v81, v87, vcc
	global_store_dwordx2 v[86:87], v[22:23], off
	s_or_b64 exec, exec, s[40:41]
	s_and_saveexec_b64 s[40:41], s[22:23]
	s_cbranch_execnz .LBB717_152
.LBB717_125:
	s_or_b64 exec, exec, s[40:41]
	s_and_saveexec_b64 s[40:41], s[20:21]
	s_cbranch_execz .LBB717_153
.LBB717_126:
	v_sub_u32_e32 v86, v58, v32
	v_mov_b32_e32 v87, 0
	v_lshlrev_b64 v[86:87], 3, v[86:87]
	v_add_co_u32_e32 v86, vcc, v31, v86
	v_addc_co_u32_e32 v87, vcc, v81, v87, vcc
	global_store_dwordx2 v[86:87], v[18:19], off
	s_or_b64 exec, exec, s[40:41]
	s_and_saveexec_b64 s[40:41], s[18:19]
	s_cbranch_execnz .LBB717_154
.LBB717_127:
	s_or_b64 exec, exec, s[40:41]
	s_and_saveexec_b64 s[40:41], s[16:17]
	s_cbranch_execz .LBB717_155
.LBB717_128:
	v_sub_u32_e32 v86, v54, v32
	v_mov_b32_e32 v87, 0
	v_lshlrev_b64 v[86:87], 3, v[86:87]
	v_add_co_u32_e32 v86, vcc, v31, v86
	v_addc_co_u32_e32 v87, vcc, v81, v87, vcc
	global_store_dwordx2 v[86:87], v[14:15], off
	s_or_b64 exec, exec, s[40:41]
	s_and_saveexec_b64 s[40:41], s[14:15]
	s_cbranch_execnz .LBB717_156
.LBB717_129:
	s_or_b64 exec, exec, s[40:41]
	s_and_saveexec_b64 s[40:41], s[12:13]
	s_cbranch_execz .LBB717_157
.LBB717_130:
	v_sub_u32_e32 v86, v50, v32
	v_mov_b32_e32 v87, 0
	v_lshlrev_b64 v[86:87], 3, v[86:87]
	v_add_co_u32_e32 v86, vcc, v31, v86
	v_addc_co_u32_e32 v87, vcc, v81, v87, vcc
	global_store_dwordx2 v[86:87], v[10:11], off
	s_or_b64 exec, exec, s[40:41]
	s_and_saveexec_b64 s[40:41], s[10:11]
	s_cbranch_execnz .LBB717_158
.LBB717_131:
	s_or_b64 exec, exec, s[40:41]
	s_and_saveexec_b64 s[40:41], s[8:9]
	s_cbranch_execz .LBB717_159
.LBB717_132:
	v_sub_u32_e32 v86, v44, v32
	v_mov_b32_e32 v87, 0
	v_lshlrev_b64 v[86:87], 3, v[86:87]
	v_add_co_u32_e32 v86, vcc, v31, v86
	v_addc_co_u32_e32 v87, vcc, v81, v87, vcc
	global_store_dwordx2 v[86:87], v[6:7], off
	s_or_b64 exec, exec, s[40:41]
	s_and_saveexec_b64 s[40:41], s[6:7]
	s_cbranch_execnz .LBB717_160
.LBB717_133:
	s_or_b64 exec, exec, s[40:41]
	s_and_saveexec_b64 s[40:41], s[4:5]
	s_cbranch_execz .LBB717_161
.LBB717_134:
	v_sub_u32_e32 v86, v40, v32
	v_mov_b32_e32 v87, 0
	v_lshlrev_b64 v[86:87], 3, v[86:87]
	v_add_co_u32_e32 v86, vcc, v31, v86
	v_addc_co_u32_e32 v87, vcc, v81, v87, vcc
	global_store_dwordx2 v[86:87], v[2:3], off
	s_or_b64 exec, exec, s[40:41]
	s_and_saveexec_b64 s[40:41], s[2:3]
	s_cbranch_execnz .LBB717_162
	s_branch .LBB717_163
.LBB717_135:
                                        ; implicit-def: $sgpr0_sgpr1
                                        ; implicit-def: $vgpr1
                                        ; implicit-def: $vgpr68
                                        ; implicit-def: $vgpr69
                                        ; implicit-def: $vgpr70
                                        ; implicit-def: $vgpr71
                                        ; implicit-def: $vgpr72
                                        ; implicit-def: $vgpr73
                                        ; implicit-def: $vgpr74
                                        ; implicit-def: $vgpr75
                                        ; implicit-def: $vgpr76
                                        ; implicit-def: $vgpr77
                                        ; implicit-def: $vgpr78
                                        ; implicit-def: $vgpr79
                                        ; implicit-def: $vgpr80
	s_cbranch_execz .LBB717_69
; %bb.136:
	v_cmp_ne_u64_e32 vcc, v[28:29], v[30:31]
	v_cndmask_b32_e64 v80, 0, 1, vcc
	v_cmp_ne_u64_e32 vcc, v[28:29], v[32:33]
	v_cndmask_b32_e64 v79, 0, 1, vcc
	;; [unrolled: 2-line block ×13, first 2 shown]
	v_cmp_ne_u64_e32 vcc, v[4:5], v[46:47]
	v_lshlrev_b32_e32 v44, 3, v0
	v_cndmask_b32_e64 v1, 0, 1, vcc
	v_cmp_ne_u32_e32 vcc, 0, v0
	ds_write_b64 v44, v[46:47]
	s_waitcnt lgkmcnt(0)
	s_barrier
	s_waitcnt lgkmcnt(0)
                                        ; implicit-def: $sgpr0_sgpr1
	s_and_saveexec_b64 s[4:5], vcc
	s_xor_b64 s[4:5], exec, s[4:5]
	s_cbranch_execz .LBB717_138
; %bb.137:
	v_add_u32_e32 v30, -8, v44
	ds_read_b64 v[30:31], v30
	s_or_b64 s[2:3], s[2:3], exec
	s_waitcnt lgkmcnt(0)
	v_cmp_ne_u64_e32 vcc, v[30:31], v[26:27]
	s_and_b64 s[0:1], vcc, exec
.LBB717_138:
	s_or_b64 exec, exec, s[4:5]
	s_mov_b32 s10, 1
	s_branch .LBB717_71
.LBB717_139:
	s_mul_hi_u32 s1, s38, 0xfffff100
	s_mul_i32 s0, s39, 0xfffff100
	s_sub_i32 s1, s1, s38
	s_add_i32 s1, s1, s0
	s_mul_i32 s0, s38, 0xfffff100
	s_add_u32 s4, s0, s56
	s_addc_u32 s5, s1, s57
	s_and_b64 vcc, exec, s[30:31]
	s_cbranch_vccz .LBB717_146
; %bb.140:
	v_mov_b32_e32 v1, s48
	v_add_co_u32_e64 v30, vcc, -8, s7
	v_addc_co_u32_e32 v31, vcc, -1, v1, vcc
	flat_load_dwordx2 v[30:31], v[30:31]
	v_mad_u32_u24 v34, v0, 15, 14
	v_mov_b32_e32 v35, 0
	v_cmp_gt_u64_e32 vcc, s[4:5], v[34:35]
	v_cmp_ne_u64_e64 s[0:1], v[4:5], v[46:47]
	v_mad_u32_u24 v34, v0, 15, 13
	s_and_b64 s[2:3], vcc, s[0:1]
	v_cmp_gt_u64_e32 vcc, s[4:5], v[34:35]
	v_cmp_ne_u64_e64 s[0:1], v[2:3], v[4:5]
	v_mad_u32_u24 v34, v0, 15, 12
	s_and_b64 s[8:9], vcc, s[0:1]
	;; [unrolled: 4-line block ×13, first 2 shown]
	v_cmp_gt_u64_e32 vcc, s[4:5], v[34:35]
	v_cmp_ne_u64_e64 s[0:1], v[26:27], v[28:29]
	v_lshlrev_b32_e32 v1, 3, v0
	v_mul_u32_u24_e32 v32, 15, v0
	s_and_b64 s[0:1], vcc, s[0:1]
	v_cmp_ne_u32_e32 vcc, 0, v0
	ds_write_b64 v1, v[46:47]
	s_waitcnt lgkmcnt(0)
	s_barrier
	s_and_saveexec_b64 s[38:39], vcc
	s_cbranch_execz .LBB717_142
; %bb.141:
	v_add_u32_e32 v1, -8, v1
	s_waitcnt vmcnt(0)
	ds_read_b64 v[30:31], v1
.LBB717_142:
	s_or_b64 exec, exec, s[38:39]
	v_mov_b32_e32 v33, v35
	v_cndmask_b32_e64 v80, 0, 1, s[0:1]
	v_cmp_gt_u64_e32 vcc, s[4:5], v[32:33]
	s_waitcnt vmcnt(0) lgkmcnt(0)
	v_cmp_ne_u64_e64 s[0:1], v[30:31], v[26:27]
	v_cndmask_b32_e64 v1, 0, 1, s[2:3]
	v_cndmask_b32_e64 v68, 0, 1, s[8:9]
	;; [unrolled: 1-line block ×13, first 2 shown]
	s_and_b64 s[0:1], vcc, s[0:1]
	s_mov_b64 s[2:3], -1
.LBB717_143:
                                        ; implicit-def: $sgpr10
	v_mov_b32_e32 v96, s10
	s_and_saveexec_b64 s[4:5], s[2:3]
	s_cbranch_execnz .LBB717_72
	s_branch .LBB717_73
.LBB717_144:
	s_andn2_saveexec_b64 s[30:31], s[30:31]
	s_cbranch_execz .LBB717_164
.LBB717_145:
	v_sub_u32_e32 v86, v66, v32
	v_mov_b32_e32 v87, 0
	v_lshlrev_b64 v[88:89], 3, v[86:87]
	v_add_co_u32_e32 v88, vcc, v31, v88
	v_addc_co_u32_e32 v89, vcc, v81, v89, vcc
	v_sub_u32_e32 v86, v64, v32
	global_store_dwordx2 v[88:89], v[26:27], off
	v_lshlrev_b64 v[88:89], 3, v[86:87]
	v_add_co_u32_e32 v88, vcc, v31, v88
	v_addc_co_u32_e32 v89, vcc, v81, v89, vcc
	v_sub_u32_e32 v86, v62, v32
	global_store_dwordx2 v[88:89], v[28:29], off
	;; [unrolled: 5-line block ×12, first 2 shown]
	v_lshlrev_b64 v[88:89], 3, v[86:87]
	v_add_co_u32_e32 v88, vcc, v31, v88
	v_sub_u32_e32 v86, v38, v32
	v_addc_co_u32_e32 v89, vcc, v81, v89, vcc
	v_lshlrev_b64 v[86:87], 3, v[86:87]
	v_add_co_u32_e32 v86, vcc, v31, v86
	v_addc_co_u32_e32 v87, vcc, v81, v87, vcc
	s_or_b64 s[40:41], s[40:41], exec
	global_store_dwordx2 v[88:89], v[2:3], off
	global_store_dwordx2 v[86:87], v[4:5], off
	s_or_b64 exec, exec, s[30:31]
	s_and_b64 exec, exec, s[40:41]
	s_cbranch_execnz .LBB717_165
	s_branch .LBB717_166
.LBB717_146:
                                        ; implicit-def: $sgpr0_sgpr1
                                        ; implicit-def: $vgpr1
                                        ; implicit-def: $vgpr68
                                        ; implicit-def: $vgpr69
                                        ; implicit-def: $vgpr70
                                        ; implicit-def: $vgpr71
                                        ; implicit-def: $vgpr72
                                        ; implicit-def: $vgpr73
                                        ; implicit-def: $vgpr74
                                        ; implicit-def: $vgpr75
                                        ; implicit-def: $vgpr76
                                        ; implicit-def: $vgpr77
                                        ; implicit-def: $vgpr78
                                        ; implicit-def: $vgpr79
                                        ; implicit-def: $vgpr80
	s_cbranch_execz .LBB717_143
; %bb.147:
	v_mad_u32_u24 v30, v0, 15, 14
	v_mov_b32_e32 v31, 0
	v_cmp_gt_u64_e32 vcc, s[4:5], v[30:31]
	v_cmp_ne_u64_e64 s[0:1], v[4:5], v[46:47]
	s_and_b64 s[0:1], vcc, s[0:1]
	v_mad_u32_u24 v30, v0, 15, 13
	v_cndmask_b32_e64 v1, 0, 1, s[0:1]
	v_cmp_gt_u64_e32 vcc, s[4:5], v[30:31]
	v_cmp_ne_u64_e64 s[0:1], v[2:3], v[4:5]
	s_and_b64 s[0:1], vcc, s[0:1]
	v_mad_u32_u24 v30, v0, 15, 12
	v_cndmask_b32_e64 v68, 0, 1, s[0:1]
	;; [unrolled: 5-line block ×13, first 2 shown]
	v_cmp_gt_u64_e32 vcc, s[4:5], v[30:31]
	v_cmp_ne_u64_e64 s[0:1], v[26:27], v[28:29]
	s_and_b64 s[0:1], vcc, s[0:1]
	v_lshlrev_b32_e32 v32, 3, v0
	s_mov_b32 s10, 1
	v_cndmask_b32_e64 v80, 0, 1, s[0:1]
	v_cmp_ne_u32_e32 vcc, 0, v0
	ds_write_b64 v32, v[46:47]
	s_waitcnt lgkmcnt(0)
	s_barrier
	s_waitcnt lgkmcnt(0)
                                        ; implicit-def: $sgpr0_sgpr1
	s_and_saveexec_b64 s[8:9], vcc
	s_cbranch_execz .LBB717_186
; %bb.148:
	v_add_u32_e32 v30, -8, v32
	ds_read_b64 v[32:33], v30
	v_mul_u32_u24_e32 v30, 15, v0
	v_cmp_gt_u64_e32 vcc, s[4:5], v[30:31]
	s_or_b64 s[2:3], s[2:3], exec
	s_waitcnt lgkmcnt(0)
	v_cmp_ne_u64_e64 s[0:1], v[32:33], v[26:27]
	s_and_b64 s[0:1], vcc, s[0:1]
	s_and_b64 s[0:1], s[0:1], exec
	s_or_b64 exec, exec, s[8:9]
	v_mov_b32_e32 v96, s10
	s_and_saveexec_b64 s[4:5], s[2:3]
	s_cbranch_execz .LBB717_73
	s_branch .LBB717_72
.LBB717_149:
	s_or_b64 exec, exec, s[40:41]
	s_and_saveexec_b64 s[40:41], s[26:27]
	s_cbranch_execz .LBB717_123
.LBB717_150:
	v_sub_u32_e32 v86, v64, v32
	v_mov_b32_e32 v87, 0
	v_lshlrev_b64 v[86:87], 3, v[86:87]
	v_add_co_u32_e32 v86, vcc, v31, v86
	v_addc_co_u32_e32 v87, vcc, v81, v87, vcc
	global_store_dwordx2 v[86:87], v[28:29], off
	s_or_b64 exec, exec, s[40:41]
	s_and_saveexec_b64 s[40:41], s[24:25]
	s_cbranch_execnz .LBB717_124
.LBB717_151:
	s_or_b64 exec, exec, s[40:41]
	s_and_saveexec_b64 s[40:41], s[22:23]
	s_cbranch_execz .LBB717_125
.LBB717_152:
	v_sub_u32_e32 v86, v60, v32
	v_mov_b32_e32 v87, 0
	v_lshlrev_b64 v[86:87], 3, v[86:87]
	v_add_co_u32_e32 v86, vcc, v31, v86
	v_addc_co_u32_e32 v87, vcc, v81, v87, vcc
	global_store_dwordx2 v[86:87], v[24:25], off
	s_or_b64 exec, exec, s[40:41]
	s_and_saveexec_b64 s[40:41], s[20:21]
	s_cbranch_execnz .LBB717_126
.LBB717_153:
	s_or_b64 exec, exec, s[40:41]
	s_and_saveexec_b64 s[40:41], s[18:19]
	s_cbranch_execz .LBB717_127
.LBB717_154:
	v_sub_u32_e32 v86, v56, v32
	v_mov_b32_e32 v87, 0
	v_lshlrev_b64 v[86:87], 3, v[86:87]
	v_add_co_u32_e32 v86, vcc, v31, v86
	v_addc_co_u32_e32 v87, vcc, v81, v87, vcc
	global_store_dwordx2 v[86:87], v[20:21], off
	s_or_b64 exec, exec, s[40:41]
	s_and_saveexec_b64 s[40:41], s[16:17]
	s_cbranch_execnz .LBB717_128
.LBB717_155:
	s_or_b64 exec, exec, s[40:41]
	s_and_saveexec_b64 s[40:41], s[14:15]
	s_cbranch_execz .LBB717_129
.LBB717_156:
	v_sub_u32_e32 v86, v52, v32
	v_mov_b32_e32 v87, 0
	v_lshlrev_b64 v[86:87], 3, v[86:87]
	v_add_co_u32_e32 v86, vcc, v31, v86
	v_addc_co_u32_e32 v87, vcc, v81, v87, vcc
	global_store_dwordx2 v[86:87], v[16:17], off
	s_or_b64 exec, exec, s[40:41]
	s_and_saveexec_b64 s[40:41], s[12:13]
	s_cbranch_execnz .LBB717_130
.LBB717_157:
	s_or_b64 exec, exec, s[40:41]
	s_and_saveexec_b64 s[40:41], s[10:11]
	s_cbranch_execz .LBB717_131
.LBB717_158:
	v_sub_u32_e32 v86, v48, v32
	v_mov_b32_e32 v87, 0
	v_lshlrev_b64 v[86:87], 3, v[86:87]
	v_add_co_u32_e32 v86, vcc, v31, v86
	v_addc_co_u32_e32 v87, vcc, v81, v87, vcc
	global_store_dwordx2 v[86:87], v[12:13], off
	s_or_b64 exec, exec, s[40:41]
	s_and_saveexec_b64 s[40:41], s[8:9]
	s_cbranch_execnz .LBB717_132
.LBB717_159:
	s_or_b64 exec, exec, s[40:41]
	s_and_saveexec_b64 s[40:41], s[6:7]
	s_cbranch_execz .LBB717_133
.LBB717_160:
	v_sub_u32_e32 v86, v42, v32
	v_mov_b32_e32 v87, 0
	v_lshlrev_b64 v[86:87], 3, v[86:87]
	v_add_co_u32_e32 v86, vcc, v31, v86
	v_addc_co_u32_e32 v87, vcc, v81, v87, vcc
	global_store_dwordx2 v[86:87], v[8:9], off
	s_or_b64 exec, exec, s[40:41]
	s_and_saveexec_b64 s[40:41], s[4:5]
	s_cbranch_execnz .LBB717_134
.LBB717_161:
	s_or_b64 exec, exec, s[40:41]
	s_and_saveexec_b64 s[40:41], s[2:3]
	s_cbranch_execz .LBB717_163
.LBB717_162:
	v_sub_u32_e32 v86, v38, v32
	v_mov_b32_e32 v87, 0
	v_lshlrev_b64 v[86:87], 3, v[86:87]
	v_add_co_u32_e32 v86, vcc, v31, v86
	v_addc_co_u32_e32 v87, vcc, v81, v87, vcc
	global_store_dwordx2 v[86:87], v[4:5], off
.LBB717_163:
	s_or_b64 exec, exec, s[40:41]
	s_and_b64 s[40:41], s[0:1], exec
	s_andn2_saveexec_b64 s[30:31], s[30:31]
	s_cbranch_execnz .LBB717_145
.LBB717_164:
	s_or_b64 exec, exec, s[30:31]
	s_and_b64 exec, exec, s[40:41]
	s_cbranch_execz .LBB717_166
.LBB717_165:
	v_sub_u32_e32 v86, v36, v32
	v_mov_b32_e32 v87, 0
	v_lshlrev_b64 v[86:87], 3, v[86:87]
	v_add_co_u32_e32 v86, vcc, v31, v86
	v_addc_co_u32_e32 v87, vcc, v81, v87, vcc
	global_store_dwordx2 v[86:87], v[46:47], off
.LBB717_166:
	s_or_b64 exec, exec, s[38:39]
	s_mov_b64 s[38:39], 0
.LBB717_167:
	s_and_b64 vcc, exec, s[38:39]
	s_cbranch_vccz .LBB717_208
; %bb.168:
	v_cmp_gt_i16_e32 vcc, 2, v82
	s_and_saveexec_b64 s[30:31], vcc
	s_cbranch_execz .LBB717_204
; %bb.169:
	v_cmp_ne_u16_e32 vcc, 1, v82
	s_mov_b64 s[40:41], 0
	s_and_saveexec_b64 s[38:39], vcc
	s_xor_b64 s[38:39], exec, s[38:39]
	s_cbranch_execz .LBB717_184
; %bb.170:
	s_and_saveexec_b64 s[40:41], s[28:29]
	s_cbranch_execz .LBB717_187
; %bb.171:
	v_sub_u32_e32 v82, v66, v32
	v_lshlrev_b32_e32 v82, 3, v82
	ds_write_b64 v82, v[26:27]
	s_or_b64 exec, exec, s[40:41]
	s_and_saveexec_b64 s[28:29], s[26:27]
	s_cbranch_execnz .LBB717_188
.LBB717_172:
	s_or_b64 exec, exec, s[28:29]
	s_and_saveexec_b64 s[26:27], s[24:25]
	s_cbranch_execz .LBB717_189
.LBB717_173:
	v_sub_u32_e32 v26, v62, v32
	v_lshlrev_b32_e32 v26, 3, v26
	ds_write_b64 v26, v[22:23]
	s_or_b64 exec, exec, s[26:27]
	s_and_saveexec_b64 s[24:25], s[22:23]
	s_cbranch_execnz .LBB717_190
.LBB717_174:
	s_or_b64 exec, exec, s[24:25]
	s_and_saveexec_b64 s[22:23], s[20:21]
	s_cbranch_execz .LBB717_191
.LBB717_175:
	v_sub_u32_e32 v22, v58, v32
	v_lshlrev_b32_e32 v22, 3, v22
	ds_write_b64 v22, v[18:19]
	s_or_b64 exec, exec, s[22:23]
	s_and_saveexec_b64 s[20:21], s[18:19]
	s_cbranch_execnz .LBB717_192
.LBB717_176:
	s_or_b64 exec, exec, s[20:21]
	s_and_saveexec_b64 s[18:19], s[16:17]
	s_cbranch_execz .LBB717_193
.LBB717_177:
	v_sub_u32_e32 v18, v54, v32
	v_lshlrev_b32_e32 v18, 3, v18
	ds_write_b64 v18, v[14:15]
	s_or_b64 exec, exec, s[18:19]
	s_and_saveexec_b64 s[16:17], s[14:15]
	s_cbranch_execnz .LBB717_194
.LBB717_178:
	s_or_b64 exec, exec, s[16:17]
	s_and_saveexec_b64 s[14:15], s[12:13]
	s_cbranch_execz .LBB717_195
.LBB717_179:
	v_sub_u32_e32 v14, v50, v32
	v_lshlrev_b32_e32 v14, 3, v14
	ds_write_b64 v14, v[10:11]
	s_or_b64 exec, exec, s[14:15]
	s_and_saveexec_b64 s[12:13], s[10:11]
	s_cbranch_execnz .LBB717_196
.LBB717_180:
	s_or_b64 exec, exec, s[12:13]
	s_and_saveexec_b64 s[10:11], s[8:9]
	s_cbranch_execz .LBB717_197
.LBB717_181:
	v_sub_u32_e32 v10, v44, v32
	v_lshlrev_b32_e32 v10, 3, v10
	ds_write_b64 v10, v[6:7]
	s_or_b64 exec, exec, s[10:11]
	s_and_saveexec_b64 s[8:9], s[6:7]
	s_cbranch_execnz .LBB717_198
.LBB717_182:
	s_or_b64 exec, exec, s[8:9]
	s_and_saveexec_b64 s[6:7], s[4:5]
	s_cbranch_execz .LBB717_199
.LBB717_183:
	v_sub_u32_e32 v6, v40, v32
	v_lshlrev_b32_e32 v6, 3, v6
	ds_write_b64 v6, v[2:3]
	s_or_b64 exec, exec, s[6:7]
	s_and_saveexec_b64 s[4:5], s[2:3]
	s_cbranch_execnz .LBB717_200
	s_branch .LBB717_201
.LBB717_184:
	s_andn2_saveexec_b64 s[0:1], s[38:39]
	s_cbranch_execz .LBB717_202
.LBB717_185:
	v_sub_u32_e32 v82, v66, v32
	v_lshlrev_b32_e32 v82, 3, v82
	ds_write_b64 v82, v[26:27]
	v_sub_u32_e32 v26, v64, v32
	v_lshlrev_b32_e32 v26, 3, v26
	ds_write_b64 v26, v[28:29]
	;; [unrolled: 3-line block ×13, first 2 shown]
	v_sub_u32_e32 v2, v38, v32
	v_lshlrev_b32_e32 v2, 3, v2
	s_or_b64 s[40:41], s[40:41], exec
	ds_write_b64 v2, v[4:5]
	s_or_b64 exec, exec, s[0:1]
	s_and_b64 exec, exec, s[40:41]
	s_cbranch_execnz .LBB717_203
	s_branch .LBB717_204
.LBB717_186:
	s_or_b64 exec, exec, s[8:9]
	v_mov_b32_e32 v96, s10
	s_and_saveexec_b64 s[4:5], s[2:3]
	s_cbranch_execnz .LBB717_72
	s_branch .LBB717_73
.LBB717_187:
	s_or_b64 exec, exec, s[40:41]
	s_and_saveexec_b64 s[28:29], s[26:27]
	s_cbranch_execz .LBB717_172
.LBB717_188:
	v_sub_u32_e32 v26, v64, v32
	v_lshlrev_b32_e32 v26, 3, v26
	ds_write_b64 v26, v[28:29]
	s_or_b64 exec, exec, s[28:29]
	s_and_saveexec_b64 s[26:27], s[24:25]
	s_cbranch_execnz .LBB717_173
.LBB717_189:
	s_or_b64 exec, exec, s[26:27]
	s_and_saveexec_b64 s[24:25], s[22:23]
	s_cbranch_execz .LBB717_174
.LBB717_190:
	v_sub_u32_e32 v22, v60, v32
	v_lshlrev_b32_e32 v22, 3, v22
	ds_write_b64 v22, v[24:25]
	s_or_b64 exec, exec, s[24:25]
	s_and_saveexec_b64 s[22:23], s[20:21]
	s_cbranch_execnz .LBB717_175
.LBB717_191:
	s_or_b64 exec, exec, s[22:23]
	s_and_saveexec_b64 s[20:21], s[18:19]
	s_cbranch_execz .LBB717_176
.LBB717_192:
	v_sub_u32_e32 v18, v56, v32
	v_lshlrev_b32_e32 v18, 3, v18
	ds_write_b64 v18, v[20:21]
	s_or_b64 exec, exec, s[20:21]
	s_and_saveexec_b64 s[18:19], s[16:17]
	s_cbranch_execnz .LBB717_177
.LBB717_193:
	s_or_b64 exec, exec, s[18:19]
	s_and_saveexec_b64 s[16:17], s[14:15]
	s_cbranch_execz .LBB717_178
.LBB717_194:
	v_sub_u32_e32 v14, v52, v32
	v_lshlrev_b32_e32 v14, 3, v14
	ds_write_b64 v14, v[16:17]
	s_or_b64 exec, exec, s[16:17]
	s_and_saveexec_b64 s[14:15], s[12:13]
	s_cbranch_execnz .LBB717_179
.LBB717_195:
	s_or_b64 exec, exec, s[14:15]
	s_and_saveexec_b64 s[12:13], s[10:11]
	s_cbranch_execz .LBB717_180
.LBB717_196:
	v_sub_u32_e32 v10, v48, v32
	v_lshlrev_b32_e32 v10, 3, v10
	ds_write_b64 v10, v[12:13]
	s_or_b64 exec, exec, s[12:13]
	s_and_saveexec_b64 s[10:11], s[8:9]
	s_cbranch_execnz .LBB717_181
.LBB717_197:
	s_or_b64 exec, exec, s[10:11]
	s_and_saveexec_b64 s[8:9], s[6:7]
	s_cbranch_execz .LBB717_182
.LBB717_198:
	v_sub_u32_e32 v6, v42, v32
	v_lshlrev_b32_e32 v6, 3, v6
	ds_write_b64 v6, v[8:9]
	s_or_b64 exec, exec, s[8:9]
	s_and_saveexec_b64 s[6:7], s[4:5]
	s_cbranch_execnz .LBB717_183
.LBB717_199:
	s_or_b64 exec, exec, s[6:7]
	s_and_saveexec_b64 s[4:5], s[2:3]
	s_cbranch_execz .LBB717_201
.LBB717_200:
	v_sub_u32_e32 v2, v38, v32
	v_lshlrev_b32_e32 v2, 3, v2
	ds_write_b64 v2, v[4:5]
.LBB717_201:
	s_or_b64 exec, exec, s[4:5]
	s_and_b64 s[40:41], s[0:1], exec
                                        ; implicit-def: $vgpr2_vgpr3
                                        ; implicit-def: $vgpr6_vgpr7
                                        ; implicit-def: $vgpr10_vgpr11
                                        ; implicit-def: $vgpr14_vgpr15
                                        ; implicit-def: $vgpr18_vgpr19
                                        ; implicit-def: $vgpr22_vgpr23
                                        ; implicit-def: $vgpr26_vgpr27
	s_andn2_saveexec_b64 s[0:1], s[38:39]
	s_cbranch_execnz .LBB717_185
.LBB717_202:
	s_or_b64 exec, exec, s[0:1]
	s_and_b64 exec, exec, s[40:41]
	s_cbranch_execz .LBB717_204
.LBB717_203:
	v_sub_u32_e32 v2, v36, v32
	v_lshlrev_b32_e32 v2, 3, v2
	ds_write_b64 v2, v[46:47]
.LBB717_204:
	s_or_b64 exec, exec, s[30:31]
	v_cmp_lt_u32_e32 vcc, v0, v30
	s_waitcnt lgkmcnt(0)
	s_barrier
	s_and_saveexec_b64 s[0:1], vcc
	s_cbranch_execz .LBB717_207
; %bb.205:
	v_lshlrev_b32_e32 v4, 3, v0
	s_mov_b64 s[2:3], 0
	v_mov_b32_e32 v3, 0
	v_mov_b32_e32 v2, v0
.LBB717_206:                            ; =>This Inner Loop Header: Depth=1
	v_lshlrev_b64 v[6:7], 3, v[2:3]
	ds_read_b64 v[8:9], v4
	v_add_co_u32_e32 v6, vcc, v31, v6
	v_add_u32_e32 v2, 0x100, v2
	v_addc_co_u32_e32 v7, vcc, v81, v7, vcc
	v_cmp_ge_u32_e32 vcc, v2, v30
	v_add_u32_e32 v4, 0x800, v4
	s_or_b64 s[2:3], vcc, s[2:3]
	s_waitcnt lgkmcnt(0)
	global_store_dwordx2 v[6:7], v[8:9], off
	s_andn2_b64 exec, exec, s[2:3]
	s_cbranch_execnz .LBB717_206
.LBB717_207:
	s_or_b64 exec, exec, s[0:1]
.LBB717_208:
	s_cmpk_lg_i32 s33, 0xf00
	s_cselect_b64 s[0:1], -1, 0
	v_cndmask_b32_e64 v3, 0, 1, s[36:37]
	s_and_b64 s[0:1], s[34:35], s[0:1]
	v_cmp_eq_u32_e32 vcc, 0, v0
	v_sub_u32_e32 v4, v30, v3
	v_cndmask_b32_e64 v2, 0, 1, s[0:1]
	s_and_b64 s[0:1], vcc, s[36:37]
	v_add_u32_e32 v6, v4, v2
	v_cndmask_b32_e64 v4, v96, 0, s[0:1]
	s_mul_hi_u32 s0, s33, 0x88888889
	s_lshr_b32 s0, s0, 3
	v_mad_i32_i24 v5, v0, -15, s33
	v_cmp_eq_u32_e32 vcc, s0, v0
	v_cmp_ne_u32_e64 s[0:1], 0, v5
	v_cndmask_b32_e64 v7, 1, v4, s[0:1]
	v_cmp_ne_u32_e64 s[0:1], 1, v5
	v_cndmask_b32_e64 v8, 1, v80, s[0:1]
	;; [unrolled: 2-line block ×15, first 2 shown]
	s_and_b64 vcc, s[34:35], vcc
	v_cndmask_b32_e32 v21, v1, v5, vcc
	v_cndmask_b32_e32 v25, v4, v7, vcc
	v_lshlrev_b64 v[4:5], 2, v[34:35]
	v_cndmask_b32_e32 v20, v68, v20, vcc
	v_cndmask_b32_e32 v19, v69, v19, vcc
	v_cndmask_b32_e32 v18, v70, v18, vcc
	v_cndmask_b32_e32 v17, v71, v17, vcc
	v_cndmask_b32_e32 v16, v72, v16, vcc
	v_cndmask_b32_e32 v15, v73, v15, vcc
	v_cndmask_b32_e32 v14, v74, v14, vcc
	v_cndmask_b32_e32 v13, v75, v13, vcc
	v_cndmask_b32_e32 v12, v76, v12, vcc
	v_cndmask_b32_e32 v11, v77, v11, vcc
	v_cndmask_b32_e32 v22, v78, v10, vcc
	v_cndmask_b32_e32 v23, v79, v9, vcc
	v_cndmask_b32_e32 v24, v80, v8, vcc
	v_mov_b32_e32 v1, s53
	v_add_co_u32_e32 v7, vcc, s52, v4
	v_addc_co_u32_e32 v1, vcc, v1, v5, vcc
	v_lshlrev_b64 v[4:5], 2, v[32:33]
	v_add_co_u32_e32 v7, vcc, v7, v4
	v_addc_co_u32_e32 v8, vcc, v1, v5, vcc
	v_lshlrev_b32_e32 v1, 2, v3
	v_add_co_u32_e32 v1, vcc, v1, v7
	v_addc_co_u32_e32 v4, vcc, 0, v8, vcc
	v_add_co_u32_e32 v9, vcc, -4, v1
	v_addc_co_u32_e32 v10, vcc, -1, v4, vcc
	v_cmp_eq_u32_e32 vcc, 0, v25
	v_cndmask_b32_e64 v4, 1, 2, vcc
	v_cmp_eq_u32_e32 vcc, 0, v24
	v_cndmask_b32_e64 v5, 1, 2, vcc
	v_cmp_eq_u32_e32 vcc, 0, v23
	v_and_b32_e32 v4, v5, v4
	v_cndmask_b32_e64 v5, 1, 2, vcc
	v_cmp_eq_u32_e32 vcc, 0, v22
	v_and_b32_e32 v4, v4, v5
	;; [unrolled: 3-line block ×13, first 2 shown]
	v_cndmask_b32_e64 v5, 1, 2, vcc
	s_movk_i32 s30, 0x100
	v_and_b32_e32 v4, v4, v5
	v_cmp_gt_u32_e32 vcc, s30, v6
	v_add_u32_e32 v1, v32, v3
	v_cmp_ne_u32_e64 s[28:29], 0, v25
	v_cmp_ne_u32_e64 s[26:27], 0, v24
	;; [unrolled: 1-line block ×15, first 2 shown]
	s_mov_b64 s[36:37], -1
	v_cmp_gt_i16_e64 s[30:31], 2, v4
	s_barrier
	s_cbranch_vccz .LBB717_245
; %bb.209:
	s_and_saveexec_b64 s[36:37], s[30:31]
	s_cbranch_execz .LBB717_244
; %bb.210:
	v_cmp_ne_u16_e32 vcc, 1, v4
	s_mov_b64 s[38:39], 0
	s_and_saveexec_b64 s[30:31], vcc
	s_xor_b64 s[30:31], exec, s[30:31]
	s_cbranch_execz .LBB717_225
; %bb.211:
	s_and_saveexec_b64 s[38:39], s[28:29]
	s_cbranch_execz .LBB717_227
; %bb.212:
	v_sub_u32_e32 v12, v66, v1
	v_mov_b32_e32 v13, 0
	v_lshlrev_b64 v[12:13], 2, v[12:13]
	v_add_co_u32_e32 v12, vcc, v9, v12
	v_addc_co_u32_e32 v13, vcc, v10, v13, vcc
	global_store_dword v[12:13], v67, off
	s_or_b64 exec, exec, s[38:39]
	s_and_saveexec_b64 s[38:39], s[26:27]
	s_cbranch_execnz .LBB717_228
.LBB717_213:
	s_or_b64 exec, exec, s[38:39]
	s_and_saveexec_b64 s[38:39], s[24:25]
	s_cbranch_execz .LBB717_229
.LBB717_214:
	v_sub_u32_e32 v12, v62, v1
	v_mov_b32_e32 v13, 0
	v_lshlrev_b64 v[12:13], 2, v[12:13]
	v_add_co_u32_e32 v12, vcc, v9, v12
	v_addc_co_u32_e32 v13, vcc, v10, v13, vcc
	global_store_dword v[12:13], v63, off
	s_or_b64 exec, exec, s[38:39]
	s_and_saveexec_b64 s[38:39], s[22:23]
	s_cbranch_execnz .LBB717_230
.LBB717_215:
	s_or_b64 exec, exec, s[38:39]
	s_and_saveexec_b64 s[38:39], s[20:21]
	s_cbranch_execz .LBB717_231
.LBB717_216:
	v_sub_u32_e32 v12, v58, v1
	v_mov_b32_e32 v13, 0
	v_lshlrev_b64 v[12:13], 2, v[12:13]
	v_add_co_u32_e32 v12, vcc, v9, v12
	v_addc_co_u32_e32 v13, vcc, v10, v13, vcc
	global_store_dword v[12:13], v59, off
	s_or_b64 exec, exec, s[38:39]
	s_and_saveexec_b64 s[38:39], s[18:19]
	s_cbranch_execnz .LBB717_232
.LBB717_217:
	s_or_b64 exec, exec, s[38:39]
	s_and_saveexec_b64 s[38:39], s[16:17]
	s_cbranch_execz .LBB717_233
.LBB717_218:
	v_sub_u32_e32 v12, v54, v1
	v_mov_b32_e32 v13, 0
	v_lshlrev_b64 v[12:13], 2, v[12:13]
	v_add_co_u32_e32 v12, vcc, v9, v12
	v_addc_co_u32_e32 v13, vcc, v10, v13, vcc
	global_store_dword v[12:13], v55, off
	s_or_b64 exec, exec, s[38:39]
	s_and_saveexec_b64 s[38:39], s[14:15]
	s_cbranch_execnz .LBB717_234
.LBB717_219:
	s_or_b64 exec, exec, s[38:39]
	s_and_saveexec_b64 s[38:39], s[12:13]
	s_cbranch_execz .LBB717_235
.LBB717_220:
	v_sub_u32_e32 v12, v50, v1
	v_mov_b32_e32 v13, 0
	v_lshlrev_b64 v[12:13], 2, v[12:13]
	v_add_co_u32_e32 v12, vcc, v9, v12
	v_addc_co_u32_e32 v13, vcc, v10, v13, vcc
	global_store_dword v[12:13], v51, off
	s_or_b64 exec, exec, s[38:39]
	s_and_saveexec_b64 s[38:39], s[10:11]
	s_cbranch_execnz .LBB717_236
.LBB717_221:
	s_or_b64 exec, exec, s[38:39]
	s_and_saveexec_b64 s[38:39], s[8:9]
	s_cbranch_execz .LBB717_237
.LBB717_222:
	v_sub_u32_e32 v12, v44, v1
	v_mov_b32_e32 v13, 0
	v_lshlrev_b64 v[12:13], 2, v[12:13]
	v_add_co_u32_e32 v12, vcc, v9, v12
	v_addc_co_u32_e32 v13, vcc, v10, v13, vcc
	global_store_dword v[12:13], v45, off
	s_or_b64 exec, exec, s[38:39]
	s_and_saveexec_b64 s[38:39], s[6:7]
	s_cbranch_execnz .LBB717_238
.LBB717_223:
	s_or_b64 exec, exec, s[38:39]
	s_and_saveexec_b64 s[38:39], s[4:5]
	s_cbranch_execz .LBB717_239
.LBB717_224:
	v_sub_u32_e32 v12, v40, v1
	v_mov_b32_e32 v13, 0
	v_lshlrev_b64 v[12:13], 2, v[12:13]
	v_add_co_u32_e32 v12, vcc, v9, v12
	v_addc_co_u32_e32 v13, vcc, v10, v13, vcc
	global_store_dword v[12:13], v41, off
	s_or_b64 exec, exec, s[38:39]
	s_and_saveexec_b64 s[38:39], s[2:3]
	s_cbranch_execnz .LBB717_240
	s_branch .LBB717_241
.LBB717_225:
	s_andn2_saveexec_b64 s[30:31], s[30:31]
	s_cbranch_execz .LBB717_242
.LBB717_226:
	v_sub_u32_e32 v12, v66, v1
	v_mov_b32_e32 v13, 0
	v_lshlrev_b64 v[14:15], 2, v[12:13]
	v_add_co_u32_e32 v14, vcc, v9, v14
	v_addc_co_u32_e32 v15, vcc, v10, v15, vcc
	v_sub_u32_e32 v12, v64, v1
	global_store_dword v[14:15], v67, off
	v_lshlrev_b64 v[14:15], 2, v[12:13]
	v_add_co_u32_e32 v14, vcc, v9, v14
	v_addc_co_u32_e32 v15, vcc, v10, v15, vcc
	v_sub_u32_e32 v12, v62, v1
	global_store_dword v[14:15], v65, off
	;; [unrolled: 5-line block ×12, first 2 shown]
	v_lshlrev_b64 v[14:15], 2, v[12:13]
	v_add_co_u32_e32 v14, vcc, v9, v14
	v_sub_u32_e32 v12, v38, v1
	v_addc_co_u32_e32 v15, vcc, v10, v15, vcc
	v_lshlrev_b64 v[12:13], 2, v[12:13]
	v_add_co_u32_e32 v12, vcc, v9, v12
	v_addc_co_u32_e32 v13, vcc, v10, v13, vcc
	s_or_b64 s[38:39], s[38:39], exec
	global_store_dword v[14:15], v41, off
	global_store_dword v[12:13], v39, off
	s_or_b64 exec, exec, s[30:31]
	s_and_b64 exec, exec, s[38:39]
	s_cbranch_execnz .LBB717_243
	s_branch .LBB717_244
.LBB717_227:
	s_or_b64 exec, exec, s[38:39]
	s_and_saveexec_b64 s[38:39], s[26:27]
	s_cbranch_execz .LBB717_213
.LBB717_228:
	v_sub_u32_e32 v12, v64, v1
	v_mov_b32_e32 v13, 0
	v_lshlrev_b64 v[12:13], 2, v[12:13]
	v_add_co_u32_e32 v12, vcc, v9, v12
	v_addc_co_u32_e32 v13, vcc, v10, v13, vcc
	global_store_dword v[12:13], v65, off
	s_or_b64 exec, exec, s[38:39]
	s_and_saveexec_b64 s[38:39], s[24:25]
	s_cbranch_execnz .LBB717_214
.LBB717_229:
	s_or_b64 exec, exec, s[38:39]
	s_and_saveexec_b64 s[38:39], s[22:23]
	s_cbranch_execz .LBB717_215
.LBB717_230:
	v_sub_u32_e32 v12, v60, v1
	v_mov_b32_e32 v13, 0
	v_lshlrev_b64 v[12:13], 2, v[12:13]
	v_add_co_u32_e32 v12, vcc, v9, v12
	v_addc_co_u32_e32 v13, vcc, v10, v13, vcc
	global_store_dword v[12:13], v61, off
	s_or_b64 exec, exec, s[38:39]
	s_and_saveexec_b64 s[38:39], s[20:21]
	s_cbranch_execnz .LBB717_216
.LBB717_231:
	s_or_b64 exec, exec, s[38:39]
	s_and_saveexec_b64 s[38:39], s[18:19]
	s_cbranch_execz .LBB717_217
.LBB717_232:
	v_sub_u32_e32 v12, v56, v1
	v_mov_b32_e32 v13, 0
	v_lshlrev_b64 v[12:13], 2, v[12:13]
	v_add_co_u32_e32 v12, vcc, v9, v12
	v_addc_co_u32_e32 v13, vcc, v10, v13, vcc
	global_store_dword v[12:13], v57, off
	s_or_b64 exec, exec, s[38:39]
	s_and_saveexec_b64 s[38:39], s[16:17]
	s_cbranch_execnz .LBB717_218
.LBB717_233:
	s_or_b64 exec, exec, s[38:39]
	s_and_saveexec_b64 s[38:39], s[14:15]
	s_cbranch_execz .LBB717_219
.LBB717_234:
	v_sub_u32_e32 v12, v52, v1
	v_mov_b32_e32 v13, 0
	v_lshlrev_b64 v[12:13], 2, v[12:13]
	v_add_co_u32_e32 v12, vcc, v9, v12
	v_addc_co_u32_e32 v13, vcc, v10, v13, vcc
	global_store_dword v[12:13], v53, off
	s_or_b64 exec, exec, s[38:39]
	s_and_saveexec_b64 s[38:39], s[12:13]
	s_cbranch_execnz .LBB717_220
.LBB717_235:
	s_or_b64 exec, exec, s[38:39]
	s_and_saveexec_b64 s[38:39], s[10:11]
	s_cbranch_execz .LBB717_221
.LBB717_236:
	v_sub_u32_e32 v12, v48, v1
	v_mov_b32_e32 v13, 0
	v_lshlrev_b64 v[12:13], 2, v[12:13]
	v_add_co_u32_e32 v12, vcc, v9, v12
	v_addc_co_u32_e32 v13, vcc, v10, v13, vcc
	global_store_dword v[12:13], v49, off
	s_or_b64 exec, exec, s[38:39]
	s_and_saveexec_b64 s[38:39], s[8:9]
	s_cbranch_execnz .LBB717_222
.LBB717_237:
	s_or_b64 exec, exec, s[38:39]
	s_and_saveexec_b64 s[38:39], s[6:7]
	s_cbranch_execz .LBB717_223
.LBB717_238:
	v_sub_u32_e32 v12, v42, v1
	v_mov_b32_e32 v13, 0
	v_lshlrev_b64 v[12:13], 2, v[12:13]
	v_add_co_u32_e32 v12, vcc, v9, v12
	v_addc_co_u32_e32 v13, vcc, v10, v13, vcc
	global_store_dword v[12:13], v43, off
	s_or_b64 exec, exec, s[38:39]
	s_and_saveexec_b64 s[38:39], s[4:5]
	s_cbranch_execnz .LBB717_224
.LBB717_239:
	s_or_b64 exec, exec, s[38:39]
	s_and_saveexec_b64 s[38:39], s[2:3]
	s_cbranch_execz .LBB717_241
.LBB717_240:
	v_sub_u32_e32 v12, v38, v1
	v_mov_b32_e32 v13, 0
	v_lshlrev_b64 v[12:13], 2, v[12:13]
	v_add_co_u32_e32 v12, vcc, v9, v12
	v_addc_co_u32_e32 v13, vcc, v10, v13, vcc
	global_store_dword v[12:13], v39, off
.LBB717_241:
	s_or_b64 exec, exec, s[38:39]
	s_and_b64 s[38:39], s[0:1], exec
	s_andn2_saveexec_b64 s[30:31], s[30:31]
	s_cbranch_execnz .LBB717_226
.LBB717_242:
	s_or_b64 exec, exec, s[30:31]
	s_and_b64 exec, exec, s[38:39]
	s_cbranch_execz .LBB717_244
.LBB717_243:
	v_sub_u32_e32 v12, v36, v1
	v_mov_b32_e32 v13, 0
	v_lshlrev_b64 v[12:13], 2, v[12:13]
	v_add_co_u32_e32 v12, vcc, v9, v12
	v_addc_co_u32_e32 v13, vcc, v10, v13, vcc
	global_store_dword v[12:13], v37, off
.LBB717_244:
	s_or_b64 exec, exec, s[36:37]
	s_mov_b64 s[36:37], 0
.LBB717_245:
	s_and_b64 vcc, exec, s[36:37]
	s_cbranch_vccz .LBB717_297
; %bb.246:
	v_cmp_gt_i16_e32 vcc, 2, v4
	s_and_saveexec_b64 s[30:31], vcc
	s_cbranch_execz .LBB717_281
; %bb.247:
	v_cmp_ne_u16_e32 vcc, 1, v4
	s_mov_b64 s[38:39], 0
	s_and_saveexec_b64 s[36:37], vcc
	s_xor_b64 s[36:37], exec, s[36:37]
	s_cbranch_execz .LBB717_262
; %bb.248:
	s_and_saveexec_b64 s[38:39], s[28:29]
	s_cbranch_execz .LBB717_264
; %bb.249:
	v_sub_u32_e32 v4, v66, v1
	v_lshlrev_b32_e32 v4, 2, v4
	ds_write_b32 v4, v67
	s_or_b64 exec, exec, s[38:39]
	s_and_saveexec_b64 s[28:29], s[26:27]
	s_cbranch_execnz .LBB717_265
.LBB717_250:
	s_or_b64 exec, exec, s[28:29]
	s_and_saveexec_b64 s[26:27], s[24:25]
	s_cbranch_execz .LBB717_266
.LBB717_251:
	v_sub_u32_e32 v4, v62, v1
	v_lshlrev_b32_e32 v4, 2, v4
	ds_write_b32 v4, v63
	s_or_b64 exec, exec, s[26:27]
	s_and_saveexec_b64 s[24:25], s[22:23]
	s_cbranch_execnz .LBB717_267
.LBB717_252:
	s_or_b64 exec, exec, s[24:25]
	s_and_saveexec_b64 s[22:23], s[20:21]
	s_cbranch_execz .LBB717_268
.LBB717_253:
	v_sub_u32_e32 v4, v58, v1
	v_lshlrev_b32_e32 v4, 2, v4
	ds_write_b32 v4, v59
	s_or_b64 exec, exec, s[22:23]
	s_and_saveexec_b64 s[20:21], s[18:19]
	s_cbranch_execnz .LBB717_269
.LBB717_254:
	s_or_b64 exec, exec, s[20:21]
	s_and_saveexec_b64 s[18:19], s[16:17]
	s_cbranch_execz .LBB717_270
.LBB717_255:
	v_sub_u32_e32 v4, v54, v1
	v_lshlrev_b32_e32 v4, 2, v4
	ds_write_b32 v4, v55
	s_or_b64 exec, exec, s[18:19]
	s_and_saveexec_b64 s[16:17], s[14:15]
	s_cbranch_execnz .LBB717_271
.LBB717_256:
	s_or_b64 exec, exec, s[16:17]
	s_and_saveexec_b64 s[14:15], s[12:13]
	s_cbranch_execz .LBB717_272
.LBB717_257:
	v_sub_u32_e32 v4, v50, v1
	v_lshlrev_b32_e32 v4, 2, v4
	ds_write_b32 v4, v51
	s_or_b64 exec, exec, s[14:15]
	s_and_saveexec_b64 s[12:13], s[10:11]
	s_cbranch_execnz .LBB717_273
.LBB717_258:
	s_or_b64 exec, exec, s[12:13]
	s_and_saveexec_b64 s[10:11], s[8:9]
	s_cbranch_execz .LBB717_274
.LBB717_259:
	v_sub_u32_e32 v4, v44, v1
	v_lshlrev_b32_e32 v4, 2, v4
	ds_write_b32 v4, v45
	s_or_b64 exec, exec, s[10:11]
	s_and_saveexec_b64 s[8:9], s[6:7]
	s_cbranch_execnz .LBB717_275
.LBB717_260:
	s_or_b64 exec, exec, s[8:9]
	s_and_saveexec_b64 s[6:7], s[4:5]
	s_cbranch_execz .LBB717_276
.LBB717_261:
	v_sub_u32_e32 v4, v40, v1
	v_lshlrev_b32_e32 v4, 2, v4
	ds_write_b32 v4, v41
	s_or_b64 exec, exec, s[6:7]
	s_and_saveexec_b64 s[4:5], s[2:3]
	s_cbranch_execnz .LBB717_277
	s_branch .LBB717_278
.LBB717_262:
	s_andn2_saveexec_b64 s[0:1], s[36:37]
	s_cbranch_execz .LBB717_279
.LBB717_263:
	v_sub_u32_e32 v4, v66, v1
	v_lshlrev_b32_e32 v4, 2, v4
	ds_write_b32 v4, v67
	v_sub_u32_e32 v4, v64, v1
	v_lshlrev_b32_e32 v4, 2, v4
	ds_write_b32 v4, v65
	;; [unrolled: 3-line block ×13, first 2 shown]
	v_sub_u32_e32 v4, v38, v1
	v_lshlrev_b32_e32 v4, 2, v4
	s_or_b64 s[38:39], s[38:39], exec
	ds_write_b32 v4, v39
	s_or_b64 exec, exec, s[0:1]
	s_and_b64 exec, exec, s[38:39]
	s_cbranch_execnz .LBB717_280
	s_branch .LBB717_281
.LBB717_264:
	s_or_b64 exec, exec, s[38:39]
	s_and_saveexec_b64 s[28:29], s[26:27]
	s_cbranch_execz .LBB717_250
.LBB717_265:
	v_sub_u32_e32 v4, v64, v1
	v_lshlrev_b32_e32 v4, 2, v4
	ds_write_b32 v4, v65
	s_or_b64 exec, exec, s[28:29]
	s_and_saveexec_b64 s[26:27], s[24:25]
	s_cbranch_execnz .LBB717_251
.LBB717_266:
	s_or_b64 exec, exec, s[26:27]
	s_and_saveexec_b64 s[24:25], s[22:23]
	s_cbranch_execz .LBB717_252
.LBB717_267:
	v_sub_u32_e32 v4, v60, v1
	v_lshlrev_b32_e32 v4, 2, v4
	ds_write_b32 v4, v61
	s_or_b64 exec, exec, s[24:25]
	s_and_saveexec_b64 s[22:23], s[20:21]
	s_cbranch_execnz .LBB717_253
.LBB717_268:
	s_or_b64 exec, exec, s[22:23]
	s_and_saveexec_b64 s[20:21], s[18:19]
	s_cbranch_execz .LBB717_254
.LBB717_269:
	v_sub_u32_e32 v4, v56, v1
	v_lshlrev_b32_e32 v4, 2, v4
	ds_write_b32 v4, v57
	s_or_b64 exec, exec, s[20:21]
	s_and_saveexec_b64 s[18:19], s[16:17]
	s_cbranch_execnz .LBB717_255
.LBB717_270:
	s_or_b64 exec, exec, s[18:19]
	s_and_saveexec_b64 s[16:17], s[14:15]
	s_cbranch_execz .LBB717_256
.LBB717_271:
	v_sub_u32_e32 v4, v52, v1
	v_lshlrev_b32_e32 v4, 2, v4
	ds_write_b32 v4, v53
	s_or_b64 exec, exec, s[16:17]
	s_and_saveexec_b64 s[14:15], s[12:13]
	s_cbranch_execnz .LBB717_257
.LBB717_272:
	s_or_b64 exec, exec, s[14:15]
	s_and_saveexec_b64 s[12:13], s[10:11]
	s_cbranch_execz .LBB717_258
.LBB717_273:
	v_sub_u32_e32 v4, v48, v1
	v_lshlrev_b32_e32 v4, 2, v4
	ds_write_b32 v4, v49
	s_or_b64 exec, exec, s[12:13]
	s_and_saveexec_b64 s[10:11], s[8:9]
	s_cbranch_execnz .LBB717_259
.LBB717_274:
	s_or_b64 exec, exec, s[10:11]
	s_and_saveexec_b64 s[8:9], s[6:7]
	s_cbranch_execz .LBB717_260
.LBB717_275:
	v_sub_u32_e32 v4, v42, v1
	v_lshlrev_b32_e32 v4, 2, v4
	ds_write_b32 v4, v43
	s_or_b64 exec, exec, s[8:9]
	s_and_saveexec_b64 s[6:7], s[4:5]
	s_cbranch_execnz .LBB717_261
.LBB717_276:
	s_or_b64 exec, exec, s[6:7]
	s_and_saveexec_b64 s[4:5], s[2:3]
	s_cbranch_execz .LBB717_278
.LBB717_277:
	v_sub_u32_e32 v4, v38, v1
	v_lshlrev_b32_e32 v4, 2, v4
	ds_write_b32 v4, v39
.LBB717_278:
	s_or_b64 exec, exec, s[4:5]
	s_and_b64 s[38:39], s[0:1], exec
                                        ; implicit-def: $vgpr66_vgpr67
                                        ; implicit-def: $vgpr64_vgpr65
                                        ; implicit-def: $vgpr62_vgpr63
                                        ; implicit-def: $vgpr60_vgpr61
                                        ; implicit-def: $vgpr58_vgpr59
                                        ; implicit-def: $vgpr56_vgpr57
                                        ; implicit-def: $vgpr54_vgpr55
                                        ; implicit-def: $vgpr52_vgpr53
                                        ; implicit-def: $vgpr50_vgpr51
                                        ; implicit-def: $vgpr48_vgpr49
                                        ; implicit-def: $vgpr44_vgpr45
                                        ; implicit-def: $vgpr42_vgpr43
                                        ; implicit-def: $vgpr40_vgpr41
                                        ; implicit-def: $vgpr38_vgpr39
	s_andn2_saveexec_b64 s[0:1], s[36:37]
	s_cbranch_execnz .LBB717_263
.LBB717_279:
	s_or_b64 exec, exec, s[0:1]
	s_and_b64 exec, exec, s[38:39]
	s_cbranch_execz .LBB717_281
.LBB717_280:
	v_sub_u32_e32 v1, v36, v1
	v_lshlrev_b32_e32 v1, 2, v1
	ds_write_b32 v1, v37
.LBB717_281:
	s_or_b64 exec, exec, s[30:31]
	v_cmp_lt_u32_e32 vcc, v0, v6
	s_waitcnt lgkmcnt(0)
	s_barrier
	s_and_saveexec_b64 s[2:3], vcc
	s_cbranch_execz .LBB717_296
; %bb.282:
	v_add_u32_e32 v4, v30, v2
	v_xad_u32 v1, v0, -1, v4
	v_sub_u32_e32 v1, v1, v3
	s_movk_i32 s0, 0x1900
	v_cmp_gt_u32_e64 s[4:5], s0, v1
	s_movk_i32 s0, 0x18ff
	v_cmp_lt_u32_e32 vcc, s0, v1
	v_mov_b32_e32 v2, v0
	s_and_saveexec_b64 s[6:7], vcc
	s_cbranch_execz .LBB717_293
; %bb.283:
	v_sub_u32_e32 v2, v0, v4
	v_add_u32_e32 v2, v2, v3
	v_or_b32_e32 v2, 0xff, v2
	v_cmp_ge_u32_e32 vcc, v2, v0
	s_mov_b64 s[0:1], -1
	v_mov_b32_e32 v2, v0
	s_and_saveexec_b64 s[8:9], vcc
	s_cbranch_execz .LBB717_292
; %bb.284:
	v_lshrrev_b32_e32 v11, 8, v1
	v_add_u32_e32 v2, -1, v11
	v_or_b32_e32 v1, 0x100, v0
	v_lshrrev_b32_e32 v3, 1, v2
	v_add_u32_e32 v13, 1, v3
	v_cmp_lt_u32_e32 vcc, 13, v2
	v_mov_b32_e32 v16, 0
	v_lshlrev_b32_e32 v12, 2, v0
	v_pk_mov_b32 v[2:3], v[0:1], v[0:1] op_sel:[0,1]
	s_and_saveexec_b64 s[10:11], vcc
	s_cbranch_execz .LBB717_288
; %bb.285:
	v_and_b32_e32 v14, -8, v13
	s_mov_b32 s14, 0
	s_mov_b64 s[12:13], 0
	v_mov_b32_e32 v5, 0
	v_mov_b32_e32 v15, v12
	v_pk_mov_b32 v[2:3], v[0:1], v[0:1] op_sel:[0,1]
.LBB717_286:                            ; =>This Inner Loop Header: Depth=1
	v_mov_b32_e32 v4, v2
	v_add_u32_e32 v14, -8, v14
	v_lshlrev_b64 v[52:53], 2, v[4:5]
	v_mov_b32_e32 v4, v3
	ds_read2st64_b32 v[18:19], v15 offset1:4
	s_add_i32 s14, s14, 16
	v_cmp_eq_u32_e32 vcc, 0, v14
	v_lshlrev_b64 v[56:57], 2, v[4:5]
	v_add_u32_e32 v4, 0x200, v2
	s_or_b64 s[12:13], vcc, s[12:13]
	v_add_co_u32_e32 v56, vcc, v9, v56
	v_add_u32_e32 v16, 0x200, v3
	v_mov_b32_e32 v17, v5
	ds_read2st64_b32 v[20:21], v15 offset0:8 offset1:12
	ds_read2st64_b32 v[24:25], v15 offset0:16 offset1:20
	v_add_co_u32_e64 v52, s[0:1], v9, v52
	v_addc_co_u32_e32 v57, vcc, v10, v57, vcc
	v_lshlrev_b64 v[58:59], 2, v[4:5]
	v_lshlrev_b64 v[54:55], 2, v[16:17]
	v_addc_co_u32_e64 v53, s[0:1], v10, v53, s[0:1]
	v_add_u32_e32 v4, 0x400, v2
	v_add_co_u32_e32 v58, vcc, v9, v58
	v_add_u32_e32 v22, 0x400, v3
	v_mov_b32_e32 v23, v5
	ds_read2st64_b32 v[28:29], v15 offset0:24 offset1:28
	v_add_co_u32_e64 v54, s[0:1], v9, v54
	v_addc_co_u32_e32 v59, vcc, v10, v59, vcc
	v_lshlrev_b64 v[60:61], 2, v[4:5]
	ds_read2st64_b32 v[38:39], v15 offset0:32 offset1:36
	ds_read2st64_b32 v[42:43], v15 offset0:40 offset1:44
	;; [unrolled: 1-line block ×4, first 2 shown]
	v_lshlrev_b64 v[22:23], 2, v[22:23]
	v_addc_co_u32_e64 v55, s[0:1], v10, v55, s[0:1]
	v_add_u32_e32 v4, 0x600, v2
	s_waitcnt lgkmcnt(7)
	global_store_dword v[52:53], v18, off
	global_store_dword v[56:57], v19, off
	s_waitcnt lgkmcnt(6)
	global_store_dword v[58:59], v20, off
	global_store_dword v[54:55], v21, off
	v_add_co_u32_e32 v18, vcc, v9, v60
	v_add_u32_e32 v26, 0x600, v3
	v_mov_b32_e32 v27, v5
	v_add_co_u32_e64 v22, s[0:1], v9, v22
	v_addc_co_u32_e32 v19, vcc, v10, v61, vcc
	v_lshlrev_b64 v[20:21], 2, v[4:5]
	v_lshlrev_b64 v[26:27], 2, v[26:27]
	v_addc_co_u32_e64 v23, s[0:1], v10, v23, s[0:1]
	v_add_u32_e32 v4, 0x800, v2
	s_waitcnt lgkmcnt(5)
	global_store_dword v[18:19], v24, off
	global_store_dword v[22:23], v25, off
	v_add_co_u32_e32 v18, vcc, v9, v20
	v_add_u32_e32 v36, 0x800, v3
	v_mov_b32_e32 v37, v5
	v_add_co_u32_e64 v26, s[0:1], v9, v26
	v_addc_co_u32_e32 v19, vcc, v10, v21, vcc
	v_lshlrev_b64 v[20:21], 2, v[4:5]
	v_lshlrev_b64 v[36:37], 2, v[36:37]
	v_addc_co_u32_e64 v27, s[0:1], v10, v27, s[0:1]
	v_add_u32_e32 v4, 0xa00, v2
	;; [unrolled: 12-line block ×4, first 2 shown]
	s_waitcnt lgkmcnt(2)
	global_store_dword v[18:19], v42, off
	global_store_dword v[40:41], v43, off
	v_add_co_u32_e32 v18, vcc, v9, v20
	v_add_u32_e32 v48, 0xe00, v3
	v_mov_b32_e32 v49, v5
	v_add_co_u32_e64 v44, s[0:1], v9, v44
	v_addc_co_u32_e32 v19, vcc, v10, v21, vcc
	v_lshlrev_b64 v[20:21], 2, v[4:5]
	v_lshlrev_b64 v[48:49], 2, v[48:49]
	v_addc_co_u32_e64 v45, s[0:1], v10, v45, s[0:1]
	s_waitcnt lgkmcnt(1)
	global_store_dword v[18:19], v46, off
	global_store_dword v[44:45], v47, off
	v_add_co_u32_e32 v18, vcc, v9, v20
	v_add_u32_e32 v15, 0x4000, v15
	v_add_u32_e32 v3, 0x1000, v3
	v_mov_b32_e32 v16, s14
	v_add_co_u32_e64 v48, s[0:1], v9, v48
	v_add_u32_e32 v2, 0x1000, v2
	v_addc_co_u32_e32 v19, vcc, v10, v21, vcc
	v_addc_co_u32_e64 v49, s[0:1], v10, v49, s[0:1]
	s_waitcnt lgkmcnt(0)
	global_store_dword v[18:19], v50, off
	global_store_dword v[48:49], v51, off
	s_andn2_b64 exec, exec, s[12:13]
	s_cbranch_execnz .LBB717_286
; %bb.287:
	s_or_b64 exec, exec, s[12:13]
.LBB717_288:
	s_or_b64 exec, exec, s[10:11]
	v_and_b32_e32 v1, 7, v13
	v_cmp_ne_u32_e32 vcc, 0, v1
	s_and_saveexec_b64 s[10:11], vcc
	s_cbranch_execz .LBB717_291
; %bb.289:
	v_lshl_or_b32 v12, v16, 10, v12
	s_mov_b64 s[12:13], 0
	v_mov_b32_e32 v5, 0
.LBB717_290:                            ; =>This Inner Loop Header: Depth=1
	ds_read2st64_b32 v[14:15], v12 offset1:4
	v_mov_b32_e32 v4, v2
	v_add_u32_e32 v1, -1, v1
	v_lshlrev_b64 v[16:17], 2, v[4:5]
	v_mov_b32_e32 v4, v3
	v_cmp_eq_u32_e32 vcc, 0, v1
	v_add_co_u32_e64 v16, s[0:1], v9, v16
	v_lshlrev_b64 v[18:19], 2, v[4:5]
	v_add_u32_e32 v2, 0x200, v2
	v_add_u32_e32 v12, 0x800, v12
	;; [unrolled: 1-line block ×3, first 2 shown]
	v_addc_co_u32_e64 v17, s[0:1], v10, v17, s[0:1]
	s_or_b64 s[12:13], vcc, s[12:13]
	v_add_co_u32_e32 v18, vcc, v9, v18
	v_addc_co_u32_e32 v19, vcc, v10, v19, vcc
	s_waitcnt lgkmcnt(0)
	global_store_dword v[16:17], v14, off
	global_store_dword v[18:19], v15, off
	s_andn2_b64 exec, exec, s[12:13]
	s_cbranch_execnz .LBB717_290
.LBB717_291:
	s_or_b64 exec, exec, s[10:11]
	v_add_u32_e32 v1, 1, v11
	v_and_b32_e32 v3, 0x1fffffe, v1
	v_cmp_ne_u32_e32 vcc, v1, v3
	v_lshl_or_b32 v2, v3, 8, v0
	s_orn2_b64 s[0:1], vcc, exec
.LBB717_292:
	s_or_b64 exec, exec, s[8:9]
	s_andn2_b64 s[4:5], s[4:5], exec
	s_and_b64 s[0:1], s[0:1], exec
	s_or_b64 s[4:5], s[4:5], s[0:1]
.LBB717_293:
	s_or_b64 exec, exec, s[6:7]
	s_and_b64 exec, exec, s[4:5]
	s_cbranch_execz .LBB717_296
; %bb.294:
	v_lshlrev_b32_e32 v1, 2, v2
	s_mov_b64 s[0:1], 0
	v_mov_b32_e32 v3, 0
.LBB717_295:                            ; =>This Inner Loop Header: Depth=1
	v_lshlrev_b64 v[4:5], 2, v[2:3]
	ds_read_b32 v11, v1
	v_add_co_u32_e32 v4, vcc, v9, v4
	v_add_u32_e32 v2, 0x100, v2
	v_addc_co_u32_e32 v5, vcc, v10, v5, vcc
	v_cmp_ge_u32_e32 vcc, v2, v6
	v_add_u32_e32 v1, 0x400, v1
	s_or_b64 s[0:1], vcc, s[0:1]
	s_waitcnt lgkmcnt(0)
	global_store_dword v[4:5], v11, off
	s_andn2_b64 exec, exec, s[0:1]
	s_cbranch_execnz .LBB717_295
.LBB717_296:
	s_or_b64 exec, exec, s[2:3]
.LBB717_297:
	s_movk_i32 s0, 0xff
	v_cmp_eq_u32_e32 vcc, s0, v0
	s_and_b64 s[0:1], vcc, s[34:35]
	s_and_saveexec_b64 s[2:3], s[0:1]
	s_cbranch_execz .LBB717_300
; %bb.298:
	v_add_co_u32_e32 v0, vcc, v30, v32
	v_addc_co_u32_e64 v1, s[0:1], 0, 0, vcc
	v_add_co_u32_e32 v0, vcc, v0, v34
	v_mov_b32_e32 v31, 0
	v_addc_co_u32_e32 v1, vcc, v1, v35, vcc
	s_cmpk_lg_i32 s33, 0xf00
	global_store_dwordx2 v31, v[0:1], s[54:55]
	s_cbranch_scc1 .LBB717_300
; %bb.299:
	v_lshlrev_b64 v[0:1], 2, v[30:31]
	v_add_co_u32_e32 v0, vcc, v7, v0
	v_addc_co_u32_e32 v1, vcc, v8, v1, vcc
	global_store_dword v[0:1], v85, off offset:-4
.LBB717_300:
	s_endpgm
	.section	.rodata,"a",@progbits
	.p2align	6, 0x0
	.amdhsa_kernel _ZN7rocprim17ROCPRIM_400000_NS6detail17trampoline_kernelINS0_14default_configENS1_29reduce_by_key_config_selectorIyjN6thrust23THRUST_200600_302600_NS4plusIjEEEEZZNS1_33reduce_by_key_impl_wrapped_configILNS1_25lookback_scan_determinismE0ES3_S9_NS6_6detail15normal_iteratorINS6_10device_ptrIyEEEENSD_INSE_IjEEEESG_SI_PmS8_NS6_8equal_toIyEEEE10hipError_tPvRmT2_T3_mT4_T5_T6_T7_T8_P12ihipStream_tbENKUlT_T0_E_clISt17integral_constantIbLb1EES12_IbLb0EEEEDaSY_SZ_EUlSY_E_NS1_11comp_targetILNS1_3genE4ELNS1_11target_archE910ELNS1_3gpuE8ELNS1_3repE0EEENS1_30default_config_static_selectorELNS0_4arch9wavefront6targetE1EEEvT1_
		.amdhsa_group_segment_fixed_size 30720
		.amdhsa_private_segment_fixed_size 0
		.amdhsa_kernarg_size 120
		.amdhsa_user_sgpr_count 6
		.amdhsa_user_sgpr_private_segment_buffer 1
		.amdhsa_user_sgpr_dispatch_ptr 0
		.amdhsa_user_sgpr_queue_ptr 0
		.amdhsa_user_sgpr_kernarg_segment_ptr 1
		.amdhsa_user_sgpr_dispatch_id 0
		.amdhsa_user_sgpr_flat_scratch_init 0
		.amdhsa_user_sgpr_kernarg_preload_length 0
		.amdhsa_user_sgpr_kernarg_preload_offset 0
		.amdhsa_user_sgpr_private_segment_size 0
		.amdhsa_uses_dynamic_stack 0
		.amdhsa_system_sgpr_private_segment_wavefront_offset 0
		.amdhsa_system_sgpr_workgroup_id_x 1
		.amdhsa_system_sgpr_workgroup_id_y 0
		.amdhsa_system_sgpr_workgroup_id_z 0
		.amdhsa_system_sgpr_workgroup_info 0
		.amdhsa_system_vgpr_workitem_id 0
		.amdhsa_next_free_vgpr 102
		.amdhsa_next_free_sgpr 64
		.amdhsa_accum_offset 104
		.amdhsa_reserve_vcc 1
		.amdhsa_reserve_flat_scratch 0
		.amdhsa_float_round_mode_32 0
		.amdhsa_float_round_mode_16_64 0
		.amdhsa_float_denorm_mode_32 3
		.amdhsa_float_denorm_mode_16_64 3
		.amdhsa_dx10_clamp 1
		.amdhsa_ieee_mode 1
		.amdhsa_fp16_overflow 0
		.amdhsa_tg_split 0
		.amdhsa_exception_fp_ieee_invalid_op 0
		.amdhsa_exception_fp_denorm_src 0
		.amdhsa_exception_fp_ieee_div_zero 0
		.amdhsa_exception_fp_ieee_overflow 0
		.amdhsa_exception_fp_ieee_underflow 0
		.amdhsa_exception_fp_ieee_inexact 0
		.amdhsa_exception_int_div_zero 0
	.end_amdhsa_kernel
	.section	.text._ZN7rocprim17ROCPRIM_400000_NS6detail17trampoline_kernelINS0_14default_configENS1_29reduce_by_key_config_selectorIyjN6thrust23THRUST_200600_302600_NS4plusIjEEEEZZNS1_33reduce_by_key_impl_wrapped_configILNS1_25lookback_scan_determinismE0ES3_S9_NS6_6detail15normal_iteratorINS6_10device_ptrIyEEEENSD_INSE_IjEEEESG_SI_PmS8_NS6_8equal_toIyEEEE10hipError_tPvRmT2_T3_mT4_T5_T6_T7_T8_P12ihipStream_tbENKUlT_T0_E_clISt17integral_constantIbLb1EES12_IbLb0EEEEDaSY_SZ_EUlSY_E_NS1_11comp_targetILNS1_3genE4ELNS1_11target_archE910ELNS1_3gpuE8ELNS1_3repE0EEENS1_30default_config_static_selectorELNS0_4arch9wavefront6targetE1EEEvT1_,"axG",@progbits,_ZN7rocprim17ROCPRIM_400000_NS6detail17trampoline_kernelINS0_14default_configENS1_29reduce_by_key_config_selectorIyjN6thrust23THRUST_200600_302600_NS4plusIjEEEEZZNS1_33reduce_by_key_impl_wrapped_configILNS1_25lookback_scan_determinismE0ES3_S9_NS6_6detail15normal_iteratorINS6_10device_ptrIyEEEENSD_INSE_IjEEEESG_SI_PmS8_NS6_8equal_toIyEEEE10hipError_tPvRmT2_T3_mT4_T5_T6_T7_T8_P12ihipStream_tbENKUlT_T0_E_clISt17integral_constantIbLb1EES12_IbLb0EEEEDaSY_SZ_EUlSY_E_NS1_11comp_targetILNS1_3genE4ELNS1_11target_archE910ELNS1_3gpuE8ELNS1_3repE0EEENS1_30default_config_static_selectorELNS0_4arch9wavefront6targetE1EEEvT1_,comdat
.Lfunc_end717:
	.size	_ZN7rocprim17ROCPRIM_400000_NS6detail17trampoline_kernelINS0_14default_configENS1_29reduce_by_key_config_selectorIyjN6thrust23THRUST_200600_302600_NS4plusIjEEEEZZNS1_33reduce_by_key_impl_wrapped_configILNS1_25lookback_scan_determinismE0ES3_S9_NS6_6detail15normal_iteratorINS6_10device_ptrIyEEEENSD_INSE_IjEEEESG_SI_PmS8_NS6_8equal_toIyEEEE10hipError_tPvRmT2_T3_mT4_T5_T6_T7_T8_P12ihipStream_tbENKUlT_T0_E_clISt17integral_constantIbLb1EES12_IbLb0EEEEDaSY_SZ_EUlSY_E_NS1_11comp_targetILNS1_3genE4ELNS1_11target_archE910ELNS1_3gpuE8ELNS1_3repE0EEENS1_30default_config_static_selectorELNS0_4arch9wavefront6targetE1EEEvT1_, .Lfunc_end717-_ZN7rocprim17ROCPRIM_400000_NS6detail17trampoline_kernelINS0_14default_configENS1_29reduce_by_key_config_selectorIyjN6thrust23THRUST_200600_302600_NS4plusIjEEEEZZNS1_33reduce_by_key_impl_wrapped_configILNS1_25lookback_scan_determinismE0ES3_S9_NS6_6detail15normal_iteratorINS6_10device_ptrIyEEEENSD_INSE_IjEEEESG_SI_PmS8_NS6_8equal_toIyEEEE10hipError_tPvRmT2_T3_mT4_T5_T6_T7_T8_P12ihipStream_tbENKUlT_T0_E_clISt17integral_constantIbLb1EES12_IbLb0EEEEDaSY_SZ_EUlSY_E_NS1_11comp_targetILNS1_3genE4ELNS1_11target_archE910ELNS1_3gpuE8ELNS1_3repE0EEENS1_30default_config_static_selectorELNS0_4arch9wavefront6targetE1EEEvT1_
                                        ; -- End function
	.section	.AMDGPU.csdata,"",@progbits
; Kernel info:
; codeLenInByte = 16688
; NumSgprs: 68
; NumVgprs: 102
; NumAgprs: 0
; TotalNumVgprs: 102
; ScratchSize: 0
; MemoryBound: 0
; FloatMode: 240
; IeeeMode: 1
; LDSByteSize: 30720 bytes/workgroup (compile time only)
; SGPRBlocks: 8
; VGPRBlocks: 12
; NumSGPRsForWavesPerEU: 68
; NumVGPRsForWavesPerEU: 102
; AccumOffset: 104
; Occupancy: 2
; WaveLimiterHint : 1
; COMPUTE_PGM_RSRC2:SCRATCH_EN: 0
; COMPUTE_PGM_RSRC2:USER_SGPR: 6
; COMPUTE_PGM_RSRC2:TRAP_HANDLER: 0
; COMPUTE_PGM_RSRC2:TGID_X_EN: 1
; COMPUTE_PGM_RSRC2:TGID_Y_EN: 0
; COMPUTE_PGM_RSRC2:TGID_Z_EN: 0
; COMPUTE_PGM_RSRC2:TIDIG_COMP_CNT: 0
; COMPUTE_PGM_RSRC3_GFX90A:ACCUM_OFFSET: 25
; COMPUTE_PGM_RSRC3_GFX90A:TG_SPLIT: 0
	.section	.text._ZN7rocprim17ROCPRIM_400000_NS6detail17trampoline_kernelINS0_14default_configENS1_29reduce_by_key_config_selectorIyjN6thrust23THRUST_200600_302600_NS4plusIjEEEEZZNS1_33reduce_by_key_impl_wrapped_configILNS1_25lookback_scan_determinismE0ES3_S9_NS6_6detail15normal_iteratorINS6_10device_ptrIyEEEENSD_INSE_IjEEEESG_SI_PmS8_NS6_8equal_toIyEEEE10hipError_tPvRmT2_T3_mT4_T5_T6_T7_T8_P12ihipStream_tbENKUlT_T0_E_clISt17integral_constantIbLb1EES12_IbLb0EEEEDaSY_SZ_EUlSY_E_NS1_11comp_targetILNS1_3genE3ELNS1_11target_archE908ELNS1_3gpuE7ELNS1_3repE0EEENS1_30default_config_static_selectorELNS0_4arch9wavefront6targetE1EEEvT1_,"axG",@progbits,_ZN7rocprim17ROCPRIM_400000_NS6detail17trampoline_kernelINS0_14default_configENS1_29reduce_by_key_config_selectorIyjN6thrust23THRUST_200600_302600_NS4plusIjEEEEZZNS1_33reduce_by_key_impl_wrapped_configILNS1_25lookback_scan_determinismE0ES3_S9_NS6_6detail15normal_iteratorINS6_10device_ptrIyEEEENSD_INSE_IjEEEESG_SI_PmS8_NS6_8equal_toIyEEEE10hipError_tPvRmT2_T3_mT4_T5_T6_T7_T8_P12ihipStream_tbENKUlT_T0_E_clISt17integral_constantIbLb1EES12_IbLb0EEEEDaSY_SZ_EUlSY_E_NS1_11comp_targetILNS1_3genE3ELNS1_11target_archE908ELNS1_3gpuE7ELNS1_3repE0EEENS1_30default_config_static_selectorELNS0_4arch9wavefront6targetE1EEEvT1_,comdat
	.protected	_ZN7rocprim17ROCPRIM_400000_NS6detail17trampoline_kernelINS0_14default_configENS1_29reduce_by_key_config_selectorIyjN6thrust23THRUST_200600_302600_NS4plusIjEEEEZZNS1_33reduce_by_key_impl_wrapped_configILNS1_25lookback_scan_determinismE0ES3_S9_NS6_6detail15normal_iteratorINS6_10device_ptrIyEEEENSD_INSE_IjEEEESG_SI_PmS8_NS6_8equal_toIyEEEE10hipError_tPvRmT2_T3_mT4_T5_T6_T7_T8_P12ihipStream_tbENKUlT_T0_E_clISt17integral_constantIbLb1EES12_IbLb0EEEEDaSY_SZ_EUlSY_E_NS1_11comp_targetILNS1_3genE3ELNS1_11target_archE908ELNS1_3gpuE7ELNS1_3repE0EEENS1_30default_config_static_selectorELNS0_4arch9wavefront6targetE1EEEvT1_ ; -- Begin function _ZN7rocprim17ROCPRIM_400000_NS6detail17trampoline_kernelINS0_14default_configENS1_29reduce_by_key_config_selectorIyjN6thrust23THRUST_200600_302600_NS4plusIjEEEEZZNS1_33reduce_by_key_impl_wrapped_configILNS1_25lookback_scan_determinismE0ES3_S9_NS6_6detail15normal_iteratorINS6_10device_ptrIyEEEENSD_INSE_IjEEEESG_SI_PmS8_NS6_8equal_toIyEEEE10hipError_tPvRmT2_T3_mT4_T5_T6_T7_T8_P12ihipStream_tbENKUlT_T0_E_clISt17integral_constantIbLb1EES12_IbLb0EEEEDaSY_SZ_EUlSY_E_NS1_11comp_targetILNS1_3genE3ELNS1_11target_archE908ELNS1_3gpuE7ELNS1_3repE0EEENS1_30default_config_static_selectorELNS0_4arch9wavefront6targetE1EEEvT1_
	.globl	_ZN7rocprim17ROCPRIM_400000_NS6detail17trampoline_kernelINS0_14default_configENS1_29reduce_by_key_config_selectorIyjN6thrust23THRUST_200600_302600_NS4plusIjEEEEZZNS1_33reduce_by_key_impl_wrapped_configILNS1_25lookback_scan_determinismE0ES3_S9_NS6_6detail15normal_iteratorINS6_10device_ptrIyEEEENSD_INSE_IjEEEESG_SI_PmS8_NS6_8equal_toIyEEEE10hipError_tPvRmT2_T3_mT4_T5_T6_T7_T8_P12ihipStream_tbENKUlT_T0_E_clISt17integral_constantIbLb1EES12_IbLb0EEEEDaSY_SZ_EUlSY_E_NS1_11comp_targetILNS1_3genE3ELNS1_11target_archE908ELNS1_3gpuE7ELNS1_3repE0EEENS1_30default_config_static_selectorELNS0_4arch9wavefront6targetE1EEEvT1_
	.p2align	8
	.type	_ZN7rocprim17ROCPRIM_400000_NS6detail17trampoline_kernelINS0_14default_configENS1_29reduce_by_key_config_selectorIyjN6thrust23THRUST_200600_302600_NS4plusIjEEEEZZNS1_33reduce_by_key_impl_wrapped_configILNS1_25lookback_scan_determinismE0ES3_S9_NS6_6detail15normal_iteratorINS6_10device_ptrIyEEEENSD_INSE_IjEEEESG_SI_PmS8_NS6_8equal_toIyEEEE10hipError_tPvRmT2_T3_mT4_T5_T6_T7_T8_P12ihipStream_tbENKUlT_T0_E_clISt17integral_constantIbLb1EES12_IbLb0EEEEDaSY_SZ_EUlSY_E_NS1_11comp_targetILNS1_3genE3ELNS1_11target_archE908ELNS1_3gpuE7ELNS1_3repE0EEENS1_30default_config_static_selectorELNS0_4arch9wavefront6targetE1EEEvT1_,@function
_ZN7rocprim17ROCPRIM_400000_NS6detail17trampoline_kernelINS0_14default_configENS1_29reduce_by_key_config_selectorIyjN6thrust23THRUST_200600_302600_NS4plusIjEEEEZZNS1_33reduce_by_key_impl_wrapped_configILNS1_25lookback_scan_determinismE0ES3_S9_NS6_6detail15normal_iteratorINS6_10device_ptrIyEEEENSD_INSE_IjEEEESG_SI_PmS8_NS6_8equal_toIyEEEE10hipError_tPvRmT2_T3_mT4_T5_T6_T7_T8_P12ihipStream_tbENKUlT_T0_E_clISt17integral_constantIbLb1EES12_IbLb0EEEEDaSY_SZ_EUlSY_E_NS1_11comp_targetILNS1_3genE3ELNS1_11target_archE908ELNS1_3gpuE7ELNS1_3repE0EEENS1_30default_config_static_selectorELNS0_4arch9wavefront6targetE1EEEvT1_: ; @_ZN7rocprim17ROCPRIM_400000_NS6detail17trampoline_kernelINS0_14default_configENS1_29reduce_by_key_config_selectorIyjN6thrust23THRUST_200600_302600_NS4plusIjEEEEZZNS1_33reduce_by_key_impl_wrapped_configILNS1_25lookback_scan_determinismE0ES3_S9_NS6_6detail15normal_iteratorINS6_10device_ptrIyEEEENSD_INSE_IjEEEESG_SI_PmS8_NS6_8equal_toIyEEEE10hipError_tPvRmT2_T3_mT4_T5_T6_T7_T8_P12ihipStream_tbENKUlT_T0_E_clISt17integral_constantIbLb1EES12_IbLb0EEEEDaSY_SZ_EUlSY_E_NS1_11comp_targetILNS1_3genE3ELNS1_11target_archE908ELNS1_3gpuE7ELNS1_3repE0EEENS1_30default_config_static_selectorELNS0_4arch9wavefront6targetE1EEEvT1_
; %bb.0:
	.section	.rodata,"a",@progbits
	.p2align	6, 0x0
	.amdhsa_kernel _ZN7rocprim17ROCPRIM_400000_NS6detail17trampoline_kernelINS0_14default_configENS1_29reduce_by_key_config_selectorIyjN6thrust23THRUST_200600_302600_NS4plusIjEEEEZZNS1_33reduce_by_key_impl_wrapped_configILNS1_25lookback_scan_determinismE0ES3_S9_NS6_6detail15normal_iteratorINS6_10device_ptrIyEEEENSD_INSE_IjEEEESG_SI_PmS8_NS6_8equal_toIyEEEE10hipError_tPvRmT2_T3_mT4_T5_T6_T7_T8_P12ihipStream_tbENKUlT_T0_E_clISt17integral_constantIbLb1EES12_IbLb0EEEEDaSY_SZ_EUlSY_E_NS1_11comp_targetILNS1_3genE3ELNS1_11target_archE908ELNS1_3gpuE7ELNS1_3repE0EEENS1_30default_config_static_selectorELNS0_4arch9wavefront6targetE1EEEvT1_
		.amdhsa_group_segment_fixed_size 0
		.amdhsa_private_segment_fixed_size 0
		.amdhsa_kernarg_size 120
		.amdhsa_user_sgpr_count 6
		.amdhsa_user_sgpr_private_segment_buffer 1
		.amdhsa_user_sgpr_dispatch_ptr 0
		.amdhsa_user_sgpr_queue_ptr 0
		.amdhsa_user_sgpr_kernarg_segment_ptr 1
		.amdhsa_user_sgpr_dispatch_id 0
		.amdhsa_user_sgpr_flat_scratch_init 0
		.amdhsa_user_sgpr_kernarg_preload_length 0
		.amdhsa_user_sgpr_kernarg_preload_offset 0
		.amdhsa_user_sgpr_private_segment_size 0
		.amdhsa_uses_dynamic_stack 0
		.amdhsa_system_sgpr_private_segment_wavefront_offset 0
		.amdhsa_system_sgpr_workgroup_id_x 1
		.amdhsa_system_sgpr_workgroup_id_y 0
		.amdhsa_system_sgpr_workgroup_id_z 0
		.amdhsa_system_sgpr_workgroup_info 0
		.amdhsa_system_vgpr_workitem_id 0
		.amdhsa_next_free_vgpr 1
		.amdhsa_next_free_sgpr 0
		.amdhsa_accum_offset 4
		.amdhsa_reserve_vcc 0
		.amdhsa_reserve_flat_scratch 0
		.amdhsa_float_round_mode_32 0
		.amdhsa_float_round_mode_16_64 0
		.amdhsa_float_denorm_mode_32 3
		.amdhsa_float_denorm_mode_16_64 3
		.amdhsa_dx10_clamp 1
		.amdhsa_ieee_mode 1
		.amdhsa_fp16_overflow 0
		.amdhsa_tg_split 0
		.amdhsa_exception_fp_ieee_invalid_op 0
		.amdhsa_exception_fp_denorm_src 0
		.amdhsa_exception_fp_ieee_div_zero 0
		.amdhsa_exception_fp_ieee_overflow 0
		.amdhsa_exception_fp_ieee_underflow 0
		.amdhsa_exception_fp_ieee_inexact 0
		.amdhsa_exception_int_div_zero 0
	.end_amdhsa_kernel
	.section	.text._ZN7rocprim17ROCPRIM_400000_NS6detail17trampoline_kernelINS0_14default_configENS1_29reduce_by_key_config_selectorIyjN6thrust23THRUST_200600_302600_NS4plusIjEEEEZZNS1_33reduce_by_key_impl_wrapped_configILNS1_25lookback_scan_determinismE0ES3_S9_NS6_6detail15normal_iteratorINS6_10device_ptrIyEEEENSD_INSE_IjEEEESG_SI_PmS8_NS6_8equal_toIyEEEE10hipError_tPvRmT2_T3_mT4_T5_T6_T7_T8_P12ihipStream_tbENKUlT_T0_E_clISt17integral_constantIbLb1EES12_IbLb0EEEEDaSY_SZ_EUlSY_E_NS1_11comp_targetILNS1_3genE3ELNS1_11target_archE908ELNS1_3gpuE7ELNS1_3repE0EEENS1_30default_config_static_selectorELNS0_4arch9wavefront6targetE1EEEvT1_,"axG",@progbits,_ZN7rocprim17ROCPRIM_400000_NS6detail17trampoline_kernelINS0_14default_configENS1_29reduce_by_key_config_selectorIyjN6thrust23THRUST_200600_302600_NS4plusIjEEEEZZNS1_33reduce_by_key_impl_wrapped_configILNS1_25lookback_scan_determinismE0ES3_S9_NS6_6detail15normal_iteratorINS6_10device_ptrIyEEEENSD_INSE_IjEEEESG_SI_PmS8_NS6_8equal_toIyEEEE10hipError_tPvRmT2_T3_mT4_T5_T6_T7_T8_P12ihipStream_tbENKUlT_T0_E_clISt17integral_constantIbLb1EES12_IbLb0EEEEDaSY_SZ_EUlSY_E_NS1_11comp_targetILNS1_3genE3ELNS1_11target_archE908ELNS1_3gpuE7ELNS1_3repE0EEENS1_30default_config_static_selectorELNS0_4arch9wavefront6targetE1EEEvT1_,comdat
.Lfunc_end718:
	.size	_ZN7rocprim17ROCPRIM_400000_NS6detail17trampoline_kernelINS0_14default_configENS1_29reduce_by_key_config_selectorIyjN6thrust23THRUST_200600_302600_NS4plusIjEEEEZZNS1_33reduce_by_key_impl_wrapped_configILNS1_25lookback_scan_determinismE0ES3_S9_NS6_6detail15normal_iteratorINS6_10device_ptrIyEEEENSD_INSE_IjEEEESG_SI_PmS8_NS6_8equal_toIyEEEE10hipError_tPvRmT2_T3_mT4_T5_T6_T7_T8_P12ihipStream_tbENKUlT_T0_E_clISt17integral_constantIbLb1EES12_IbLb0EEEEDaSY_SZ_EUlSY_E_NS1_11comp_targetILNS1_3genE3ELNS1_11target_archE908ELNS1_3gpuE7ELNS1_3repE0EEENS1_30default_config_static_selectorELNS0_4arch9wavefront6targetE1EEEvT1_, .Lfunc_end718-_ZN7rocprim17ROCPRIM_400000_NS6detail17trampoline_kernelINS0_14default_configENS1_29reduce_by_key_config_selectorIyjN6thrust23THRUST_200600_302600_NS4plusIjEEEEZZNS1_33reduce_by_key_impl_wrapped_configILNS1_25lookback_scan_determinismE0ES3_S9_NS6_6detail15normal_iteratorINS6_10device_ptrIyEEEENSD_INSE_IjEEEESG_SI_PmS8_NS6_8equal_toIyEEEE10hipError_tPvRmT2_T3_mT4_T5_T6_T7_T8_P12ihipStream_tbENKUlT_T0_E_clISt17integral_constantIbLb1EES12_IbLb0EEEEDaSY_SZ_EUlSY_E_NS1_11comp_targetILNS1_3genE3ELNS1_11target_archE908ELNS1_3gpuE7ELNS1_3repE0EEENS1_30default_config_static_selectorELNS0_4arch9wavefront6targetE1EEEvT1_
                                        ; -- End function
	.section	.AMDGPU.csdata,"",@progbits
; Kernel info:
; codeLenInByte = 0
; NumSgprs: 4
; NumVgprs: 0
; NumAgprs: 0
; TotalNumVgprs: 0
; ScratchSize: 0
; MemoryBound: 0
; FloatMode: 240
; IeeeMode: 1
; LDSByteSize: 0 bytes/workgroup (compile time only)
; SGPRBlocks: 0
; VGPRBlocks: 0
; NumSGPRsForWavesPerEU: 4
; NumVGPRsForWavesPerEU: 1
; AccumOffset: 4
; Occupancy: 8
; WaveLimiterHint : 0
; COMPUTE_PGM_RSRC2:SCRATCH_EN: 0
; COMPUTE_PGM_RSRC2:USER_SGPR: 6
; COMPUTE_PGM_RSRC2:TRAP_HANDLER: 0
; COMPUTE_PGM_RSRC2:TGID_X_EN: 1
; COMPUTE_PGM_RSRC2:TGID_Y_EN: 0
; COMPUTE_PGM_RSRC2:TGID_Z_EN: 0
; COMPUTE_PGM_RSRC2:TIDIG_COMP_CNT: 0
; COMPUTE_PGM_RSRC3_GFX90A:ACCUM_OFFSET: 0
; COMPUTE_PGM_RSRC3_GFX90A:TG_SPLIT: 0
	.section	.text._ZN7rocprim17ROCPRIM_400000_NS6detail17trampoline_kernelINS0_14default_configENS1_29reduce_by_key_config_selectorIyjN6thrust23THRUST_200600_302600_NS4plusIjEEEEZZNS1_33reduce_by_key_impl_wrapped_configILNS1_25lookback_scan_determinismE0ES3_S9_NS6_6detail15normal_iteratorINS6_10device_ptrIyEEEENSD_INSE_IjEEEESG_SI_PmS8_NS6_8equal_toIyEEEE10hipError_tPvRmT2_T3_mT4_T5_T6_T7_T8_P12ihipStream_tbENKUlT_T0_E_clISt17integral_constantIbLb1EES12_IbLb0EEEEDaSY_SZ_EUlSY_E_NS1_11comp_targetILNS1_3genE2ELNS1_11target_archE906ELNS1_3gpuE6ELNS1_3repE0EEENS1_30default_config_static_selectorELNS0_4arch9wavefront6targetE1EEEvT1_,"axG",@progbits,_ZN7rocprim17ROCPRIM_400000_NS6detail17trampoline_kernelINS0_14default_configENS1_29reduce_by_key_config_selectorIyjN6thrust23THRUST_200600_302600_NS4plusIjEEEEZZNS1_33reduce_by_key_impl_wrapped_configILNS1_25lookback_scan_determinismE0ES3_S9_NS6_6detail15normal_iteratorINS6_10device_ptrIyEEEENSD_INSE_IjEEEESG_SI_PmS8_NS6_8equal_toIyEEEE10hipError_tPvRmT2_T3_mT4_T5_T6_T7_T8_P12ihipStream_tbENKUlT_T0_E_clISt17integral_constantIbLb1EES12_IbLb0EEEEDaSY_SZ_EUlSY_E_NS1_11comp_targetILNS1_3genE2ELNS1_11target_archE906ELNS1_3gpuE6ELNS1_3repE0EEENS1_30default_config_static_selectorELNS0_4arch9wavefront6targetE1EEEvT1_,comdat
	.protected	_ZN7rocprim17ROCPRIM_400000_NS6detail17trampoline_kernelINS0_14default_configENS1_29reduce_by_key_config_selectorIyjN6thrust23THRUST_200600_302600_NS4plusIjEEEEZZNS1_33reduce_by_key_impl_wrapped_configILNS1_25lookback_scan_determinismE0ES3_S9_NS6_6detail15normal_iteratorINS6_10device_ptrIyEEEENSD_INSE_IjEEEESG_SI_PmS8_NS6_8equal_toIyEEEE10hipError_tPvRmT2_T3_mT4_T5_T6_T7_T8_P12ihipStream_tbENKUlT_T0_E_clISt17integral_constantIbLb1EES12_IbLb0EEEEDaSY_SZ_EUlSY_E_NS1_11comp_targetILNS1_3genE2ELNS1_11target_archE906ELNS1_3gpuE6ELNS1_3repE0EEENS1_30default_config_static_selectorELNS0_4arch9wavefront6targetE1EEEvT1_ ; -- Begin function _ZN7rocprim17ROCPRIM_400000_NS6detail17trampoline_kernelINS0_14default_configENS1_29reduce_by_key_config_selectorIyjN6thrust23THRUST_200600_302600_NS4plusIjEEEEZZNS1_33reduce_by_key_impl_wrapped_configILNS1_25lookback_scan_determinismE0ES3_S9_NS6_6detail15normal_iteratorINS6_10device_ptrIyEEEENSD_INSE_IjEEEESG_SI_PmS8_NS6_8equal_toIyEEEE10hipError_tPvRmT2_T3_mT4_T5_T6_T7_T8_P12ihipStream_tbENKUlT_T0_E_clISt17integral_constantIbLb1EES12_IbLb0EEEEDaSY_SZ_EUlSY_E_NS1_11comp_targetILNS1_3genE2ELNS1_11target_archE906ELNS1_3gpuE6ELNS1_3repE0EEENS1_30default_config_static_selectorELNS0_4arch9wavefront6targetE1EEEvT1_
	.globl	_ZN7rocprim17ROCPRIM_400000_NS6detail17trampoline_kernelINS0_14default_configENS1_29reduce_by_key_config_selectorIyjN6thrust23THRUST_200600_302600_NS4plusIjEEEEZZNS1_33reduce_by_key_impl_wrapped_configILNS1_25lookback_scan_determinismE0ES3_S9_NS6_6detail15normal_iteratorINS6_10device_ptrIyEEEENSD_INSE_IjEEEESG_SI_PmS8_NS6_8equal_toIyEEEE10hipError_tPvRmT2_T3_mT4_T5_T6_T7_T8_P12ihipStream_tbENKUlT_T0_E_clISt17integral_constantIbLb1EES12_IbLb0EEEEDaSY_SZ_EUlSY_E_NS1_11comp_targetILNS1_3genE2ELNS1_11target_archE906ELNS1_3gpuE6ELNS1_3repE0EEENS1_30default_config_static_selectorELNS0_4arch9wavefront6targetE1EEEvT1_
	.p2align	8
	.type	_ZN7rocprim17ROCPRIM_400000_NS6detail17trampoline_kernelINS0_14default_configENS1_29reduce_by_key_config_selectorIyjN6thrust23THRUST_200600_302600_NS4plusIjEEEEZZNS1_33reduce_by_key_impl_wrapped_configILNS1_25lookback_scan_determinismE0ES3_S9_NS6_6detail15normal_iteratorINS6_10device_ptrIyEEEENSD_INSE_IjEEEESG_SI_PmS8_NS6_8equal_toIyEEEE10hipError_tPvRmT2_T3_mT4_T5_T6_T7_T8_P12ihipStream_tbENKUlT_T0_E_clISt17integral_constantIbLb1EES12_IbLb0EEEEDaSY_SZ_EUlSY_E_NS1_11comp_targetILNS1_3genE2ELNS1_11target_archE906ELNS1_3gpuE6ELNS1_3repE0EEENS1_30default_config_static_selectorELNS0_4arch9wavefront6targetE1EEEvT1_,@function
_ZN7rocprim17ROCPRIM_400000_NS6detail17trampoline_kernelINS0_14default_configENS1_29reduce_by_key_config_selectorIyjN6thrust23THRUST_200600_302600_NS4plusIjEEEEZZNS1_33reduce_by_key_impl_wrapped_configILNS1_25lookback_scan_determinismE0ES3_S9_NS6_6detail15normal_iteratorINS6_10device_ptrIyEEEENSD_INSE_IjEEEESG_SI_PmS8_NS6_8equal_toIyEEEE10hipError_tPvRmT2_T3_mT4_T5_T6_T7_T8_P12ihipStream_tbENKUlT_T0_E_clISt17integral_constantIbLb1EES12_IbLb0EEEEDaSY_SZ_EUlSY_E_NS1_11comp_targetILNS1_3genE2ELNS1_11target_archE906ELNS1_3gpuE6ELNS1_3repE0EEENS1_30default_config_static_selectorELNS0_4arch9wavefront6targetE1EEEvT1_: ; @_ZN7rocprim17ROCPRIM_400000_NS6detail17trampoline_kernelINS0_14default_configENS1_29reduce_by_key_config_selectorIyjN6thrust23THRUST_200600_302600_NS4plusIjEEEEZZNS1_33reduce_by_key_impl_wrapped_configILNS1_25lookback_scan_determinismE0ES3_S9_NS6_6detail15normal_iteratorINS6_10device_ptrIyEEEENSD_INSE_IjEEEESG_SI_PmS8_NS6_8equal_toIyEEEE10hipError_tPvRmT2_T3_mT4_T5_T6_T7_T8_P12ihipStream_tbENKUlT_T0_E_clISt17integral_constantIbLb1EES12_IbLb0EEEEDaSY_SZ_EUlSY_E_NS1_11comp_targetILNS1_3genE2ELNS1_11target_archE906ELNS1_3gpuE6ELNS1_3repE0EEENS1_30default_config_static_selectorELNS0_4arch9wavefront6targetE1EEEvT1_
; %bb.0:
	.section	.rodata,"a",@progbits
	.p2align	6, 0x0
	.amdhsa_kernel _ZN7rocprim17ROCPRIM_400000_NS6detail17trampoline_kernelINS0_14default_configENS1_29reduce_by_key_config_selectorIyjN6thrust23THRUST_200600_302600_NS4plusIjEEEEZZNS1_33reduce_by_key_impl_wrapped_configILNS1_25lookback_scan_determinismE0ES3_S9_NS6_6detail15normal_iteratorINS6_10device_ptrIyEEEENSD_INSE_IjEEEESG_SI_PmS8_NS6_8equal_toIyEEEE10hipError_tPvRmT2_T3_mT4_T5_T6_T7_T8_P12ihipStream_tbENKUlT_T0_E_clISt17integral_constantIbLb1EES12_IbLb0EEEEDaSY_SZ_EUlSY_E_NS1_11comp_targetILNS1_3genE2ELNS1_11target_archE906ELNS1_3gpuE6ELNS1_3repE0EEENS1_30default_config_static_selectorELNS0_4arch9wavefront6targetE1EEEvT1_
		.amdhsa_group_segment_fixed_size 0
		.amdhsa_private_segment_fixed_size 0
		.amdhsa_kernarg_size 120
		.amdhsa_user_sgpr_count 6
		.amdhsa_user_sgpr_private_segment_buffer 1
		.amdhsa_user_sgpr_dispatch_ptr 0
		.amdhsa_user_sgpr_queue_ptr 0
		.amdhsa_user_sgpr_kernarg_segment_ptr 1
		.amdhsa_user_sgpr_dispatch_id 0
		.amdhsa_user_sgpr_flat_scratch_init 0
		.amdhsa_user_sgpr_kernarg_preload_length 0
		.amdhsa_user_sgpr_kernarg_preload_offset 0
		.amdhsa_user_sgpr_private_segment_size 0
		.amdhsa_uses_dynamic_stack 0
		.amdhsa_system_sgpr_private_segment_wavefront_offset 0
		.amdhsa_system_sgpr_workgroup_id_x 1
		.amdhsa_system_sgpr_workgroup_id_y 0
		.amdhsa_system_sgpr_workgroup_id_z 0
		.amdhsa_system_sgpr_workgroup_info 0
		.amdhsa_system_vgpr_workitem_id 0
		.amdhsa_next_free_vgpr 1
		.amdhsa_next_free_sgpr 0
		.amdhsa_accum_offset 4
		.amdhsa_reserve_vcc 0
		.amdhsa_reserve_flat_scratch 0
		.amdhsa_float_round_mode_32 0
		.amdhsa_float_round_mode_16_64 0
		.amdhsa_float_denorm_mode_32 3
		.amdhsa_float_denorm_mode_16_64 3
		.amdhsa_dx10_clamp 1
		.amdhsa_ieee_mode 1
		.amdhsa_fp16_overflow 0
		.amdhsa_tg_split 0
		.amdhsa_exception_fp_ieee_invalid_op 0
		.amdhsa_exception_fp_denorm_src 0
		.amdhsa_exception_fp_ieee_div_zero 0
		.amdhsa_exception_fp_ieee_overflow 0
		.amdhsa_exception_fp_ieee_underflow 0
		.amdhsa_exception_fp_ieee_inexact 0
		.amdhsa_exception_int_div_zero 0
	.end_amdhsa_kernel
	.section	.text._ZN7rocprim17ROCPRIM_400000_NS6detail17trampoline_kernelINS0_14default_configENS1_29reduce_by_key_config_selectorIyjN6thrust23THRUST_200600_302600_NS4plusIjEEEEZZNS1_33reduce_by_key_impl_wrapped_configILNS1_25lookback_scan_determinismE0ES3_S9_NS6_6detail15normal_iteratorINS6_10device_ptrIyEEEENSD_INSE_IjEEEESG_SI_PmS8_NS6_8equal_toIyEEEE10hipError_tPvRmT2_T3_mT4_T5_T6_T7_T8_P12ihipStream_tbENKUlT_T0_E_clISt17integral_constantIbLb1EES12_IbLb0EEEEDaSY_SZ_EUlSY_E_NS1_11comp_targetILNS1_3genE2ELNS1_11target_archE906ELNS1_3gpuE6ELNS1_3repE0EEENS1_30default_config_static_selectorELNS0_4arch9wavefront6targetE1EEEvT1_,"axG",@progbits,_ZN7rocprim17ROCPRIM_400000_NS6detail17trampoline_kernelINS0_14default_configENS1_29reduce_by_key_config_selectorIyjN6thrust23THRUST_200600_302600_NS4plusIjEEEEZZNS1_33reduce_by_key_impl_wrapped_configILNS1_25lookback_scan_determinismE0ES3_S9_NS6_6detail15normal_iteratorINS6_10device_ptrIyEEEENSD_INSE_IjEEEESG_SI_PmS8_NS6_8equal_toIyEEEE10hipError_tPvRmT2_T3_mT4_T5_T6_T7_T8_P12ihipStream_tbENKUlT_T0_E_clISt17integral_constantIbLb1EES12_IbLb0EEEEDaSY_SZ_EUlSY_E_NS1_11comp_targetILNS1_3genE2ELNS1_11target_archE906ELNS1_3gpuE6ELNS1_3repE0EEENS1_30default_config_static_selectorELNS0_4arch9wavefront6targetE1EEEvT1_,comdat
.Lfunc_end719:
	.size	_ZN7rocprim17ROCPRIM_400000_NS6detail17trampoline_kernelINS0_14default_configENS1_29reduce_by_key_config_selectorIyjN6thrust23THRUST_200600_302600_NS4plusIjEEEEZZNS1_33reduce_by_key_impl_wrapped_configILNS1_25lookback_scan_determinismE0ES3_S9_NS6_6detail15normal_iteratorINS6_10device_ptrIyEEEENSD_INSE_IjEEEESG_SI_PmS8_NS6_8equal_toIyEEEE10hipError_tPvRmT2_T3_mT4_T5_T6_T7_T8_P12ihipStream_tbENKUlT_T0_E_clISt17integral_constantIbLb1EES12_IbLb0EEEEDaSY_SZ_EUlSY_E_NS1_11comp_targetILNS1_3genE2ELNS1_11target_archE906ELNS1_3gpuE6ELNS1_3repE0EEENS1_30default_config_static_selectorELNS0_4arch9wavefront6targetE1EEEvT1_, .Lfunc_end719-_ZN7rocprim17ROCPRIM_400000_NS6detail17trampoline_kernelINS0_14default_configENS1_29reduce_by_key_config_selectorIyjN6thrust23THRUST_200600_302600_NS4plusIjEEEEZZNS1_33reduce_by_key_impl_wrapped_configILNS1_25lookback_scan_determinismE0ES3_S9_NS6_6detail15normal_iteratorINS6_10device_ptrIyEEEENSD_INSE_IjEEEESG_SI_PmS8_NS6_8equal_toIyEEEE10hipError_tPvRmT2_T3_mT4_T5_T6_T7_T8_P12ihipStream_tbENKUlT_T0_E_clISt17integral_constantIbLb1EES12_IbLb0EEEEDaSY_SZ_EUlSY_E_NS1_11comp_targetILNS1_3genE2ELNS1_11target_archE906ELNS1_3gpuE6ELNS1_3repE0EEENS1_30default_config_static_selectorELNS0_4arch9wavefront6targetE1EEEvT1_
                                        ; -- End function
	.section	.AMDGPU.csdata,"",@progbits
; Kernel info:
; codeLenInByte = 0
; NumSgprs: 4
; NumVgprs: 0
; NumAgprs: 0
; TotalNumVgprs: 0
; ScratchSize: 0
; MemoryBound: 0
; FloatMode: 240
; IeeeMode: 1
; LDSByteSize: 0 bytes/workgroup (compile time only)
; SGPRBlocks: 0
; VGPRBlocks: 0
; NumSGPRsForWavesPerEU: 4
; NumVGPRsForWavesPerEU: 1
; AccumOffset: 4
; Occupancy: 8
; WaveLimiterHint : 0
; COMPUTE_PGM_RSRC2:SCRATCH_EN: 0
; COMPUTE_PGM_RSRC2:USER_SGPR: 6
; COMPUTE_PGM_RSRC2:TRAP_HANDLER: 0
; COMPUTE_PGM_RSRC2:TGID_X_EN: 1
; COMPUTE_PGM_RSRC2:TGID_Y_EN: 0
; COMPUTE_PGM_RSRC2:TGID_Z_EN: 0
; COMPUTE_PGM_RSRC2:TIDIG_COMP_CNT: 0
; COMPUTE_PGM_RSRC3_GFX90A:ACCUM_OFFSET: 0
; COMPUTE_PGM_RSRC3_GFX90A:TG_SPLIT: 0
	.section	.text._ZN7rocprim17ROCPRIM_400000_NS6detail17trampoline_kernelINS0_14default_configENS1_29reduce_by_key_config_selectorIyjN6thrust23THRUST_200600_302600_NS4plusIjEEEEZZNS1_33reduce_by_key_impl_wrapped_configILNS1_25lookback_scan_determinismE0ES3_S9_NS6_6detail15normal_iteratorINS6_10device_ptrIyEEEENSD_INSE_IjEEEESG_SI_PmS8_NS6_8equal_toIyEEEE10hipError_tPvRmT2_T3_mT4_T5_T6_T7_T8_P12ihipStream_tbENKUlT_T0_E_clISt17integral_constantIbLb1EES12_IbLb0EEEEDaSY_SZ_EUlSY_E_NS1_11comp_targetILNS1_3genE10ELNS1_11target_archE1201ELNS1_3gpuE5ELNS1_3repE0EEENS1_30default_config_static_selectorELNS0_4arch9wavefront6targetE1EEEvT1_,"axG",@progbits,_ZN7rocprim17ROCPRIM_400000_NS6detail17trampoline_kernelINS0_14default_configENS1_29reduce_by_key_config_selectorIyjN6thrust23THRUST_200600_302600_NS4plusIjEEEEZZNS1_33reduce_by_key_impl_wrapped_configILNS1_25lookback_scan_determinismE0ES3_S9_NS6_6detail15normal_iteratorINS6_10device_ptrIyEEEENSD_INSE_IjEEEESG_SI_PmS8_NS6_8equal_toIyEEEE10hipError_tPvRmT2_T3_mT4_T5_T6_T7_T8_P12ihipStream_tbENKUlT_T0_E_clISt17integral_constantIbLb1EES12_IbLb0EEEEDaSY_SZ_EUlSY_E_NS1_11comp_targetILNS1_3genE10ELNS1_11target_archE1201ELNS1_3gpuE5ELNS1_3repE0EEENS1_30default_config_static_selectorELNS0_4arch9wavefront6targetE1EEEvT1_,comdat
	.protected	_ZN7rocprim17ROCPRIM_400000_NS6detail17trampoline_kernelINS0_14default_configENS1_29reduce_by_key_config_selectorIyjN6thrust23THRUST_200600_302600_NS4plusIjEEEEZZNS1_33reduce_by_key_impl_wrapped_configILNS1_25lookback_scan_determinismE0ES3_S9_NS6_6detail15normal_iteratorINS6_10device_ptrIyEEEENSD_INSE_IjEEEESG_SI_PmS8_NS6_8equal_toIyEEEE10hipError_tPvRmT2_T3_mT4_T5_T6_T7_T8_P12ihipStream_tbENKUlT_T0_E_clISt17integral_constantIbLb1EES12_IbLb0EEEEDaSY_SZ_EUlSY_E_NS1_11comp_targetILNS1_3genE10ELNS1_11target_archE1201ELNS1_3gpuE5ELNS1_3repE0EEENS1_30default_config_static_selectorELNS0_4arch9wavefront6targetE1EEEvT1_ ; -- Begin function _ZN7rocprim17ROCPRIM_400000_NS6detail17trampoline_kernelINS0_14default_configENS1_29reduce_by_key_config_selectorIyjN6thrust23THRUST_200600_302600_NS4plusIjEEEEZZNS1_33reduce_by_key_impl_wrapped_configILNS1_25lookback_scan_determinismE0ES3_S9_NS6_6detail15normal_iteratorINS6_10device_ptrIyEEEENSD_INSE_IjEEEESG_SI_PmS8_NS6_8equal_toIyEEEE10hipError_tPvRmT2_T3_mT4_T5_T6_T7_T8_P12ihipStream_tbENKUlT_T0_E_clISt17integral_constantIbLb1EES12_IbLb0EEEEDaSY_SZ_EUlSY_E_NS1_11comp_targetILNS1_3genE10ELNS1_11target_archE1201ELNS1_3gpuE5ELNS1_3repE0EEENS1_30default_config_static_selectorELNS0_4arch9wavefront6targetE1EEEvT1_
	.globl	_ZN7rocprim17ROCPRIM_400000_NS6detail17trampoline_kernelINS0_14default_configENS1_29reduce_by_key_config_selectorIyjN6thrust23THRUST_200600_302600_NS4plusIjEEEEZZNS1_33reduce_by_key_impl_wrapped_configILNS1_25lookback_scan_determinismE0ES3_S9_NS6_6detail15normal_iteratorINS6_10device_ptrIyEEEENSD_INSE_IjEEEESG_SI_PmS8_NS6_8equal_toIyEEEE10hipError_tPvRmT2_T3_mT4_T5_T6_T7_T8_P12ihipStream_tbENKUlT_T0_E_clISt17integral_constantIbLb1EES12_IbLb0EEEEDaSY_SZ_EUlSY_E_NS1_11comp_targetILNS1_3genE10ELNS1_11target_archE1201ELNS1_3gpuE5ELNS1_3repE0EEENS1_30default_config_static_selectorELNS0_4arch9wavefront6targetE1EEEvT1_
	.p2align	8
	.type	_ZN7rocprim17ROCPRIM_400000_NS6detail17trampoline_kernelINS0_14default_configENS1_29reduce_by_key_config_selectorIyjN6thrust23THRUST_200600_302600_NS4plusIjEEEEZZNS1_33reduce_by_key_impl_wrapped_configILNS1_25lookback_scan_determinismE0ES3_S9_NS6_6detail15normal_iteratorINS6_10device_ptrIyEEEENSD_INSE_IjEEEESG_SI_PmS8_NS6_8equal_toIyEEEE10hipError_tPvRmT2_T3_mT4_T5_T6_T7_T8_P12ihipStream_tbENKUlT_T0_E_clISt17integral_constantIbLb1EES12_IbLb0EEEEDaSY_SZ_EUlSY_E_NS1_11comp_targetILNS1_3genE10ELNS1_11target_archE1201ELNS1_3gpuE5ELNS1_3repE0EEENS1_30default_config_static_selectorELNS0_4arch9wavefront6targetE1EEEvT1_,@function
_ZN7rocprim17ROCPRIM_400000_NS6detail17trampoline_kernelINS0_14default_configENS1_29reduce_by_key_config_selectorIyjN6thrust23THRUST_200600_302600_NS4plusIjEEEEZZNS1_33reduce_by_key_impl_wrapped_configILNS1_25lookback_scan_determinismE0ES3_S9_NS6_6detail15normal_iteratorINS6_10device_ptrIyEEEENSD_INSE_IjEEEESG_SI_PmS8_NS6_8equal_toIyEEEE10hipError_tPvRmT2_T3_mT4_T5_T6_T7_T8_P12ihipStream_tbENKUlT_T0_E_clISt17integral_constantIbLb1EES12_IbLb0EEEEDaSY_SZ_EUlSY_E_NS1_11comp_targetILNS1_3genE10ELNS1_11target_archE1201ELNS1_3gpuE5ELNS1_3repE0EEENS1_30default_config_static_selectorELNS0_4arch9wavefront6targetE1EEEvT1_: ; @_ZN7rocprim17ROCPRIM_400000_NS6detail17trampoline_kernelINS0_14default_configENS1_29reduce_by_key_config_selectorIyjN6thrust23THRUST_200600_302600_NS4plusIjEEEEZZNS1_33reduce_by_key_impl_wrapped_configILNS1_25lookback_scan_determinismE0ES3_S9_NS6_6detail15normal_iteratorINS6_10device_ptrIyEEEENSD_INSE_IjEEEESG_SI_PmS8_NS6_8equal_toIyEEEE10hipError_tPvRmT2_T3_mT4_T5_T6_T7_T8_P12ihipStream_tbENKUlT_T0_E_clISt17integral_constantIbLb1EES12_IbLb0EEEEDaSY_SZ_EUlSY_E_NS1_11comp_targetILNS1_3genE10ELNS1_11target_archE1201ELNS1_3gpuE5ELNS1_3repE0EEENS1_30default_config_static_selectorELNS0_4arch9wavefront6targetE1EEEvT1_
; %bb.0:
	.section	.rodata,"a",@progbits
	.p2align	6, 0x0
	.amdhsa_kernel _ZN7rocprim17ROCPRIM_400000_NS6detail17trampoline_kernelINS0_14default_configENS1_29reduce_by_key_config_selectorIyjN6thrust23THRUST_200600_302600_NS4plusIjEEEEZZNS1_33reduce_by_key_impl_wrapped_configILNS1_25lookback_scan_determinismE0ES3_S9_NS6_6detail15normal_iteratorINS6_10device_ptrIyEEEENSD_INSE_IjEEEESG_SI_PmS8_NS6_8equal_toIyEEEE10hipError_tPvRmT2_T3_mT4_T5_T6_T7_T8_P12ihipStream_tbENKUlT_T0_E_clISt17integral_constantIbLb1EES12_IbLb0EEEEDaSY_SZ_EUlSY_E_NS1_11comp_targetILNS1_3genE10ELNS1_11target_archE1201ELNS1_3gpuE5ELNS1_3repE0EEENS1_30default_config_static_selectorELNS0_4arch9wavefront6targetE1EEEvT1_
		.amdhsa_group_segment_fixed_size 0
		.amdhsa_private_segment_fixed_size 0
		.amdhsa_kernarg_size 120
		.amdhsa_user_sgpr_count 6
		.amdhsa_user_sgpr_private_segment_buffer 1
		.amdhsa_user_sgpr_dispatch_ptr 0
		.amdhsa_user_sgpr_queue_ptr 0
		.amdhsa_user_sgpr_kernarg_segment_ptr 1
		.amdhsa_user_sgpr_dispatch_id 0
		.amdhsa_user_sgpr_flat_scratch_init 0
		.amdhsa_user_sgpr_kernarg_preload_length 0
		.amdhsa_user_sgpr_kernarg_preload_offset 0
		.amdhsa_user_sgpr_private_segment_size 0
		.amdhsa_uses_dynamic_stack 0
		.amdhsa_system_sgpr_private_segment_wavefront_offset 0
		.amdhsa_system_sgpr_workgroup_id_x 1
		.amdhsa_system_sgpr_workgroup_id_y 0
		.amdhsa_system_sgpr_workgroup_id_z 0
		.amdhsa_system_sgpr_workgroup_info 0
		.amdhsa_system_vgpr_workitem_id 0
		.amdhsa_next_free_vgpr 1
		.amdhsa_next_free_sgpr 0
		.amdhsa_accum_offset 4
		.amdhsa_reserve_vcc 0
		.amdhsa_reserve_flat_scratch 0
		.amdhsa_float_round_mode_32 0
		.amdhsa_float_round_mode_16_64 0
		.amdhsa_float_denorm_mode_32 3
		.amdhsa_float_denorm_mode_16_64 3
		.amdhsa_dx10_clamp 1
		.amdhsa_ieee_mode 1
		.amdhsa_fp16_overflow 0
		.amdhsa_tg_split 0
		.amdhsa_exception_fp_ieee_invalid_op 0
		.amdhsa_exception_fp_denorm_src 0
		.amdhsa_exception_fp_ieee_div_zero 0
		.amdhsa_exception_fp_ieee_overflow 0
		.amdhsa_exception_fp_ieee_underflow 0
		.amdhsa_exception_fp_ieee_inexact 0
		.amdhsa_exception_int_div_zero 0
	.end_amdhsa_kernel
	.section	.text._ZN7rocprim17ROCPRIM_400000_NS6detail17trampoline_kernelINS0_14default_configENS1_29reduce_by_key_config_selectorIyjN6thrust23THRUST_200600_302600_NS4plusIjEEEEZZNS1_33reduce_by_key_impl_wrapped_configILNS1_25lookback_scan_determinismE0ES3_S9_NS6_6detail15normal_iteratorINS6_10device_ptrIyEEEENSD_INSE_IjEEEESG_SI_PmS8_NS6_8equal_toIyEEEE10hipError_tPvRmT2_T3_mT4_T5_T6_T7_T8_P12ihipStream_tbENKUlT_T0_E_clISt17integral_constantIbLb1EES12_IbLb0EEEEDaSY_SZ_EUlSY_E_NS1_11comp_targetILNS1_3genE10ELNS1_11target_archE1201ELNS1_3gpuE5ELNS1_3repE0EEENS1_30default_config_static_selectorELNS0_4arch9wavefront6targetE1EEEvT1_,"axG",@progbits,_ZN7rocprim17ROCPRIM_400000_NS6detail17trampoline_kernelINS0_14default_configENS1_29reduce_by_key_config_selectorIyjN6thrust23THRUST_200600_302600_NS4plusIjEEEEZZNS1_33reduce_by_key_impl_wrapped_configILNS1_25lookback_scan_determinismE0ES3_S9_NS6_6detail15normal_iteratorINS6_10device_ptrIyEEEENSD_INSE_IjEEEESG_SI_PmS8_NS6_8equal_toIyEEEE10hipError_tPvRmT2_T3_mT4_T5_T6_T7_T8_P12ihipStream_tbENKUlT_T0_E_clISt17integral_constantIbLb1EES12_IbLb0EEEEDaSY_SZ_EUlSY_E_NS1_11comp_targetILNS1_3genE10ELNS1_11target_archE1201ELNS1_3gpuE5ELNS1_3repE0EEENS1_30default_config_static_selectorELNS0_4arch9wavefront6targetE1EEEvT1_,comdat
.Lfunc_end720:
	.size	_ZN7rocprim17ROCPRIM_400000_NS6detail17trampoline_kernelINS0_14default_configENS1_29reduce_by_key_config_selectorIyjN6thrust23THRUST_200600_302600_NS4plusIjEEEEZZNS1_33reduce_by_key_impl_wrapped_configILNS1_25lookback_scan_determinismE0ES3_S9_NS6_6detail15normal_iteratorINS6_10device_ptrIyEEEENSD_INSE_IjEEEESG_SI_PmS8_NS6_8equal_toIyEEEE10hipError_tPvRmT2_T3_mT4_T5_T6_T7_T8_P12ihipStream_tbENKUlT_T0_E_clISt17integral_constantIbLb1EES12_IbLb0EEEEDaSY_SZ_EUlSY_E_NS1_11comp_targetILNS1_3genE10ELNS1_11target_archE1201ELNS1_3gpuE5ELNS1_3repE0EEENS1_30default_config_static_selectorELNS0_4arch9wavefront6targetE1EEEvT1_, .Lfunc_end720-_ZN7rocprim17ROCPRIM_400000_NS6detail17trampoline_kernelINS0_14default_configENS1_29reduce_by_key_config_selectorIyjN6thrust23THRUST_200600_302600_NS4plusIjEEEEZZNS1_33reduce_by_key_impl_wrapped_configILNS1_25lookback_scan_determinismE0ES3_S9_NS6_6detail15normal_iteratorINS6_10device_ptrIyEEEENSD_INSE_IjEEEESG_SI_PmS8_NS6_8equal_toIyEEEE10hipError_tPvRmT2_T3_mT4_T5_T6_T7_T8_P12ihipStream_tbENKUlT_T0_E_clISt17integral_constantIbLb1EES12_IbLb0EEEEDaSY_SZ_EUlSY_E_NS1_11comp_targetILNS1_3genE10ELNS1_11target_archE1201ELNS1_3gpuE5ELNS1_3repE0EEENS1_30default_config_static_selectorELNS0_4arch9wavefront6targetE1EEEvT1_
                                        ; -- End function
	.section	.AMDGPU.csdata,"",@progbits
; Kernel info:
; codeLenInByte = 0
; NumSgprs: 4
; NumVgprs: 0
; NumAgprs: 0
; TotalNumVgprs: 0
; ScratchSize: 0
; MemoryBound: 0
; FloatMode: 240
; IeeeMode: 1
; LDSByteSize: 0 bytes/workgroup (compile time only)
; SGPRBlocks: 0
; VGPRBlocks: 0
; NumSGPRsForWavesPerEU: 4
; NumVGPRsForWavesPerEU: 1
; AccumOffset: 4
; Occupancy: 8
; WaveLimiterHint : 0
; COMPUTE_PGM_RSRC2:SCRATCH_EN: 0
; COMPUTE_PGM_RSRC2:USER_SGPR: 6
; COMPUTE_PGM_RSRC2:TRAP_HANDLER: 0
; COMPUTE_PGM_RSRC2:TGID_X_EN: 1
; COMPUTE_PGM_RSRC2:TGID_Y_EN: 0
; COMPUTE_PGM_RSRC2:TGID_Z_EN: 0
; COMPUTE_PGM_RSRC2:TIDIG_COMP_CNT: 0
; COMPUTE_PGM_RSRC3_GFX90A:ACCUM_OFFSET: 0
; COMPUTE_PGM_RSRC3_GFX90A:TG_SPLIT: 0
	.section	.text._ZN7rocprim17ROCPRIM_400000_NS6detail17trampoline_kernelINS0_14default_configENS1_29reduce_by_key_config_selectorIyjN6thrust23THRUST_200600_302600_NS4plusIjEEEEZZNS1_33reduce_by_key_impl_wrapped_configILNS1_25lookback_scan_determinismE0ES3_S9_NS6_6detail15normal_iteratorINS6_10device_ptrIyEEEENSD_INSE_IjEEEESG_SI_PmS8_NS6_8equal_toIyEEEE10hipError_tPvRmT2_T3_mT4_T5_T6_T7_T8_P12ihipStream_tbENKUlT_T0_E_clISt17integral_constantIbLb1EES12_IbLb0EEEEDaSY_SZ_EUlSY_E_NS1_11comp_targetILNS1_3genE10ELNS1_11target_archE1200ELNS1_3gpuE4ELNS1_3repE0EEENS1_30default_config_static_selectorELNS0_4arch9wavefront6targetE1EEEvT1_,"axG",@progbits,_ZN7rocprim17ROCPRIM_400000_NS6detail17trampoline_kernelINS0_14default_configENS1_29reduce_by_key_config_selectorIyjN6thrust23THRUST_200600_302600_NS4plusIjEEEEZZNS1_33reduce_by_key_impl_wrapped_configILNS1_25lookback_scan_determinismE0ES3_S9_NS6_6detail15normal_iteratorINS6_10device_ptrIyEEEENSD_INSE_IjEEEESG_SI_PmS8_NS6_8equal_toIyEEEE10hipError_tPvRmT2_T3_mT4_T5_T6_T7_T8_P12ihipStream_tbENKUlT_T0_E_clISt17integral_constantIbLb1EES12_IbLb0EEEEDaSY_SZ_EUlSY_E_NS1_11comp_targetILNS1_3genE10ELNS1_11target_archE1200ELNS1_3gpuE4ELNS1_3repE0EEENS1_30default_config_static_selectorELNS0_4arch9wavefront6targetE1EEEvT1_,comdat
	.protected	_ZN7rocprim17ROCPRIM_400000_NS6detail17trampoline_kernelINS0_14default_configENS1_29reduce_by_key_config_selectorIyjN6thrust23THRUST_200600_302600_NS4plusIjEEEEZZNS1_33reduce_by_key_impl_wrapped_configILNS1_25lookback_scan_determinismE0ES3_S9_NS6_6detail15normal_iteratorINS6_10device_ptrIyEEEENSD_INSE_IjEEEESG_SI_PmS8_NS6_8equal_toIyEEEE10hipError_tPvRmT2_T3_mT4_T5_T6_T7_T8_P12ihipStream_tbENKUlT_T0_E_clISt17integral_constantIbLb1EES12_IbLb0EEEEDaSY_SZ_EUlSY_E_NS1_11comp_targetILNS1_3genE10ELNS1_11target_archE1200ELNS1_3gpuE4ELNS1_3repE0EEENS1_30default_config_static_selectorELNS0_4arch9wavefront6targetE1EEEvT1_ ; -- Begin function _ZN7rocprim17ROCPRIM_400000_NS6detail17trampoline_kernelINS0_14default_configENS1_29reduce_by_key_config_selectorIyjN6thrust23THRUST_200600_302600_NS4plusIjEEEEZZNS1_33reduce_by_key_impl_wrapped_configILNS1_25lookback_scan_determinismE0ES3_S9_NS6_6detail15normal_iteratorINS6_10device_ptrIyEEEENSD_INSE_IjEEEESG_SI_PmS8_NS6_8equal_toIyEEEE10hipError_tPvRmT2_T3_mT4_T5_T6_T7_T8_P12ihipStream_tbENKUlT_T0_E_clISt17integral_constantIbLb1EES12_IbLb0EEEEDaSY_SZ_EUlSY_E_NS1_11comp_targetILNS1_3genE10ELNS1_11target_archE1200ELNS1_3gpuE4ELNS1_3repE0EEENS1_30default_config_static_selectorELNS0_4arch9wavefront6targetE1EEEvT1_
	.globl	_ZN7rocprim17ROCPRIM_400000_NS6detail17trampoline_kernelINS0_14default_configENS1_29reduce_by_key_config_selectorIyjN6thrust23THRUST_200600_302600_NS4plusIjEEEEZZNS1_33reduce_by_key_impl_wrapped_configILNS1_25lookback_scan_determinismE0ES3_S9_NS6_6detail15normal_iteratorINS6_10device_ptrIyEEEENSD_INSE_IjEEEESG_SI_PmS8_NS6_8equal_toIyEEEE10hipError_tPvRmT2_T3_mT4_T5_T6_T7_T8_P12ihipStream_tbENKUlT_T0_E_clISt17integral_constantIbLb1EES12_IbLb0EEEEDaSY_SZ_EUlSY_E_NS1_11comp_targetILNS1_3genE10ELNS1_11target_archE1200ELNS1_3gpuE4ELNS1_3repE0EEENS1_30default_config_static_selectorELNS0_4arch9wavefront6targetE1EEEvT1_
	.p2align	8
	.type	_ZN7rocprim17ROCPRIM_400000_NS6detail17trampoline_kernelINS0_14default_configENS1_29reduce_by_key_config_selectorIyjN6thrust23THRUST_200600_302600_NS4plusIjEEEEZZNS1_33reduce_by_key_impl_wrapped_configILNS1_25lookback_scan_determinismE0ES3_S9_NS6_6detail15normal_iteratorINS6_10device_ptrIyEEEENSD_INSE_IjEEEESG_SI_PmS8_NS6_8equal_toIyEEEE10hipError_tPvRmT2_T3_mT4_T5_T6_T7_T8_P12ihipStream_tbENKUlT_T0_E_clISt17integral_constantIbLb1EES12_IbLb0EEEEDaSY_SZ_EUlSY_E_NS1_11comp_targetILNS1_3genE10ELNS1_11target_archE1200ELNS1_3gpuE4ELNS1_3repE0EEENS1_30default_config_static_selectorELNS0_4arch9wavefront6targetE1EEEvT1_,@function
_ZN7rocprim17ROCPRIM_400000_NS6detail17trampoline_kernelINS0_14default_configENS1_29reduce_by_key_config_selectorIyjN6thrust23THRUST_200600_302600_NS4plusIjEEEEZZNS1_33reduce_by_key_impl_wrapped_configILNS1_25lookback_scan_determinismE0ES3_S9_NS6_6detail15normal_iteratorINS6_10device_ptrIyEEEENSD_INSE_IjEEEESG_SI_PmS8_NS6_8equal_toIyEEEE10hipError_tPvRmT2_T3_mT4_T5_T6_T7_T8_P12ihipStream_tbENKUlT_T0_E_clISt17integral_constantIbLb1EES12_IbLb0EEEEDaSY_SZ_EUlSY_E_NS1_11comp_targetILNS1_3genE10ELNS1_11target_archE1200ELNS1_3gpuE4ELNS1_3repE0EEENS1_30default_config_static_selectorELNS0_4arch9wavefront6targetE1EEEvT1_: ; @_ZN7rocprim17ROCPRIM_400000_NS6detail17trampoline_kernelINS0_14default_configENS1_29reduce_by_key_config_selectorIyjN6thrust23THRUST_200600_302600_NS4plusIjEEEEZZNS1_33reduce_by_key_impl_wrapped_configILNS1_25lookback_scan_determinismE0ES3_S9_NS6_6detail15normal_iteratorINS6_10device_ptrIyEEEENSD_INSE_IjEEEESG_SI_PmS8_NS6_8equal_toIyEEEE10hipError_tPvRmT2_T3_mT4_T5_T6_T7_T8_P12ihipStream_tbENKUlT_T0_E_clISt17integral_constantIbLb1EES12_IbLb0EEEEDaSY_SZ_EUlSY_E_NS1_11comp_targetILNS1_3genE10ELNS1_11target_archE1200ELNS1_3gpuE4ELNS1_3repE0EEENS1_30default_config_static_selectorELNS0_4arch9wavefront6targetE1EEEvT1_
; %bb.0:
	.section	.rodata,"a",@progbits
	.p2align	6, 0x0
	.amdhsa_kernel _ZN7rocprim17ROCPRIM_400000_NS6detail17trampoline_kernelINS0_14default_configENS1_29reduce_by_key_config_selectorIyjN6thrust23THRUST_200600_302600_NS4plusIjEEEEZZNS1_33reduce_by_key_impl_wrapped_configILNS1_25lookback_scan_determinismE0ES3_S9_NS6_6detail15normal_iteratorINS6_10device_ptrIyEEEENSD_INSE_IjEEEESG_SI_PmS8_NS6_8equal_toIyEEEE10hipError_tPvRmT2_T3_mT4_T5_T6_T7_T8_P12ihipStream_tbENKUlT_T0_E_clISt17integral_constantIbLb1EES12_IbLb0EEEEDaSY_SZ_EUlSY_E_NS1_11comp_targetILNS1_3genE10ELNS1_11target_archE1200ELNS1_3gpuE4ELNS1_3repE0EEENS1_30default_config_static_selectorELNS0_4arch9wavefront6targetE1EEEvT1_
		.amdhsa_group_segment_fixed_size 0
		.amdhsa_private_segment_fixed_size 0
		.amdhsa_kernarg_size 120
		.amdhsa_user_sgpr_count 6
		.amdhsa_user_sgpr_private_segment_buffer 1
		.amdhsa_user_sgpr_dispatch_ptr 0
		.amdhsa_user_sgpr_queue_ptr 0
		.amdhsa_user_sgpr_kernarg_segment_ptr 1
		.amdhsa_user_sgpr_dispatch_id 0
		.amdhsa_user_sgpr_flat_scratch_init 0
		.amdhsa_user_sgpr_kernarg_preload_length 0
		.amdhsa_user_sgpr_kernarg_preload_offset 0
		.amdhsa_user_sgpr_private_segment_size 0
		.amdhsa_uses_dynamic_stack 0
		.amdhsa_system_sgpr_private_segment_wavefront_offset 0
		.amdhsa_system_sgpr_workgroup_id_x 1
		.amdhsa_system_sgpr_workgroup_id_y 0
		.amdhsa_system_sgpr_workgroup_id_z 0
		.amdhsa_system_sgpr_workgroup_info 0
		.amdhsa_system_vgpr_workitem_id 0
		.amdhsa_next_free_vgpr 1
		.amdhsa_next_free_sgpr 0
		.amdhsa_accum_offset 4
		.amdhsa_reserve_vcc 0
		.amdhsa_reserve_flat_scratch 0
		.amdhsa_float_round_mode_32 0
		.amdhsa_float_round_mode_16_64 0
		.amdhsa_float_denorm_mode_32 3
		.amdhsa_float_denorm_mode_16_64 3
		.amdhsa_dx10_clamp 1
		.amdhsa_ieee_mode 1
		.amdhsa_fp16_overflow 0
		.amdhsa_tg_split 0
		.amdhsa_exception_fp_ieee_invalid_op 0
		.amdhsa_exception_fp_denorm_src 0
		.amdhsa_exception_fp_ieee_div_zero 0
		.amdhsa_exception_fp_ieee_overflow 0
		.amdhsa_exception_fp_ieee_underflow 0
		.amdhsa_exception_fp_ieee_inexact 0
		.amdhsa_exception_int_div_zero 0
	.end_amdhsa_kernel
	.section	.text._ZN7rocprim17ROCPRIM_400000_NS6detail17trampoline_kernelINS0_14default_configENS1_29reduce_by_key_config_selectorIyjN6thrust23THRUST_200600_302600_NS4plusIjEEEEZZNS1_33reduce_by_key_impl_wrapped_configILNS1_25lookback_scan_determinismE0ES3_S9_NS6_6detail15normal_iteratorINS6_10device_ptrIyEEEENSD_INSE_IjEEEESG_SI_PmS8_NS6_8equal_toIyEEEE10hipError_tPvRmT2_T3_mT4_T5_T6_T7_T8_P12ihipStream_tbENKUlT_T0_E_clISt17integral_constantIbLb1EES12_IbLb0EEEEDaSY_SZ_EUlSY_E_NS1_11comp_targetILNS1_3genE10ELNS1_11target_archE1200ELNS1_3gpuE4ELNS1_3repE0EEENS1_30default_config_static_selectorELNS0_4arch9wavefront6targetE1EEEvT1_,"axG",@progbits,_ZN7rocprim17ROCPRIM_400000_NS6detail17trampoline_kernelINS0_14default_configENS1_29reduce_by_key_config_selectorIyjN6thrust23THRUST_200600_302600_NS4plusIjEEEEZZNS1_33reduce_by_key_impl_wrapped_configILNS1_25lookback_scan_determinismE0ES3_S9_NS6_6detail15normal_iteratorINS6_10device_ptrIyEEEENSD_INSE_IjEEEESG_SI_PmS8_NS6_8equal_toIyEEEE10hipError_tPvRmT2_T3_mT4_T5_T6_T7_T8_P12ihipStream_tbENKUlT_T0_E_clISt17integral_constantIbLb1EES12_IbLb0EEEEDaSY_SZ_EUlSY_E_NS1_11comp_targetILNS1_3genE10ELNS1_11target_archE1200ELNS1_3gpuE4ELNS1_3repE0EEENS1_30default_config_static_selectorELNS0_4arch9wavefront6targetE1EEEvT1_,comdat
.Lfunc_end721:
	.size	_ZN7rocprim17ROCPRIM_400000_NS6detail17trampoline_kernelINS0_14default_configENS1_29reduce_by_key_config_selectorIyjN6thrust23THRUST_200600_302600_NS4plusIjEEEEZZNS1_33reduce_by_key_impl_wrapped_configILNS1_25lookback_scan_determinismE0ES3_S9_NS6_6detail15normal_iteratorINS6_10device_ptrIyEEEENSD_INSE_IjEEEESG_SI_PmS8_NS6_8equal_toIyEEEE10hipError_tPvRmT2_T3_mT4_T5_T6_T7_T8_P12ihipStream_tbENKUlT_T0_E_clISt17integral_constantIbLb1EES12_IbLb0EEEEDaSY_SZ_EUlSY_E_NS1_11comp_targetILNS1_3genE10ELNS1_11target_archE1200ELNS1_3gpuE4ELNS1_3repE0EEENS1_30default_config_static_selectorELNS0_4arch9wavefront6targetE1EEEvT1_, .Lfunc_end721-_ZN7rocprim17ROCPRIM_400000_NS6detail17trampoline_kernelINS0_14default_configENS1_29reduce_by_key_config_selectorIyjN6thrust23THRUST_200600_302600_NS4plusIjEEEEZZNS1_33reduce_by_key_impl_wrapped_configILNS1_25lookback_scan_determinismE0ES3_S9_NS6_6detail15normal_iteratorINS6_10device_ptrIyEEEENSD_INSE_IjEEEESG_SI_PmS8_NS6_8equal_toIyEEEE10hipError_tPvRmT2_T3_mT4_T5_T6_T7_T8_P12ihipStream_tbENKUlT_T0_E_clISt17integral_constantIbLb1EES12_IbLb0EEEEDaSY_SZ_EUlSY_E_NS1_11comp_targetILNS1_3genE10ELNS1_11target_archE1200ELNS1_3gpuE4ELNS1_3repE0EEENS1_30default_config_static_selectorELNS0_4arch9wavefront6targetE1EEEvT1_
                                        ; -- End function
	.section	.AMDGPU.csdata,"",@progbits
; Kernel info:
; codeLenInByte = 0
; NumSgprs: 4
; NumVgprs: 0
; NumAgprs: 0
; TotalNumVgprs: 0
; ScratchSize: 0
; MemoryBound: 0
; FloatMode: 240
; IeeeMode: 1
; LDSByteSize: 0 bytes/workgroup (compile time only)
; SGPRBlocks: 0
; VGPRBlocks: 0
; NumSGPRsForWavesPerEU: 4
; NumVGPRsForWavesPerEU: 1
; AccumOffset: 4
; Occupancy: 8
; WaveLimiterHint : 0
; COMPUTE_PGM_RSRC2:SCRATCH_EN: 0
; COMPUTE_PGM_RSRC2:USER_SGPR: 6
; COMPUTE_PGM_RSRC2:TRAP_HANDLER: 0
; COMPUTE_PGM_RSRC2:TGID_X_EN: 1
; COMPUTE_PGM_RSRC2:TGID_Y_EN: 0
; COMPUTE_PGM_RSRC2:TGID_Z_EN: 0
; COMPUTE_PGM_RSRC2:TIDIG_COMP_CNT: 0
; COMPUTE_PGM_RSRC3_GFX90A:ACCUM_OFFSET: 0
; COMPUTE_PGM_RSRC3_GFX90A:TG_SPLIT: 0
	.section	.text._ZN7rocprim17ROCPRIM_400000_NS6detail17trampoline_kernelINS0_14default_configENS1_29reduce_by_key_config_selectorIyjN6thrust23THRUST_200600_302600_NS4plusIjEEEEZZNS1_33reduce_by_key_impl_wrapped_configILNS1_25lookback_scan_determinismE0ES3_S9_NS6_6detail15normal_iteratorINS6_10device_ptrIyEEEENSD_INSE_IjEEEESG_SI_PmS8_NS6_8equal_toIyEEEE10hipError_tPvRmT2_T3_mT4_T5_T6_T7_T8_P12ihipStream_tbENKUlT_T0_E_clISt17integral_constantIbLb1EES12_IbLb0EEEEDaSY_SZ_EUlSY_E_NS1_11comp_targetILNS1_3genE9ELNS1_11target_archE1100ELNS1_3gpuE3ELNS1_3repE0EEENS1_30default_config_static_selectorELNS0_4arch9wavefront6targetE1EEEvT1_,"axG",@progbits,_ZN7rocprim17ROCPRIM_400000_NS6detail17trampoline_kernelINS0_14default_configENS1_29reduce_by_key_config_selectorIyjN6thrust23THRUST_200600_302600_NS4plusIjEEEEZZNS1_33reduce_by_key_impl_wrapped_configILNS1_25lookback_scan_determinismE0ES3_S9_NS6_6detail15normal_iteratorINS6_10device_ptrIyEEEENSD_INSE_IjEEEESG_SI_PmS8_NS6_8equal_toIyEEEE10hipError_tPvRmT2_T3_mT4_T5_T6_T7_T8_P12ihipStream_tbENKUlT_T0_E_clISt17integral_constantIbLb1EES12_IbLb0EEEEDaSY_SZ_EUlSY_E_NS1_11comp_targetILNS1_3genE9ELNS1_11target_archE1100ELNS1_3gpuE3ELNS1_3repE0EEENS1_30default_config_static_selectorELNS0_4arch9wavefront6targetE1EEEvT1_,comdat
	.protected	_ZN7rocprim17ROCPRIM_400000_NS6detail17trampoline_kernelINS0_14default_configENS1_29reduce_by_key_config_selectorIyjN6thrust23THRUST_200600_302600_NS4plusIjEEEEZZNS1_33reduce_by_key_impl_wrapped_configILNS1_25lookback_scan_determinismE0ES3_S9_NS6_6detail15normal_iteratorINS6_10device_ptrIyEEEENSD_INSE_IjEEEESG_SI_PmS8_NS6_8equal_toIyEEEE10hipError_tPvRmT2_T3_mT4_T5_T6_T7_T8_P12ihipStream_tbENKUlT_T0_E_clISt17integral_constantIbLb1EES12_IbLb0EEEEDaSY_SZ_EUlSY_E_NS1_11comp_targetILNS1_3genE9ELNS1_11target_archE1100ELNS1_3gpuE3ELNS1_3repE0EEENS1_30default_config_static_selectorELNS0_4arch9wavefront6targetE1EEEvT1_ ; -- Begin function _ZN7rocprim17ROCPRIM_400000_NS6detail17trampoline_kernelINS0_14default_configENS1_29reduce_by_key_config_selectorIyjN6thrust23THRUST_200600_302600_NS4plusIjEEEEZZNS1_33reduce_by_key_impl_wrapped_configILNS1_25lookback_scan_determinismE0ES3_S9_NS6_6detail15normal_iteratorINS6_10device_ptrIyEEEENSD_INSE_IjEEEESG_SI_PmS8_NS6_8equal_toIyEEEE10hipError_tPvRmT2_T3_mT4_T5_T6_T7_T8_P12ihipStream_tbENKUlT_T0_E_clISt17integral_constantIbLb1EES12_IbLb0EEEEDaSY_SZ_EUlSY_E_NS1_11comp_targetILNS1_3genE9ELNS1_11target_archE1100ELNS1_3gpuE3ELNS1_3repE0EEENS1_30default_config_static_selectorELNS0_4arch9wavefront6targetE1EEEvT1_
	.globl	_ZN7rocprim17ROCPRIM_400000_NS6detail17trampoline_kernelINS0_14default_configENS1_29reduce_by_key_config_selectorIyjN6thrust23THRUST_200600_302600_NS4plusIjEEEEZZNS1_33reduce_by_key_impl_wrapped_configILNS1_25lookback_scan_determinismE0ES3_S9_NS6_6detail15normal_iteratorINS6_10device_ptrIyEEEENSD_INSE_IjEEEESG_SI_PmS8_NS6_8equal_toIyEEEE10hipError_tPvRmT2_T3_mT4_T5_T6_T7_T8_P12ihipStream_tbENKUlT_T0_E_clISt17integral_constantIbLb1EES12_IbLb0EEEEDaSY_SZ_EUlSY_E_NS1_11comp_targetILNS1_3genE9ELNS1_11target_archE1100ELNS1_3gpuE3ELNS1_3repE0EEENS1_30default_config_static_selectorELNS0_4arch9wavefront6targetE1EEEvT1_
	.p2align	8
	.type	_ZN7rocprim17ROCPRIM_400000_NS6detail17trampoline_kernelINS0_14default_configENS1_29reduce_by_key_config_selectorIyjN6thrust23THRUST_200600_302600_NS4plusIjEEEEZZNS1_33reduce_by_key_impl_wrapped_configILNS1_25lookback_scan_determinismE0ES3_S9_NS6_6detail15normal_iteratorINS6_10device_ptrIyEEEENSD_INSE_IjEEEESG_SI_PmS8_NS6_8equal_toIyEEEE10hipError_tPvRmT2_T3_mT4_T5_T6_T7_T8_P12ihipStream_tbENKUlT_T0_E_clISt17integral_constantIbLb1EES12_IbLb0EEEEDaSY_SZ_EUlSY_E_NS1_11comp_targetILNS1_3genE9ELNS1_11target_archE1100ELNS1_3gpuE3ELNS1_3repE0EEENS1_30default_config_static_selectorELNS0_4arch9wavefront6targetE1EEEvT1_,@function
_ZN7rocprim17ROCPRIM_400000_NS6detail17trampoline_kernelINS0_14default_configENS1_29reduce_by_key_config_selectorIyjN6thrust23THRUST_200600_302600_NS4plusIjEEEEZZNS1_33reduce_by_key_impl_wrapped_configILNS1_25lookback_scan_determinismE0ES3_S9_NS6_6detail15normal_iteratorINS6_10device_ptrIyEEEENSD_INSE_IjEEEESG_SI_PmS8_NS6_8equal_toIyEEEE10hipError_tPvRmT2_T3_mT4_T5_T6_T7_T8_P12ihipStream_tbENKUlT_T0_E_clISt17integral_constantIbLb1EES12_IbLb0EEEEDaSY_SZ_EUlSY_E_NS1_11comp_targetILNS1_3genE9ELNS1_11target_archE1100ELNS1_3gpuE3ELNS1_3repE0EEENS1_30default_config_static_selectorELNS0_4arch9wavefront6targetE1EEEvT1_: ; @_ZN7rocprim17ROCPRIM_400000_NS6detail17trampoline_kernelINS0_14default_configENS1_29reduce_by_key_config_selectorIyjN6thrust23THRUST_200600_302600_NS4plusIjEEEEZZNS1_33reduce_by_key_impl_wrapped_configILNS1_25lookback_scan_determinismE0ES3_S9_NS6_6detail15normal_iteratorINS6_10device_ptrIyEEEENSD_INSE_IjEEEESG_SI_PmS8_NS6_8equal_toIyEEEE10hipError_tPvRmT2_T3_mT4_T5_T6_T7_T8_P12ihipStream_tbENKUlT_T0_E_clISt17integral_constantIbLb1EES12_IbLb0EEEEDaSY_SZ_EUlSY_E_NS1_11comp_targetILNS1_3genE9ELNS1_11target_archE1100ELNS1_3gpuE3ELNS1_3repE0EEENS1_30default_config_static_selectorELNS0_4arch9wavefront6targetE1EEEvT1_
; %bb.0:
	.section	.rodata,"a",@progbits
	.p2align	6, 0x0
	.amdhsa_kernel _ZN7rocprim17ROCPRIM_400000_NS6detail17trampoline_kernelINS0_14default_configENS1_29reduce_by_key_config_selectorIyjN6thrust23THRUST_200600_302600_NS4plusIjEEEEZZNS1_33reduce_by_key_impl_wrapped_configILNS1_25lookback_scan_determinismE0ES3_S9_NS6_6detail15normal_iteratorINS6_10device_ptrIyEEEENSD_INSE_IjEEEESG_SI_PmS8_NS6_8equal_toIyEEEE10hipError_tPvRmT2_T3_mT4_T5_T6_T7_T8_P12ihipStream_tbENKUlT_T0_E_clISt17integral_constantIbLb1EES12_IbLb0EEEEDaSY_SZ_EUlSY_E_NS1_11comp_targetILNS1_3genE9ELNS1_11target_archE1100ELNS1_3gpuE3ELNS1_3repE0EEENS1_30default_config_static_selectorELNS0_4arch9wavefront6targetE1EEEvT1_
		.amdhsa_group_segment_fixed_size 0
		.amdhsa_private_segment_fixed_size 0
		.amdhsa_kernarg_size 120
		.amdhsa_user_sgpr_count 6
		.amdhsa_user_sgpr_private_segment_buffer 1
		.amdhsa_user_sgpr_dispatch_ptr 0
		.amdhsa_user_sgpr_queue_ptr 0
		.amdhsa_user_sgpr_kernarg_segment_ptr 1
		.amdhsa_user_sgpr_dispatch_id 0
		.amdhsa_user_sgpr_flat_scratch_init 0
		.amdhsa_user_sgpr_kernarg_preload_length 0
		.amdhsa_user_sgpr_kernarg_preload_offset 0
		.amdhsa_user_sgpr_private_segment_size 0
		.amdhsa_uses_dynamic_stack 0
		.amdhsa_system_sgpr_private_segment_wavefront_offset 0
		.amdhsa_system_sgpr_workgroup_id_x 1
		.amdhsa_system_sgpr_workgroup_id_y 0
		.amdhsa_system_sgpr_workgroup_id_z 0
		.amdhsa_system_sgpr_workgroup_info 0
		.amdhsa_system_vgpr_workitem_id 0
		.amdhsa_next_free_vgpr 1
		.amdhsa_next_free_sgpr 0
		.amdhsa_accum_offset 4
		.amdhsa_reserve_vcc 0
		.amdhsa_reserve_flat_scratch 0
		.amdhsa_float_round_mode_32 0
		.amdhsa_float_round_mode_16_64 0
		.amdhsa_float_denorm_mode_32 3
		.amdhsa_float_denorm_mode_16_64 3
		.amdhsa_dx10_clamp 1
		.amdhsa_ieee_mode 1
		.amdhsa_fp16_overflow 0
		.amdhsa_tg_split 0
		.amdhsa_exception_fp_ieee_invalid_op 0
		.amdhsa_exception_fp_denorm_src 0
		.amdhsa_exception_fp_ieee_div_zero 0
		.amdhsa_exception_fp_ieee_overflow 0
		.amdhsa_exception_fp_ieee_underflow 0
		.amdhsa_exception_fp_ieee_inexact 0
		.amdhsa_exception_int_div_zero 0
	.end_amdhsa_kernel
	.section	.text._ZN7rocprim17ROCPRIM_400000_NS6detail17trampoline_kernelINS0_14default_configENS1_29reduce_by_key_config_selectorIyjN6thrust23THRUST_200600_302600_NS4plusIjEEEEZZNS1_33reduce_by_key_impl_wrapped_configILNS1_25lookback_scan_determinismE0ES3_S9_NS6_6detail15normal_iteratorINS6_10device_ptrIyEEEENSD_INSE_IjEEEESG_SI_PmS8_NS6_8equal_toIyEEEE10hipError_tPvRmT2_T3_mT4_T5_T6_T7_T8_P12ihipStream_tbENKUlT_T0_E_clISt17integral_constantIbLb1EES12_IbLb0EEEEDaSY_SZ_EUlSY_E_NS1_11comp_targetILNS1_3genE9ELNS1_11target_archE1100ELNS1_3gpuE3ELNS1_3repE0EEENS1_30default_config_static_selectorELNS0_4arch9wavefront6targetE1EEEvT1_,"axG",@progbits,_ZN7rocprim17ROCPRIM_400000_NS6detail17trampoline_kernelINS0_14default_configENS1_29reduce_by_key_config_selectorIyjN6thrust23THRUST_200600_302600_NS4plusIjEEEEZZNS1_33reduce_by_key_impl_wrapped_configILNS1_25lookback_scan_determinismE0ES3_S9_NS6_6detail15normal_iteratorINS6_10device_ptrIyEEEENSD_INSE_IjEEEESG_SI_PmS8_NS6_8equal_toIyEEEE10hipError_tPvRmT2_T3_mT4_T5_T6_T7_T8_P12ihipStream_tbENKUlT_T0_E_clISt17integral_constantIbLb1EES12_IbLb0EEEEDaSY_SZ_EUlSY_E_NS1_11comp_targetILNS1_3genE9ELNS1_11target_archE1100ELNS1_3gpuE3ELNS1_3repE0EEENS1_30default_config_static_selectorELNS0_4arch9wavefront6targetE1EEEvT1_,comdat
.Lfunc_end722:
	.size	_ZN7rocprim17ROCPRIM_400000_NS6detail17trampoline_kernelINS0_14default_configENS1_29reduce_by_key_config_selectorIyjN6thrust23THRUST_200600_302600_NS4plusIjEEEEZZNS1_33reduce_by_key_impl_wrapped_configILNS1_25lookback_scan_determinismE0ES3_S9_NS6_6detail15normal_iteratorINS6_10device_ptrIyEEEENSD_INSE_IjEEEESG_SI_PmS8_NS6_8equal_toIyEEEE10hipError_tPvRmT2_T3_mT4_T5_T6_T7_T8_P12ihipStream_tbENKUlT_T0_E_clISt17integral_constantIbLb1EES12_IbLb0EEEEDaSY_SZ_EUlSY_E_NS1_11comp_targetILNS1_3genE9ELNS1_11target_archE1100ELNS1_3gpuE3ELNS1_3repE0EEENS1_30default_config_static_selectorELNS0_4arch9wavefront6targetE1EEEvT1_, .Lfunc_end722-_ZN7rocprim17ROCPRIM_400000_NS6detail17trampoline_kernelINS0_14default_configENS1_29reduce_by_key_config_selectorIyjN6thrust23THRUST_200600_302600_NS4plusIjEEEEZZNS1_33reduce_by_key_impl_wrapped_configILNS1_25lookback_scan_determinismE0ES3_S9_NS6_6detail15normal_iteratorINS6_10device_ptrIyEEEENSD_INSE_IjEEEESG_SI_PmS8_NS6_8equal_toIyEEEE10hipError_tPvRmT2_T3_mT4_T5_T6_T7_T8_P12ihipStream_tbENKUlT_T0_E_clISt17integral_constantIbLb1EES12_IbLb0EEEEDaSY_SZ_EUlSY_E_NS1_11comp_targetILNS1_3genE9ELNS1_11target_archE1100ELNS1_3gpuE3ELNS1_3repE0EEENS1_30default_config_static_selectorELNS0_4arch9wavefront6targetE1EEEvT1_
                                        ; -- End function
	.section	.AMDGPU.csdata,"",@progbits
; Kernel info:
; codeLenInByte = 0
; NumSgprs: 4
; NumVgprs: 0
; NumAgprs: 0
; TotalNumVgprs: 0
; ScratchSize: 0
; MemoryBound: 0
; FloatMode: 240
; IeeeMode: 1
; LDSByteSize: 0 bytes/workgroup (compile time only)
; SGPRBlocks: 0
; VGPRBlocks: 0
; NumSGPRsForWavesPerEU: 4
; NumVGPRsForWavesPerEU: 1
; AccumOffset: 4
; Occupancy: 8
; WaveLimiterHint : 0
; COMPUTE_PGM_RSRC2:SCRATCH_EN: 0
; COMPUTE_PGM_RSRC2:USER_SGPR: 6
; COMPUTE_PGM_RSRC2:TRAP_HANDLER: 0
; COMPUTE_PGM_RSRC2:TGID_X_EN: 1
; COMPUTE_PGM_RSRC2:TGID_Y_EN: 0
; COMPUTE_PGM_RSRC2:TGID_Z_EN: 0
; COMPUTE_PGM_RSRC2:TIDIG_COMP_CNT: 0
; COMPUTE_PGM_RSRC3_GFX90A:ACCUM_OFFSET: 0
; COMPUTE_PGM_RSRC3_GFX90A:TG_SPLIT: 0
	.section	.text._ZN7rocprim17ROCPRIM_400000_NS6detail17trampoline_kernelINS0_14default_configENS1_29reduce_by_key_config_selectorIyjN6thrust23THRUST_200600_302600_NS4plusIjEEEEZZNS1_33reduce_by_key_impl_wrapped_configILNS1_25lookback_scan_determinismE0ES3_S9_NS6_6detail15normal_iteratorINS6_10device_ptrIyEEEENSD_INSE_IjEEEESG_SI_PmS8_NS6_8equal_toIyEEEE10hipError_tPvRmT2_T3_mT4_T5_T6_T7_T8_P12ihipStream_tbENKUlT_T0_E_clISt17integral_constantIbLb1EES12_IbLb0EEEEDaSY_SZ_EUlSY_E_NS1_11comp_targetILNS1_3genE8ELNS1_11target_archE1030ELNS1_3gpuE2ELNS1_3repE0EEENS1_30default_config_static_selectorELNS0_4arch9wavefront6targetE1EEEvT1_,"axG",@progbits,_ZN7rocprim17ROCPRIM_400000_NS6detail17trampoline_kernelINS0_14default_configENS1_29reduce_by_key_config_selectorIyjN6thrust23THRUST_200600_302600_NS4plusIjEEEEZZNS1_33reduce_by_key_impl_wrapped_configILNS1_25lookback_scan_determinismE0ES3_S9_NS6_6detail15normal_iteratorINS6_10device_ptrIyEEEENSD_INSE_IjEEEESG_SI_PmS8_NS6_8equal_toIyEEEE10hipError_tPvRmT2_T3_mT4_T5_T6_T7_T8_P12ihipStream_tbENKUlT_T0_E_clISt17integral_constantIbLb1EES12_IbLb0EEEEDaSY_SZ_EUlSY_E_NS1_11comp_targetILNS1_3genE8ELNS1_11target_archE1030ELNS1_3gpuE2ELNS1_3repE0EEENS1_30default_config_static_selectorELNS0_4arch9wavefront6targetE1EEEvT1_,comdat
	.protected	_ZN7rocprim17ROCPRIM_400000_NS6detail17trampoline_kernelINS0_14default_configENS1_29reduce_by_key_config_selectorIyjN6thrust23THRUST_200600_302600_NS4plusIjEEEEZZNS1_33reduce_by_key_impl_wrapped_configILNS1_25lookback_scan_determinismE0ES3_S9_NS6_6detail15normal_iteratorINS6_10device_ptrIyEEEENSD_INSE_IjEEEESG_SI_PmS8_NS6_8equal_toIyEEEE10hipError_tPvRmT2_T3_mT4_T5_T6_T7_T8_P12ihipStream_tbENKUlT_T0_E_clISt17integral_constantIbLb1EES12_IbLb0EEEEDaSY_SZ_EUlSY_E_NS1_11comp_targetILNS1_3genE8ELNS1_11target_archE1030ELNS1_3gpuE2ELNS1_3repE0EEENS1_30default_config_static_selectorELNS0_4arch9wavefront6targetE1EEEvT1_ ; -- Begin function _ZN7rocprim17ROCPRIM_400000_NS6detail17trampoline_kernelINS0_14default_configENS1_29reduce_by_key_config_selectorIyjN6thrust23THRUST_200600_302600_NS4plusIjEEEEZZNS1_33reduce_by_key_impl_wrapped_configILNS1_25lookback_scan_determinismE0ES3_S9_NS6_6detail15normal_iteratorINS6_10device_ptrIyEEEENSD_INSE_IjEEEESG_SI_PmS8_NS6_8equal_toIyEEEE10hipError_tPvRmT2_T3_mT4_T5_T6_T7_T8_P12ihipStream_tbENKUlT_T0_E_clISt17integral_constantIbLb1EES12_IbLb0EEEEDaSY_SZ_EUlSY_E_NS1_11comp_targetILNS1_3genE8ELNS1_11target_archE1030ELNS1_3gpuE2ELNS1_3repE0EEENS1_30default_config_static_selectorELNS0_4arch9wavefront6targetE1EEEvT1_
	.globl	_ZN7rocprim17ROCPRIM_400000_NS6detail17trampoline_kernelINS0_14default_configENS1_29reduce_by_key_config_selectorIyjN6thrust23THRUST_200600_302600_NS4plusIjEEEEZZNS1_33reduce_by_key_impl_wrapped_configILNS1_25lookback_scan_determinismE0ES3_S9_NS6_6detail15normal_iteratorINS6_10device_ptrIyEEEENSD_INSE_IjEEEESG_SI_PmS8_NS6_8equal_toIyEEEE10hipError_tPvRmT2_T3_mT4_T5_T6_T7_T8_P12ihipStream_tbENKUlT_T0_E_clISt17integral_constantIbLb1EES12_IbLb0EEEEDaSY_SZ_EUlSY_E_NS1_11comp_targetILNS1_3genE8ELNS1_11target_archE1030ELNS1_3gpuE2ELNS1_3repE0EEENS1_30default_config_static_selectorELNS0_4arch9wavefront6targetE1EEEvT1_
	.p2align	8
	.type	_ZN7rocprim17ROCPRIM_400000_NS6detail17trampoline_kernelINS0_14default_configENS1_29reduce_by_key_config_selectorIyjN6thrust23THRUST_200600_302600_NS4plusIjEEEEZZNS1_33reduce_by_key_impl_wrapped_configILNS1_25lookback_scan_determinismE0ES3_S9_NS6_6detail15normal_iteratorINS6_10device_ptrIyEEEENSD_INSE_IjEEEESG_SI_PmS8_NS6_8equal_toIyEEEE10hipError_tPvRmT2_T3_mT4_T5_T6_T7_T8_P12ihipStream_tbENKUlT_T0_E_clISt17integral_constantIbLb1EES12_IbLb0EEEEDaSY_SZ_EUlSY_E_NS1_11comp_targetILNS1_3genE8ELNS1_11target_archE1030ELNS1_3gpuE2ELNS1_3repE0EEENS1_30default_config_static_selectorELNS0_4arch9wavefront6targetE1EEEvT1_,@function
_ZN7rocprim17ROCPRIM_400000_NS6detail17trampoline_kernelINS0_14default_configENS1_29reduce_by_key_config_selectorIyjN6thrust23THRUST_200600_302600_NS4plusIjEEEEZZNS1_33reduce_by_key_impl_wrapped_configILNS1_25lookback_scan_determinismE0ES3_S9_NS6_6detail15normal_iteratorINS6_10device_ptrIyEEEENSD_INSE_IjEEEESG_SI_PmS8_NS6_8equal_toIyEEEE10hipError_tPvRmT2_T3_mT4_T5_T6_T7_T8_P12ihipStream_tbENKUlT_T0_E_clISt17integral_constantIbLb1EES12_IbLb0EEEEDaSY_SZ_EUlSY_E_NS1_11comp_targetILNS1_3genE8ELNS1_11target_archE1030ELNS1_3gpuE2ELNS1_3repE0EEENS1_30default_config_static_selectorELNS0_4arch9wavefront6targetE1EEEvT1_: ; @_ZN7rocprim17ROCPRIM_400000_NS6detail17trampoline_kernelINS0_14default_configENS1_29reduce_by_key_config_selectorIyjN6thrust23THRUST_200600_302600_NS4plusIjEEEEZZNS1_33reduce_by_key_impl_wrapped_configILNS1_25lookback_scan_determinismE0ES3_S9_NS6_6detail15normal_iteratorINS6_10device_ptrIyEEEENSD_INSE_IjEEEESG_SI_PmS8_NS6_8equal_toIyEEEE10hipError_tPvRmT2_T3_mT4_T5_T6_T7_T8_P12ihipStream_tbENKUlT_T0_E_clISt17integral_constantIbLb1EES12_IbLb0EEEEDaSY_SZ_EUlSY_E_NS1_11comp_targetILNS1_3genE8ELNS1_11target_archE1030ELNS1_3gpuE2ELNS1_3repE0EEENS1_30default_config_static_selectorELNS0_4arch9wavefront6targetE1EEEvT1_
; %bb.0:
	.section	.rodata,"a",@progbits
	.p2align	6, 0x0
	.amdhsa_kernel _ZN7rocprim17ROCPRIM_400000_NS6detail17trampoline_kernelINS0_14default_configENS1_29reduce_by_key_config_selectorIyjN6thrust23THRUST_200600_302600_NS4plusIjEEEEZZNS1_33reduce_by_key_impl_wrapped_configILNS1_25lookback_scan_determinismE0ES3_S9_NS6_6detail15normal_iteratorINS6_10device_ptrIyEEEENSD_INSE_IjEEEESG_SI_PmS8_NS6_8equal_toIyEEEE10hipError_tPvRmT2_T3_mT4_T5_T6_T7_T8_P12ihipStream_tbENKUlT_T0_E_clISt17integral_constantIbLb1EES12_IbLb0EEEEDaSY_SZ_EUlSY_E_NS1_11comp_targetILNS1_3genE8ELNS1_11target_archE1030ELNS1_3gpuE2ELNS1_3repE0EEENS1_30default_config_static_selectorELNS0_4arch9wavefront6targetE1EEEvT1_
		.amdhsa_group_segment_fixed_size 0
		.amdhsa_private_segment_fixed_size 0
		.amdhsa_kernarg_size 120
		.amdhsa_user_sgpr_count 6
		.amdhsa_user_sgpr_private_segment_buffer 1
		.amdhsa_user_sgpr_dispatch_ptr 0
		.amdhsa_user_sgpr_queue_ptr 0
		.amdhsa_user_sgpr_kernarg_segment_ptr 1
		.amdhsa_user_sgpr_dispatch_id 0
		.amdhsa_user_sgpr_flat_scratch_init 0
		.amdhsa_user_sgpr_kernarg_preload_length 0
		.amdhsa_user_sgpr_kernarg_preload_offset 0
		.amdhsa_user_sgpr_private_segment_size 0
		.amdhsa_uses_dynamic_stack 0
		.amdhsa_system_sgpr_private_segment_wavefront_offset 0
		.amdhsa_system_sgpr_workgroup_id_x 1
		.amdhsa_system_sgpr_workgroup_id_y 0
		.amdhsa_system_sgpr_workgroup_id_z 0
		.amdhsa_system_sgpr_workgroup_info 0
		.amdhsa_system_vgpr_workitem_id 0
		.amdhsa_next_free_vgpr 1
		.amdhsa_next_free_sgpr 0
		.amdhsa_accum_offset 4
		.amdhsa_reserve_vcc 0
		.amdhsa_reserve_flat_scratch 0
		.amdhsa_float_round_mode_32 0
		.amdhsa_float_round_mode_16_64 0
		.amdhsa_float_denorm_mode_32 3
		.amdhsa_float_denorm_mode_16_64 3
		.amdhsa_dx10_clamp 1
		.amdhsa_ieee_mode 1
		.amdhsa_fp16_overflow 0
		.amdhsa_tg_split 0
		.amdhsa_exception_fp_ieee_invalid_op 0
		.amdhsa_exception_fp_denorm_src 0
		.amdhsa_exception_fp_ieee_div_zero 0
		.amdhsa_exception_fp_ieee_overflow 0
		.amdhsa_exception_fp_ieee_underflow 0
		.amdhsa_exception_fp_ieee_inexact 0
		.amdhsa_exception_int_div_zero 0
	.end_amdhsa_kernel
	.section	.text._ZN7rocprim17ROCPRIM_400000_NS6detail17trampoline_kernelINS0_14default_configENS1_29reduce_by_key_config_selectorIyjN6thrust23THRUST_200600_302600_NS4plusIjEEEEZZNS1_33reduce_by_key_impl_wrapped_configILNS1_25lookback_scan_determinismE0ES3_S9_NS6_6detail15normal_iteratorINS6_10device_ptrIyEEEENSD_INSE_IjEEEESG_SI_PmS8_NS6_8equal_toIyEEEE10hipError_tPvRmT2_T3_mT4_T5_T6_T7_T8_P12ihipStream_tbENKUlT_T0_E_clISt17integral_constantIbLb1EES12_IbLb0EEEEDaSY_SZ_EUlSY_E_NS1_11comp_targetILNS1_3genE8ELNS1_11target_archE1030ELNS1_3gpuE2ELNS1_3repE0EEENS1_30default_config_static_selectorELNS0_4arch9wavefront6targetE1EEEvT1_,"axG",@progbits,_ZN7rocprim17ROCPRIM_400000_NS6detail17trampoline_kernelINS0_14default_configENS1_29reduce_by_key_config_selectorIyjN6thrust23THRUST_200600_302600_NS4plusIjEEEEZZNS1_33reduce_by_key_impl_wrapped_configILNS1_25lookback_scan_determinismE0ES3_S9_NS6_6detail15normal_iteratorINS6_10device_ptrIyEEEENSD_INSE_IjEEEESG_SI_PmS8_NS6_8equal_toIyEEEE10hipError_tPvRmT2_T3_mT4_T5_T6_T7_T8_P12ihipStream_tbENKUlT_T0_E_clISt17integral_constantIbLb1EES12_IbLb0EEEEDaSY_SZ_EUlSY_E_NS1_11comp_targetILNS1_3genE8ELNS1_11target_archE1030ELNS1_3gpuE2ELNS1_3repE0EEENS1_30default_config_static_selectorELNS0_4arch9wavefront6targetE1EEEvT1_,comdat
.Lfunc_end723:
	.size	_ZN7rocprim17ROCPRIM_400000_NS6detail17trampoline_kernelINS0_14default_configENS1_29reduce_by_key_config_selectorIyjN6thrust23THRUST_200600_302600_NS4plusIjEEEEZZNS1_33reduce_by_key_impl_wrapped_configILNS1_25lookback_scan_determinismE0ES3_S9_NS6_6detail15normal_iteratorINS6_10device_ptrIyEEEENSD_INSE_IjEEEESG_SI_PmS8_NS6_8equal_toIyEEEE10hipError_tPvRmT2_T3_mT4_T5_T6_T7_T8_P12ihipStream_tbENKUlT_T0_E_clISt17integral_constantIbLb1EES12_IbLb0EEEEDaSY_SZ_EUlSY_E_NS1_11comp_targetILNS1_3genE8ELNS1_11target_archE1030ELNS1_3gpuE2ELNS1_3repE0EEENS1_30default_config_static_selectorELNS0_4arch9wavefront6targetE1EEEvT1_, .Lfunc_end723-_ZN7rocprim17ROCPRIM_400000_NS6detail17trampoline_kernelINS0_14default_configENS1_29reduce_by_key_config_selectorIyjN6thrust23THRUST_200600_302600_NS4plusIjEEEEZZNS1_33reduce_by_key_impl_wrapped_configILNS1_25lookback_scan_determinismE0ES3_S9_NS6_6detail15normal_iteratorINS6_10device_ptrIyEEEENSD_INSE_IjEEEESG_SI_PmS8_NS6_8equal_toIyEEEE10hipError_tPvRmT2_T3_mT4_T5_T6_T7_T8_P12ihipStream_tbENKUlT_T0_E_clISt17integral_constantIbLb1EES12_IbLb0EEEEDaSY_SZ_EUlSY_E_NS1_11comp_targetILNS1_3genE8ELNS1_11target_archE1030ELNS1_3gpuE2ELNS1_3repE0EEENS1_30default_config_static_selectorELNS0_4arch9wavefront6targetE1EEEvT1_
                                        ; -- End function
	.section	.AMDGPU.csdata,"",@progbits
; Kernel info:
; codeLenInByte = 0
; NumSgprs: 4
; NumVgprs: 0
; NumAgprs: 0
; TotalNumVgprs: 0
; ScratchSize: 0
; MemoryBound: 0
; FloatMode: 240
; IeeeMode: 1
; LDSByteSize: 0 bytes/workgroup (compile time only)
; SGPRBlocks: 0
; VGPRBlocks: 0
; NumSGPRsForWavesPerEU: 4
; NumVGPRsForWavesPerEU: 1
; AccumOffset: 4
; Occupancy: 8
; WaveLimiterHint : 0
; COMPUTE_PGM_RSRC2:SCRATCH_EN: 0
; COMPUTE_PGM_RSRC2:USER_SGPR: 6
; COMPUTE_PGM_RSRC2:TRAP_HANDLER: 0
; COMPUTE_PGM_RSRC2:TGID_X_EN: 1
; COMPUTE_PGM_RSRC2:TGID_Y_EN: 0
; COMPUTE_PGM_RSRC2:TGID_Z_EN: 0
; COMPUTE_PGM_RSRC2:TIDIG_COMP_CNT: 0
; COMPUTE_PGM_RSRC3_GFX90A:ACCUM_OFFSET: 0
; COMPUTE_PGM_RSRC3_GFX90A:TG_SPLIT: 0
	.section	.text._ZN7rocprim17ROCPRIM_400000_NS6detail17trampoline_kernelINS0_14default_configENS1_29reduce_by_key_config_selectorIyjN6thrust23THRUST_200600_302600_NS4plusIjEEEEZZNS1_33reduce_by_key_impl_wrapped_configILNS1_25lookback_scan_determinismE0ES3_S9_NS6_6detail15normal_iteratorINS6_10device_ptrIyEEEENSD_INSE_IjEEEESG_SI_PmS8_NS6_8equal_toIyEEEE10hipError_tPvRmT2_T3_mT4_T5_T6_T7_T8_P12ihipStream_tbENKUlT_T0_E_clISt17integral_constantIbLb0EES12_IbLb1EEEEDaSY_SZ_EUlSY_E_NS1_11comp_targetILNS1_3genE0ELNS1_11target_archE4294967295ELNS1_3gpuE0ELNS1_3repE0EEENS1_30default_config_static_selectorELNS0_4arch9wavefront6targetE1EEEvT1_,"axG",@progbits,_ZN7rocprim17ROCPRIM_400000_NS6detail17trampoline_kernelINS0_14default_configENS1_29reduce_by_key_config_selectorIyjN6thrust23THRUST_200600_302600_NS4plusIjEEEEZZNS1_33reduce_by_key_impl_wrapped_configILNS1_25lookback_scan_determinismE0ES3_S9_NS6_6detail15normal_iteratorINS6_10device_ptrIyEEEENSD_INSE_IjEEEESG_SI_PmS8_NS6_8equal_toIyEEEE10hipError_tPvRmT2_T3_mT4_T5_T6_T7_T8_P12ihipStream_tbENKUlT_T0_E_clISt17integral_constantIbLb0EES12_IbLb1EEEEDaSY_SZ_EUlSY_E_NS1_11comp_targetILNS1_3genE0ELNS1_11target_archE4294967295ELNS1_3gpuE0ELNS1_3repE0EEENS1_30default_config_static_selectorELNS0_4arch9wavefront6targetE1EEEvT1_,comdat
	.protected	_ZN7rocprim17ROCPRIM_400000_NS6detail17trampoline_kernelINS0_14default_configENS1_29reduce_by_key_config_selectorIyjN6thrust23THRUST_200600_302600_NS4plusIjEEEEZZNS1_33reduce_by_key_impl_wrapped_configILNS1_25lookback_scan_determinismE0ES3_S9_NS6_6detail15normal_iteratorINS6_10device_ptrIyEEEENSD_INSE_IjEEEESG_SI_PmS8_NS6_8equal_toIyEEEE10hipError_tPvRmT2_T3_mT4_T5_T6_T7_T8_P12ihipStream_tbENKUlT_T0_E_clISt17integral_constantIbLb0EES12_IbLb1EEEEDaSY_SZ_EUlSY_E_NS1_11comp_targetILNS1_3genE0ELNS1_11target_archE4294967295ELNS1_3gpuE0ELNS1_3repE0EEENS1_30default_config_static_selectorELNS0_4arch9wavefront6targetE1EEEvT1_ ; -- Begin function _ZN7rocprim17ROCPRIM_400000_NS6detail17trampoline_kernelINS0_14default_configENS1_29reduce_by_key_config_selectorIyjN6thrust23THRUST_200600_302600_NS4plusIjEEEEZZNS1_33reduce_by_key_impl_wrapped_configILNS1_25lookback_scan_determinismE0ES3_S9_NS6_6detail15normal_iteratorINS6_10device_ptrIyEEEENSD_INSE_IjEEEESG_SI_PmS8_NS6_8equal_toIyEEEE10hipError_tPvRmT2_T3_mT4_T5_T6_T7_T8_P12ihipStream_tbENKUlT_T0_E_clISt17integral_constantIbLb0EES12_IbLb1EEEEDaSY_SZ_EUlSY_E_NS1_11comp_targetILNS1_3genE0ELNS1_11target_archE4294967295ELNS1_3gpuE0ELNS1_3repE0EEENS1_30default_config_static_selectorELNS0_4arch9wavefront6targetE1EEEvT1_
	.globl	_ZN7rocprim17ROCPRIM_400000_NS6detail17trampoline_kernelINS0_14default_configENS1_29reduce_by_key_config_selectorIyjN6thrust23THRUST_200600_302600_NS4plusIjEEEEZZNS1_33reduce_by_key_impl_wrapped_configILNS1_25lookback_scan_determinismE0ES3_S9_NS6_6detail15normal_iteratorINS6_10device_ptrIyEEEENSD_INSE_IjEEEESG_SI_PmS8_NS6_8equal_toIyEEEE10hipError_tPvRmT2_T3_mT4_T5_T6_T7_T8_P12ihipStream_tbENKUlT_T0_E_clISt17integral_constantIbLb0EES12_IbLb1EEEEDaSY_SZ_EUlSY_E_NS1_11comp_targetILNS1_3genE0ELNS1_11target_archE4294967295ELNS1_3gpuE0ELNS1_3repE0EEENS1_30default_config_static_selectorELNS0_4arch9wavefront6targetE1EEEvT1_
	.p2align	8
	.type	_ZN7rocprim17ROCPRIM_400000_NS6detail17trampoline_kernelINS0_14default_configENS1_29reduce_by_key_config_selectorIyjN6thrust23THRUST_200600_302600_NS4plusIjEEEEZZNS1_33reduce_by_key_impl_wrapped_configILNS1_25lookback_scan_determinismE0ES3_S9_NS6_6detail15normal_iteratorINS6_10device_ptrIyEEEENSD_INSE_IjEEEESG_SI_PmS8_NS6_8equal_toIyEEEE10hipError_tPvRmT2_T3_mT4_T5_T6_T7_T8_P12ihipStream_tbENKUlT_T0_E_clISt17integral_constantIbLb0EES12_IbLb1EEEEDaSY_SZ_EUlSY_E_NS1_11comp_targetILNS1_3genE0ELNS1_11target_archE4294967295ELNS1_3gpuE0ELNS1_3repE0EEENS1_30default_config_static_selectorELNS0_4arch9wavefront6targetE1EEEvT1_,@function
_ZN7rocprim17ROCPRIM_400000_NS6detail17trampoline_kernelINS0_14default_configENS1_29reduce_by_key_config_selectorIyjN6thrust23THRUST_200600_302600_NS4plusIjEEEEZZNS1_33reduce_by_key_impl_wrapped_configILNS1_25lookback_scan_determinismE0ES3_S9_NS6_6detail15normal_iteratorINS6_10device_ptrIyEEEENSD_INSE_IjEEEESG_SI_PmS8_NS6_8equal_toIyEEEE10hipError_tPvRmT2_T3_mT4_T5_T6_T7_T8_P12ihipStream_tbENKUlT_T0_E_clISt17integral_constantIbLb0EES12_IbLb1EEEEDaSY_SZ_EUlSY_E_NS1_11comp_targetILNS1_3genE0ELNS1_11target_archE4294967295ELNS1_3gpuE0ELNS1_3repE0EEENS1_30default_config_static_selectorELNS0_4arch9wavefront6targetE1EEEvT1_: ; @_ZN7rocprim17ROCPRIM_400000_NS6detail17trampoline_kernelINS0_14default_configENS1_29reduce_by_key_config_selectorIyjN6thrust23THRUST_200600_302600_NS4plusIjEEEEZZNS1_33reduce_by_key_impl_wrapped_configILNS1_25lookback_scan_determinismE0ES3_S9_NS6_6detail15normal_iteratorINS6_10device_ptrIyEEEENSD_INSE_IjEEEESG_SI_PmS8_NS6_8equal_toIyEEEE10hipError_tPvRmT2_T3_mT4_T5_T6_T7_T8_P12ihipStream_tbENKUlT_T0_E_clISt17integral_constantIbLb0EES12_IbLb1EEEEDaSY_SZ_EUlSY_E_NS1_11comp_targetILNS1_3genE0ELNS1_11target_archE4294967295ELNS1_3gpuE0ELNS1_3repE0EEENS1_30default_config_static_selectorELNS0_4arch9wavefront6targetE1EEEvT1_
; %bb.0:
	.section	.rodata,"a",@progbits
	.p2align	6, 0x0
	.amdhsa_kernel _ZN7rocprim17ROCPRIM_400000_NS6detail17trampoline_kernelINS0_14default_configENS1_29reduce_by_key_config_selectorIyjN6thrust23THRUST_200600_302600_NS4plusIjEEEEZZNS1_33reduce_by_key_impl_wrapped_configILNS1_25lookback_scan_determinismE0ES3_S9_NS6_6detail15normal_iteratorINS6_10device_ptrIyEEEENSD_INSE_IjEEEESG_SI_PmS8_NS6_8equal_toIyEEEE10hipError_tPvRmT2_T3_mT4_T5_T6_T7_T8_P12ihipStream_tbENKUlT_T0_E_clISt17integral_constantIbLb0EES12_IbLb1EEEEDaSY_SZ_EUlSY_E_NS1_11comp_targetILNS1_3genE0ELNS1_11target_archE4294967295ELNS1_3gpuE0ELNS1_3repE0EEENS1_30default_config_static_selectorELNS0_4arch9wavefront6targetE1EEEvT1_
		.amdhsa_group_segment_fixed_size 0
		.amdhsa_private_segment_fixed_size 0
		.amdhsa_kernarg_size 120
		.amdhsa_user_sgpr_count 6
		.amdhsa_user_sgpr_private_segment_buffer 1
		.amdhsa_user_sgpr_dispatch_ptr 0
		.amdhsa_user_sgpr_queue_ptr 0
		.amdhsa_user_sgpr_kernarg_segment_ptr 1
		.amdhsa_user_sgpr_dispatch_id 0
		.amdhsa_user_sgpr_flat_scratch_init 0
		.amdhsa_user_sgpr_kernarg_preload_length 0
		.amdhsa_user_sgpr_kernarg_preload_offset 0
		.amdhsa_user_sgpr_private_segment_size 0
		.amdhsa_uses_dynamic_stack 0
		.amdhsa_system_sgpr_private_segment_wavefront_offset 0
		.amdhsa_system_sgpr_workgroup_id_x 1
		.amdhsa_system_sgpr_workgroup_id_y 0
		.amdhsa_system_sgpr_workgroup_id_z 0
		.amdhsa_system_sgpr_workgroup_info 0
		.amdhsa_system_vgpr_workitem_id 0
		.amdhsa_next_free_vgpr 1
		.amdhsa_next_free_sgpr 0
		.amdhsa_accum_offset 4
		.amdhsa_reserve_vcc 0
		.amdhsa_reserve_flat_scratch 0
		.amdhsa_float_round_mode_32 0
		.amdhsa_float_round_mode_16_64 0
		.amdhsa_float_denorm_mode_32 3
		.amdhsa_float_denorm_mode_16_64 3
		.amdhsa_dx10_clamp 1
		.amdhsa_ieee_mode 1
		.amdhsa_fp16_overflow 0
		.amdhsa_tg_split 0
		.amdhsa_exception_fp_ieee_invalid_op 0
		.amdhsa_exception_fp_denorm_src 0
		.amdhsa_exception_fp_ieee_div_zero 0
		.amdhsa_exception_fp_ieee_overflow 0
		.amdhsa_exception_fp_ieee_underflow 0
		.amdhsa_exception_fp_ieee_inexact 0
		.amdhsa_exception_int_div_zero 0
	.end_amdhsa_kernel
	.section	.text._ZN7rocprim17ROCPRIM_400000_NS6detail17trampoline_kernelINS0_14default_configENS1_29reduce_by_key_config_selectorIyjN6thrust23THRUST_200600_302600_NS4plusIjEEEEZZNS1_33reduce_by_key_impl_wrapped_configILNS1_25lookback_scan_determinismE0ES3_S9_NS6_6detail15normal_iteratorINS6_10device_ptrIyEEEENSD_INSE_IjEEEESG_SI_PmS8_NS6_8equal_toIyEEEE10hipError_tPvRmT2_T3_mT4_T5_T6_T7_T8_P12ihipStream_tbENKUlT_T0_E_clISt17integral_constantIbLb0EES12_IbLb1EEEEDaSY_SZ_EUlSY_E_NS1_11comp_targetILNS1_3genE0ELNS1_11target_archE4294967295ELNS1_3gpuE0ELNS1_3repE0EEENS1_30default_config_static_selectorELNS0_4arch9wavefront6targetE1EEEvT1_,"axG",@progbits,_ZN7rocprim17ROCPRIM_400000_NS6detail17trampoline_kernelINS0_14default_configENS1_29reduce_by_key_config_selectorIyjN6thrust23THRUST_200600_302600_NS4plusIjEEEEZZNS1_33reduce_by_key_impl_wrapped_configILNS1_25lookback_scan_determinismE0ES3_S9_NS6_6detail15normal_iteratorINS6_10device_ptrIyEEEENSD_INSE_IjEEEESG_SI_PmS8_NS6_8equal_toIyEEEE10hipError_tPvRmT2_T3_mT4_T5_T6_T7_T8_P12ihipStream_tbENKUlT_T0_E_clISt17integral_constantIbLb0EES12_IbLb1EEEEDaSY_SZ_EUlSY_E_NS1_11comp_targetILNS1_3genE0ELNS1_11target_archE4294967295ELNS1_3gpuE0ELNS1_3repE0EEENS1_30default_config_static_selectorELNS0_4arch9wavefront6targetE1EEEvT1_,comdat
.Lfunc_end724:
	.size	_ZN7rocprim17ROCPRIM_400000_NS6detail17trampoline_kernelINS0_14default_configENS1_29reduce_by_key_config_selectorIyjN6thrust23THRUST_200600_302600_NS4plusIjEEEEZZNS1_33reduce_by_key_impl_wrapped_configILNS1_25lookback_scan_determinismE0ES3_S9_NS6_6detail15normal_iteratorINS6_10device_ptrIyEEEENSD_INSE_IjEEEESG_SI_PmS8_NS6_8equal_toIyEEEE10hipError_tPvRmT2_T3_mT4_T5_T6_T7_T8_P12ihipStream_tbENKUlT_T0_E_clISt17integral_constantIbLb0EES12_IbLb1EEEEDaSY_SZ_EUlSY_E_NS1_11comp_targetILNS1_3genE0ELNS1_11target_archE4294967295ELNS1_3gpuE0ELNS1_3repE0EEENS1_30default_config_static_selectorELNS0_4arch9wavefront6targetE1EEEvT1_, .Lfunc_end724-_ZN7rocprim17ROCPRIM_400000_NS6detail17trampoline_kernelINS0_14default_configENS1_29reduce_by_key_config_selectorIyjN6thrust23THRUST_200600_302600_NS4plusIjEEEEZZNS1_33reduce_by_key_impl_wrapped_configILNS1_25lookback_scan_determinismE0ES3_S9_NS6_6detail15normal_iteratorINS6_10device_ptrIyEEEENSD_INSE_IjEEEESG_SI_PmS8_NS6_8equal_toIyEEEE10hipError_tPvRmT2_T3_mT4_T5_T6_T7_T8_P12ihipStream_tbENKUlT_T0_E_clISt17integral_constantIbLb0EES12_IbLb1EEEEDaSY_SZ_EUlSY_E_NS1_11comp_targetILNS1_3genE0ELNS1_11target_archE4294967295ELNS1_3gpuE0ELNS1_3repE0EEENS1_30default_config_static_selectorELNS0_4arch9wavefront6targetE1EEEvT1_
                                        ; -- End function
	.section	.AMDGPU.csdata,"",@progbits
; Kernel info:
; codeLenInByte = 0
; NumSgprs: 4
; NumVgprs: 0
; NumAgprs: 0
; TotalNumVgprs: 0
; ScratchSize: 0
; MemoryBound: 0
; FloatMode: 240
; IeeeMode: 1
; LDSByteSize: 0 bytes/workgroup (compile time only)
; SGPRBlocks: 0
; VGPRBlocks: 0
; NumSGPRsForWavesPerEU: 4
; NumVGPRsForWavesPerEU: 1
; AccumOffset: 4
; Occupancy: 8
; WaveLimiterHint : 0
; COMPUTE_PGM_RSRC2:SCRATCH_EN: 0
; COMPUTE_PGM_RSRC2:USER_SGPR: 6
; COMPUTE_PGM_RSRC2:TRAP_HANDLER: 0
; COMPUTE_PGM_RSRC2:TGID_X_EN: 1
; COMPUTE_PGM_RSRC2:TGID_Y_EN: 0
; COMPUTE_PGM_RSRC2:TGID_Z_EN: 0
; COMPUTE_PGM_RSRC2:TIDIG_COMP_CNT: 0
; COMPUTE_PGM_RSRC3_GFX90A:ACCUM_OFFSET: 0
; COMPUTE_PGM_RSRC3_GFX90A:TG_SPLIT: 0
	.section	.text._ZN7rocprim17ROCPRIM_400000_NS6detail17trampoline_kernelINS0_14default_configENS1_29reduce_by_key_config_selectorIyjN6thrust23THRUST_200600_302600_NS4plusIjEEEEZZNS1_33reduce_by_key_impl_wrapped_configILNS1_25lookback_scan_determinismE0ES3_S9_NS6_6detail15normal_iteratorINS6_10device_ptrIyEEEENSD_INSE_IjEEEESG_SI_PmS8_NS6_8equal_toIyEEEE10hipError_tPvRmT2_T3_mT4_T5_T6_T7_T8_P12ihipStream_tbENKUlT_T0_E_clISt17integral_constantIbLb0EES12_IbLb1EEEEDaSY_SZ_EUlSY_E_NS1_11comp_targetILNS1_3genE5ELNS1_11target_archE942ELNS1_3gpuE9ELNS1_3repE0EEENS1_30default_config_static_selectorELNS0_4arch9wavefront6targetE1EEEvT1_,"axG",@progbits,_ZN7rocprim17ROCPRIM_400000_NS6detail17trampoline_kernelINS0_14default_configENS1_29reduce_by_key_config_selectorIyjN6thrust23THRUST_200600_302600_NS4plusIjEEEEZZNS1_33reduce_by_key_impl_wrapped_configILNS1_25lookback_scan_determinismE0ES3_S9_NS6_6detail15normal_iteratorINS6_10device_ptrIyEEEENSD_INSE_IjEEEESG_SI_PmS8_NS6_8equal_toIyEEEE10hipError_tPvRmT2_T3_mT4_T5_T6_T7_T8_P12ihipStream_tbENKUlT_T0_E_clISt17integral_constantIbLb0EES12_IbLb1EEEEDaSY_SZ_EUlSY_E_NS1_11comp_targetILNS1_3genE5ELNS1_11target_archE942ELNS1_3gpuE9ELNS1_3repE0EEENS1_30default_config_static_selectorELNS0_4arch9wavefront6targetE1EEEvT1_,comdat
	.protected	_ZN7rocprim17ROCPRIM_400000_NS6detail17trampoline_kernelINS0_14default_configENS1_29reduce_by_key_config_selectorIyjN6thrust23THRUST_200600_302600_NS4plusIjEEEEZZNS1_33reduce_by_key_impl_wrapped_configILNS1_25lookback_scan_determinismE0ES3_S9_NS6_6detail15normal_iteratorINS6_10device_ptrIyEEEENSD_INSE_IjEEEESG_SI_PmS8_NS6_8equal_toIyEEEE10hipError_tPvRmT2_T3_mT4_T5_T6_T7_T8_P12ihipStream_tbENKUlT_T0_E_clISt17integral_constantIbLb0EES12_IbLb1EEEEDaSY_SZ_EUlSY_E_NS1_11comp_targetILNS1_3genE5ELNS1_11target_archE942ELNS1_3gpuE9ELNS1_3repE0EEENS1_30default_config_static_selectorELNS0_4arch9wavefront6targetE1EEEvT1_ ; -- Begin function _ZN7rocprim17ROCPRIM_400000_NS6detail17trampoline_kernelINS0_14default_configENS1_29reduce_by_key_config_selectorIyjN6thrust23THRUST_200600_302600_NS4plusIjEEEEZZNS1_33reduce_by_key_impl_wrapped_configILNS1_25lookback_scan_determinismE0ES3_S9_NS6_6detail15normal_iteratorINS6_10device_ptrIyEEEENSD_INSE_IjEEEESG_SI_PmS8_NS6_8equal_toIyEEEE10hipError_tPvRmT2_T3_mT4_T5_T6_T7_T8_P12ihipStream_tbENKUlT_T0_E_clISt17integral_constantIbLb0EES12_IbLb1EEEEDaSY_SZ_EUlSY_E_NS1_11comp_targetILNS1_3genE5ELNS1_11target_archE942ELNS1_3gpuE9ELNS1_3repE0EEENS1_30default_config_static_selectorELNS0_4arch9wavefront6targetE1EEEvT1_
	.globl	_ZN7rocprim17ROCPRIM_400000_NS6detail17trampoline_kernelINS0_14default_configENS1_29reduce_by_key_config_selectorIyjN6thrust23THRUST_200600_302600_NS4plusIjEEEEZZNS1_33reduce_by_key_impl_wrapped_configILNS1_25lookback_scan_determinismE0ES3_S9_NS6_6detail15normal_iteratorINS6_10device_ptrIyEEEENSD_INSE_IjEEEESG_SI_PmS8_NS6_8equal_toIyEEEE10hipError_tPvRmT2_T3_mT4_T5_T6_T7_T8_P12ihipStream_tbENKUlT_T0_E_clISt17integral_constantIbLb0EES12_IbLb1EEEEDaSY_SZ_EUlSY_E_NS1_11comp_targetILNS1_3genE5ELNS1_11target_archE942ELNS1_3gpuE9ELNS1_3repE0EEENS1_30default_config_static_selectorELNS0_4arch9wavefront6targetE1EEEvT1_
	.p2align	8
	.type	_ZN7rocprim17ROCPRIM_400000_NS6detail17trampoline_kernelINS0_14default_configENS1_29reduce_by_key_config_selectorIyjN6thrust23THRUST_200600_302600_NS4plusIjEEEEZZNS1_33reduce_by_key_impl_wrapped_configILNS1_25lookback_scan_determinismE0ES3_S9_NS6_6detail15normal_iteratorINS6_10device_ptrIyEEEENSD_INSE_IjEEEESG_SI_PmS8_NS6_8equal_toIyEEEE10hipError_tPvRmT2_T3_mT4_T5_T6_T7_T8_P12ihipStream_tbENKUlT_T0_E_clISt17integral_constantIbLb0EES12_IbLb1EEEEDaSY_SZ_EUlSY_E_NS1_11comp_targetILNS1_3genE5ELNS1_11target_archE942ELNS1_3gpuE9ELNS1_3repE0EEENS1_30default_config_static_selectorELNS0_4arch9wavefront6targetE1EEEvT1_,@function
_ZN7rocprim17ROCPRIM_400000_NS6detail17trampoline_kernelINS0_14default_configENS1_29reduce_by_key_config_selectorIyjN6thrust23THRUST_200600_302600_NS4plusIjEEEEZZNS1_33reduce_by_key_impl_wrapped_configILNS1_25lookback_scan_determinismE0ES3_S9_NS6_6detail15normal_iteratorINS6_10device_ptrIyEEEENSD_INSE_IjEEEESG_SI_PmS8_NS6_8equal_toIyEEEE10hipError_tPvRmT2_T3_mT4_T5_T6_T7_T8_P12ihipStream_tbENKUlT_T0_E_clISt17integral_constantIbLb0EES12_IbLb1EEEEDaSY_SZ_EUlSY_E_NS1_11comp_targetILNS1_3genE5ELNS1_11target_archE942ELNS1_3gpuE9ELNS1_3repE0EEENS1_30default_config_static_selectorELNS0_4arch9wavefront6targetE1EEEvT1_: ; @_ZN7rocprim17ROCPRIM_400000_NS6detail17trampoline_kernelINS0_14default_configENS1_29reduce_by_key_config_selectorIyjN6thrust23THRUST_200600_302600_NS4plusIjEEEEZZNS1_33reduce_by_key_impl_wrapped_configILNS1_25lookback_scan_determinismE0ES3_S9_NS6_6detail15normal_iteratorINS6_10device_ptrIyEEEENSD_INSE_IjEEEESG_SI_PmS8_NS6_8equal_toIyEEEE10hipError_tPvRmT2_T3_mT4_T5_T6_T7_T8_P12ihipStream_tbENKUlT_T0_E_clISt17integral_constantIbLb0EES12_IbLb1EEEEDaSY_SZ_EUlSY_E_NS1_11comp_targetILNS1_3genE5ELNS1_11target_archE942ELNS1_3gpuE9ELNS1_3repE0EEENS1_30default_config_static_selectorELNS0_4arch9wavefront6targetE1EEEvT1_
; %bb.0:
	.section	.rodata,"a",@progbits
	.p2align	6, 0x0
	.amdhsa_kernel _ZN7rocprim17ROCPRIM_400000_NS6detail17trampoline_kernelINS0_14default_configENS1_29reduce_by_key_config_selectorIyjN6thrust23THRUST_200600_302600_NS4plusIjEEEEZZNS1_33reduce_by_key_impl_wrapped_configILNS1_25lookback_scan_determinismE0ES3_S9_NS6_6detail15normal_iteratorINS6_10device_ptrIyEEEENSD_INSE_IjEEEESG_SI_PmS8_NS6_8equal_toIyEEEE10hipError_tPvRmT2_T3_mT4_T5_T6_T7_T8_P12ihipStream_tbENKUlT_T0_E_clISt17integral_constantIbLb0EES12_IbLb1EEEEDaSY_SZ_EUlSY_E_NS1_11comp_targetILNS1_3genE5ELNS1_11target_archE942ELNS1_3gpuE9ELNS1_3repE0EEENS1_30default_config_static_selectorELNS0_4arch9wavefront6targetE1EEEvT1_
		.amdhsa_group_segment_fixed_size 0
		.amdhsa_private_segment_fixed_size 0
		.amdhsa_kernarg_size 120
		.amdhsa_user_sgpr_count 6
		.amdhsa_user_sgpr_private_segment_buffer 1
		.amdhsa_user_sgpr_dispatch_ptr 0
		.amdhsa_user_sgpr_queue_ptr 0
		.amdhsa_user_sgpr_kernarg_segment_ptr 1
		.amdhsa_user_sgpr_dispatch_id 0
		.amdhsa_user_sgpr_flat_scratch_init 0
		.amdhsa_user_sgpr_kernarg_preload_length 0
		.amdhsa_user_sgpr_kernarg_preload_offset 0
		.amdhsa_user_sgpr_private_segment_size 0
		.amdhsa_uses_dynamic_stack 0
		.amdhsa_system_sgpr_private_segment_wavefront_offset 0
		.amdhsa_system_sgpr_workgroup_id_x 1
		.amdhsa_system_sgpr_workgroup_id_y 0
		.amdhsa_system_sgpr_workgroup_id_z 0
		.amdhsa_system_sgpr_workgroup_info 0
		.amdhsa_system_vgpr_workitem_id 0
		.amdhsa_next_free_vgpr 1
		.amdhsa_next_free_sgpr 0
		.amdhsa_accum_offset 4
		.amdhsa_reserve_vcc 0
		.amdhsa_reserve_flat_scratch 0
		.amdhsa_float_round_mode_32 0
		.amdhsa_float_round_mode_16_64 0
		.amdhsa_float_denorm_mode_32 3
		.amdhsa_float_denorm_mode_16_64 3
		.amdhsa_dx10_clamp 1
		.amdhsa_ieee_mode 1
		.amdhsa_fp16_overflow 0
		.amdhsa_tg_split 0
		.amdhsa_exception_fp_ieee_invalid_op 0
		.amdhsa_exception_fp_denorm_src 0
		.amdhsa_exception_fp_ieee_div_zero 0
		.amdhsa_exception_fp_ieee_overflow 0
		.amdhsa_exception_fp_ieee_underflow 0
		.amdhsa_exception_fp_ieee_inexact 0
		.amdhsa_exception_int_div_zero 0
	.end_amdhsa_kernel
	.section	.text._ZN7rocprim17ROCPRIM_400000_NS6detail17trampoline_kernelINS0_14default_configENS1_29reduce_by_key_config_selectorIyjN6thrust23THRUST_200600_302600_NS4plusIjEEEEZZNS1_33reduce_by_key_impl_wrapped_configILNS1_25lookback_scan_determinismE0ES3_S9_NS6_6detail15normal_iteratorINS6_10device_ptrIyEEEENSD_INSE_IjEEEESG_SI_PmS8_NS6_8equal_toIyEEEE10hipError_tPvRmT2_T3_mT4_T5_T6_T7_T8_P12ihipStream_tbENKUlT_T0_E_clISt17integral_constantIbLb0EES12_IbLb1EEEEDaSY_SZ_EUlSY_E_NS1_11comp_targetILNS1_3genE5ELNS1_11target_archE942ELNS1_3gpuE9ELNS1_3repE0EEENS1_30default_config_static_selectorELNS0_4arch9wavefront6targetE1EEEvT1_,"axG",@progbits,_ZN7rocprim17ROCPRIM_400000_NS6detail17trampoline_kernelINS0_14default_configENS1_29reduce_by_key_config_selectorIyjN6thrust23THRUST_200600_302600_NS4plusIjEEEEZZNS1_33reduce_by_key_impl_wrapped_configILNS1_25lookback_scan_determinismE0ES3_S9_NS6_6detail15normal_iteratorINS6_10device_ptrIyEEEENSD_INSE_IjEEEESG_SI_PmS8_NS6_8equal_toIyEEEE10hipError_tPvRmT2_T3_mT4_T5_T6_T7_T8_P12ihipStream_tbENKUlT_T0_E_clISt17integral_constantIbLb0EES12_IbLb1EEEEDaSY_SZ_EUlSY_E_NS1_11comp_targetILNS1_3genE5ELNS1_11target_archE942ELNS1_3gpuE9ELNS1_3repE0EEENS1_30default_config_static_selectorELNS0_4arch9wavefront6targetE1EEEvT1_,comdat
.Lfunc_end725:
	.size	_ZN7rocprim17ROCPRIM_400000_NS6detail17trampoline_kernelINS0_14default_configENS1_29reduce_by_key_config_selectorIyjN6thrust23THRUST_200600_302600_NS4plusIjEEEEZZNS1_33reduce_by_key_impl_wrapped_configILNS1_25lookback_scan_determinismE0ES3_S9_NS6_6detail15normal_iteratorINS6_10device_ptrIyEEEENSD_INSE_IjEEEESG_SI_PmS8_NS6_8equal_toIyEEEE10hipError_tPvRmT2_T3_mT4_T5_T6_T7_T8_P12ihipStream_tbENKUlT_T0_E_clISt17integral_constantIbLb0EES12_IbLb1EEEEDaSY_SZ_EUlSY_E_NS1_11comp_targetILNS1_3genE5ELNS1_11target_archE942ELNS1_3gpuE9ELNS1_3repE0EEENS1_30default_config_static_selectorELNS0_4arch9wavefront6targetE1EEEvT1_, .Lfunc_end725-_ZN7rocprim17ROCPRIM_400000_NS6detail17trampoline_kernelINS0_14default_configENS1_29reduce_by_key_config_selectorIyjN6thrust23THRUST_200600_302600_NS4plusIjEEEEZZNS1_33reduce_by_key_impl_wrapped_configILNS1_25lookback_scan_determinismE0ES3_S9_NS6_6detail15normal_iteratorINS6_10device_ptrIyEEEENSD_INSE_IjEEEESG_SI_PmS8_NS6_8equal_toIyEEEE10hipError_tPvRmT2_T3_mT4_T5_T6_T7_T8_P12ihipStream_tbENKUlT_T0_E_clISt17integral_constantIbLb0EES12_IbLb1EEEEDaSY_SZ_EUlSY_E_NS1_11comp_targetILNS1_3genE5ELNS1_11target_archE942ELNS1_3gpuE9ELNS1_3repE0EEENS1_30default_config_static_selectorELNS0_4arch9wavefront6targetE1EEEvT1_
                                        ; -- End function
	.section	.AMDGPU.csdata,"",@progbits
; Kernel info:
; codeLenInByte = 0
; NumSgprs: 4
; NumVgprs: 0
; NumAgprs: 0
; TotalNumVgprs: 0
; ScratchSize: 0
; MemoryBound: 0
; FloatMode: 240
; IeeeMode: 1
; LDSByteSize: 0 bytes/workgroup (compile time only)
; SGPRBlocks: 0
; VGPRBlocks: 0
; NumSGPRsForWavesPerEU: 4
; NumVGPRsForWavesPerEU: 1
; AccumOffset: 4
; Occupancy: 8
; WaveLimiterHint : 0
; COMPUTE_PGM_RSRC2:SCRATCH_EN: 0
; COMPUTE_PGM_RSRC2:USER_SGPR: 6
; COMPUTE_PGM_RSRC2:TRAP_HANDLER: 0
; COMPUTE_PGM_RSRC2:TGID_X_EN: 1
; COMPUTE_PGM_RSRC2:TGID_Y_EN: 0
; COMPUTE_PGM_RSRC2:TGID_Z_EN: 0
; COMPUTE_PGM_RSRC2:TIDIG_COMP_CNT: 0
; COMPUTE_PGM_RSRC3_GFX90A:ACCUM_OFFSET: 0
; COMPUTE_PGM_RSRC3_GFX90A:TG_SPLIT: 0
	.section	.text._ZN7rocprim17ROCPRIM_400000_NS6detail17trampoline_kernelINS0_14default_configENS1_29reduce_by_key_config_selectorIyjN6thrust23THRUST_200600_302600_NS4plusIjEEEEZZNS1_33reduce_by_key_impl_wrapped_configILNS1_25lookback_scan_determinismE0ES3_S9_NS6_6detail15normal_iteratorINS6_10device_ptrIyEEEENSD_INSE_IjEEEESG_SI_PmS8_NS6_8equal_toIyEEEE10hipError_tPvRmT2_T3_mT4_T5_T6_T7_T8_P12ihipStream_tbENKUlT_T0_E_clISt17integral_constantIbLb0EES12_IbLb1EEEEDaSY_SZ_EUlSY_E_NS1_11comp_targetILNS1_3genE4ELNS1_11target_archE910ELNS1_3gpuE8ELNS1_3repE0EEENS1_30default_config_static_selectorELNS0_4arch9wavefront6targetE1EEEvT1_,"axG",@progbits,_ZN7rocprim17ROCPRIM_400000_NS6detail17trampoline_kernelINS0_14default_configENS1_29reduce_by_key_config_selectorIyjN6thrust23THRUST_200600_302600_NS4plusIjEEEEZZNS1_33reduce_by_key_impl_wrapped_configILNS1_25lookback_scan_determinismE0ES3_S9_NS6_6detail15normal_iteratorINS6_10device_ptrIyEEEENSD_INSE_IjEEEESG_SI_PmS8_NS6_8equal_toIyEEEE10hipError_tPvRmT2_T3_mT4_T5_T6_T7_T8_P12ihipStream_tbENKUlT_T0_E_clISt17integral_constantIbLb0EES12_IbLb1EEEEDaSY_SZ_EUlSY_E_NS1_11comp_targetILNS1_3genE4ELNS1_11target_archE910ELNS1_3gpuE8ELNS1_3repE0EEENS1_30default_config_static_selectorELNS0_4arch9wavefront6targetE1EEEvT1_,comdat
	.protected	_ZN7rocprim17ROCPRIM_400000_NS6detail17trampoline_kernelINS0_14default_configENS1_29reduce_by_key_config_selectorIyjN6thrust23THRUST_200600_302600_NS4plusIjEEEEZZNS1_33reduce_by_key_impl_wrapped_configILNS1_25lookback_scan_determinismE0ES3_S9_NS6_6detail15normal_iteratorINS6_10device_ptrIyEEEENSD_INSE_IjEEEESG_SI_PmS8_NS6_8equal_toIyEEEE10hipError_tPvRmT2_T3_mT4_T5_T6_T7_T8_P12ihipStream_tbENKUlT_T0_E_clISt17integral_constantIbLb0EES12_IbLb1EEEEDaSY_SZ_EUlSY_E_NS1_11comp_targetILNS1_3genE4ELNS1_11target_archE910ELNS1_3gpuE8ELNS1_3repE0EEENS1_30default_config_static_selectorELNS0_4arch9wavefront6targetE1EEEvT1_ ; -- Begin function _ZN7rocprim17ROCPRIM_400000_NS6detail17trampoline_kernelINS0_14default_configENS1_29reduce_by_key_config_selectorIyjN6thrust23THRUST_200600_302600_NS4plusIjEEEEZZNS1_33reduce_by_key_impl_wrapped_configILNS1_25lookback_scan_determinismE0ES3_S9_NS6_6detail15normal_iteratorINS6_10device_ptrIyEEEENSD_INSE_IjEEEESG_SI_PmS8_NS6_8equal_toIyEEEE10hipError_tPvRmT2_T3_mT4_T5_T6_T7_T8_P12ihipStream_tbENKUlT_T0_E_clISt17integral_constantIbLb0EES12_IbLb1EEEEDaSY_SZ_EUlSY_E_NS1_11comp_targetILNS1_3genE4ELNS1_11target_archE910ELNS1_3gpuE8ELNS1_3repE0EEENS1_30default_config_static_selectorELNS0_4arch9wavefront6targetE1EEEvT1_
	.globl	_ZN7rocprim17ROCPRIM_400000_NS6detail17trampoline_kernelINS0_14default_configENS1_29reduce_by_key_config_selectorIyjN6thrust23THRUST_200600_302600_NS4plusIjEEEEZZNS1_33reduce_by_key_impl_wrapped_configILNS1_25lookback_scan_determinismE0ES3_S9_NS6_6detail15normal_iteratorINS6_10device_ptrIyEEEENSD_INSE_IjEEEESG_SI_PmS8_NS6_8equal_toIyEEEE10hipError_tPvRmT2_T3_mT4_T5_T6_T7_T8_P12ihipStream_tbENKUlT_T0_E_clISt17integral_constantIbLb0EES12_IbLb1EEEEDaSY_SZ_EUlSY_E_NS1_11comp_targetILNS1_3genE4ELNS1_11target_archE910ELNS1_3gpuE8ELNS1_3repE0EEENS1_30default_config_static_selectorELNS0_4arch9wavefront6targetE1EEEvT1_
	.p2align	8
	.type	_ZN7rocprim17ROCPRIM_400000_NS6detail17trampoline_kernelINS0_14default_configENS1_29reduce_by_key_config_selectorIyjN6thrust23THRUST_200600_302600_NS4plusIjEEEEZZNS1_33reduce_by_key_impl_wrapped_configILNS1_25lookback_scan_determinismE0ES3_S9_NS6_6detail15normal_iteratorINS6_10device_ptrIyEEEENSD_INSE_IjEEEESG_SI_PmS8_NS6_8equal_toIyEEEE10hipError_tPvRmT2_T3_mT4_T5_T6_T7_T8_P12ihipStream_tbENKUlT_T0_E_clISt17integral_constantIbLb0EES12_IbLb1EEEEDaSY_SZ_EUlSY_E_NS1_11comp_targetILNS1_3genE4ELNS1_11target_archE910ELNS1_3gpuE8ELNS1_3repE0EEENS1_30default_config_static_selectorELNS0_4arch9wavefront6targetE1EEEvT1_,@function
_ZN7rocprim17ROCPRIM_400000_NS6detail17trampoline_kernelINS0_14default_configENS1_29reduce_by_key_config_selectorIyjN6thrust23THRUST_200600_302600_NS4plusIjEEEEZZNS1_33reduce_by_key_impl_wrapped_configILNS1_25lookback_scan_determinismE0ES3_S9_NS6_6detail15normal_iteratorINS6_10device_ptrIyEEEENSD_INSE_IjEEEESG_SI_PmS8_NS6_8equal_toIyEEEE10hipError_tPvRmT2_T3_mT4_T5_T6_T7_T8_P12ihipStream_tbENKUlT_T0_E_clISt17integral_constantIbLb0EES12_IbLb1EEEEDaSY_SZ_EUlSY_E_NS1_11comp_targetILNS1_3genE4ELNS1_11target_archE910ELNS1_3gpuE8ELNS1_3repE0EEENS1_30default_config_static_selectorELNS0_4arch9wavefront6targetE1EEEvT1_: ; @_ZN7rocprim17ROCPRIM_400000_NS6detail17trampoline_kernelINS0_14default_configENS1_29reduce_by_key_config_selectorIyjN6thrust23THRUST_200600_302600_NS4plusIjEEEEZZNS1_33reduce_by_key_impl_wrapped_configILNS1_25lookback_scan_determinismE0ES3_S9_NS6_6detail15normal_iteratorINS6_10device_ptrIyEEEENSD_INSE_IjEEEESG_SI_PmS8_NS6_8equal_toIyEEEE10hipError_tPvRmT2_T3_mT4_T5_T6_T7_T8_P12ihipStream_tbENKUlT_T0_E_clISt17integral_constantIbLb0EES12_IbLb1EEEEDaSY_SZ_EUlSY_E_NS1_11comp_targetILNS1_3genE4ELNS1_11target_archE910ELNS1_3gpuE8ELNS1_3repE0EEENS1_30default_config_static_selectorELNS0_4arch9wavefront6targetE1EEEvT1_
; %bb.0:
	s_load_dwordx8 s[36:43], s[4:5], 0x0
	s_load_dwordx4 s[52:55], s[4:5], 0x20
	s_load_dwordx8 s[44:51], s[4:5], 0x38
	s_load_dwordx2 s[60:61], s[4:5], 0x68
	s_load_dwordx4 s[56:59], s[4:5], 0x58
	v_cmp_ne_u32_e64 s[2:3], 0, v0
	v_cmp_eq_u32_e64 s[0:1], 0, v0
	s_and_saveexec_b64 s[6:7], s[0:1]
	s_cbranch_execz .LBB726_4
; %bb.1:
	s_mov_b64 s[10:11], exec
	v_mbcnt_lo_u32_b32 v1, s10, 0
	v_mbcnt_hi_u32_b32 v1, s11, v1
	v_cmp_eq_u32_e32 vcc, 0, v1
                                        ; implicit-def: $vgpr2
	s_and_saveexec_b64 s[8:9], vcc
	s_cbranch_execz .LBB726_3
; %bb.2:
	s_load_dwordx2 s[4:5], s[4:5], 0x70
	s_bcnt1_i32_b64 s10, s[10:11]
	v_mov_b32_e32 v2, 0
	v_mov_b32_e32 v3, s10
	s_waitcnt lgkmcnt(0)
	global_atomic_add v2, v2, v3, s[4:5] glc
.LBB726_3:
	s_or_b64 exec, exec, s[8:9]
	s_waitcnt vmcnt(0)
	v_readfirstlane_b32 s4, v2
	v_add_u32_e32 v1, s4, v1
	v_mov_b32_e32 v2, 0
	ds_write_b32 v2, v1
.LBB726_4:
	s_or_b64 exec, exec, s[6:7]
	v_mov_b32_e32 v3, 0
	s_waitcnt lgkmcnt(0)
	s_lshl_b64 s[4:5], s[38:39], 3
	s_barrier
	ds_read_b32 v1, v3
	s_add_u32 s6, s36, s4
	s_addc_u32 s7, s37, s5
	s_lshl_b64 s[4:5], s[38:39], 2
	s_add_u32 s4, s40, s4
	s_mul_i32 s8, s48, s47
	s_mul_hi_u32 s9, s48, s46
	s_addc_u32 s5, s41, s5
	s_add_i32 s8, s9, s8
	s_mul_i32 s9, s49, s46
	s_add_i32 s8, s8, s9
	s_mul_i32 s9, s48, s46
	s_waitcnt lgkmcnt(0)
	v_readfirstlane_b32 s62, v1
	s_movk_i32 s10, 0xf00
	v_mul_lo_u32 v2, v1, s10
	s_add_u32 s40, s9, s62
	v_lshlrev_b64 v[4:5], 3, v[2:3]
	s_addc_u32 s41, s8, 0
	v_mov_b32_e32 v1, s7
	v_add_co_u32_e32 v49, vcc, s6, v4
	s_add_u32 s6, s50, -1
	v_addc_co_u32_e32 v51, vcc, v1, v5, vcc
	v_lshlrev_b64 v[2:3], 2, v[2:3]
	s_addc_u32 s7, s51, -1
	v_mov_b32_e32 v4, s5
	v_add_co_u32_e32 v1, vcc, s4, v2
	s_cmp_eq_u64 s[40:41], s[6:7]
	v_addc_co_u32_e32 v53, vcc, v4, v3, vcc
	s_cselect_b64 s[36:37], -1, 0
	s_cmp_lg_u64 s[40:41], s[6:7]
	s_mov_b64 s[4:5], -1
	s_cselect_b64 s[48:49], -1, 0
	s_mul_i32 s33, s6, 0xfffff100
	s_and_b64 vcc, exec, s[36:37]
	v_mad_u32_u24 v50, v0, 15, 1
	v_mad_u32_u24 v52, v0, 15, 2
	;; [unrolled: 1-line block ×14, first 2 shown]
	s_barrier
	s_cbranch_vccnz .LBB726_6
; %bb.5:
	v_lshlrev_b32_e32 v40, 3, v0
	v_add_co_u32_e32 v2, vcc, v49, v40
	v_addc_co_u32_e32 v3, vcc, 0, v51, vcc
	v_add_co_u32_e32 v4, vcc, 0x1000, v2
	v_addc_co_u32_e32 v5, vcc, 0, v3, vcc
	flat_load_dwordx2 v[6:7], v[2:3]
	flat_load_dwordx2 v[8:9], v[2:3] offset:2048
	flat_load_dwordx2 v[10:11], v[4:5]
	flat_load_dwordx2 v[12:13], v[4:5] offset:2048
	v_add_co_u32_e32 v4, vcc, 0x2000, v2
	v_addc_co_u32_e32 v5, vcc, 0, v3, vcc
	v_add_co_u32_e32 v14, vcc, 0x3000, v2
	v_addc_co_u32_e32 v15, vcc, 0, v3, vcc
	flat_load_dwordx2 v[16:17], v[4:5]
	flat_load_dwordx2 v[18:19], v[4:5] offset:2048
	flat_load_dwordx2 v[20:21], v[14:15]
	flat_load_dwordx2 v[22:23], v[14:15] offset:2048
	v_add_co_u32_e32 v4, vcc, 0x4000, v2
	v_addc_co_u32_e32 v5, vcc, 0, v3, vcc
	v_add_co_u32_e32 v14, vcc, 0x5000, v2
	v_addc_co_u32_e32 v15, vcc, 0, v3, vcc
	flat_load_dwordx2 v[24:25], v[4:5]
	flat_load_dwordx2 v[26:27], v[4:5] offset:2048
	flat_load_dwordx2 v[28:29], v[14:15]
	flat_load_dwordx2 v[30:31], v[14:15] offset:2048
	v_add_co_u32_e32 v4, vcc, 0x6000, v2
	v_addc_co_u32_e32 v5, vcc, 0, v3, vcc
	v_add_co_u32_e32 v2, vcc, 0x7000, v2
	v_addc_co_u32_e32 v3, vcc, 0, v3, vcc
	flat_load_dwordx2 v[14:15], v[4:5]
	flat_load_dwordx2 v[32:33], v[4:5] offset:2048
	flat_load_dwordx2 v[34:35], v[2:3]
	v_lshlrev_b32_e32 v2, 2, v0
	v_add_co_u32_e32 v36, vcc, v1, v2
	s_movk_i32 s4, 0x1000
	v_addc_co_u32_e32 v37, vcc, 0, v53, vcc
	v_add_co_u32_e32 v38, vcc, s4, v36
	s_movk_i32 s5, 0x2000
	v_addc_co_u32_e32 v39, vcc, 0, v37, vcc
	s_movk_i32 s6, 0x3000
	s_movk_i32 s7, 0x70
	v_mad_u32_u24 v41, v0, s7, v40
	s_movk_i32 s4, 0xff8c
	v_mul_u32_u24_e32 v55, 15, v0
	v_mad_i32_i24 v79, v0, s4, v41
	s_waitcnt vmcnt(0) lgkmcnt(0)
	ds_write2st64_b64 v40, v[6:7], v[8:9] offset1:4
	ds_write2st64_b64 v40, v[10:11], v[12:13] offset0:8 offset1:12
	ds_write2st64_b64 v40, v[16:17], v[18:19] offset0:16 offset1:20
	;; [unrolled: 1-line block ×6, first 2 shown]
	ds_write_b64 v40, v[34:35] offset:28672
	v_add_co_u32_e32 v30, vcc, s5, v36
	v_addc_co_u32_e32 v31, vcc, 0, v37, vcc
	v_add_co_u32_e32 v32, vcc, s6, v36
	s_waitcnt lgkmcnt(0)
	s_barrier
	ds_read2_b64 v[26:29], v41 offset1:1
	ds_read2_b64 v[22:25], v41 offset0:2 offset1:3
	ds_read2_b64 v[18:21], v41 offset0:4 offset1:5
	;; [unrolled: 1-line block ×6, first 2 shown]
	ds_read_b64 v[46:47], v41 offset:112
	s_waitcnt lgkmcnt(0)
	s_barrier
	flat_load_dword v44, v[36:37]
	flat_load_dword v45, v[36:37] offset:1024
	flat_load_dword v57, v[36:37] offset:2048
	;; [unrolled: 1-line block ×3, first 2 shown]
	flat_load_dword v61, v[38:39]
	flat_load_dword v63, v[38:39] offset:1024
	flat_load_dword v65, v[38:39] offset:2048
	flat_load_dword v67, v[38:39] offset:3072
	v_addc_co_u32_e32 v33, vcc, 0, v37, vcc
	flat_load_dword v69, v[30:31]
	flat_load_dword v71, v[30:31] offset:1024
	flat_load_dword v73, v[30:31] offset:2048
	;; [unrolled: 1-line block ×3, first 2 shown]
	flat_load_dword v76, v[32:33]
	flat_load_dword v77, v[32:33] offset:1024
	flat_load_dword v78, v[32:33] offset:2048
	v_mov_b32_e32 v30, v26
	v_mov_b32_e32 v31, v27
	;; [unrolled: 1-line block ×14, first 2 shown]
	s_mov_b64 s[4:5], 0
	s_waitcnt vmcnt(0) lgkmcnt(0)
	ds_write2st64_b32 v79, v44, v45 offset1:4
	ds_write2st64_b32 v79, v57, v59 offset0:8 offset1:12
	ds_write2st64_b32 v79, v61, v63 offset0:16 offset1:20
	;; [unrolled: 1-line block ×6, first 2 shown]
	ds_write_b32 v79, v78 offset:14336
	s_waitcnt lgkmcnt(0)
	s_barrier
	s_branch .LBB726_7
.LBB726_6:
                                        ; implicit-def: $vgpr46_vgpr47
                                        ; implicit-def: $vgpr2_vgpr3
                                        ; implicit-def: $vgpr6_vgpr7
                                        ; implicit-def: $vgpr10_vgpr11
                                        ; implicit-def: $vgpr14_vgpr15
                                        ; implicit-def: $vgpr18_vgpr19
                                        ; implicit-def: $vgpr22_vgpr23
                                        ; implicit-def: $vgpr26_vgpr27
                                        ; implicit-def: $vgpr55
                                        ; implicit-def: $vgpr38_vgpr39_vgpr40_vgpr41
                                        ; implicit-def: $vgpr34_vgpr35_vgpr36_vgpr37
                                        ; implicit-def: $vgpr30_vgpr31_vgpr32_vgpr33
                                        ; implicit-def: $vgpr42_vgpr43_vgpr44_vgpr45
.LBB726_7:
	s_add_i32 s33, s33, s56
	s_andn2_b64 vcc, exec, s[4:5]
	v_mov_b32_e32 v78, v48
	v_mov_b32_e32 v79, v74
	;; [unrolled: 1-line block ×14, first 2 shown]
	s_cbranch_vccnz .LBB726_69
; %bb.8:
	v_cmp_gt_u32_e32 vcc, s33, v0
                                        ; implicit-def: $vgpr2_vgpr3
	s_and_saveexec_b64 s[6:7], vcc
	s_cbranch_execz .LBB726_10
; %bb.9:
	v_lshlrev_b32_e32 v2, 3, v0
	v_add_co_u32_e64 v2, s[4:5], v49, v2
	v_addc_co_u32_e64 v3, s[4:5], 0, v51, s[4:5]
	flat_load_dwordx2 v[2:3], v[2:3]
.LBB726_10:
	s_or_b64 exec, exec, s[6:7]
	v_or_b32_e32 v4, 0x100, v0
	v_cmp_gt_u32_e64 s[4:5], s33, v4
                                        ; implicit-def: $vgpr4_vgpr5
	s_and_saveexec_b64 s[8:9], s[4:5]
	s_cbranch_execz .LBB726_12
; %bb.11:
	v_lshlrev_b32_e32 v4, 3, v0
	v_add_co_u32_e64 v4, s[6:7], v49, v4
	v_addc_co_u32_e64 v5, s[6:7], 0, v51, s[6:7]
	flat_load_dwordx2 v[4:5], v[4:5] offset:2048
.LBB726_12:
	s_or_b64 exec, exec, s[8:9]
	v_or_b32_e32 v8, 0x200, v0
	v_cmp_gt_u32_e64 s[6:7], s33, v8
                                        ; implicit-def: $vgpr6_vgpr7
	s_and_saveexec_b64 s[10:11], s[6:7]
	s_cbranch_execz .LBB726_14
; %bb.13:
	v_lshlrev_b32_e32 v6, 3, v8
	v_add_co_u32_e64 v6, s[8:9], v49, v6
	v_addc_co_u32_e64 v7, s[8:9], 0, v51, s[8:9]
	flat_load_dwordx2 v[6:7], v[6:7]
.LBB726_14:
	s_or_b64 exec, exec, s[10:11]
	v_or_b32_e32 v10, 0x300, v0
	v_cmp_gt_u32_e64 s[8:9], s33, v10
                                        ; implicit-def: $vgpr8_vgpr9
	s_and_saveexec_b64 s[12:13], s[8:9]
	s_cbranch_execz .LBB726_16
; %bb.15:
	v_lshlrev_b32_e32 v8, 3, v10
	v_add_co_u32_e64 v8, s[10:11], v49, v8
	v_addc_co_u32_e64 v9, s[10:11], 0, v51, s[10:11]
	flat_load_dwordx2 v[8:9], v[8:9]
.LBB726_16:
	s_or_b64 exec, exec, s[12:13]
	v_or_b32_e32 v33, 0x400, v0
	v_cmp_gt_u32_e64 s[10:11], s33, v33
                                        ; implicit-def: $vgpr10_vgpr11
	s_and_saveexec_b64 s[14:15], s[10:11]
	s_cbranch_execz .LBB726_18
; %bb.17:
	v_lshlrev_b32_e32 v10, 3, v33
	v_add_co_u32_e64 v10, s[12:13], v49, v10
	v_addc_co_u32_e64 v11, s[12:13], 0, v51, s[12:13]
	flat_load_dwordx2 v[10:11], v[10:11]
.LBB726_18:
	s_or_b64 exec, exec, s[14:15]
	v_or_b32_e32 v34, 0x500, v0
	v_cmp_gt_u32_e64 s[12:13], s33, v34
                                        ; implicit-def: $vgpr12_vgpr13
	s_and_saveexec_b64 s[16:17], s[12:13]
	s_cbranch_execz .LBB726_20
; %bb.19:
	v_lshlrev_b32_e32 v12, 3, v34
	v_add_co_u32_e64 v12, s[14:15], v49, v12
	v_addc_co_u32_e64 v13, s[14:15], 0, v51, s[14:15]
	flat_load_dwordx2 v[12:13], v[12:13]
.LBB726_20:
	s_or_b64 exec, exec, s[16:17]
	v_or_b32_e32 v35, 0x600, v0
	v_cmp_gt_u32_e64 s[14:15], s33, v35
                                        ; implicit-def: $vgpr14_vgpr15
	s_and_saveexec_b64 s[18:19], s[14:15]
	s_cbranch_execz .LBB726_22
; %bb.21:
	v_lshlrev_b32_e32 v14, 3, v35
	v_add_co_u32_e64 v14, s[16:17], v49, v14
	v_addc_co_u32_e64 v15, s[16:17], 0, v51, s[16:17]
	flat_load_dwordx2 v[14:15], v[14:15]
.LBB726_22:
	s_or_b64 exec, exec, s[18:19]
	v_or_b32_e32 v36, 0x700, v0
	v_cmp_gt_u32_e64 s[16:17], s33, v36
                                        ; implicit-def: $vgpr16_vgpr17
	s_and_saveexec_b64 s[20:21], s[16:17]
	s_cbranch_execz .LBB726_24
; %bb.23:
	v_lshlrev_b32_e32 v16, 3, v36
	v_add_co_u32_e64 v16, s[18:19], v49, v16
	v_addc_co_u32_e64 v17, s[18:19], 0, v51, s[18:19]
	flat_load_dwordx2 v[16:17], v[16:17]
.LBB726_24:
	s_or_b64 exec, exec, s[20:21]
	v_or_b32_e32 v38, 0x800, v0
	v_cmp_gt_u32_e64 s[18:19], s33, v38
                                        ; implicit-def: $vgpr18_vgpr19
	s_and_saveexec_b64 s[22:23], s[18:19]
	s_cbranch_execz .LBB726_26
; %bb.25:
	v_lshlrev_b32_e32 v18, 3, v38
	v_add_co_u32_e64 v18, s[20:21], v49, v18
	v_addc_co_u32_e64 v19, s[20:21], 0, v51, s[20:21]
	flat_load_dwordx2 v[18:19], v[18:19]
.LBB726_26:
	s_or_b64 exec, exec, s[22:23]
	v_or_b32_e32 v39, 0x900, v0
	v_cmp_gt_u32_e64 s[20:21], s33, v39
                                        ; implicit-def: $vgpr20_vgpr21
	s_and_saveexec_b64 s[24:25], s[20:21]
	s_cbranch_execz .LBB726_28
; %bb.27:
	v_lshlrev_b32_e32 v20, 3, v39
	v_add_co_u32_e64 v20, s[22:23], v49, v20
	v_addc_co_u32_e64 v21, s[22:23], 0, v51, s[22:23]
	flat_load_dwordx2 v[20:21], v[20:21]
.LBB726_28:
	s_or_b64 exec, exec, s[24:25]
	v_or_b32_e32 v40, 0xa00, v0
	v_cmp_gt_u32_e64 s[22:23], s33, v40
                                        ; implicit-def: $vgpr22_vgpr23
	s_and_saveexec_b64 s[26:27], s[22:23]
	s_cbranch_execz .LBB726_30
; %bb.29:
	v_lshlrev_b32_e32 v22, 3, v40
	v_add_co_u32_e64 v22, s[24:25], v49, v22
	v_addc_co_u32_e64 v23, s[24:25], 0, v51, s[24:25]
	flat_load_dwordx2 v[22:23], v[22:23]
.LBB726_30:
	s_or_b64 exec, exec, s[26:27]
	v_or_b32_e32 v41, 0xb00, v0
	v_cmp_gt_u32_e64 s[24:25], s33, v41
                                        ; implicit-def: $vgpr24_vgpr25
	s_and_saveexec_b64 s[28:29], s[24:25]
	s_cbranch_execz .LBB726_32
; %bb.31:
	v_lshlrev_b32_e32 v24, 3, v41
	v_add_co_u32_e64 v24, s[26:27], v49, v24
	v_addc_co_u32_e64 v25, s[26:27], 0, v51, s[26:27]
	flat_load_dwordx2 v[24:25], v[24:25]
.LBB726_32:
	s_or_b64 exec, exec, s[28:29]
	v_or_b32_e32 v42, 0xc00, v0
	v_cmp_gt_u32_e64 s[26:27], s33, v42
                                        ; implicit-def: $vgpr26_vgpr27
	s_and_saveexec_b64 s[30:31], s[26:27]
	s_cbranch_execz .LBB726_34
; %bb.33:
	v_lshlrev_b32_e32 v26, 3, v42
	v_add_co_u32_e64 v26, s[28:29], v49, v26
	v_addc_co_u32_e64 v27, s[28:29], 0, v51, s[28:29]
	flat_load_dwordx2 v[26:27], v[26:27]
.LBB726_34:
	s_or_b64 exec, exec, s[30:31]
	v_or_b32_e32 v43, 0xd00, v0
	v_cmp_gt_u32_e64 s[28:29], s33, v43
                                        ; implicit-def: $vgpr28_vgpr29
	s_and_saveexec_b64 s[34:35], s[28:29]
	s_cbranch_execz .LBB726_36
; %bb.35:
	v_lshlrev_b32_e32 v28, 3, v43
	v_add_co_u32_e64 v28, s[30:31], v49, v28
	v_addc_co_u32_e64 v29, s[30:31], 0, v51, s[30:31]
	flat_load_dwordx2 v[28:29], v[28:29]
.LBB726_36:
	s_or_b64 exec, exec, s[34:35]
	v_or_b32_e32 v44, 0xe00, v0
	v_cmp_gt_u32_e64 s[30:31], s33, v44
                                        ; implicit-def: $vgpr30_vgpr31
	s_and_saveexec_b64 s[38:39], s[30:31]
	s_cbranch_execz .LBB726_38
; %bb.37:
	v_lshlrev_b32_e32 v30, 3, v44
	v_add_co_u32_e64 v30, s[34:35], v49, v30
	v_addc_co_u32_e64 v31, s[34:35], 0, v51, s[34:35]
	flat_load_dwordx2 v[30:31], v[30:31]
.LBB726_38:
	s_or_b64 exec, exec, s[38:39]
	v_lshlrev_b32_e32 v32, 3, v0
	s_movk_i32 s34, 0x70
	s_waitcnt vmcnt(0) lgkmcnt(0)
	ds_write2st64_b64 v32, v[2:3], v[4:5] offset1:4
	ds_write2st64_b64 v32, v[6:7], v[8:9] offset0:8 offset1:12
	ds_write2st64_b64 v32, v[10:11], v[12:13] offset0:16 offset1:20
	ds_write2st64_b64 v32, v[14:15], v[16:17] offset0:24 offset1:28
	ds_write2st64_b64 v32, v[18:19], v[20:21] offset0:32 offset1:36
	ds_write2st64_b64 v32, v[22:23], v[24:25] offset0:40 offset1:44
	ds_write2st64_b64 v32, v[26:27], v[28:29] offset0:48 offset1:52
	ds_write_b64 v32, v[30:31] offset:28672
	v_mad_u32_u24 v30, v0, s34, v32
	s_waitcnt lgkmcnt(0)
	s_barrier
	ds_read2_b64 v[26:29], v30 offset1:1
	ds_read2_b64 v[22:25], v30 offset0:2 offset1:3
	ds_read2_b64 v[18:21], v30 offset0:4 offset1:5
	;; [unrolled: 1-line block ×6, first 2 shown]
	ds_read_b64 v[46:47], v30 offset:112
	s_waitcnt lgkmcnt(0)
	s_barrier
	s_waitcnt lgkmcnt(0)
                                        ; implicit-def: $vgpr31
	s_and_saveexec_b64 s[34:35], vcc
	s_cbranch_execz .LBB726_52
; %bb.39:
	v_lshlrev_b32_e32 v31, 2, v0
	v_add_co_u32_e32 v76, vcc, v1, v31
	v_addc_co_u32_e32 v77, vcc, 0, v53, vcc
	flat_load_dword v31, v[76:77]
	s_or_b64 exec, exec, s[34:35]
                                        ; implicit-def: $vgpr32
	s_and_saveexec_b64 s[34:35], s[4:5]
	s_cbranch_execnz .LBB726_53
.LBB726_40:
	s_or_b64 exec, exec, s[34:35]
                                        ; implicit-def: $vgpr37
	s_and_saveexec_b64 s[4:5], s[6:7]
	s_cbranch_execz .LBB726_54
.LBB726_41:
	v_lshlrev_b32_e32 v37, 2, v0
	v_add_co_u32_e32 v76, vcc, v1, v37
	v_addc_co_u32_e32 v77, vcc, 0, v53, vcc
	flat_load_dword v37, v[76:77] offset:2048
	s_or_b64 exec, exec, s[4:5]
                                        ; implicit-def: $vgpr45
	s_and_saveexec_b64 s[4:5], s[8:9]
	s_cbranch_execnz .LBB726_55
.LBB726_42:
	s_or_b64 exec, exec, s[4:5]
                                        ; implicit-def: $vgpr57
	s_and_saveexec_b64 s[4:5], s[10:11]
	s_cbranch_execz .LBB726_56
.LBB726_43:
	v_lshlrev_b32_e32 v33, 2, v33
	v_add_co_u32_e32 v76, vcc, v1, v33
	v_addc_co_u32_e32 v77, vcc, 0, v53, vcc
	flat_load_dword v57, v[76:77]
	s_or_b64 exec, exec, s[4:5]
                                        ; implicit-def: $vgpr33
	s_and_saveexec_b64 s[4:5], s[12:13]
	s_cbranch_execnz .LBB726_57
.LBB726_44:
	s_or_b64 exec, exec, s[4:5]
                                        ; implicit-def: $vgpr34
	s_and_saveexec_b64 s[4:5], s[14:15]
	s_cbranch_execz .LBB726_58
.LBB726_45:
	v_lshlrev_b32_e32 v34, 2, v35
	v_add_co_u32_e32 v34, vcc, v1, v34
	v_addc_co_u32_e32 v35, vcc, 0, v53, vcc
	flat_load_dword v34, v[34:35]
	s_or_b64 exec, exec, s[4:5]
                                        ; implicit-def: $vgpr35
	s_and_saveexec_b64 s[4:5], s[16:17]
	s_cbranch_execnz .LBB726_59
.LBB726_46:
	s_or_b64 exec, exec, s[4:5]
                                        ; implicit-def: $vgpr36
	s_and_saveexec_b64 s[4:5], s[18:19]
	s_cbranch_execz .LBB726_60
.LBB726_47:
	v_lshlrev_b32_e32 v36, 2, v38
	v_add_co_u32_e32 v76, vcc, v1, v36
	v_addc_co_u32_e32 v77, vcc, 0, v53, vcc
	flat_load_dword v36, v[76:77]
	s_or_b64 exec, exec, s[4:5]
                                        ; implicit-def: $vgpr38
	s_and_saveexec_b64 s[4:5], s[20:21]
	s_cbranch_execnz .LBB726_61
.LBB726_48:
	s_or_b64 exec, exec, s[4:5]
                                        ; implicit-def: $vgpr39
	s_and_saveexec_b64 s[4:5], s[22:23]
	s_cbranch_execz .LBB726_62
.LBB726_49:
	v_lshlrev_b32_e32 v39, 2, v40
	v_add_co_u32_e32 v76, vcc, v1, v39
	v_addc_co_u32_e32 v77, vcc, 0, v53, vcc
	flat_load_dword v39, v[76:77]
	s_or_b64 exec, exec, s[4:5]
                                        ; implicit-def: $vgpr40
	s_and_saveexec_b64 s[4:5], s[24:25]
	s_cbranch_execnz .LBB726_63
.LBB726_50:
	s_or_b64 exec, exec, s[4:5]
                                        ; implicit-def: $vgpr41
	s_and_saveexec_b64 s[4:5], s[26:27]
	s_cbranch_execz .LBB726_64
.LBB726_51:
	v_lshlrev_b32_e32 v41, 2, v42
	v_add_co_u32_e32 v76, vcc, v1, v41
	v_addc_co_u32_e32 v77, vcc, 0, v53, vcc
	flat_load_dword v41, v[76:77]
	s_or_b64 exec, exec, s[4:5]
                                        ; implicit-def: $vgpr42
	s_and_saveexec_b64 s[4:5], s[28:29]
	s_cbranch_execz .LBB726_66
	s_branch .LBB726_65
.LBB726_52:
	s_or_b64 exec, exec, s[34:35]
                                        ; implicit-def: $vgpr32
	s_and_saveexec_b64 s[34:35], s[4:5]
	s_cbranch_execz .LBB726_40
.LBB726_53:
	v_lshlrev_b32_e32 v32, 2, v0
	v_add_co_u32_e32 v76, vcc, v1, v32
	v_addc_co_u32_e32 v77, vcc, 0, v53, vcc
	flat_load_dword v32, v[76:77] offset:1024
	s_or_b64 exec, exec, s[34:35]
                                        ; implicit-def: $vgpr37
	s_and_saveexec_b64 s[4:5], s[6:7]
	s_cbranch_execnz .LBB726_41
.LBB726_54:
	s_or_b64 exec, exec, s[4:5]
                                        ; implicit-def: $vgpr45
	s_and_saveexec_b64 s[4:5], s[8:9]
	s_cbranch_execz .LBB726_42
.LBB726_55:
	v_lshlrev_b32_e32 v45, 2, v0
	v_add_co_u32_e32 v76, vcc, v1, v45
	v_addc_co_u32_e32 v77, vcc, 0, v53, vcc
	flat_load_dword v45, v[76:77] offset:3072
	s_or_b64 exec, exec, s[4:5]
                                        ; implicit-def: $vgpr57
	s_and_saveexec_b64 s[4:5], s[10:11]
	s_cbranch_execnz .LBB726_43
.LBB726_56:
	s_or_b64 exec, exec, s[4:5]
                                        ; implicit-def: $vgpr33
	s_and_saveexec_b64 s[4:5], s[12:13]
	s_cbranch_execz .LBB726_44
.LBB726_57:
	v_lshlrev_b32_e32 v33, 2, v34
	v_add_co_u32_e32 v76, vcc, v1, v33
	v_addc_co_u32_e32 v77, vcc, 0, v53, vcc
	flat_load_dword v33, v[76:77]
	s_or_b64 exec, exec, s[4:5]
                                        ; implicit-def: $vgpr34
	s_and_saveexec_b64 s[4:5], s[14:15]
	s_cbranch_execnz .LBB726_45
.LBB726_58:
	s_or_b64 exec, exec, s[4:5]
                                        ; implicit-def: $vgpr35
	s_and_saveexec_b64 s[4:5], s[16:17]
	s_cbranch_execz .LBB726_46
.LBB726_59:
	v_lshlrev_b32_e32 v35, 2, v36
	v_add_co_u32_e32 v76, vcc, v1, v35
	v_addc_co_u32_e32 v77, vcc, 0, v53, vcc
	flat_load_dword v35, v[76:77]
	s_or_b64 exec, exec, s[4:5]
                                        ; implicit-def: $vgpr36
	s_and_saveexec_b64 s[4:5], s[18:19]
	s_cbranch_execnz .LBB726_47
.LBB726_60:
	s_or_b64 exec, exec, s[4:5]
                                        ; implicit-def: $vgpr38
	s_and_saveexec_b64 s[4:5], s[20:21]
	s_cbranch_execz .LBB726_48
.LBB726_61:
	v_lshlrev_b32_e32 v38, 2, v39
	v_add_co_u32_e32 v38, vcc, v1, v38
	v_addc_co_u32_e32 v39, vcc, 0, v53, vcc
	flat_load_dword v38, v[38:39]
	s_or_b64 exec, exec, s[4:5]
                                        ; implicit-def: $vgpr39
	s_and_saveexec_b64 s[4:5], s[22:23]
	s_cbranch_execnz .LBB726_49
.LBB726_62:
	s_or_b64 exec, exec, s[4:5]
                                        ; implicit-def: $vgpr40
	s_and_saveexec_b64 s[4:5], s[24:25]
	s_cbranch_execz .LBB726_50
.LBB726_63:
	v_lshlrev_b32_e32 v40, 2, v41
	v_add_co_u32_e32 v40, vcc, v1, v40
	v_addc_co_u32_e32 v41, vcc, 0, v53, vcc
	flat_load_dword v40, v[40:41]
	s_or_b64 exec, exec, s[4:5]
                                        ; implicit-def: $vgpr41
	s_and_saveexec_b64 s[4:5], s[26:27]
	s_cbranch_execnz .LBB726_51
.LBB726_64:
	s_or_b64 exec, exec, s[4:5]
                                        ; implicit-def: $vgpr42
	s_and_saveexec_b64 s[4:5], s[28:29]
	s_cbranch_execz .LBB726_66
.LBB726_65:
	v_lshlrev_b32_e32 v42, 2, v43
	v_add_co_u32_e32 v42, vcc, v1, v42
	v_addc_co_u32_e32 v43, vcc, 0, v53, vcc
	flat_load_dword v42, v[42:43]
.LBB726_66:
	s_or_b64 exec, exec, s[4:5]
	v_mul_u32_u24_e32 v55, 15, v0
                                        ; implicit-def: $vgpr43
	s_and_saveexec_b64 s[4:5], s[30:31]
	s_cbranch_execz .LBB726_68
; %bb.67:
	v_lshlrev_b32_e32 v43, 2, v44
	v_add_co_u32_e32 v76, vcc, v1, v43
	v_addc_co_u32_e32 v77, vcc, 0, v53, vcc
	flat_load_dword v43, v[76:77]
.LBB726_68:
	s_or_b64 exec, exec, s[4:5]
	s_movk_i32 s4, 0xff8c
	v_mad_i32_i24 v1, v0, s4, v30
	v_add_u32_e32 v59, 1, v55
	v_add_u32_e32 v44, 2, v55
	;; [unrolled: 1-line block ×14, first 2 shown]
	s_waitcnt vmcnt(0) lgkmcnt(0)
	ds_write2st64_b32 v1, v31, v32 offset1:4
	ds_write2st64_b32 v1, v37, v45 offset0:8 offset1:12
	ds_write2st64_b32 v1, v57, v33 offset0:16 offset1:20
	;; [unrolled: 1-line block ×6, first 2 shown]
	ds_write_b32 v1, v43 offset:14336
	v_mov_b32_e32 v30, v26
	v_mov_b32_e32 v31, v27
	;; [unrolled: 1-line block ×14, first 2 shown]
	s_waitcnt lgkmcnt(0)
	s_barrier
.LBB726_69:
	v_lshlrev_b32_e32 v1, 2, v55
	v_lshlrev_b32_e32 v45, 2, v59
	v_lshlrev_b32_e32 v44, 2, v44
	v_lshlrev_b32_e32 v53, 2, v63
	v_lshlrev_b32_e32 v55, 2, v61
	v_lshlrev_b32_e32 v57, 2, v69
	v_lshlrev_b32_e32 v59, 2, v67
	v_lshlrev_b32_e32 v61, 2, v75
	ds_read_b32 v98, v1
	ds_read_b32 v97, v45
	;; [unrolled: 1-line block ×8, first 2 shown]
	v_lshlrev_b32_e32 v1, 2, v65
	v_lshlrev_b32_e32 v44, 2, v73
	;; [unrolled: 1-line block ×7, first 2 shown]
	ds_read_b32 v96, v1
	ds_read_b32 v94, v44
	;; [unrolled: 1-line block ×7, first 2 shown]
	s_cmp_eq_u64 s[40:41], 0
	s_cselect_b64 s[38:39], -1, 0
	s_cmp_lg_u64 s[40:41], 0
	s_mov_b64 s[34:35], 0
	s_cselect_b64 s[30:31], -1, 0
	s_and_b64 vcc, exec, s[48:49]
	s_waitcnt lgkmcnt(0)
	s_barrier
	s_cbranch_vccz .LBB726_75
; %bb.70:
	s_and_b64 vcc, exec, s[30:31]
	s_cbranch_vccz .LBB726_136
; %bb.71:
	v_add_co_u32_e32 v44, vcc, -8, v49
	v_addc_co_u32_e32 v45, vcc, -1, v51, vcc
	flat_load_dwordx2 v[44:45], v[44:45]
	v_lshlrev_b32_e32 v1, 3, v0
	v_cmp_ne_u64_e32 vcc, v[4:5], v[46:47]
	v_cmp_ne_u64_e64 s[4:5], v[2:3], v[4:5]
	v_cmp_ne_u64_e64 s[6:7], v[8:9], v[2:3]
	;; [unrolled: 1-line block ×13, first 2 shown]
	ds_write_b64 v1, v[46:47]
	s_waitcnt lgkmcnt(0)
	s_barrier
	s_and_saveexec_b64 s[34:35], s[2:3]
	s_cbranch_execz .LBB726_73
; %bb.72:
	v_add_u32_e32 v1, -8, v1
	s_waitcnt vmcnt(0)
	ds_read_b64 v[44:45], v1
.LBB726_73:
	s_or_b64 exec, exec, s[34:35]
	v_cndmask_b32_e64 v1, 0, 1, vcc
	v_cndmask_b32_e64 v75, 0, 1, s[4:5]
	v_cndmask_b32_e64 v73, 0, 1, s[6:7]
	;; [unrolled: 1-line block ×13, first 2 shown]
	s_waitcnt vmcnt(0) lgkmcnt(0)
	v_cmp_ne_u64_e64 s[4:5], v[44:45], v[26:27]
	s_mov_b64 s[34:35], -1
.LBB726_74:
                                        ; implicit-def: $sgpr8
	s_branch .LBB726_76
.LBB726_75:
                                        ; implicit-def: $sgpr4_sgpr5
                                        ; implicit-def: $vgpr1
                                        ; implicit-def: $vgpr75
                                        ; implicit-def: $vgpr73
                                        ; implicit-def: $vgpr71
                                        ; implicit-def: $vgpr69
                                        ; implicit-def: $vgpr76
                                        ; implicit-def: $vgpr77
                                        ; implicit-def: $vgpr78
                                        ; implicit-def: $vgpr79
                                        ; implicit-def: $vgpr80
                                        ; implicit-def: $vgpr81
                                        ; implicit-def: $vgpr82
                                        ; implicit-def: $vgpr83
                                        ; implicit-def: $vgpr84
                                        ; implicit-def: $sgpr8
	s_cbranch_execnz .LBB726_140
.LBB726_76:
	v_mov_b32_e32 v70, s8
	s_and_saveexec_b64 s[2:3], s[34:35]
.LBB726_77:
	v_cndmask_b32_e64 v70, 0, 1, s[4:5]
.LBB726_78:
	s_or_b64 exec, exec, s[2:3]
	s_cmp_eq_u64 s[46:47], 0
	v_add3_u32 v30, v84, v70, v83
	s_cselect_b64 s[34:35], -1, 0
	s_cmp_lg_u32 s62, 0
	v_cmp_eq_u32_e64 s[26:27], 0, v84
	v_cmp_eq_u32_e64 s[24:25], 0, v83
	v_cmp_eq_u32_e64 s[22:23], 0, v82
	v_add3_u32 v101, v30, v82, v81
	v_cmp_eq_u32_e64 s[20:21], 0, v81
	v_cmp_eq_u32_e64 s[18:19], 0, v80
	;; [unrolled: 1-line block ×10, first 2 shown]
	v_cmp_eq_u32_e32 vcc, 0, v1
	v_mbcnt_lo_u32_b32 v100, -1, 0
	v_lshrrev_b32_e32 v72, 6, v0
	v_or_b32_e32 v74, 63, v0
	s_cbranch_scc0 .LBB726_105
; %bb.79:
	v_cndmask_b32_e64 v30, 0, v98, s[26:27]
	v_add_u32_e32 v30, v30, v97
	v_cndmask_b32_e64 v30, 0, v30, s[24:25]
	v_add_u32_e32 v30, v30, v95
	v_cndmask_b32_e64 v30, 0, v30, s[22:23]
	v_add_u32_e32 v30, v30, v93
	v_cndmask_b32_e64 v30, 0, v30, s[20:21]
	v_add_u32_e32 v30, v30, v91
	v_cndmask_b32_e64 v30, 0, v30, s[18:19]
	v_add_u32_e32 v30, v30, v89
	v_cndmask_b32_e64 v30, 0, v30, s[16:17]
	v_add_u32_e32 v30, v30, v88
	v_cndmask_b32_e64 v30, 0, v30, s[14:15]
	v_add_u32_e32 v30, v30, v87
	v_cndmask_b32_e64 v30, 0, v30, s[12:13]
	v_add_u32_e32 v30, v30, v96
	v_cndmask_b32_e64 v30, 0, v30, s[10:11]
	v_add_u32_e32 v30, v30, v94
	v_cndmask_b32_e64 v30, 0, v30, s[8:9]
	v_add_u32_e32 v30, v30, v92
	v_cndmask_b32_e64 v30, 0, v30, s[6:7]
	v_add_u32_e32 v30, v30, v90
	v_cndmask_b32_e64 v30, 0, v30, s[4:5]
	v_add3_u32 v31, v101, v80, v79
	v_add_u32_e32 v30, v30, v86
	v_add3_u32 v31, v31, v78, v77
	v_cndmask_b32_e64 v30, 0, v30, s[2:3]
	v_add3_u32 v31, v31, v76, v69
	v_add_u32_e32 v30, v30, v85
	v_add3_u32 v31, v31, v71, v73
	v_cndmask_b32_e32 v30, 0, v30, vcc
	v_add3_u32 v31, v31, v75, v1
	v_add_u32_e32 v30, v30, v99
	v_mbcnt_hi_u32_b32 v39, -1, v100
	v_and_b32_e32 v32, 15, v39
	v_mov_b32_dpp v34, v30 row_shr:1 row_mask:0xf bank_mask:0xf
	v_cmp_eq_u32_e32 vcc, 0, v31
	v_mov_b32_dpp v33, v31 row_shr:1 row_mask:0xf bank_mask:0xf
	v_cndmask_b32_e32 v34, 0, v34, vcc
	v_cmp_eq_u32_e32 vcc, 0, v32
	v_cndmask_b32_e64 v33, v33, 0, vcc
	v_add_u32_e32 v31, v33, v31
	v_cndmask_b32_e64 v33, v34, 0, vcc
	v_add_u32_e32 v30, v33, v30
	v_cmp_eq_u32_e32 vcc, 0, v31
	v_mov_b32_dpp v33, v31 row_shr:2 row_mask:0xf bank_mask:0xf
	v_cmp_lt_u32_e64 s[28:29], 1, v32
	v_mov_b32_dpp v34, v30 row_shr:2 row_mask:0xf bank_mask:0xf
	v_cndmask_b32_e64 v33, 0, v33, s[28:29]
	s_and_b64 vcc, s[28:29], vcc
	v_cndmask_b32_e32 v34, 0, v34, vcc
	v_add_u32_e32 v31, v31, v33
	v_add_u32_e32 v30, v34, v30
	v_cmp_eq_u32_e32 vcc, 0, v31
	v_mov_b32_dpp v33, v31 row_shr:4 row_mask:0xf bank_mask:0xf
	v_cmp_lt_u32_e64 s[28:29], 3, v32
	v_mov_b32_dpp v34, v30 row_shr:4 row_mask:0xf bank_mask:0xf
	v_cndmask_b32_e64 v33, 0, v33, s[28:29]
	s_and_b64 vcc, s[28:29], vcc
	v_cndmask_b32_e32 v34, 0, v34, vcc
	v_add_u32_e32 v31, v33, v31
	v_add_u32_e32 v30, v30, v34
	v_cmp_eq_u32_e32 vcc, 0, v31
	v_cmp_lt_u32_e64 s[28:29], 7, v32
	v_mov_b32_dpp v33, v31 row_shr:8 row_mask:0xf bank_mask:0xf
	v_mov_b32_dpp v34, v30 row_shr:8 row_mask:0xf bank_mask:0xf
	s_and_b64 vcc, s[28:29], vcc
	v_cndmask_b32_e64 v32, 0, v33, s[28:29]
	v_cndmask_b32_e32 v33, 0, v34, vcc
	v_add_u32_e32 v30, v33, v30
	v_add_u32_e32 v31, v32, v31
	v_bfe_i32 v34, v39, 4, 1
	v_mov_b32_dpp v33, v30 row_bcast:15 row_mask:0xf bank_mask:0xf
	v_mov_b32_dpp v32, v31 row_bcast:15 row_mask:0xf bank_mask:0xf
	v_cmp_eq_u32_e32 vcc, 0, v31
	v_cndmask_b32_e32 v33, 0, v33, vcc
	v_and_b32_e32 v32, v34, v32
	v_add_u32_e32 v31, v32, v31
	v_and_b32_e32 v32, v34, v33
	v_add_u32_e32 v32, v32, v30
	v_mov_b32_dpp v30, v31 row_bcast:31 row_mask:0xf bank_mask:0xf
	v_cmp_eq_u32_e32 vcc, 0, v31
	v_cmp_lt_u32_e64 s[28:29], 31, v39
	v_mov_b32_dpp v33, v32 row_bcast:31 row_mask:0xf bank_mask:0xf
	v_cndmask_b32_e64 v30, 0, v30, s[28:29]
	s_and_b64 vcc, s[28:29], vcc
	v_add_u32_e32 v30, v30, v31
	v_cndmask_b32_e32 v31, 0, v33, vcc
	v_add_u32_e32 v31, v31, v32
	v_cmp_eq_u32_e32 vcc, v74, v0
	v_lshlrev_b32_e32 v32, 3, v72
	s_and_saveexec_b64 s[28:29], vcc
	s_cbranch_execz .LBB726_81
; %bb.80:
	ds_write_b64 v32, v[30:31] offset:4112
.LBB726_81:
	s_or_b64 exec, exec, s[28:29]
	v_cmp_gt_u32_e32 vcc, 4, v0
	s_waitcnt lgkmcnt(0)
	s_barrier
	s_and_saveexec_b64 s[30:31], vcc
	s_cbranch_execz .LBB726_83
; %bb.82:
	v_lshlrev_b32_e32 v33, 3, v0
	ds_read_b64 v[34:35], v33 offset:4112
	v_and_b32_e32 v36, 3, v39
	v_cmp_lt_u32_e64 s[28:29], 1, v36
	s_waitcnt lgkmcnt(0)
	v_mov_b32_dpp v38, v35 row_shr:1 row_mask:0xf bank_mask:0xf
	v_cmp_eq_u32_e32 vcc, 0, v34
	v_mov_b32_dpp v37, v34 row_shr:1 row_mask:0xf bank_mask:0xf
	v_cndmask_b32_e32 v38, 0, v38, vcc
	v_cmp_eq_u32_e32 vcc, 0, v36
	v_cndmask_b32_e64 v37, v37, 0, vcc
	v_add_u32_e32 v34, v37, v34
	v_cndmask_b32_e64 v37, v38, 0, vcc
	v_add_u32_e32 v35, v37, v35
	v_cmp_eq_u32_e32 vcc, 0, v34
	v_mov_b32_dpp v37, v34 row_shr:2 row_mask:0xf bank_mask:0xf
	v_mov_b32_dpp v38, v35 row_shr:2 row_mask:0xf bank_mask:0xf
	v_cndmask_b32_e64 v36, 0, v37, s[28:29]
	s_and_b64 vcc, s[28:29], vcc
	v_add_u32_e32 v34, v36, v34
	v_cndmask_b32_e32 v36, 0, v38, vcc
	v_add_u32_e32 v35, v36, v35
	ds_write_b64 v33, v[34:35] offset:4112
.LBB726_83:
	s_or_b64 exec, exec, s[30:31]
	v_cmp_gt_u32_e32 vcc, 64, v0
	v_cmp_lt_u32_e64 s[28:29], 63, v0
	v_mov_b32_e32 v36, 0
	v_mov_b32_e32 v37, 0
	s_waitcnt lgkmcnt(0)
	s_barrier
	s_and_saveexec_b64 s[30:31], s[28:29]
	s_cbranch_execz .LBB726_85
; %bb.84:
	ds_read_b64 v[36:37], v32 offset:4104
	v_cmp_eq_u32_e64 s[28:29], 0, v30
	s_waitcnt lgkmcnt(0)
	v_add_u32_e32 v32, v36, v30
	v_cndmask_b32_e64 v30, 0, v37, s[28:29]
	v_add_u32_e32 v31, v30, v31
	v_mov_b32_e32 v30, v32
.LBB726_85:
	s_or_b64 exec, exec, s[30:31]
	v_add_u32_e32 v32, -1, v39
	v_and_b32_e32 v33, 64, v39
	v_cmp_lt_i32_e64 s[28:29], v32, v33
	v_cndmask_b32_e64 v32, v32, v39, s[28:29]
	v_lshlrev_b32_e32 v32, 2, v32
	ds_bpermute_b32 v44, v32, v30
	ds_bpermute_b32 v45, v32, v31
	v_cmp_eq_u32_e64 s[28:29], 0, v39
	s_and_saveexec_b64 s[40:41], vcc
	s_cbranch_execz .LBB726_104
; %bb.86:
	v_mov_b32_e32 v35, 0
	ds_read_b64 v[30:31], v35 offset:4136
	s_waitcnt lgkmcnt(0)
	v_readfirstlane_b32 s48, v30
	v_readfirstlane_b32 s49, v31
	s_and_saveexec_b64 s[30:31], s[28:29]
	s_cbranch_execz .LBB726_88
; %bb.87:
	s_add_i32 s46, s62, 64
	s_mov_b32 s47, 0
	s_lshl_b64 s[50:51], s[46:47], 4
	s_add_u32 s50, s44, s50
	s_addc_u32 s51, s45, s51
	s_and_b32 s57, s49, 0xff000000
	s_mov_b32 s56, s47
	s_and_b32 s65, s49, 0xff0000
	s_mov_b32 s64, s47
	s_or_b64 s[56:57], s[64:65], s[56:57]
	s_and_b32 s65, s49, 0xff00
	s_or_b64 s[56:57], s[56:57], s[64:65]
	s_and_b32 s65, s49, 0xff
	s_or_b64 s[46:47], s[56:57], s[64:65]
	v_mov_b32_e32 v32, s48
	v_mov_b32_e32 v33, s47
	;; [unrolled: 1-line block ×3, first 2 shown]
	v_pk_mov_b32 v[30:31], s[50:51], s[50:51] op_sel:[0,1]
	;;#ASMSTART
	global_store_dwordx4 v[30:31], v[32:35] off	
s_waitcnt vmcnt(0)
	;;#ASMEND
.LBB726_88:
	s_or_b64 exec, exec, s[30:31]
	v_xad_u32 v38, v39, -1, s62
	v_add_u32_e32 v34, 64, v38
	v_lshlrev_b64 v[30:31], 4, v[34:35]
	v_mov_b32_e32 v32, s45
	v_add_co_u32_e32 v40, vcc, s44, v30
	v_addc_co_u32_e32 v41, vcc, v32, v31, vcc
	;;#ASMSTART
	global_load_dwordx4 v[30:33], v[40:41] off glc	
s_waitcnt vmcnt(0)
	;;#ASMEND
	v_and_b32_e32 v33, 0xff, v31
	v_and_b32_e32 v34, 0xff00, v31
	;; [unrolled: 1-line block ×3, first 2 shown]
	v_or3_b32 v33, 0, v33, v34
	v_or3_b32 v30, v30, 0, 0
	v_and_b32_e32 v31, 0xff000000, v31
	v_or3_b32 v31, v33, v42, v31
	v_or3_b32 v30, v30, 0, 0
	v_cmp_eq_u16_sdwa s[46:47], v32, v35 src0_sel:BYTE_0 src1_sel:DWORD
	s_and_saveexec_b64 s[30:31], s[46:47]
	s_cbranch_execz .LBB726_92
; %bb.89:
	s_mov_b64 s[46:47], 0
	v_mov_b32_e32 v34, 0
.LBB726_90:                             ; =>This Inner Loop Header: Depth=1
	;;#ASMSTART
	global_load_dwordx4 v[30:33], v[40:41] off glc	
s_waitcnt vmcnt(0)
	;;#ASMEND
	v_cmp_ne_u16_sdwa s[50:51], v32, v34 src0_sel:BYTE_0 src1_sel:DWORD
	s_or_b64 s[46:47], s[50:51], s[46:47]
	s_andn2_b64 exec, exec, s[46:47]
	s_cbranch_execnz .LBB726_90
; %bb.91:
	s_or_b64 exec, exec, s[46:47]
.LBB726_92:
	s_or_b64 exec, exec, s[30:31]
	v_mov_b32_e32 v48, 2
	v_cmp_eq_u16_sdwa s[30:31], v32, v48 src0_sel:BYTE_0 src1_sel:DWORD
	v_lshlrev_b64 v[40:41], v39, -1
	v_and_b32_e32 v33, s31, v41
	v_and_b32_e32 v49, 63, v39
	v_or_b32_e32 v33, 0x80000000, v33
	v_cmp_ne_u32_e32 vcc, 63, v49
	v_and_b32_e32 v34, s30, v40
	v_ffbl_b32_e32 v33, v33
	v_addc_co_u32_e32 v35, vcc, 0, v39, vcc
	v_add_u32_e32 v33, 32, v33
	v_ffbl_b32_e32 v34, v34
	v_lshlrev_b32_e32 v50, 2, v35
	v_min_u32_e32 v33, v34, v33
	ds_bpermute_b32 v34, v50, v31
	v_cmp_eq_u32_e32 vcc, 0, v30
	v_cmp_lt_u32_e64 s[30:31], v49, v33
	ds_bpermute_b32 v35, v50, v30
	s_and_b64 vcc, s[30:31], vcc
	s_waitcnt lgkmcnt(1)
	v_cndmask_b32_e32 v34, 0, v34, vcc
	v_cmp_gt_u32_e32 vcc, 62, v49
	v_add_u32_e32 v31, v34, v31
	v_cndmask_b32_e64 v34, 0, 1, vcc
	v_lshlrev_b32_e32 v34, 1, v34
	v_add_lshl_u32 v51, v34, v39, 2
	s_waitcnt lgkmcnt(0)
	v_cndmask_b32_e64 v35, 0, v35, s[30:31]
	ds_bpermute_b32 v34, v51, v31
	v_add_u32_e32 v30, v35, v30
	ds_bpermute_b32 v35, v51, v30
	v_add_u32_e32 v52, 2, v49
	v_cmp_eq_u32_e32 vcc, 0, v30
	s_waitcnt lgkmcnt(1)
	v_cndmask_b32_e32 v34, 0, v34, vcc
	v_cmp_gt_u32_e32 vcc, v52, v33
	v_cndmask_b32_e64 v34, v34, 0, vcc
	v_add_u32_e32 v31, v34, v31
	s_waitcnt lgkmcnt(0)
	v_cndmask_b32_e64 v34, v35, 0, vcc
	v_cmp_gt_u32_e32 vcc, 60, v49
	v_cndmask_b32_e64 v35, 0, 1, vcc
	v_lshlrev_b32_e32 v35, 2, v35
	v_add_lshl_u32 v53, v35, v39, 2
	ds_bpermute_b32 v35, v53, v31
	v_add_u32_e32 v30, v30, v34
	ds_bpermute_b32 v34, v53, v30
	v_add_u32_e32 v54, 4, v49
	v_cmp_eq_u32_e32 vcc, 0, v30
	s_waitcnt lgkmcnt(1)
	v_cndmask_b32_e32 v35, 0, v35, vcc
	v_cmp_gt_u32_e32 vcc, v54, v33
	v_cndmask_b32_e64 v35, v35, 0, vcc
	s_waitcnt lgkmcnt(0)
	v_cndmask_b32_e64 v34, v34, 0, vcc
	v_cmp_gt_u32_e32 vcc, 56, v49
	v_add_u32_e32 v31, v31, v35
	v_cndmask_b32_e64 v35, 0, 1, vcc
	v_lshlrev_b32_e32 v35, 3, v35
	v_add_lshl_u32 v55, v35, v39, 2
	ds_bpermute_b32 v35, v55, v31
	v_add_u32_e32 v30, v30, v34
	ds_bpermute_b32 v34, v55, v30
	v_add_u32_e32 v56, 8, v49
	v_cmp_eq_u32_e32 vcc, 0, v30
	s_waitcnt lgkmcnt(1)
	v_cndmask_b32_e32 v35, 0, v35, vcc
	v_cmp_gt_u32_e32 vcc, v56, v33
	v_cndmask_b32_e64 v35, v35, 0, vcc
	s_waitcnt lgkmcnt(0)
	v_cndmask_b32_e64 v34, v34, 0, vcc
	v_cmp_gt_u32_e32 vcc, 48, v49
	v_add_u32_e32 v31, v31, v35
	;; [unrolled: 16-line block ×3, first 2 shown]
	v_cndmask_b32_e64 v35, 0, 1, vcc
	v_lshlrev_b32_e32 v35, 5, v35
	v_add_lshl_u32 v59, v35, v39, 2
	ds_bpermute_b32 v35, v59, v31
	v_add_u32_e32 v30, v30, v34
	ds_bpermute_b32 v34, v59, v30
	v_add_u32_e32 v60, 32, v49
	v_cmp_eq_u32_e32 vcc, 0, v30
	s_waitcnt lgkmcnt(1)
	v_cndmask_b32_e32 v35, 0, v35, vcc
	v_cmp_gt_u32_e32 vcc, v60, v33
	v_cndmask_b32_e64 v33, v35, 0, vcc
	v_add_u32_e32 v31, v33, v31
	s_waitcnt lgkmcnt(0)
	v_cndmask_b32_e64 v33, v34, 0, vcc
	v_add_u32_e32 v30, v33, v30
	v_mov_b32_e32 v39, 0
	s_branch .LBB726_94
.LBB726_93:                             ;   in Loop: Header=BB726_94 Depth=1
	s_or_b64 exec, exec, s[30:31]
	v_cmp_eq_u16_sdwa s[30:31], v32, v48 src0_sel:BYTE_0 src1_sel:DWORD
	v_and_b32_e32 v33, s31, v41
	v_or_b32_e32 v33, 0x80000000, v33
	v_and_b32_e32 v42, s30, v40
	v_ffbl_b32_e32 v33, v33
	v_add_u32_e32 v33, 32, v33
	v_ffbl_b32_e32 v42, v42
	v_min_u32_e32 v33, v42, v33
	ds_bpermute_b32 v42, v50, v31
	v_cmp_eq_u32_e32 vcc, 0, v30
	v_cmp_lt_u32_e64 s[30:31], v49, v33
	ds_bpermute_b32 v43, v50, v30
	s_and_b64 vcc, s[30:31], vcc
	s_waitcnt lgkmcnt(1)
	v_cndmask_b32_e32 v42, 0, v42, vcc
	v_add_u32_e32 v31, v42, v31
	ds_bpermute_b32 v42, v51, v31
	s_waitcnt lgkmcnt(1)
	v_cndmask_b32_e64 v43, 0, v43, s[30:31]
	v_add_u32_e32 v30, v43, v30
	v_cmp_eq_u32_e32 vcc, 0, v30
	ds_bpermute_b32 v43, v51, v30
	s_waitcnt lgkmcnt(1)
	v_cndmask_b32_e32 v42, 0, v42, vcc
	v_cmp_gt_u32_e32 vcc, v52, v33
	v_cndmask_b32_e64 v42, v42, 0, vcc
	v_add_u32_e32 v31, v42, v31
	ds_bpermute_b32 v42, v53, v31
	s_waitcnt lgkmcnt(1)
	v_cndmask_b32_e64 v43, v43, 0, vcc
	v_add_u32_e32 v30, v30, v43
	v_cmp_eq_u32_e32 vcc, 0, v30
	ds_bpermute_b32 v43, v53, v30
	s_waitcnt lgkmcnt(1)
	v_cndmask_b32_e32 v42, 0, v42, vcc
	v_cmp_gt_u32_e32 vcc, v54, v33
	v_cndmask_b32_e64 v42, v42, 0, vcc
	v_add_u32_e32 v31, v31, v42
	ds_bpermute_b32 v42, v55, v31
	s_waitcnt lgkmcnt(1)
	v_cndmask_b32_e64 v43, v43, 0, vcc
	v_add_u32_e32 v30, v30, v43
	ds_bpermute_b32 v43, v55, v30
	v_cmp_eq_u32_e32 vcc, 0, v30
	s_waitcnt lgkmcnt(1)
	v_cndmask_b32_e32 v42, 0, v42, vcc
	v_cmp_gt_u32_e32 vcc, v56, v33
	v_cndmask_b32_e64 v42, v42, 0, vcc
	v_add_u32_e32 v31, v31, v42
	ds_bpermute_b32 v42, v57, v31
	s_waitcnt lgkmcnt(1)
	v_cndmask_b32_e64 v43, v43, 0, vcc
	v_add_u32_e32 v30, v30, v43
	ds_bpermute_b32 v43, v57, v30
	v_cmp_eq_u32_e32 vcc, 0, v30
	s_waitcnt lgkmcnt(1)
	v_cndmask_b32_e32 v42, 0, v42, vcc
	v_cmp_gt_u32_e32 vcc, v58, v33
	v_cndmask_b32_e64 v42, v42, 0, vcc
	v_add_u32_e32 v31, v31, v42
	ds_bpermute_b32 v42, v59, v31
	s_waitcnt lgkmcnt(1)
	v_cndmask_b32_e64 v43, v43, 0, vcc
	v_add_u32_e32 v30, v30, v43
	ds_bpermute_b32 v43, v59, v30
	v_cmp_eq_u32_e32 vcc, 0, v30
	s_waitcnt lgkmcnt(1)
	v_cndmask_b32_e32 v42, 0, v42, vcc
	v_cmp_gt_u32_e32 vcc, v60, v33
	v_cndmask_b32_e64 v33, v42, 0, vcc
	v_add_u32_e32 v31, v33, v31
	s_waitcnt lgkmcnt(0)
	v_cndmask_b32_e64 v33, v43, 0, vcc
	v_cmp_eq_u32_e32 vcc, 0, v34
	v_cndmask_b32_e32 v31, 0, v31, vcc
	v_subrev_u32_e32 v38, 64, v38
	v_add3_u32 v30, v30, v34, v33
	v_add_u32_e32 v31, v31, v35
.LBB726_94:                             ; =>This Loop Header: Depth=1
                                        ;     Child Loop BB726_97 Depth 2
	v_cmp_ne_u16_sdwa s[30:31], v32, v48 src0_sel:BYTE_0 src1_sel:DWORD
	v_mov_b32_e32 v35, v31
	v_cndmask_b32_e64 v31, 0, 1, s[30:31]
	;;#ASMSTART
	;;#ASMEND
	v_cmp_ne_u32_e32 vcc, 0, v31
	s_cmp_lg_u64 vcc, exec
	v_mov_b32_e32 v34, v30
	s_cbranch_scc1 .LBB726_99
; %bb.95:                               ;   in Loop: Header=BB726_94 Depth=1
	v_lshlrev_b64 v[30:31], 4, v[38:39]
	v_mov_b32_e32 v32, s45
	v_add_co_u32_e32 v42, vcc, s44, v30
	v_addc_co_u32_e32 v43, vcc, v32, v31, vcc
	;;#ASMSTART
	global_load_dwordx4 v[30:33], v[42:43] off glc	
s_waitcnt vmcnt(0)
	;;#ASMEND
	v_and_b32_e32 v33, 0xff, v31
	v_and_b32_e32 v61, 0xff00, v31
	;; [unrolled: 1-line block ×3, first 2 shown]
	v_or3_b32 v33, 0, v33, v61
	v_or3_b32 v30, v30, 0, 0
	v_and_b32_e32 v31, 0xff000000, v31
	v_or3_b32 v31, v33, v62, v31
	v_or3_b32 v30, v30, 0, 0
	v_cmp_eq_u16_sdwa s[46:47], v32, v39 src0_sel:BYTE_0 src1_sel:DWORD
	s_and_saveexec_b64 s[30:31], s[46:47]
	s_cbranch_execz .LBB726_93
; %bb.96:                               ;   in Loop: Header=BB726_94 Depth=1
	s_mov_b64 s[46:47], 0
.LBB726_97:                             ;   Parent Loop BB726_94 Depth=1
                                        ; =>  This Inner Loop Header: Depth=2
	;;#ASMSTART
	global_load_dwordx4 v[30:33], v[42:43] off glc	
s_waitcnt vmcnt(0)
	;;#ASMEND
	v_cmp_ne_u16_sdwa s[50:51], v32, v39 src0_sel:BYTE_0 src1_sel:DWORD
	s_or_b64 s[46:47], s[50:51], s[46:47]
	s_andn2_b64 exec, exec, s[46:47]
	s_cbranch_execnz .LBB726_97
; %bb.98:                               ;   in Loop: Header=BB726_94 Depth=1
	s_or_b64 exec, exec, s[46:47]
	s_branch .LBB726_93
.LBB726_99:                             ;   in Loop: Header=BB726_94 Depth=1
                                        ; implicit-def: $vgpr31
                                        ; implicit-def: $vgpr30
                                        ; implicit-def: $vgpr32
	s_cbranch_execz .LBB726_94
; %bb.100:
	s_and_saveexec_b64 s[30:31], s[28:29]
	s_cbranch_execz .LBB726_102
; %bb.101:
	s_cmp_eq_u32 s48, 0
	s_cselect_b64 vcc, -1, 0
	s_mov_b32 s47, 0
	v_cndmask_b32_e32 v30, 0, v35, vcc
	s_add_i32 s46, s62, 64
	v_add_u32_e32 v30, s49, v30
	s_lshl_b64 s[46:47], s[46:47], 4
	s_add_u32 s46, s44, s46
	v_and_b32_e32 v31, 0xff000000, v30
	v_and_b32_e32 v32, 0xff0000, v30
	s_addc_u32 s47, s45, s47
	v_or_b32_e32 v31, v32, v31
	v_and_b32_e32 v32, 0xff00, v30
	v_and_b32_e32 v30, 0xff, v30
	v_add_u32_e32 v38, s48, v34
	v_mov_b32_e32 v41, 0
	v_or3_b32 v39, v31, v32, v30
	v_mov_b32_e32 v40, 2
	v_pk_mov_b32 v[30:31], s[46:47], s[46:47] op_sel:[0,1]
	;;#ASMSTART
	global_store_dwordx4 v[30:31], v[38:41] off	
s_waitcnt vmcnt(0)
	;;#ASMEND
	v_mov_b32_e32 v32, s48
	v_mov_b32_e32 v33, s49
	ds_write_b128 v41, v[32:35] offset:4096
.LBB726_102:
	s_or_b64 exec, exec, s[30:31]
	s_and_b64 exec, exec, s[0:1]
	s_cbranch_execz .LBB726_104
; %bb.103:
	v_mov_b32_e32 v30, 0
	ds_write_b64 v30, v[34:35] offset:4136
.LBB726_104:
	s_or_b64 exec, exec, s[40:41]
	v_mov_b32_e32 v32, 0
	s_waitcnt lgkmcnt(0)
	s_barrier
	ds_read_b64 v[30:31], v32 offset:4136
	v_cndmask_b32_e64 v34, v44, v36, s[28:29]
	v_cmp_eq_u32_e32 vcc, 0, v34
	v_cndmask_b32_e64 v33, v45, v37, s[28:29]
	s_waitcnt lgkmcnt(0)
	v_cndmask_b32_e32 v35, 0, v31, vcc
	v_add_u32_e32 v33, v35, v33
	v_cndmask_b32_e64 v67, v33, v31, s[0:1]
	v_cndmask_b32_e64 v31, v34, 0, s[0:1]
	v_cmp_eq_u32_e32 vcc, 0, v70
	v_add_u32_e32 v66, v30, v31
	v_cndmask_b32_e32 v30, 0, v67, vcc
	v_add_u32_e32 v65, v30, v98
	v_cndmask_b32_e64 v30, 0, v65, s[26:27]
	v_add_u32_e32 v63, v30, v97
	v_cndmask_b32_e64 v30, 0, v63, s[24:25]
	;; [unrolled: 2-line block ×8, first 2 shown]
	v_add_u32_e32 v64, v66, v70
	v_add_u32_e32 v49, v30, v96
	v_add_u32_e32 v62, v64, v84
	v_cndmask_b32_e64 v30, 0, v49, s[10:11]
	v_add_u32_e32 v60, v62, v83
	v_add_u32_e32 v45, v30, v94
	v_add_u32_e32 v58, v60, v82
	v_cndmask_b32_e64 v30, 0, v45, s[8:9]
	;; [unrolled: 4-line block ×3, first 2 shown]
	v_add_u32_e32 v52, v54, v79
	v_add_u32_e32 v41, v30, v90
	s_barrier
	ds_read_b128 v[30:33], v32 offset:4096
	v_add_u32_e32 v50, v52, v78
	v_add_u32_e32 v48, v50, v77
	v_add_u32_e32 v44, v48, v76
	v_add_u32_e32 v42, v44, v69
	v_cndmask_b32_e64 v34, 0, v41, s[4:5]
	v_add_u32_e32 v40, v42, v71
	v_add_u32_e32 v39, v34, v86
	s_waitcnt lgkmcnt(0)
	v_cmp_eq_u32_e32 vcc, 0, v30
	v_add_u32_e32 v38, v40, v73
	v_cndmask_b32_e64 v34, 0, v39, s[2:3]
	v_cndmask_b32_e32 v33, 0, v33, vcc
	v_add_u32_e32 v36, v38, v75
	v_add_u32_e32 v37, v34, v85
	;; [unrolled: 1-line block ×3, first 2 shown]
	s_branch .LBB726_117
.LBB726_105:
                                        ; implicit-def: $vgpr30
                                        ; implicit-def: $vgpr68
                                        ; implicit-def: $vgpr66_vgpr67
                                        ; implicit-def: $vgpr64_vgpr65
                                        ; implicit-def: $vgpr62_vgpr63
                                        ; implicit-def: $vgpr60_vgpr61
                                        ; implicit-def: $vgpr58_vgpr59
                                        ; implicit-def: $vgpr56_vgpr57
                                        ; implicit-def: $vgpr54_vgpr55
                                        ; implicit-def: $vgpr52_vgpr53
                                        ; implicit-def: $vgpr50_vgpr51
                                        ; implicit-def: $vgpr48_vgpr49
                                        ; implicit-def: $vgpr44_vgpr45
                                        ; implicit-def: $vgpr42_vgpr43
                                        ; implicit-def: $vgpr40_vgpr41
                                        ; implicit-def: $vgpr38_vgpr39
                                        ; implicit-def: $vgpr36_vgpr37
	s_cbranch_execz .LBB726_117
; %bb.106:
	s_and_b64 s[2:3], s[34:35], exec
	s_cselect_b32 s3, 0, s61
	s_cselect_b32 s2, 0, s60
	s_cmp_eq_u64 s[2:3], 0
	v_mov_b32_e32 v34, v98
	s_cbranch_scc1 .LBB726_108
; %bb.107:
	v_mov_b32_e32 v30, 0
	global_load_dword v34, v30, s[2:3]
.LBB726_108:
	v_cmp_eq_u32_e64 s[2:3], 0, v84
	v_cndmask_b32_e64 v30, 0, v98, s[2:3]
	v_add_u32_e32 v30, v30, v97
	v_cmp_eq_u32_e64 s[4:5], 0, v83
	v_cndmask_b32_e64 v30, 0, v30, s[4:5]
	v_add_u32_e32 v30, v30, v95
	;; [unrolled: 3-line block ×11, first 2 shown]
	v_cmp_eq_u32_e64 s[24:25], 0, v73
	v_cndmask_b32_e64 v30, 0, v30, s[24:25]
	v_add3_u32 v31, v101, v80, v79
	v_add_u32_e32 v30, v30, v86
	v_cmp_eq_u32_e32 vcc, 0, v75
	v_add3_u32 v31, v31, v78, v77
	v_cndmask_b32_e32 v30, 0, v30, vcc
	v_add3_u32 v31, v31, v76, v69
	v_add_u32_e32 v30, v30, v85
	v_cmp_eq_u32_e64 s[26:27], 0, v1
	v_add3_u32 v31, v31, v71, v73
	v_cndmask_b32_e64 v30, 0, v30, s[26:27]
	v_add3_u32 v31, v31, v75, v1
	v_add_u32_e32 v30, v30, v99
	v_mbcnt_hi_u32_b32 v35, -1, v100
	v_and_b32_e32 v32, 15, v35
	v_mov_b32_dpp v36, v30 row_shr:1 row_mask:0xf bank_mask:0xf
	v_cmp_eq_u32_e64 s[26:27], 0, v31
	v_mov_b32_dpp v33, v31 row_shr:1 row_mask:0xf bank_mask:0xf
	v_cndmask_b32_e64 v36, 0, v36, s[26:27]
	v_cmp_eq_u32_e64 s[26:27], 0, v32
	v_cndmask_b32_e64 v33, v33, 0, s[26:27]
	v_add_u32_e32 v31, v33, v31
	v_cndmask_b32_e64 v33, v36, 0, s[26:27]
	v_add_u32_e32 v30, v33, v30
	v_cmp_eq_u32_e64 s[26:27], 0, v31
	v_mov_b32_dpp v33, v31 row_shr:2 row_mask:0xf bank_mask:0xf
	v_cmp_lt_u32_e64 s[28:29], 1, v32
	v_mov_b32_dpp v36, v30 row_shr:2 row_mask:0xf bank_mask:0xf
	v_cndmask_b32_e64 v33, 0, v33, s[28:29]
	s_and_b64 s[26:27], s[28:29], s[26:27]
	v_cndmask_b32_e64 v36, 0, v36, s[26:27]
	v_add_u32_e32 v31, v31, v33
	v_add_u32_e32 v30, v36, v30
	v_cmp_eq_u32_e64 s[26:27], 0, v31
	v_mov_b32_dpp v33, v31 row_shr:4 row_mask:0xf bank_mask:0xf
	v_cmp_lt_u32_e64 s[28:29], 3, v32
	v_mov_b32_dpp v36, v30 row_shr:4 row_mask:0xf bank_mask:0xf
	v_cndmask_b32_e64 v33, 0, v33, s[28:29]
	s_and_b64 s[26:27], s[28:29], s[26:27]
	v_cndmask_b32_e64 v36, 0, v36, s[26:27]
	v_add_u32_e32 v31, v33, v31
	v_add_u32_e32 v30, v30, v36
	v_cmp_eq_u32_e64 s[26:27], 0, v31
	v_cmp_lt_u32_e64 s[28:29], 7, v32
	v_mov_b32_dpp v33, v31 row_shr:8 row_mask:0xf bank_mask:0xf
	v_mov_b32_dpp v36, v30 row_shr:8 row_mask:0xf bank_mask:0xf
	s_and_b64 s[26:27], s[28:29], s[26:27]
	v_cndmask_b32_e64 v32, 0, v33, s[28:29]
	v_cndmask_b32_e64 v33, 0, v36, s[26:27]
	v_add_u32_e32 v30, v33, v30
	v_add_u32_e32 v31, v32, v31
	v_bfe_i32 v36, v35, 4, 1
	v_mov_b32_dpp v33, v30 row_bcast:15 row_mask:0xf bank_mask:0xf
	v_mov_b32_dpp v32, v31 row_bcast:15 row_mask:0xf bank_mask:0xf
	v_cmp_eq_u32_e64 s[26:27], 0, v31
	v_cndmask_b32_e64 v33, 0, v33, s[26:27]
	v_and_b32_e32 v32, v36, v32
	v_add_u32_e32 v31, v32, v31
	v_and_b32_e32 v32, v36, v33
	v_add_u32_e32 v32, v32, v30
	v_mov_b32_dpp v30, v31 row_bcast:31 row_mask:0xf bank_mask:0xf
	v_cmp_eq_u32_e64 s[26:27], 0, v31
	v_cmp_lt_u32_e64 s[28:29], 31, v35
	v_mov_b32_dpp v33, v32 row_bcast:31 row_mask:0xf bank_mask:0xf
	v_cndmask_b32_e64 v30, 0, v30, s[28:29]
	s_and_b64 s[26:27], s[28:29], s[26:27]
	v_add_u32_e32 v30, v30, v31
	v_cndmask_b32_e64 v31, 0, v33, s[26:27]
	v_add_u32_e32 v31, v31, v32
	v_cmp_eq_u32_e64 s[26:27], v74, v0
	v_lshlrev_b32_e32 v33, 3, v72
	s_and_saveexec_b64 s[28:29], s[26:27]
	s_cbranch_execz .LBB726_110
; %bb.109:
	ds_write_b64 v33, v[30:31] offset:4112
.LBB726_110:
	s_or_b64 exec, exec, s[28:29]
	v_cmp_gt_u32_e64 s[26:27], 4, v0
	s_waitcnt lgkmcnt(0)
	s_barrier
	s_and_saveexec_b64 s[30:31], s[26:27]
	s_cbranch_execz .LBB726_112
; %bb.111:
	v_lshlrev_b32_e32 v32, 3, v0
	ds_read_b64 v[36:37], v32 offset:4112
	v_and_b32_e32 v38, 3, v35
	v_cmp_lt_u32_e64 s[28:29], 1, v38
	s_waitcnt lgkmcnt(0)
	v_mov_b32_dpp v40, v37 row_shr:1 row_mask:0xf bank_mask:0xf
	v_cmp_eq_u32_e64 s[26:27], 0, v36
	v_mov_b32_dpp v39, v36 row_shr:1 row_mask:0xf bank_mask:0xf
	v_cndmask_b32_e64 v40, 0, v40, s[26:27]
	v_cmp_eq_u32_e64 s[26:27], 0, v38
	v_cndmask_b32_e64 v39, v39, 0, s[26:27]
	v_add_u32_e32 v36, v39, v36
	v_cndmask_b32_e64 v39, v40, 0, s[26:27]
	v_add_u32_e32 v37, v39, v37
	v_cmp_eq_u32_e64 s[26:27], 0, v36
	v_mov_b32_dpp v39, v36 row_shr:2 row_mask:0xf bank_mask:0xf
	v_mov_b32_dpp v40, v37 row_shr:2 row_mask:0xf bank_mask:0xf
	v_cndmask_b32_e64 v38, 0, v39, s[28:29]
	s_and_b64 s[26:27], s[28:29], s[26:27]
	v_add_u32_e32 v36, v38, v36
	v_cndmask_b32_e64 v38, 0, v40, s[26:27]
	v_add_u32_e32 v37, v38, v37
	ds_write_b64 v32, v[36:37] offset:4112
.LBB726_112:
	s_or_b64 exec, exec, s[30:31]
	v_cmp_lt_u32_e64 s[26:27], 63, v0
	v_mov_b32_e32 v36, 0
	v_mov_b32_e32 v32, 0
	s_waitcnt vmcnt(0)
	v_mov_b32_e32 v37, v34
	s_waitcnt lgkmcnt(0)
	s_barrier
	s_and_saveexec_b64 s[28:29], s[26:27]
	s_cbranch_execz .LBB726_114
; %bb.113:
	ds_read_b64 v[32:33], v33 offset:4104
	s_waitcnt lgkmcnt(0)
	v_cmp_eq_u32_e64 s[26:27], 0, v32
	v_cndmask_b32_e64 v37, 0, v34, s[26:27]
	v_add_u32_e32 v37, v37, v33
.LBB726_114:
	s_or_b64 exec, exec, s[28:29]
	v_cmp_eq_u32_e64 s[26:27], 0, v30
	v_add_u32_e32 v33, v32, v30
	v_cndmask_b32_e64 v30, 0, v37, s[26:27]
	v_add_u32_e32 v30, v30, v31
	v_add_u32_e32 v31, -1, v35
	v_and_b32_e32 v38, 64, v35
	v_cmp_lt_i32_e64 s[26:27], v31, v38
	v_cndmask_b32_e64 v31, v31, v35, s[26:27]
	v_lshlrev_b32_e32 v31, 2, v31
	ds_bpermute_b32 v30, v31, v30
	ds_bpermute_b32 v33, v31, v33
	v_cmp_eq_u32_e64 s[26:27], 0, v35
	s_waitcnt lgkmcnt(1)
	v_cndmask_b32_e64 v30, v30, v37, s[26:27]
	s_waitcnt lgkmcnt(0)
	v_cndmask_b32_e64 v31, v33, v32, s[26:27]
	v_cndmask_b32_e64 v67, v30, v34, s[0:1]
	v_cmp_eq_u32_e64 s[26:27], 0, v70
	v_cndmask_b32_e64 v30, 0, v67, s[26:27]
	v_add_u32_e32 v65, v30, v98
	v_cndmask_b32_e64 v30, 0, v65, s[2:3]
	v_add_u32_e32 v63, v30, v97
	;; [unrolled: 2-line block ×8, first 2 shown]
	v_cndmask_b32_e64 v66, v31, 0, s[0:1]
	v_cndmask_b32_e64 v30, 0, v51, s[16:17]
	v_add_u32_e32 v64, v66, v70
	v_add_u32_e32 v49, v30, v96
	v_add_u32_e32 v62, v64, v84
	v_cndmask_b32_e64 v30, 0, v49, s[18:19]
	v_add_u32_e32 v60, v62, v83
	v_add_u32_e32 v45, v30, v94
	v_add_u32_e32 v58, v60, v82
	;; [unrolled: 4-line block ×3, first 2 shown]
	v_cndmask_b32_e64 v30, 0, v43, s[22:23]
	v_add_u32_e32 v52, v54, v79
	v_add_u32_e32 v41, v30, v90
	ds_read_b64 v[30:31], v36 offset:4136
	v_add_u32_e32 v50, v52, v78
	v_add_u32_e32 v48, v50, v77
	;; [unrolled: 1-line block ×3, first 2 shown]
	v_cndmask_b32_e64 v32, 0, v41, s[24:25]
	v_add_u32_e32 v42, v44, v69
	v_add_u32_e32 v39, v32, v86
	;; [unrolled: 1-line block ×3, first 2 shown]
	v_cndmask_b32_e32 v32, 0, v39, vcc
	s_waitcnt lgkmcnt(0)
	v_cmp_eq_u32_e32 vcc, 0, v30
	v_add_u32_e32 v38, v40, v73
	v_add_u32_e32 v37, v32, v85
	v_cndmask_b32_e32 v32, 0, v34, vcc
	v_add_u32_e32 v36, v38, v75
	v_add_u32_e32 v68, v32, v31
	s_and_saveexec_b64 s[2:3], s[0:1]
	s_cbranch_execz .LBB726_116
; %bb.115:
	s_add_u32 s4, s44, 0x400
	v_and_b32_e32 v31, 0xff000000, v68
	v_and_b32_e32 v32, 0xff0000, v68
	s_addc_u32 s5, s45, 0
	v_or_b32_e32 v31, v32, v31
	v_and_b32_e32 v32, 0xff00, v68
	v_and_b32_e32 v34, 0xff, v68
	v_mov_b32_e32 v33, 0
	v_or3_b32 v31, v31, v32, v34
	v_mov_b32_e32 v32, 2
	v_pk_mov_b32 v[34:35], s[4:5], s[4:5] op_sel:[0,1]
	;;#ASMSTART
	global_store_dwordx4 v[34:35], v[30:33] off	
s_waitcnt vmcnt(0)
	;;#ASMEND
.LBB726_116:
	s_or_b64 exec, exec, s[2:3]
	v_mov_b32_e32 v32, 0
.LBB726_117:
	s_and_b64 s[2:3], s[34:35], exec
	s_cselect_b32 s3, 0, s59
	s_cselect_b32 s2, 0, s58
	s_cmp_eq_u64 s[2:3], 0
	v_pk_mov_b32 v[34:35], 0, 0
	s_barrier
	s_cbranch_scc1 .LBB726_119
; %bb.118:
	v_mov_b32_e32 v31, 0
	global_load_dwordx2 v[34:35], v31, s[2:3]
.LBB726_119:
	s_waitcnt vmcnt(0)
	v_lshlrev_b64 v[86:87], 3, v[34:35]
	v_mov_b32_e32 v31, s43
	v_add_co_u32_e32 v72, vcc, s42, v86
	v_mov_b32_e32 v33, 0
	v_addc_co_u32_e32 v74, vcc, v31, v87, vcc
	v_lshlrev_b64 v[86:87], 3, v[32:33]
	v_add_co_u32_e32 v31, vcc, v72, v86
	v_addc_co_u32_e32 v72, vcc, v74, v87, vcc
	v_cmp_eq_u32_e32 vcc, 0, v70
	v_cndmask_b32_e64 v74, 1, 2, vcc
	v_cmp_eq_u32_e32 vcc, 0, v84
	v_cndmask_b32_e64 v85, 1, 2, vcc
	v_cmp_eq_u32_e32 vcc, 0, v83
	v_and_b32_e32 v74, v85, v74
	v_cndmask_b32_e64 v85, 1, 2, vcc
	v_cmp_eq_u32_e32 vcc, 0, v82
	v_and_b32_e32 v74, v74, v85
	v_cndmask_b32_e64 v85, 1, 2, vcc
	v_cmp_eq_u32_e32 vcc, 0, v81
	v_and_b32_e32 v74, v74, v85
	v_cndmask_b32_e64 v85, 1, 2, vcc
	v_cmp_eq_u32_e32 vcc, 0, v80
	v_and_b32_e32 v74, v74, v85
	v_cndmask_b32_e64 v85, 1, 2, vcc
	v_cmp_eq_u32_e32 vcc, 0, v79
	v_and_b32_e32 v74, v74, v85
	v_cndmask_b32_e64 v85, 1, 2, vcc
	v_cmp_eq_u32_e32 vcc, 0, v78
	v_and_b32_e32 v74, v74, v85
	v_cndmask_b32_e64 v85, 1, 2, vcc
	v_cmp_eq_u32_e32 vcc, 0, v77
	v_and_b32_e32 v74, v74, v85
	v_cndmask_b32_e64 v85, 1, 2, vcc
	v_cmp_eq_u32_e32 vcc, 0, v76
	v_and_b32_e32 v74, v74, v85
	v_cndmask_b32_e64 v85, 1, 2, vcc
	v_cmp_eq_u32_e32 vcc, 0, v69
	v_and_b32_e32 v74, v74, v85
	v_cndmask_b32_e64 v85, 1, 2, vcc
	v_cmp_eq_u32_e32 vcc, 0, v71
	v_and_b32_e32 v74, v74, v85
	v_cndmask_b32_e64 v85, 1, 2, vcc
	v_cmp_eq_u32_e32 vcc, 0, v73
	v_and_b32_e32 v74, v74, v85
	v_cndmask_b32_e64 v85, 1, 2, vcc
	v_cmp_eq_u32_e32 vcc, 0, v75
	v_and_b32_e32 v74, v74, v85
	v_cndmask_b32_e64 v85, 1, 2, vcc
	v_cmp_eq_u32_e32 vcc, 0, v1
	v_and_b32_e32 v74, v74, v85
	v_cndmask_b32_e64 v85, 1, 2, vcc
	s_movk_i32 s34, 0x100
	v_and_b32_e32 v74, v74, v85
	v_cmp_gt_u32_e32 vcc, s34, v30
	v_cmp_ne_u32_e64 s[30:31], 0, v70
	v_cmp_ne_u32_e64 s[28:29], 0, v84
	;; [unrolled: 1-line block ×15, first 2 shown]
	s_mov_b64 s[40:41], -1
	v_cmp_gt_i16_e64 s[34:35], 2, v74
	s_cbranch_vccz .LBB726_168
; %bb.120:
	s_and_saveexec_b64 s[40:41], s[34:35]
	s_cbranch_execz .LBB726_167
; %bb.121:
	v_cmp_ne_u16_e32 vcc, 1, v74
	s_mov_b64 s[42:43], 0
	s_and_saveexec_b64 s[34:35], vcc
	s_xor_b64 s[34:35], exec, s[34:35]
	s_cbranch_execz .LBB726_145
; %bb.122:
	s_and_saveexec_b64 s[42:43], s[30:31]
	s_cbranch_execz .LBB726_150
; %bb.123:
	v_sub_u32_e32 v86, v66, v32
	v_mov_b32_e32 v87, 0
	v_lshlrev_b64 v[86:87], 3, v[86:87]
	v_add_co_u32_e32 v86, vcc, v31, v86
	v_addc_co_u32_e32 v87, vcc, v72, v87, vcc
	global_store_dwordx2 v[86:87], v[26:27], off
	s_or_b64 exec, exec, s[42:43]
	s_and_saveexec_b64 s[42:43], s[28:29]
	s_cbranch_execnz .LBB726_151
.LBB726_124:
	s_or_b64 exec, exec, s[42:43]
	s_and_saveexec_b64 s[42:43], s[26:27]
	s_cbranch_execz .LBB726_152
.LBB726_125:
	v_sub_u32_e32 v86, v62, v32
	v_mov_b32_e32 v87, 0
	v_lshlrev_b64 v[86:87], 3, v[86:87]
	v_add_co_u32_e32 v86, vcc, v31, v86
	v_addc_co_u32_e32 v87, vcc, v72, v87, vcc
	global_store_dwordx2 v[86:87], v[22:23], off
	s_or_b64 exec, exec, s[42:43]
	s_and_saveexec_b64 s[42:43], s[24:25]
	s_cbranch_execnz .LBB726_153
.LBB726_126:
	s_or_b64 exec, exec, s[42:43]
	s_and_saveexec_b64 s[42:43], s[22:23]
	s_cbranch_execz .LBB726_154
.LBB726_127:
	v_sub_u32_e32 v86, v58, v32
	v_mov_b32_e32 v87, 0
	v_lshlrev_b64 v[86:87], 3, v[86:87]
	v_add_co_u32_e32 v86, vcc, v31, v86
	v_addc_co_u32_e32 v87, vcc, v72, v87, vcc
	global_store_dwordx2 v[86:87], v[18:19], off
	s_or_b64 exec, exec, s[42:43]
	s_and_saveexec_b64 s[42:43], s[20:21]
	s_cbranch_execnz .LBB726_155
.LBB726_128:
	s_or_b64 exec, exec, s[42:43]
	s_and_saveexec_b64 s[42:43], s[18:19]
	s_cbranch_execz .LBB726_156
.LBB726_129:
	v_sub_u32_e32 v86, v54, v32
	v_mov_b32_e32 v87, 0
	v_lshlrev_b64 v[86:87], 3, v[86:87]
	v_add_co_u32_e32 v86, vcc, v31, v86
	v_addc_co_u32_e32 v87, vcc, v72, v87, vcc
	global_store_dwordx2 v[86:87], v[14:15], off
	s_or_b64 exec, exec, s[42:43]
	s_and_saveexec_b64 s[42:43], s[16:17]
	s_cbranch_execnz .LBB726_157
.LBB726_130:
	s_or_b64 exec, exec, s[42:43]
	s_and_saveexec_b64 s[42:43], s[14:15]
	s_cbranch_execz .LBB726_158
.LBB726_131:
	v_sub_u32_e32 v86, v50, v32
	v_mov_b32_e32 v87, 0
	v_lshlrev_b64 v[86:87], 3, v[86:87]
	v_add_co_u32_e32 v86, vcc, v31, v86
	v_addc_co_u32_e32 v87, vcc, v72, v87, vcc
	global_store_dwordx2 v[86:87], v[10:11], off
	s_or_b64 exec, exec, s[42:43]
	s_and_saveexec_b64 s[42:43], s[12:13]
	s_cbranch_execnz .LBB726_159
.LBB726_132:
	s_or_b64 exec, exec, s[42:43]
	s_and_saveexec_b64 s[42:43], s[10:11]
	s_cbranch_execz .LBB726_160
.LBB726_133:
	v_sub_u32_e32 v86, v44, v32
	v_mov_b32_e32 v87, 0
	v_lshlrev_b64 v[86:87], 3, v[86:87]
	v_add_co_u32_e32 v86, vcc, v31, v86
	v_addc_co_u32_e32 v87, vcc, v72, v87, vcc
	global_store_dwordx2 v[86:87], v[6:7], off
	s_or_b64 exec, exec, s[42:43]
	s_and_saveexec_b64 s[42:43], s[8:9]
	s_cbranch_execnz .LBB726_161
.LBB726_134:
	s_or_b64 exec, exec, s[42:43]
	s_and_saveexec_b64 s[42:43], s[6:7]
	s_cbranch_execz .LBB726_162
.LBB726_135:
	v_sub_u32_e32 v86, v40, v32
	v_mov_b32_e32 v87, 0
	v_lshlrev_b64 v[86:87], 3, v[86:87]
	v_add_co_u32_e32 v86, vcc, v31, v86
	v_addc_co_u32_e32 v87, vcc, v72, v87, vcc
	global_store_dwordx2 v[86:87], v[2:3], off
	s_or_b64 exec, exec, s[42:43]
	s_and_saveexec_b64 s[42:43], s[4:5]
	s_cbranch_execnz .LBB726_163
	s_branch .LBB726_164
.LBB726_136:
                                        ; implicit-def: $sgpr4_sgpr5
                                        ; implicit-def: $vgpr1
                                        ; implicit-def: $vgpr75
                                        ; implicit-def: $vgpr73
                                        ; implicit-def: $vgpr71
                                        ; implicit-def: $vgpr69
                                        ; implicit-def: $vgpr76
                                        ; implicit-def: $vgpr77
                                        ; implicit-def: $vgpr78
                                        ; implicit-def: $vgpr79
                                        ; implicit-def: $vgpr80
                                        ; implicit-def: $vgpr81
                                        ; implicit-def: $vgpr82
                                        ; implicit-def: $vgpr83
                                        ; implicit-def: $vgpr84
	s_cbranch_execz .LBB726_74
; %bb.137:
	v_cmp_ne_u64_e32 vcc, v[28:29], v[30:31]
	v_cndmask_b32_e64 v84, 0, 1, vcc
	v_cmp_ne_u64_e32 vcc, v[28:29], v[32:33]
	v_cndmask_b32_e64 v83, 0, 1, vcc
	;; [unrolled: 2-line block ×13, first 2 shown]
	v_cmp_ne_u64_e32 vcc, v[4:5], v[46:47]
	v_lshlrev_b32_e32 v44, 3, v0
	v_cndmask_b32_e64 v1, 0, 1, vcc
	ds_write_b64 v44, v[46:47]
	s_waitcnt lgkmcnt(0)
	s_barrier
	s_waitcnt lgkmcnt(0)
                                        ; implicit-def: $sgpr4_sgpr5
	s_and_saveexec_b64 s[6:7], s[2:3]
	s_xor_b64 s[6:7], exec, s[6:7]
	s_cbranch_execz .LBB726_139
; %bb.138:
	v_add_u32_e32 v30, -8, v44
	ds_read_b64 v[30:31], v30
	s_or_b64 s[34:35], s[34:35], exec
	s_waitcnt lgkmcnt(0)
	v_cmp_ne_u64_e32 vcc, v[30:31], v[26:27]
	s_and_b64 s[4:5], vcc, exec
.LBB726_139:
	s_or_b64 exec, exec, s[6:7]
	s_mov_b32 s8, 1
	s_branch .LBB726_76
.LBB726_140:
	s_mul_hi_u32 s5, s40, 0xfffff100
	s_mul_i32 s4, s41, 0xfffff100
	s_sub_i32 s5, s5, s40
	s_add_i32 s5, s5, s4
	s_mul_i32 s4, s40, 0xfffff100
	s_add_u32 s40, s4, s56
	s_addc_u32 s41, s5, s57
	s_and_b64 vcc, exec, s[30:31]
	v_cmp_ne_u64_e64 s[30:31], v[4:5], v[46:47]
	v_cmp_ne_u64_e64 s[28:29], v[2:3], v[4:5]
	;; [unrolled: 1-line block ×14, first 2 shown]
	s_cbranch_vccz .LBB726_147
; %bb.141:
	v_add_co_u32_e32 v30, vcc, -8, v49
	v_addc_co_u32_e32 v31, vcc, -1, v51, vcc
	flat_load_dwordx2 v[30:31], v[30:31]
	v_mov_b32_e32 v49, 0
	v_cmp_gt_u64_e32 vcc, s[40:41], v[48:49]
	v_mov_b32_e32 v75, v49
	s_and_b64 s[30:31], vcc, s[30:31]
	v_cmp_gt_u64_e32 vcc, s[40:41], v[74:75]
	v_mov_b32_e32 v73, v49
	s_and_b64 s[28:29], vcc, s[28:29]
	v_cmp_gt_u64_e32 vcc, s[40:41], v[72:73]
	v_mov_b32_e32 v71, v49
	s_and_b64 s[26:27], vcc, s[26:27]
	v_cmp_gt_u64_e32 vcc, s[40:41], v[70:71]
	v_mov_b32_e32 v69, v49
	s_and_b64 s[24:25], vcc, s[24:25]
	v_cmp_gt_u64_e32 vcc, s[40:41], v[68:69]
	v_mov_b32_e32 v67, v49
	s_and_b64 s[22:23], vcc, s[22:23]
	v_cmp_gt_u64_e32 vcc, s[40:41], v[66:67]
	v_mov_b32_e32 v65, v49
	s_and_b64 s[20:21], vcc, s[20:21]
	v_cmp_gt_u64_e32 vcc, s[40:41], v[64:65]
	v_mov_b32_e32 v63, v49
	s_and_b64 s[18:19], vcc, s[18:19]
	v_cmp_gt_u64_e32 vcc, s[40:41], v[62:63]
	v_mov_b32_e32 v61, v49
	s_and_b64 s[16:17], vcc, s[16:17]
	v_cmp_gt_u64_e32 vcc, s[40:41], v[60:61]
	v_mov_b32_e32 v59, v49
	s_and_b64 s[14:15], vcc, s[14:15]
	v_cmp_gt_u64_e32 vcc, s[40:41], v[58:59]
	v_mov_b32_e32 v57, v49
	s_and_b64 s[12:13], vcc, s[12:13]
	v_cmp_gt_u64_e32 vcc, s[40:41], v[56:57]
	v_mov_b32_e32 v55, v49
	s_and_b64 s[10:11], vcc, s[10:11]
	v_cmp_gt_u64_e32 vcc, s[40:41], v[54:55]
	v_mov_b32_e32 v53, v49
	s_and_b64 s[8:9], vcc, s[8:9]
	v_cmp_gt_u64_e32 vcc, s[40:41], v[52:53]
	v_mov_b32_e32 v51, v49
	s_and_b64 s[6:7], vcc, s[6:7]
	v_cmp_gt_u64_e32 vcc, s[40:41], v[50:51]
	v_lshlrev_b32_e32 v1, 3, v0
	v_mul_u32_u24_e32 v32, 15, v0
	s_and_b64 s[4:5], vcc, s[4:5]
	ds_write_b64 v1, v[46:47]
	s_waitcnt lgkmcnt(0)
	s_barrier
	s_and_saveexec_b64 s[34:35], s[2:3]
	s_cbranch_execz .LBB726_143
; %bb.142:
	v_add_u32_e32 v1, -8, v1
	s_waitcnt vmcnt(0)
	ds_read_b64 v[30:31], v1
.LBB726_143:
	s_or_b64 exec, exec, s[34:35]
	v_mov_b32_e32 v33, v49
	v_cndmask_b32_e64 v84, 0, 1, s[4:5]
	v_cmp_gt_u64_e32 vcc, s[40:41], v[32:33]
	s_waitcnt vmcnt(0) lgkmcnt(0)
	v_cmp_ne_u64_e64 s[4:5], v[30:31], v[26:27]
	v_cndmask_b32_e64 v1, 0, 1, s[30:31]
	v_cndmask_b32_e64 v75, 0, 1, s[28:29]
	;; [unrolled: 1-line block ×13, first 2 shown]
	s_and_b64 s[4:5], vcc, s[4:5]
	s_mov_b64 s[34:35], -1
.LBB726_144:
                                        ; implicit-def: $sgpr8
	v_mov_b32_e32 v70, s8
	s_and_saveexec_b64 s[2:3], s[34:35]
	s_cbranch_execnz .LBB726_77
	s_branch .LBB726_78
.LBB726_145:
	s_andn2_saveexec_b64 s[34:35], s[34:35]
	s_cbranch_execz .LBB726_165
.LBB726_146:
	v_sub_u32_e32 v86, v66, v32
	v_mov_b32_e32 v87, 0
	v_lshlrev_b64 v[88:89], 3, v[86:87]
	v_add_co_u32_e32 v88, vcc, v31, v88
	v_addc_co_u32_e32 v89, vcc, v72, v89, vcc
	v_sub_u32_e32 v86, v64, v32
	global_store_dwordx2 v[88:89], v[26:27], off
	v_lshlrev_b64 v[88:89], 3, v[86:87]
	v_add_co_u32_e32 v88, vcc, v31, v88
	v_addc_co_u32_e32 v89, vcc, v72, v89, vcc
	v_sub_u32_e32 v86, v62, v32
	global_store_dwordx2 v[88:89], v[28:29], off
	;; [unrolled: 5-line block ×12, first 2 shown]
	v_lshlrev_b64 v[88:89], 3, v[86:87]
	v_add_co_u32_e32 v88, vcc, v31, v88
	v_sub_u32_e32 v86, v38, v32
	v_addc_co_u32_e32 v89, vcc, v72, v89, vcc
	v_lshlrev_b64 v[86:87], 3, v[86:87]
	v_add_co_u32_e32 v86, vcc, v31, v86
	v_addc_co_u32_e32 v87, vcc, v72, v87, vcc
	s_or_b64 s[42:43], s[42:43], exec
	global_store_dwordx2 v[88:89], v[2:3], off
	global_store_dwordx2 v[86:87], v[4:5], off
	s_or_b64 exec, exec, s[34:35]
	s_and_b64 exec, exec, s[42:43]
	s_cbranch_execnz .LBB726_166
	s_branch .LBB726_167
.LBB726_147:
                                        ; implicit-def: $sgpr4_sgpr5
                                        ; implicit-def: $vgpr1
                                        ; implicit-def: $vgpr75
                                        ; implicit-def: $vgpr73
                                        ; implicit-def: $vgpr71
                                        ; implicit-def: $vgpr69
                                        ; implicit-def: $vgpr76
                                        ; implicit-def: $vgpr77
                                        ; implicit-def: $vgpr78
                                        ; implicit-def: $vgpr79
                                        ; implicit-def: $vgpr80
                                        ; implicit-def: $vgpr81
                                        ; implicit-def: $vgpr82
                                        ; implicit-def: $vgpr83
                                        ; implicit-def: $vgpr84
	s_cbranch_execz .LBB726_144
; %bb.148:
	v_mov_b32_e32 v49, 0
	v_cmp_gt_u64_e32 vcc, s[40:41], v[48:49]
	v_cmp_ne_u64_e64 s[4:5], v[4:5], v[46:47]
	s_and_b64 s[4:5], vcc, s[4:5]
	v_mov_b32_e32 v75, v49
	v_cndmask_b32_e64 v1, 0, 1, s[4:5]
	v_cmp_gt_u64_e32 vcc, s[40:41], v[74:75]
	v_cmp_ne_u64_e64 s[4:5], v[2:3], v[4:5]
	s_and_b64 s[4:5], vcc, s[4:5]
	v_mov_b32_e32 v73, v49
	v_cndmask_b32_e64 v75, 0, 1, s[4:5]
	;; [unrolled: 5-line block ×13, first 2 shown]
	v_cmp_gt_u64_e32 vcc, s[40:41], v[50:51]
	v_cmp_ne_u64_e64 s[4:5], v[26:27], v[28:29]
	s_and_b64 s[4:5], vcc, s[4:5]
	v_lshlrev_b32_e32 v30, 3, v0
	s_mov_b32 s8, 1
	v_cndmask_b32_e64 v84, 0, 1, s[4:5]
	ds_write_b64 v30, v[46:47]
	s_waitcnt lgkmcnt(0)
	s_barrier
	s_waitcnt lgkmcnt(0)
                                        ; implicit-def: $sgpr4_sgpr5
	s_and_saveexec_b64 s[6:7], s[2:3]
	s_cbranch_execz .LBB726_187
; %bb.149:
	v_add_u32_e32 v30, -8, v30
	ds_read_b64 v[30:31], v30
	v_mul_u32_u24_e32 v48, 15, v0
	v_cmp_gt_u64_e32 vcc, s[40:41], v[48:49]
	s_or_b64 s[34:35], s[34:35], exec
	s_waitcnt lgkmcnt(0)
	v_cmp_ne_u64_e64 s[2:3], v[30:31], v[26:27]
	s_and_b64 s[2:3], vcc, s[2:3]
	s_and_b64 s[4:5], s[2:3], exec
	s_or_b64 exec, exec, s[6:7]
	v_mov_b32_e32 v70, s8
	s_and_saveexec_b64 s[2:3], s[34:35]
	s_cbranch_execz .LBB726_78
	s_branch .LBB726_77
.LBB726_150:
	s_or_b64 exec, exec, s[42:43]
	s_and_saveexec_b64 s[42:43], s[28:29]
	s_cbranch_execz .LBB726_124
.LBB726_151:
	v_sub_u32_e32 v86, v64, v32
	v_mov_b32_e32 v87, 0
	v_lshlrev_b64 v[86:87], 3, v[86:87]
	v_add_co_u32_e32 v86, vcc, v31, v86
	v_addc_co_u32_e32 v87, vcc, v72, v87, vcc
	global_store_dwordx2 v[86:87], v[28:29], off
	s_or_b64 exec, exec, s[42:43]
	s_and_saveexec_b64 s[42:43], s[26:27]
	s_cbranch_execnz .LBB726_125
.LBB726_152:
	s_or_b64 exec, exec, s[42:43]
	s_and_saveexec_b64 s[42:43], s[24:25]
	s_cbranch_execz .LBB726_126
.LBB726_153:
	v_sub_u32_e32 v86, v60, v32
	v_mov_b32_e32 v87, 0
	v_lshlrev_b64 v[86:87], 3, v[86:87]
	v_add_co_u32_e32 v86, vcc, v31, v86
	v_addc_co_u32_e32 v87, vcc, v72, v87, vcc
	global_store_dwordx2 v[86:87], v[24:25], off
	s_or_b64 exec, exec, s[42:43]
	s_and_saveexec_b64 s[42:43], s[22:23]
	s_cbranch_execnz .LBB726_127
.LBB726_154:
	s_or_b64 exec, exec, s[42:43]
	s_and_saveexec_b64 s[42:43], s[20:21]
	s_cbranch_execz .LBB726_128
.LBB726_155:
	v_sub_u32_e32 v86, v56, v32
	v_mov_b32_e32 v87, 0
	v_lshlrev_b64 v[86:87], 3, v[86:87]
	v_add_co_u32_e32 v86, vcc, v31, v86
	v_addc_co_u32_e32 v87, vcc, v72, v87, vcc
	global_store_dwordx2 v[86:87], v[20:21], off
	s_or_b64 exec, exec, s[42:43]
	s_and_saveexec_b64 s[42:43], s[18:19]
	s_cbranch_execnz .LBB726_129
.LBB726_156:
	s_or_b64 exec, exec, s[42:43]
	s_and_saveexec_b64 s[42:43], s[16:17]
	s_cbranch_execz .LBB726_130
.LBB726_157:
	v_sub_u32_e32 v86, v52, v32
	v_mov_b32_e32 v87, 0
	v_lshlrev_b64 v[86:87], 3, v[86:87]
	v_add_co_u32_e32 v86, vcc, v31, v86
	v_addc_co_u32_e32 v87, vcc, v72, v87, vcc
	global_store_dwordx2 v[86:87], v[16:17], off
	s_or_b64 exec, exec, s[42:43]
	s_and_saveexec_b64 s[42:43], s[14:15]
	s_cbranch_execnz .LBB726_131
.LBB726_158:
	s_or_b64 exec, exec, s[42:43]
	s_and_saveexec_b64 s[42:43], s[12:13]
	s_cbranch_execz .LBB726_132
.LBB726_159:
	v_sub_u32_e32 v86, v48, v32
	v_mov_b32_e32 v87, 0
	v_lshlrev_b64 v[86:87], 3, v[86:87]
	v_add_co_u32_e32 v86, vcc, v31, v86
	v_addc_co_u32_e32 v87, vcc, v72, v87, vcc
	global_store_dwordx2 v[86:87], v[12:13], off
	s_or_b64 exec, exec, s[42:43]
	s_and_saveexec_b64 s[42:43], s[10:11]
	s_cbranch_execnz .LBB726_133
.LBB726_160:
	s_or_b64 exec, exec, s[42:43]
	s_and_saveexec_b64 s[42:43], s[8:9]
	s_cbranch_execz .LBB726_134
.LBB726_161:
	v_sub_u32_e32 v86, v42, v32
	v_mov_b32_e32 v87, 0
	v_lshlrev_b64 v[86:87], 3, v[86:87]
	v_add_co_u32_e32 v86, vcc, v31, v86
	v_addc_co_u32_e32 v87, vcc, v72, v87, vcc
	global_store_dwordx2 v[86:87], v[8:9], off
	s_or_b64 exec, exec, s[42:43]
	s_and_saveexec_b64 s[42:43], s[6:7]
	s_cbranch_execnz .LBB726_135
.LBB726_162:
	s_or_b64 exec, exec, s[42:43]
	s_and_saveexec_b64 s[42:43], s[4:5]
	s_cbranch_execz .LBB726_164
.LBB726_163:
	v_sub_u32_e32 v86, v38, v32
	v_mov_b32_e32 v87, 0
	v_lshlrev_b64 v[86:87], 3, v[86:87]
	v_add_co_u32_e32 v86, vcc, v31, v86
	v_addc_co_u32_e32 v87, vcc, v72, v87, vcc
	global_store_dwordx2 v[86:87], v[4:5], off
.LBB726_164:
	s_or_b64 exec, exec, s[42:43]
	s_and_b64 s[42:43], s[2:3], exec
	s_andn2_saveexec_b64 s[34:35], s[34:35]
	s_cbranch_execnz .LBB726_146
.LBB726_165:
	s_or_b64 exec, exec, s[34:35]
	s_and_b64 exec, exec, s[42:43]
	s_cbranch_execz .LBB726_167
.LBB726_166:
	v_sub_u32_e32 v86, v36, v32
	v_mov_b32_e32 v87, 0
	v_lshlrev_b64 v[86:87], 3, v[86:87]
	v_add_co_u32_e32 v86, vcc, v31, v86
	v_addc_co_u32_e32 v87, vcc, v72, v87, vcc
	global_store_dwordx2 v[86:87], v[46:47], off
.LBB726_167:
	s_or_b64 exec, exec, s[40:41]
	s_mov_b64 s[40:41], 0
.LBB726_168:
	s_and_b64 vcc, exec, s[40:41]
	s_cbranch_vccz .LBB726_209
; %bb.169:
	v_cmp_gt_i16_e32 vcc, 2, v74
	s_and_saveexec_b64 s[34:35], vcc
	s_cbranch_execz .LBB726_205
; %bb.170:
	v_cmp_ne_u16_e32 vcc, 1, v74
	s_mov_b64 s[42:43], 0
	s_and_saveexec_b64 s[40:41], vcc
	s_xor_b64 s[40:41], exec, s[40:41]
	s_cbranch_execz .LBB726_185
; %bb.171:
	s_and_saveexec_b64 s[42:43], s[30:31]
	s_cbranch_execz .LBB726_188
; %bb.172:
	v_sub_u32_e32 v74, v66, v32
	v_lshlrev_b32_e32 v74, 3, v74
	ds_write_b64 v74, v[26:27]
	s_or_b64 exec, exec, s[42:43]
	s_and_saveexec_b64 s[30:31], s[28:29]
	s_cbranch_execnz .LBB726_189
.LBB726_173:
	s_or_b64 exec, exec, s[30:31]
	s_and_saveexec_b64 s[28:29], s[26:27]
	s_cbranch_execz .LBB726_190
.LBB726_174:
	v_sub_u32_e32 v26, v62, v32
	v_lshlrev_b32_e32 v26, 3, v26
	ds_write_b64 v26, v[22:23]
	s_or_b64 exec, exec, s[28:29]
	s_and_saveexec_b64 s[26:27], s[24:25]
	s_cbranch_execnz .LBB726_191
.LBB726_175:
	s_or_b64 exec, exec, s[26:27]
	s_and_saveexec_b64 s[24:25], s[22:23]
	s_cbranch_execz .LBB726_192
.LBB726_176:
	v_sub_u32_e32 v22, v58, v32
	v_lshlrev_b32_e32 v22, 3, v22
	ds_write_b64 v22, v[18:19]
	s_or_b64 exec, exec, s[24:25]
	s_and_saveexec_b64 s[22:23], s[20:21]
	s_cbranch_execnz .LBB726_193
.LBB726_177:
	s_or_b64 exec, exec, s[22:23]
	s_and_saveexec_b64 s[20:21], s[18:19]
	s_cbranch_execz .LBB726_194
.LBB726_178:
	v_sub_u32_e32 v18, v54, v32
	v_lshlrev_b32_e32 v18, 3, v18
	ds_write_b64 v18, v[14:15]
	s_or_b64 exec, exec, s[20:21]
	s_and_saveexec_b64 s[18:19], s[16:17]
	s_cbranch_execnz .LBB726_195
.LBB726_179:
	s_or_b64 exec, exec, s[18:19]
	s_and_saveexec_b64 s[16:17], s[14:15]
	s_cbranch_execz .LBB726_196
.LBB726_180:
	v_sub_u32_e32 v14, v50, v32
	v_lshlrev_b32_e32 v14, 3, v14
	ds_write_b64 v14, v[10:11]
	s_or_b64 exec, exec, s[16:17]
	s_and_saveexec_b64 s[14:15], s[12:13]
	s_cbranch_execnz .LBB726_197
.LBB726_181:
	s_or_b64 exec, exec, s[14:15]
	s_and_saveexec_b64 s[12:13], s[10:11]
	s_cbranch_execz .LBB726_198
.LBB726_182:
	v_sub_u32_e32 v10, v44, v32
	v_lshlrev_b32_e32 v10, 3, v10
	ds_write_b64 v10, v[6:7]
	s_or_b64 exec, exec, s[12:13]
	s_and_saveexec_b64 s[10:11], s[8:9]
	s_cbranch_execnz .LBB726_199
.LBB726_183:
	s_or_b64 exec, exec, s[10:11]
	s_and_saveexec_b64 s[8:9], s[6:7]
	s_cbranch_execz .LBB726_200
.LBB726_184:
	v_sub_u32_e32 v6, v40, v32
	v_lshlrev_b32_e32 v6, 3, v6
	ds_write_b64 v6, v[2:3]
	s_or_b64 exec, exec, s[8:9]
	s_and_saveexec_b64 s[6:7], s[4:5]
	s_cbranch_execnz .LBB726_201
	s_branch .LBB726_202
.LBB726_185:
	s_andn2_saveexec_b64 s[2:3], s[40:41]
	s_cbranch_execz .LBB726_203
.LBB726_186:
	v_sub_u32_e32 v74, v66, v32
	v_lshlrev_b32_e32 v74, 3, v74
	ds_write_b64 v74, v[26:27]
	v_sub_u32_e32 v26, v64, v32
	v_lshlrev_b32_e32 v26, 3, v26
	ds_write_b64 v26, v[28:29]
	;; [unrolled: 3-line block ×13, first 2 shown]
	v_sub_u32_e32 v2, v38, v32
	v_lshlrev_b32_e32 v2, 3, v2
	s_or_b64 s[42:43], s[42:43], exec
	ds_write_b64 v2, v[4:5]
	s_or_b64 exec, exec, s[2:3]
	s_and_b64 exec, exec, s[42:43]
	s_cbranch_execnz .LBB726_204
	s_branch .LBB726_205
.LBB726_187:
	s_or_b64 exec, exec, s[6:7]
	v_mov_b32_e32 v70, s8
	s_and_saveexec_b64 s[2:3], s[34:35]
	s_cbranch_execnz .LBB726_77
	s_branch .LBB726_78
.LBB726_188:
	s_or_b64 exec, exec, s[42:43]
	s_and_saveexec_b64 s[30:31], s[28:29]
	s_cbranch_execz .LBB726_173
.LBB726_189:
	v_sub_u32_e32 v26, v64, v32
	v_lshlrev_b32_e32 v26, 3, v26
	ds_write_b64 v26, v[28:29]
	s_or_b64 exec, exec, s[30:31]
	s_and_saveexec_b64 s[28:29], s[26:27]
	s_cbranch_execnz .LBB726_174
.LBB726_190:
	s_or_b64 exec, exec, s[28:29]
	s_and_saveexec_b64 s[26:27], s[24:25]
	s_cbranch_execz .LBB726_175
.LBB726_191:
	v_sub_u32_e32 v22, v60, v32
	v_lshlrev_b32_e32 v22, 3, v22
	ds_write_b64 v22, v[24:25]
	s_or_b64 exec, exec, s[26:27]
	s_and_saveexec_b64 s[24:25], s[22:23]
	s_cbranch_execnz .LBB726_176
.LBB726_192:
	s_or_b64 exec, exec, s[24:25]
	s_and_saveexec_b64 s[22:23], s[20:21]
	s_cbranch_execz .LBB726_177
.LBB726_193:
	v_sub_u32_e32 v18, v56, v32
	v_lshlrev_b32_e32 v18, 3, v18
	ds_write_b64 v18, v[20:21]
	s_or_b64 exec, exec, s[22:23]
	s_and_saveexec_b64 s[20:21], s[18:19]
	s_cbranch_execnz .LBB726_178
.LBB726_194:
	s_or_b64 exec, exec, s[20:21]
	s_and_saveexec_b64 s[18:19], s[16:17]
	s_cbranch_execz .LBB726_179
.LBB726_195:
	v_sub_u32_e32 v14, v52, v32
	v_lshlrev_b32_e32 v14, 3, v14
	ds_write_b64 v14, v[16:17]
	s_or_b64 exec, exec, s[18:19]
	s_and_saveexec_b64 s[16:17], s[14:15]
	s_cbranch_execnz .LBB726_180
.LBB726_196:
	s_or_b64 exec, exec, s[16:17]
	s_and_saveexec_b64 s[14:15], s[12:13]
	s_cbranch_execz .LBB726_181
.LBB726_197:
	v_sub_u32_e32 v10, v48, v32
	v_lshlrev_b32_e32 v10, 3, v10
	ds_write_b64 v10, v[12:13]
	s_or_b64 exec, exec, s[14:15]
	s_and_saveexec_b64 s[12:13], s[10:11]
	s_cbranch_execnz .LBB726_182
.LBB726_198:
	s_or_b64 exec, exec, s[12:13]
	s_and_saveexec_b64 s[10:11], s[8:9]
	s_cbranch_execz .LBB726_183
.LBB726_199:
	v_sub_u32_e32 v6, v42, v32
	v_lshlrev_b32_e32 v6, 3, v6
	ds_write_b64 v6, v[8:9]
	s_or_b64 exec, exec, s[10:11]
	s_and_saveexec_b64 s[8:9], s[6:7]
	s_cbranch_execnz .LBB726_184
.LBB726_200:
	s_or_b64 exec, exec, s[8:9]
	s_and_saveexec_b64 s[6:7], s[4:5]
	s_cbranch_execz .LBB726_202
.LBB726_201:
	v_sub_u32_e32 v2, v38, v32
	v_lshlrev_b32_e32 v2, 3, v2
	ds_write_b64 v2, v[4:5]
.LBB726_202:
	s_or_b64 exec, exec, s[6:7]
	s_and_b64 s[42:43], s[2:3], exec
                                        ; implicit-def: $vgpr2_vgpr3
                                        ; implicit-def: $vgpr6_vgpr7
                                        ; implicit-def: $vgpr10_vgpr11
                                        ; implicit-def: $vgpr14_vgpr15
                                        ; implicit-def: $vgpr18_vgpr19
                                        ; implicit-def: $vgpr22_vgpr23
                                        ; implicit-def: $vgpr26_vgpr27
	s_andn2_saveexec_b64 s[2:3], s[40:41]
	s_cbranch_execnz .LBB726_186
.LBB726_203:
	s_or_b64 exec, exec, s[2:3]
	s_and_b64 exec, exec, s[42:43]
	s_cbranch_execz .LBB726_205
.LBB726_204:
	v_sub_u32_e32 v2, v36, v32
	v_lshlrev_b32_e32 v2, 3, v2
	ds_write_b64 v2, v[46:47]
.LBB726_205:
	s_or_b64 exec, exec, s[34:35]
	v_cmp_lt_u32_e32 vcc, v0, v30
	s_waitcnt lgkmcnt(0)
	s_barrier
	s_and_saveexec_b64 s[2:3], vcc
	s_cbranch_execz .LBB726_208
; %bb.206:
	v_lshlrev_b32_e32 v4, 3, v0
	s_mov_b64 s[4:5], 0
	v_mov_b32_e32 v3, 0
	v_mov_b32_e32 v2, v0
.LBB726_207:                            ; =>This Inner Loop Header: Depth=1
	v_lshlrev_b64 v[6:7], 3, v[2:3]
	ds_read_b64 v[8:9], v4
	v_add_co_u32_e32 v6, vcc, v31, v6
	v_add_u32_e32 v2, 0x100, v2
	v_addc_co_u32_e32 v7, vcc, v72, v7, vcc
	v_cmp_ge_u32_e32 vcc, v2, v30
	v_add_u32_e32 v4, 0x800, v4
	s_or_b64 s[4:5], vcc, s[4:5]
	s_waitcnt lgkmcnt(0)
	global_store_dwordx2 v[6:7], v[8:9], off
	s_andn2_b64 exec, exec, s[4:5]
	s_cbranch_execnz .LBB726_207
.LBB726_208:
	s_or_b64 exec, exec, s[2:3]
.LBB726_209:
	s_cmpk_lg_i32 s33, 0xf00
	s_cselect_b64 s[2:3], -1, 0
	v_cndmask_b32_e64 v3, 0, 1, s[38:39]
	s_and_b64 s[2:3], s[2:3], s[36:37]
	v_sub_u32_e32 v4, v30, v3
	v_cndmask_b32_e64 v2, 0, 1, s[2:3]
	s_and_b64 s[0:1], s[0:1], s[38:39]
	v_add_u32_e32 v6, v4, v2
	v_cndmask_b32_e64 v4, v70, 0, s[0:1]
	s_mul_hi_u32 s0, s33, 0x88888889
	s_lshr_b32 s0, s0, 3
	v_mad_i32_i24 v5, v0, -15, s33
	v_cmp_eq_u32_e32 vcc, s0, v0
	v_cmp_ne_u32_e64 s[0:1], 0, v5
	v_cndmask_b32_e64 v7, 1, v4, s[0:1]
	v_cmp_ne_u32_e64 s[0:1], 1, v5
	v_cndmask_b32_e64 v8, 1, v84, s[0:1]
	;; [unrolled: 2-line block ×15, first 2 shown]
	s_and_b64 vcc, vcc, s[36:37]
	v_cndmask_b32_e32 v21, v1, v5, vcc
	v_cndmask_b32_e32 v25, v4, v7, vcc
	v_lshlrev_b64 v[4:5], 2, v[34:35]
	v_cndmask_b32_e32 v20, v75, v20, vcc
	v_cndmask_b32_e32 v19, v73, v19, vcc
	;; [unrolled: 1-line block ×13, first 2 shown]
	v_mov_b32_e32 v1, s53
	v_add_co_u32_e32 v7, vcc, s52, v4
	v_addc_co_u32_e32 v1, vcc, v1, v5, vcc
	v_lshlrev_b64 v[4:5], 2, v[32:33]
	v_add_co_u32_e32 v7, vcc, v7, v4
	v_addc_co_u32_e32 v8, vcc, v1, v5, vcc
	v_lshlrev_b32_e32 v1, 2, v3
	v_add_co_u32_e32 v1, vcc, v1, v7
	v_addc_co_u32_e32 v4, vcc, 0, v8, vcc
	v_add_co_u32_e32 v9, vcc, -4, v1
	v_addc_co_u32_e32 v10, vcc, -1, v4, vcc
	v_cmp_eq_u32_e32 vcc, 0, v25
	v_cndmask_b32_e64 v4, 1, 2, vcc
	v_cmp_eq_u32_e32 vcc, 0, v24
	v_cndmask_b32_e64 v5, 1, 2, vcc
	v_cmp_eq_u32_e32 vcc, 0, v23
	v_and_b32_e32 v4, v5, v4
	v_cndmask_b32_e64 v5, 1, 2, vcc
	v_cmp_eq_u32_e32 vcc, 0, v22
	v_and_b32_e32 v4, v4, v5
	;; [unrolled: 3-line block ×13, first 2 shown]
	v_cndmask_b32_e64 v5, 1, 2, vcc
	s_movk_i32 s30, 0x100
	v_and_b32_e32 v4, v4, v5
	v_cmp_gt_u32_e32 vcc, s30, v6
	v_add_u32_e32 v1, v32, v3
	v_cmp_ne_u32_e64 s[28:29], 0, v25
	v_cmp_ne_u32_e64 s[26:27], 0, v24
	;; [unrolled: 1-line block ×15, first 2 shown]
	s_mov_b64 s[34:35], -1
	v_cmp_gt_i16_e64 s[30:31], 2, v4
	s_barrier
	s_cbranch_vccz .LBB726_246
; %bb.210:
	s_and_saveexec_b64 s[34:35], s[30:31]
	s_cbranch_execz .LBB726_245
; %bb.211:
	v_cmp_ne_u16_e32 vcc, 1, v4
	s_mov_b64 s[38:39], 0
	s_and_saveexec_b64 s[30:31], vcc
	s_xor_b64 s[30:31], exec, s[30:31]
	s_cbranch_execz .LBB726_226
; %bb.212:
	s_and_saveexec_b64 s[38:39], s[28:29]
	s_cbranch_execz .LBB726_228
; %bb.213:
	v_sub_u32_e32 v12, v66, v1
	v_mov_b32_e32 v13, 0
	v_lshlrev_b64 v[12:13], 2, v[12:13]
	v_add_co_u32_e32 v12, vcc, v9, v12
	v_addc_co_u32_e32 v13, vcc, v10, v13, vcc
	global_store_dword v[12:13], v67, off
	s_or_b64 exec, exec, s[38:39]
	s_and_saveexec_b64 s[38:39], s[26:27]
	s_cbranch_execnz .LBB726_229
.LBB726_214:
	s_or_b64 exec, exec, s[38:39]
	s_and_saveexec_b64 s[38:39], s[24:25]
	s_cbranch_execz .LBB726_230
.LBB726_215:
	v_sub_u32_e32 v12, v62, v1
	v_mov_b32_e32 v13, 0
	v_lshlrev_b64 v[12:13], 2, v[12:13]
	v_add_co_u32_e32 v12, vcc, v9, v12
	v_addc_co_u32_e32 v13, vcc, v10, v13, vcc
	global_store_dword v[12:13], v63, off
	s_or_b64 exec, exec, s[38:39]
	s_and_saveexec_b64 s[38:39], s[22:23]
	s_cbranch_execnz .LBB726_231
.LBB726_216:
	s_or_b64 exec, exec, s[38:39]
	s_and_saveexec_b64 s[38:39], s[20:21]
	s_cbranch_execz .LBB726_232
.LBB726_217:
	v_sub_u32_e32 v12, v58, v1
	v_mov_b32_e32 v13, 0
	v_lshlrev_b64 v[12:13], 2, v[12:13]
	v_add_co_u32_e32 v12, vcc, v9, v12
	v_addc_co_u32_e32 v13, vcc, v10, v13, vcc
	global_store_dword v[12:13], v59, off
	s_or_b64 exec, exec, s[38:39]
	s_and_saveexec_b64 s[38:39], s[18:19]
	s_cbranch_execnz .LBB726_233
.LBB726_218:
	s_or_b64 exec, exec, s[38:39]
	s_and_saveexec_b64 s[38:39], s[16:17]
	s_cbranch_execz .LBB726_234
.LBB726_219:
	v_sub_u32_e32 v12, v54, v1
	v_mov_b32_e32 v13, 0
	v_lshlrev_b64 v[12:13], 2, v[12:13]
	v_add_co_u32_e32 v12, vcc, v9, v12
	v_addc_co_u32_e32 v13, vcc, v10, v13, vcc
	global_store_dword v[12:13], v55, off
	s_or_b64 exec, exec, s[38:39]
	s_and_saveexec_b64 s[38:39], s[14:15]
	s_cbranch_execnz .LBB726_235
.LBB726_220:
	s_or_b64 exec, exec, s[38:39]
	s_and_saveexec_b64 s[38:39], s[12:13]
	s_cbranch_execz .LBB726_236
.LBB726_221:
	v_sub_u32_e32 v12, v50, v1
	v_mov_b32_e32 v13, 0
	v_lshlrev_b64 v[12:13], 2, v[12:13]
	v_add_co_u32_e32 v12, vcc, v9, v12
	v_addc_co_u32_e32 v13, vcc, v10, v13, vcc
	global_store_dword v[12:13], v51, off
	s_or_b64 exec, exec, s[38:39]
	s_and_saveexec_b64 s[38:39], s[10:11]
	s_cbranch_execnz .LBB726_237
.LBB726_222:
	s_or_b64 exec, exec, s[38:39]
	s_and_saveexec_b64 s[38:39], s[8:9]
	s_cbranch_execz .LBB726_238
.LBB726_223:
	v_sub_u32_e32 v12, v44, v1
	v_mov_b32_e32 v13, 0
	v_lshlrev_b64 v[12:13], 2, v[12:13]
	v_add_co_u32_e32 v12, vcc, v9, v12
	v_addc_co_u32_e32 v13, vcc, v10, v13, vcc
	global_store_dword v[12:13], v45, off
	s_or_b64 exec, exec, s[38:39]
	s_and_saveexec_b64 s[38:39], s[6:7]
	s_cbranch_execnz .LBB726_239
.LBB726_224:
	s_or_b64 exec, exec, s[38:39]
	s_and_saveexec_b64 s[38:39], s[4:5]
	s_cbranch_execz .LBB726_240
.LBB726_225:
	v_sub_u32_e32 v12, v40, v1
	v_mov_b32_e32 v13, 0
	v_lshlrev_b64 v[12:13], 2, v[12:13]
	v_add_co_u32_e32 v12, vcc, v9, v12
	v_addc_co_u32_e32 v13, vcc, v10, v13, vcc
	global_store_dword v[12:13], v41, off
	s_or_b64 exec, exec, s[38:39]
	s_and_saveexec_b64 s[38:39], s[2:3]
	s_cbranch_execnz .LBB726_241
	s_branch .LBB726_242
.LBB726_226:
	s_andn2_saveexec_b64 s[30:31], s[30:31]
	s_cbranch_execz .LBB726_243
.LBB726_227:
	v_sub_u32_e32 v12, v66, v1
	v_mov_b32_e32 v13, 0
	v_lshlrev_b64 v[14:15], 2, v[12:13]
	v_add_co_u32_e32 v14, vcc, v9, v14
	v_addc_co_u32_e32 v15, vcc, v10, v15, vcc
	v_sub_u32_e32 v12, v64, v1
	global_store_dword v[14:15], v67, off
	v_lshlrev_b64 v[14:15], 2, v[12:13]
	v_add_co_u32_e32 v14, vcc, v9, v14
	v_addc_co_u32_e32 v15, vcc, v10, v15, vcc
	v_sub_u32_e32 v12, v62, v1
	global_store_dword v[14:15], v65, off
	;; [unrolled: 5-line block ×12, first 2 shown]
	v_lshlrev_b64 v[14:15], 2, v[12:13]
	v_add_co_u32_e32 v14, vcc, v9, v14
	v_sub_u32_e32 v12, v38, v1
	v_addc_co_u32_e32 v15, vcc, v10, v15, vcc
	v_lshlrev_b64 v[12:13], 2, v[12:13]
	v_add_co_u32_e32 v12, vcc, v9, v12
	v_addc_co_u32_e32 v13, vcc, v10, v13, vcc
	s_or_b64 s[38:39], s[38:39], exec
	global_store_dword v[14:15], v41, off
	global_store_dword v[12:13], v39, off
	s_or_b64 exec, exec, s[30:31]
	s_and_b64 exec, exec, s[38:39]
	s_cbranch_execnz .LBB726_244
	s_branch .LBB726_245
.LBB726_228:
	s_or_b64 exec, exec, s[38:39]
	s_and_saveexec_b64 s[38:39], s[26:27]
	s_cbranch_execz .LBB726_214
.LBB726_229:
	v_sub_u32_e32 v12, v64, v1
	v_mov_b32_e32 v13, 0
	v_lshlrev_b64 v[12:13], 2, v[12:13]
	v_add_co_u32_e32 v12, vcc, v9, v12
	v_addc_co_u32_e32 v13, vcc, v10, v13, vcc
	global_store_dword v[12:13], v65, off
	s_or_b64 exec, exec, s[38:39]
	s_and_saveexec_b64 s[38:39], s[24:25]
	s_cbranch_execnz .LBB726_215
.LBB726_230:
	s_or_b64 exec, exec, s[38:39]
	s_and_saveexec_b64 s[38:39], s[22:23]
	s_cbranch_execz .LBB726_216
.LBB726_231:
	v_sub_u32_e32 v12, v60, v1
	v_mov_b32_e32 v13, 0
	v_lshlrev_b64 v[12:13], 2, v[12:13]
	v_add_co_u32_e32 v12, vcc, v9, v12
	v_addc_co_u32_e32 v13, vcc, v10, v13, vcc
	global_store_dword v[12:13], v61, off
	s_or_b64 exec, exec, s[38:39]
	s_and_saveexec_b64 s[38:39], s[20:21]
	s_cbranch_execnz .LBB726_217
.LBB726_232:
	s_or_b64 exec, exec, s[38:39]
	s_and_saveexec_b64 s[38:39], s[18:19]
	s_cbranch_execz .LBB726_218
.LBB726_233:
	v_sub_u32_e32 v12, v56, v1
	v_mov_b32_e32 v13, 0
	v_lshlrev_b64 v[12:13], 2, v[12:13]
	v_add_co_u32_e32 v12, vcc, v9, v12
	v_addc_co_u32_e32 v13, vcc, v10, v13, vcc
	global_store_dword v[12:13], v57, off
	s_or_b64 exec, exec, s[38:39]
	s_and_saveexec_b64 s[38:39], s[16:17]
	s_cbranch_execnz .LBB726_219
.LBB726_234:
	s_or_b64 exec, exec, s[38:39]
	s_and_saveexec_b64 s[38:39], s[14:15]
	s_cbranch_execz .LBB726_220
.LBB726_235:
	v_sub_u32_e32 v12, v52, v1
	v_mov_b32_e32 v13, 0
	v_lshlrev_b64 v[12:13], 2, v[12:13]
	v_add_co_u32_e32 v12, vcc, v9, v12
	v_addc_co_u32_e32 v13, vcc, v10, v13, vcc
	global_store_dword v[12:13], v53, off
	s_or_b64 exec, exec, s[38:39]
	s_and_saveexec_b64 s[38:39], s[12:13]
	s_cbranch_execnz .LBB726_221
.LBB726_236:
	s_or_b64 exec, exec, s[38:39]
	s_and_saveexec_b64 s[38:39], s[10:11]
	s_cbranch_execz .LBB726_222
.LBB726_237:
	v_sub_u32_e32 v12, v48, v1
	v_mov_b32_e32 v13, 0
	v_lshlrev_b64 v[12:13], 2, v[12:13]
	v_add_co_u32_e32 v12, vcc, v9, v12
	v_addc_co_u32_e32 v13, vcc, v10, v13, vcc
	global_store_dword v[12:13], v49, off
	s_or_b64 exec, exec, s[38:39]
	s_and_saveexec_b64 s[38:39], s[8:9]
	s_cbranch_execnz .LBB726_223
.LBB726_238:
	s_or_b64 exec, exec, s[38:39]
	s_and_saveexec_b64 s[38:39], s[6:7]
	s_cbranch_execz .LBB726_224
.LBB726_239:
	v_sub_u32_e32 v12, v42, v1
	v_mov_b32_e32 v13, 0
	v_lshlrev_b64 v[12:13], 2, v[12:13]
	v_add_co_u32_e32 v12, vcc, v9, v12
	v_addc_co_u32_e32 v13, vcc, v10, v13, vcc
	global_store_dword v[12:13], v43, off
	s_or_b64 exec, exec, s[38:39]
	s_and_saveexec_b64 s[38:39], s[4:5]
	s_cbranch_execnz .LBB726_225
.LBB726_240:
	s_or_b64 exec, exec, s[38:39]
	s_and_saveexec_b64 s[38:39], s[2:3]
	s_cbranch_execz .LBB726_242
.LBB726_241:
	v_sub_u32_e32 v12, v38, v1
	v_mov_b32_e32 v13, 0
	v_lshlrev_b64 v[12:13], 2, v[12:13]
	v_add_co_u32_e32 v12, vcc, v9, v12
	v_addc_co_u32_e32 v13, vcc, v10, v13, vcc
	global_store_dword v[12:13], v39, off
.LBB726_242:
	s_or_b64 exec, exec, s[38:39]
	s_and_b64 s[38:39], s[0:1], exec
	s_andn2_saveexec_b64 s[30:31], s[30:31]
	s_cbranch_execnz .LBB726_227
.LBB726_243:
	s_or_b64 exec, exec, s[30:31]
	s_and_b64 exec, exec, s[38:39]
	s_cbranch_execz .LBB726_245
.LBB726_244:
	v_sub_u32_e32 v12, v36, v1
	v_mov_b32_e32 v13, 0
	v_lshlrev_b64 v[12:13], 2, v[12:13]
	v_add_co_u32_e32 v12, vcc, v9, v12
	v_addc_co_u32_e32 v13, vcc, v10, v13, vcc
	global_store_dword v[12:13], v37, off
.LBB726_245:
	s_or_b64 exec, exec, s[34:35]
	s_mov_b64 s[34:35], 0
.LBB726_246:
	s_and_b64 vcc, exec, s[34:35]
	s_cbranch_vccz .LBB726_298
; %bb.247:
	v_cmp_gt_i16_e32 vcc, 2, v4
	s_and_saveexec_b64 s[30:31], vcc
	s_cbranch_execz .LBB726_282
; %bb.248:
	v_cmp_ne_u16_e32 vcc, 1, v4
	s_mov_b64 s[38:39], 0
	s_and_saveexec_b64 s[34:35], vcc
	s_xor_b64 s[34:35], exec, s[34:35]
	s_cbranch_execz .LBB726_263
; %bb.249:
	s_and_saveexec_b64 s[38:39], s[28:29]
	s_cbranch_execz .LBB726_265
; %bb.250:
	v_sub_u32_e32 v4, v66, v1
	v_lshlrev_b32_e32 v4, 2, v4
	ds_write_b32 v4, v67
	s_or_b64 exec, exec, s[38:39]
	s_and_saveexec_b64 s[28:29], s[26:27]
	s_cbranch_execnz .LBB726_266
.LBB726_251:
	s_or_b64 exec, exec, s[28:29]
	s_and_saveexec_b64 s[26:27], s[24:25]
	s_cbranch_execz .LBB726_267
.LBB726_252:
	v_sub_u32_e32 v4, v62, v1
	v_lshlrev_b32_e32 v4, 2, v4
	ds_write_b32 v4, v63
	s_or_b64 exec, exec, s[26:27]
	s_and_saveexec_b64 s[24:25], s[22:23]
	s_cbranch_execnz .LBB726_268
.LBB726_253:
	s_or_b64 exec, exec, s[24:25]
	s_and_saveexec_b64 s[22:23], s[20:21]
	s_cbranch_execz .LBB726_269
.LBB726_254:
	v_sub_u32_e32 v4, v58, v1
	v_lshlrev_b32_e32 v4, 2, v4
	ds_write_b32 v4, v59
	s_or_b64 exec, exec, s[22:23]
	s_and_saveexec_b64 s[20:21], s[18:19]
	s_cbranch_execnz .LBB726_270
.LBB726_255:
	s_or_b64 exec, exec, s[20:21]
	s_and_saveexec_b64 s[18:19], s[16:17]
	s_cbranch_execz .LBB726_271
.LBB726_256:
	v_sub_u32_e32 v4, v54, v1
	v_lshlrev_b32_e32 v4, 2, v4
	ds_write_b32 v4, v55
	s_or_b64 exec, exec, s[18:19]
	s_and_saveexec_b64 s[16:17], s[14:15]
	s_cbranch_execnz .LBB726_272
.LBB726_257:
	s_or_b64 exec, exec, s[16:17]
	s_and_saveexec_b64 s[14:15], s[12:13]
	s_cbranch_execz .LBB726_273
.LBB726_258:
	v_sub_u32_e32 v4, v50, v1
	v_lshlrev_b32_e32 v4, 2, v4
	ds_write_b32 v4, v51
	s_or_b64 exec, exec, s[14:15]
	s_and_saveexec_b64 s[12:13], s[10:11]
	s_cbranch_execnz .LBB726_274
.LBB726_259:
	s_or_b64 exec, exec, s[12:13]
	s_and_saveexec_b64 s[10:11], s[8:9]
	s_cbranch_execz .LBB726_275
.LBB726_260:
	v_sub_u32_e32 v4, v44, v1
	v_lshlrev_b32_e32 v4, 2, v4
	ds_write_b32 v4, v45
	s_or_b64 exec, exec, s[10:11]
	s_and_saveexec_b64 s[8:9], s[6:7]
	s_cbranch_execnz .LBB726_276
.LBB726_261:
	s_or_b64 exec, exec, s[8:9]
	s_and_saveexec_b64 s[6:7], s[4:5]
	s_cbranch_execz .LBB726_277
.LBB726_262:
	v_sub_u32_e32 v4, v40, v1
	v_lshlrev_b32_e32 v4, 2, v4
	ds_write_b32 v4, v41
	s_or_b64 exec, exec, s[6:7]
	s_and_saveexec_b64 s[4:5], s[2:3]
	s_cbranch_execnz .LBB726_278
	s_branch .LBB726_279
.LBB726_263:
	s_andn2_saveexec_b64 s[0:1], s[34:35]
	s_cbranch_execz .LBB726_280
.LBB726_264:
	v_sub_u32_e32 v4, v66, v1
	v_lshlrev_b32_e32 v4, 2, v4
	ds_write_b32 v4, v67
	v_sub_u32_e32 v4, v64, v1
	v_lshlrev_b32_e32 v4, 2, v4
	ds_write_b32 v4, v65
	;; [unrolled: 3-line block ×13, first 2 shown]
	v_sub_u32_e32 v4, v38, v1
	v_lshlrev_b32_e32 v4, 2, v4
	s_or_b64 s[38:39], s[38:39], exec
	ds_write_b32 v4, v39
	s_or_b64 exec, exec, s[0:1]
	s_and_b64 exec, exec, s[38:39]
	s_cbranch_execnz .LBB726_281
	s_branch .LBB726_282
.LBB726_265:
	s_or_b64 exec, exec, s[38:39]
	s_and_saveexec_b64 s[28:29], s[26:27]
	s_cbranch_execz .LBB726_251
.LBB726_266:
	v_sub_u32_e32 v4, v64, v1
	v_lshlrev_b32_e32 v4, 2, v4
	ds_write_b32 v4, v65
	s_or_b64 exec, exec, s[28:29]
	s_and_saveexec_b64 s[26:27], s[24:25]
	s_cbranch_execnz .LBB726_252
.LBB726_267:
	s_or_b64 exec, exec, s[26:27]
	s_and_saveexec_b64 s[24:25], s[22:23]
	s_cbranch_execz .LBB726_253
.LBB726_268:
	v_sub_u32_e32 v4, v60, v1
	v_lshlrev_b32_e32 v4, 2, v4
	ds_write_b32 v4, v61
	s_or_b64 exec, exec, s[24:25]
	s_and_saveexec_b64 s[22:23], s[20:21]
	s_cbranch_execnz .LBB726_254
.LBB726_269:
	s_or_b64 exec, exec, s[22:23]
	s_and_saveexec_b64 s[20:21], s[18:19]
	s_cbranch_execz .LBB726_255
.LBB726_270:
	v_sub_u32_e32 v4, v56, v1
	v_lshlrev_b32_e32 v4, 2, v4
	ds_write_b32 v4, v57
	s_or_b64 exec, exec, s[20:21]
	s_and_saveexec_b64 s[18:19], s[16:17]
	s_cbranch_execnz .LBB726_256
.LBB726_271:
	s_or_b64 exec, exec, s[18:19]
	s_and_saveexec_b64 s[16:17], s[14:15]
	s_cbranch_execz .LBB726_257
.LBB726_272:
	v_sub_u32_e32 v4, v52, v1
	v_lshlrev_b32_e32 v4, 2, v4
	ds_write_b32 v4, v53
	s_or_b64 exec, exec, s[16:17]
	s_and_saveexec_b64 s[14:15], s[12:13]
	s_cbranch_execnz .LBB726_258
.LBB726_273:
	s_or_b64 exec, exec, s[14:15]
	s_and_saveexec_b64 s[12:13], s[10:11]
	s_cbranch_execz .LBB726_259
.LBB726_274:
	v_sub_u32_e32 v4, v48, v1
	v_lshlrev_b32_e32 v4, 2, v4
	ds_write_b32 v4, v49
	s_or_b64 exec, exec, s[12:13]
	s_and_saveexec_b64 s[10:11], s[8:9]
	s_cbranch_execnz .LBB726_260
.LBB726_275:
	s_or_b64 exec, exec, s[10:11]
	s_and_saveexec_b64 s[8:9], s[6:7]
	s_cbranch_execz .LBB726_261
.LBB726_276:
	v_sub_u32_e32 v4, v42, v1
	v_lshlrev_b32_e32 v4, 2, v4
	ds_write_b32 v4, v43
	s_or_b64 exec, exec, s[8:9]
	s_and_saveexec_b64 s[6:7], s[4:5]
	s_cbranch_execnz .LBB726_262
.LBB726_277:
	s_or_b64 exec, exec, s[6:7]
	s_and_saveexec_b64 s[4:5], s[2:3]
	s_cbranch_execz .LBB726_279
.LBB726_278:
	v_sub_u32_e32 v4, v38, v1
	v_lshlrev_b32_e32 v4, 2, v4
	ds_write_b32 v4, v39
.LBB726_279:
	s_or_b64 exec, exec, s[4:5]
	s_and_b64 s[38:39], s[0:1], exec
                                        ; implicit-def: $vgpr66_vgpr67
                                        ; implicit-def: $vgpr64_vgpr65
                                        ; implicit-def: $vgpr62_vgpr63
                                        ; implicit-def: $vgpr60_vgpr61
                                        ; implicit-def: $vgpr58_vgpr59
                                        ; implicit-def: $vgpr56_vgpr57
                                        ; implicit-def: $vgpr54_vgpr55
                                        ; implicit-def: $vgpr52_vgpr53
                                        ; implicit-def: $vgpr50_vgpr51
                                        ; implicit-def: $vgpr48_vgpr49
                                        ; implicit-def: $vgpr44_vgpr45
                                        ; implicit-def: $vgpr42_vgpr43
                                        ; implicit-def: $vgpr40_vgpr41
                                        ; implicit-def: $vgpr38_vgpr39
	s_andn2_saveexec_b64 s[0:1], s[34:35]
	s_cbranch_execnz .LBB726_264
.LBB726_280:
	s_or_b64 exec, exec, s[0:1]
	s_and_b64 exec, exec, s[38:39]
	s_cbranch_execz .LBB726_282
.LBB726_281:
	v_sub_u32_e32 v1, v36, v1
	v_lshlrev_b32_e32 v1, 2, v1
	ds_write_b32 v1, v37
.LBB726_282:
	s_or_b64 exec, exec, s[30:31]
	v_cmp_lt_u32_e32 vcc, v0, v6
	s_waitcnt lgkmcnt(0)
	s_barrier
	s_and_saveexec_b64 s[2:3], vcc
	s_cbranch_execz .LBB726_297
; %bb.283:
	v_add_u32_e32 v4, v30, v2
	v_xad_u32 v1, v0, -1, v4
	v_sub_u32_e32 v1, v1, v3
	s_movk_i32 s0, 0x1900
	v_cmp_gt_u32_e64 s[4:5], s0, v1
	s_movk_i32 s0, 0x18ff
	v_cmp_lt_u32_e32 vcc, s0, v1
	v_mov_b32_e32 v2, v0
	s_and_saveexec_b64 s[6:7], vcc
	s_cbranch_execz .LBB726_294
; %bb.284:
	v_sub_u32_e32 v2, v0, v4
	v_add_u32_e32 v2, v2, v3
	v_or_b32_e32 v2, 0xff, v2
	v_cmp_ge_u32_e32 vcc, v2, v0
	s_mov_b64 s[0:1], -1
	v_mov_b32_e32 v2, v0
	s_and_saveexec_b64 s[8:9], vcc
	s_cbranch_execz .LBB726_293
; %bb.285:
	v_lshrrev_b32_e32 v11, 8, v1
	v_add_u32_e32 v2, -1, v11
	v_or_b32_e32 v1, 0x100, v0
	v_lshrrev_b32_e32 v3, 1, v2
	v_add_u32_e32 v13, 1, v3
	v_cmp_lt_u32_e32 vcc, 13, v2
	v_mov_b32_e32 v16, 0
	v_lshlrev_b32_e32 v12, 2, v0
	v_pk_mov_b32 v[2:3], v[0:1], v[0:1] op_sel:[0,1]
	s_and_saveexec_b64 s[10:11], vcc
	s_cbranch_execz .LBB726_289
; %bb.286:
	v_and_b32_e32 v14, -8, v13
	s_mov_b32 s14, 0
	s_mov_b64 s[12:13], 0
	v_mov_b32_e32 v5, 0
	v_mov_b32_e32 v15, v12
	v_pk_mov_b32 v[2:3], v[0:1], v[0:1] op_sel:[0,1]
.LBB726_287:                            ; =>This Inner Loop Header: Depth=1
	v_mov_b32_e32 v4, v2
	v_add_u32_e32 v14, -8, v14
	v_lshlrev_b64 v[52:53], 2, v[4:5]
	v_mov_b32_e32 v4, v3
	ds_read2st64_b32 v[18:19], v15 offset1:4
	s_add_i32 s14, s14, 16
	v_cmp_eq_u32_e32 vcc, 0, v14
	v_lshlrev_b64 v[56:57], 2, v[4:5]
	v_add_u32_e32 v4, 0x200, v2
	s_or_b64 s[12:13], vcc, s[12:13]
	v_add_co_u32_e32 v56, vcc, v9, v56
	v_add_u32_e32 v16, 0x200, v3
	v_mov_b32_e32 v17, v5
	ds_read2st64_b32 v[20:21], v15 offset0:8 offset1:12
	ds_read2st64_b32 v[24:25], v15 offset0:16 offset1:20
	v_add_co_u32_e64 v52, s[0:1], v9, v52
	v_addc_co_u32_e32 v57, vcc, v10, v57, vcc
	v_lshlrev_b64 v[58:59], 2, v[4:5]
	v_lshlrev_b64 v[54:55], 2, v[16:17]
	v_addc_co_u32_e64 v53, s[0:1], v10, v53, s[0:1]
	v_add_u32_e32 v4, 0x400, v2
	v_add_co_u32_e32 v58, vcc, v9, v58
	v_add_u32_e32 v22, 0x400, v3
	v_mov_b32_e32 v23, v5
	ds_read2st64_b32 v[28:29], v15 offset0:24 offset1:28
	v_add_co_u32_e64 v54, s[0:1], v9, v54
	v_addc_co_u32_e32 v59, vcc, v10, v59, vcc
	v_lshlrev_b64 v[60:61], 2, v[4:5]
	ds_read2st64_b32 v[38:39], v15 offset0:32 offset1:36
	ds_read2st64_b32 v[42:43], v15 offset0:40 offset1:44
	;; [unrolled: 1-line block ×4, first 2 shown]
	v_lshlrev_b64 v[22:23], 2, v[22:23]
	v_addc_co_u32_e64 v55, s[0:1], v10, v55, s[0:1]
	v_add_u32_e32 v4, 0x600, v2
	s_waitcnt lgkmcnt(7)
	global_store_dword v[52:53], v18, off
	global_store_dword v[56:57], v19, off
	s_waitcnt lgkmcnt(6)
	global_store_dword v[58:59], v20, off
	global_store_dword v[54:55], v21, off
	v_add_co_u32_e32 v18, vcc, v9, v60
	v_add_u32_e32 v26, 0x600, v3
	v_mov_b32_e32 v27, v5
	v_add_co_u32_e64 v22, s[0:1], v9, v22
	v_addc_co_u32_e32 v19, vcc, v10, v61, vcc
	v_lshlrev_b64 v[20:21], 2, v[4:5]
	v_lshlrev_b64 v[26:27], 2, v[26:27]
	v_addc_co_u32_e64 v23, s[0:1], v10, v23, s[0:1]
	v_add_u32_e32 v4, 0x800, v2
	s_waitcnt lgkmcnt(5)
	global_store_dword v[18:19], v24, off
	global_store_dword v[22:23], v25, off
	v_add_co_u32_e32 v18, vcc, v9, v20
	v_add_u32_e32 v36, 0x800, v3
	v_mov_b32_e32 v37, v5
	v_add_co_u32_e64 v26, s[0:1], v9, v26
	v_addc_co_u32_e32 v19, vcc, v10, v21, vcc
	v_lshlrev_b64 v[20:21], 2, v[4:5]
	v_lshlrev_b64 v[36:37], 2, v[36:37]
	v_addc_co_u32_e64 v27, s[0:1], v10, v27, s[0:1]
	v_add_u32_e32 v4, 0xa00, v2
	;; [unrolled: 12-line block ×4, first 2 shown]
	s_waitcnt lgkmcnt(2)
	global_store_dword v[18:19], v42, off
	global_store_dword v[40:41], v43, off
	v_add_co_u32_e32 v18, vcc, v9, v20
	v_add_u32_e32 v48, 0xe00, v3
	v_mov_b32_e32 v49, v5
	v_add_co_u32_e64 v44, s[0:1], v9, v44
	v_addc_co_u32_e32 v19, vcc, v10, v21, vcc
	v_lshlrev_b64 v[20:21], 2, v[4:5]
	v_lshlrev_b64 v[48:49], 2, v[48:49]
	v_addc_co_u32_e64 v45, s[0:1], v10, v45, s[0:1]
	s_waitcnt lgkmcnt(1)
	global_store_dword v[18:19], v46, off
	global_store_dword v[44:45], v47, off
	v_add_co_u32_e32 v18, vcc, v9, v20
	v_add_u32_e32 v15, 0x4000, v15
	v_add_u32_e32 v3, 0x1000, v3
	v_mov_b32_e32 v16, s14
	v_add_co_u32_e64 v48, s[0:1], v9, v48
	v_add_u32_e32 v2, 0x1000, v2
	v_addc_co_u32_e32 v19, vcc, v10, v21, vcc
	v_addc_co_u32_e64 v49, s[0:1], v10, v49, s[0:1]
	s_waitcnt lgkmcnt(0)
	global_store_dword v[18:19], v50, off
	global_store_dword v[48:49], v51, off
	s_andn2_b64 exec, exec, s[12:13]
	s_cbranch_execnz .LBB726_287
; %bb.288:
	s_or_b64 exec, exec, s[12:13]
.LBB726_289:
	s_or_b64 exec, exec, s[10:11]
	v_and_b32_e32 v1, 7, v13
	v_cmp_ne_u32_e32 vcc, 0, v1
	s_and_saveexec_b64 s[10:11], vcc
	s_cbranch_execz .LBB726_292
; %bb.290:
	v_lshl_or_b32 v12, v16, 10, v12
	s_mov_b64 s[12:13], 0
	v_mov_b32_e32 v5, 0
.LBB726_291:                            ; =>This Inner Loop Header: Depth=1
	ds_read2st64_b32 v[14:15], v12 offset1:4
	v_mov_b32_e32 v4, v2
	v_add_u32_e32 v1, -1, v1
	v_lshlrev_b64 v[16:17], 2, v[4:5]
	v_mov_b32_e32 v4, v3
	v_cmp_eq_u32_e32 vcc, 0, v1
	v_add_co_u32_e64 v16, s[0:1], v9, v16
	v_lshlrev_b64 v[18:19], 2, v[4:5]
	v_add_u32_e32 v2, 0x200, v2
	v_add_u32_e32 v12, 0x800, v12
	;; [unrolled: 1-line block ×3, first 2 shown]
	v_addc_co_u32_e64 v17, s[0:1], v10, v17, s[0:1]
	s_or_b64 s[12:13], vcc, s[12:13]
	v_add_co_u32_e32 v18, vcc, v9, v18
	v_addc_co_u32_e32 v19, vcc, v10, v19, vcc
	s_waitcnt lgkmcnt(0)
	global_store_dword v[16:17], v14, off
	global_store_dword v[18:19], v15, off
	s_andn2_b64 exec, exec, s[12:13]
	s_cbranch_execnz .LBB726_291
.LBB726_292:
	s_or_b64 exec, exec, s[10:11]
	v_add_u32_e32 v1, 1, v11
	v_and_b32_e32 v3, 0x1fffffe, v1
	v_cmp_ne_u32_e32 vcc, v1, v3
	v_lshl_or_b32 v2, v3, 8, v0
	s_orn2_b64 s[0:1], vcc, exec
.LBB726_293:
	s_or_b64 exec, exec, s[8:9]
	s_andn2_b64 s[4:5], s[4:5], exec
	s_and_b64 s[0:1], s[0:1], exec
	s_or_b64 s[4:5], s[4:5], s[0:1]
.LBB726_294:
	s_or_b64 exec, exec, s[6:7]
	s_and_b64 exec, exec, s[4:5]
	s_cbranch_execz .LBB726_297
; %bb.295:
	v_lshlrev_b32_e32 v1, 2, v2
	s_mov_b64 s[0:1], 0
	v_mov_b32_e32 v3, 0
.LBB726_296:                            ; =>This Inner Loop Header: Depth=1
	v_lshlrev_b64 v[4:5], 2, v[2:3]
	ds_read_b32 v11, v1
	v_add_co_u32_e32 v4, vcc, v9, v4
	v_add_u32_e32 v2, 0x100, v2
	v_addc_co_u32_e32 v5, vcc, v10, v5, vcc
	v_cmp_ge_u32_e32 vcc, v2, v6
	v_add_u32_e32 v1, 0x400, v1
	s_or_b64 s[0:1], vcc, s[0:1]
	s_waitcnt lgkmcnt(0)
	global_store_dword v[4:5], v11, off
	s_andn2_b64 exec, exec, s[0:1]
	s_cbranch_execnz .LBB726_296
.LBB726_297:
	s_or_b64 exec, exec, s[2:3]
.LBB726_298:
	s_movk_i32 s0, 0xff
	v_cmp_eq_u32_e32 vcc, s0, v0
	s_and_b64 s[0:1], vcc, s[36:37]
	s_and_saveexec_b64 s[2:3], s[0:1]
	s_cbranch_execz .LBB726_301
; %bb.299:
	v_add_co_u32_e32 v0, vcc, v30, v32
	v_addc_co_u32_e64 v1, s[0:1], 0, 0, vcc
	v_add_co_u32_e32 v0, vcc, v0, v34
	v_mov_b32_e32 v31, 0
	v_addc_co_u32_e32 v1, vcc, v1, v35, vcc
	s_cmpk_lg_i32 s33, 0xf00
	global_store_dwordx2 v31, v[0:1], s[54:55]
	s_cbranch_scc1 .LBB726_301
; %bb.300:
	v_lshlrev_b64 v[0:1], 2, v[30:31]
	v_add_co_u32_e32 v0, vcc, v7, v0
	v_addc_co_u32_e32 v1, vcc, v8, v1, vcc
	global_store_dword v[0:1], v68, off offset:-4
.LBB726_301:
	s_endpgm
	.section	.rodata,"a",@progbits
	.p2align	6, 0x0
	.amdhsa_kernel _ZN7rocprim17ROCPRIM_400000_NS6detail17trampoline_kernelINS0_14default_configENS1_29reduce_by_key_config_selectorIyjN6thrust23THRUST_200600_302600_NS4plusIjEEEEZZNS1_33reduce_by_key_impl_wrapped_configILNS1_25lookback_scan_determinismE0ES3_S9_NS6_6detail15normal_iteratorINS6_10device_ptrIyEEEENSD_INSE_IjEEEESG_SI_PmS8_NS6_8equal_toIyEEEE10hipError_tPvRmT2_T3_mT4_T5_T6_T7_T8_P12ihipStream_tbENKUlT_T0_E_clISt17integral_constantIbLb0EES12_IbLb1EEEEDaSY_SZ_EUlSY_E_NS1_11comp_targetILNS1_3genE4ELNS1_11target_archE910ELNS1_3gpuE8ELNS1_3repE0EEENS1_30default_config_static_selectorELNS0_4arch9wavefront6targetE1EEEvT1_
		.amdhsa_group_segment_fixed_size 30720
		.amdhsa_private_segment_fixed_size 0
		.amdhsa_kernarg_size 120
		.amdhsa_user_sgpr_count 6
		.amdhsa_user_sgpr_private_segment_buffer 1
		.amdhsa_user_sgpr_dispatch_ptr 0
		.amdhsa_user_sgpr_queue_ptr 0
		.amdhsa_user_sgpr_kernarg_segment_ptr 1
		.amdhsa_user_sgpr_dispatch_id 0
		.amdhsa_user_sgpr_flat_scratch_init 0
		.amdhsa_user_sgpr_kernarg_preload_length 0
		.amdhsa_user_sgpr_kernarg_preload_offset 0
		.amdhsa_user_sgpr_private_segment_size 0
		.amdhsa_uses_dynamic_stack 0
		.amdhsa_system_sgpr_private_segment_wavefront_offset 0
		.amdhsa_system_sgpr_workgroup_id_x 1
		.amdhsa_system_sgpr_workgroup_id_y 0
		.amdhsa_system_sgpr_workgroup_id_z 0
		.amdhsa_system_sgpr_workgroup_info 0
		.amdhsa_system_vgpr_workitem_id 0
		.amdhsa_next_free_vgpr 102
		.amdhsa_next_free_sgpr 66
		.amdhsa_accum_offset 104
		.amdhsa_reserve_vcc 1
		.amdhsa_reserve_flat_scratch 0
		.amdhsa_float_round_mode_32 0
		.amdhsa_float_round_mode_16_64 0
		.amdhsa_float_denorm_mode_32 3
		.amdhsa_float_denorm_mode_16_64 3
		.amdhsa_dx10_clamp 1
		.amdhsa_ieee_mode 1
		.amdhsa_fp16_overflow 0
		.amdhsa_tg_split 0
		.amdhsa_exception_fp_ieee_invalid_op 0
		.amdhsa_exception_fp_denorm_src 0
		.amdhsa_exception_fp_ieee_div_zero 0
		.amdhsa_exception_fp_ieee_overflow 0
		.amdhsa_exception_fp_ieee_underflow 0
		.amdhsa_exception_fp_ieee_inexact 0
		.amdhsa_exception_int_div_zero 0
	.end_amdhsa_kernel
	.section	.text._ZN7rocprim17ROCPRIM_400000_NS6detail17trampoline_kernelINS0_14default_configENS1_29reduce_by_key_config_selectorIyjN6thrust23THRUST_200600_302600_NS4plusIjEEEEZZNS1_33reduce_by_key_impl_wrapped_configILNS1_25lookback_scan_determinismE0ES3_S9_NS6_6detail15normal_iteratorINS6_10device_ptrIyEEEENSD_INSE_IjEEEESG_SI_PmS8_NS6_8equal_toIyEEEE10hipError_tPvRmT2_T3_mT4_T5_T6_T7_T8_P12ihipStream_tbENKUlT_T0_E_clISt17integral_constantIbLb0EES12_IbLb1EEEEDaSY_SZ_EUlSY_E_NS1_11comp_targetILNS1_3genE4ELNS1_11target_archE910ELNS1_3gpuE8ELNS1_3repE0EEENS1_30default_config_static_selectorELNS0_4arch9wavefront6targetE1EEEvT1_,"axG",@progbits,_ZN7rocprim17ROCPRIM_400000_NS6detail17trampoline_kernelINS0_14default_configENS1_29reduce_by_key_config_selectorIyjN6thrust23THRUST_200600_302600_NS4plusIjEEEEZZNS1_33reduce_by_key_impl_wrapped_configILNS1_25lookback_scan_determinismE0ES3_S9_NS6_6detail15normal_iteratorINS6_10device_ptrIyEEEENSD_INSE_IjEEEESG_SI_PmS8_NS6_8equal_toIyEEEE10hipError_tPvRmT2_T3_mT4_T5_T6_T7_T8_P12ihipStream_tbENKUlT_T0_E_clISt17integral_constantIbLb0EES12_IbLb1EEEEDaSY_SZ_EUlSY_E_NS1_11comp_targetILNS1_3genE4ELNS1_11target_archE910ELNS1_3gpuE8ELNS1_3repE0EEENS1_30default_config_static_selectorELNS0_4arch9wavefront6targetE1EEEvT1_,comdat
.Lfunc_end726:
	.size	_ZN7rocprim17ROCPRIM_400000_NS6detail17trampoline_kernelINS0_14default_configENS1_29reduce_by_key_config_selectorIyjN6thrust23THRUST_200600_302600_NS4plusIjEEEEZZNS1_33reduce_by_key_impl_wrapped_configILNS1_25lookback_scan_determinismE0ES3_S9_NS6_6detail15normal_iteratorINS6_10device_ptrIyEEEENSD_INSE_IjEEEESG_SI_PmS8_NS6_8equal_toIyEEEE10hipError_tPvRmT2_T3_mT4_T5_T6_T7_T8_P12ihipStream_tbENKUlT_T0_E_clISt17integral_constantIbLb0EES12_IbLb1EEEEDaSY_SZ_EUlSY_E_NS1_11comp_targetILNS1_3genE4ELNS1_11target_archE910ELNS1_3gpuE8ELNS1_3repE0EEENS1_30default_config_static_selectorELNS0_4arch9wavefront6targetE1EEEvT1_, .Lfunc_end726-_ZN7rocprim17ROCPRIM_400000_NS6detail17trampoline_kernelINS0_14default_configENS1_29reduce_by_key_config_selectorIyjN6thrust23THRUST_200600_302600_NS4plusIjEEEEZZNS1_33reduce_by_key_impl_wrapped_configILNS1_25lookback_scan_determinismE0ES3_S9_NS6_6detail15normal_iteratorINS6_10device_ptrIyEEEENSD_INSE_IjEEEESG_SI_PmS8_NS6_8equal_toIyEEEE10hipError_tPvRmT2_T3_mT4_T5_T6_T7_T8_P12ihipStream_tbENKUlT_T0_E_clISt17integral_constantIbLb0EES12_IbLb1EEEEDaSY_SZ_EUlSY_E_NS1_11comp_targetILNS1_3genE4ELNS1_11target_archE910ELNS1_3gpuE8ELNS1_3repE0EEENS1_30default_config_static_selectorELNS0_4arch9wavefront6targetE1EEEvT1_
                                        ; -- End function
	.section	.AMDGPU.csdata,"",@progbits
; Kernel info:
; codeLenInByte = 16520
; NumSgprs: 70
; NumVgprs: 102
; NumAgprs: 0
; TotalNumVgprs: 102
; ScratchSize: 0
; MemoryBound: 0
; FloatMode: 240
; IeeeMode: 1
; LDSByteSize: 30720 bytes/workgroup (compile time only)
; SGPRBlocks: 8
; VGPRBlocks: 12
; NumSGPRsForWavesPerEU: 70
; NumVGPRsForWavesPerEU: 102
; AccumOffset: 104
; Occupancy: 2
; WaveLimiterHint : 1
; COMPUTE_PGM_RSRC2:SCRATCH_EN: 0
; COMPUTE_PGM_RSRC2:USER_SGPR: 6
; COMPUTE_PGM_RSRC2:TRAP_HANDLER: 0
; COMPUTE_PGM_RSRC2:TGID_X_EN: 1
; COMPUTE_PGM_RSRC2:TGID_Y_EN: 0
; COMPUTE_PGM_RSRC2:TGID_Z_EN: 0
; COMPUTE_PGM_RSRC2:TIDIG_COMP_CNT: 0
; COMPUTE_PGM_RSRC3_GFX90A:ACCUM_OFFSET: 25
; COMPUTE_PGM_RSRC3_GFX90A:TG_SPLIT: 0
	.section	.text._ZN7rocprim17ROCPRIM_400000_NS6detail17trampoline_kernelINS0_14default_configENS1_29reduce_by_key_config_selectorIyjN6thrust23THRUST_200600_302600_NS4plusIjEEEEZZNS1_33reduce_by_key_impl_wrapped_configILNS1_25lookback_scan_determinismE0ES3_S9_NS6_6detail15normal_iteratorINS6_10device_ptrIyEEEENSD_INSE_IjEEEESG_SI_PmS8_NS6_8equal_toIyEEEE10hipError_tPvRmT2_T3_mT4_T5_T6_T7_T8_P12ihipStream_tbENKUlT_T0_E_clISt17integral_constantIbLb0EES12_IbLb1EEEEDaSY_SZ_EUlSY_E_NS1_11comp_targetILNS1_3genE3ELNS1_11target_archE908ELNS1_3gpuE7ELNS1_3repE0EEENS1_30default_config_static_selectorELNS0_4arch9wavefront6targetE1EEEvT1_,"axG",@progbits,_ZN7rocprim17ROCPRIM_400000_NS6detail17trampoline_kernelINS0_14default_configENS1_29reduce_by_key_config_selectorIyjN6thrust23THRUST_200600_302600_NS4plusIjEEEEZZNS1_33reduce_by_key_impl_wrapped_configILNS1_25lookback_scan_determinismE0ES3_S9_NS6_6detail15normal_iteratorINS6_10device_ptrIyEEEENSD_INSE_IjEEEESG_SI_PmS8_NS6_8equal_toIyEEEE10hipError_tPvRmT2_T3_mT4_T5_T6_T7_T8_P12ihipStream_tbENKUlT_T0_E_clISt17integral_constantIbLb0EES12_IbLb1EEEEDaSY_SZ_EUlSY_E_NS1_11comp_targetILNS1_3genE3ELNS1_11target_archE908ELNS1_3gpuE7ELNS1_3repE0EEENS1_30default_config_static_selectorELNS0_4arch9wavefront6targetE1EEEvT1_,comdat
	.protected	_ZN7rocprim17ROCPRIM_400000_NS6detail17trampoline_kernelINS0_14default_configENS1_29reduce_by_key_config_selectorIyjN6thrust23THRUST_200600_302600_NS4plusIjEEEEZZNS1_33reduce_by_key_impl_wrapped_configILNS1_25lookback_scan_determinismE0ES3_S9_NS6_6detail15normal_iteratorINS6_10device_ptrIyEEEENSD_INSE_IjEEEESG_SI_PmS8_NS6_8equal_toIyEEEE10hipError_tPvRmT2_T3_mT4_T5_T6_T7_T8_P12ihipStream_tbENKUlT_T0_E_clISt17integral_constantIbLb0EES12_IbLb1EEEEDaSY_SZ_EUlSY_E_NS1_11comp_targetILNS1_3genE3ELNS1_11target_archE908ELNS1_3gpuE7ELNS1_3repE0EEENS1_30default_config_static_selectorELNS0_4arch9wavefront6targetE1EEEvT1_ ; -- Begin function _ZN7rocprim17ROCPRIM_400000_NS6detail17trampoline_kernelINS0_14default_configENS1_29reduce_by_key_config_selectorIyjN6thrust23THRUST_200600_302600_NS4plusIjEEEEZZNS1_33reduce_by_key_impl_wrapped_configILNS1_25lookback_scan_determinismE0ES3_S9_NS6_6detail15normal_iteratorINS6_10device_ptrIyEEEENSD_INSE_IjEEEESG_SI_PmS8_NS6_8equal_toIyEEEE10hipError_tPvRmT2_T3_mT4_T5_T6_T7_T8_P12ihipStream_tbENKUlT_T0_E_clISt17integral_constantIbLb0EES12_IbLb1EEEEDaSY_SZ_EUlSY_E_NS1_11comp_targetILNS1_3genE3ELNS1_11target_archE908ELNS1_3gpuE7ELNS1_3repE0EEENS1_30default_config_static_selectorELNS0_4arch9wavefront6targetE1EEEvT1_
	.globl	_ZN7rocprim17ROCPRIM_400000_NS6detail17trampoline_kernelINS0_14default_configENS1_29reduce_by_key_config_selectorIyjN6thrust23THRUST_200600_302600_NS4plusIjEEEEZZNS1_33reduce_by_key_impl_wrapped_configILNS1_25lookback_scan_determinismE0ES3_S9_NS6_6detail15normal_iteratorINS6_10device_ptrIyEEEENSD_INSE_IjEEEESG_SI_PmS8_NS6_8equal_toIyEEEE10hipError_tPvRmT2_T3_mT4_T5_T6_T7_T8_P12ihipStream_tbENKUlT_T0_E_clISt17integral_constantIbLb0EES12_IbLb1EEEEDaSY_SZ_EUlSY_E_NS1_11comp_targetILNS1_3genE3ELNS1_11target_archE908ELNS1_3gpuE7ELNS1_3repE0EEENS1_30default_config_static_selectorELNS0_4arch9wavefront6targetE1EEEvT1_
	.p2align	8
	.type	_ZN7rocprim17ROCPRIM_400000_NS6detail17trampoline_kernelINS0_14default_configENS1_29reduce_by_key_config_selectorIyjN6thrust23THRUST_200600_302600_NS4plusIjEEEEZZNS1_33reduce_by_key_impl_wrapped_configILNS1_25lookback_scan_determinismE0ES3_S9_NS6_6detail15normal_iteratorINS6_10device_ptrIyEEEENSD_INSE_IjEEEESG_SI_PmS8_NS6_8equal_toIyEEEE10hipError_tPvRmT2_T3_mT4_T5_T6_T7_T8_P12ihipStream_tbENKUlT_T0_E_clISt17integral_constantIbLb0EES12_IbLb1EEEEDaSY_SZ_EUlSY_E_NS1_11comp_targetILNS1_3genE3ELNS1_11target_archE908ELNS1_3gpuE7ELNS1_3repE0EEENS1_30default_config_static_selectorELNS0_4arch9wavefront6targetE1EEEvT1_,@function
_ZN7rocprim17ROCPRIM_400000_NS6detail17trampoline_kernelINS0_14default_configENS1_29reduce_by_key_config_selectorIyjN6thrust23THRUST_200600_302600_NS4plusIjEEEEZZNS1_33reduce_by_key_impl_wrapped_configILNS1_25lookback_scan_determinismE0ES3_S9_NS6_6detail15normal_iteratorINS6_10device_ptrIyEEEENSD_INSE_IjEEEESG_SI_PmS8_NS6_8equal_toIyEEEE10hipError_tPvRmT2_T3_mT4_T5_T6_T7_T8_P12ihipStream_tbENKUlT_T0_E_clISt17integral_constantIbLb0EES12_IbLb1EEEEDaSY_SZ_EUlSY_E_NS1_11comp_targetILNS1_3genE3ELNS1_11target_archE908ELNS1_3gpuE7ELNS1_3repE0EEENS1_30default_config_static_selectorELNS0_4arch9wavefront6targetE1EEEvT1_: ; @_ZN7rocprim17ROCPRIM_400000_NS6detail17trampoline_kernelINS0_14default_configENS1_29reduce_by_key_config_selectorIyjN6thrust23THRUST_200600_302600_NS4plusIjEEEEZZNS1_33reduce_by_key_impl_wrapped_configILNS1_25lookback_scan_determinismE0ES3_S9_NS6_6detail15normal_iteratorINS6_10device_ptrIyEEEENSD_INSE_IjEEEESG_SI_PmS8_NS6_8equal_toIyEEEE10hipError_tPvRmT2_T3_mT4_T5_T6_T7_T8_P12ihipStream_tbENKUlT_T0_E_clISt17integral_constantIbLb0EES12_IbLb1EEEEDaSY_SZ_EUlSY_E_NS1_11comp_targetILNS1_3genE3ELNS1_11target_archE908ELNS1_3gpuE7ELNS1_3repE0EEENS1_30default_config_static_selectorELNS0_4arch9wavefront6targetE1EEEvT1_
; %bb.0:
	.section	.rodata,"a",@progbits
	.p2align	6, 0x0
	.amdhsa_kernel _ZN7rocprim17ROCPRIM_400000_NS6detail17trampoline_kernelINS0_14default_configENS1_29reduce_by_key_config_selectorIyjN6thrust23THRUST_200600_302600_NS4plusIjEEEEZZNS1_33reduce_by_key_impl_wrapped_configILNS1_25lookback_scan_determinismE0ES3_S9_NS6_6detail15normal_iteratorINS6_10device_ptrIyEEEENSD_INSE_IjEEEESG_SI_PmS8_NS6_8equal_toIyEEEE10hipError_tPvRmT2_T3_mT4_T5_T6_T7_T8_P12ihipStream_tbENKUlT_T0_E_clISt17integral_constantIbLb0EES12_IbLb1EEEEDaSY_SZ_EUlSY_E_NS1_11comp_targetILNS1_3genE3ELNS1_11target_archE908ELNS1_3gpuE7ELNS1_3repE0EEENS1_30default_config_static_selectorELNS0_4arch9wavefront6targetE1EEEvT1_
		.amdhsa_group_segment_fixed_size 0
		.amdhsa_private_segment_fixed_size 0
		.amdhsa_kernarg_size 120
		.amdhsa_user_sgpr_count 6
		.amdhsa_user_sgpr_private_segment_buffer 1
		.amdhsa_user_sgpr_dispatch_ptr 0
		.amdhsa_user_sgpr_queue_ptr 0
		.amdhsa_user_sgpr_kernarg_segment_ptr 1
		.amdhsa_user_sgpr_dispatch_id 0
		.amdhsa_user_sgpr_flat_scratch_init 0
		.amdhsa_user_sgpr_kernarg_preload_length 0
		.amdhsa_user_sgpr_kernarg_preload_offset 0
		.amdhsa_user_sgpr_private_segment_size 0
		.amdhsa_uses_dynamic_stack 0
		.amdhsa_system_sgpr_private_segment_wavefront_offset 0
		.amdhsa_system_sgpr_workgroup_id_x 1
		.amdhsa_system_sgpr_workgroup_id_y 0
		.amdhsa_system_sgpr_workgroup_id_z 0
		.amdhsa_system_sgpr_workgroup_info 0
		.amdhsa_system_vgpr_workitem_id 0
		.amdhsa_next_free_vgpr 1
		.amdhsa_next_free_sgpr 0
		.amdhsa_accum_offset 4
		.amdhsa_reserve_vcc 0
		.amdhsa_reserve_flat_scratch 0
		.amdhsa_float_round_mode_32 0
		.amdhsa_float_round_mode_16_64 0
		.amdhsa_float_denorm_mode_32 3
		.amdhsa_float_denorm_mode_16_64 3
		.amdhsa_dx10_clamp 1
		.amdhsa_ieee_mode 1
		.amdhsa_fp16_overflow 0
		.amdhsa_tg_split 0
		.amdhsa_exception_fp_ieee_invalid_op 0
		.amdhsa_exception_fp_denorm_src 0
		.amdhsa_exception_fp_ieee_div_zero 0
		.amdhsa_exception_fp_ieee_overflow 0
		.amdhsa_exception_fp_ieee_underflow 0
		.amdhsa_exception_fp_ieee_inexact 0
		.amdhsa_exception_int_div_zero 0
	.end_amdhsa_kernel
	.section	.text._ZN7rocprim17ROCPRIM_400000_NS6detail17trampoline_kernelINS0_14default_configENS1_29reduce_by_key_config_selectorIyjN6thrust23THRUST_200600_302600_NS4plusIjEEEEZZNS1_33reduce_by_key_impl_wrapped_configILNS1_25lookback_scan_determinismE0ES3_S9_NS6_6detail15normal_iteratorINS6_10device_ptrIyEEEENSD_INSE_IjEEEESG_SI_PmS8_NS6_8equal_toIyEEEE10hipError_tPvRmT2_T3_mT4_T5_T6_T7_T8_P12ihipStream_tbENKUlT_T0_E_clISt17integral_constantIbLb0EES12_IbLb1EEEEDaSY_SZ_EUlSY_E_NS1_11comp_targetILNS1_3genE3ELNS1_11target_archE908ELNS1_3gpuE7ELNS1_3repE0EEENS1_30default_config_static_selectorELNS0_4arch9wavefront6targetE1EEEvT1_,"axG",@progbits,_ZN7rocprim17ROCPRIM_400000_NS6detail17trampoline_kernelINS0_14default_configENS1_29reduce_by_key_config_selectorIyjN6thrust23THRUST_200600_302600_NS4plusIjEEEEZZNS1_33reduce_by_key_impl_wrapped_configILNS1_25lookback_scan_determinismE0ES3_S9_NS6_6detail15normal_iteratorINS6_10device_ptrIyEEEENSD_INSE_IjEEEESG_SI_PmS8_NS6_8equal_toIyEEEE10hipError_tPvRmT2_T3_mT4_T5_T6_T7_T8_P12ihipStream_tbENKUlT_T0_E_clISt17integral_constantIbLb0EES12_IbLb1EEEEDaSY_SZ_EUlSY_E_NS1_11comp_targetILNS1_3genE3ELNS1_11target_archE908ELNS1_3gpuE7ELNS1_3repE0EEENS1_30default_config_static_selectorELNS0_4arch9wavefront6targetE1EEEvT1_,comdat
.Lfunc_end727:
	.size	_ZN7rocprim17ROCPRIM_400000_NS6detail17trampoline_kernelINS0_14default_configENS1_29reduce_by_key_config_selectorIyjN6thrust23THRUST_200600_302600_NS4plusIjEEEEZZNS1_33reduce_by_key_impl_wrapped_configILNS1_25lookback_scan_determinismE0ES3_S9_NS6_6detail15normal_iteratorINS6_10device_ptrIyEEEENSD_INSE_IjEEEESG_SI_PmS8_NS6_8equal_toIyEEEE10hipError_tPvRmT2_T3_mT4_T5_T6_T7_T8_P12ihipStream_tbENKUlT_T0_E_clISt17integral_constantIbLb0EES12_IbLb1EEEEDaSY_SZ_EUlSY_E_NS1_11comp_targetILNS1_3genE3ELNS1_11target_archE908ELNS1_3gpuE7ELNS1_3repE0EEENS1_30default_config_static_selectorELNS0_4arch9wavefront6targetE1EEEvT1_, .Lfunc_end727-_ZN7rocprim17ROCPRIM_400000_NS6detail17trampoline_kernelINS0_14default_configENS1_29reduce_by_key_config_selectorIyjN6thrust23THRUST_200600_302600_NS4plusIjEEEEZZNS1_33reduce_by_key_impl_wrapped_configILNS1_25lookback_scan_determinismE0ES3_S9_NS6_6detail15normal_iteratorINS6_10device_ptrIyEEEENSD_INSE_IjEEEESG_SI_PmS8_NS6_8equal_toIyEEEE10hipError_tPvRmT2_T3_mT4_T5_T6_T7_T8_P12ihipStream_tbENKUlT_T0_E_clISt17integral_constantIbLb0EES12_IbLb1EEEEDaSY_SZ_EUlSY_E_NS1_11comp_targetILNS1_3genE3ELNS1_11target_archE908ELNS1_3gpuE7ELNS1_3repE0EEENS1_30default_config_static_selectorELNS0_4arch9wavefront6targetE1EEEvT1_
                                        ; -- End function
	.section	.AMDGPU.csdata,"",@progbits
; Kernel info:
; codeLenInByte = 0
; NumSgprs: 4
; NumVgprs: 0
; NumAgprs: 0
; TotalNumVgprs: 0
; ScratchSize: 0
; MemoryBound: 0
; FloatMode: 240
; IeeeMode: 1
; LDSByteSize: 0 bytes/workgroup (compile time only)
; SGPRBlocks: 0
; VGPRBlocks: 0
; NumSGPRsForWavesPerEU: 4
; NumVGPRsForWavesPerEU: 1
; AccumOffset: 4
; Occupancy: 8
; WaveLimiterHint : 0
; COMPUTE_PGM_RSRC2:SCRATCH_EN: 0
; COMPUTE_PGM_RSRC2:USER_SGPR: 6
; COMPUTE_PGM_RSRC2:TRAP_HANDLER: 0
; COMPUTE_PGM_RSRC2:TGID_X_EN: 1
; COMPUTE_PGM_RSRC2:TGID_Y_EN: 0
; COMPUTE_PGM_RSRC2:TGID_Z_EN: 0
; COMPUTE_PGM_RSRC2:TIDIG_COMP_CNT: 0
; COMPUTE_PGM_RSRC3_GFX90A:ACCUM_OFFSET: 0
; COMPUTE_PGM_RSRC3_GFX90A:TG_SPLIT: 0
	.section	.text._ZN7rocprim17ROCPRIM_400000_NS6detail17trampoline_kernelINS0_14default_configENS1_29reduce_by_key_config_selectorIyjN6thrust23THRUST_200600_302600_NS4plusIjEEEEZZNS1_33reduce_by_key_impl_wrapped_configILNS1_25lookback_scan_determinismE0ES3_S9_NS6_6detail15normal_iteratorINS6_10device_ptrIyEEEENSD_INSE_IjEEEESG_SI_PmS8_NS6_8equal_toIyEEEE10hipError_tPvRmT2_T3_mT4_T5_T6_T7_T8_P12ihipStream_tbENKUlT_T0_E_clISt17integral_constantIbLb0EES12_IbLb1EEEEDaSY_SZ_EUlSY_E_NS1_11comp_targetILNS1_3genE2ELNS1_11target_archE906ELNS1_3gpuE6ELNS1_3repE0EEENS1_30default_config_static_selectorELNS0_4arch9wavefront6targetE1EEEvT1_,"axG",@progbits,_ZN7rocprim17ROCPRIM_400000_NS6detail17trampoline_kernelINS0_14default_configENS1_29reduce_by_key_config_selectorIyjN6thrust23THRUST_200600_302600_NS4plusIjEEEEZZNS1_33reduce_by_key_impl_wrapped_configILNS1_25lookback_scan_determinismE0ES3_S9_NS6_6detail15normal_iteratorINS6_10device_ptrIyEEEENSD_INSE_IjEEEESG_SI_PmS8_NS6_8equal_toIyEEEE10hipError_tPvRmT2_T3_mT4_T5_T6_T7_T8_P12ihipStream_tbENKUlT_T0_E_clISt17integral_constantIbLb0EES12_IbLb1EEEEDaSY_SZ_EUlSY_E_NS1_11comp_targetILNS1_3genE2ELNS1_11target_archE906ELNS1_3gpuE6ELNS1_3repE0EEENS1_30default_config_static_selectorELNS0_4arch9wavefront6targetE1EEEvT1_,comdat
	.protected	_ZN7rocprim17ROCPRIM_400000_NS6detail17trampoline_kernelINS0_14default_configENS1_29reduce_by_key_config_selectorIyjN6thrust23THRUST_200600_302600_NS4plusIjEEEEZZNS1_33reduce_by_key_impl_wrapped_configILNS1_25lookback_scan_determinismE0ES3_S9_NS6_6detail15normal_iteratorINS6_10device_ptrIyEEEENSD_INSE_IjEEEESG_SI_PmS8_NS6_8equal_toIyEEEE10hipError_tPvRmT2_T3_mT4_T5_T6_T7_T8_P12ihipStream_tbENKUlT_T0_E_clISt17integral_constantIbLb0EES12_IbLb1EEEEDaSY_SZ_EUlSY_E_NS1_11comp_targetILNS1_3genE2ELNS1_11target_archE906ELNS1_3gpuE6ELNS1_3repE0EEENS1_30default_config_static_selectorELNS0_4arch9wavefront6targetE1EEEvT1_ ; -- Begin function _ZN7rocprim17ROCPRIM_400000_NS6detail17trampoline_kernelINS0_14default_configENS1_29reduce_by_key_config_selectorIyjN6thrust23THRUST_200600_302600_NS4plusIjEEEEZZNS1_33reduce_by_key_impl_wrapped_configILNS1_25lookback_scan_determinismE0ES3_S9_NS6_6detail15normal_iteratorINS6_10device_ptrIyEEEENSD_INSE_IjEEEESG_SI_PmS8_NS6_8equal_toIyEEEE10hipError_tPvRmT2_T3_mT4_T5_T6_T7_T8_P12ihipStream_tbENKUlT_T0_E_clISt17integral_constantIbLb0EES12_IbLb1EEEEDaSY_SZ_EUlSY_E_NS1_11comp_targetILNS1_3genE2ELNS1_11target_archE906ELNS1_3gpuE6ELNS1_3repE0EEENS1_30default_config_static_selectorELNS0_4arch9wavefront6targetE1EEEvT1_
	.globl	_ZN7rocprim17ROCPRIM_400000_NS6detail17trampoline_kernelINS0_14default_configENS1_29reduce_by_key_config_selectorIyjN6thrust23THRUST_200600_302600_NS4plusIjEEEEZZNS1_33reduce_by_key_impl_wrapped_configILNS1_25lookback_scan_determinismE0ES3_S9_NS6_6detail15normal_iteratorINS6_10device_ptrIyEEEENSD_INSE_IjEEEESG_SI_PmS8_NS6_8equal_toIyEEEE10hipError_tPvRmT2_T3_mT4_T5_T6_T7_T8_P12ihipStream_tbENKUlT_T0_E_clISt17integral_constantIbLb0EES12_IbLb1EEEEDaSY_SZ_EUlSY_E_NS1_11comp_targetILNS1_3genE2ELNS1_11target_archE906ELNS1_3gpuE6ELNS1_3repE0EEENS1_30default_config_static_selectorELNS0_4arch9wavefront6targetE1EEEvT1_
	.p2align	8
	.type	_ZN7rocprim17ROCPRIM_400000_NS6detail17trampoline_kernelINS0_14default_configENS1_29reduce_by_key_config_selectorIyjN6thrust23THRUST_200600_302600_NS4plusIjEEEEZZNS1_33reduce_by_key_impl_wrapped_configILNS1_25lookback_scan_determinismE0ES3_S9_NS6_6detail15normal_iteratorINS6_10device_ptrIyEEEENSD_INSE_IjEEEESG_SI_PmS8_NS6_8equal_toIyEEEE10hipError_tPvRmT2_T3_mT4_T5_T6_T7_T8_P12ihipStream_tbENKUlT_T0_E_clISt17integral_constantIbLb0EES12_IbLb1EEEEDaSY_SZ_EUlSY_E_NS1_11comp_targetILNS1_3genE2ELNS1_11target_archE906ELNS1_3gpuE6ELNS1_3repE0EEENS1_30default_config_static_selectorELNS0_4arch9wavefront6targetE1EEEvT1_,@function
_ZN7rocprim17ROCPRIM_400000_NS6detail17trampoline_kernelINS0_14default_configENS1_29reduce_by_key_config_selectorIyjN6thrust23THRUST_200600_302600_NS4plusIjEEEEZZNS1_33reduce_by_key_impl_wrapped_configILNS1_25lookback_scan_determinismE0ES3_S9_NS6_6detail15normal_iteratorINS6_10device_ptrIyEEEENSD_INSE_IjEEEESG_SI_PmS8_NS6_8equal_toIyEEEE10hipError_tPvRmT2_T3_mT4_T5_T6_T7_T8_P12ihipStream_tbENKUlT_T0_E_clISt17integral_constantIbLb0EES12_IbLb1EEEEDaSY_SZ_EUlSY_E_NS1_11comp_targetILNS1_3genE2ELNS1_11target_archE906ELNS1_3gpuE6ELNS1_3repE0EEENS1_30default_config_static_selectorELNS0_4arch9wavefront6targetE1EEEvT1_: ; @_ZN7rocprim17ROCPRIM_400000_NS6detail17trampoline_kernelINS0_14default_configENS1_29reduce_by_key_config_selectorIyjN6thrust23THRUST_200600_302600_NS4plusIjEEEEZZNS1_33reduce_by_key_impl_wrapped_configILNS1_25lookback_scan_determinismE0ES3_S9_NS6_6detail15normal_iteratorINS6_10device_ptrIyEEEENSD_INSE_IjEEEESG_SI_PmS8_NS6_8equal_toIyEEEE10hipError_tPvRmT2_T3_mT4_T5_T6_T7_T8_P12ihipStream_tbENKUlT_T0_E_clISt17integral_constantIbLb0EES12_IbLb1EEEEDaSY_SZ_EUlSY_E_NS1_11comp_targetILNS1_3genE2ELNS1_11target_archE906ELNS1_3gpuE6ELNS1_3repE0EEENS1_30default_config_static_selectorELNS0_4arch9wavefront6targetE1EEEvT1_
; %bb.0:
	.section	.rodata,"a",@progbits
	.p2align	6, 0x0
	.amdhsa_kernel _ZN7rocprim17ROCPRIM_400000_NS6detail17trampoline_kernelINS0_14default_configENS1_29reduce_by_key_config_selectorIyjN6thrust23THRUST_200600_302600_NS4plusIjEEEEZZNS1_33reduce_by_key_impl_wrapped_configILNS1_25lookback_scan_determinismE0ES3_S9_NS6_6detail15normal_iteratorINS6_10device_ptrIyEEEENSD_INSE_IjEEEESG_SI_PmS8_NS6_8equal_toIyEEEE10hipError_tPvRmT2_T3_mT4_T5_T6_T7_T8_P12ihipStream_tbENKUlT_T0_E_clISt17integral_constantIbLb0EES12_IbLb1EEEEDaSY_SZ_EUlSY_E_NS1_11comp_targetILNS1_3genE2ELNS1_11target_archE906ELNS1_3gpuE6ELNS1_3repE0EEENS1_30default_config_static_selectorELNS0_4arch9wavefront6targetE1EEEvT1_
		.amdhsa_group_segment_fixed_size 0
		.amdhsa_private_segment_fixed_size 0
		.amdhsa_kernarg_size 120
		.amdhsa_user_sgpr_count 6
		.amdhsa_user_sgpr_private_segment_buffer 1
		.amdhsa_user_sgpr_dispatch_ptr 0
		.amdhsa_user_sgpr_queue_ptr 0
		.amdhsa_user_sgpr_kernarg_segment_ptr 1
		.amdhsa_user_sgpr_dispatch_id 0
		.amdhsa_user_sgpr_flat_scratch_init 0
		.amdhsa_user_sgpr_kernarg_preload_length 0
		.amdhsa_user_sgpr_kernarg_preload_offset 0
		.amdhsa_user_sgpr_private_segment_size 0
		.amdhsa_uses_dynamic_stack 0
		.amdhsa_system_sgpr_private_segment_wavefront_offset 0
		.amdhsa_system_sgpr_workgroup_id_x 1
		.amdhsa_system_sgpr_workgroup_id_y 0
		.amdhsa_system_sgpr_workgroup_id_z 0
		.amdhsa_system_sgpr_workgroup_info 0
		.amdhsa_system_vgpr_workitem_id 0
		.amdhsa_next_free_vgpr 1
		.amdhsa_next_free_sgpr 0
		.amdhsa_accum_offset 4
		.amdhsa_reserve_vcc 0
		.amdhsa_reserve_flat_scratch 0
		.amdhsa_float_round_mode_32 0
		.amdhsa_float_round_mode_16_64 0
		.amdhsa_float_denorm_mode_32 3
		.amdhsa_float_denorm_mode_16_64 3
		.amdhsa_dx10_clamp 1
		.amdhsa_ieee_mode 1
		.amdhsa_fp16_overflow 0
		.amdhsa_tg_split 0
		.amdhsa_exception_fp_ieee_invalid_op 0
		.amdhsa_exception_fp_denorm_src 0
		.amdhsa_exception_fp_ieee_div_zero 0
		.amdhsa_exception_fp_ieee_overflow 0
		.amdhsa_exception_fp_ieee_underflow 0
		.amdhsa_exception_fp_ieee_inexact 0
		.amdhsa_exception_int_div_zero 0
	.end_amdhsa_kernel
	.section	.text._ZN7rocprim17ROCPRIM_400000_NS6detail17trampoline_kernelINS0_14default_configENS1_29reduce_by_key_config_selectorIyjN6thrust23THRUST_200600_302600_NS4plusIjEEEEZZNS1_33reduce_by_key_impl_wrapped_configILNS1_25lookback_scan_determinismE0ES3_S9_NS6_6detail15normal_iteratorINS6_10device_ptrIyEEEENSD_INSE_IjEEEESG_SI_PmS8_NS6_8equal_toIyEEEE10hipError_tPvRmT2_T3_mT4_T5_T6_T7_T8_P12ihipStream_tbENKUlT_T0_E_clISt17integral_constantIbLb0EES12_IbLb1EEEEDaSY_SZ_EUlSY_E_NS1_11comp_targetILNS1_3genE2ELNS1_11target_archE906ELNS1_3gpuE6ELNS1_3repE0EEENS1_30default_config_static_selectorELNS0_4arch9wavefront6targetE1EEEvT1_,"axG",@progbits,_ZN7rocprim17ROCPRIM_400000_NS6detail17trampoline_kernelINS0_14default_configENS1_29reduce_by_key_config_selectorIyjN6thrust23THRUST_200600_302600_NS4plusIjEEEEZZNS1_33reduce_by_key_impl_wrapped_configILNS1_25lookback_scan_determinismE0ES3_S9_NS6_6detail15normal_iteratorINS6_10device_ptrIyEEEENSD_INSE_IjEEEESG_SI_PmS8_NS6_8equal_toIyEEEE10hipError_tPvRmT2_T3_mT4_T5_T6_T7_T8_P12ihipStream_tbENKUlT_T0_E_clISt17integral_constantIbLb0EES12_IbLb1EEEEDaSY_SZ_EUlSY_E_NS1_11comp_targetILNS1_3genE2ELNS1_11target_archE906ELNS1_3gpuE6ELNS1_3repE0EEENS1_30default_config_static_selectorELNS0_4arch9wavefront6targetE1EEEvT1_,comdat
.Lfunc_end728:
	.size	_ZN7rocprim17ROCPRIM_400000_NS6detail17trampoline_kernelINS0_14default_configENS1_29reduce_by_key_config_selectorIyjN6thrust23THRUST_200600_302600_NS4plusIjEEEEZZNS1_33reduce_by_key_impl_wrapped_configILNS1_25lookback_scan_determinismE0ES3_S9_NS6_6detail15normal_iteratorINS6_10device_ptrIyEEEENSD_INSE_IjEEEESG_SI_PmS8_NS6_8equal_toIyEEEE10hipError_tPvRmT2_T3_mT4_T5_T6_T7_T8_P12ihipStream_tbENKUlT_T0_E_clISt17integral_constantIbLb0EES12_IbLb1EEEEDaSY_SZ_EUlSY_E_NS1_11comp_targetILNS1_3genE2ELNS1_11target_archE906ELNS1_3gpuE6ELNS1_3repE0EEENS1_30default_config_static_selectorELNS0_4arch9wavefront6targetE1EEEvT1_, .Lfunc_end728-_ZN7rocprim17ROCPRIM_400000_NS6detail17trampoline_kernelINS0_14default_configENS1_29reduce_by_key_config_selectorIyjN6thrust23THRUST_200600_302600_NS4plusIjEEEEZZNS1_33reduce_by_key_impl_wrapped_configILNS1_25lookback_scan_determinismE0ES3_S9_NS6_6detail15normal_iteratorINS6_10device_ptrIyEEEENSD_INSE_IjEEEESG_SI_PmS8_NS6_8equal_toIyEEEE10hipError_tPvRmT2_T3_mT4_T5_T6_T7_T8_P12ihipStream_tbENKUlT_T0_E_clISt17integral_constantIbLb0EES12_IbLb1EEEEDaSY_SZ_EUlSY_E_NS1_11comp_targetILNS1_3genE2ELNS1_11target_archE906ELNS1_3gpuE6ELNS1_3repE0EEENS1_30default_config_static_selectorELNS0_4arch9wavefront6targetE1EEEvT1_
                                        ; -- End function
	.section	.AMDGPU.csdata,"",@progbits
; Kernel info:
; codeLenInByte = 0
; NumSgprs: 4
; NumVgprs: 0
; NumAgprs: 0
; TotalNumVgprs: 0
; ScratchSize: 0
; MemoryBound: 0
; FloatMode: 240
; IeeeMode: 1
; LDSByteSize: 0 bytes/workgroup (compile time only)
; SGPRBlocks: 0
; VGPRBlocks: 0
; NumSGPRsForWavesPerEU: 4
; NumVGPRsForWavesPerEU: 1
; AccumOffset: 4
; Occupancy: 8
; WaveLimiterHint : 0
; COMPUTE_PGM_RSRC2:SCRATCH_EN: 0
; COMPUTE_PGM_RSRC2:USER_SGPR: 6
; COMPUTE_PGM_RSRC2:TRAP_HANDLER: 0
; COMPUTE_PGM_RSRC2:TGID_X_EN: 1
; COMPUTE_PGM_RSRC2:TGID_Y_EN: 0
; COMPUTE_PGM_RSRC2:TGID_Z_EN: 0
; COMPUTE_PGM_RSRC2:TIDIG_COMP_CNT: 0
; COMPUTE_PGM_RSRC3_GFX90A:ACCUM_OFFSET: 0
; COMPUTE_PGM_RSRC3_GFX90A:TG_SPLIT: 0
	.section	.text._ZN7rocprim17ROCPRIM_400000_NS6detail17trampoline_kernelINS0_14default_configENS1_29reduce_by_key_config_selectorIyjN6thrust23THRUST_200600_302600_NS4plusIjEEEEZZNS1_33reduce_by_key_impl_wrapped_configILNS1_25lookback_scan_determinismE0ES3_S9_NS6_6detail15normal_iteratorINS6_10device_ptrIyEEEENSD_INSE_IjEEEESG_SI_PmS8_NS6_8equal_toIyEEEE10hipError_tPvRmT2_T3_mT4_T5_T6_T7_T8_P12ihipStream_tbENKUlT_T0_E_clISt17integral_constantIbLb0EES12_IbLb1EEEEDaSY_SZ_EUlSY_E_NS1_11comp_targetILNS1_3genE10ELNS1_11target_archE1201ELNS1_3gpuE5ELNS1_3repE0EEENS1_30default_config_static_selectorELNS0_4arch9wavefront6targetE1EEEvT1_,"axG",@progbits,_ZN7rocprim17ROCPRIM_400000_NS6detail17trampoline_kernelINS0_14default_configENS1_29reduce_by_key_config_selectorIyjN6thrust23THRUST_200600_302600_NS4plusIjEEEEZZNS1_33reduce_by_key_impl_wrapped_configILNS1_25lookback_scan_determinismE0ES3_S9_NS6_6detail15normal_iteratorINS6_10device_ptrIyEEEENSD_INSE_IjEEEESG_SI_PmS8_NS6_8equal_toIyEEEE10hipError_tPvRmT2_T3_mT4_T5_T6_T7_T8_P12ihipStream_tbENKUlT_T0_E_clISt17integral_constantIbLb0EES12_IbLb1EEEEDaSY_SZ_EUlSY_E_NS1_11comp_targetILNS1_3genE10ELNS1_11target_archE1201ELNS1_3gpuE5ELNS1_3repE0EEENS1_30default_config_static_selectorELNS0_4arch9wavefront6targetE1EEEvT1_,comdat
	.protected	_ZN7rocprim17ROCPRIM_400000_NS6detail17trampoline_kernelINS0_14default_configENS1_29reduce_by_key_config_selectorIyjN6thrust23THRUST_200600_302600_NS4plusIjEEEEZZNS1_33reduce_by_key_impl_wrapped_configILNS1_25lookback_scan_determinismE0ES3_S9_NS6_6detail15normal_iteratorINS6_10device_ptrIyEEEENSD_INSE_IjEEEESG_SI_PmS8_NS6_8equal_toIyEEEE10hipError_tPvRmT2_T3_mT4_T5_T6_T7_T8_P12ihipStream_tbENKUlT_T0_E_clISt17integral_constantIbLb0EES12_IbLb1EEEEDaSY_SZ_EUlSY_E_NS1_11comp_targetILNS1_3genE10ELNS1_11target_archE1201ELNS1_3gpuE5ELNS1_3repE0EEENS1_30default_config_static_selectorELNS0_4arch9wavefront6targetE1EEEvT1_ ; -- Begin function _ZN7rocprim17ROCPRIM_400000_NS6detail17trampoline_kernelINS0_14default_configENS1_29reduce_by_key_config_selectorIyjN6thrust23THRUST_200600_302600_NS4plusIjEEEEZZNS1_33reduce_by_key_impl_wrapped_configILNS1_25lookback_scan_determinismE0ES3_S9_NS6_6detail15normal_iteratorINS6_10device_ptrIyEEEENSD_INSE_IjEEEESG_SI_PmS8_NS6_8equal_toIyEEEE10hipError_tPvRmT2_T3_mT4_T5_T6_T7_T8_P12ihipStream_tbENKUlT_T0_E_clISt17integral_constantIbLb0EES12_IbLb1EEEEDaSY_SZ_EUlSY_E_NS1_11comp_targetILNS1_3genE10ELNS1_11target_archE1201ELNS1_3gpuE5ELNS1_3repE0EEENS1_30default_config_static_selectorELNS0_4arch9wavefront6targetE1EEEvT1_
	.globl	_ZN7rocprim17ROCPRIM_400000_NS6detail17trampoline_kernelINS0_14default_configENS1_29reduce_by_key_config_selectorIyjN6thrust23THRUST_200600_302600_NS4plusIjEEEEZZNS1_33reduce_by_key_impl_wrapped_configILNS1_25lookback_scan_determinismE0ES3_S9_NS6_6detail15normal_iteratorINS6_10device_ptrIyEEEENSD_INSE_IjEEEESG_SI_PmS8_NS6_8equal_toIyEEEE10hipError_tPvRmT2_T3_mT4_T5_T6_T7_T8_P12ihipStream_tbENKUlT_T0_E_clISt17integral_constantIbLb0EES12_IbLb1EEEEDaSY_SZ_EUlSY_E_NS1_11comp_targetILNS1_3genE10ELNS1_11target_archE1201ELNS1_3gpuE5ELNS1_3repE0EEENS1_30default_config_static_selectorELNS0_4arch9wavefront6targetE1EEEvT1_
	.p2align	8
	.type	_ZN7rocprim17ROCPRIM_400000_NS6detail17trampoline_kernelINS0_14default_configENS1_29reduce_by_key_config_selectorIyjN6thrust23THRUST_200600_302600_NS4plusIjEEEEZZNS1_33reduce_by_key_impl_wrapped_configILNS1_25lookback_scan_determinismE0ES3_S9_NS6_6detail15normal_iteratorINS6_10device_ptrIyEEEENSD_INSE_IjEEEESG_SI_PmS8_NS6_8equal_toIyEEEE10hipError_tPvRmT2_T3_mT4_T5_T6_T7_T8_P12ihipStream_tbENKUlT_T0_E_clISt17integral_constantIbLb0EES12_IbLb1EEEEDaSY_SZ_EUlSY_E_NS1_11comp_targetILNS1_3genE10ELNS1_11target_archE1201ELNS1_3gpuE5ELNS1_3repE0EEENS1_30default_config_static_selectorELNS0_4arch9wavefront6targetE1EEEvT1_,@function
_ZN7rocprim17ROCPRIM_400000_NS6detail17trampoline_kernelINS0_14default_configENS1_29reduce_by_key_config_selectorIyjN6thrust23THRUST_200600_302600_NS4plusIjEEEEZZNS1_33reduce_by_key_impl_wrapped_configILNS1_25lookback_scan_determinismE0ES3_S9_NS6_6detail15normal_iteratorINS6_10device_ptrIyEEEENSD_INSE_IjEEEESG_SI_PmS8_NS6_8equal_toIyEEEE10hipError_tPvRmT2_T3_mT4_T5_T6_T7_T8_P12ihipStream_tbENKUlT_T0_E_clISt17integral_constantIbLb0EES12_IbLb1EEEEDaSY_SZ_EUlSY_E_NS1_11comp_targetILNS1_3genE10ELNS1_11target_archE1201ELNS1_3gpuE5ELNS1_3repE0EEENS1_30default_config_static_selectorELNS0_4arch9wavefront6targetE1EEEvT1_: ; @_ZN7rocprim17ROCPRIM_400000_NS6detail17trampoline_kernelINS0_14default_configENS1_29reduce_by_key_config_selectorIyjN6thrust23THRUST_200600_302600_NS4plusIjEEEEZZNS1_33reduce_by_key_impl_wrapped_configILNS1_25lookback_scan_determinismE0ES3_S9_NS6_6detail15normal_iteratorINS6_10device_ptrIyEEEENSD_INSE_IjEEEESG_SI_PmS8_NS6_8equal_toIyEEEE10hipError_tPvRmT2_T3_mT4_T5_T6_T7_T8_P12ihipStream_tbENKUlT_T0_E_clISt17integral_constantIbLb0EES12_IbLb1EEEEDaSY_SZ_EUlSY_E_NS1_11comp_targetILNS1_3genE10ELNS1_11target_archE1201ELNS1_3gpuE5ELNS1_3repE0EEENS1_30default_config_static_selectorELNS0_4arch9wavefront6targetE1EEEvT1_
; %bb.0:
	.section	.rodata,"a",@progbits
	.p2align	6, 0x0
	.amdhsa_kernel _ZN7rocprim17ROCPRIM_400000_NS6detail17trampoline_kernelINS0_14default_configENS1_29reduce_by_key_config_selectorIyjN6thrust23THRUST_200600_302600_NS4plusIjEEEEZZNS1_33reduce_by_key_impl_wrapped_configILNS1_25lookback_scan_determinismE0ES3_S9_NS6_6detail15normal_iteratorINS6_10device_ptrIyEEEENSD_INSE_IjEEEESG_SI_PmS8_NS6_8equal_toIyEEEE10hipError_tPvRmT2_T3_mT4_T5_T6_T7_T8_P12ihipStream_tbENKUlT_T0_E_clISt17integral_constantIbLb0EES12_IbLb1EEEEDaSY_SZ_EUlSY_E_NS1_11comp_targetILNS1_3genE10ELNS1_11target_archE1201ELNS1_3gpuE5ELNS1_3repE0EEENS1_30default_config_static_selectorELNS0_4arch9wavefront6targetE1EEEvT1_
		.amdhsa_group_segment_fixed_size 0
		.amdhsa_private_segment_fixed_size 0
		.amdhsa_kernarg_size 120
		.amdhsa_user_sgpr_count 6
		.amdhsa_user_sgpr_private_segment_buffer 1
		.amdhsa_user_sgpr_dispatch_ptr 0
		.amdhsa_user_sgpr_queue_ptr 0
		.amdhsa_user_sgpr_kernarg_segment_ptr 1
		.amdhsa_user_sgpr_dispatch_id 0
		.amdhsa_user_sgpr_flat_scratch_init 0
		.amdhsa_user_sgpr_kernarg_preload_length 0
		.amdhsa_user_sgpr_kernarg_preload_offset 0
		.amdhsa_user_sgpr_private_segment_size 0
		.amdhsa_uses_dynamic_stack 0
		.amdhsa_system_sgpr_private_segment_wavefront_offset 0
		.amdhsa_system_sgpr_workgroup_id_x 1
		.amdhsa_system_sgpr_workgroup_id_y 0
		.amdhsa_system_sgpr_workgroup_id_z 0
		.amdhsa_system_sgpr_workgroup_info 0
		.amdhsa_system_vgpr_workitem_id 0
		.amdhsa_next_free_vgpr 1
		.amdhsa_next_free_sgpr 0
		.amdhsa_accum_offset 4
		.amdhsa_reserve_vcc 0
		.amdhsa_reserve_flat_scratch 0
		.amdhsa_float_round_mode_32 0
		.amdhsa_float_round_mode_16_64 0
		.amdhsa_float_denorm_mode_32 3
		.amdhsa_float_denorm_mode_16_64 3
		.amdhsa_dx10_clamp 1
		.amdhsa_ieee_mode 1
		.amdhsa_fp16_overflow 0
		.amdhsa_tg_split 0
		.amdhsa_exception_fp_ieee_invalid_op 0
		.amdhsa_exception_fp_denorm_src 0
		.amdhsa_exception_fp_ieee_div_zero 0
		.amdhsa_exception_fp_ieee_overflow 0
		.amdhsa_exception_fp_ieee_underflow 0
		.amdhsa_exception_fp_ieee_inexact 0
		.amdhsa_exception_int_div_zero 0
	.end_amdhsa_kernel
	.section	.text._ZN7rocprim17ROCPRIM_400000_NS6detail17trampoline_kernelINS0_14default_configENS1_29reduce_by_key_config_selectorIyjN6thrust23THRUST_200600_302600_NS4plusIjEEEEZZNS1_33reduce_by_key_impl_wrapped_configILNS1_25lookback_scan_determinismE0ES3_S9_NS6_6detail15normal_iteratorINS6_10device_ptrIyEEEENSD_INSE_IjEEEESG_SI_PmS8_NS6_8equal_toIyEEEE10hipError_tPvRmT2_T3_mT4_T5_T6_T7_T8_P12ihipStream_tbENKUlT_T0_E_clISt17integral_constantIbLb0EES12_IbLb1EEEEDaSY_SZ_EUlSY_E_NS1_11comp_targetILNS1_3genE10ELNS1_11target_archE1201ELNS1_3gpuE5ELNS1_3repE0EEENS1_30default_config_static_selectorELNS0_4arch9wavefront6targetE1EEEvT1_,"axG",@progbits,_ZN7rocprim17ROCPRIM_400000_NS6detail17trampoline_kernelINS0_14default_configENS1_29reduce_by_key_config_selectorIyjN6thrust23THRUST_200600_302600_NS4plusIjEEEEZZNS1_33reduce_by_key_impl_wrapped_configILNS1_25lookback_scan_determinismE0ES3_S9_NS6_6detail15normal_iteratorINS6_10device_ptrIyEEEENSD_INSE_IjEEEESG_SI_PmS8_NS6_8equal_toIyEEEE10hipError_tPvRmT2_T3_mT4_T5_T6_T7_T8_P12ihipStream_tbENKUlT_T0_E_clISt17integral_constantIbLb0EES12_IbLb1EEEEDaSY_SZ_EUlSY_E_NS1_11comp_targetILNS1_3genE10ELNS1_11target_archE1201ELNS1_3gpuE5ELNS1_3repE0EEENS1_30default_config_static_selectorELNS0_4arch9wavefront6targetE1EEEvT1_,comdat
.Lfunc_end729:
	.size	_ZN7rocprim17ROCPRIM_400000_NS6detail17trampoline_kernelINS0_14default_configENS1_29reduce_by_key_config_selectorIyjN6thrust23THRUST_200600_302600_NS4plusIjEEEEZZNS1_33reduce_by_key_impl_wrapped_configILNS1_25lookback_scan_determinismE0ES3_S9_NS6_6detail15normal_iteratorINS6_10device_ptrIyEEEENSD_INSE_IjEEEESG_SI_PmS8_NS6_8equal_toIyEEEE10hipError_tPvRmT2_T3_mT4_T5_T6_T7_T8_P12ihipStream_tbENKUlT_T0_E_clISt17integral_constantIbLb0EES12_IbLb1EEEEDaSY_SZ_EUlSY_E_NS1_11comp_targetILNS1_3genE10ELNS1_11target_archE1201ELNS1_3gpuE5ELNS1_3repE0EEENS1_30default_config_static_selectorELNS0_4arch9wavefront6targetE1EEEvT1_, .Lfunc_end729-_ZN7rocprim17ROCPRIM_400000_NS6detail17trampoline_kernelINS0_14default_configENS1_29reduce_by_key_config_selectorIyjN6thrust23THRUST_200600_302600_NS4plusIjEEEEZZNS1_33reduce_by_key_impl_wrapped_configILNS1_25lookback_scan_determinismE0ES3_S9_NS6_6detail15normal_iteratorINS6_10device_ptrIyEEEENSD_INSE_IjEEEESG_SI_PmS8_NS6_8equal_toIyEEEE10hipError_tPvRmT2_T3_mT4_T5_T6_T7_T8_P12ihipStream_tbENKUlT_T0_E_clISt17integral_constantIbLb0EES12_IbLb1EEEEDaSY_SZ_EUlSY_E_NS1_11comp_targetILNS1_3genE10ELNS1_11target_archE1201ELNS1_3gpuE5ELNS1_3repE0EEENS1_30default_config_static_selectorELNS0_4arch9wavefront6targetE1EEEvT1_
                                        ; -- End function
	.section	.AMDGPU.csdata,"",@progbits
; Kernel info:
; codeLenInByte = 0
; NumSgprs: 4
; NumVgprs: 0
; NumAgprs: 0
; TotalNumVgprs: 0
; ScratchSize: 0
; MemoryBound: 0
; FloatMode: 240
; IeeeMode: 1
; LDSByteSize: 0 bytes/workgroup (compile time only)
; SGPRBlocks: 0
; VGPRBlocks: 0
; NumSGPRsForWavesPerEU: 4
; NumVGPRsForWavesPerEU: 1
; AccumOffset: 4
; Occupancy: 8
; WaveLimiterHint : 0
; COMPUTE_PGM_RSRC2:SCRATCH_EN: 0
; COMPUTE_PGM_RSRC2:USER_SGPR: 6
; COMPUTE_PGM_RSRC2:TRAP_HANDLER: 0
; COMPUTE_PGM_RSRC2:TGID_X_EN: 1
; COMPUTE_PGM_RSRC2:TGID_Y_EN: 0
; COMPUTE_PGM_RSRC2:TGID_Z_EN: 0
; COMPUTE_PGM_RSRC2:TIDIG_COMP_CNT: 0
; COMPUTE_PGM_RSRC3_GFX90A:ACCUM_OFFSET: 0
; COMPUTE_PGM_RSRC3_GFX90A:TG_SPLIT: 0
	.section	.text._ZN7rocprim17ROCPRIM_400000_NS6detail17trampoline_kernelINS0_14default_configENS1_29reduce_by_key_config_selectorIyjN6thrust23THRUST_200600_302600_NS4plusIjEEEEZZNS1_33reduce_by_key_impl_wrapped_configILNS1_25lookback_scan_determinismE0ES3_S9_NS6_6detail15normal_iteratorINS6_10device_ptrIyEEEENSD_INSE_IjEEEESG_SI_PmS8_NS6_8equal_toIyEEEE10hipError_tPvRmT2_T3_mT4_T5_T6_T7_T8_P12ihipStream_tbENKUlT_T0_E_clISt17integral_constantIbLb0EES12_IbLb1EEEEDaSY_SZ_EUlSY_E_NS1_11comp_targetILNS1_3genE10ELNS1_11target_archE1200ELNS1_3gpuE4ELNS1_3repE0EEENS1_30default_config_static_selectorELNS0_4arch9wavefront6targetE1EEEvT1_,"axG",@progbits,_ZN7rocprim17ROCPRIM_400000_NS6detail17trampoline_kernelINS0_14default_configENS1_29reduce_by_key_config_selectorIyjN6thrust23THRUST_200600_302600_NS4plusIjEEEEZZNS1_33reduce_by_key_impl_wrapped_configILNS1_25lookback_scan_determinismE0ES3_S9_NS6_6detail15normal_iteratorINS6_10device_ptrIyEEEENSD_INSE_IjEEEESG_SI_PmS8_NS6_8equal_toIyEEEE10hipError_tPvRmT2_T3_mT4_T5_T6_T7_T8_P12ihipStream_tbENKUlT_T0_E_clISt17integral_constantIbLb0EES12_IbLb1EEEEDaSY_SZ_EUlSY_E_NS1_11comp_targetILNS1_3genE10ELNS1_11target_archE1200ELNS1_3gpuE4ELNS1_3repE0EEENS1_30default_config_static_selectorELNS0_4arch9wavefront6targetE1EEEvT1_,comdat
	.protected	_ZN7rocprim17ROCPRIM_400000_NS6detail17trampoline_kernelINS0_14default_configENS1_29reduce_by_key_config_selectorIyjN6thrust23THRUST_200600_302600_NS4plusIjEEEEZZNS1_33reduce_by_key_impl_wrapped_configILNS1_25lookback_scan_determinismE0ES3_S9_NS6_6detail15normal_iteratorINS6_10device_ptrIyEEEENSD_INSE_IjEEEESG_SI_PmS8_NS6_8equal_toIyEEEE10hipError_tPvRmT2_T3_mT4_T5_T6_T7_T8_P12ihipStream_tbENKUlT_T0_E_clISt17integral_constantIbLb0EES12_IbLb1EEEEDaSY_SZ_EUlSY_E_NS1_11comp_targetILNS1_3genE10ELNS1_11target_archE1200ELNS1_3gpuE4ELNS1_3repE0EEENS1_30default_config_static_selectorELNS0_4arch9wavefront6targetE1EEEvT1_ ; -- Begin function _ZN7rocprim17ROCPRIM_400000_NS6detail17trampoline_kernelINS0_14default_configENS1_29reduce_by_key_config_selectorIyjN6thrust23THRUST_200600_302600_NS4plusIjEEEEZZNS1_33reduce_by_key_impl_wrapped_configILNS1_25lookback_scan_determinismE0ES3_S9_NS6_6detail15normal_iteratorINS6_10device_ptrIyEEEENSD_INSE_IjEEEESG_SI_PmS8_NS6_8equal_toIyEEEE10hipError_tPvRmT2_T3_mT4_T5_T6_T7_T8_P12ihipStream_tbENKUlT_T0_E_clISt17integral_constantIbLb0EES12_IbLb1EEEEDaSY_SZ_EUlSY_E_NS1_11comp_targetILNS1_3genE10ELNS1_11target_archE1200ELNS1_3gpuE4ELNS1_3repE0EEENS1_30default_config_static_selectorELNS0_4arch9wavefront6targetE1EEEvT1_
	.globl	_ZN7rocprim17ROCPRIM_400000_NS6detail17trampoline_kernelINS0_14default_configENS1_29reduce_by_key_config_selectorIyjN6thrust23THRUST_200600_302600_NS4plusIjEEEEZZNS1_33reduce_by_key_impl_wrapped_configILNS1_25lookback_scan_determinismE0ES3_S9_NS6_6detail15normal_iteratorINS6_10device_ptrIyEEEENSD_INSE_IjEEEESG_SI_PmS8_NS6_8equal_toIyEEEE10hipError_tPvRmT2_T3_mT4_T5_T6_T7_T8_P12ihipStream_tbENKUlT_T0_E_clISt17integral_constantIbLb0EES12_IbLb1EEEEDaSY_SZ_EUlSY_E_NS1_11comp_targetILNS1_3genE10ELNS1_11target_archE1200ELNS1_3gpuE4ELNS1_3repE0EEENS1_30default_config_static_selectorELNS0_4arch9wavefront6targetE1EEEvT1_
	.p2align	8
	.type	_ZN7rocprim17ROCPRIM_400000_NS6detail17trampoline_kernelINS0_14default_configENS1_29reduce_by_key_config_selectorIyjN6thrust23THRUST_200600_302600_NS4plusIjEEEEZZNS1_33reduce_by_key_impl_wrapped_configILNS1_25lookback_scan_determinismE0ES3_S9_NS6_6detail15normal_iteratorINS6_10device_ptrIyEEEENSD_INSE_IjEEEESG_SI_PmS8_NS6_8equal_toIyEEEE10hipError_tPvRmT2_T3_mT4_T5_T6_T7_T8_P12ihipStream_tbENKUlT_T0_E_clISt17integral_constantIbLb0EES12_IbLb1EEEEDaSY_SZ_EUlSY_E_NS1_11comp_targetILNS1_3genE10ELNS1_11target_archE1200ELNS1_3gpuE4ELNS1_3repE0EEENS1_30default_config_static_selectorELNS0_4arch9wavefront6targetE1EEEvT1_,@function
_ZN7rocprim17ROCPRIM_400000_NS6detail17trampoline_kernelINS0_14default_configENS1_29reduce_by_key_config_selectorIyjN6thrust23THRUST_200600_302600_NS4plusIjEEEEZZNS1_33reduce_by_key_impl_wrapped_configILNS1_25lookback_scan_determinismE0ES3_S9_NS6_6detail15normal_iteratorINS6_10device_ptrIyEEEENSD_INSE_IjEEEESG_SI_PmS8_NS6_8equal_toIyEEEE10hipError_tPvRmT2_T3_mT4_T5_T6_T7_T8_P12ihipStream_tbENKUlT_T0_E_clISt17integral_constantIbLb0EES12_IbLb1EEEEDaSY_SZ_EUlSY_E_NS1_11comp_targetILNS1_3genE10ELNS1_11target_archE1200ELNS1_3gpuE4ELNS1_3repE0EEENS1_30default_config_static_selectorELNS0_4arch9wavefront6targetE1EEEvT1_: ; @_ZN7rocprim17ROCPRIM_400000_NS6detail17trampoline_kernelINS0_14default_configENS1_29reduce_by_key_config_selectorIyjN6thrust23THRUST_200600_302600_NS4plusIjEEEEZZNS1_33reduce_by_key_impl_wrapped_configILNS1_25lookback_scan_determinismE0ES3_S9_NS6_6detail15normal_iteratorINS6_10device_ptrIyEEEENSD_INSE_IjEEEESG_SI_PmS8_NS6_8equal_toIyEEEE10hipError_tPvRmT2_T3_mT4_T5_T6_T7_T8_P12ihipStream_tbENKUlT_T0_E_clISt17integral_constantIbLb0EES12_IbLb1EEEEDaSY_SZ_EUlSY_E_NS1_11comp_targetILNS1_3genE10ELNS1_11target_archE1200ELNS1_3gpuE4ELNS1_3repE0EEENS1_30default_config_static_selectorELNS0_4arch9wavefront6targetE1EEEvT1_
; %bb.0:
	.section	.rodata,"a",@progbits
	.p2align	6, 0x0
	.amdhsa_kernel _ZN7rocprim17ROCPRIM_400000_NS6detail17trampoline_kernelINS0_14default_configENS1_29reduce_by_key_config_selectorIyjN6thrust23THRUST_200600_302600_NS4plusIjEEEEZZNS1_33reduce_by_key_impl_wrapped_configILNS1_25lookback_scan_determinismE0ES3_S9_NS6_6detail15normal_iteratorINS6_10device_ptrIyEEEENSD_INSE_IjEEEESG_SI_PmS8_NS6_8equal_toIyEEEE10hipError_tPvRmT2_T3_mT4_T5_T6_T7_T8_P12ihipStream_tbENKUlT_T0_E_clISt17integral_constantIbLb0EES12_IbLb1EEEEDaSY_SZ_EUlSY_E_NS1_11comp_targetILNS1_3genE10ELNS1_11target_archE1200ELNS1_3gpuE4ELNS1_3repE0EEENS1_30default_config_static_selectorELNS0_4arch9wavefront6targetE1EEEvT1_
		.amdhsa_group_segment_fixed_size 0
		.amdhsa_private_segment_fixed_size 0
		.amdhsa_kernarg_size 120
		.amdhsa_user_sgpr_count 6
		.amdhsa_user_sgpr_private_segment_buffer 1
		.amdhsa_user_sgpr_dispatch_ptr 0
		.amdhsa_user_sgpr_queue_ptr 0
		.amdhsa_user_sgpr_kernarg_segment_ptr 1
		.amdhsa_user_sgpr_dispatch_id 0
		.amdhsa_user_sgpr_flat_scratch_init 0
		.amdhsa_user_sgpr_kernarg_preload_length 0
		.amdhsa_user_sgpr_kernarg_preload_offset 0
		.amdhsa_user_sgpr_private_segment_size 0
		.amdhsa_uses_dynamic_stack 0
		.amdhsa_system_sgpr_private_segment_wavefront_offset 0
		.amdhsa_system_sgpr_workgroup_id_x 1
		.amdhsa_system_sgpr_workgroup_id_y 0
		.amdhsa_system_sgpr_workgroup_id_z 0
		.amdhsa_system_sgpr_workgroup_info 0
		.amdhsa_system_vgpr_workitem_id 0
		.amdhsa_next_free_vgpr 1
		.amdhsa_next_free_sgpr 0
		.amdhsa_accum_offset 4
		.amdhsa_reserve_vcc 0
		.amdhsa_reserve_flat_scratch 0
		.amdhsa_float_round_mode_32 0
		.amdhsa_float_round_mode_16_64 0
		.amdhsa_float_denorm_mode_32 3
		.amdhsa_float_denorm_mode_16_64 3
		.amdhsa_dx10_clamp 1
		.amdhsa_ieee_mode 1
		.amdhsa_fp16_overflow 0
		.amdhsa_tg_split 0
		.amdhsa_exception_fp_ieee_invalid_op 0
		.amdhsa_exception_fp_denorm_src 0
		.amdhsa_exception_fp_ieee_div_zero 0
		.amdhsa_exception_fp_ieee_overflow 0
		.amdhsa_exception_fp_ieee_underflow 0
		.amdhsa_exception_fp_ieee_inexact 0
		.amdhsa_exception_int_div_zero 0
	.end_amdhsa_kernel
	.section	.text._ZN7rocprim17ROCPRIM_400000_NS6detail17trampoline_kernelINS0_14default_configENS1_29reduce_by_key_config_selectorIyjN6thrust23THRUST_200600_302600_NS4plusIjEEEEZZNS1_33reduce_by_key_impl_wrapped_configILNS1_25lookback_scan_determinismE0ES3_S9_NS6_6detail15normal_iteratorINS6_10device_ptrIyEEEENSD_INSE_IjEEEESG_SI_PmS8_NS6_8equal_toIyEEEE10hipError_tPvRmT2_T3_mT4_T5_T6_T7_T8_P12ihipStream_tbENKUlT_T0_E_clISt17integral_constantIbLb0EES12_IbLb1EEEEDaSY_SZ_EUlSY_E_NS1_11comp_targetILNS1_3genE10ELNS1_11target_archE1200ELNS1_3gpuE4ELNS1_3repE0EEENS1_30default_config_static_selectorELNS0_4arch9wavefront6targetE1EEEvT1_,"axG",@progbits,_ZN7rocprim17ROCPRIM_400000_NS6detail17trampoline_kernelINS0_14default_configENS1_29reduce_by_key_config_selectorIyjN6thrust23THRUST_200600_302600_NS4plusIjEEEEZZNS1_33reduce_by_key_impl_wrapped_configILNS1_25lookback_scan_determinismE0ES3_S9_NS6_6detail15normal_iteratorINS6_10device_ptrIyEEEENSD_INSE_IjEEEESG_SI_PmS8_NS6_8equal_toIyEEEE10hipError_tPvRmT2_T3_mT4_T5_T6_T7_T8_P12ihipStream_tbENKUlT_T0_E_clISt17integral_constantIbLb0EES12_IbLb1EEEEDaSY_SZ_EUlSY_E_NS1_11comp_targetILNS1_3genE10ELNS1_11target_archE1200ELNS1_3gpuE4ELNS1_3repE0EEENS1_30default_config_static_selectorELNS0_4arch9wavefront6targetE1EEEvT1_,comdat
.Lfunc_end730:
	.size	_ZN7rocprim17ROCPRIM_400000_NS6detail17trampoline_kernelINS0_14default_configENS1_29reduce_by_key_config_selectorIyjN6thrust23THRUST_200600_302600_NS4plusIjEEEEZZNS1_33reduce_by_key_impl_wrapped_configILNS1_25lookback_scan_determinismE0ES3_S9_NS6_6detail15normal_iteratorINS6_10device_ptrIyEEEENSD_INSE_IjEEEESG_SI_PmS8_NS6_8equal_toIyEEEE10hipError_tPvRmT2_T3_mT4_T5_T6_T7_T8_P12ihipStream_tbENKUlT_T0_E_clISt17integral_constantIbLb0EES12_IbLb1EEEEDaSY_SZ_EUlSY_E_NS1_11comp_targetILNS1_3genE10ELNS1_11target_archE1200ELNS1_3gpuE4ELNS1_3repE0EEENS1_30default_config_static_selectorELNS0_4arch9wavefront6targetE1EEEvT1_, .Lfunc_end730-_ZN7rocprim17ROCPRIM_400000_NS6detail17trampoline_kernelINS0_14default_configENS1_29reduce_by_key_config_selectorIyjN6thrust23THRUST_200600_302600_NS4plusIjEEEEZZNS1_33reduce_by_key_impl_wrapped_configILNS1_25lookback_scan_determinismE0ES3_S9_NS6_6detail15normal_iteratorINS6_10device_ptrIyEEEENSD_INSE_IjEEEESG_SI_PmS8_NS6_8equal_toIyEEEE10hipError_tPvRmT2_T3_mT4_T5_T6_T7_T8_P12ihipStream_tbENKUlT_T0_E_clISt17integral_constantIbLb0EES12_IbLb1EEEEDaSY_SZ_EUlSY_E_NS1_11comp_targetILNS1_3genE10ELNS1_11target_archE1200ELNS1_3gpuE4ELNS1_3repE0EEENS1_30default_config_static_selectorELNS0_4arch9wavefront6targetE1EEEvT1_
                                        ; -- End function
	.section	.AMDGPU.csdata,"",@progbits
; Kernel info:
; codeLenInByte = 0
; NumSgprs: 4
; NumVgprs: 0
; NumAgprs: 0
; TotalNumVgprs: 0
; ScratchSize: 0
; MemoryBound: 0
; FloatMode: 240
; IeeeMode: 1
; LDSByteSize: 0 bytes/workgroup (compile time only)
; SGPRBlocks: 0
; VGPRBlocks: 0
; NumSGPRsForWavesPerEU: 4
; NumVGPRsForWavesPerEU: 1
; AccumOffset: 4
; Occupancy: 8
; WaveLimiterHint : 0
; COMPUTE_PGM_RSRC2:SCRATCH_EN: 0
; COMPUTE_PGM_RSRC2:USER_SGPR: 6
; COMPUTE_PGM_RSRC2:TRAP_HANDLER: 0
; COMPUTE_PGM_RSRC2:TGID_X_EN: 1
; COMPUTE_PGM_RSRC2:TGID_Y_EN: 0
; COMPUTE_PGM_RSRC2:TGID_Z_EN: 0
; COMPUTE_PGM_RSRC2:TIDIG_COMP_CNT: 0
; COMPUTE_PGM_RSRC3_GFX90A:ACCUM_OFFSET: 0
; COMPUTE_PGM_RSRC3_GFX90A:TG_SPLIT: 0
	.section	.text._ZN7rocprim17ROCPRIM_400000_NS6detail17trampoline_kernelINS0_14default_configENS1_29reduce_by_key_config_selectorIyjN6thrust23THRUST_200600_302600_NS4plusIjEEEEZZNS1_33reduce_by_key_impl_wrapped_configILNS1_25lookback_scan_determinismE0ES3_S9_NS6_6detail15normal_iteratorINS6_10device_ptrIyEEEENSD_INSE_IjEEEESG_SI_PmS8_NS6_8equal_toIyEEEE10hipError_tPvRmT2_T3_mT4_T5_T6_T7_T8_P12ihipStream_tbENKUlT_T0_E_clISt17integral_constantIbLb0EES12_IbLb1EEEEDaSY_SZ_EUlSY_E_NS1_11comp_targetILNS1_3genE9ELNS1_11target_archE1100ELNS1_3gpuE3ELNS1_3repE0EEENS1_30default_config_static_selectorELNS0_4arch9wavefront6targetE1EEEvT1_,"axG",@progbits,_ZN7rocprim17ROCPRIM_400000_NS6detail17trampoline_kernelINS0_14default_configENS1_29reduce_by_key_config_selectorIyjN6thrust23THRUST_200600_302600_NS4plusIjEEEEZZNS1_33reduce_by_key_impl_wrapped_configILNS1_25lookback_scan_determinismE0ES3_S9_NS6_6detail15normal_iteratorINS6_10device_ptrIyEEEENSD_INSE_IjEEEESG_SI_PmS8_NS6_8equal_toIyEEEE10hipError_tPvRmT2_T3_mT4_T5_T6_T7_T8_P12ihipStream_tbENKUlT_T0_E_clISt17integral_constantIbLb0EES12_IbLb1EEEEDaSY_SZ_EUlSY_E_NS1_11comp_targetILNS1_3genE9ELNS1_11target_archE1100ELNS1_3gpuE3ELNS1_3repE0EEENS1_30default_config_static_selectorELNS0_4arch9wavefront6targetE1EEEvT1_,comdat
	.protected	_ZN7rocprim17ROCPRIM_400000_NS6detail17trampoline_kernelINS0_14default_configENS1_29reduce_by_key_config_selectorIyjN6thrust23THRUST_200600_302600_NS4plusIjEEEEZZNS1_33reduce_by_key_impl_wrapped_configILNS1_25lookback_scan_determinismE0ES3_S9_NS6_6detail15normal_iteratorINS6_10device_ptrIyEEEENSD_INSE_IjEEEESG_SI_PmS8_NS6_8equal_toIyEEEE10hipError_tPvRmT2_T3_mT4_T5_T6_T7_T8_P12ihipStream_tbENKUlT_T0_E_clISt17integral_constantIbLb0EES12_IbLb1EEEEDaSY_SZ_EUlSY_E_NS1_11comp_targetILNS1_3genE9ELNS1_11target_archE1100ELNS1_3gpuE3ELNS1_3repE0EEENS1_30default_config_static_selectorELNS0_4arch9wavefront6targetE1EEEvT1_ ; -- Begin function _ZN7rocprim17ROCPRIM_400000_NS6detail17trampoline_kernelINS0_14default_configENS1_29reduce_by_key_config_selectorIyjN6thrust23THRUST_200600_302600_NS4plusIjEEEEZZNS1_33reduce_by_key_impl_wrapped_configILNS1_25lookback_scan_determinismE0ES3_S9_NS6_6detail15normal_iteratorINS6_10device_ptrIyEEEENSD_INSE_IjEEEESG_SI_PmS8_NS6_8equal_toIyEEEE10hipError_tPvRmT2_T3_mT4_T5_T6_T7_T8_P12ihipStream_tbENKUlT_T0_E_clISt17integral_constantIbLb0EES12_IbLb1EEEEDaSY_SZ_EUlSY_E_NS1_11comp_targetILNS1_3genE9ELNS1_11target_archE1100ELNS1_3gpuE3ELNS1_3repE0EEENS1_30default_config_static_selectorELNS0_4arch9wavefront6targetE1EEEvT1_
	.globl	_ZN7rocprim17ROCPRIM_400000_NS6detail17trampoline_kernelINS0_14default_configENS1_29reduce_by_key_config_selectorIyjN6thrust23THRUST_200600_302600_NS4plusIjEEEEZZNS1_33reduce_by_key_impl_wrapped_configILNS1_25lookback_scan_determinismE0ES3_S9_NS6_6detail15normal_iteratorINS6_10device_ptrIyEEEENSD_INSE_IjEEEESG_SI_PmS8_NS6_8equal_toIyEEEE10hipError_tPvRmT2_T3_mT4_T5_T6_T7_T8_P12ihipStream_tbENKUlT_T0_E_clISt17integral_constantIbLb0EES12_IbLb1EEEEDaSY_SZ_EUlSY_E_NS1_11comp_targetILNS1_3genE9ELNS1_11target_archE1100ELNS1_3gpuE3ELNS1_3repE0EEENS1_30default_config_static_selectorELNS0_4arch9wavefront6targetE1EEEvT1_
	.p2align	8
	.type	_ZN7rocprim17ROCPRIM_400000_NS6detail17trampoline_kernelINS0_14default_configENS1_29reduce_by_key_config_selectorIyjN6thrust23THRUST_200600_302600_NS4plusIjEEEEZZNS1_33reduce_by_key_impl_wrapped_configILNS1_25lookback_scan_determinismE0ES3_S9_NS6_6detail15normal_iteratorINS6_10device_ptrIyEEEENSD_INSE_IjEEEESG_SI_PmS8_NS6_8equal_toIyEEEE10hipError_tPvRmT2_T3_mT4_T5_T6_T7_T8_P12ihipStream_tbENKUlT_T0_E_clISt17integral_constantIbLb0EES12_IbLb1EEEEDaSY_SZ_EUlSY_E_NS1_11comp_targetILNS1_3genE9ELNS1_11target_archE1100ELNS1_3gpuE3ELNS1_3repE0EEENS1_30default_config_static_selectorELNS0_4arch9wavefront6targetE1EEEvT1_,@function
_ZN7rocprim17ROCPRIM_400000_NS6detail17trampoline_kernelINS0_14default_configENS1_29reduce_by_key_config_selectorIyjN6thrust23THRUST_200600_302600_NS4plusIjEEEEZZNS1_33reduce_by_key_impl_wrapped_configILNS1_25lookback_scan_determinismE0ES3_S9_NS6_6detail15normal_iteratorINS6_10device_ptrIyEEEENSD_INSE_IjEEEESG_SI_PmS8_NS6_8equal_toIyEEEE10hipError_tPvRmT2_T3_mT4_T5_T6_T7_T8_P12ihipStream_tbENKUlT_T0_E_clISt17integral_constantIbLb0EES12_IbLb1EEEEDaSY_SZ_EUlSY_E_NS1_11comp_targetILNS1_3genE9ELNS1_11target_archE1100ELNS1_3gpuE3ELNS1_3repE0EEENS1_30default_config_static_selectorELNS0_4arch9wavefront6targetE1EEEvT1_: ; @_ZN7rocprim17ROCPRIM_400000_NS6detail17trampoline_kernelINS0_14default_configENS1_29reduce_by_key_config_selectorIyjN6thrust23THRUST_200600_302600_NS4plusIjEEEEZZNS1_33reduce_by_key_impl_wrapped_configILNS1_25lookback_scan_determinismE0ES3_S9_NS6_6detail15normal_iteratorINS6_10device_ptrIyEEEENSD_INSE_IjEEEESG_SI_PmS8_NS6_8equal_toIyEEEE10hipError_tPvRmT2_T3_mT4_T5_T6_T7_T8_P12ihipStream_tbENKUlT_T0_E_clISt17integral_constantIbLb0EES12_IbLb1EEEEDaSY_SZ_EUlSY_E_NS1_11comp_targetILNS1_3genE9ELNS1_11target_archE1100ELNS1_3gpuE3ELNS1_3repE0EEENS1_30default_config_static_selectorELNS0_4arch9wavefront6targetE1EEEvT1_
; %bb.0:
	.section	.rodata,"a",@progbits
	.p2align	6, 0x0
	.amdhsa_kernel _ZN7rocprim17ROCPRIM_400000_NS6detail17trampoline_kernelINS0_14default_configENS1_29reduce_by_key_config_selectorIyjN6thrust23THRUST_200600_302600_NS4plusIjEEEEZZNS1_33reduce_by_key_impl_wrapped_configILNS1_25lookback_scan_determinismE0ES3_S9_NS6_6detail15normal_iteratorINS6_10device_ptrIyEEEENSD_INSE_IjEEEESG_SI_PmS8_NS6_8equal_toIyEEEE10hipError_tPvRmT2_T3_mT4_T5_T6_T7_T8_P12ihipStream_tbENKUlT_T0_E_clISt17integral_constantIbLb0EES12_IbLb1EEEEDaSY_SZ_EUlSY_E_NS1_11comp_targetILNS1_3genE9ELNS1_11target_archE1100ELNS1_3gpuE3ELNS1_3repE0EEENS1_30default_config_static_selectorELNS0_4arch9wavefront6targetE1EEEvT1_
		.amdhsa_group_segment_fixed_size 0
		.amdhsa_private_segment_fixed_size 0
		.amdhsa_kernarg_size 120
		.amdhsa_user_sgpr_count 6
		.amdhsa_user_sgpr_private_segment_buffer 1
		.amdhsa_user_sgpr_dispatch_ptr 0
		.amdhsa_user_sgpr_queue_ptr 0
		.amdhsa_user_sgpr_kernarg_segment_ptr 1
		.amdhsa_user_sgpr_dispatch_id 0
		.amdhsa_user_sgpr_flat_scratch_init 0
		.amdhsa_user_sgpr_kernarg_preload_length 0
		.amdhsa_user_sgpr_kernarg_preload_offset 0
		.amdhsa_user_sgpr_private_segment_size 0
		.amdhsa_uses_dynamic_stack 0
		.amdhsa_system_sgpr_private_segment_wavefront_offset 0
		.amdhsa_system_sgpr_workgroup_id_x 1
		.amdhsa_system_sgpr_workgroup_id_y 0
		.amdhsa_system_sgpr_workgroup_id_z 0
		.amdhsa_system_sgpr_workgroup_info 0
		.amdhsa_system_vgpr_workitem_id 0
		.amdhsa_next_free_vgpr 1
		.amdhsa_next_free_sgpr 0
		.amdhsa_accum_offset 4
		.amdhsa_reserve_vcc 0
		.amdhsa_reserve_flat_scratch 0
		.amdhsa_float_round_mode_32 0
		.amdhsa_float_round_mode_16_64 0
		.amdhsa_float_denorm_mode_32 3
		.amdhsa_float_denorm_mode_16_64 3
		.amdhsa_dx10_clamp 1
		.amdhsa_ieee_mode 1
		.amdhsa_fp16_overflow 0
		.amdhsa_tg_split 0
		.amdhsa_exception_fp_ieee_invalid_op 0
		.amdhsa_exception_fp_denorm_src 0
		.amdhsa_exception_fp_ieee_div_zero 0
		.amdhsa_exception_fp_ieee_overflow 0
		.amdhsa_exception_fp_ieee_underflow 0
		.amdhsa_exception_fp_ieee_inexact 0
		.amdhsa_exception_int_div_zero 0
	.end_amdhsa_kernel
	.section	.text._ZN7rocprim17ROCPRIM_400000_NS6detail17trampoline_kernelINS0_14default_configENS1_29reduce_by_key_config_selectorIyjN6thrust23THRUST_200600_302600_NS4plusIjEEEEZZNS1_33reduce_by_key_impl_wrapped_configILNS1_25lookback_scan_determinismE0ES3_S9_NS6_6detail15normal_iteratorINS6_10device_ptrIyEEEENSD_INSE_IjEEEESG_SI_PmS8_NS6_8equal_toIyEEEE10hipError_tPvRmT2_T3_mT4_T5_T6_T7_T8_P12ihipStream_tbENKUlT_T0_E_clISt17integral_constantIbLb0EES12_IbLb1EEEEDaSY_SZ_EUlSY_E_NS1_11comp_targetILNS1_3genE9ELNS1_11target_archE1100ELNS1_3gpuE3ELNS1_3repE0EEENS1_30default_config_static_selectorELNS0_4arch9wavefront6targetE1EEEvT1_,"axG",@progbits,_ZN7rocprim17ROCPRIM_400000_NS6detail17trampoline_kernelINS0_14default_configENS1_29reduce_by_key_config_selectorIyjN6thrust23THRUST_200600_302600_NS4plusIjEEEEZZNS1_33reduce_by_key_impl_wrapped_configILNS1_25lookback_scan_determinismE0ES3_S9_NS6_6detail15normal_iteratorINS6_10device_ptrIyEEEENSD_INSE_IjEEEESG_SI_PmS8_NS6_8equal_toIyEEEE10hipError_tPvRmT2_T3_mT4_T5_T6_T7_T8_P12ihipStream_tbENKUlT_T0_E_clISt17integral_constantIbLb0EES12_IbLb1EEEEDaSY_SZ_EUlSY_E_NS1_11comp_targetILNS1_3genE9ELNS1_11target_archE1100ELNS1_3gpuE3ELNS1_3repE0EEENS1_30default_config_static_selectorELNS0_4arch9wavefront6targetE1EEEvT1_,comdat
.Lfunc_end731:
	.size	_ZN7rocprim17ROCPRIM_400000_NS6detail17trampoline_kernelINS0_14default_configENS1_29reduce_by_key_config_selectorIyjN6thrust23THRUST_200600_302600_NS4plusIjEEEEZZNS1_33reduce_by_key_impl_wrapped_configILNS1_25lookback_scan_determinismE0ES3_S9_NS6_6detail15normal_iteratorINS6_10device_ptrIyEEEENSD_INSE_IjEEEESG_SI_PmS8_NS6_8equal_toIyEEEE10hipError_tPvRmT2_T3_mT4_T5_T6_T7_T8_P12ihipStream_tbENKUlT_T0_E_clISt17integral_constantIbLb0EES12_IbLb1EEEEDaSY_SZ_EUlSY_E_NS1_11comp_targetILNS1_3genE9ELNS1_11target_archE1100ELNS1_3gpuE3ELNS1_3repE0EEENS1_30default_config_static_selectorELNS0_4arch9wavefront6targetE1EEEvT1_, .Lfunc_end731-_ZN7rocprim17ROCPRIM_400000_NS6detail17trampoline_kernelINS0_14default_configENS1_29reduce_by_key_config_selectorIyjN6thrust23THRUST_200600_302600_NS4plusIjEEEEZZNS1_33reduce_by_key_impl_wrapped_configILNS1_25lookback_scan_determinismE0ES3_S9_NS6_6detail15normal_iteratorINS6_10device_ptrIyEEEENSD_INSE_IjEEEESG_SI_PmS8_NS6_8equal_toIyEEEE10hipError_tPvRmT2_T3_mT4_T5_T6_T7_T8_P12ihipStream_tbENKUlT_T0_E_clISt17integral_constantIbLb0EES12_IbLb1EEEEDaSY_SZ_EUlSY_E_NS1_11comp_targetILNS1_3genE9ELNS1_11target_archE1100ELNS1_3gpuE3ELNS1_3repE0EEENS1_30default_config_static_selectorELNS0_4arch9wavefront6targetE1EEEvT1_
                                        ; -- End function
	.section	.AMDGPU.csdata,"",@progbits
; Kernel info:
; codeLenInByte = 0
; NumSgprs: 4
; NumVgprs: 0
; NumAgprs: 0
; TotalNumVgprs: 0
; ScratchSize: 0
; MemoryBound: 0
; FloatMode: 240
; IeeeMode: 1
; LDSByteSize: 0 bytes/workgroup (compile time only)
; SGPRBlocks: 0
; VGPRBlocks: 0
; NumSGPRsForWavesPerEU: 4
; NumVGPRsForWavesPerEU: 1
; AccumOffset: 4
; Occupancy: 8
; WaveLimiterHint : 0
; COMPUTE_PGM_RSRC2:SCRATCH_EN: 0
; COMPUTE_PGM_RSRC2:USER_SGPR: 6
; COMPUTE_PGM_RSRC2:TRAP_HANDLER: 0
; COMPUTE_PGM_RSRC2:TGID_X_EN: 1
; COMPUTE_PGM_RSRC2:TGID_Y_EN: 0
; COMPUTE_PGM_RSRC2:TGID_Z_EN: 0
; COMPUTE_PGM_RSRC2:TIDIG_COMP_CNT: 0
; COMPUTE_PGM_RSRC3_GFX90A:ACCUM_OFFSET: 0
; COMPUTE_PGM_RSRC3_GFX90A:TG_SPLIT: 0
	.section	.text._ZN7rocprim17ROCPRIM_400000_NS6detail17trampoline_kernelINS0_14default_configENS1_29reduce_by_key_config_selectorIyjN6thrust23THRUST_200600_302600_NS4plusIjEEEEZZNS1_33reduce_by_key_impl_wrapped_configILNS1_25lookback_scan_determinismE0ES3_S9_NS6_6detail15normal_iteratorINS6_10device_ptrIyEEEENSD_INSE_IjEEEESG_SI_PmS8_NS6_8equal_toIyEEEE10hipError_tPvRmT2_T3_mT4_T5_T6_T7_T8_P12ihipStream_tbENKUlT_T0_E_clISt17integral_constantIbLb0EES12_IbLb1EEEEDaSY_SZ_EUlSY_E_NS1_11comp_targetILNS1_3genE8ELNS1_11target_archE1030ELNS1_3gpuE2ELNS1_3repE0EEENS1_30default_config_static_selectorELNS0_4arch9wavefront6targetE1EEEvT1_,"axG",@progbits,_ZN7rocprim17ROCPRIM_400000_NS6detail17trampoline_kernelINS0_14default_configENS1_29reduce_by_key_config_selectorIyjN6thrust23THRUST_200600_302600_NS4plusIjEEEEZZNS1_33reduce_by_key_impl_wrapped_configILNS1_25lookback_scan_determinismE0ES3_S9_NS6_6detail15normal_iteratorINS6_10device_ptrIyEEEENSD_INSE_IjEEEESG_SI_PmS8_NS6_8equal_toIyEEEE10hipError_tPvRmT2_T3_mT4_T5_T6_T7_T8_P12ihipStream_tbENKUlT_T0_E_clISt17integral_constantIbLb0EES12_IbLb1EEEEDaSY_SZ_EUlSY_E_NS1_11comp_targetILNS1_3genE8ELNS1_11target_archE1030ELNS1_3gpuE2ELNS1_3repE0EEENS1_30default_config_static_selectorELNS0_4arch9wavefront6targetE1EEEvT1_,comdat
	.protected	_ZN7rocprim17ROCPRIM_400000_NS6detail17trampoline_kernelINS0_14default_configENS1_29reduce_by_key_config_selectorIyjN6thrust23THRUST_200600_302600_NS4plusIjEEEEZZNS1_33reduce_by_key_impl_wrapped_configILNS1_25lookback_scan_determinismE0ES3_S9_NS6_6detail15normal_iteratorINS6_10device_ptrIyEEEENSD_INSE_IjEEEESG_SI_PmS8_NS6_8equal_toIyEEEE10hipError_tPvRmT2_T3_mT4_T5_T6_T7_T8_P12ihipStream_tbENKUlT_T0_E_clISt17integral_constantIbLb0EES12_IbLb1EEEEDaSY_SZ_EUlSY_E_NS1_11comp_targetILNS1_3genE8ELNS1_11target_archE1030ELNS1_3gpuE2ELNS1_3repE0EEENS1_30default_config_static_selectorELNS0_4arch9wavefront6targetE1EEEvT1_ ; -- Begin function _ZN7rocprim17ROCPRIM_400000_NS6detail17trampoline_kernelINS0_14default_configENS1_29reduce_by_key_config_selectorIyjN6thrust23THRUST_200600_302600_NS4plusIjEEEEZZNS1_33reduce_by_key_impl_wrapped_configILNS1_25lookback_scan_determinismE0ES3_S9_NS6_6detail15normal_iteratorINS6_10device_ptrIyEEEENSD_INSE_IjEEEESG_SI_PmS8_NS6_8equal_toIyEEEE10hipError_tPvRmT2_T3_mT4_T5_T6_T7_T8_P12ihipStream_tbENKUlT_T0_E_clISt17integral_constantIbLb0EES12_IbLb1EEEEDaSY_SZ_EUlSY_E_NS1_11comp_targetILNS1_3genE8ELNS1_11target_archE1030ELNS1_3gpuE2ELNS1_3repE0EEENS1_30default_config_static_selectorELNS0_4arch9wavefront6targetE1EEEvT1_
	.globl	_ZN7rocprim17ROCPRIM_400000_NS6detail17trampoline_kernelINS0_14default_configENS1_29reduce_by_key_config_selectorIyjN6thrust23THRUST_200600_302600_NS4plusIjEEEEZZNS1_33reduce_by_key_impl_wrapped_configILNS1_25lookback_scan_determinismE0ES3_S9_NS6_6detail15normal_iteratorINS6_10device_ptrIyEEEENSD_INSE_IjEEEESG_SI_PmS8_NS6_8equal_toIyEEEE10hipError_tPvRmT2_T3_mT4_T5_T6_T7_T8_P12ihipStream_tbENKUlT_T0_E_clISt17integral_constantIbLb0EES12_IbLb1EEEEDaSY_SZ_EUlSY_E_NS1_11comp_targetILNS1_3genE8ELNS1_11target_archE1030ELNS1_3gpuE2ELNS1_3repE0EEENS1_30default_config_static_selectorELNS0_4arch9wavefront6targetE1EEEvT1_
	.p2align	8
	.type	_ZN7rocprim17ROCPRIM_400000_NS6detail17trampoline_kernelINS0_14default_configENS1_29reduce_by_key_config_selectorIyjN6thrust23THRUST_200600_302600_NS4plusIjEEEEZZNS1_33reduce_by_key_impl_wrapped_configILNS1_25lookback_scan_determinismE0ES3_S9_NS6_6detail15normal_iteratorINS6_10device_ptrIyEEEENSD_INSE_IjEEEESG_SI_PmS8_NS6_8equal_toIyEEEE10hipError_tPvRmT2_T3_mT4_T5_T6_T7_T8_P12ihipStream_tbENKUlT_T0_E_clISt17integral_constantIbLb0EES12_IbLb1EEEEDaSY_SZ_EUlSY_E_NS1_11comp_targetILNS1_3genE8ELNS1_11target_archE1030ELNS1_3gpuE2ELNS1_3repE0EEENS1_30default_config_static_selectorELNS0_4arch9wavefront6targetE1EEEvT1_,@function
_ZN7rocprim17ROCPRIM_400000_NS6detail17trampoline_kernelINS0_14default_configENS1_29reduce_by_key_config_selectorIyjN6thrust23THRUST_200600_302600_NS4plusIjEEEEZZNS1_33reduce_by_key_impl_wrapped_configILNS1_25lookback_scan_determinismE0ES3_S9_NS6_6detail15normal_iteratorINS6_10device_ptrIyEEEENSD_INSE_IjEEEESG_SI_PmS8_NS6_8equal_toIyEEEE10hipError_tPvRmT2_T3_mT4_T5_T6_T7_T8_P12ihipStream_tbENKUlT_T0_E_clISt17integral_constantIbLb0EES12_IbLb1EEEEDaSY_SZ_EUlSY_E_NS1_11comp_targetILNS1_3genE8ELNS1_11target_archE1030ELNS1_3gpuE2ELNS1_3repE0EEENS1_30default_config_static_selectorELNS0_4arch9wavefront6targetE1EEEvT1_: ; @_ZN7rocprim17ROCPRIM_400000_NS6detail17trampoline_kernelINS0_14default_configENS1_29reduce_by_key_config_selectorIyjN6thrust23THRUST_200600_302600_NS4plusIjEEEEZZNS1_33reduce_by_key_impl_wrapped_configILNS1_25lookback_scan_determinismE0ES3_S9_NS6_6detail15normal_iteratorINS6_10device_ptrIyEEEENSD_INSE_IjEEEESG_SI_PmS8_NS6_8equal_toIyEEEE10hipError_tPvRmT2_T3_mT4_T5_T6_T7_T8_P12ihipStream_tbENKUlT_T0_E_clISt17integral_constantIbLb0EES12_IbLb1EEEEDaSY_SZ_EUlSY_E_NS1_11comp_targetILNS1_3genE8ELNS1_11target_archE1030ELNS1_3gpuE2ELNS1_3repE0EEENS1_30default_config_static_selectorELNS0_4arch9wavefront6targetE1EEEvT1_
; %bb.0:
	.section	.rodata,"a",@progbits
	.p2align	6, 0x0
	.amdhsa_kernel _ZN7rocprim17ROCPRIM_400000_NS6detail17trampoline_kernelINS0_14default_configENS1_29reduce_by_key_config_selectorIyjN6thrust23THRUST_200600_302600_NS4plusIjEEEEZZNS1_33reduce_by_key_impl_wrapped_configILNS1_25lookback_scan_determinismE0ES3_S9_NS6_6detail15normal_iteratorINS6_10device_ptrIyEEEENSD_INSE_IjEEEESG_SI_PmS8_NS6_8equal_toIyEEEE10hipError_tPvRmT2_T3_mT4_T5_T6_T7_T8_P12ihipStream_tbENKUlT_T0_E_clISt17integral_constantIbLb0EES12_IbLb1EEEEDaSY_SZ_EUlSY_E_NS1_11comp_targetILNS1_3genE8ELNS1_11target_archE1030ELNS1_3gpuE2ELNS1_3repE0EEENS1_30default_config_static_selectorELNS0_4arch9wavefront6targetE1EEEvT1_
		.amdhsa_group_segment_fixed_size 0
		.amdhsa_private_segment_fixed_size 0
		.amdhsa_kernarg_size 120
		.amdhsa_user_sgpr_count 6
		.amdhsa_user_sgpr_private_segment_buffer 1
		.amdhsa_user_sgpr_dispatch_ptr 0
		.amdhsa_user_sgpr_queue_ptr 0
		.amdhsa_user_sgpr_kernarg_segment_ptr 1
		.amdhsa_user_sgpr_dispatch_id 0
		.amdhsa_user_sgpr_flat_scratch_init 0
		.amdhsa_user_sgpr_kernarg_preload_length 0
		.amdhsa_user_sgpr_kernarg_preload_offset 0
		.amdhsa_user_sgpr_private_segment_size 0
		.amdhsa_uses_dynamic_stack 0
		.amdhsa_system_sgpr_private_segment_wavefront_offset 0
		.amdhsa_system_sgpr_workgroup_id_x 1
		.amdhsa_system_sgpr_workgroup_id_y 0
		.amdhsa_system_sgpr_workgroup_id_z 0
		.amdhsa_system_sgpr_workgroup_info 0
		.amdhsa_system_vgpr_workitem_id 0
		.amdhsa_next_free_vgpr 1
		.amdhsa_next_free_sgpr 0
		.amdhsa_accum_offset 4
		.amdhsa_reserve_vcc 0
		.amdhsa_reserve_flat_scratch 0
		.amdhsa_float_round_mode_32 0
		.amdhsa_float_round_mode_16_64 0
		.amdhsa_float_denorm_mode_32 3
		.amdhsa_float_denorm_mode_16_64 3
		.amdhsa_dx10_clamp 1
		.amdhsa_ieee_mode 1
		.amdhsa_fp16_overflow 0
		.amdhsa_tg_split 0
		.amdhsa_exception_fp_ieee_invalid_op 0
		.amdhsa_exception_fp_denorm_src 0
		.amdhsa_exception_fp_ieee_div_zero 0
		.amdhsa_exception_fp_ieee_overflow 0
		.amdhsa_exception_fp_ieee_underflow 0
		.amdhsa_exception_fp_ieee_inexact 0
		.amdhsa_exception_int_div_zero 0
	.end_amdhsa_kernel
	.section	.text._ZN7rocprim17ROCPRIM_400000_NS6detail17trampoline_kernelINS0_14default_configENS1_29reduce_by_key_config_selectorIyjN6thrust23THRUST_200600_302600_NS4plusIjEEEEZZNS1_33reduce_by_key_impl_wrapped_configILNS1_25lookback_scan_determinismE0ES3_S9_NS6_6detail15normal_iteratorINS6_10device_ptrIyEEEENSD_INSE_IjEEEESG_SI_PmS8_NS6_8equal_toIyEEEE10hipError_tPvRmT2_T3_mT4_T5_T6_T7_T8_P12ihipStream_tbENKUlT_T0_E_clISt17integral_constantIbLb0EES12_IbLb1EEEEDaSY_SZ_EUlSY_E_NS1_11comp_targetILNS1_3genE8ELNS1_11target_archE1030ELNS1_3gpuE2ELNS1_3repE0EEENS1_30default_config_static_selectorELNS0_4arch9wavefront6targetE1EEEvT1_,"axG",@progbits,_ZN7rocprim17ROCPRIM_400000_NS6detail17trampoline_kernelINS0_14default_configENS1_29reduce_by_key_config_selectorIyjN6thrust23THRUST_200600_302600_NS4plusIjEEEEZZNS1_33reduce_by_key_impl_wrapped_configILNS1_25lookback_scan_determinismE0ES3_S9_NS6_6detail15normal_iteratorINS6_10device_ptrIyEEEENSD_INSE_IjEEEESG_SI_PmS8_NS6_8equal_toIyEEEE10hipError_tPvRmT2_T3_mT4_T5_T6_T7_T8_P12ihipStream_tbENKUlT_T0_E_clISt17integral_constantIbLb0EES12_IbLb1EEEEDaSY_SZ_EUlSY_E_NS1_11comp_targetILNS1_3genE8ELNS1_11target_archE1030ELNS1_3gpuE2ELNS1_3repE0EEENS1_30default_config_static_selectorELNS0_4arch9wavefront6targetE1EEEvT1_,comdat
.Lfunc_end732:
	.size	_ZN7rocprim17ROCPRIM_400000_NS6detail17trampoline_kernelINS0_14default_configENS1_29reduce_by_key_config_selectorIyjN6thrust23THRUST_200600_302600_NS4plusIjEEEEZZNS1_33reduce_by_key_impl_wrapped_configILNS1_25lookback_scan_determinismE0ES3_S9_NS6_6detail15normal_iteratorINS6_10device_ptrIyEEEENSD_INSE_IjEEEESG_SI_PmS8_NS6_8equal_toIyEEEE10hipError_tPvRmT2_T3_mT4_T5_T6_T7_T8_P12ihipStream_tbENKUlT_T0_E_clISt17integral_constantIbLb0EES12_IbLb1EEEEDaSY_SZ_EUlSY_E_NS1_11comp_targetILNS1_3genE8ELNS1_11target_archE1030ELNS1_3gpuE2ELNS1_3repE0EEENS1_30default_config_static_selectorELNS0_4arch9wavefront6targetE1EEEvT1_, .Lfunc_end732-_ZN7rocprim17ROCPRIM_400000_NS6detail17trampoline_kernelINS0_14default_configENS1_29reduce_by_key_config_selectorIyjN6thrust23THRUST_200600_302600_NS4plusIjEEEEZZNS1_33reduce_by_key_impl_wrapped_configILNS1_25lookback_scan_determinismE0ES3_S9_NS6_6detail15normal_iteratorINS6_10device_ptrIyEEEENSD_INSE_IjEEEESG_SI_PmS8_NS6_8equal_toIyEEEE10hipError_tPvRmT2_T3_mT4_T5_T6_T7_T8_P12ihipStream_tbENKUlT_T0_E_clISt17integral_constantIbLb0EES12_IbLb1EEEEDaSY_SZ_EUlSY_E_NS1_11comp_targetILNS1_3genE8ELNS1_11target_archE1030ELNS1_3gpuE2ELNS1_3repE0EEENS1_30default_config_static_selectorELNS0_4arch9wavefront6targetE1EEEvT1_
                                        ; -- End function
	.section	.AMDGPU.csdata,"",@progbits
; Kernel info:
; codeLenInByte = 0
; NumSgprs: 4
; NumVgprs: 0
; NumAgprs: 0
; TotalNumVgprs: 0
; ScratchSize: 0
; MemoryBound: 0
; FloatMode: 240
; IeeeMode: 1
; LDSByteSize: 0 bytes/workgroup (compile time only)
; SGPRBlocks: 0
; VGPRBlocks: 0
; NumSGPRsForWavesPerEU: 4
; NumVGPRsForWavesPerEU: 1
; AccumOffset: 4
; Occupancy: 8
; WaveLimiterHint : 0
; COMPUTE_PGM_RSRC2:SCRATCH_EN: 0
; COMPUTE_PGM_RSRC2:USER_SGPR: 6
; COMPUTE_PGM_RSRC2:TRAP_HANDLER: 0
; COMPUTE_PGM_RSRC2:TGID_X_EN: 1
; COMPUTE_PGM_RSRC2:TGID_Y_EN: 0
; COMPUTE_PGM_RSRC2:TGID_Z_EN: 0
; COMPUTE_PGM_RSRC2:TIDIG_COMP_CNT: 0
; COMPUTE_PGM_RSRC3_GFX90A:ACCUM_OFFSET: 0
; COMPUTE_PGM_RSRC3_GFX90A:TG_SPLIT: 0
	.section	.text._ZN7rocprim17ROCPRIM_400000_NS6detail17trampoline_kernelINS0_14default_configENS1_29reduce_by_key_config_selectorItjN6thrust23THRUST_200600_302600_NS4plusIjEEEEZZNS1_33reduce_by_key_impl_wrapped_configILNS1_25lookback_scan_determinismE0ES3_S9_NS6_6detail15normal_iteratorINS6_10device_ptrItEEEENSD_INSE_IjEEEESG_SI_PmS8_NS6_8equal_toItEEEE10hipError_tPvRmT2_T3_mT4_T5_T6_T7_T8_P12ihipStream_tbENKUlT_T0_E_clISt17integral_constantIbLb0EES13_EEDaSY_SZ_EUlSY_E_NS1_11comp_targetILNS1_3genE0ELNS1_11target_archE4294967295ELNS1_3gpuE0ELNS1_3repE0EEENS1_30default_config_static_selectorELNS0_4arch9wavefront6targetE1EEEvT1_,"axG",@progbits,_ZN7rocprim17ROCPRIM_400000_NS6detail17trampoline_kernelINS0_14default_configENS1_29reduce_by_key_config_selectorItjN6thrust23THRUST_200600_302600_NS4plusIjEEEEZZNS1_33reduce_by_key_impl_wrapped_configILNS1_25lookback_scan_determinismE0ES3_S9_NS6_6detail15normal_iteratorINS6_10device_ptrItEEEENSD_INSE_IjEEEESG_SI_PmS8_NS6_8equal_toItEEEE10hipError_tPvRmT2_T3_mT4_T5_T6_T7_T8_P12ihipStream_tbENKUlT_T0_E_clISt17integral_constantIbLb0EES13_EEDaSY_SZ_EUlSY_E_NS1_11comp_targetILNS1_3genE0ELNS1_11target_archE4294967295ELNS1_3gpuE0ELNS1_3repE0EEENS1_30default_config_static_selectorELNS0_4arch9wavefront6targetE1EEEvT1_,comdat
	.protected	_ZN7rocprim17ROCPRIM_400000_NS6detail17trampoline_kernelINS0_14default_configENS1_29reduce_by_key_config_selectorItjN6thrust23THRUST_200600_302600_NS4plusIjEEEEZZNS1_33reduce_by_key_impl_wrapped_configILNS1_25lookback_scan_determinismE0ES3_S9_NS6_6detail15normal_iteratorINS6_10device_ptrItEEEENSD_INSE_IjEEEESG_SI_PmS8_NS6_8equal_toItEEEE10hipError_tPvRmT2_T3_mT4_T5_T6_T7_T8_P12ihipStream_tbENKUlT_T0_E_clISt17integral_constantIbLb0EES13_EEDaSY_SZ_EUlSY_E_NS1_11comp_targetILNS1_3genE0ELNS1_11target_archE4294967295ELNS1_3gpuE0ELNS1_3repE0EEENS1_30default_config_static_selectorELNS0_4arch9wavefront6targetE1EEEvT1_ ; -- Begin function _ZN7rocprim17ROCPRIM_400000_NS6detail17trampoline_kernelINS0_14default_configENS1_29reduce_by_key_config_selectorItjN6thrust23THRUST_200600_302600_NS4plusIjEEEEZZNS1_33reduce_by_key_impl_wrapped_configILNS1_25lookback_scan_determinismE0ES3_S9_NS6_6detail15normal_iteratorINS6_10device_ptrItEEEENSD_INSE_IjEEEESG_SI_PmS8_NS6_8equal_toItEEEE10hipError_tPvRmT2_T3_mT4_T5_T6_T7_T8_P12ihipStream_tbENKUlT_T0_E_clISt17integral_constantIbLb0EES13_EEDaSY_SZ_EUlSY_E_NS1_11comp_targetILNS1_3genE0ELNS1_11target_archE4294967295ELNS1_3gpuE0ELNS1_3repE0EEENS1_30default_config_static_selectorELNS0_4arch9wavefront6targetE1EEEvT1_
	.globl	_ZN7rocprim17ROCPRIM_400000_NS6detail17trampoline_kernelINS0_14default_configENS1_29reduce_by_key_config_selectorItjN6thrust23THRUST_200600_302600_NS4plusIjEEEEZZNS1_33reduce_by_key_impl_wrapped_configILNS1_25lookback_scan_determinismE0ES3_S9_NS6_6detail15normal_iteratorINS6_10device_ptrItEEEENSD_INSE_IjEEEESG_SI_PmS8_NS6_8equal_toItEEEE10hipError_tPvRmT2_T3_mT4_T5_T6_T7_T8_P12ihipStream_tbENKUlT_T0_E_clISt17integral_constantIbLb0EES13_EEDaSY_SZ_EUlSY_E_NS1_11comp_targetILNS1_3genE0ELNS1_11target_archE4294967295ELNS1_3gpuE0ELNS1_3repE0EEENS1_30default_config_static_selectorELNS0_4arch9wavefront6targetE1EEEvT1_
	.p2align	8
	.type	_ZN7rocprim17ROCPRIM_400000_NS6detail17trampoline_kernelINS0_14default_configENS1_29reduce_by_key_config_selectorItjN6thrust23THRUST_200600_302600_NS4plusIjEEEEZZNS1_33reduce_by_key_impl_wrapped_configILNS1_25lookback_scan_determinismE0ES3_S9_NS6_6detail15normal_iteratorINS6_10device_ptrItEEEENSD_INSE_IjEEEESG_SI_PmS8_NS6_8equal_toItEEEE10hipError_tPvRmT2_T3_mT4_T5_T6_T7_T8_P12ihipStream_tbENKUlT_T0_E_clISt17integral_constantIbLb0EES13_EEDaSY_SZ_EUlSY_E_NS1_11comp_targetILNS1_3genE0ELNS1_11target_archE4294967295ELNS1_3gpuE0ELNS1_3repE0EEENS1_30default_config_static_selectorELNS0_4arch9wavefront6targetE1EEEvT1_,@function
_ZN7rocprim17ROCPRIM_400000_NS6detail17trampoline_kernelINS0_14default_configENS1_29reduce_by_key_config_selectorItjN6thrust23THRUST_200600_302600_NS4plusIjEEEEZZNS1_33reduce_by_key_impl_wrapped_configILNS1_25lookback_scan_determinismE0ES3_S9_NS6_6detail15normal_iteratorINS6_10device_ptrItEEEENSD_INSE_IjEEEESG_SI_PmS8_NS6_8equal_toItEEEE10hipError_tPvRmT2_T3_mT4_T5_T6_T7_T8_P12ihipStream_tbENKUlT_T0_E_clISt17integral_constantIbLb0EES13_EEDaSY_SZ_EUlSY_E_NS1_11comp_targetILNS1_3genE0ELNS1_11target_archE4294967295ELNS1_3gpuE0ELNS1_3repE0EEENS1_30default_config_static_selectorELNS0_4arch9wavefront6targetE1EEEvT1_: ; @_ZN7rocprim17ROCPRIM_400000_NS6detail17trampoline_kernelINS0_14default_configENS1_29reduce_by_key_config_selectorItjN6thrust23THRUST_200600_302600_NS4plusIjEEEEZZNS1_33reduce_by_key_impl_wrapped_configILNS1_25lookback_scan_determinismE0ES3_S9_NS6_6detail15normal_iteratorINS6_10device_ptrItEEEENSD_INSE_IjEEEESG_SI_PmS8_NS6_8equal_toItEEEE10hipError_tPvRmT2_T3_mT4_T5_T6_T7_T8_P12ihipStream_tbENKUlT_T0_E_clISt17integral_constantIbLb0EES13_EEDaSY_SZ_EUlSY_E_NS1_11comp_targetILNS1_3genE0ELNS1_11target_archE4294967295ELNS1_3gpuE0ELNS1_3repE0EEENS1_30default_config_static_selectorELNS0_4arch9wavefront6targetE1EEEvT1_
; %bb.0:
	.section	.rodata,"a",@progbits
	.p2align	6, 0x0
	.amdhsa_kernel _ZN7rocprim17ROCPRIM_400000_NS6detail17trampoline_kernelINS0_14default_configENS1_29reduce_by_key_config_selectorItjN6thrust23THRUST_200600_302600_NS4plusIjEEEEZZNS1_33reduce_by_key_impl_wrapped_configILNS1_25lookback_scan_determinismE0ES3_S9_NS6_6detail15normal_iteratorINS6_10device_ptrItEEEENSD_INSE_IjEEEESG_SI_PmS8_NS6_8equal_toItEEEE10hipError_tPvRmT2_T3_mT4_T5_T6_T7_T8_P12ihipStream_tbENKUlT_T0_E_clISt17integral_constantIbLb0EES13_EEDaSY_SZ_EUlSY_E_NS1_11comp_targetILNS1_3genE0ELNS1_11target_archE4294967295ELNS1_3gpuE0ELNS1_3repE0EEENS1_30default_config_static_selectorELNS0_4arch9wavefront6targetE1EEEvT1_
		.amdhsa_group_segment_fixed_size 0
		.amdhsa_private_segment_fixed_size 0
		.amdhsa_kernarg_size 120
		.amdhsa_user_sgpr_count 6
		.amdhsa_user_sgpr_private_segment_buffer 1
		.amdhsa_user_sgpr_dispatch_ptr 0
		.amdhsa_user_sgpr_queue_ptr 0
		.amdhsa_user_sgpr_kernarg_segment_ptr 1
		.amdhsa_user_sgpr_dispatch_id 0
		.amdhsa_user_sgpr_flat_scratch_init 0
		.amdhsa_user_sgpr_kernarg_preload_length 0
		.amdhsa_user_sgpr_kernarg_preload_offset 0
		.amdhsa_user_sgpr_private_segment_size 0
		.amdhsa_uses_dynamic_stack 0
		.amdhsa_system_sgpr_private_segment_wavefront_offset 0
		.amdhsa_system_sgpr_workgroup_id_x 1
		.amdhsa_system_sgpr_workgroup_id_y 0
		.amdhsa_system_sgpr_workgroup_id_z 0
		.amdhsa_system_sgpr_workgroup_info 0
		.amdhsa_system_vgpr_workitem_id 0
		.amdhsa_next_free_vgpr 1
		.amdhsa_next_free_sgpr 0
		.amdhsa_accum_offset 4
		.amdhsa_reserve_vcc 0
		.amdhsa_reserve_flat_scratch 0
		.amdhsa_float_round_mode_32 0
		.amdhsa_float_round_mode_16_64 0
		.amdhsa_float_denorm_mode_32 3
		.amdhsa_float_denorm_mode_16_64 3
		.amdhsa_dx10_clamp 1
		.amdhsa_ieee_mode 1
		.amdhsa_fp16_overflow 0
		.amdhsa_tg_split 0
		.amdhsa_exception_fp_ieee_invalid_op 0
		.amdhsa_exception_fp_denorm_src 0
		.amdhsa_exception_fp_ieee_div_zero 0
		.amdhsa_exception_fp_ieee_overflow 0
		.amdhsa_exception_fp_ieee_underflow 0
		.amdhsa_exception_fp_ieee_inexact 0
		.amdhsa_exception_int_div_zero 0
	.end_amdhsa_kernel
	.section	.text._ZN7rocprim17ROCPRIM_400000_NS6detail17trampoline_kernelINS0_14default_configENS1_29reduce_by_key_config_selectorItjN6thrust23THRUST_200600_302600_NS4plusIjEEEEZZNS1_33reduce_by_key_impl_wrapped_configILNS1_25lookback_scan_determinismE0ES3_S9_NS6_6detail15normal_iteratorINS6_10device_ptrItEEEENSD_INSE_IjEEEESG_SI_PmS8_NS6_8equal_toItEEEE10hipError_tPvRmT2_T3_mT4_T5_T6_T7_T8_P12ihipStream_tbENKUlT_T0_E_clISt17integral_constantIbLb0EES13_EEDaSY_SZ_EUlSY_E_NS1_11comp_targetILNS1_3genE0ELNS1_11target_archE4294967295ELNS1_3gpuE0ELNS1_3repE0EEENS1_30default_config_static_selectorELNS0_4arch9wavefront6targetE1EEEvT1_,"axG",@progbits,_ZN7rocprim17ROCPRIM_400000_NS6detail17trampoline_kernelINS0_14default_configENS1_29reduce_by_key_config_selectorItjN6thrust23THRUST_200600_302600_NS4plusIjEEEEZZNS1_33reduce_by_key_impl_wrapped_configILNS1_25lookback_scan_determinismE0ES3_S9_NS6_6detail15normal_iteratorINS6_10device_ptrItEEEENSD_INSE_IjEEEESG_SI_PmS8_NS6_8equal_toItEEEE10hipError_tPvRmT2_T3_mT4_T5_T6_T7_T8_P12ihipStream_tbENKUlT_T0_E_clISt17integral_constantIbLb0EES13_EEDaSY_SZ_EUlSY_E_NS1_11comp_targetILNS1_3genE0ELNS1_11target_archE4294967295ELNS1_3gpuE0ELNS1_3repE0EEENS1_30default_config_static_selectorELNS0_4arch9wavefront6targetE1EEEvT1_,comdat
.Lfunc_end733:
	.size	_ZN7rocprim17ROCPRIM_400000_NS6detail17trampoline_kernelINS0_14default_configENS1_29reduce_by_key_config_selectorItjN6thrust23THRUST_200600_302600_NS4plusIjEEEEZZNS1_33reduce_by_key_impl_wrapped_configILNS1_25lookback_scan_determinismE0ES3_S9_NS6_6detail15normal_iteratorINS6_10device_ptrItEEEENSD_INSE_IjEEEESG_SI_PmS8_NS6_8equal_toItEEEE10hipError_tPvRmT2_T3_mT4_T5_T6_T7_T8_P12ihipStream_tbENKUlT_T0_E_clISt17integral_constantIbLb0EES13_EEDaSY_SZ_EUlSY_E_NS1_11comp_targetILNS1_3genE0ELNS1_11target_archE4294967295ELNS1_3gpuE0ELNS1_3repE0EEENS1_30default_config_static_selectorELNS0_4arch9wavefront6targetE1EEEvT1_, .Lfunc_end733-_ZN7rocprim17ROCPRIM_400000_NS6detail17trampoline_kernelINS0_14default_configENS1_29reduce_by_key_config_selectorItjN6thrust23THRUST_200600_302600_NS4plusIjEEEEZZNS1_33reduce_by_key_impl_wrapped_configILNS1_25lookback_scan_determinismE0ES3_S9_NS6_6detail15normal_iteratorINS6_10device_ptrItEEEENSD_INSE_IjEEEESG_SI_PmS8_NS6_8equal_toItEEEE10hipError_tPvRmT2_T3_mT4_T5_T6_T7_T8_P12ihipStream_tbENKUlT_T0_E_clISt17integral_constantIbLb0EES13_EEDaSY_SZ_EUlSY_E_NS1_11comp_targetILNS1_3genE0ELNS1_11target_archE4294967295ELNS1_3gpuE0ELNS1_3repE0EEENS1_30default_config_static_selectorELNS0_4arch9wavefront6targetE1EEEvT1_
                                        ; -- End function
	.section	.AMDGPU.csdata,"",@progbits
; Kernel info:
; codeLenInByte = 0
; NumSgprs: 4
; NumVgprs: 0
; NumAgprs: 0
; TotalNumVgprs: 0
; ScratchSize: 0
; MemoryBound: 0
; FloatMode: 240
; IeeeMode: 1
; LDSByteSize: 0 bytes/workgroup (compile time only)
; SGPRBlocks: 0
; VGPRBlocks: 0
; NumSGPRsForWavesPerEU: 4
; NumVGPRsForWavesPerEU: 1
; AccumOffset: 4
; Occupancy: 8
; WaveLimiterHint : 0
; COMPUTE_PGM_RSRC2:SCRATCH_EN: 0
; COMPUTE_PGM_RSRC2:USER_SGPR: 6
; COMPUTE_PGM_RSRC2:TRAP_HANDLER: 0
; COMPUTE_PGM_RSRC2:TGID_X_EN: 1
; COMPUTE_PGM_RSRC2:TGID_Y_EN: 0
; COMPUTE_PGM_RSRC2:TGID_Z_EN: 0
; COMPUTE_PGM_RSRC2:TIDIG_COMP_CNT: 0
; COMPUTE_PGM_RSRC3_GFX90A:ACCUM_OFFSET: 0
; COMPUTE_PGM_RSRC3_GFX90A:TG_SPLIT: 0
	.section	.text._ZN7rocprim17ROCPRIM_400000_NS6detail17trampoline_kernelINS0_14default_configENS1_29reduce_by_key_config_selectorItjN6thrust23THRUST_200600_302600_NS4plusIjEEEEZZNS1_33reduce_by_key_impl_wrapped_configILNS1_25lookback_scan_determinismE0ES3_S9_NS6_6detail15normal_iteratorINS6_10device_ptrItEEEENSD_INSE_IjEEEESG_SI_PmS8_NS6_8equal_toItEEEE10hipError_tPvRmT2_T3_mT4_T5_T6_T7_T8_P12ihipStream_tbENKUlT_T0_E_clISt17integral_constantIbLb0EES13_EEDaSY_SZ_EUlSY_E_NS1_11comp_targetILNS1_3genE5ELNS1_11target_archE942ELNS1_3gpuE9ELNS1_3repE0EEENS1_30default_config_static_selectorELNS0_4arch9wavefront6targetE1EEEvT1_,"axG",@progbits,_ZN7rocprim17ROCPRIM_400000_NS6detail17trampoline_kernelINS0_14default_configENS1_29reduce_by_key_config_selectorItjN6thrust23THRUST_200600_302600_NS4plusIjEEEEZZNS1_33reduce_by_key_impl_wrapped_configILNS1_25lookback_scan_determinismE0ES3_S9_NS6_6detail15normal_iteratorINS6_10device_ptrItEEEENSD_INSE_IjEEEESG_SI_PmS8_NS6_8equal_toItEEEE10hipError_tPvRmT2_T3_mT4_T5_T6_T7_T8_P12ihipStream_tbENKUlT_T0_E_clISt17integral_constantIbLb0EES13_EEDaSY_SZ_EUlSY_E_NS1_11comp_targetILNS1_3genE5ELNS1_11target_archE942ELNS1_3gpuE9ELNS1_3repE0EEENS1_30default_config_static_selectorELNS0_4arch9wavefront6targetE1EEEvT1_,comdat
	.protected	_ZN7rocprim17ROCPRIM_400000_NS6detail17trampoline_kernelINS0_14default_configENS1_29reduce_by_key_config_selectorItjN6thrust23THRUST_200600_302600_NS4plusIjEEEEZZNS1_33reduce_by_key_impl_wrapped_configILNS1_25lookback_scan_determinismE0ES3_S9_NS6_6detail15normal_iteratorINS6_10device_ptrItEEEENSD_INSE_IjEEEESG_SI_PmS8_NS6_8equal_toItEEEE10hipError_tPvRmT2_T3_mT4_T5_T6_T7_T8_P12ihipStream_tbENKUlT_T0_E_clISt17integral_constantIbLb0EES13_EEDaSY_SZ_EUlSY_E_NS1_11comp_targetILNS1_3genE5ELNS1_11target_archE942ELNS1_3gpuE9ELNS1_3repE0EEENS1_30default_config_static_selectorELNS0_4arch9wavefront6targetE1EEEvT1_ ; -- Begin function _ZN7rocprim17ROCPRIM_400000_NS6detail17trampoline_kernelINS0_14default_configENS1_29reduce_by_key_config_selectorItjN6thrust23THRUST_200600_302600_NS4plusIjEEEEZZNS1_33reduce_by_key_impl_wrapped_configILNS1_25lookback_scan_determinismE0ES3_S9_NS6_6detail15normal_iteratorINS6_10device_ptrItEEEENSD_INSE_IjEEEESG_SI_PmS8_NS6_8equal_toItEEEE10hipError_tPvRmT2_T3_mT4_T5_T6_T7_T8_P12ihipStream_tbENKUlT_T0_E_clISt17integral_constantIbLb0EES13_EEDaSY_SZ_EUlSY_E_NS1_11comp_targetILNS1_3genE5ELNS1_11target_archE942ELNS1_3gpuE9ELNS1_3repE0EEENS1_30default_config_static_selectorELNS0_4arch9wavefront6targetE1EEEvT1_
	.globl	_ZN7rocprim17ROCPRIM_400000_NS6detail17trampoline_kernelINS0_14default_configENS1_29reduce_by_key_config_selectorItjN6thrust23THRUST_200600_302600_NS4plusIjEEEEZZNS1_33reduce_by_key_impl_wrapped_configILNS1_25lookback_scan_determinismE0ES3_S9_NS6_6detail15normal_iteratorINS6_10device_ptrItEEEENSD_INSE_IjEEEESG_SI_PmS8_NS6_8equal_toItEEEE10hipError_tPvRmT2_T3_mT4_T5_T6_T7_T8_P12ihipStream_tbENKUlT_T0_E_clISt17integral_constantIbLb0EES13_EEDaSY_SZ_EUlSY_E_NS1_11comp_targetILNS1_3genE5ELNS1_11target_archE942ELNS1_3gpuE9ELNS1_3repE0EEENS1_30default_config_static_selectorELNS0_4arch9wavefront6targetE1EEEvT1_
	.p2align	8
	.type	_ZN7rocprim17ROCPRIM_400000_NS6detail17trampoline_kernelINS0_14default_configENS1_29reduce_by_key_config_selectorItjN6thrust23THRUST_200600_302600_NS4plusIjEEEEZZNS1_33reduce_by_key_impl_wrapped_configILNS1_25lookback_scan_determinismE0ES3_S9_NS6_6detail15normal_iteratorINS6_10device_ptrItEEEENSD_INSE_IjEEEESG_SI_PmS8_NS6_8equal_toItEEEE10hipError_tPvRmT2_T3_mT4_T5_T6_T7_T8_P12ihipStream_tbENKUlT_T0_E_clISt17integral_constantIbLb0EES13_EEDaSY_SZ_EUlSY_E_NS1_11comp_targetILNS1_3genE5ELNS1_11target_archE942ELNS1_3gpuE9ELNS1_3repE0EEENS1_30default_config_static_selectorELNS0_4arch9wavefront6targetE1EEEvT1_,@function
_ZN7rocprim17ROCPRIM_400000_NS6detail17trampoline_kernelINS0_14default_configENS1_29reduce_by_key_config_selectorItjN6thrust23THRUST_200600_302600_NS4plusIjEEEEZZNS1_33reduce_by_key_impl_wrapped_configILNS1_25lookback_scan_determinismE0ES3_S9_NS6_6detail15normal_iteratorINS6_10device_ptrItEEEENSD_INSE_IjEEEESG_SI_PmS8_NS6_8equal_toItEEEE10hipError_tPvRmT2_T3_mT4_T5_T6_T7_T8_P12ihipStream_tbENKUlT_T0_E_clISt17integral_constantIbLb0EES13_EEDaSY_SZ_EUlSY_E_NS1_11comp_targetILNS1_3genE5ELNS1_11target_archE942ELNS1_3gpuE9ELNS1_3repE0EEENS1_30default_config_static_selectorELNS0_4arch9wavefront6targetE1EEEvT1_: ; @_ZN7rocprim17ROCPRIM_400000_NS6detail17trampoline_kernelINS0_14default_configENS1_29reduce_by_key_config_selectorItjN6thrust23THRUST_200600_302600_NS4plusIjEEEEZZNS1_33reduce_by_key_impl_wrapped_configILNS1_25lookback_scan_determinismE0ES3_S9_NS6_6detail15normal_iteratorINS6_10device_ptrItEEEENSD_INSE_IjEEEESG_SI_PmS8_NS6_8equal_toItEEEE10hipError_tPvRmT2_T3_mT4_T5_T6_T7_T8_P12ihipStream_tbENKUlT_T0_E_clISt17integral_constantIbLb0EES13_EEDaSY_SZ_EUlSY_E_NS1_11comp_targetILNS1_3genE5ELNS1_11target_archE942ELNS1_3gpuE9ELNS1_3repE0EEENS1_30default_config_static_selectorELNS0_4arch9wavefront6targetE1EEEvT1_
; %bb.0:
	.section	.rodata,"a",@progbits
	.p2align	6, 0x0
	.amdhsa_kernel _ZN7rocprim17ROCPRIM_400000_NS6detail17trampoline_kernelINS0_14default_configENS1_29reduce_by_key_config_selectorItjN6thrust23THRUST_200600_302600_NS4plusIjEEEEZZNS1_33reduce_by_key_impl_wrapped_configILNS1_25lookback_scan_determinismE0ES3_S9_NS6_6detail15normal_iteratorINS6_10device_ptrItEEEENSD_INSE_IjEEEESG_SI_PmS8_NS6_8equal_toItEEEE10hipError_tPvRmT2_T3_mT4_T5_T6_T7_T8_P12ihipStream_tbENKUlT_T0_E_clISt17integral_constantIbLb0EES13_EEDaSY_SZ_EUlSY_E_NS1_11comp_targetILNS1_3genE5ELNS1_11target_archE942ELNS1_3gpuE9ELNS1_3repE0EEENS1_30default_config_static_selectorELNS0_4arch9wavefront6targetE1EEEvT1_
		.amdhsa_group_segment_fixed_size 0
		.amdhsa_private_segment_fixed_size 0
		.amdhsa_kernarg_size 120
		.amdhsa_user_sgpr_count 6
		.amdhsa_user_sgpr_private_segment_buffer 1
		.amdhsa_user_sgpr_dispatch_ptr 0
		.amdhsa_user_sgpr_queue_ptr 0
		.amdhsa_user_sgpr_kernarg_segment_ptr 1
		.amdhsa_user_sgpr_dispatch_id 0
		.amdhsa_user_sgpr_flat_scratch_init 0
		.amdhsa_user_sgpr_kernarg_preload_length 0
		.amdhsa_user_sgpr_kernarg_preload_offset 0
		.amdhsa_user_sgpr_private_segment_size 0
		.amdhsa_uses_dynamic_stack 0
		.amdhsa_system_sgpr_private_segment_wavefront_offset 0
		.amdhsa_system_sgpr_workgroup_id_x 1
		.amdhsa_system_sgpr_workgroup_id_y 0
		.amdhsa_system_sgpr_workgroup_id_z 0
		.amdhsa_system_sgpr_workgroup_info 0
		.amdhsa_system_vgpr_workitem_id 0
		.amdhsa_next_free_vgpr 1
		.amdhsa_next_free_sgpr 0
		.amdhsa_accum_offset 4
		.amdhsa_reserve_vcc 0
		.amdhsa_reserve_flat_scratch 0
		.amdhsa_float_round_mode_32 0
		.amdhsa_float_round_mode_16_64 0
		.amdhsa_float_denorm_mode_32 3
		.amdhsa_float_denorm_mode_16_64 3
		.amdhsa_dx10_clamp 1
		.amdhsa_ieee_mode 1
		.amdhsa_fp16_overflow 0
		.amdhsa_tg_split 0
		.amdhsa_exception_fp_ieee_invalid_op 0
		.amdhsa_exception_fp_denorm_src 0
		.amdhsa_exception_fp_ieee_div_zero 0
		.amdhsa_exception_fp_ieee_overflow 0
		.amdhsa_exception_fp_ieee_underflow 0
		.amdhsa_exception_fp_ieee_inexact 0
		.amdhsa_exception_int_div_zero 0
	.end_amdhsa_kernel
	.section	.text._ZN7rocprim17ROCPRIM_400000_NS6detail17trampoline_kernelINS0_14default_configENS1_29reduce_by_key_config_selectorItjN6thrust23THRUST_200600_302600_NS4plusIjEEEEZZNS1_33reduce_by_key_impl_wrapped_configILNS1_25lookback_scan_determinismE0ES3_S9_NS6_6detail15normal_iteratorINS6_10device_ptrItEEEENSD_INSE_IjEEEESG_SI_PmS8_NS6_8equal_toItEEEE10hipError_tPvRmT2_T3_mT4_T5_T6_T7_T8_P12ihipStream_tbENKUlT_T0_E_clISt17integral_constantIbLb0EES13_EEDaSY_SZ_EUlSY_E_NS1_11comp_targetILNS1_3genE5ELNS1_11target_archE942ELNS1_3gpuE9ELNS1_3repE0EEENS1_30default_config_static_selectorELNS0_4arch9wavefront6targetE1EEEvT1_,"axG",@progbits,_ZN7rocprim17ROCPRIM_400000_NS6detail17trampoline_kernelINS0_14default_configENS1_29reduce_by_key_config_selectorItjN6thrust23THRUST_200600_302600_NS4plusIjEEEEZZNS1_33reduce_by_key_impl_wrapped_configILNS1_25lookback_scan_determinismE0ES3_S9_NS6_6detail15normal_iteratorINS6_10device_ptrItEEEENSD_INSE_IjEEEESG_SI_PmS8_NS6_8equal_toItEEEE10hipError_tPvRmT2_T3_mT4_T5_T6_T7_T8_P12ihipStream_tbENKUlT_T0_E_clISt17integral_constantIbLb0EES13_EEDaSY_SZ_EUlSY_E_NS1_11comp_targetILNS1_3genE5ELNS1_11target_archE942ELNS1_3gpuE9ELNS1_3repE0EEENS1_30default_config_static_selectorELNS0_4arch9wavefront6targetE1EEEvT1_,comdat
.Lfunc_end734:
	.size	_ZN7rocprim17ROCPRIM_400000_NS6detail17trampoline_kernelINS0_14default_configENS1_29reduce_by_key_config_selectorItjN6thrust23THRUST_200600_302600_NS4plusIjEEEEZZNS1_33reduce_by_key_impl_wrapped_configILNS1_25lookback_scan_determinismE0ES3_S9_NS6_6detail15normal_iteratorINS6_10device_ptrItEEEENSD_INSE_IjEEEESG_SI_PmS8_NS6_8equal_toItEEEE10hipError_tPvRmT2_T3_mT4_T5_T6_T7_T8_P12ihipStream_tbENKUlT_T0_E_clISt17integral_constantIbLb0EES13_EEDaSY_SZ_EUlSY_E_NS1_11comp_targetILNS1_3genE5ELNS1_11target_archE942ELNS1_3gpuE9ELNS1_3repE0EEENS1_30default_config_static_selectorELNS0_4arch9wavefront6targetE1EEEvT1_, .Lfunc_end734-_ZN7rocprim17ROCPRIM_400000_NS6detail17trampoline_kernelINS0_14default_configENS1_29reduce_by_key_config_selectorItjN6thrust23THRUST_200600_302600_NS4plusIjEEEEZZNS1_33reduce_by_key_impl_wrapped_configILNS1_25lookback_scan_determinismE0ES3_S9_NS6_6detail15normal_iteratorINS6_10device_ptrItEEEENSD_INSE_IjEEEESG_SI_PmS8_NS6_8equal_toItEEEE10hipError_tPvRmT2_T3_mT4_T5_T6_T7_T8_P12ihipStream_tbENKUlT_T0_E_clISt17integral_constantIbLb0EES13_EEDaSY_SZ_EUlSY_E_NS1_11comp_targetILNS1_3genE5ELNS1_11target_archE942ELNS1_3gpuE9ELNS1_3repE0EEENS1_30default_config_static_selectorELNS0_4arch9wavefront6targetE1EEEvT1_
                                        ; -- End function
	.section	.AMDGPU.csdata,"",@progbits
; Kernel info:
; codeLenInByte = 0
; NumSgprs: 4
; NumVgprs: 0
; NumAgprs: 0
; TotalNumVgprs: 0
; ScratchSize: 0
; MemoryBound: 0
; FloatMode: 240
; IeeeMode: 1
; LDSByteSize: 0 bytes/workgroup (compile time only)
; SGPRBlocks: 0
; VGPRBlocks: 0
; NumSGPRsForWavesPerEU: 4
; NumVGPRsForWavesPerEU: 1
; AccumOffset: 4
; Occupancy: 8
; WaveLimiterHint : 0
; COMPUTE_PGM_RSRC2:SCRATCH_EN: 0
; COMPUTE_PGM_RSRC2:USER_SGPR: 6
; COMPUTE_PGM_RSRC2:TRAP_HANDLER: 0
; COMPUTE_PGM_RSRC2:TGID_X_EN: 1
; COMPUTE_PGM_RSRC2:TGID_Y_EN: 0
; COMPUTE_PGM_RSRC2:TGID_Z_EN: 0
; COMPUTE_PGM_RSRC2:TIDIG_COMP_CNT: 0
; COMPUTE_PGM_RSRC3_GFX90A:ACCUM_OFFSET: 0
; COMPUTE_PGM_RSRC3_GFX90A:TG_SPLIT: 0
	.section	.text._ZN7rocprim17ROCPRIM_400000_NS6detail17trampoline_kernelINS0_14default_configENS1_29reduce_by_key_config_selectorItjN6thrust23THRUST_200600_302600_NS4plusIjEEEEZZNS1_33reduce_by_key_impl_wrapped_configILNS1_25lookback_scan_determinismE0ES3_S9_NS6_6detail15normal_iteratorINS6_10device_ptrItEEEENSD_INSE_IjEEEESG_SI_PmS8_NS6_8equal_toItEEEE10hipError_tPvRmT2_T3_mT4_T5_T6_T7_T8_P12ihipStream_tbENKUlT_T0_E_clISt17integral_constantIbLb0EES13_EEDaSY_SZ_EUlSY_E_NS1_11comp_targetILNS1_3genE4ELNS1_11target_archE910ELNS1_3gpuE8ELNS1_3repE0EEENS1_30default_config_static_selectorELNS0_4arch9wavefront6targetE1EEEvT1_,"axG",@progbits,_ZN7rocprim17ROCPRIM_400000_NS6detail17trampoline_kernelINS0_14default_configENS1_29reduce_by_key_config_selectorItjN6thrust23THRUST_200600_302600_NS4plusIjEEEEZZNS1_33reduce_by_key_impl_wrapped_configILNS1_25lookback_scan_determinismE0ES3_S9_NS6_6detail15normal_iteratorINS6_10device_ptrItEEEENSD_INSE_IjEEEESG_SI_PmS8_NS6_8equal_toItEEEE10hipError_tPvRmT2_T3_mT4_T5_T6_T7_T8_P12ihipStream_tbENKUlT_T0_E_clISt17integral_constantIbLb0EES13_EEDaSY_SZ_EUlSY_E_NS1_11comp_targetILNS1_3genE4ELNS1_11target_archE910ELNS1_3gpuE8ELNS1_3repE0EEENS1_30default_config_static_selectorELNS0_4arch9wavefront6targetE1EEEvT1_,comdat
	.protected	_ZN7rocprim17ROCPRIM_400000_NS6detail17trampoline_kernelINS0_14default_configENS1_29reduce_by_key_config_selectorItjN6thrust23THRUST_200600_302600_NS4plusIjEEEEZZNS1_33reduce_by_key_impl_wrapped_configILNS1_25lookback_scan_determinismE0ES3_S9_NS6_6detail15normal_iteratorINS6_10device_ptrItEEEENSD_INSE_IjEEEESG_SI_PmS8_NS6_8equal_toItEEEE10hipError_tPvRmT2_T3_mT4_T5_T6_T7_T8_P12ihipStream_tbENKUlT_T0_E_clISt17integral_constantIbLb0EES13_EEDaSY_SZ_EUlSY_E_NS1_11comp_targetILNS1_3genE4ELNS1_11target_archE910ELNS1_3gpuE8ELNS1_3repE0EEENS1_30default_config_static_selectorELNS0_4arch9wavefront6targetE1EEEvT1_ ; -- Begin function _ZN7rocprim17ROCPRIM_400000_NS6detail17trampoline_kernelINS0_14default_configENS1_29reduce_by_key_config_selectorItjN6thrust23THRUST_200600_302600_NS4plusIjEEEEZZNS1_33reduce_by_key_impl_wrapped_configILNS1_25lookback_scan_determinismE0ES3_S9_NS6_6detail15normal_iteratorINS6_10device_ptrItEEEENSD_INSE_IjEEEESG_SI_PmS8_NS6_8equal_toItEEEE10hipError_tPvRmT2_T3_mT4_T5_T6_T7_T8_P12ihipStream_tbENKUlT_T0_E_clISt17integral_constantIbLb0EES13_EEDaSY_SZ_EUlSY_E_NS1_11comp_targetILNS1_3genE4ELNS1_11target_archE910ELNS1_3gpuE8ELNS1_3repE0EEENS1_30default_config_static_selectorELNS0_4arch9wavefront6targetE1EEEvT1_
	.globl	_ZN7rocprim17ROCPRIM_400000_NS6detail17trampoline_kernelINS0_14default_configENS1_29reduce_by_key_config_selectorItjN6thrust23THRUST_200600_302600_NS4plusIjEEEEZZNS1_33reduce_by_key_impl_wrapped_configILNS1_25lookback_scan_determinismE0ES3_S9_NS6_6detail15normal_iteratorINS6_10device_ptrItEEEENSD_INSE_IjEEEESG_SI_PmS8_NS6_8equal_toItEEEE10hipError_tPvRmT2_T3_mT4_T5_T6_T7_T8_P12ihipStream_tbENKUlT_T0_E_clISt17integral_constantIbLb0EES13_EEDaSY_SZ_EUlSY_E_NS1_11comp_targetILNS1_3genE4ELNS1_11target_archE910ELNS1_3gpuE8ELNS1_3repE0EEENS1_30default_config_static_selectorELNS0_4arch9wavefront6targetE1EEEvT1_
	.p2align	8
	.type	_ZN7rocprim17ROCPRIM_400000_NS6detail17trampoline_kernelINS0_14default_configENS1_29reduce_by_key_config_selectorItjN6thrust23THRUST_200600_302600_NS4plusIjEEEEZZNS1_33reduce_by_key_impl_wrapped_configILNS1_25lookback_scan_determinismE0ES3_S9_NS6_6detail15normal_iteratorINS6_10device_ptrItEEEENSD_INSE_IjEEEESG_SI_PmS8_NS6_8equal_toItEEEE10hipError_tPvRmT2_T3_mT4_T5_T6_T7_T8_P12ihipStream_tbENKUlT_T0_E_clISt17integral_constantIbLb0EES13_EEDaSY_SZ_EUlSY_E_NS1_11comp_targetILNS1_3genE4ELNS1_11target_archE910ELNS1_3gpuE8ELNS1_3repE0EEENS1_30default_config_static_selectorELNS0_4arch9wavefront6targetE1EEEvT1_,@function
_ZN7rocprim17ROCPRIM_400000_NS6detail17trampoline_kernelINS0_14default_configENS1_29reduce_by_key_config_selectorItjN6thrust23THRUST_200600_302600_NS4plusIjEEEEZZNS1_33reduce_by_key_impl_wrapped_configILNS1_25lookback_scan_determinismE0ES3_S9_NS6_6detail15normal_iteratorINS6_10device_ptrItEEEENSD_INSE_IjEEEESG_SI_PmS8_NS6_8equal_toItEEEE10hipError_tPvRmT2_T3_mT4_T5_T6_T7_T8_P12ihipStream_tbENKUlT_T0_E_clISt17integral_constantIbLb0EES13_EEDaSY_SZ_EUlSY_E_NS1_11comp_targetILNS1_3genE4ELNS1_11target_archE910ELNS1_3gpuE8ELNS1_3repE0EEENS1_30default_config_static_selectorELNS0_4arch9wavefront6targetE1EEEvT1_: ; @_ZN7rocprim17ROCPRIM_400000_NS6detail17trampoline_kernelINS0_14default_configENS1_29reduce_by_key_config_selectorItjN6thrust23THRUST_200600_302600_NS4plusIjEEEEZZNS1_33reduce_by_key_impl_wrapped_configILNS1_25lookback_scan_determinismE0ES3_S9_NS6_6detail15normal_iteratorINS6_10device_ptrItEEEENSD_INSE_IjEEEESG_SI_PmS8_NS6_8equal_toItEEEE10hipError_tPvRmT2_T3_mT4_T5_T6_T7_T8_P12ihipStream_tbENKUlT_T0_E_clISt17integral_constantIbLb0EES13_EEDaSY_SZ_EUlSY_E_NS1_11comp_targetILNS1_3genE4ELNS1_11target_archE910ELNS1_3gpuE8ELNS1_3repE0EEENS1_30default_config_static_selectorELNS0_4arch9wavefront6targetE1EEEvT1_
; %bb.0:
	s_load_dwordx8 s[36:43], s[4:5], 0x0
	s_load_dwordx4 s[52:55], s[4:5], 0x20
	s_load_dwordx8 s[44:51], s[4:5], 0x38
	s_load_dwordx2 s[60:61], s[4:5], 0x68
	s_load_dwordx4 s[56:59], s[4:5], 0x58
	s_waitcnt lgkmcnt(0)
	s_lshl_b64 s[0:1], s[38:39], 1
	s_add_u32 s4, s36, s0
	s_addc_u32 s5, s37, s1
	s_lshl_b64 s[0:1], s[38:39], 2
	s_add_u32 s8, s40, s0
	s_addc_u32 s9, s41, s1
	s_mul_i32 s0, s48, s47
	s_mul_hi_u32 s1, s48, s46
	s_add_i32 s0, s1, s0
	s_mul_i32 s1, s49, s46
	s_add_i32 s10, s0, s1
	s_mul_i32 s0, s6, 0xf00
	s_mov_b32 s1, 0
	s_lshl_b64 s[2:3], s[0:1], 1
	s_add_u32 s7, s4, s2
	s_mul_i32 s11, s48, s46
	s_addc_u32 s48, s5, s3
	s_lshl_b64 s[0:1], s[0:1], 2
	s_add_u32 s49, s8, s0
	s_addc_u32 s62, s9, s1
	s_add_u32 s38, s11, s6
	s_addc_u32 s39, s10, 0
	s_add_u32 s2, s50, -1
	s_addc_u32 s3, s51, -1
	s_cmp_eq_u64 s[38:39], s[2:3]
	s_cselect_b64 s[34:35], -1, 0
	s_cmp_lg_u64 s[38:39], s[2:3]
	s_mov_b64 s[0:1], -1
	s_cselect_b64 s[40:41], -1, 0
	s_mul_i32 s33, s2, 0xfffff100
	s_and_b64 vcc, exec, s[34:35]
	v_mad_u32_u24 v6, v0, 15, 1
	v_mad_u32_u24 v8, v0, 15, 3
	v_mad_u32_u24 v10, v0, 15, 5
	v_mad_u32_u24 v18, v0, 15, 7
	v_mad_u32_u24 v20, v0, 15, 9
	v_mad_u32_u24 v22, v0, 15, 11
	v_mad_u32_u24 v24, v0, 15, 13
	s_cbranch_vccnz .LBB735_2
; %bb.1:
	v_lshlrev_b32_e32 v1, 1, v0
	v_mov_b32_e32 v3, s48
	v_add_co_u32_e32 v2, vcc, s7, v1
	v_addc_co_u32_e32 v3, vcc, 0, v3, vcc
	flat_load_ushort v4, v[2:3]
	flat_load_ushort v5, v[2:3] offset:512
	flat_load_ushort v7, v[2:3] offset:1024
	;; [unrolled: 1-line block ×7, first 2 shown]
	v_add_co_u32_e32 v2, vcc, 0x1000, v2
	v_addc_co_u32_e32 v3, vcc, 0, v3, vcc
	flat_load_ushort v15, v[2:3]
	flat_load_ushort v19, v[2:3] offset:512
	flat_load_ushort v21, v[2:3] offset:1024
	;; [unrolled: 1-line block ×6, first 2 shown]
	v_lshlrev_b32_e32 v2, 2, v0
	v_mov_b32_e32 v3, s62
	v_add_co_u32_e32 v16, vcc, s49, v2
	s_movk_i32 s0, 0x1000
	v_addc_co_u32_e32 v17, vcc, 0, v3, vcc
	v_add_co_u32_e32 v26, vcc, s0, v16
	s_movk_i32 s1, 0x2000
	v_addc_co_u32_e32 v27, vcc, 0, v17, vcc
	;; [unrolled: 3-line block ×3, first 2 shown]
	v_mad_u32_u24 v34, v0, 28, v1
	v_add_co_u32_e32 v30, vcc, s2, v16
	v_addc_co_u32_e32 v31, vcc, 0, v17, vcc
	s_movk_i32 s0, 0xffe6
	s_waitcnt vmcnt(0) lgkmcnt(0)
	ds_write_b16 v1, v4
	ds_write_b16 v1, v5 offset:512
	ds_write_b16 v1, v7 offset:1024
	;; [unrolled: 1-line block ×14, first 2 shown]
	s_waitcnt lgkmcnt(0)
	s_barrier
	ds_read_u16 v1, v34
	ds_read_b128 v[2:5], v34 offset:2
	ds_read_b96 v[12:14], v34 offset:18
	s_waitcnt lgkmcnt(0)
	s_barrier
	flat_load_dword v7, v[16:17]
	flat_load_dword v9, v[16:17] offset:1024
	flat_load_dword v15, v[16:17] offset:2048
	flat_load_dword v19, v[16:17] offset:3072
	flat_load_dword v21, v[26:27]
	flat_load_dword v23, v[26:27] offset:1024
	flat_load_dword v25, v[26:27] offset:2048
	flat_load_dword v32, v[26:27] offset:3072
	;; [unrolled: 4-line block ×3, first 2 shown]
	flat_load_dword v38, v[30:31]
	flat_load_dword v39, v[30:31] offset:1024
	flat_load_dword v40, v[30:31] offset:2048
	v_mul_u32_u24_e32 v11, 15, v0
	v_mad_i32_i24 v16, v0, s0, v34
	s_mov_b64 s[0:1], 0
	s_waitcnt vmcnt(0) lgkmcnt(0)
	ds_write2st64_b32 v16, v7, v9 offset1:4
	ds_write2st64_b32 v16, v15, v19 offset0:8 offset1:12
	ds_write2st64_b32 v16, v21, v23 offset0:16 offset1:20
	;; [unrolled: 1-line block ×6, first 2 shown]
	ds_write_b32 v16, v40 offset:14336
	s_waitcnt lgkmcnt(0)
	s_barrier
	s_branch .LBB735_3
.LBB735_2:
                                        ; implicit-def: $vgpr2
                                        ; implicit-def: $vgpr12
                                        ; implicit-def: $vgpr11
                                        ; implicit-def: $vgpr1
.LBB735_3:
	s_add_i32 s33, s33, s56
	s_andn2_b64 vcc, exec, s[0:1]
	v_mov_b32_e32 v21, v24
	v_mov_b32_e32 v25, v22
	;; [unrolled: 1-line block ×7, first 2 shown]
	s_cbranch_vccnz .LBB735_65
; %bb.4:
	v_cmp_gt_u32_e32 vcc, s33, v0
                                        ; implicit-def: $vgpr1
	s_and_saveexec_b64 s[2:3], vcc
	s_cbranch_execz .LBB735_6
; %bb.5:
	v_lshlrev_b32_e32 v1, 1, v0
	v_mov_b32_e32 v3, s48
	v_add_co_u32_e64 v2, s[0:1], s7, v1
	v_addc_co_u32_e64 v3, s[0:1], 0, v3, s[0:1]
	flat_load_ushort v1, v[2:3]
.LBB735_6:
	s_or_b64 exec, exec, s[2:3]
	v_or_b32_e32 v2, 0x100, v0
	v_cmp_gt_u32_e64 s[0:1], s33, v2
                                        ; implicit-def: $vgpr2
	s_and_saveexec_b64 s[4:5], s[0:1]
	s_cbranch_execz .LBB735_8
; %bb.7:
	v_lshlrev_b32_e32 v2, 1, v0
	v_mov_b32_e32 v3, s48
	v_add_co_u32_e64 v2, s[2:3], s7, v2
	v_addc_co_u32_e64 v3, s[2:3], 0, v3, s[2:3]
	flat_load_ushort v2, v[2:3] offset:512
.LBB735_8:
	s_or_b64 exec, exec, s[4:5]
	v_or_b32_e32 v3, 0x200, v0
	v_cmp_gt_u32_e64 s[2:3], s33, v3
                                        ; implicit-def: $vgpr3
	s_and_saveexec_b64 s[8:9], s[2:3]
	s_cbranch_execz .LBB735_10
; %bb.9:
	v_lshlrev_b32_e32 v3, 1, v0
	v_mov_b32_e32 v5, s48
	v_add_co_u32_e64 v4, s[4:5], s7, v3
	v_addc_co_u32_e64 v5, s[4:5], 0, v5, s[4:5]
	flat_load_ushort v3, v[4:5] offset:1024
.LBB735_10:
	s_or_b64 exec, exec, s[8:9]
	v_or_b32_e32 v4, 0x300, v0
	v_cmp_gt_u32_e64 s[4:5], s33, v4
                                        ; implicit-def: $vgpr4
	s_and_saveexec_b64 s[10:11], s[4:5]
	s_cbranch_execz .LBB735_12
; %bb.11:
	v_lshlrev_b32_e32 v4, 1, v0
	v_mov_b32_e32 v5, s48
	v_add_co_u32_e64 v4, s[8:9], s7, v4
	v_addc_co_u32_e64 v5, s[8:9], 0, v5, s[8:9]
	flat_load_ushort v4, v[4:5] offset:1536
.LBB735_12:
	s_or_b64 exec, exec, s[10:11]
	v_or_b32_e32 v7, 0x400, v0
	v_cmp_gt_u32_e64 s[28:29], s33, v7
                                        ; implicit-def: $vgpr5
	s_and_saveexec_b64 s[10:11], s[28:29]
	s_cbranch_execz .LBB735_14
; %bb.13:
	v_lshlrev_b32_e32 v5, 1, v0
	v_mov_b32_e32 v9, s48
	v_add_co_u32_e64 v12, s[8:9], s7, v5
	v_addc_co_u32_e64 v13, s[8:9], 0, v9, s[8:9]
	flat_load_ushort v5, v[12:13] offset:2048
.LBB735_14:
	s_or_b64 exec, exec, s[10:11]
	v_or_b32_e32 v9, 0x500, v0
	v_cmp_gt_u32_e64 s[8:9], s33, v9
                                        ; implicit-def: $vgpr12
	s_and_saveexec_b64 s[12:13], s[8:9]
	s_cbranch_execz .LBB735_16
; %bb.15:
	v_lshlrev_b32_e32 v11, 1, v0
	v_mov_b32_e32 v13, s48
	v_add_co_u32_e64 v12, s[10:11], s7, v11
	v_addc_co_u32_e64 v13, s[10:11], 0, v13, s[10:11]
	flat_load_ushort v12, v[12:13] offset:2560
.LBB735_16:
	s_or_b64 exec, exec, s[12:13]
	v_or_b32_e32 v11, 0x600, v0
	v_cmp_gt_u32_e64 s[10:11], s33, v11
                                        ; implicit-def: $vgpr13
	s_and_saveexec_b64 s[14:15], s[10:11]
	s_cbranch_execz .LBB735_18
; %bb.17:
	v_lshlrev_b32_e32 v13, 1, v0
	v_mov_b32_e32 v15, s48
	v_add_co_u32_e64 v14, s[12:13], s7, v13
	v_addc_co_u32_e64 v15, s[12:13], 0, v15, s[12:13]
	flat_load_ushort v13, v[14:15] offset:3072
.LBB735_18:
	s_or_b64 exec, exec, s[14:15]
	v_or_b32_e32 v15, 0x700, v0
	v_cmp_gt_u32_e64 s[12:13], s33, v15
                                        ; implicit-def: $vgpr14
	s_and_saveexec_b64 s[16:17], s[12:13]
	s_cbranch_execz .LBB735_20
; %bb.19:
	v_lshlrev_b32_e32 v14, 1, v0
	v_mov_b32_e32 v17, s48
	v_add_co_u32_e64 v16, s[14:15], s7, v14
	v_addc_co_u32_e64 v17, s[14:15], 0, v17, s[14:15]
	flat_load_ushort v14, v[16:17] offset:3584
.LBB735_20:
	s_or_b64 exec, exec, s[16:17]
	v_or_b32_e32 v16, 0x800, v0
	v_cmp_gt_u32_e64 s[14:15], s33, v16
                                        ; implicit-def: $vgpr27
	s_and_saveexec_b64 s[18:19], s[14:15]
	s_cbranch_execz .LBB735_22
; %bb.21:
	v_lshlrev_b32_e32 v17, 1, v16
	v_mov_b32_e32 v19, s48
	v_add_co_u32_e64 v26, s[16:17], s7, v17
	v_addc_co_u32_e64 v27, s[16:17], 0, v19, s[16:17]
	flat_load_ushort v27, v[26:27]
.LBB735_22:
	s_or_b64 exec, exec, s[18:19]
	v_or_b32_e32 v17, 0x900, v0
	v_cmp_gt_u32_e64 s[16:17], s33, v17
                                        ; implicit-def: $vgpr28
	s_and_saveexec_b64 s[20:21], s[16:17]
	s_cbranch_execz .LBB735_24
; %bb.23:
	v_lshlrev_b32_e32 v19, 1, v17
	v_mov_b32_e32 v21, s48
	v_add_co_u32_e64 v28, s[18:19], s7, v19
	v_addc_co_u32_e64 v29, s[18:19], 0, v21, s[18:19]
	flat_load_ushort v28, v[28:29]
.LBB735_24:
	s_or_b64 exec, exec, s[20:21]
	v_or_b32_e32 v19, 0xa00, v0
	v_cmp_gt_u32_e64 s[18:19], s33, v19
                                        ; implicit-def: $vgpr29
	s_and_saveexec_b64 s[22:23], s[18:19]
	s_cbranch_execz .LBB735_26
; %bb.25:
	v_lshlrev_b32_e32 v21, 1, v19
	v_mov_b32_e32 v23, s48
	v_add_co_u32_e64 v30, s[20:21], s7, v21
	v_addc_co_u32_e64 v31, s[20:21], 0, v23, s[20:21]
	flat_load_ushort v29, v[30:31]
.LBB735_26:
	s_or_b64 exec, exec, s[22:23]
	v_or_b32_e32 v21, 0xb00, v0
	v_cmp_gt_u32_e64 s[20:21], s33, v21
                                        ; implicit-def: $vgpr30
	s_and_saveexec_b64 s[24:25], s[20:21]
	s_cbranch_execz .LBB735_28
; %bb.27:
	v_lshlrev_b32_e32 v23, 1, v21
	v_mov_b32_e32 v25, s48
	v_add_co_u32_e64 v30, s[22:23], s7, v23
	v_addc_co_u32_e64 v31, s[22:23], 0, v25, s[22:23]
	flat_load_ushort v30, v[30:31]
.LBB735_28:
	s_or_b64 exec, exec, s[24:25]
	v_or_b32_e32 v23, 0xc00, v0
	v_cmp_gt_u32_e64 s[22:23], s33, v23
                                        ; implicit-def: $vgpr31
	s_and_saveexec_b64 s[26:27], s[22:23]
	s_cbranch_execz .LBB735_30
; %bb.29:
	v_lshlrev_b32_e32 v25, 1, v23
	v_mov_b32_e32 v26, s48
	v_add_co_u32_e64 v32, s[24:25], s7, v25
	v_addc_co_u32_e64 v33, s[24:25], 0, v26, s[24:25]
	flat_load_ushort v31, v[32:33]
.LBB735_30:
	s_or_b64 exec, exec, s[26:27]
	v_or_b32_e32 v25, 0xd00, v0
	v_cmp_gt_u32_e64 s[24:25], s33, v25
                                        ; implicit-def: $vgpr32
	s_and_saveexec_b64 s[30:31], s[24:25]
	s_cbranch_execz .LBB735_32
; %bb.31:
	v_lshlrev_b32_e32 v26, 1, v25
	v_mov_b32_e32 v33, s48
	v_add_co_u32_e64 v32, s[26:27], s7, v26
	v_addc_co_u32_e64 v33, s[26:27], 0, v33, s[26:27]
	flat_load_ushort v32, v[32:33]
.LBB735_32:
	s_or_b64 exec, exec, s[30:31]
	v_or_b32_e32 v26, 0xe00, v0
	v_cmp_gt_u32_e64 s[26:27], s33, v26
                                        ; implicit-def: $vgpr33
	s_and_saveexec_b64 s[36:37], s[26:27]
	s_cbranch_execz .LBB735_34
; %bb.33:
	v_lshlrev_b32_e32 v33, 1, v26
	v_mov_b32_e32 v35, s48
	v_add_co_u32_e64 v34, s[30:31], s7, v33
	v_addc_co_u32_e64 v35, s[30:31], 0, v35, s[30:31]
	flat_load_ushort v33, v[34:35]
.LBB735_34:
	s_or_b64 exec, exec, s[36:37]
	v_lshlrev_b32_e32 v34, 1, v0
	s_waitcnt vmcnt(0) lgkmcnt(0)
	ds_write_b16 v34, v1
	ds_write_b16 v34, v2 offset:512
	ds_write_b16 v34, v3 offset:1024
	;; [unrolled: 1-line block ×14, first 2 shown]
	v_mad_u32_u24 v27, v0, 28, v34
	s_waitcnt lgkmcnt(0)
	s_barrier
	ds_read_u16 v1, v27
	ds_read_b128 v[2:5], v27 offset:2
	ds_read_b96 v[12:14], v27 offset:18
	s_waitcnt lgkmcnt(0)
	s_barrier
	s_waitcnt lgkmcnt(0)
                                        ; implicit-def: $vgpr28
	s_and_saveexec_b64 s[30:31], vcc
	s_cbranch_execz .LBB735_48
; %bb.35:
	v_lshlrev_b32_e32 v28, 2, v0
	v_mov_b32_e32 v29, s62
	v_add_co_u32_e32 v28, vcc, s49, v28
	v_addc_co_u32_e32 v29, vcc, 0, v29, vcc
	flat_load_dword v28, v[28:29]
	s_or_b64 exec, exec, s[30:31]
                                        ; implicit-def: $vgpr29
	s_and_saveexec_b64 s[30:31], s[0:1]
	s_cbranch_execnz .LBB735_49
.LBB735_36:
	s_or_b64 exec, exec, s[30:31]
                                        ; implicit-def: $vgpr30
	s_and_saveexec_b64 s[0:1], s[2:3]
	s_cbranch_execz .LBB735_50
.LBB735_37:
	v_lshlrev_b32_e32 v30, 2, v0
	v_mov_b32_e32 v31, s62
	v_add_co_u32_e32 v30, vcc, s49, v30
	v_addc_co_u32_e32 v31, vcc, 0, v31, vcc
	flat_load_dword v30, v[30:31] offset:2048
	s_or_b64 exec, exec, s[0:1]
                                        ; implicit-def: $vgpr31
	s_and_saveexec_b64 s[0:1], s[4:5]
	s_cbranch_execnz .LBB735_51
.LBB735_38:
	s_or_b64 exec, exec, s[0:1]
                                        ; implicit-def: $vgpr32
	s_and_saveexec_b64 s[0:1], s[28:29]
	s_cbranch_execz .LBB735_52
.LBB735_39:
	v_lshlrev_b32_e32 v7, 2, v7
	v_mov_b32_e32 v33, s62
	v_add_co_u32_e32 v32, vcc, s49, v7
	v_addc_co_u32_e32 v33, vcc, 0, v33, vcc
	flat_load_dword v32, v[32:33]
	s_or_b64 exec, exec, s[0:1]
                                        ; implicit-def: $vgpr7
	s_and_saveexec_b64 s[0:1], s[8:9]
	s_cbranch_execnz .LBB735_53
.LBB735_40:
	s_or_b64 exec, exec, s[0:1]
                                        ; implicit-def: $vgpr9
	s_and_saveexec_b64 s[0:1], s[10:11]
	s_cbranch_execz .LBB735_54
.LBB735_41:
	v_lshlrev_b32_e32 v9, 2, v11
	v_mov_b32_e32 v11, s62
	v_add_co_u32_e32 v34, vcc, s49, v9
	v_addc_co_u32_e32 v35, vcc, 0, v11, vcc
	flat_load_dword v9, v[34:35]
	s_or_b64 exec, exec, s[0:1]
                                        ; implicit-def: $vgpr33
	s_and_saveexec_b64 s[0:1], s[12:13]
	s_cbranch_execnz .LBB735_55
.LBB735_42:
	s_or_b64 exec, exec, s[0:1]
                                        ; implicit-def: $vgpr15
	s_and_saveexec_b64 s[0:1], s[14:15]
	s_cbranch_execz .LBB735_56
.LBB735_43:
	v_lshlrev_b32_e32 v11, 2, v16
	v_mov_b32_e32 v15, s62
	v_add_co_u32_e32 v34, vcc, s49, v11
	v_addc_co_u32_e32 v35, vcc, 0, v15, vcc
	flat_load_dword v15, v[34:35]
	s_or_b64 exec, exec, s[0:1]
                                        ; implicit-def: $vgpr16
	s_and_saveexec_b64 s[0:1], s[16:17]
	s_cbranch_execnz .LBB735_57
.LBB735_44:
	s_or_b64 exec, exec, s[0:1]
                                        ; implicit-def: $vgpr17
	s_and_saveexec_b64 s[0:1], s[18:19]
	s_cbranch_execz .LBB735_58
.LBB735_45:
	v_lshlrev_b32_e32 v11, 2, v19
	v_mov_b32_e32 v17, s62
	v_add_co_u32_e32 v34, vcc, s49, v11
	v_addc_co_u32_e32 v35, vcc, 0, v17, vcc
	flat_load_dword v17, v[34:35]
	s_or_b64 exec, exec, s[0:1]
                                        ; implicit-def: $vgpr19
	s_and_saveexec_b64 s[0:1], s[20:21]
	s_cbranch_execnz .LBB735_59
.LBB735_46:
	s_or_b64 exec, exec, s[0:1]
                                        ; implicit-def: $vgpr37
	s_and_saveexec_b64 s[0:1], s[22:23]
	s_cbranch_execz .LBB735_60
.LBB735_47:
	v_lshlrev_b32_e32 v11, 2, v23
	v_mov_b32_e32 v21, s62
	v_add_co_u32_e32 v34, vcc, s49, v11
	v_addc_co_u32_e32 v35, vcc, 0, v21, vcc
	flat_load_dword v37, v[34:35]
	s_or_b64 exec, exec, s[0:1]
                                        ; implicit-def: $vgpr38
	s_and_saveexec_b64 s[0:1], s[24:25]
	s_cbranch_execz .LBB735_62
	s_branch .LBB735_61
.LBB735_48:
	s_or_b64 exec, exec, s[30:31]
                                        ; implicit-def: $vgpr29
	s_and_saveexec_b64 s[30:31], s[0:1]
	s_cbranch_execz .LBB735_36
.LBB735_49:
	v_lshlrev_b32_e32 v29, 2, v0
	v_mov_b32_e32 v31, s62
	v_add_co_u32_e32 v30, vcc, s49, v29
	v_addc_co_u32_e32 v31, vcc, 0, v31, vcc
	flat_load_dword v29, v[30:31] offset:1024
	s_or_b64 exec, exec, s[30:31]
                                        ; implicit-def: $vgpr30
	s_and_saveexec_b64 s[0:1], s[2:3]
	s_cbranch_execnz .LBB735_37
.LBB735_50:
	s_or_b64 exec, exec, s[0:1]
                                        ; implicit-def: $vgpr31
	s_and_saveexec_b64 s[0:1], s[4:5]
	s_cbranch_execz .LBB735_38
.LBB735_51:
	v_lshlrev_b32_e32 v31, 2, v0
	v_mov_b32_e32 v33, s62
	v_add_co_u32_e32 v32, vcc, s49, v31
	v_addc_co_u32_e32 v33, vcc, 0, v33, vcc
	flat_load_dword v31, v[32:33] offset:3072
	s_or_b64 exec, exec, s[0:1]
                                        ; implicit-def: $vgpr32
	s_and_saveexec_b64 s[0:1], s[28:29]
	s_cbranch_execnz .LBB735_39
.LBB735_52:
	s_or_b64 exec, exec, s[0:1]
                                        ; implicit-def: $vgpr7
	s_and_saveexec_b64 s[0:1], s[8:9]
	s_cbranch_execz .LBB735_40
.LBB735_53:
	v_lshlrev_b32_e32 v7, 2, v9
	v_mov_b32_e32 v9, s62
	v_add_co_u32_e32 v34, vcc, s49, v7
	v_addc_co_u32_e32 v35, vcc, 0, v9, vcc
	flat_load_dword v7, v[34:35]
	s_or_b64 exec, exec, s[0:1]
                                        ; implicit-def: $vgpr9
	s_and_saveexec_b64 s[0:1], s[10:11]
	s_cbranch_execnz .LBB735_41
.LBB735_54:
	s_or_b64 exec, exec, s[0:1]
                                        ; implicit-def: $vgpr33
	s_and_saveexec_b64 s[0:1], s[12:13]
	s_cbranch_execz .LBB735_42
.LBB735_55:
	v_lshlrev_b32_e32 v11, 2, v15
	v_mov_b32_e32 v15, s62
	v_add_co_u32_e32 v34, vcc, s49, v11
	v_addc_co_u32_e32 v35, vcc, 0, v15, vcc
	flat_load_dword v33, v[34:35]
	s_or_b64 exec, exec, s[0:1]
                                        ; implicit-def: $vgpr15
	s_and_saveexec_b64 s[0:1], s[14:15]
	s_cbranch_execnz .LBB735_43
.LBB735_56:
	s_or_b64 exec, exec, s[0:1]
                                        ; implicit-def: $vgpr16
	s_and_saveexec_b64 s[0:1], s[16:17]
	s_cbranch_execz .LBB735_44
.LBB735_57:
	v_lshlrev_b32_e32 v11, 2, v17
	v_mov_b32_e32 v17, s62
	v_add_co_u32_e32 v16, vcc, s49, v11
	v_addc_co_u32_e32 v17, vcc, 0, v17, vcc
	flat_load_dword v16, v[16:17]
	s_or_b64 exec, exec, s[0:1]
                                        ; implicit-def: $vgpr17
	s_and_saveexec_b64 s[0:1], s[18:19]
	s_cbranch_execnz .LBB735_45
.LBB735_58:
	s_or_b64 exec, exec, s[0:1]
                                        ; implicit-def: $vgpr19
	s_and_saveexec_b64 s[0:1], s[20:21]
	s_cbranch_execz .LBB735_46
.LBB735_59:
	v_lshlrev_b32_e32 v11, 2, v21
	v_mov_b32_e32 v19, s62
	v_add_co_u32_e32 v34, vcc, s49, v11
	v_addc_co_u32_e32 v35, vcc, 0, v19, vcc
	flat_load_dword v19, v[34:35]
	s_or_b64 exec, exec, s[0:1]
                                        ; implicit-def: $vgpr37
	s_and_saveexec_b64 s[0:1], s[22:23]
	s_cbranch_execnz .LBB735_47
.LBB735_60:
	s_or_b64 exec, exec, s[0:1]
                                        ; implicit-def: $vgpr38
	s_and_saveexec_b64 s[0:1], s[24:25]
	s_cbranch_execz .LBB735_62
.LBB735_61:
	v_lshlrev_b32_e32 v11, 2, v25
	v_mov_b32_e32 v21, s62
	v_add_co_u32_e32 v34, vcc, s49, v11
	v_addc_co_u32_e32 v35, vcc, 0, v21, vcc
	flat_load_dword v38, v[34:35]
.LBB735_62:
	s_or_b64 exec, exec, s[0:1]
	v_mul_u32_u24_e32 v11, 15, v0
                                        ; implicit-def: $vgpr39
	s_and_saveexec_b64 s[0:1], s[26:27]
	s_cbranch_execz .LBB735_64
; %bb.63:
	v_lshlrev_b32_e32 v21, 2, v26
	v_mov_b32_e32 v23, s62
	v_add_co_u32_e32 v34, vcc, s49, v21
	v_addc_co_u32_e32 v35, vcc, 0, v23, vcc
	flat_load_dword v39, v[34:35]
.LBB735_64:
	s_or_b64 exec, exec, s[0:1]
	s_movk_i32 s0, 0xffe6
	v_add_u32_e32 v35, 1, v11
	v_add_u32_e32 v36, 3, v11
	;; [unrolled: 1-line block ×7, first 2 shown]
	v_mad_i32_i24 v27, v0, s0, v27
	s_waitcnt vmcnt(0) lgkmcnt(0)
	ds_write2st64_b32 v27, v28, v29 offset1:4
	ds_write2st64_b32 v27, v30, v31 offset0:8 offset1:12
	ds_write2st64_b32 v27, v32, v7 offset0:16 offset1:20
	;; [unrolled: 1-line block ×6, first 2 shown]
	ds_write_b32 v27, v39 offset:14336
	s_waitcnt lgkmcnt(0)
	s_barrier
.LBB735_65:
	v_lshlrev_b32_e32 v7, 2, v11
	ds_read2_b32 v[52:53], v7 offset1:2
	ds_read2_b32 v[50:51], v7 offset0:4 offset1:6
	ds_read2_b32 v[48:49], v7 offset0:8 offset1:10
	;; [unrolled: 1-line block ×3, first 2 shown]
	v_lshlrev_b32_e32 v7, 2, v35
	v_lshlrev_b32_e32 v9, 2, v36
	;; [unrolled: 1-line block ×7, first 2 shown]
	ds_read_b32 v75, v7
	ds_read_b32 v74, v9
	;; [unrolled: 1-line block ×7, first 2 shown]
	s_cmp_eq_u64 s[38:39], 0
	s_cselect_b64 s[36:37], -1, 0
	s_cmp_lg_u64 s[38:39], 0
	s_mov_b64 s[4:5], 0
	s_cselect_b64 s[8:9], -1, 0
	s_and_b64 vcc, exec, s[40:41]
	s_waitcnt lgkmcnt(0)
	s_barrier
	s_cbranch_vccz .LBB735_71
; %bb.66:
	s_and_b64 vcc, exec, s[8:9]
	s_cbranch_vccz .LBB735_132
; %bb.67:
	v_mov_b32_e32 v7, s48
	v_add_co_u32_e64 v26, vcc, -2, s7
	v_addc_co_u32_e32 v27, vcc, -1, v7, vcc
	flat_load_ushort v7, v[26:27]
	v_lshrrev_b32_e32 v11, 16, v14
	v_lshlrev_b32_e32 v9, 1, v0
	v_cmp_ne_u16_e32 vcc, v14, v11
	v_cmp_ne_u16_sdwa s[4:5], v13, v14 src0_sel:WORD_1 src1_sel:DWORD
	v_cmp_ne_u16_sdwa s[10:11], v13, v13 src0_sel:DWORD src1_sel:WORD_1
	v_cmp_ne_u16_sdwa s[12:13], v12, v13 src0_sel:WORD_1 src1_sel:DWORD
	v_cmp_ne_u16_sdwa s[14:15], v12, v12 src0_sel:DWORD src1_sel:WORD_1
	;; [unrolled: 2-line block ×6, first 2 shown]
	v_cmp_ne_u16_e64 s[0:1], v1, v2
	v_cmp_ne_u32_e64 s[2:3], 0, v0
	ds_write_b16 v9, v11
	s_waitcnt lgkmcnt(0)
	s_barrier
	s_and_saveexec_b64 s[40:41], s[2:3]
	s_cbranch_execz .LBB735_69
; %bb.68:
	s_waitcnt vmcnt(0)
	v_add_u32_e32 v7, -2, v9
	ds_read_u16 v7, v7
.LBB735_69:
	s_or_b64 exec, exec, s[40:41]
	v_cndmask_b32_e64 v15, 0, 1, vcc
	v_cndmask_b32_e64 v54, 0, 1, s[4:5]
	v_cndmask_b32_e64 v55, 0, 1, s[10:11]
	;; [unrolled: 1-line block ×13, first 2 shown]
	s_waitcnt vmcnt(0) lgkmcnt(0)
	v_cmp_ne_u16_e64 s[0:1], v7, v1
	s_mov_b64 s[4:5], -1
.LBB735_70:
                                        ; implicit-def: $sgpr12
	s_branch .LBB735_72
.LBB735_71:
                                        ; implicit-def: $sgpr0_sgpr1
                                        ; implicit-def: $vgpr15
                                        ; implicit-def: $vgpr54
                                        ; implicit-def: $vgpr55
                                        ; implicit-def: $vgpr56
                                        ; implicit-def: $vgpr57
                                        ; implicit-def: $vgpr58
                                        ; implicit-def: $vgpr59
                                        ; implicit-def: $vgpr60
                                        ; implicit-def: $vgpr61
                                        ; implicit-def: $vgpr62
                                        ; implicit-def: $vgpr63
                                        ; implicit-def: $vgpr64
                                        ; implicit-def: $vgpr65
                                        ; implicit-def: $vgpr66
                                        ; implicit-def: $sgpr12
	s_cbranch_execnz .LBB735_136
.LBB735_72:
	v_mov_b32_e32 v68, s12
	s_and_saveexec_b64 s[2:3], s[4:5]
.LBB735_73:
	v_cndmask_b32_e64 v68, 0, 1, s[0:1]
.LBB735_74:
	s_or_b64 exec, exec, s[2:3]
	s_cmp_eq_u64 s[46:47], 0
	v_add3_u32 v6, v66, v68, v65
	s_cselect_b64 s[38:39], -1, 0
	s_cmp_lg_u32 s6, 0
	v_cmp_eq_u32_e64 s[24:25], 0, v66
	v_cmp_eq_u32_e64 s[22:23], 0, v65
	;; [unrolled: 1-line block ×3, first 2 shown]
	v_add3_u32 v79, v6, v64, v63
	v_cmp_eq_u32_e64 s[18:19], 0, v63
	v_cmp_eq_u32_e64 s[16:17], 0, v62
	;; [unrolled: 1-line block ×10, first 2 shown]
	v_cmp_eq_u32_e32 vcc, 0, v15
	v_mbcnt_lo_u32_b32 v78, -1, 0
	v_lshrrev_b32_e32 v76, 6, v0
	v_or_b32_e32 v77, 63, v0
	s_cbranch_scc0 .LBB735_101
; %bb.75:
	v_cndmask_b32_e64 v6, 0, v52, s[24:25]
	v_add_u32_e32 v6, v6, v75
	v_cndmask_b32_e64 v6, 0, v6, s[22:23]
	v_add_u32_e32 v6, v6, v53
	;; [unrolled: 2-line block ×11, first 2 shown]
	v_cndmask_b32_e64 v6, 0, v6, s[2:3]
	v_add3_u32 v7, v79, v62, v61
	v_add_u32_e32 v6, v6, v16
	v_add3_u32 v7, v7, v60, v59
	v_cndmask_b32_e64 v6, 0, v6, s[0:1]
	v_add3_u32 v7, v7, v58, v57
	v_add_u32_e32 v6, v6, v69
	v_add3_u32 v7, v7, v56, v55
	v_cndmask_b32_e32 v6, 0, v6, vcc
	v_add3_u32 v7, v7, v54, v15
	v_add_u32_e32 v6, v6, v17
	v_mbcnt_hi_u32_b32 v21, -1, v78
	v_and_b32_e32 v8, 15, v21
	v_mov_b32_dpp v10, v6 row_shr:1 row_mask:0xf bank_mask:0xf
	v_cmp_eq_u32_e32 vcc, 0, v7
	v_mov_b32_dpp v9, v7 row_shr:1 row_mask:0xf bank_mask:0xf
	v_cndmask_b32_e32 v10, 0, v10, vcc
	v_cmp_eq_u32_e32 vcc, 0, v8
	v_cndmask_b32_e64 v9, v9, 0, vcc
	v_add_u32_e32 v7, v9, v7
	v_cndmask_b32_e64 v9, v10, 0, vcc
	v_add_u32_e32 v6, v9, v6
	v_cmp_eq_u32_e32 vcc, 0, v7
	v_mov_b32_dpp v9, v7 row_shr:2 row_mask:0xf bank_mask:0xf
	v_cmp_lt_u32_e64 s[26:27], 1, v8
	v_mov_b32_dpp v10, v6 row_shr:2 row_mask:0xf bank_mask:0xf
	v_cndmask_b32_e64 v9, 0, v9, s[26:27]
	s_and_b64 vcc, s[26:27], vcc
	v_cndmask_b32_e32 v10, 0, v10, vcc
	v_add_u32_e32 v7, v7, v9
	v_add_u32_e32 v6, v10, v6
	v_cmp_eq_u32_e32 vcc, 0, v7
	v_mov_b32_dpp v9, v7 row_shr:4 row_mask:0xf bank_mask:0xf
	v_cmp_lt_u32_e64 s[26:27], 3, v8
	v_mov_b32_dpp v10, v6 row_shr:4 row_mask:0xf bank_mask:0xf
	v_cndmask_b32_e64 v9, 0, v9, s[26:27]
	s_and_b64 vcc, s[26:27], vcc
	v_cndmask_b32_e32 v10, 0, v10, vcc
	v_add_u32_e32 v7, v9, v7
	v_add_u32_e32 v6, v6, v10
	v_cmp_eq_u32_e32 vcc, 0, v7
	v_cmp_lt_u32_e64 s[26:27], 7, v8
	v_mov_b32_dpp v9, v7 row_shr:8 row_mask:0xf bank_mask:0xf
	v_mov_b32_dpp v10, v6 row_shr:8 row_mask:0xf bank_mask:0xf
	s_and_b64 vcc, s[26:27], vcc
	v_cndmask_b32_e64 v8, 0, v9, s[26:27]
	v_cndmask_b32_e32 v9, 0, v10, vcc
	v_add_u32_e32 v6, v9, v6
	v_add_u32_e32 v7, v8, v7
	v_bfe_i32 v10, v21, 4, 1
	v_mov_b32_dpp v9, v6 row_bcast:15 row_mask:0xf bank_mask:0xf
	v_mov_b32_dpp v8, v7 row_bcast:15 row_mask:0xf bank_mask:0xf
	v_cmp_eq_u32_e32 vcc, 0, v7
	v_cndmask_b32_e32 v9, 0, v9, vcc
	v_and_b32_e32 v8, v10, v8
	v_add_u32_e32 v7, v8, v7
	v_and_b32_e32 v8, v10, v9
	v_add_u32_e32 v8, v8, v6
	v_mov_b32_dpp v6, v7 row_bcast:31 row_mask:0xf bank_mask:0xf
	v_cmp_eq_u32_e32 vcc, 0, v7
	v_cmp_lt_u32_e64 s[26:27], 31, v21
	v_mov_b32_dpp v9, v8 row_bcast:31 row_mask:0xf bank_mask:0xf
	v_cndmask_b32_e64 v6, 0, v6, s[26:27]
	s_and_b64 vcc, s[26:27], vcc
	v_add_u32_e32 v6, v6, v7
	v_cndmask_b32_e32 v7, 0, v9, vcc
	v_add_u32_e32 v7, v7, v8
	v_cmp_eq_u32_e32 vcc, v77, v0
	v_lshlrev_b32_e32 v8, 3, v76
	s_and_saveexec_b64 s[26:27], vcc
	s_cbranch_execz .LBB735_77
; %bb.76:
	ds_write_b64 v8, v[6:7] offset:1040
.LBB735_77:
	s_or_b64 exec, exec, s[26:27]
	v_cmp_gt_u32_e32 vcc, 4, v0
	s_waitcnt lgkmcnt(0)
	s_barrier
	s_and_saveexec_b64 s[30:31], vcc
	s_cbranch_execz .LBB735_79
; %bb.78:
	v_lshlrev_b32_e32 v9, 3, v0
	ds_read_b64 v[10:11], v9 offset:1040
	v_and_b32_e32 v18, 3, v21
	v_cmp_lt_u32_e64 s[26:27], 1, v18
	s_waitcnt lgkmcnt(0)
	v_mov_b32_dpp v20, v11 row_shr:1 row_mask:0xf bank_mask:0xf
	v_cmp_eq_u32_e32 vcc, 0, v10
	v_mov_b32_dpp v19, v10 row_shr:1 row_mask:0xf bank_mask:0xf
	v_cndmask_b32_e32 v20, 0, v20, vcc
	v_cmp_eq_u32_e32 vcc, 0, v18
	v_cndmask_b32_e64 v19, v19, 0, vcc
	v_add_u32_e32 v10, v19, v10
	v_cndmask_b32_e64 v19, v20, 0, vcc
	v_add_u32_e32 v11, v19, v11
	v_cmp_eq_u32_e32 vcc, 0, v10
	v_mov_b32_dpp v19, v10 row_shr:2 row_mask:0xf bank_mask:0xf
	v_mov_b32_dpp v20, v11 row_shr:2 row_mask:0xf bank_mask:0xf
	v_cndmask_b32_e64 v18, 0, v19, s[26:27]
	s_and_b64 vcc, s[26:27], vcc
	v_add_u32_e32 v10, v18, v10
	v_cndmask_b32_e32 v18, 0, v20, vcc
	v_add_u32_e32 v11, v18, v11
	ds_write_b64 v9, v[10:11] offset:1040
.LBB735_79:
	s_or_b64 exec, exec, s[30:31]
	v_cmp_gt_u32_e32 vcc, 64, v0
	v_cmp_lt_u32_e64 s[26:27], 63, v0
	v_mov_b32_e32 v18, 0
	v_mov_b32_e32 v19, 0
	s_waitcnt lgkmcnt(0)
	s_barrier
	s_and_saveexec_b64 s[30:31], s[26:27]
	s_cbranch_execz .LBB735_81
; %bb.80:
	ds_read_b64 v[18:19], v8 offset:1032
	v_cmp_eq_u32_e64 s[26:27], 0, v6
	s_waitcnt lgkmcnt(0)
	v_add_u32_e32 v8, v18, v6
	v_cndmask_b32_e64 v6, 0, v19, s[26:27]
	v_add_u32_e32 v7, v6, v7
	v_mov_b32_e32 v6, v8
.LBB735_81:
	s_or_b64 exec, exec, s[30:31]
	v_add_u32_e32 v8, -1, v21
	v_and_b32_e32 v9, 64, v21
	v_cmp_lt_i32_e64 s[26:27], v8, v9
	v_cndmask_b32_e64 v8, v8, v21, s[26:27]
	v_lshlrev_b32_e32 v8, 2, v8
	ds_bpermute_b32 v26, v8, v6
	ds_bpermute_b32 v27, v8, v7
	v_cmp_eq_u32_e64 s[26:27], 0, v21
	s_and_saveexec_b64 s[40:41], vcc
	s_cbranch_execz .LBB735_100
; %bb.82:
	v_mov_b32_e32 v11, 0
	ds_read_b64 v[6:7], v11 offset:1064
	s_waitcnt lgkmcnt(0)
	v_readfirstlane_b32 s7, v6
	v_readfirstlane_b32 s48, v7
	s_and_saveexec_b64 s[30:31], s[26:27]
	s_cbranch_execz .LBB735_84
; %bb.83:
	s_add_i32 s46, s6, 64
	s_mov_b32 s47, 0
	s_lshl_b64 s[50:51], s[46:47], 4
	s_add_u32 s50, s44, s50
	s_addc_u32 s51, s45, s51
	s_and_b32 s57, s48, 0xff000000
	s_mov_b32 s56, s47
	s_and_b32 s63, s48, 0xff0000
	s_mov_b32 s62, s47
	s_or_b64 s[56:57], s[62:63], s[56:57]
	s_and_b32 s63, s48, 0xff00
	s_or_b64 s[56:57], s[56:57], s[62:63]
	s_and_b32 s63, s48, 0xff
	s_or_b64 s[46:47], s[56:57], s[62:63]
	v_mov_b32_e32 v8, s7
	v_mov_b32_e32 v9, s47
	;; [unrolled: 1-line block ×3, first 2 shown]
	v_pk_mov_b32 v[6:7], s[50:51], s[50:51] op_sel:[0,1]
	;;#ASMSTART
	global_store_dwordx4 v[6:7], v[8:11] off	
s_waitcnt vmcnt(0)
	;;#ASMEND
.LBB735_84:
	s_or_b64 exec, exec, s[30:31]
	v_xad_u32 v20, v21, -1, s6
	v_add_u32_e32 v10, 64, v20
	v_lshlrev_b64 v[6:7], 4, v[10:11]
	v_mov_b32_e32 v8, s45
	v_add_co_u32_e32 v22, vcc, s44, v6
	v_addc_co_u32_e32 v23, vcc, v8, v7, vcc
	;;#ASMSTART
	global_load_dwordx4 v[6:9], v[22:23] off glc	
s_waitcnt vmcnt(0)
	;;#ASMEND
	v_and_b32_e32 v9, 0xff, v7
	v_and_b32_e32 v10, 0xff00, v7
	;; [unrolled: 1-line block ×3, first 2 shown]
	v_or3_b32 v9, 0, v9, v10
	v_or3_b32 v6, v6, 0, 0
	v_and_b32_e32 v7, 0xff000000, v7
	v_or3_b32 v7, v9, v24, v7
	v_or3_b32 v6, v6, 0, 0
	v_cmp_eq_u16_sdwa s[46:47], v8, v11 src0_sel:BYTE_0 src1_sel:DWORD
	s_and_saveexec_b64 s[30:31], s[46:47]
	s_cbranch_execz .LBB735_88
; %bb.85:
	s_mov_b64 s[46:47], 0
	v_mov_b32_e32 v10, 0
.LBB735_86:                             ; =>This Inner Loop Header: Depth=1
	;;#ASMSTART
	global_load_dwordx4 v[6:9], v[22:23] off glc	
s_waitcnt vmcnt(0)
	;;#ASMEND
	v_cmp_ne_u16_sdwa s[50:51], v8, v10 src0_sel:BYTE_0 src1_sel:DWORD
	s_or_b64 s[46:47], s[50:51], s[46:47]
	s_andn2_b64 exec, exec, s[46:47]
	s_cbranch_execnz .LBB735_86
; %bb.87:
	s_or_b64 exec, exec, s[46:47]
.LBB735_88:
	s_or_b64 exec, exec, s[30:31]
	v_mov_b32_e32 v28, 2
	v_cmp_eq_u16_sdwa s[30:31], v8, v28 src0_sel:BYTE_0 src1_sel:DWORD
	v_lshlrev_b64 v[22:23], v21, -1
	v_and_b32_e32 v9, s31, v23
	v_and_b32_e32 v29, 63, v21
	v_or_b32_e32 v9, 0x80000000, v9
	v_cmp_ne_u32_e32 vcc, 63, v29
	v_and_b32_e32 v10, s30, v22
	v_ffbl_b32_e32 v9, v9
	v_addc_co_u32_e32 v11, vcc, 0, v21, vcc
	v_add_u32_e32 v9, 32, v9
	v_ffbl_b32_e32 v10, v10
	v_lshlrev_b32_e32 v30, 2, v11
	v_min_u32_e32 v9, v10, v9
	ds_bpermute_b32 v10, v30, v7
	v_cmp_eq_u32_e32 vcc, 0, v6
	v_cmp_lt_u32_e64 s[30:31], v29, v9
	ds_bpermute_b32 v11, v30, v6
	s_and_b64 vcc, s[30:31], vcc
	s_waitcnt lgkmcnt(1)
	v_cndmask_b32_e32 v10, 0, v10, vcc
	v_cmp_gt_u32_e32 vcc, 62, v29
	v_add_u32_e32 v7, v10, v7
	v_cndmask_b32_e64 v10, 0, 1, vcc
	v_lshlrev_b32_e32 v10, 1, v10
	v_add_lshl_u32 v31, v10, v21, 2
	s_waitcnt lgkmcnt(0)
	v_cndmask_b32_e64 v11, 0, v11, s[30:31]
	ds_bpermute_b32 v10, v31, v7
	v_add_u32_e32 v6, v11, v6
	ds_bpermute_b32 v11, v31, v6
	v_add_u32_e32 v32, 2, v29
	v_cmp_eq_u32_e32 vcc, 0, v6
	s_waitcnt lgkmcnt(1)
	v_cndmask_b32_e32 v10, 0, v10, vcc
	v_cmp_gt_u32_e32 vcc, v32, v9
	v_cndmask_b32_e64 v10, v10, 0, vcc
	v_add_u32_e32 v7, v10, v7
	s_waitcnt lgkmcnt(0)
	v_cndmask_b32_e64 v10, v11, 0, vcc
	v_cmp_gt_u32_e32 vcc, 60, v29
	v_cndmask_b32_e64 v11, 0, 1, vcc
	v_lshlrev_b32_e32 v11, 2, v11
	v_add_lshl_u32 v33, v11, v21, 2
	ds_bpermute_b32 v11, v33, v7
	v_add_u32_e32 v6, v6, v10
	ds_bpermute_b32 v10, v33, v6
	v_add_u32_e32 v34, 4, v29
	v_cmp_eq_u32_e32 vcc, 0, v6
	s_waitcnt lgkmcnt(1)
	v_cndmask_b32_e32 v11, 0, v11, vcc
	v_cmp_gt_u32_e32 vcc, v34, v9
	v_cndmask_b32_e64 v11, v11, 0, vcc
	s_waitcnt lgkmcnt(0)
	v_cndmask_b32_e64 v10, v10, 0, vcc
	v_cmp_gt_u32_e32 vcc, 56, v29
	v_add_u32_e32 v7, v7, v11
	v_cndmask_b32_e64 v11, 0, 1, vcc
	v_lshlrev_b32_e32 v11, 3, v11
	v_add_lshl_u32 v35, v11, v21, 2
	ds_bpermute_b32 v11, v35, v7
	v_add_u32_e32 v6, v6, v10
	ds_bpermute_b32 v10, v35, v6
	v_add_u32_e32 v36, 8, v29
	v_cmp_eq_u32_e32 vcc, 0, v6
	s_waitcnt lgkmcnt(1)
	v_cndmask_b32_e32 v11, 0, v11, vcc
	v_cmp_gt_u32_e32 vcc, v36, v9
	v_cndmask_b32_e64 v11, v11, 0, vcc
	s_waitcnt lgkmcnt(0)
	v_cndmask_b32_e64 v10, v10, 0, vcc
	v_cmp_gt_u32_e32 vcc, 48, v29
	v_add_u32_e32 v7, v7, v11
	;; [unrolled: 16-line block ×3, first 2 shown]
	v_cndmask_b32_e64 v11, 0, 1, vcc
	v_lshlrev_b32_e32 v11, 5, v11
	v_add_lshl_u32 v39, v11, v21, 2
	ds_bpermute_b32 v11, v39, v7
	v_add_u32_e32 v6, v6, v10
	ds_bpermute_b32 v10, v39, v6
	v_add_u32_e32 v40, 32, v29
	v_cmp_eq_u32_e32 vcc, 0, v6
	s_waitcnt lgkmcnt(1)
	v_cndmask_b32_e32 v11, 0, v11, vcc
	v_cmp_gt_u32_e32 vcc, v40, v9
	v_cndmask_b32_e64 v9, v11, 0, vcc
	v_add_u32_e32 v7, v9, v7
	s_waitcnt lgkmcnt(0)
	v_cndmask_b32_e64 v9, v10, 0, vcc
	v_add_u32_e32 v6, v9, v6
	v_mov_b32_e32 v21, 0
	s_branch .LBB735_90
.LBB735_89:                             ;   in Loop: Header=BB735_90 Depth=1
	s_or_b64 exec, exec, s[30:31]
	v_cmp_eq_u16_sdwa s[30:31], v8, v28 src0_sel:BYTE_0 src1_sel:DWORD
	v_and_b32_e32 v9, s31, v23
	v_or_b32_e32 v9, 0x80000000, v9
	v_and_b32_e32 v24, s30, v22
	v_ffbl_b32_e32 v9, v9
	v_add_u32_e32 v9, 32, v9
	v_ffbl_b32_e32 v24, v24
	v_min_u32_e32 v9, v24, v9
	ds_bpermute_b32 v24, v30, v7
	v_cmp_eq_u32_e32 vcc, 0, v6
	v_cmp_lt_u32_e64 s[30:31], v29, v9
	ds_bpermute_b32 v25, v30, v6
	s_and_b64 vcc, s[30:31], vcc
	s_waitcnt lgkmcnt(1)
	v_cndmask_b32_e32 v24, 0, v24, vcc
	v_add_u32_e32 v7, v24, v7
	ds_bpermute_b32 v24, v31, v7
	s_waitcnt lgkmcnt(1)
	v_cndmask_b32_e64 v25, 0, v25, s[30:31]
	v_add_u32_e32 v6, v25, v6
	v_cmp_eq_u32_e32 vcc, 0, v6
	ds_bpermute_b32 v25, v31, v6
	s_waitcnt lgkmcnt(1)
	v_cndmask_b32_e32 v24, 0, v24, vcc
	v_cmp_gt_u32_e32 vcc, v32, v9
	v_cndmask_b32_e64 v24, v24, 0, vcc
	v_add_u32_e32 v7, v24, v7
	ds_bpermute_b32 v24, v33, v7
	s_waitcnt lgkmcnt(1)
	v_cndmask_b32_e64 v25, v25, 0, vcc
	v_add_u32_e32 v6, v6, v25
	v_cmp_eq_u32_e32 vcc, 0, v6
	ds_bpermute_b32 v25, v33, v6
	s_waitcnt lgkmcnt(1)
	v_cndmask_b32_e32 v24, 0, v24, vcc
	v_cmp_gt_u32_e32 vcc, v34, v9
	v_cndmask_b32_e64 v24, v24, 0, vcc
	v_add_u32_e32 v7, v7, v24
	ds_bpermute_b32 v24, v35, v7
	s_waitcnt lgkmcnt(1)
	v_cndmask_b32_e64 v25, v25, 0, vcc
	v_add_u32_e32 v6, v6, v25
	ds_bpermute_b32 v25, v35, v6
	v_cmp_eq_u32_e32 vcc, 0, v6
	s_waitcnt lgkmcnt(1)
	v_cndmask_b32_e32 v24, 0, v24, vcc
	v_cmp_gt_u32_e32 vcc, v36, v9
	v_cndmask_b32_e64 v24, v24, 0, vcc
	v_add_u32_e32 v7, v7, v24
	ds_bpermute_b32 v24, v37, v7
	s_waitcnt lgkmcnt(1)
	v_cndmask_b32_e64 v25, v25, 0, vcc
	v_add_u32_e32 v6, v6, v25
	ds_bpermute_b32 v25, v37, v6
	v_cmp_eq_u32_e32 vcc, 0, v6
	;; [unrolled: 11-line block ×3, first 2 shown]
	s_waitcnt lgkmcnt(1)
	v_cndmask_b32_e32 v24, 0, v24, vcc
	v_cmp_gt_u32_e32 vcc, v40, v9
	v_cndmask_b32_e64 v9, v24, 0, vcc
	v_add_u32_e32 v7, v9, v7
	s_waitcnt lgkmcnt(0)
	v_cndmask_b32_e64 v9, v25, 0, vcc
	v_cmp_eq_u32_e32 vcc, 0, v10
	v_cndmask_b32_e32 v7, 0, v7, vcc
	v_subrev_u32_e32 v20, 64, v20
	v_add3_u32 v6, v6, v10, v9
	v_add_u32_e32 v7, v7, v11
.LBB735_90:                             ; =>This Loop Header: Depth=1
                                        ;     Child Loop BB735_93 Depth 2
	v_cmp_ne_u16_sdwa s[30:31], v8, v28 src0_sel:BYTE_0 src1_sel:DWORD
	v_mov_b32_e32 v11, v7
	v_cndmask_b32_e64 v7, 0, 1, s[30:31]
	;;#ASMSTART
	;;#ASMEND
	v_cmp_ne_u32_e32 vcc, 0, v7
	s_cmp_lg_u64 vcc, exec
	v_mov_b32_e32 v10, v6
	s_cbranch_scc1 .LBB735_95
; %bb.91:                               ;   in Loop: Header=BB735_90 Depth=1
	v_lshlrev_b64 v[6:7], 4, v[20:21]
	v_mov_b32_e32 v8, s45
	v_add_co_u32_e32 v24, vcc, s44, v6
	v_addc_co_u32_e32 v25, vcc, v8, v7, vcc
	;;#ASMSTART
	global_load_dwordx4 v[6:9], v[24:25] off glc	
s_waitcnt vmcnt(0)
	;;#ASMEND
	v_and_b32_e32 v9, 0xff, v7
	v_and_b32_e32 v41, 0xff00, v7
	;; [unrolled: 1-line block ×3, first 2 shown]
	v_or3_b32 v9, 0, v9, v41
	v_or3_b32 v6, v6, 0, 0
	v_and_b32_e32 v7, 0xff000000, v7
	v_or3_b32 v7, v9, v42, v7
	v_or3_b32 v6, v6, 0, 0
	v_cmp_eq_u16_sdwa s[46:47], v8, v21 src0_sel:BYTE_0 src1_sel:DWORD
	s_and_saveexec_b64 s[30:31], s[46:47]
	s_cbranch_execz .LBB735_89
; %bb.92:                               ;   in Loop: Header=BB735_90 Depth=1
	s_mov_b64 s[46:47], 0
.LBB735_93:                             ;   Parent Loop BB735_90 Depth=1
                                        ; =>  This Inner Loop Header: Depth=2
	;;#ASMSTART
	global_load_dwordx4 v[6:9], v[24:25] off glc	
s_waitcnt vmcnt(0)
	;;#ASMEND
	v_cmp_ne_u16_sdwa s[50:51], v8, v21 src0_sel:BYTE_0 src1_sel:DWORD
	s_or_b64 s[46:47], s[50:51], s[46:47]
	s_andn2_b64 exec, exec, s[46:47]
	s_cbranch_execnz .LBB735_93
; %bb.94:                               ;   in Loop: Header=BB735_90 Depth=1
	s_or_b64 exec, exec, s[46:47]
	s_branch .LBB735_89
.LBB735_95:                             ;   in Loop: Header=BB735_90 Depth=1
                                        ; implicit-def: $vgpr7
                                        ; implicit-def: $vgpr6
                                        ; implicit-def: $vgpr8
	s_cbranch_execz .LBB735_90
; %bb.96:
	s_and_saveexec_b64 s[30:31], s[26:27]
	s_cbranch_execz .LBB735_98
; %bb.97:
	s_cmp_eq_u32 s7, 0
	s_cselect_b64 vcc, -1, 0
	s_mov_b32 s47, 0
	v_cndmask_b32_e32 v6, 0, v11, vcc
	s_add_i32 s46, s6, 64
	v_add_u32_e32 v6, s48, v6
	s_lshl_b64 s[46:47], s[46:47], 4
	s_add_u32 s46, s44, s46
	v_and_b32_e32 v7, 0xff000000, v6
	v_and_b32_e32 v8, 0xff0000, v6
	s_addc_u32 s47, s45, s47
	v_or_b32_e32 v7, v8, v7
	v_and_b32_e32 v8, 0xff00, v6
	v_and_b32_e32 v6, 0xff, v6
	v_add_u32_e32 v20, s7, v10
	v_mov_b32_e32 v23, 0
	v_or3_b32 v21, v7, v8, v6
	v_mov_b32_e32 v22, 2
	v_pk_mov_b32 v[6:7], s[46:47], s[46:47] op_sel:[0,1]
	;;#ASMSTART
	global_store_dwordx4 v[6:7], v[20:23] off	
s_waitcnt vmcnt(0)
	;;#ASMEND
	v_mov_b32_e32 v8, s7
	v_mov_b32_e32 v9, s48
	ds_write_b128 v23, v[8:11] offset:1024
.LBB735_98:
	s_or_b64 exec, exec, s[30:31]
	v_cmp_eq_u32_e32 vcc, 0, v0
	s_and_b64 exec, exec, vcc
	s_cbranch_execz .LBB735_100
; %bb.99:
	v_mov_b32_e32 v6, 0
	ds_write_b64 v6, v[10:11] offset:1064
.LBB735_100:
	s_or_b64 exec, exec, s[40:41]
	v_mov_b32_e32 v8, 0
	s_waitcnt lgkmcnt(0)
	s_barrier
	ds_read_b64 v[6:7], v8 offset:1064
	v_cndmask_b32_e64 v10, v26, v18, s[26:27]
	v_cmp_eq_u32_e32 vcc, 0, v10
	v_cndmask_b32_e64 v9, v27, v19, s[26:27]
	s_waitcnt lgkmcnt(0)
	v_cndmask_b32_e32 v11, 0, v7, vcc
	v_add_u32_e32 v9, v11, v9
	v_cmp_eq_u32_e32 vcc, 0, v0
	v_cndmask_b32_e32 v47, v9, v7, vcc
	v_cndmask_b32_e64 v7, v10, 0, vcc
	v_cmp_eq_u32_e32 vcc, 0, v68
	v_add_u32_e32 v46, v6, v7
	v_cndmask_b32_e32 v6, 0, v47, vcc
	v_add_u32_e32 v45, v6, v52
	v_cndmask_b32_e64 v6, 0, v45, s[24:25]
	v_add_u32_e32 v43, v6, v75
	v_cndmask_b32_e64 v6, 0, v43, s[22:23]
	;; [unrolled: 2-line block ×8, first 2 shown]
	v_add_u32_e32 v44, v46, v68
	v_add_u32_e32 v29, v6, v48
	v_add_u32_e32 v42, v44, v66
	v_cndmask_b32_e64 v6, 0, v29, s[8:9]
	v_add_u32_e32 v40, v42, v65
	v_add_u32_e32 v27, v6, v71
	v_add_u32_e32 v38, v40, v64
	v_cndmask_b32_e64 v6, 0, v27, s[28:29]
	;; [unrolled: 4-line block ×3, first 2 shown]
	v_add_u32_e32 v32, v34, v61
	v_add_u32_e32 v23, v6, v70
	s_barrier
	ds_read_b128 v[6:9], v8 offset:1024
	v_add_u32_e32 v30, v32, v60
	v_add_u32_e32 v28, v30, v59
	;; [unrolled: 1-line block ×4, first 2 shown]
	v_cndmask_b32_e64 v10, 0, v23, s[2:3]
	v_add_u32_e32 v22, v24, v56
	v_add_u32_e32 v21, v10, v16
	s_waitcnt lgkmcnt(0)
	v_cmp_eq_u32_e32 vcc, 0, v6
	v_add_u32_e32 v20, v22, v55
	v_cndmask_b32_e64 v10, 0, v21, s[0:1]
	v_cndmask_b32_e32 v9, 0, v9, vcc
	v_add_u32_e32 v18, v20, v54
	v_add_u32_e32 v19, v10, v69
	;; [unrolled: 1-line block ×3, first 2 shown]
	s_branch .LBB735_113
.LBB735_101:
                                        ; implicit-def: $vgpr6
                                        ; implicit-def: $vgpr67
                                        ; implicit-def: $vgpr46_vgpr47
                                        ; implicit-def: $vgpr44_vgpr45
                                        ; implicit-def: $vgpr42_vgpr43
                                        ; implicit-def: $vgpr40_vgpr41
                                        ; implicit-def: $vgpr38_vgpr39
                                        ; implicit-def: $vgpr36_vgpr37
                                        ; implicit-def: $vgpr34_vgpr35
                                        ; implicit-def: $vgpr32_vgpr33
                                        ; implicit-def: $vgpr30_vgpr31
                                        ; implicit-def: $vgpr28_vgpr29
                                        ; implicit-def: $vgpr26_vgpr27
                                        ; implicit-def: $vgpr24_vgpr25
                                        ; implicit-def: $vgpr22_vgpr23
                                        ; implicit-def: $vgpr20_vgpr21
                                        ; implicit-def: $vgpr18_vgpr19
	s_cbranch_execz .LBB735_113
; %bb.102:
	s_and_b64 s[0:1], s[38:39], exec
	s_cselect_b32 s1, 0, s61
	s_cselect_b32 s0, 0, s60
	s_cmp_eq_u64 s[0:1], 0
	v_mov_b32_e32 v10, v52
	s_cbranch_scc1 .LBB735_104
; %bb.103:
	v_mov_b32_e32 v6, 0
	global_load_dword v10, v6, s[0:1]
.LBB735_104:
	v_cmp_eq_u32_e64 s[0:1], 0, v66
	v_cndmask_b32_e64 v6, 0, v52, s[0:1]
	v_add_u32_e32 v6, v6, v75
	v_cmp_eq_u32_e64 s[2:3], 0, v65
	v_cndmask_b32_e64 v6, 0, v6, s[2:3]
	v_add_u32_e32 v6, v6, v53
	v_cmp_eq_u32_e64 s[4:5], 0, v64
	v_cndmask_b32_e64 v6, 0, v6, s[4:5]
	v_add_u32_e32 v6, v6, v74
	v_cmp_eq_u32_e64 s[6:7], 0, v63
	v_cndmask_b32_e64 v6, 0, v6, s[6:7]
	v_add_u32_e32 v6, v6, v50
	v_cmp_eq_u32_e64 s[8:9], 0, v62
	v_cndmask_b32_e64 v6, 0, v6, s[8:9]
	v_add_u32_e32 v6, v6, v73
	v_cmp_eq_u32_e64 s[10:11], 0, v61
	v_cndmask_b32_e64 v6, 0, v6, s[10:11]
	v_add_u32_e32 v6, v6, v51
	v_cmp_eq_u32_e64 s[12:13], 0, v60
	v_cndmask_b32_e64 v6, 0, v6, s[12:13]
	v_add_u32_e32 v6, v6, v72
	v_cmp_eq_u32_e64 s[14:15], 0, v59
	v_cndmask_b32_e64 v6, 0, v6, s[14:15]
	v_add_u32_e32 v6, v6, v48
	v_cmp_eq_u32_e64 s[16:17], 0, v58
	v_cndmask_b32_e64 v6, 0, v6, s[16:17]
	v_add_u32_e32 v6, v6, v71
	v_cmp_eq_u32_e64 s[18:19], 0, v57
	v_cndmask_b32_e64 v6, 0, v6, s[18:19]
	v_add_u32_e32 v6, v6, v49
	v_cmp_eq_u32_e64 s[20:21], 0, v56
	v_cndmask_b32_e64 v6, 0, v6, s[20:21]
	v_add_u32_e32 v6, v6, v70
	v_cmp_eq_u32_e64 s[22:23], 0, v55
	v_cndmask_b32_e64 v6, 0, v6, s[22:23]
	v_add3_u32 v7, v79, v62, v61
	v_add_u32_e32 v6, v6, v16
	v_cmp_eq_u32_e32 vcc, 0, v54
	v_add3_u32 v7, v7, v60, v59
	v_cndmask_b32_e32 v6, 0, v6, vcc
	v_add3_u32 v7, v7, v58, v57
	v_add_u32_e32 v6, v6, v69
	v_cmp_eq_u32_e64 s[24:25], 0, v15
	v_add3_u32 v7, v7, v56, v55
	v_cndmask_b32_e64 v6, 0, v6, s[24:25]
	v_add3_u32 v7, v7, v54, v15
	v_add_u32_e32 v6, v6, v17
	v_mbcnt_hi_u32_b32 v11, -1, v78
	v_and_b32_e32 v8, 15, v11
	v_mov_b32_dpp v17, v6 row_shr:1 row_mask:0xf bank_mask:0xf
	v_cmp_eq_u32_e64 s[24:25], 0, v7
	v_mov_b32_dpp v9, v7 row_shr:1 row_mask:0xf bank_mask:0xf
	v_cndmask_b32_e64 v17, 0, v17, s[24:25]
	v_cmp_eq_u32_e64 s[24:25], 0, v8
	v_cndmask_b32_e64 v9, v9, 0, s[24:25]
	v_add_u32_e32 v7, v9, v7
	v_cndmask_b32_e64 v9, v17, 0, s[24:25]
	v_add_u32_e32 v6, v9, v6
	v_cmp_eq_u32_e64 s[24:25], 0, v7
	v_mov_b32_dpp v9, v7 row_shr:2 row_mask:0xf bank_mask:0xf
	v_cmp_lt_u32_e64 s[26:27], 1, v8
	v_mov_b32_dpp v17, v6 row_shr:2 row_mask:0xf bank_mask:0xf
	v_cndmask_b32_e64 v9, 0, v9, s[26:27]
	s_and_b64 s[24:25], s[26:27], s[24:25]
	v_cndmask_b32_e64 v17, 0, v17, s[24:25]
	v_add_u32_e32 v7, v7, v9
	v_add_u32_e32 v6, v17, v6
	v_cmp_eq_u32_e64 s[24:25], 0, v7
	v_mov_b32_dpp v9, v7 row_shr:4 row_mask:0xf bank_mask:0xf
	v_cmp_lt_u32_e64 s[26:27], 3, v8
	v_mov_b32_dpp v17, v6 row_shr:4 row_mask:0xf bank_mask:0xf
	v_cndmask_b32_e64 v9, 0, v9, s[26:27]
	s_and_b64 s[24:25], s[26:27], s[24:25]
	v_cndmask_b32_e64 v17, 0, v17, s[24:25]
	v_add_u32_e32 v7, v9, v7
	v_add_u32_e32 v6, v6, v17
	v_cmp_eq_u32_e64 s[24:25], 0, v7
	v_cmp_lt_u32_e64 s[26:27], 7, v8
	v_mov_b32_dpp v9, v7 row_shr:8 row_mask:0xf bank_mask:0xf
	v_mov_b32_dpp v17, v6 row_shr:8 row_mask:0xf bank_mask:0xf
	s_and_b64 s[24:25], s[26:27], s[24:25]
	v_cndmask_b32_e64 v8, 0, v9, s[26:27]
	v_cndmask_b32_e64 v9, 0, v17, s[24:25]
	v_add_u32_e32 v6, v9, v6
	v_add_u32_e32 v7, v8, v7
	v_bfe_i32 v17, v11, 4, 1
	v_mov_b32_dpp v9, v6 row_bcast:15 row_mask:0xf bank_mask:0xf
	v_mov_b32_dpp v8, v7 row_bcast:15 row_mask:0xf bank_mask:0xf
	v_cmp_eq_u32_e64 s[24:25], 0, v7
	v_cndmask_b32_e64 v9, 0, v9, s[24:25]
	v_and_b32_e32 v8, v17, v8
	v_add_u32_e32 v7, v8, v7
	v_and_b32_e32 v8, v17, v9
	v_add_u32_e32 v8, v8, v6
	v_mov_b32_dpp v6, v7 row_bcast:31 row_mask:0xf bank_mask:0xf
	v_cmp_eq_u32_e64 s[24:25], 0, v7
	v_cmp_lt_u32_e64 s[26:27], 31, v11
	v_mov_b32_dpp v9, v8 row_bcast:31 row_mask:0xf bank_mask:0xf
	v_cndmask_b32_e64 v6, 0, v6, s[26:27]
	s_and_b64 s[24:25], s[26:27], s[24:25]
	v_add_u32_e32 v6, v6, v7
	v_cndmask_b32_e64 v7, 0, v9, s[24:25]
	v_add_u32_e32 v7, v7, v8
	v_cmp_eq_u32_e64 s[24:25], v77, v0
	v_lshlrev_b32_e32 v9, 3, v76
	s_and_saveexec_b64 s[26:27], s[24:25]
	s_cbranch_execz .LBB735_106
; %bb.105:
	ds_write_b64 v9, v[6:7] offset:1040
.LBB735_106:
	s_or_b64 exec, exec, s[26:27]
	v_cmp_gt_u32_e64 s[24:25], 4, v0
	s_waitcnt lgkmcnt(0)
	s_barrier
	s_and_saveexec_b64 s[28:29], s[24:25]
	s_cbranch_execz .LBB735_108
; %bb.107:
	v_lshlrev_b32_e32 v8, 3, v0
	ds_read_b64 v[18:19], v8 offset:1040
	v_and_b32_e32 v17, 3, v11
	v_cmp_lt_u32_e64 s[26:27], 1, v17
	s_waitcnt lgkmcnt(0)
	v_mov_b32_dpp v21, v19 row_shr:1 row_mask:0xf bank_mask:0xf
	v_cmp_eq_u32_e64 s[24:25], 0, v18
	v_mov_b32_dpp v20, v18 row_shr:1 row_mask:0xf bank_mask:0xf
	v_cndmask_b32_e64 v21, 0, v21, s[24:25]
	v_cmp_eq_u32_e64 s[24:25], 0, v17
	v_cndmask_b32_e64 v20, v20, 0, s[24:25]
	v_add_u32_e32 v18, v20, v18
	v_cndmask_b32_e64 v20, v21, 0, s[24:25]
	v_add_u32_e32 v19, v20, v19
	v_cmp_eq_u32_e64 s[24:25], 0, v18
	v_mov_b32_dpp v20, v18 row_shr:2 row_mask:0xf bank_mask:0xf
	v_mov_b32_dpp v21, v19 row_shr:2 row_mask:0xf bank_mask:0xf
	v_cndmask_b32_e64 v17, 0, v20, s[26:27]
	s_and_b64 s[24:25], s[26:27], s[24:25]
	v_add_u32_e32 v18, v17, v18
	v_cndmask_b32_e64 v17, 0, v21, s[24:25]
	v_add_u32_e32 v19, v17, v19
	ds_write_b64 v8, v[18:19] offset:1040
.LBB735_108:
	s_or_b64 exec, exec, s[28:29]
	v_cmp_lt_u32_e64 s[24:25], 63, v0
	v_mov_b32_e32 v17, 0
	v_mov_b32_e32 v8, 0
	s_waitcnt vmcnt(0)
	v_mov_b32_e32 v18, v10
	s_waitcnt lgkmcnt(0)
	s_barrier
	s_and_saveexec_b64 s[26:27], s[24:25]
	s_cbranch_execz .LBB735_110
; %bb.109:
	ds_read_b64 v[8:9], v9 offset:1032
	s_waitcnt lgkmcnt(0)
	v_cmp_eq_u32_e64 s[24:25], 0, v8
	v_cndmask_b32_e64 v18, 0, v10, s[24:25]
	v_add_u32_e32 v18, v18, v9
.LBB735_110:
	s_or_b64 exec, exec, s[26:27]
	v_cmp_eq_u32_e64 s[24:25], 0, v6
	v_add_u32_e32 v9, v8, v6
	v_cndmask_b32_e64 v6, 0, v18, s[24:25]
	v_add_u32_e32 v6, v6, v7
	v_add_u32_e32 v7, -1, v11
	v_and_b32_e32 v19, 64, v11
	v_cmp_lt_i32_e64 s[24:25], v7, v19
	v_cndmask_b32_e64 v7, v7, v11, s[24:25]
	v_lshlrev_b32_e32 v7, 2, v7
	ds_bpermute_b32 v9, v7, v9
	ds_bpermute_b32 v6, v7, v6
	v_cmp_eq_u32_e64 s[24:25], 0, v11
	v_cmp_eq_u32_e64 s[26:27], 0, v68
	s_waitcnt lgkmcnt(1)
	v_cndmask_b32_e64 v7, v9, v8, s[24:25]
	s_waitcnt lgkmcnt(0)
	v_cndmask_b32_e64 v6, v6, v18, s[24:25]
	v_cmp_eq_u32_e64 s[24:25], 0, v0
	v_cndmask_b32_e64 v47, v6, v10, s[24:25]
	v_cndmask_b32_e64 v6, 0, v47, s[26:27]
	v_add_u32_e32 v45, v6, v52
	v_cndmask_b32_e64 v6, 0, v45, s[0:1]
	v_add_u32_e32 v43, v6, v75
	v_cndmask_b32_e64 v6, 0, v43, s[2:3]
	v_add_u32_e32 v41, v6, v53
	v_cndmask_b32_e64 v6, 0, v41, s[4:5]
	v_add_u32_e32 v39, v6, v74
	v_cndmask_b32_e64 v6, 0, v39, s[6:7]
	v_add_u32_e32 v37, v6, v50
	v_cndmask_b32_e64 v6, 0, v37, s[8:9]
	v_add_u32_e32 v35, v6, v73
	v_cndmask_b32_e64 v6, 0, v35, s[10:11]
	v_add_u32_e32 v33, v6, v51
	v_cndmask_b32_e64 v6, 0, v33, s[12:13]
	v_add_u32_e32 v31, v6, v72
	v_cndmask_b32_e64 v46, v7, 0, s[24:25]
	v_cndmask_b32_e64 v6, 0, v31, s[14:15]
	v_add_u32_e32 v44, v46, v68
	v_add_u32_e32 v29, v6, v48
	v_add_u32_e32 v42, v44, v66
	v_cndmask_b32_e64 v6, 0, v29, s[16:17]
	v_add_u32_e32 v40, v42, v65
	v_add_u32_e32 v27, v6, v71
	v_add_u32_e32 v38, v40, v64
	;; [unrolled: 4-line block ×3, first 2 shown]
	v_cndmask_b32_e64 v6, 0, v25, s[20:21]
	v_add_u32_e32 v32, v34, v61
	v_add_u32_e32 v23, v6, v70
	ds_read_b64 v[6:7], v17 offset:1064
	v_add_u32_e32 v30, v32, v60
	v_add_u32_e32 v28, v30, v59
	;; [unrolled: 1-line block ×3, first 2 shown]
	v_cndmask_b32_e64 v8, 0, v23, s[22:23]
	v_add_u32_e32 v24, v26, v57
	v_add_u32_e32 v21, v8, v16
	;; [unrolled: 1-line block ×3, first 2 shown]
	v_cndmask_b32_e32 v8, 0, v21, vcc
	s_waitcnt lgkmcnt(0)
	v_cmp_eq_u32_e32 vcc, 0, v6
	v_add_u32_e32 v20, v22, v55
	v_add_u32_e32 v19, v8, v69
	v_cndmask_b32_e32 v8, 0, v10, vcc
	v_add_u32_e32 v18, v20, v54
	v_add_u32_e32 v67, v8, v7
	s_and_saveexec_b64 s[0:1], s[24:25]
	s_cbranch_execz .LBB735_112
; %bb.111:
	s_add_u32 s2, s44, 0x400
	v_and_b32_e32 v7, 0xff000000, v67
	v_and_b32_e32 v8, 0xff0000, v67
	s_addc_u32 s3, s45, 0
	v_or_b32_e32 v7, v8, v7
	v_and_b32_e32 v8, 0xff00, v67
	v_and_b32_e32 v10, 0xff, v67
	v_mov_b32_e32 v9, 0
	v_or3_b32 v7, v7, v8, v10
	v_mov_b32_e32 v8, 2
	v_pk_mov_b32 v[10:11], s[2:3], s[2:3] op_sel:[0,1]
	;;#ASMSTART
	global_store_dwordx4 v[10:11], v[6:9] off	
s_waitcnt vmcnt(0)
	;;#ASMEND
.LBB735_112:
	s_or_b64 exec, exec, s[0:1]
	v_mov_b32_e32 v8, 0
.LBB735_113:
	s_and_b64 s[0:1], s[38:39], exec
	s_cselect_b32 s1, 0, s59
	s_cselect_b32 s0, 0, s58
	s_cmp_eq_u64 s[0:1], 0
	v_pk_mov_b32 v[16:17], 0, 0
	s_barrier
	s_cbranch_scc1 .LBB735_115
; %bb.114:
	v_mov_b32_e32 v7, 0
	global_load_dwordx2 v[16:17], v7, s[0:1]
.LBB735_115:
	s_waitcnt vmcnt(0)
	v_lshlrev_b64 v[10:11], 1, v[16:17]
	v_mov_b32_e32 v7, s43
	v_add_co_u32_e32 v48, vcc, s42, v10
	v_mov_b32_e32 v9, 0
	v_addc_co_u32_e32 v49, vcc, v7, v11, vcc
	v_lshlrev_b64 v[10:11], 1, v[8:9]
	v_add_co_u32_e32 v7, vcc, v48, v10
	v_addc_co_u32_e32 v48, vcc, v49, v11, vcc
	v_cmp_eq_u32_e32 vcc, 0, v68
	v_cndmask_b32_e64 v10, 1, 2, vcc
	v_cmp_eq_u32_e32 vcc, 0, v66
	v_cndmask_b32_e64 v11, 1, 2, vcc
	v_cmp_eq_u32_e32 vcc, 0, v65
	v_and_b32_e32 v10, v11, v10
	v_cndmask_b32_e64 v11, 1, 2, vcc
	v_cmp_eq_u32_e32 vcc, 0, v64
	v_and_b32_e32 v10, v10, v11
	v_cndmask_b32_e64 v11, 1, 2, vcc
	v_cmp_eq_u32_e32 vcc, 0, v63
	v_and_b32_e32 v10, v10, v11
	v_cndmask_b32_e64 v11, 1, 2, vcc
	v_cmp_eq_u32_e32 vcc, 0, v62
	v_and_b32_e32 v10, v10, v11
	v_cndmask_b32_e64 v11, 1, 2, vcc
	v_cmp_eq_u32_e32 vcc, 0, v61
	v_and_b32_e32 v10, v10, v11
	v_cndmask_b32_e64 v11, 1, 2, vcc
	v_cmp_eq_u32_e32 vcc, 0, v60
	v_and_b32_e32 v10, v10, v11
	v_cndmask_b32_e64 v11, 1, 2, vcc
	v_cmp_eq_u32_e32 vcc, 0, v59
	v_and_b32_e32 v10, v10, v11
	v_cndmask_b32_e64 v11, 1, 2, vcc
	v_cmp_eq_u32_e32 vcc, 0, v58
	v_and_b32_e32 v10, v10, v11
	v_cndmask_b32_e64 v11, 1, 2, vcc
	v_cmp_eq_u32_e32 vcc, 0, v57
	v_and_b32_e32 v10, v10, v11
	v_cndmask_b32_e64 v11, 1, 2, vcc
	v_cmp_eq_u32_e32 vcc, 0, v56
	v_and_b32_e32 v10, v10, v11
	v_cndmask_b32_e64 v11, 1, 2, vcc
	v_cmp_eq_u32_e32 vcc, 0, v55
	v_and_b32_e32 v10, v10, v11
	v_cndmask_b32_e64 v11, 1, 2, vcc
	v_cmp_eq_u32_e32 vcc, 0, v54
	v_and_b32_e32 v10, v10, v11
	v_cndmask_b32_e64 v11, 1, 2, vcc
	v_cmp_eq_u32_e32 vcc, 0, v15
	v_and_b32_e32 v10, v10, v11
	v_cndmask_b32_e64 v11, 1, 2, vcc
	s_movk_i32 s30, 0x100
	v_and_b32_e32 v10, v10, v11
	v_cmp_gt_u32_e32 vcc, s30, v6
	v_cmp_ne_u32_e64 s[28:29], 0, v68
	v_cmp_ne_u32_e64 s[26:27], 0, v66
	;; [unrolled: 1-line block ×15, first 2 shown]
	s_mov_b64 s[38:39], -1
	v_cmp_gt_i16_e64 s[30:31], 2, v10
	s_cbranch_vccz .LBB735_164
; %bb.116:
	s_and_saveexec_b64 s[38:39], s[30:31]
	s_cbranch_execz .LBB735_163
; %bb.117:
	v_cmp_ne_u16_e32 vcc, 1, v10
	s_mov_b64 s[40:41], 0
	s_and_saveexec_b64 s[30:31], vcc
	s_xor_b64 s[30:31], exec, s[30:31]
	s_cbranch_execz .LBB735_141
; %bb.118:
	s_and_saveexec_b64 s[40:41], s[28:29]
	s_cbranch_execz .LBB735_146
; %bb.119:
	v_sub_u32_e32 v50, v46, v8
	v_mov_b32_e32 v51, 0
	v_lshlrev_b64 v[50:51], 1, v[50:51]
	v_add_co_u32_e32 v50, vcc, v7, v50
	v_addc_co_u32_e32 v51, vcc, v48, v51, vcc
	global_store_short v[50:51], v1, off
	s_or_b64 exec, exec, s[40:41]
	s_and_saveexec_b64 s[40:41], s[26:27]
	s_cbranch_execnz .LBB735_147
.LBB735_120:
	s_or_b64 exec, exec, s[40:41]
	s_and_saveexec_b64 s[40:41], s[24:25]
	s_cbranch_execz .LBB735_148
.LBB735_121:
	v_sub_u32_e32 v50, v42, v8
	v_mov_b32_e32 v51, 0
	v_lshlrev_b64 v[50:51], 1, v[50:51]
	v_add_co_u32_e32 v50, vcc, v7, v50
	v_addc_co_u32_e32 v51, vcc, v48, v51, vcc
	global_store_short_d16_hi v[50:51], v2, off
	s_or_b64 exec, exec, s[40:41]
	s_and_saveexec_b64 s[40:41], s[22:23]
	s_cbranch_execnz .LBB735_149
.LBB735_122:
	s_or_b64 exec, exec, s[40:41]
	s_and_saveexec_b64 s[40:41], s[20:21]
	s_cbranch_execz .LBB735_150
.LBB735_123:
	v_sub_u32_e32 v50, v38, v8
	v_mov_b32_e32 v51, 0
	v_lshlrev_b64 v[50:51], 1, v[50:51]
	v_add_co_u32_e32 v50, vcc, v7, v50
	v_addc_co_u32_e32 v51, vcc, v48, v51, vcc
	global_store_short_d16_hi v[50:51], v3, off
	s_or_b64 exec, exec, s[40:41]
	s_and_saveexec_b64 s[40:41], s[18:19]
	s_cbranch_execnz .LBB735_151
.LBB735_124:
	s_or_b64 exec, exec, s[40:41]
	s_and_saveexec_b64 s[40:41], s[16:17]
	s_cbranch_execz .LBB735_152
.LBB735_125:
	v_sub_u32_e32 v50, v34, v8
	v_mov_b32_e32 v51, 0
	v_lshlrev_b64 v[50:51], 1, v[50:51]
	v_add_co_u32_e32 v50, vcc, v7, v50
	v_addc_co_u32_e32 v51, vcc, v48, v51, vcc
	global_store_short_d16_hi v[50:51], v4, off
	s_or_b64 exec, exec, s[40:41]
	s_and_saveexec_b64 s[40:41], s[14:15]
	s_cbranch_execnz .LBB735_153
.LBB735_126:
	s_or_b64 exec, exec, s[40:41]
	s_and_saveexec_b64 s[40:41], s[12:13]
	s_cbranch_execz .LBB735_154
.LBB735_127:
	v_sub_u32_e32 v50, v30, v8
	v_mov_b32_e32 v51, 0
	v_lshlrev_b64 v[50:51], 1, v[50:51]
	v_add_co_u32_e32 v50, vcc, v7, v50
	v_addc_co_u32_e32 v51, vcc, v48, v51, vcc
	global_store_short_d16_hi v[50:51], v5, off
	s_or_b64 exec, exec, s[40:41]
	s_and_saveexec_b64 s[40:41], s[10:11]
	s_cbranch_execnz .LBB735_155
.LBB735_128:
	s_or_b64 exec, exec, s[40:41]
	s_and_saveexec_b64 s[40:41], s[8:9]
	s_cbranch_execz .LBB735_156
.LBB735_129:
	v_sub_u32_e32 v50, v26, v8
	v_mov_b32_e32 v51, 0
	v_lshlrev_b64 v[50:51], 1, v[50:51]
	v_add_co_u32_e32 v50, vcc, v7, v50
	v_addc_co_u32_e32 v51, vcc, v48, v51, vcc
	global_store_short_d16_hi v[50:51], v12, off
	s_or_b64 exec, exec, s[40:41]
	s_and_saveexec_b64 s[40:41], s[6:7]
	s_cbranch_execnz .LBB735_157
.LBB735_130:
	s_or_b64 exec, exec, s[40:41]
	s_and_saveexec_b64 s[40:41], s[4:5]
	s_cbranch_execz .LBB735_158
.LBB735_131:
	v_sub_u32_e32 v50, v22, v8
	v_mov_b32_e32 v51, 0
	v_lshlrev_b64 v[50:51], 1, v[50:51]
	v_add_co_u32_e32 v50, vcc, v7, v50
	v_addc_co_u32_e32 v51, vcc, v48, v51, vcc
	global_store_short_d16_hi v[50:51], v13, off
	s_or_b64 exec, exec, s[40:41]
	s_and_saveexec_b64 s[40:41], s[2:3]
	s_cbranch_execnz .LBB735_159
	s_branch .LBB735_160
.LBB735_132:
                                        ; implicit-def: $sgpr0_sgpr1
                                        ; implicit-def: $vgpr15
                                        ; implicit-def: $vgpr54
                                        ; implicit-def: $vgpr55
                                        ; implicit-def: $vgpr56
                                        ; implicit-def: $vgpr57
                                        ; implicit-def: $vgpr58
                                        ; implicit-def: $vgpr59
                                        ; implicit-def: $vgpr60
                                        ; implicit-def: $vgpr61
                                        ; implicit-def: $vgpr62
                                        ; implicit-def: $vgpr63
                                        ; implicit-def: $vgpr64
                                        ; implicit-def: $vgpr65
                                        ; implicit-def: $vgpr66
	s_cbranch_execz .LBB735_70
; %bb.133:
	v_cmp_ne_u16_sdwa s[0:1], v13, v14 src0_sel:WORD_1 src1_sel:DWORD
	v_cndmask_b32_e64 v54, 0, 1, s[0:1]
	v_cmp_ne_u16_sdwa s[0:1], v13, v13 src0_sel:DWORD src1_sel:WORD_1
	v_cndmask_b32_e64 v55, 0, 1, s[0:1]
	v_cmp_ne_u16_sdwa s[0:1], v12, v13 src0_sel:WORD_1 src1_sel:DWORD
	v_cndmask_b32_e64 v56, 0, 1, s[0:1]
	v_cmp_ne_u16_sdwa s[0:1], v12, v12 src0_sel:DWORD src1_sel:WORD_1
	v_cndmask_b32_e64 v57, 0, 1, s[0:1]
	;; [unrolled: 4-line block ×4, first 2 shown]
	v_cmp_ne_u16_sdwa s[0:1], v3, v4 src0_sel:WORD_1 src1_sel:DWORD
	v_lshrrev_b32_e32 v9, 16, v14
	v_cndmask_b32_e64 v62, 0, 1, s[0:1]
	v_cmp_ne_u16_sdwa s[0:1], v3, v3 src0_sel:DWORD src1_sel:WORD_1
	v_cmp_ne_u16_e32 vcc, v14, v9
	v_cndmask_b32_e64 v63, 0, 1, s[0:1]
	v_cmp_ne_u16_sdwa s[0:1], v2, v3 src0_sel:WORD_1 src1_sel:DWORD
	v_cndmask_b32_e64 v15, 0, 1, vcc
	v_cndmask_b32_e64 v64, 0, 1, s[0:1]
	v_cmp_ne_u16_sdwa s[0:1], v2, v2 src0_sel:DWORD src1_sel:WORD_1
	v_cmp_ne_u16_e32 vcc, v1, v2
	s_mov_b32 s12, 1
	v_lshlrev_b32_e32 v7, 1, v0
	v_cndmask_b32_e64 v65, 0, 1, s[0:1]
	v_cndmask_b32_e64 v66, 0, 1, vcc
	v_cmp_ne_u32_e32 vcc, 0, v0
	ds_write_b16 v7, v9
	s_waitcnt lgkmcnt(0)
	s_barrier
	s_waitcnt lgkmcnt(0)
                                        ; implicit-def: $sgpr0_sgpr1
	s_and_saveexec_b64 s[2:3], vcc
	s_xor_b64 s[2:3], exec, s[2:3]
	s_cbranch_execz .LBB735_135
; %bb.134:
	v_add_u32_e32 v7, -2, v7
	ds_read_u16 v7, v7
	s_or_b64 s[4:5], s[4:5], exec
	s_waitcnt lgkmcnt(0)
	v_cmp_ne_u16_e32 vcc, v7, v1
	s_and_b64 s[0:1], vcc, exec
.LBB735_135:
	s_or_b64 exec, exec, s[2:3]
	s_branch .LBB735_72
.LBB735_136:
	s_mul_hi_u32 s1, s38, 0xfffff100
	s_mul_i32 s0, s39, 0xfffff100
	s_sub_i32 s1, s1, s38
	s_add_i32 s1, s1, s0
	s_mul_i32 s0, s38, 0xfffff100
	s_add_u32 s10, s0, s56
	s_addc_u32 s11, s1, s57
	s_and_b64 vcc, exec, s[8:9]
	v_lshrrev_b32_e32 v42, 16, v14
	v_mad_u32_u24 v26, v0, 15, 14
	v_cmp_ne_u16_sdwa s[12:13], v13, v14 src0_sel:WORD_1 src1_sel:DWORD
	v_mad_u32_u24 v38, v0, 15, 12
	v_cmp_ne_u16_sdwa s[16:17], v13, v13 src0_sel:DWORD src1_sel:WORD_1
	v_cmp_ne_u16_sdwa s[22:23], v12, v13 src0_sel:WORD_1 src1_sel:DWORD
	v_mad_u32_u24 v36, v0, 15, 10
	v_cmp_ne_u16_sdwa s[26:27], v12, v12 src0_sel:DWORD src1_sel:WORD_1
	v_cmp_ne_u16_sdwa s[30:31], v5, v12 src0_sel:WORD_1 src1_sel:DWORD
	v_mad_u32_u24 v34, v0, 15, 8
	v_cmp_ne_u16_sdwa s[38:39], v5, v5 src0_sel:DWORD src1_sel:WORD_1
	v_cmp_ne_u16_sdwa s[28:29], v4, v5 src0_sel:WORD_1 src1_sel:DWORD
	v_mad_u32_u24 v32, v0, 15, 6
	v_cmp_ne_u16_sdwa s[24:25], v4, v4 src0_sel:DWORD src1_sel:WORD_1
	v_cmp_ne_u16_sdwa s[20:21], v3, v4 src0_sel:WORD_1 src1_sel:DWORD
	v_mad_u32_u24 v30, v0, 15, 4
	v_cmp_ne_u16_sdwa s[18:19], v3, v3 src0_sel:DWORD src1_sel:WORD_1
	v_cmp_ne_u16_sdwa s[14:15], v2, v3 src0_sel:WORD_1 src1_sel:DWORD
	v_mad_u32_u24 v28, v0, 15, 2
	v_cmp_ne_u16_sdwa s[8:9], v2, v2 src0_sel:DWORD src1_sel:WORD_1
	v_cmp_ne_u16_e64 s[2:3], v1, v2
	v_cmp_ne_u32_e64 s[0:1], 0, v0
	s_cbranch_vccz .LBB735_143
; %bb.137:
	v_mov_b32_e32 v7, s48
	v_add_co_u32_e64 v40, vcc, -2, s7
	v_addc_co_u32_e32 v41, vcc, -1, v7, vcc
	flat_load_ushort v43, v[40:41]
	v_mov_b32_e32 v27, 0
	v_cmp_gt_u64_e32 vcc, s[10:11], v[26:27]
	v_cmp_ne_u16_e64 s[4:5], v14, v42
	v_mov_b32_e32 v25, v27
	s_and_b64 s[4:5], vcc, s[4:5]
	v_cmp_gt_u64_e32 vcc, s[10:11], v[24:25]
	v_mov_b32_e32 v39, v27
	s_and_b64 s[12:13], vcc, s[12:13]
	v_cmp_gt_u64_e32 vcc, s[10:11], v[38:39]
	;; [unrolled: 3-line block ×13, first 2 shown]
	v_lshlrev_b32_e32 v15, 1, v0
	v_mul_u32_u24_e32 v40, 15, v0
	s_and_b64 s[2:3], vcc, s[2:3]
	ds_write_b16 v15, v42
	s_waitcnt lgkmcnt(0)
	s_barrier
	s_and_saveexec_b64 s[40:41], s[0:1]
	s_cbranch_execz .LBB735_139
; %bb.138:
	v_add_u32_e32 v7, -2, v15
	s_waitcnt vmcnt(0)
	ds_read_u16 v43, v7
.LBB735_139:
	s_or_b64 exec, exec, s[40:41]
	v_mov_b32_e32 v41, v27
	v_cmp_gt_u64_e32 vcc, s[10:11], v[40:41]
	s_waitcnt vmcnt(0) lgkmcnt(0)
	v_cmp_ne_u16_e64 s[0:1], v43, v1
	v_cndmask_b32_e64 v15, 0, 1, s[4:5]
	v_cndmask_b32_e64 v54, 0, 1, s[12:13]
	;; [unrolled: 1-line block ×14, first 2 shown]
	s_and_b64 s[0:1], vcc, s[0:1]
	s_mov_b64 s[4:5], -1
.LBB735_140:
                                        ; implicit-def: $sgpr12
	v_mov_b32_e32 v68, s12
	s_and_saveexec_b64 s[2:3], s[4:5]
	s_cbranch_execnz .LBB735_73
	s_branch .LBB735_74
.LBB735_141:
	s_andn2_saveexec_b64 s[30:31], s[30:31]
	s_cbranch_execz .LBB735_161
.LBB735_142:
	v_sub_u32_e32 v50, v46, v8
	v_mov_b32_e32 v51, 0
	v_lshlrev_b64 v[52:53], 1, v[50:51]
	v_add_co_u32_e32 v52, vcc, v7, v52
	v_addc_co_u32_e32 v53, vcc, v48, v53, vcc
	v_sub_u32_e32 v50, v44, v8
	global_store_short v[52:53], v1, off
	v_lshlrev_b64 v[52:53], 1, v[50:51]
	v_add_co_u32_e32 v52, vcc, v7, v52
	v_addc_co_u32_e32 v53, vcc, v48, v53, vcc
	v_sub_u32_e32 v50, v42, v8
	global_store_short v[52:53], v2, off
	v_lshlrev_b64 v[52:53], 1, v[50:51]
	v_add_co_u32_e32 v52, vcc, v7, v52
	v_addc_co_u32_e32 v53, vcc, v48, v53, vcc
	v_sub_u32_e32 v50, v40, v8
	global_store_short_d16_hi v[52:53], v2, off
	v_lshlrev_b64 v[52:53], 1, v[50:51]
	v_add_co_u32_e32 v52, vcc, v7, v52
	v_addc_co_u32_e32 v53, vcc, v48, v53, vcc
	v_sub_u32_e32 v50, v38, v8
	global_store_short v[52:53], v3, off
	v_lshlrev_b64 v[52:53], 1, v[50:51]
	v_add_co_u32_e32 v52, vcc, v7, v52
	v_addc_co_u32_e32 v53, vcc, v48, v53, vcc
	v_sub_u32_e32 v50, v36, v8
	global_store_short_d16_hi v[52:53], v3, off
	;; [unrolled: 10-line block ×5, first 2 shown]
	v_lshlrev_b64 v[52:53], 1, v[50:51]
	v_add_co_u32_e32 v52, vcc, v7, v52
	v_addc_co_u32_e32 v53, vcc, v48, v53, vcc
	v_sub_u32_e32 v50, v22, v8
	global_store_short v[52:53], v13, off
	v_lshlrev_b64 v[52:53], 1, v[50:51]
	v_add_co_u32_e32 v52, vcc, v7, v52
	v_sub_u32_e32 v50, v20, v8
	v_addc_co_u32_e32 v53, vcc, v48, v53, vcc
	v_lshlrev_b64 v[50:51], 1, v[50:51]
	v_add_co_u32_e32 v50, vcc, v7, v50
	v_addc_co_u32_e32 v51, vcc, v48, v51, vcc
	s_or_b64 s[40:41], s[40:41], exec
	global_store_short_d16_hi v[52:53], v13, off
	global_store_short v[50:51], v14, off
	s_or_b64 exec, exec, s[30:31]
	s_and_b64 exec, exec, s[40:41]
	s_cbranch_execnz .LBB735_162
	s_branch .LBB735_163
.LBB735_143:
                                        ; implicit-def: $sgpr0_sgpr1
                                        ; implicit-def: $vgpr15
                                        ; implicit-def: $vgpr54
                                        ; implicit-def: $vgpr55
                                        ; implicit-def: $vgpr56
                                        ; implicit-def: $vgpr57
                                        ; implicit-def: $vgpr58
                                        ; implicit-def: $vgpr59
                                        ; implicit-def: $vgpr60
                                        ; implicit-def: $vgpr61
                                        ; implicit-def: $vgpr62
                                        ; implicit-def: $vgpr63
                                        ; implicit-def: $vgpr64
                                        ; implicit-def: $vgpr65
                                        ; implicit-def: $vgpr66
	s_cbranch_execz .LBB735_140
; %bb.144:
	v_mov_b32_e32 v27, 0
	v_cmp_gt_u64_e32 vcc, s[10:11], v[26:27]
	v_cmp_ne_u16_e64 s[0:1], v14, v42
	s_and_b64 s[0:1], vcc, s[0:1]
	v_mov_b32_e32 v25, v27
	v_cndmask_b32_e64 v15, 0, 1, s[0:1]
	v_cmp_gt_u64_e32 vcc, s[10:11], v[24:25]
	v_cmp_ne_u16_sdwa s[0:1], v13, v14 src0_sel:WORD_1 src1_sel:DWORD
	s_and_b64 s[0:1], vcc, s[0:1]
	v_mov_b32_e32 v39, v27
	v_cndmask_b32_e64 v54, 0, 1, s[0:1]
	v_cmp_gt_u64_e32 vcc, s[10:11], v[38:39]
	v_cmp_ne_u16_sdwa s[0:1], v13, v13 src0_sel:DWORD src1_sel:WORD_1
	s_and_b64 s[0:1], vcc, s[0:1]
	v_mov_b32_e32 v23, v27
	v_cndmask_b32_e64 v55, 0, 1, s[0:1]
	v_cmp_gt_u64_e32 vcc, s[10:11], v[22:23]
	v_cmp_ne_u16_sdwa s[0:1], v12, v13 src0_sel:WORD_1 src1_sel:DWORD
	s_and_b64 s[0:1], vcc, s[0:1]
	v_mov_b32_e32 v37, v27
	v_cndmask_b32_e64 v56, 0, 1, s[0:1]
	v_cmp_gt_u64_e32 vcc, s[10:11], v[36:37]
	v_cmp_ne_u16_sdwa s[0:1], v12, v12 src0_sel:DWORD src1_sel:WORD_1
	;; [unrolled: 10-line block ×6, first 2 shown]
	s_and_b64 s[0:1], vcc, s[0:1]
	v_mov_b32_e32 v7, v27
	v_cndmask_b32_e64 v65, 0, 1, s[0:1]
	v_cmp_gt_u64_e32 vcc, s[10:11], v[6:7]
	v_cmp_ne_u16_e64 s[0:1], v1, v2
	s_and_b64 s[0:1], vcc, s[0:1]
	s_mov_b32 s12, 1
	v_lshlrev_b32_e32 v40, 1, v0
	v_cndmask_b32_e64 v66, 0, 1, s[0:1]
	v_cmp_ne_u32_e32 vcc, 0, v0
	ds_write_b16 v40, v42
	s_waitcnt lgkmcnt(0)
	s_barrier
	s_waitcnt lgkmcnt(0)
                                        ; implicit-def: $sgpr0_sgpr1
	s_and_saveexec_b64 s[2:3], vcc
	s_cbranch_execz .LBB735_183
; %bb.145:
	v_add_u32_e32 v6, -2, v40
	ds_read_u16 v6, v6
	v_mul_u32_u24_e32 v26, 15, v0
	v_cmp_gt_u64_e32 vcc, s[10:11], v[26:27]
	s_or_b64 s[4:5], s[4:5], exec
	s_waitcnt lgkmcnt(0)
	v_cmp_ne_u16_e64 s[0:1], v6, v1
	s_and_b64 s[0:1], vcc, s[0:1]
	s_and_b64 s[0:1], s[0:1], exec
	s_or_b64 exec, exec, s[2:3]
	v_mov_b32_e32 v68, s12
	s_and_saveexec_b64 s[2:3], s[4:5]
	s_cbranch_execz .LBB735_74
	s_branch .LBB735_73
.LBB735_146:
	s_or_b64 exec, exec, s[40:41]
	s_and_saveexec_b64 s[40:41], s[26:27]
	s_cbranch_execz .LBB735_120
.LBB735_147:
	v_sub_u32_e32 v50, v44, v8
	v_mov_b32_e32 v51, 0
	v_lshlrev_b64 v[50:51], 1, v[50:51]
	v_add_co_u32_e32 v50, vcc, v7, v50
	v_addc_co_u32_e32 v51, vcc, v48, v51, vcc
	global_store_short v[50:51], v2, off
	s_or_b64 exec, exec, s[40:41]
	s_and_saveexec_b64 s[40:41], s[24:25]
	s_cbranch_execnz .LBB735_121
.LBB735_148:
	s_or_b64 exec, exec, s[40:41]
	s_and_saveexec_b64 s[40:41], s[22:23]
	s_cbranch_execz .LBB735_122
.LBB735_149:
	v_sub_u32_e32 v50, v40, v8
	v_mov_b32_e32 v51, 0
	v_lshlrev_b64 v[50:51], 1, v[50:51]
	v_add_co_u32_e32 v50, vcc, v7, v50
	v_addc_co_u32_e32 v51, vcc, v48, v51, vcc
	global_store_short v[50:51], v3, off
	s_or_b64 exec, exec, s[40:41]
	s_and_saveexec_b64 s[40:41], s[20:21]
	s_cbranch_execnz .LBB735_123
.LBB735_150:
	s_or_b64 exec, exec, s[40:41]
	s_and_saveexec_b64 s[40:41], s[18:19]
	s_cbranch_execz .LBB735_124
.LBB735_151:
	v_sub_u32_e32 v50, v36, v8
	v_mov_b32_e32 v51, 0
	v_lshlrev_b64 v[50:51], 1, v[50:51]
	v_add_co_u32_e32 v50, vcc, v7, v50
	v_addc_co_u32_e32 v51, vcc, v48, v51, vcc
	global_store_short v[50:51], v4, off
	s_or_b64 exec, exec, s[40:41]
	s_and_saveexec_b64 s[40:41], s[16:17]
	s_cbranch_execnz .LBB735_125
.LBB735_152:
	s_or_b64 exec, exec, s[40:41]
	s_and_saveexec_b64 s[40:41], s[14:15]
	s_cbranch_execz .LBB735_126
.LBB735_153:
	v_sub_u32_e32 v50, v32, v8
	v_mov_b32_e32 v51, 0
	v_lshlrev_b64 v[50:51], 1, v[50:51]
	v_add_co_u32_e32 v50, vcc, v7, v50
	v_addc_co_u32_e32 v51, vcc, v48, v51, vcc
	global_store_short v[50:51], v5, off
	s_or_b64 exec, exec, s[40:41]
	s_and_saveexec_b64 s[40:41], s[12:13]
	s_cbranch_execnz .LBB735_127
.LBB735_154:
	s_or_b64 exec, exec, s[40:41]
	s_and_saveexec_b64 s[40:41], s[10:11]
	s_cbranch_execz .LBB735_128
.LBB735_155:
	v_sub_u32_e32 v50, v28, v8
	v_mov_b32_e32 v51, 0
	v_lshlrev_b64 v[50:51], 1, v[50:51]
	v_add_co_u32_e32 v50, vcc, v7, v50
	v_addc_co_u32_e32 v51, vcc, v48, v51, vcc
	global_store_short v[50:51], v12, off
	s_or_b64 exec, exec, s[40:41]
	s_and_saveexec_b64 s[40:41], s[8:9]
	s_cbranch_execnz .LBB735_129
.LBB735_156:
	s_or_b64 exec, exec, s[40:41]
	s_and_saveexec_b64 s[40:41], s[6:7]
	s_cbranch_execz .LBB735_130
.LBB735_157:
	v_sub_u32_e32 v50, v24, v8
	v_mov_b32_e32 v51, 0
	v_lshlrev_b64 v[50:51], 1, v[50:51]
	v_add_co_u32_e32 v50, vcc, v7, v50
	v_addc_co_u32_e32 v51, vcc, v48, v51, vcc
	global_store_short v[50:51], v13, off
	s_or_b64 exec, exec, s[40:41]
	s_and_saveexec_b64 s[40:41], s[4:5]
	s_cbranch_execnz .LBB735_131
.LBB735_158:
	s_or_b64 exec, exec, s[40:41]
	s_and_saveexec_b64 s[40:41], s[2:3]
	s_cbranch_execz .LBB735_160
.LBB735_159:
	v_sub_u32_e32 v50, v20, v8
	v_mov_b32_e32 v51, 0
	v_lshlrev_b64 v[50:51], 1, v[50:51]
	v_add_co_u32_e32 v50, vcc, v7, v50
	v_addc_co_u32_e32 v51, vcc, v48, v51, vcc
	global_store_short v[50:51], v14, off
.LBB735_160:
	s_or_b64 exec, exec, s[40:41]
	s_and_b64 s[40:41], s[0:1], exec
	s_andn2_saveexec_b64 s[30:31], s[30:31]
	s_cbranch_execnz .LBB735_142
.LBB735_161:
	s_or_b64 exec, exec, s[30:31]
	s_and_b64 exec, exec, s[40:41]
	s_cbranch_execz .LBB735_163
.LBB735_162:
	v_sub_u32_e32 v50, v18, v8
	v_mov_b32_e32 v51, 0
	v_lshlrev_b64 v[50:51], 1, v[50:51]
	v_add_co_u32_e32 v50, vcc, v7, v50
	v_addc_co_u32_e32 v51, vcc, v48, v51, vcc
	global_store_short_d16_hi v[50:51], v14, off
.LBB735_163:
	s_or_b64 exec, exec, s[38:39]
	s_mov_b64 s[38:39], 0
.LBB735_164:
	s_and_b64 vcc, exec, s[38:39]
	s_cbranch_vccz .LBB735_217
; %bb.165:
	v_cmp_gt_i16_e32 vcc, 2, v10
	s_and_saveexec_b64 s[30:31], vcc
	s_cbranch_execz .LBB735_201
; %bb.166:
	v_cmp_ne_u16_e32 vcc, 1, v10
	s_mov_b64 s[40:41], 0
	s_and_saveexec_b64 s[38:39], vcc
	s_xor_b64 s[38:39], exec, s[38:39]
	s_cbranch_execz .LBB735_181
; %bb.167:
	s_and_saveexec_b64 s[40:41], s[28:29]
	s_cbranch_execz .LBB735_184
; %bb.168:
	v_sub_u32_e32 v10, v46, v8
	v_lshlrev_b32_e32 v10, 1, v10
	ds_write_b16 v10, v1
	s_or_b64 exec, exec, s[40:41]
	s_and_saveexec_b64 s[28:29], s[26:27]
	s_cbranch_execnz .LBB735_185
.LBB735_169:
	s_or_b64 exec, exec, s[28:29]
	s_and_saveexec_b64 s[26:27], s[24:25]
	s_cbranch_execz .LBB735_186
.LBB735_170:
	v_sub_u32_e32 v1, v42, v8
	v_lshlrev_b32_e32 v1, 1, v1
	ds_write_b16_d16_hi v1, v2
	s_or_b64 exec, exec, s[26:27]
	s_and_saveexec_b64 s[24:25], s[22:23]
	s_cbranch_execnz .LBB735_187
.LBB735_171:
	s_or_b64 exec, exec, s[24:25]
	s_and_saveexec_b64 s[22:23], s[20:21]
	s_cbranch_execz .LBB735_188
.LBB735_172:
	v_sub_u32_e32 v1, v38, v8
	v_lshlrev_b32_e32 v1, 1, v1
	ds_write_b16_d16_hi v1, v3
	s_or_b64 exec, exec, s[22:23]
	s_and_saveexec_b64 s[20:21], s[18:19]
	s_cbranch_execnz .LBB735_189
.LBB735_173:
	s_or_b64 exec, exec, s[20:21]
	s_and_saveexec_b64 s[18:19], s[16:17]
	s_cbranch_execz .LBB735_190
.LBB735_174:
	v_sub_u32_e32 v1, v34, v8
	v_lshlrev_b32_e32 v1, 1, v1
	ds_write_b16_d16_hi v1, v4
	s_or_b64 exec, exec, s[18:19]
	s_and_saveexec_b64 s[16:17], s[14:15]
	s_cbranch_execnz .LBB735_191
.LBB735_175:
	s_or_b64 exec, exec, s[16:17]
	s_and_saveexec_b64 s[14:15], s[12:13]
	s_cbranch_execz .LBB735_192
.LBB735_176:
	v_sub_u32_e32 v1, v30, v8
	v_lshlrev_b32_e32 v1, 1, v1
	ds_write_b16_d16_hi v1, v5
	s_or_b64 exec, exec, s[14:15]
	s_and_saveexec_b64 s[12:13], s[10:11]
	s_cbranch_execnz .LBB735_193
.LBB735_177:
	s_or_b64 exec, exec, s[12:13]
	s_and_saveexec_b64 s[10:11], s[8:9]
	s_cbranch_execz .LBB735_194
.LBB735_178:
	v_sub_u32_e32 v1, v26, v8
	v_lshlrev_b32_e32 v1, 1, v1
	ds_write_b16_d16_hi v1, v12
	s_or_b64 exec, exec, s[10:11]
	s_and_saveexec_b64 s[8:9], s[6:7]
	s_cbranch_execnz .LBB735_195
.LBB735_179:
	s_or_b64 exec, exec, s[8:9]
	s_and_saveexec_b64 s[6:7], s[4:5]
	s_cbranch_execz .LBB735_196
.LBB735_180:
	v_sub_u32_e32 v1, v22, v8
	v_lshlrev_b32_e32 v1, 1, v1
	ds_write_b16_d16_hi v1, v13
	s_or_b64 exec, exec, s[6:7]
	s_and_saveexec_b64 s[4:5], s[2:3]
	s_cbranch_execnz .LBB735_197
	s_branch .LBB735_198
.LBB735_181:
	s_andn2_saveexec_b64 s[0:1], s[38:39]
	s_cbranch_execz .LBB735_199
.LBB735_182:
	v_sub_u32_e32 v10, v46, v8
	v_lshlrev_b32_e32 v10, 1, v10
	ds_write_b16 v10, v1
	v_sub_u32_e32 v1, v44, v8
	v_lshlrev_b32_e32 v1, 1, v1
	ds_write_b16 v1, v2
	v_sub_u32_e32 v1, v42, v8
	v_lshlrev_b32_e32 v1, 1, v1
	ds_write_b16_d16_hi v1, v2
	v_sub_u32_e32 v1, v40, v8
	v_lshlrev_b32_e32 v1, 1, v1
	ds_write_b16 v1, v3
	v_sub_u32_e32 v1, v38, v8
	v_lshlrev_b32_e32 v1, 1, v1
	ds_write_b16_d16_hi v1, v3
	;; [unrolled: 6-line block ×6, first 2 shown]
	v_sub_u32_e32 v1, v20, v8
	v_lshlrev_b32_e32 v1, 1, v1
	s_or_b64 s[40:41], s[40:41], exec
	ds_write_b16 v1, v14
	s_or_b64 exec, exec, s[0:1]
	s_and_b64 exec, exec, s[40:41]
	s_cbranch_execnz .LBB735_200
	s_branch .LBB735_201
.LBB735_183:
	s_or_b64 exec, exec, s[2:3]
	v_mov_b32_e32 v68, s12
	s_and_saveexec_b64 s[2:3], s[4:5]
	s_cbranch_execnz .LBB735_73
	s_branch .LBB735_74
.LBB735_184:
	s_or_b64 exec, exec, s[40:41]
	s_and_saveexec_b64 s[28:29], s[26:27]
	s_cbranch_execz .LBB735_169
.LBB735_185:
	v_sub_u32_e32 v1, v44, v8
	v_lshlrev_b32_e32 v1, 1, v1
	ds_write_b16 v1, v2
	s_or_b64 exec, exec, s[28:29]
	s_and_saveexec_b64 s[26:27], s[24:25]
	s_cbranch_execnz .LBB735_170
.LBB735_186:
	s_or_b64 exec, exec, s[26:27]
	s_and_saveexec_b64 s[24:25], s[22:23]
	s_cbranch_execz .LBB735_171
.LBB735_187:
	v_sub_u32_e32 v1, v40, v8
	v_lshlrev_b32_e32 v1, 1, v1
	ds_write_b16 v1, v3
	s_or_b64 exec, exec, s[24:25]
	s_and_saveexec_b64 s[22:23], s[20:21]
	s_cbranch_execnz .LBB735_172
.LBB735_188:
	s_or_b64 exec, exec, s[22:23]
	s_and_saveexec_b64 s[20:21], s[18:19]
	s_cbranch_execz .LBB735_173
.LBB735_189:
	v_sub_u32_e32 v1, v36, v8
	v_lshlrev_b32_e32 v1, 1, v1
	ds_write_b16 v1, v4
	s_or_b64 exec, exec, s[20:21]
	s_and_saveexec_b64 s[18:19], s[16:17]
	s_cbranch_execnz .LBB735_174
.LBB735_190:
	s_or_b64 exec, exec, s[18:19]
	s_and_saveexec_b64 s[16:17], s[14:15]
	s_cbranch_execz .LBB735_175
.LBB735_191:
	v_sub_u32_e32 v1, v32, v8
	v_lshlrev_b32_e32 v1, 1, v1
	ds_write_b16 v1, v5
	s_or_b64 exec, exec, s[16:17]
	s_and_saveexec_b64 s[14:15], s[12:13]
	s_cbranch_execnz .LBB735_176
.LBB735_192:
	s_or_b64 exec, exec, s[14:15]
	s_and_saveexec_b64 s[12:13], s[10:11]
	s_cbranch_execz .LBB735_177
.LBB735_193:
	v_sub_u32_e32 v1, v28, v8
	v_lshlrev_b32_e32 v1, 1, v1
	ds_write_b16 v1, v12
	s_or_b64 exec, exec, s[12:13]
	s_and_saveexec_b64 s[10:11], s[8:9]
	s_cbranch_execnz .LBB735_178
.LBB735_194:
	s_or_b64 exec, exec, s[10:11]
	s_and_saveexec_b64 s[8:9], s[6:7]
	s_cbranch_execz .LBB735_179
.LBB735_195:
	v_sub_u32_e32 v1, v24, v8
	v_lshlrev_b32_e32 v1, 1, v1
	ds_write_b16 v1, v13
	s_or_b64 exec, exec, s[8:9]
	s_and_saveexec_b64 s[6:7], s[4:5]
	s_cbranch_execnz .LBB735_180
.LBB735_196:
	s_or_b64 exec, exec, s[6:7]
	s_and_saveexec_b64 s[4:5], s[2:3]
	s_cbranch_execz .LBB735_198
.LBB735_197:
	v_sub_u32_e32 v1, v20, v8
	v_lshlrev_b32_e32 v1, 1, v1
	ds_write_b16 v1, v14
.LBB735_198:
	s_or_b64 exec, exec, s[4:5]
	s_and_b64 s[40:41], s[0:1], exec
                                        ; implicit-def: $vgpr1
                                        ; implicit-def: $vgpr2
	s_andn2_saveexec_b64 s[0:1], s[38:39]
	s_cbranch_execnz .LBB735_182
.LBB735_199:
	s_or_b64 exec, exec, s[0:1]
	s_and_b64 exec, exec, s[40:41]
	s_cbranch_execz .LBB735_201
.LBB735_200:
	v_sub_u32_e32 v1, v18, v8
	v_lshlrev_b32_e32 v1, 1, v1
	ds_write_b16_d16_hi v1, v14
.LBB735_201:
	s_or_b64 exec, exec, s[30:31]
	v_cmp_lt_u32_e32 vcc, v0, v6
	s_waitcnt lgkmcnt(0)
	s_barrier
	s_and_saveexec_b64 s[2:3], vcc
	s_cbranch_execz .LBB735_216
; %bb.202:
	v_xad_u32 v1, v0, -1, v6
	s_movk_i32 s0, 0x1700
	v_cmp_gt_u32_e64 s[4:5], s0, v1
	s_movk_i32 s0, 0x16ff
	v_cmp_lt_u32_e32 vcc, s0, v1
	v_mov_b32_e32 v2, v0
	s_and_saveexec_b64 s[6:7], vcc
	s_cbranch_execz .LBB735_213
; %bb.203:
	v_sub_u32_e32 v2, v0, v6
	v_or_b32_e32 v2, 0xff, v2
	v_cmp_ge_u32_e32 vcc, v2, v0
	s_mov_b64 s[0:1], -1
	v_mov_b32_e32 v2, v0
	s_and_saveexec_b64 s[8:9], vcc
	s_cbranch_execz .LBB735_212
; %bb.204:
	v_lshrrev_b32_e32 v14, 8, v1
	v_or_b32_e32 v3, 0x300, v0
	v_or_b32_e32 v2, 0x200, v0
	v_add_u32_e32 v4, -3, v14
	v_or_b32_e32 v1, 0x100, v0
	v_lshrrev_b32_e32 v5, 2, v4
	v_pk_mov_b32 v[12:13], v[2:3], v[2:3] op_sel:[0,1]
	v_add_u32_e32 v50, 1, v5
	v_cmp_lt_u32_e32 vcc, 11, v4
	v_mov_b32_e32 v53, 0
	v_lshlrev_b32_e32 v49, 1, v0
	v_pk_mov_b32 v[10:11], v[0:1], v[0:1] op_sel:[0,1]
	s_and_saveexec_b64 s[10:11], vcc
	s_cbranch_execz .LBB735_208
; %bb.205:
	v_pk_mov_b32 v[12:13], v[2:3], v[2:3] op_sel:[0,1]
	v_and_b32_e32 v51, 0x7ffffffc, v50
	s_mov_b32 s14, 0
	s_mov_b64 s[12:13], 0
	v_mov_b32_e32 v5, 0
	v_mov_b32_e32 v52, v49
	v_pk_mov_b32 v[10:11], v[0:1], v[0:1] op_sel:[0,1]
.LBB735_206:                            ; =>This Inner Loop Header: Depth=1
	v_mov_b32_e32 v4, v10
	v_lshlrev_b64 v[86:87], 1, v[4:5]
	v_add_u32_e32 v72, 0x400, v11
	v_mov_b32_e32 v73, v5
	v_add_co_u32_e64 v86, s[0:1], v7, v86
	v_lshlrev_b64 v[72:73], 1, v[72:73]
	v_addc_co_u32_e64 v87, s[0:1], v48, v87, s[0:1]
	v_add_u32_e32 v70, 0x400, v12
	v_mov_b32_e32 v71, v5
	v_add_co_u32_e64 v72, s[0:1], v7, v72
	v_lshlrev_b64 v[70:71], 1, v[70:71]
	v_addc_co_u32_e64 v73, s[0:1], v48, v73, s[0:1]
	v_add_u32_e32 v2, 0x400, v13
	v_mov_b32_e32 v3, v5
	v_add_co_u32_e64 v70, s[0:1], v7, v70
	v_add_u32_e32 v51, -4, v51
	v_mov_b32_e32 v4, v11
	v_lshlrev_b64 v[2:3], 1, v[2:3]
	v_addc_co_u32_e64 v71, s[0:1], v48, v71, s[0:1]
	v_add_u32_e32 v78, 0x800, v11
	v_mov_b32_e32 v79, v5
	s_add_i32 s14, s14, 16
	v_cmp_eq_u32_e32 vcc, 0, v51
	v_lshlrev_b64 v[88:89], 1, v[4:5]
	v_add_co_u32_e64 v2, s[0:1], v7, v2
	v_lshlrev_b64 v[78:79], 1, v[78:79]
	v_mov_b32_e32 v4, v12
	v_addc_co_u32_e64 v3, s[0:1], v48, v3, s[0:1]
	s_or_b64 s[12:13], vcc, s[12:13]
	v_add_co_u32_e32 v88, vcc, v7, v88
	v_add_u32_e32 v76, 0x800, v12
	v_mov_b32_e32 v77, v5
	v_add_co_u32_e64 v78, s[0:1], v7, v78
	v_addc_co_u32_e32 v89, vcc, v48, v89, vcc
	v_lshlrev_b64 v[90:91], 1, v[4:5]
	v_lshlrev_b64 v[76:77], 1, v[76:77]
	v_addc_co_u32_e64 v79, s[0:1], v48, v79, s[0:1]
	v_mov_b32_e32 v4, v13
	v_add_co_u32_e32 v90, vcc, v7, v90
	ds_read_u16 v1, v52
	ds_read_u16 v69, v52 offset:512
	ds_read_u16 v94, v52 offset:1024
	;; [unrolled: 1-line block ×7, first 2 shown]
	v_add_u32_e32 v74, 0x800, v13
	v_mov_b32_e32 v75, v5
	v_add_co_u32_e64 v76, s[0:1], v7, v76
	v_addc_co_u32_e32 v91, vcc, v48, v91, vcc
	v_lshlrev_b64 v[92:93], 1, v[4:5]
	v_lshlrev_b64 v[74:75], 1, v[74:75]
	v_addc_co_u32_e64 v77, s[0:1], v48, v77, s[0:1]
	v_add_u32_e32 v4, 0x400, v10
	v_add_co_u32_e32 v92, vcc, v7, v92
	v_add_u32_e32 v84, 0xc00, v11
	v_mov_b32_e32 v85, v5
	ds_read_u16 v100, v52 offset:4096
	ds_read_u16 v101, v52 offset:4608
	;; [unrolled: 1-line block ×8, first 2 shown]
	v_add_co_u32_e64 v74, s[0:1], v7, v74
	v_addc_co_u32_e32 v93, vcc, v48, v93, vcc
	s_waitcnt lgkmcnt(14)
	global_store_short v[86:87], v1, off
	global_store_short v[88:89], v69, off
	s_waitcnt lgkmcnt(13)
	global_store_short v[90:91], v94, off
	v_lshlrev_b64 v[86:87], 1, v[4:5]
	v_lshlrev_b64 v[84:85], 1, v[84:85]
	v_addc_co_u32_e64 v75, s[0:1], v48, v75, s[0:1]
	v_add_u32_e32 v4, 0x800, v10
	v_add_co_u32_e32 v86, vcc, v7, v86
	v_add_u32_e32 v82, 0xc00, v12
	v_mov_b32_e32 v83, v5
	v_add_co_u32_e64 v84, s[0:1], v7, v84
	v_addc_co_u32_e32 v87, vcc, v48, v87, vcc
	v_lshlrev_b64 v[88:89], 1, v[4:5]
	v_lshlrev_b64 v[82:83], 1, v[82:83]
	v_addc_co_u32_e64 v85, s[0:1], v48, v85, s[0:1]
	s_waitcnt lgkmcnt(12)
	global_store_short v[92:93], v95, off
	v_add_u32_e32 v4, 0xc00, v10
	s_waitcnt lgkmcnt(11)
	global_store_short v[86:87], v96, off
	s_waitcnt lgkmcnt(10)
	global_store_short v[72:73], v97, off
	s_waitcnt lgkmcnt(9)
	global_store_short v[70:71], v98, off
	s_waitcnt lgkmcnt(8)
	global_store_short v[2:3], v99, off
	v_add_co_u32_e32 v2, vcc, v7, v88
	v_add_u32_e32 v80, 0xc00, v13
	v_mov_b32_e32 v81, v5
	v_add_co_u32_e64 v82, s[0:1], v7, v82
	v_addc_co_u32_e32 v3, vcc, v48, v89, vcc
	v_lshlrev_b64 v[70:71], 1, v[4:5]
	v_lshlrev_b64 v[80:81], 1, v[80:81]
	v_addc_co_u32_e64 v83, s[0:1], v48, v83, s[0:1]
	s_waitcnt lgkmcnt(7)
	global_store_short v[2:3], v100, off
	s_waitcnt lgkmcnt(6)
	global_store_short v[78:79], v101, off
	;; [unrolled: 2-line block ×4, first 2 shown]
	v_add_co_u32_e32 v2, vcc, v7, v70
	v_add_u32_e32 v52, 0x2000, v52
	v_add_u32_e32 v11, 0x1000, v11
	v_mov_b32_e32 v53, s14
	v_add_co_u32_e64 v80, s[0:1], v7, v80
	v_add_u32_e32 v12, 0x1000, v12
	v_add_u32_e32 v13, 0x1000, v13
	v_add_u32_e32 v10, 0x1000, v10
	v_addc_co_u32_e32 v3, vcc, v48, v71, vcc
	v_addc_co_u32_e64 v81, s[0:1], v48, v81, s[0:1]
	s_waitcnt lgkmcnt(3)
	global_store_short v[2:3], v104, off
	s_waitcnt lgkmcnt(2)
	global_store_short v[84:85], v105, off
	;; [unrolled: 2-line block ×4, first 2 shown]
	s_andn2_b64 exec, exec, s[12:13]
	s_cbranch_execnz .LBB735_206
; %bb.207:
	s_or_b64 exec, exec, s[12:13]
.LBB735_208:
	s_or_b64 exec, exec, s[10:11]
	v_and_b32_e32 v1, 3, v50
	v_cmp_ne_u32_e32 vcc, 0, v1
	s_and_saveexec_b64 s[10:11], vcc
	s_cbranch_execz .LBB735_211
; %bb.209:
	v_lshl_or_b32 v4, v53, 9, v49
	s_mov_b64 s[12:13], 0
	v_mov_b32_e32 v3, 0
.LBB735_210:                            ; =>This Inner Loop Header: Depth=1
	v_mov_b32_e32 v2, v10
	v_add_u32_e32 v1, -1, v1
	v_lshlrev_b64 v[50:51], 1, v[2:3]
	v_mov_b32_e32 v2, v11
	v_cmp_eq_u32_e32 vcc, 0, v1
	v_lshlrev_b64 v[52:53], 1, v[2:3]
	ds_read_u16 v5, v4
	ds_read_u16 v49, v4 offset:512
	ds_read_u16 v69, v4 offset:1024
	;; [unrolled: 1-line block ×3, first 2 shown]
	v_mov_b32_e32 v2, v12
	s_or_b64 s[12:13], vcc, s[12:13]
	v_add_co_u32_e32 v52, vcc, v7, v52
	v_addc_co_u32_e32 v53, vcc, v48, v53, vcc
	v_lshlrev_b64 v[70:71], 1, v[2:3]
	v_mov_b32_e32 v2, v13
	v_add_co_u32_e32 v70, vcc, v7, v70
	v_add_co_u32_e64 v50, s[0:1], v7, v50
	v_addc_co_u32_e32 v71, vcc, v48, v71, vcc
	v_lshlrev_b64 v[72:73], 1, v[2:3]
	v_add_u32_e32 v10, 0x400, v10
	v_add_u32_e32 v4, 0x800, v4
	;; [unrolled: 1-line block ×3, first 2 shown]
	v_addc_co_u32_e64 v51, s[0:1], v48, v51, s[0:1]
	v_add_u32_e32 v12, 0x400, v12
	v_add_u32_e32 v13, 0x400, v13
	v_add_co_u32_e32 v72, vcc, v7, v72
	v_addc_co_u32_e32 v73, vcc, v48, v73, vcc
	s_waitcnt lgkmcnt(3)
	global_store_short v[50:51], v5, off
	s_waitcnt lgkmcnt(2)
	global_store_short v[52:53], v49, off
	;; [unrolled: 2-line block ×4, first 2 shown]
	s_andn2_b64 exec, exec, s[12:13]
	s_cbranch_execnz .LBB735_210
.LBB735_211:
	s_or_b64 exec, exec, s[10:11]
	v_add_u32_e32 v1, 1, v14
	v_and_b32_e32 v3, 0x1fffffc, v1
	v_cmp_ne_u32_e32 vcc, v1, v3
	v_lshl_or_b32 v2, v3, 8, v0
	s_orn2_b64 s[0:1], vcc, exec
.LBB735_212:
	s_or_b64 exec, exec, s[8:9]
	s_andn2_b64 s[4:5], s[4:5], exec
	s_and_b64 s[0:1], s[0:1], exec
	s_or_b64 s[4:5], s[4:5], s[0:1]
.LBB735_213:
	s_or_b64 exec, exec, s[6:7]
	s_and_b64 exec, exec, s[4:5]
	s_cbranch_execz .LBB735_216
; %bb.214:
	v_lshlrev_b32_e32 v1, 1, v2
	s_mov_b64 s[0:1], 0
	v_mov_b32_e32 v3, 0
.LBB735_215:                            ; =>This Inner Loop Header: Depth=1
	v_lshlrev_b64 v[4:5], 1, v[2:3]
	ds_read_u16 v10, v1
	v_add_co_u32_e32 v4, vcc, v7, v4
	v_add_u32_e32 v2, 0x100, v2
	v_addc_co_u32_e32 v5, vcc, v48, v5, vcc
	v_cmp_ge_u32_e32 vcc, v2, v6
	v_add_u32_e32 v1, 0x200, v1
	s_or_b64 s[0:1], vcc, s[0:1]
	s_waitcnt lgkmcnt(0)
	global_store_short v[4:5], v10, off
	s_andn2_b64 exec, exec, s[0:1]
	s_cbranch_execnz .LBB735_215
.LBB735_216:
	s_or_b64 exec, exec, s[2:3]
.LBB735_217:
	s_cmpk_lg_i32 s33, 0xf00
	s_cselect_b64 s[0:1], -1, 0
	v_cndmask_b32_e64 v1, 0, 1, s[36:37]
	s_and_b64 s[0:1], s[34:35], s[0:1]
	v_cmp_eq_u32_e32 vcc, 0, v0
	v_sub_u32_e32 v3, v6, v1
	v_cndmask_b32_e64 v2, 0, 1, s[0:1]
	s_and_b64 s[0:1], vcc, s[36:37]
	v_add_u32_e32 v7, v3, v2
	v_cndmask_b32_e64 v3, v68, 0, s[0:1]
	s_mul_hi_u32 s0, s33, 0x88888889
	s_lshr_b32 s0, s0, 3
	v_mad_i32_i24 v4, v0, -15, s33
	v_cmp_eq_u32_e32 vcc, s0, v0
	v_cmp_ne_u32_e64 s[0:1], 0, v4
	v_cndmask_b32_e64 v5, 1, v3, s[0:1]
	v_cmp_ne_u32_e64 s[0:1], 1, v4
	v_cndmask_b32_e64 v10, 1, v66, s[0:1]
	;; [unrolled: 2-line block ×15, first 2 shown]
	s_and_b64 vcc, s[34:35], vcc
	v_cndmask_b32_e32 v15, v15, v4, vcc
	v_cndmask_b32_e32 v50, v59, v50, vcc
	;; [unrolled: 1-line block ×3, first 2 shown]
	v_lshlrev_b64 v[4:5], 2, v[16:17]
	v_cndmask_b32_e32 v54, v54, v69, vcc
	v_cndmask_b32_e32 v55, v55, v68, vcc
	;; [unrolled: 1-line block ×12, first 2 shown]
	v_mov_b32_e32 v3, s53
	v_add_co_u32_e32 v10, vcc, s52, v4
	v_addc_co_u32_e32 v3, vcc, v3, v5, vcc
	v_lshlrev_b64 v[4:5], 2, v[8:9]
	v_add_co_u32_e32 v9, vcc, v10, v4
	v_addc_co_u32_e32 v10, vcc, v3, v5, vcc
	v_lshlrev_b32_e32 v3, 2, v1
	v_add_co_u32_e32 v3, vcc, v3, v9
	v_addc_co_u32_e32 v4, vcc, 0, v10, vcc
	v_add_co_u32_e32 v11, vcc, -4, v3
	v_addc_co_u32_e32 v12, vcc, -1, v4, vcc
	v_cmp_eq_u32_e32 vcc, 0, v59
	v_cndmask_b32_e64 v4, 1, 2, vcc
	v_cmp_eq_u32_e32 vcc, 0, v58
	v_cndmask_b32_e64 v5, 1, 2, vcc
	v_cmp_eq_u32_e32 vcc, 0, v57
	v_and_b32_e32 v4, v5, v4
	v_cndmask_b32_e64 v5, 1, 2, vcc
	v_cmp_eq_u32_e32 vcc, 0, v56
	v_and_b32_e32 v4, v4, v5
	;; [unrolled: 3-line block ×13, first 2 shown]
	v_cndmask_b32_e64 v5, 1, 2, vcc
	s_movk_i32 s30, 0x100
	v_and_b32_e32 v4, v4, v5
	v_cmp_gt_u32_e32 vcc, s30, v7
	v_add_u32_e32 v3, v8, v1
	v_cmp_ne_u32_e64 s[28:29], 0, v59
	v_cmp_ne_u32_e64 s[26:27], 0, v58
	;; [unrolled: 1-line block ×15, first 2 shown]
	s_mov_b64 s[36:37], -1
	v_cmp_gt_i16_e64 s[30:31], 2, v4
	s_barrier
	s_cbranch_vccz .LBB735_254
; %bb.218:
	s_and_saveexec_b64 s[36:37], s[30:31]
	s_cbranch_execz .LBB735_253
; %bb.219:
	v_cmp_ne_u16_e32 vcc, 1, v4
	s_mov_b64 s[38:39], 0
	s_and_saveexec_b64 s[30:31], vcc
	s_xor_b64 s[30:31], exec, s[30:31]
	s_cbranch_execz .LBB735_234
; %bb.220:
	s_and_saveexec_b64 s[38:39], s[28:29]
	s_cbranch_execz .LBB735_236
; %bb.221:
	v_sub_u32_e32 v14, v46, v3
	v_mov_b32_e32 v15, 0
	v_lshlrev_b64 v[14:15], 2, v[14:15]
	v_add_co_u32_e32 v14, vcc, v11, v14
	v_addc_co_u32_e32 v15, vcc, v12, v15, vcc
	global_store_dword v[14:15], v47, off
	s_or_b64 exec, exec, s[38:39]
	s_and_saveexec_b64 s[38:39], s[26:27]
	s_cbranch_execnz .LBB735_237
.LBB735_222:
	s_or_b64 exec, exec, s[38:39]
	s_and_saveexec_b64 s[38:39], s[24:25]
	s_cbranch_execz .LBB735_238
.LBB735_223:
	v_sub_u32_e32 v14, v42, v3
	v_mov_b32_e32 v15, 0
	v_lshlrev_b64 v[14:15], 2, v[14:15]
	v_add_co_u32_e32 v14, vcc, v11, v14
	v_addc_co_u32_e32 v15, vcc, v12, v15, vcc
	global_store_dword v[14:15], v43, off
	s_or_b64 exec, exec, s[38:39]
	s_and_saveexec_b64 s[38:39], s[22:23]
	s_cbranch_execnz .LBB735_239
.LBB735_224:
	s_or_b64 exec, exec, s[38:39]
	s_and_saveexec_b64 s[38:39], s[20:21]
	s_cbranch_execz .LBB735_240
.LBB735_225:
	v_sub_u32_e32 v14, v38, v3
	v_mov_b32_e32 v15, 0
	v_lshlrev_b64 v[14:15], 2, v[14:15]
	v_add_co_u32_e32 v14, vcc, v11, v14
	v_addc_co_u32_e32 v15, vcc, v12, v15, vcc
	global_store_dword v[14:15], v39, off
	s_or_b64 exec, exec, s[38:39]
	s_and_saveexec_b64 s[38:39], s[18:19]
	s_cbranch_execnz .LBB735_241
.LBB735_226:
	s_or_b64 exec, exec, s[38:39]
	s_and_saveexec_b64 s[38:39], s[16:17]
	s_cbranch_execz .LBB735_242
.LBB735_227:
	v_sub_u32_e32 v14, v34, v3
	v_mov_b32_e32 v15, 0
	v_lshlrev_b64 v[14:15], 2, v[14:15]
	v_add_co_u32_e32 v14, vcc, v11, v14
	v_addc_co_u32_e32 v15, vcc, v12, v15, vcc
	global_store_dword v[14:15], v35, off
	s_or_b64 exec, exec, s[38:39]
	s_and_saveexec_b64 s[38:39], s[14:15]
	s_cbranch_execnz .LBB735_243
.LBB735_228:
	s_or_b64 exec, exec, s[38:39]
	s_and_saveexec_b64 s[38:39], s[12:13]
	s_cbranch_execz .LBB735_244
.LBB735_229:
	v_sub_u32_e32 v14, v30, v3
	v_mov_b32_e32 v15, 0
	v_lshlrev_b64 v[14:15], 2, v[14:15]
	v_add_co_u32_e32 v14, vcc, v11, v14
	v_addc_co_u32_e32 v15, vcc, v12, v15, vcc
	global_store_dword v[14:15], v31, off
	s_or_b64 exec, exec, s[38:39]
	s_and_saveexec_b64 s[38:39], s[10:11]
	s_cbranch_execnz .LBB735_245
.LBB735_230:
	s_or_b64 exec, exec, s[38:39]
	s_and_saveexec_b64 s[38:39], s[8:9]
	s_cbranch_execz .LBB735_246
.LBB735_231:
	v_sub_u32_e32 v14, v26, v3
	v_mov_b32_e32 v15, 0
	v_lshlrev_b64 v[14:15], 2, v[14:15]
	v_add_co_u32_e32 v14, vcc, v11, v14
	v_addc_co_u32_e32 v15, vcc, v12, v15, vcc
	global_store_dword v[14:15], v27, off
	s_or_b64 exec, exec, s[38:39]
	s_and_saveexec_b64 s[38:39], s[6:7]
	s_cbranch_execnz .LBB735_247
.LBB735_232:
	s_or_b64 exec, exec, s[38:39]
	s_and_saveexec_b64 s[38:39], s[4:5]
	s_cbranch_execz .LBB735_248
.LBB735_233:
	v_sub_u32_e32 v14, v22, v3
	v_mov_b32_e32 v15, 0
	v_lshlrev_b64 v[14:15], 2, v[14:15]
	v_add_co_u32_e32 v14, vcc, v11, v14
	v_addc_co_u32_e32 v15, vcc, v12, v15, vcc
	global_store_dword v[14:15], v23, off
	s_or_b64 exec, exec, s[38:39]
	s_and_saveexec_b64 s[38:39], s[2:3]
	s_cbranch_execnz .LBB735_249
	s_branch .LBB735_250
.LBB735_234:
	s_andn2_saveexec_b64 s[30:31], s[30:31]
	s_cbranch_execz .LBB735_251
.LBB735_235:
	v_sub_u32_e32 v14, v46, v3
	v_mov_b32_e32 v15, 0
	v_lshlrev_b64 v[48:49], 2, v[14:15]
	v_add_co_u32_e32 v48, vcc, v11, v48
	v_addc_co_u32_e32 v49, vcc, v12, v49, vcc
	v_sub_u32_e32 v14, v44, v3
	global_store_dword v[48:49], v47, off
	v_lshlrev_b64 v[48:49], 2, v[14:15]
	v_add_co_u32_e32 v48, vcc, v11, v48
	v_addc_co_u32_e32 v49, vcc, v12, v49, vcc
	v_sub_u32_e32 v14, v42, v3
	global_store_dword v[48:49], v45, off
	;; [unrolled: 5-line block ×12, first 2 shown]
	v_lshlrev_b64 v[48:49], 2, v[14:15]
	v_add_co_u32_e32 v48, vcc, v11, v48
	v_sub_u32_e32 v14, v20, v3
	v_addc_co_u32_e32 v49, vcc, v12, v49, vcc
	v_lshlrev_b64 v[14:15], 2, v[14:15]
	v_add_co_u32_e32 v14, vcc, v11, v14
	v_addc_co_u32_e32 v15, vcc, v12, v15, vcc
	s_or_b64 s[38:39], s[38:39], exec
	global_store_dword v[48:49], v23, off
	global_store_dword v[14:15], v21, off
	s_or_b64 exec, exec, s[30:31]
	s_and_b64 exec, exec, s[38:39]
	s_cbranch_execnz .LBB735_252
	s_branch .LBB735_253
.LBB735_236:
	s_or_b64 exec, exec, s[38:39]
	s_and_saveexec_b64 s[38:39], s[26:27]
	s_cbranch_execz .LBB735_222
.LBB735_237:
	v_sub_u32_e32 v14, v44, v3
	v_mov_b32_e32 v15, 0
	v_lshlrev_b64 v[14:15], 2, v[14:15]
	v_add_co_u32_e32 v14, vcc, v11, v14
	v_addc_co_u32_e32 v15, vcc, v12, v15, vcc
	global_store_dword v[14:15], v45, off
	s_or_b64 exec, exec, s[38:39]
	s_and_saveexec_b64 s[38:39], s[24:25]
	s_cbranch_execnz .LBB735_223
.LBB735_238:
	s_or_b64 exec, exec, s[38:39]
	s_and_saveexec_b64 s[38:39], s[22:23]
	s_cbranch_execz .LBB735_224
.LBB735_239:
	v_sub_u32_e32 v14, v40, v3
	v_mov_b32_e32 v15, 0
	v_lshlrev_b64 v[14:15], 2, v[14:15]
	v_add_co_u32_e32 v14, vcc, v11, v14
	v_addc_co_u32_e32 v15, vcc, v12, v15, vcc
	global_store_dword v[14:15], v41, off
	s_or_b64 exec, exec, s[38:39]
	s_and_saveexec_b64 s[38:39], s[20:21]
	s_cbranch_execnz .LBB735_225
.LBB735_240:
	s_or_b64 exec, exec, s[38:39]
	s_and_saveexec_b64 s[38:39], s[18:19]
	s_cbranch_execz .LBB735_226
.LBB735_241:
	v_sub_u32_e32 v14, v36, v3
	v_mov_b32_e32 v15, 0
	v_lshlrev_b64 v[14:15], 2, v[14:15]
	v_add_co_u32_e32 v14, vcc, v11, v14
	v_addc_co_u32_e32 v15, vcc, v12, v15, vcc
	global_store_dword v[14:15], v37, off
	s_or_b64 exec, exec, s[38:39]
	s_and_saveexec_b64 s[38:39], s[16:17]
	s_cbranch_execnz .LBB735_227
.LBB735_242:
	s_or_b64 exec, exec, s[38:39]
	s_and_saveexec_b64 s[38:39], s[14:15]
	s_cbranch_execz .LBB735_228
.LBB735_243:
	v_sub_u32_e32 v14, v32, v3
	v_mov_b32_e32 v15, 0
	v_lshlrev_b64 v[14:15], 2, v[14:15]
	v_add_co_u32_e32 v14, vcc, v11, v14
	v_addc_co_u32_e32 v15, vcc, v12, v15, vcc
	global_store_dword v[14:15], v33, off
	s_or_b64 exec, exec, s[38:39]
	s_and_saveexec_b64 s[38:39], s[12:13]
	s_cbranch_execnz .LBB735_229
.LBB735_244:
	s_or_b64 exec, exec, s[38:39]
	s_and_saveexec_b64 s[38:39], s[10:11]
	s_cbranch_execz .LBB735_230
.LBB735_245:
	v_sub_u32_e32 v14, v28, v3
	v_mov_b32_e32 v15, 0
	v_lshlrev_b64 v[14:15], 2, v[14:15]
	v_add_co_u32_e32 v14, vcc, v11, v14
	v_addc_co_u32_e32 v15, vcc, v12, v15, vcc
	global_store_dword v[14:15], v29, off
	s_or_b64 exec, exec, s[38:39]
	s_and_saveexec_b64 s[38:39], s[8:9]
	s_cbranch_execnz .LBB735_231
.LBB735_246:
	s_or_b64 exec, exec, s[38:39]
	s_and_saveexec_b64 s[38:39], s[6:7]
	s_cbranch_execz .LBB735_232
.LBB735_247:
	v_sub_u32_e32 v14, v24, v3
	v_mov_b32_e32 v15, 0
	v_lshlrev_b64 v[14:15], 2, v[14:15]
	v_add_co_u32_e32 v14, vcc, v11, v14
	v_addc_co_u32_e32 v15, vcc, v12, v15, vcc
	global_store_dword v[14:15], v25, off
	s_or_b64 exec, exec, s[38:39]
	s_and_saveexec_b64 s[38:39], s[4:5]
	s_cbranch_execnz .LBB735_233
.LBB735_248:
	s_or_b64 exec, exec, s[38:39]
	s_and_saveexec_b64 s[38:39], s[2:3]
	s_cbranch_execz .LBB735_250
.LBB735_249:
	v_sub_u32_e32 v14, v20, v3
	v_mov_b32_e32 v15, 0
	v_lshlrev_b64 v[14:15], 2, v[14:15]
	v_add_co_u32_e32 v14, vcc, v11, v14
	v_addc_co_u32_e32 v15, vcc, v12, v15, vcc
	global_store_dword v[14:15], v21, off
.LBB735_250:
	s_or_b64 exec, exec, s[38:39]
	s_and_b64 s[38:39], s[0:1], exec
	s_andn2_saveexec_b64 s[30:31], s[30:31]
	s_cbranch_execnz .LBB735_235
.LBB735_251:
	s_or_b64 exec, exec, s[30:31]
	s_and_b64 exec, exec, s[38:39]
	s_cbranch_execz .LBB735_253
.LBB735_252:
	v_sub_u32_e32 v14, v18, v3
	v_mov_b32_e32 v15, 0
	v_lshlrev_b64 v[14:15], 2, v[14:15]
	v_add_co_u32_e32 v14, vcc, v11, v14
	v_addc_co_u32_e32 v15, vcc, v12, v15, vcc
	global_store_dword v[14:15], v19, off
.LBB735_253:
	s_or_b64 exec, exec, s[36:37]
	s_mov_b64 s[36:37], 0
.LBB735_254:
	s_and_b64 vcc, exec, s[36:37]
	s_cbranch_vccz .LBB735_306
; %bb.255:
	v_cmp_gt_i16_e32 vcc, 2, v4
	s_and_saveexec_b64 s[30:31], vcc
	s_cbranch_execz .LBB735_290
; %bb.256:
	v_cmp_ne_u16_e32 vcc, 1, v4
	s_mov_b64 s[38:39], 0
	s_and_saveexec_b64 s[36:37], vcc
	s_xor_b64 s[36:37], exec, s[36:37]
	s_cbranch_execz .LBB735_271
; %bb.257:
	s_and_saveexec_b64 s[38:39], s[28:29]
	s_cbranch_execz .LBB735_273
; %bb.258:
	v_sub_u32_e32 v4, v46, v3
	v_lshlrev_b32_e32 v4, 2, v4
	ds_write_b32 v4, v47
	s_or_b64 exec, exec, s[38:39]
	s_and_saveexec_b64 s[28:29], s[26:27]
	s_cbranch_execnz .LBB735_274
.LBB735_259:
	s_or_b64 exec, exec, s[28:29]
	s_and_saveexec_b64 s[26:27], s[24:25]
	s_cbranch_execz .LBB735_275
.LBB735_260:
	v_sub_u32_e32 v4, v42, v3
	v_lshlrev_b32_e32 v4, 2, v4
	ds_write_b32 v4, v43
	s_or_b64 exec, exec, s[26:27]
	s_and_saveexec_b64 s[24:25], s[22:23]
	s_cbranch_execnz .LBB735_276
.LBB735_261:
	s_or_b64 exec, exec, s[24:25]
	s_and_saveexec_b64 s[22:23], s[20:21]
	s_cbranch_execz .LBB735_277
.LBB735_262:
	v_sub_u32_e32 v4, v38, v3
	v_lshlrev_b32_e32 v4, 2, v4
	ds_write_b32 v4, v39
	s_or_b64 exec, exec, s[22:23]
	s_and_saveexec_b64 s[20:21], s[18:19]
	s_cbranch_execnz .LBB735_278
.LBB735_263:
	s_or_b64 exec, exec, s[20:21]
	s_and_saveexec_b64 s[18:19], s[16:17]
	s_cbranch_execz .LBB735_279
.LBB735_264:
	v_sub_u32_e32 v4, v34, v3
	v_lshlrev_b32_e32 v4, 2, v4
	ds_write_b32 v4, v35
	s_or_b64 exec, exec, s[18:19]
	s_and_saveexec_b64 s[16:17], s[14:15]
	s_cbranch_execnz .LBB735_280
.LBB735_265:
	s_or_b64 exec, exec, s[16:17]
	s_and_saveexec_b64 s[14:15], s[12:13]
	s_cbranch_execz .LBB735_281
.LBB735_266:
	v_sub_u32_e32 v4, v30, v3
	v_lshlrev_b32_e32 v4, 2, v4
	ds_write_b32 v4, v31
	s_or_b64 exec, exec, s[14:15]
	s_and_saveexec_b64 s[12:13], s[10:11]
	s_cbranch_execnz .LBB735_282
.LBB735_267:
	s_or_b64 exec, exec, s[12:13]
	s_and_saveexec_b64 s[10:11], s[8:9]
	s_cbranch_execz .LBB735_283
.LBB735_268:
	v_sub_u32_e32 v4, v26, v3
	v_lshlrev_b32_e32 v4, 2, v4
	ds_write_b32 v4, v27
	s_or_b64 exec, exec, s[10:11]
	s_and_saveexec_b64 s[8:9], s[6:7]
	s_cbranch_execnz .LBB735_284
.LBB735_269:
	s_or_b64 exec, exec, s[8:9]
	s_and_saveexec_b64 s[6:7], s[4:5]
	s_cbranch_execz .LBB735_285
.LBB735_270:
	v_sub_u32_e32 v4, v22, v3
	v_lshlrev_b32_e32 v4, 2, v4
	ds_write_b32 v4, v23
	s_or_b64 exec, exec, s[6:7]
	s_and_saveexec_b64 s[4:5], s[2:3]
	s_cbranch_execnz .LBB735_286
	s_branch .LBB735_287
.LBB735_271:
	s_andn2_saveexec_b64 s[0:1], s[36:37]
	s_cbranch_execz .LBB735_288
.LBB735_272:
	v_sub_u32_e32 v4, v46, v3
	v_lshlrev_b32_e32 v4, 2, v4
	ds_write_b32 v4, v47
	v_sub_u32_e32 v4, v44, v3
	v_lshlrev_b32_e32 v4, 2, v4
	ds_write_b32 v4, v45
	;; [unrolled: 3-line block ×13, first 2 shown]
	v_sub_u32_e32 v4, v20, v3
	v_lshlrev_b32_e32 v4, 2, v4
	s_or_b64 s[38:39], s[38:39], exec
	ds_write_b32 v4, v21
	s_or_b64 exec, exec, s[0:1]
	s_and_b64 exec, exec, s[38:39]
	s_cbranch_execnz .LBB735_289
	s_branch .LBB735_290
.LBB735_273:
	s_or_b64 exec, exec, s[38:39]
	s_and_saveexec_b64 s[28:29], s[26:27]
	s_cbranch_execz .LBB735_259
.LBB735_274:
	v_sub_u32_e32 v4, v44, v3
	v_lshlrev_b32_e32 v4, 2, v4
	ds_write_b32 v4, v45
	s_or_b64 exec, exec, s[28:29]
	s_and_saveexec_b64 s[26:27], s[24:25]
	s_cbranch_execnz .LBB735_260
.LBB735_275:
	s_or_b64 exec, exec, s[26:27]
	s_and_saveexec_b64 s[24:25], s[22:23]
	s_cbranch_execz .LBB735_261
.LBB735_276:
	v_sub_u32_e32 v4, v40, v3
	v_lshlrev_b32_e32 v4, 2, v4
	ds_write_b32 v4, v41
	s_or_b64 exec, exec, s[24:25]
	s_and_saveexec_b64 s[22:23], s[20:21]
	s_cbranch_execnz .LBB735_262
.LBB735_277:
	s_or_b64 exec, exec, s[22:23]
	s_and_saveexec_b64 s[20:21], s[18:19]
	s_cbranch_execz .LBB735_263
.LBB735_278:
	v_sub_u32_e32 v4, v36, v3
	v_lshlrev_b32_e32 v4, 2, v4
	ds_write_b32 v4, v37
	s_or_b64 exec, exec, s[20:21]
	s_and_saveexec_b64 s[18:19], s[16:17]
	s_cbranch_execnz .LBB735_264
.LBB735_279:
	s_or_b64 exec, exec, s[18:19]
	s_and_saveexec_b64 s[16:17], s[14:15]
	s_cbranch_execz .LBB735_265
.LBB735_280:
	v_sub_u32_e32 v4, v32, v3
	v_lshlrev_b32_e32 v4, 2, v4
	ds_write_b32 v4, v33
	s_or_b64 exec, exec, s[16:17]
	s_and_saveexec_b64 s[14:15], s[12:13]
	s_cbranch_execnz .LBB735_266
.LBB735_281:
	s_or_b64 exec, exec, s[14:15]
	s_and_saveexec_b64 s[12:13], s[10:11]
	s_cbranch_execz .LBB735_267
.LBB735_282:
	v_sub_u32_e32 v4, v28, v3
	v_lshlrev_b32_e32 v4, 2, v4
	ds_write_b32 v4, v29
	s_or_b64 exec, exec, s[12:13]
	s_and_saveexec_b64 s[10:11], s[8:9]
	s_cbranch_execnz .LBB735_268
.LBB735_283:
	s_or_b64 exec, exec, s[10:11]
	s_and_saveexec_b64 s[8:9], s[6:7]
	s_cbranch_execz .LBB735_269
.LBB735_284:
	v_sub_u32_e32 v4, v24, v3
	v_lshlrev_b32_e32 v4, 2, v4
	ds_write_b32 v4, v25
	s_or_b64 exec, exec, s[8:9]
	s_and_saveexec_b64 s[6:7], s[4:5]
	s_cbranch_execnz .LBB735_270
.LBB735_285:
	s_or_b64 exec, exec, s[6:7]
	s_and_saveexec_b64 s[4:5], s[2:3]
	s_cbranch_execz .LBB735_287
.LBB735_286:
	v_sub_u32_e32 v4, v20, v3
	v_lshlrev_b32_e32 v4, 2, v4
	ds_write_b32 v4, v21
.LBB735_287:
	s_or_b64 exec, exec, s[4:5]
	s_and_b64 s[38:39], s[0:1], exec
                                        ; implicit-def: $vgpr46_vgpr47
                                        ; implicit-def: $vgpr44_vgpr45
                                        ; implicit-def: $vgpr42_vgpr43
                                        ; implicit-def: $vgpr40_vgpr41
                                        ; implicit-def: $vgpr38_vgpr39
                                        ; implicit-def: $vgpr36_vgpr37
                                        ; implicit-def: $vgpr34_vgpr35
                                        ; implicit-def: $vgpr32_vgpr33
                                        ; implicit-def: $vgpr30_vgpr31
                                        ; implicit-def: $vgpr28_vgpr29
                                        ; implicit-def: $vgpr26_vgpr27
                                        ; implicit-def: $vgpr24_vgpr25
                                        ; implicit-def: $vgpr22_vgpr23
                                        ; implicit-def: $vgpr20_vgpr21
	s_andn2_saveexec_b64 s[0:1], s[36:37]
	s_cbranch_execnz .LBB735_272
.LBB735_288:
	s_or_b64 exec, exec, s[0:1]
	s_and_b64 exec, exec, s[38:39]
	s_cbranch_execz .LBB735_290
.LBB735_289:
	v_sub_u32_e32 v3, v18, v3
	v_lshlrev_b32_e32 v3, 2, v3
	ds_write_b32 v3, v19
.LBB735_290:
	s_or_b64 exec, exec, s[30:31]
	v_cmp_lt_u32_e32 vcc, v0, v7
	s_waitcnt lgkmcnt(0)
	s_barrier
	s_and_saveexec_b64 s[2:3], vcc
	s_cbranch_execz .LBB735_305
; %bb.291:
	v_add_u32_e32 v4, v6, v2
	v_xad_u32 v2, v0, -1, v4
	v_sub_u32_e32 v3, v2, v1
	s_movk_i32 s0, 0x1900
	v_cmp_gt_u32_e64 s[4:5], s0, v3
	s_movk_i32 s0, 0x18ff
	v_cmp_lt_u32_e32 vcc, s0, v3
	v_mov_b32_e32 v2, v0
	s_and_saveexec_b64 s[6:7], vcc
	s_cbranch_execz .LBB735_302
; %bb.292:
	v_sub_u32_e32 v2, v0, v4
	v_add_u32_e32 v1, v2, v1
	v_or_b32_e32 v1, 0xff, v1
	v_cmp_ge_u32_e32 vcc, v1, v0
	s_mov_b64 s[0:1], -1
	v_mov_b32_e32 v2, v0
	s_and_saveexec_b64 s[8:9], vcc
	s_cbranch_execz .LBB735_301
; %bb.293:
	v_lshrrev_b32_e32 v13, 8, v3
	v_add_u32_e32 v2, -1, v13
	v_or_b32_e32 v1, 0x100, v0
	v_lshrrev_b32_e32 v3, 1, v2
	v_add_u32_e32 v15, 1, v3
	v_cmp_lt_u32_e32 vcc, 13, v2
	v_mov_b32_e32 v20, 0
	v_lshlrev_b32_e32 v14, 2, v0
	v_pk_mov_b32 v[2:3], v[0:1], v[0:1] op_sel:[0,1]
	s_and_saveexec_b64 s[10:11], vcc
	s_cbranch_execz .LBB735_297
; %bb.294:
	v_and_b32_e32 v18, -8, v15
	s_mov_b32 s14, 0
	s_mov_b64 s[12:13], 0
	v_mov_b32_e32 v5, 0
	v_mov_b32_e32 v19, v14
	v_pk_mov_b32 v[2:3], v[0:1], v[0:1] op_sel:[0,1]
.LBB735_295:                            ; =>This Inner Loop Header: Depth=1
	v_mov_b32_e32 v4, v2
	v_add_u32_e32 v18, -8, v18
	v_lshlrev_b64 v[50:51], 2, v[4:5]
	v_mov_b32_e32 v4, v3
	ds_read2st64_b32 v[22:23], v19 offset1:4
	s_add_i32 s14, s14, 16
	v_cmp_eq_u32_e32 vcc, 0, v18
	v_lshlrev_b64 v[54:55], 2, v[4:5]
	v_add_u32_e32 v4, 0x200, v2
	s_or_b64 s[12:13], vcc, s[12:13]
	v_add_co_u32_e32 v54, vcc, v11, v54
	v_add_u32_e32 v20, 0x200, v3
	v_mov_b32_e32 v21, v5
	ds_read2st64_b32 v[24:25], v19 offset0:8 offset1:12
	ds_read2st64_b32 v[28:29], v19 offset0:16 offset1:20
	v_add_co_u32_e64 v50, s[0:1], v11, v50
	v_addc_co_u32_e32 v55, vcc, v12, v55, vcc
	v_lshlrev_b64 v[56:57], 2, v[4:5]
	v_lshlrev_b64 v[52:53], 2, v[20:21]
	v_addc_co_u32_e64 v51, s[0:1], v12, v51, s[0:1]
	v_add_u32_e32 v4, 0x400, v2
	v_add_co_u32_e32 v56, vcc, v11, v56
	v_add_u32_e32 v26, 0x400, v3
	v_mov_b32_e32 v27, v5
	ds_read2st64_b32 v[32:33], v19 offset0:24 offset1:28
	v_add_co_u32_e64 v52, s[0:1], v11, v52
	v_addc_co_u32_e32 v57, vcc, v12, v57, vcc
	v_lshlrev_b64 v[58:59], 2, v[4:5]
	ds_read2st64_b32 v[36:37], v19 offset0:32 offset1:36
	ds_read2st64_b32 v[40:41], v19 offset0:40 offset1:44
	;; [unrolled: 1-line block ×4, first 2 shown]
	v_lshlrev_b64 v[26:27], 2, v[26:27]
	v_addc_co_u32_e64 v53, s[0:1], v12, v53, s[0:1]
	v_add_u32_e32 v4, 0x600, v2
	s_waitcnt lgkmcnt(7)
	global_store_dword v[50:51], v22, off
	global_store_dword v[54:55], v23, off
	s_waitcnt lgkmcnt(6)
	global_store_dword v[56:57], v24, off
	global_store_dword v[52:53], v25, off
	v_add_co_u32_e32 v22, vcc, v11, v58
	v_add_u32_e32 v30, 0x600, v3
	v_mov_b32_e32 v31, v5
	v_add_co_u32_e64 v26, s[0:1], v11, v26
	v_addc_co_u32_e32 v23, vcc, v12, v59, vcc
	v_lshlrev_b64 v[24:25], 2, v[4:5]
	v_lshlrev_b64 v[30:31], 2, v[30:31]
	v_addc_co_u32_e64 v27, s[0:1], v12, v27, s[0:1]
	v_add_u32_e32 v4, 0x800, v2
	s_waitcnt lgkmcnt(5)
	global_store_dword v[22:23], v28, off
	global_store_dword v[26:27], v29, off
	v_add_co_u32_e32 v22, vcc, v11, v24
	v_add_u32_e32 v34, 0x800, v3
	v_mov_b32_e32 v35, v5
	v_add_co_u32_e64 v30, s[0:1], v11, v30
	v_addc_co_u32_e32 v23, vcc, v12, v25, vcc
	v_lshlrev_b64 v[24:25], 2, v[4:5]
	v_lshlrev_b64 v[34:35], 2, v[34:35]
	v_addc_co_u32_e64 v31, s[0:1], v12, v31, s[0:1]
	v_add_u32_e32 v4, 0xa00, v2
	;; [unrolled: 12-line block ×4, first 2 shown]
	s_waitcnt lgkmcnt(2)
	global_store_dword v[22:23], v40, off
	global_store_dword v[38:39], v41, off
	v_add_co_u32_e32 v22, vcc, v11, v24
	v_add_u32_e32 v46, 0xe00, v3
	v_mov_b32_e32 v47, v5
	v_add_co_u32_e64 v42, s[0:1], v11, v42
	v_addc_co_u32_e32 v23, vcc, v12, v25, vcc
	v_lshlrev_b64 v[24:25], 2, v[4:5]
	v_lshlrev_b64 v[46:47], 2, v[46:47]
	v_addc_co_u32_e64 v43, s[0:1], v12, v43, s[0:1]
	s_waitcnt lgkmcnt(1)
	global_store_dword v[22:23], v44, off
	global_store_dword v[42:43], v45, off
	v_add_co_u32_e32 v22, vcc, v11, v24
	v_add_u32_e32 v19, 0x4000, v19
	v_add_u32_e32 v3, 0x1000, v3
	v_mov_b32_e32 v20, s14
	v_add_co_u32_e64 v46, s[0:1], v11, v46
	v_add_u32_e32 v2, 0x1000, v2
	v_addc_co_u32_e32 v23, vcc, v12, v25, vcc
	v_addc_co_u32_e64 v47, s[0:1], v12, v47, s[0:1]
	s_waitcnt lgkmcnt(0)
	global_store_dword v[22:23], v48, off
	global_store_dword v[46:47], v49, off
	s_andn2_b64 exec, exec, s[12:13]
	s_cbranch_execnz .LBB735_295
; %bb.296:
	s_or_b64 exec, exec, s[12:13]
.LBB735_297:
	s_or_b64 exec, exec, s[10:11]
	v_and_b32_e32 v1, 7, v15
	v_cmp_ne_u32_e32 vcc, 0, v1
	s_and_saveexec_b64 s[10:11], vcc
	s_cbranch_execz .LBB735_300
; %bb.298:
	v_lshl_or_b32 v14, v20, 10, v14
	s_mov_b64 s[12:13], 0
	v_mov_b32_e32 v5, 0
.LBB735_299:                            ; =>This Inner Loop Header: Depth=1
	ds_read2st64_b32 v[18:19], v14 offset1:4
	v_mov_b32_e32 v4, v2
	v_add_u32_e32 v1, -1, v1
	v_lshlrev_b64 v[20:21], 2, v[4:5]
	v_mov_b32_e32 v4, v3
	v_cmp_eq_u32_e32 vcc, 0, v1
	v_add_co_u32_e64 v20, s[0:1], v11, v20
	v_lshlrev_b64 v[22:23], 2, v[4:5]
	v_add_u32_e32 v2, 0x200, v2
	v_add_u32_e32 v14, 0x800, v14
	;; [unrolled: 1-line block ×3, first 2 shown]
	v_addc_co_u32_e64 v21, s[0:1], v12, v21, s[0:1]
	s_or_b64 s[12:13], vcc, s[12:13]
	v_add_co_u32_e32 v22, vcc, v11, v22
	v_addc_co_u32_e32 v23, vcc, v12, v23, vcc
	s_waitcnt lgkmcnt(0)
	global_store_dword v[20:21], v18, off
	global_store_dword v[22:23], v19, off
	s_andn2_b64 exec, exec, s[12:13]
	s_cbranch_execnz .LBB735_299
.LBB735_300:
	s_or_b64 exec, exec, s[10:11]
	v_add_u32_e32 v1, 1, v13
	v_and_b32_e32 v3, 0x1fffffe, v1
	v_cmp_ne_u32_e32 vcc, v1, v3
	v_lshl_or_b32 v2, v3, 8, v0
	s_orn2_b64 s[0:1], vcc, exec
.LBB735_301:
	s_or_b64 exec, exec, s[8:9]
	s_andn2_b64 s[4:5], s[4:5], exec
	s_and_b64 s[0:1], s[0:1], exec
	s_or_b64 s[4:5], s[4:5], s[0:1]
.LBB735_302:
	s_or_b64 exec, exec, s[6:7]
	s_and_b64 exec, exec, s[4:5]
	s_cbranch_execz .LBB735_305
; %bb.303:
	v_lshlrev_b32_e32 v1, 2, v2
	s_mov_b64 s[0:1], 0
	v_mov_b32_e32 v3, 0
.LBB735_304:                            ; =>This Inner Loop Header: Depth=1
	v_lshlrev_b64 v[4:5], 2, v[2:3]
	ds_read_b32 v13, v1
	v_add_co_u32_e32 v4, vcc, v11, v4
	v_add_u32_e32 v2, 0x100, v2
	v_addc_co_u32_e32 v5, vcc, v12, v5, vcc
	v_cmp_ge_u32_e32 vcc, v2, v7
	v_add_u32_e32 v1, 0x400, v1
	s_or_b64 s[0:1], vcc, s[0:1]
	s_waitcnt lgkmcnt(0)
	global_store_dword v[4:5], v13, off
	s_andn2_b64 exec, exec, s[0:1]
	s_cbranch_execnz .LBB735_304
.LBB735_305:
	s_or_b64 exec, exec, s[2:3]
.LBB735_306:
	s_movk_i32 s0, 0xff
	v_cmp_eq_u32_e32 vcc, s0, v0
	s_and_b64 s[0:1], vcc, s[34:35]
	s_and_saveexec_b64 s[2:3], s[0:1]
	s_cbranch_execz .LBB735_309
; %bb.307:
	v_add_co_u32_e32 v0, vcc, v6, v8
	v_addc_co_u32_e64 v1, s[0:1], 0, 0, vcc
	v_add_co_u32_e32 v0, vcc, v0, v16
	v_mov_b32_e32 v7, 0
	v_addc_co_u32_e32 v1, vcc, v1, v17, vcc
	s_cmpk_lg_i32 s33, 0xf00
	global_store_dwordx2 v7, v[0:1], s[54:55]
	s_cbranch_scc1 .LBB735_309
; %bb.308:
	v_lshlrev_b64 v[0:1], 2, v[6:7]
	v_add_co_u32_e32 v0, vcc, v9, v0
	v_addc_co_u32_e32 v1, vcc, v10, v1, vcc
	global_store_dword v[0:1], v67, off offset:-4
.LBB735_309:
	s_endpgm
	.section	.rodata,"a",@progbits
	.p2align	6, 0x0
	.amdhsa_kernel _ZN7rocprim17ROCPRIM_400000_NS6detail17trampoline_kernelINS0_14default_configENS1_29reduce_by_key_config_selectorItjN6thrust23THRUST_200600_302600_NS4plusIjEEEEZZNS1_33reduce_by_key_impl_wrapped_configILNS1_25lookback_scan_determinismE0ES3_S9_NS6_6detail15normal_iteratorINS6_10device_ptrItEEEENSD_INSE_IjEEEESG_SI_PmS8_NS6_8equal_toItEEEE10hipError_tPvRmT2_T3_mT4_T5_T6_T7_T8_P12ihipStream_tbENKUlT_T0_E_clISt17integral_constantIbLb0EES13_EEDaSY_SZ_EUlSY_E_NS1_11comp_targetILNS1_3genE4ELNS1_11target_archE910ELNS1_3gpuE8ELNS1_3repE0EEENS1_30default_config_static_selectorELNS0_4arch9wavefront6targetE1EEEvT1_
		.amdhsa_group_segment_fixed_size 15360
		.amdhsa_private_segment_fixed_size 0
		.amdhsa_kernarg_size 120
		.amdhsa_user_sgpr_count 6
		.amdhsa_user_sgpr_private_segment_buffer 1
		.amdhsa_user_sgpr_dispatch_ptr 0
		.amdhsa_user_sgpr_queue_ptr 0
		.amdhsa_user_sgpr_kernarg_segment_ptr 1
		.amdhsa_user_sgpr_dispatch_id 0
		.amdhsa_user_sgpr_flat_scratch_init 0
		.amdhsa_user_sgpr_kernarg_preload_length 0
		.amdhsa_user_sgpr_kernarg_preload_offset 0
		.amdhsa_user_sgpr_private_segment_size 0
		.amdhsa_uses_dynamic_stack 0
		.amdhsa_system_sgpr_private_segment_wavefront_offset 0
		.amdhsa_system_sgpr_workgroup_id_x 1
		.amdhsa_system_sgpr_workgroup_id_y 0
		.amdhsa_system_sgpr_workgroup_id_z 0
		.amdhsa_system_sgpr_workgroup_info 0
		.amdhsa_system_vgpr_workitem_id 0
		.amdhsa_next_free_vgpr 108
		.amdhsa_next_free_sgpr 64
		.amdhsa_accum_offset 108
		.amdhsa_reserve_vcc 1
		.amdhsa_reserve_flat_scratch 0
		.amdhsa_float_round_mode_32 0
		.amdhsa_float_round_mode_16_64 0
		.amdhsa_float_denorm_mode_32 3
		.amdhsa_float_denorm_mode_16_64 3
		.amdhsa_dx10_clamp 1
		.amdhsa_ieee_mode 1
		.amdhsa_fp16_overflow 0
		.amdhsa_tg_split 0
		.amdhsa_exception_fp_ieee_invalid_op 0
		.amdhsa_exception_fp_denorm_src 0
		.amdhsa_exception_fp_ieee_div_zero 0
		.amdhsa_exception_fp_ieee_overflow 0
		.amdhsa_exception_fp_ieee_underflow 0
		.amdhsa_exception_fp_ieee_inexact 0
		.amdhsa_exception_int_div_zero 0
	.end_amdhsa_kernel
	.section	.text._ZN7rocprim17ROCPRIM_400000_NS6detail17trampoline_kernelINS0_14default_configENS1_29reduce_by_key_config_selectorItjN6thrust23THRUST_200600_302600_NS4plusIjEEEEZZNS1_33reduce_by_key_impl_wrapped_configILNS1_25lookback_scan_determinismE0ES3_S9_NS6_6detail15normal_iteratorINS6_10device_ptrItEEEENSD_INSE_IjEEEESG_SI_PmS8_NS6_8equal_toItEEEE10hipError_tPvRmT2_T3_mT4_T5_T6_T7_T8_P12ihipStream_tbENKUlT_T0_E_clISt17integral_constantIbLb0EES13_EEDaSY_SZ_EUlSY_E_NS1_11comp_targetILNS1_3genE4ELNS1_11target_archE910ELNS1_3gpuE8ELNS1_3repE0EEENS1_30default_config_static_selectorELNS0_4arch9wavefront6targetE1EEEvT1_,"axG",@progbits,_ZN7rocprim17ROCPRIM_400000_NS6detail17trampoline_kernelINS0_14default_configENS1_29reduce_by_key_config_selectorItjN6thrust23THRUST_200600_302600_NS4plusIjEEEEZZNS1_33reduce_by_key_impl_wrapped_configILNS1_25lookback_scan_determinismE0ES3_S9_NS6_6detail15normal_iteratorINS6_10device_ptrItEEEENSD_INSE_IjEEEESG_SI_PmS8_NS6_8equal_toItEEEE10hipError_tPvRmT2_T3_mT4_T5_T6_T7_T8_P12ihipStream_tbENKUlT_T0_E_clISt17integral_constantIbLb0EES13_EEDaSY_SZ_EUlSY_E_NS1_11comp_targetILNS1_3genE4ELNS1_11target_archE910ELNS1_3gpuE8ELNS1_3repE0EEENS1_30default_config_static_selectorELNS0_4arch9wavefront6targetE1EEEvT1_,comdat
.Lfunc_end735:
	.size	_ZN7rocprim17ROCPRIM_400000_NS6detail17trampoline_kernelINS0_14default_configENS1_29reduce_by_key_config_selectorItjN6thrust23THRUST_200600_302600_NS4plusIjEEEEZZNS1_33reduce_by_key_impl_wrapped_configILNS1_25lookback_scan_determinismE0ES3_S9_NS6_6detail15normal_iteratorINS6_10device_ptrItEEEENSD_INSE_IjEEEESG_SI_PmS8_NS6_8equal_toItEEEE10hipError_tPvRmT2_T3_mT4_T5_T6_T7_T8_P12ihipStream_tbENKUlT_T0_E_clISt17integral_constantIbLb0EES13_EEDaSY_SZ_EUlSY_E_NS1_11comp_targetILNS1_3genE4ELNS1_11target_archE910ELNS1_3gpuE8ELNS1_3repE0EEENS1_30default_config_static_selectorELNS0_4arch9wavefront6targetE1EEEvT1_, .Lfunc_end735-_ZN7rocprim17ROCPRIM_400000_NS6detail17trampoline_kernelINS0_14default_configENS1_29reduce_by_key_config_selectorItjN6thrust23THRUST_200600_302600_NS4plusIjEEEEZZNS1_33reduce_by_key_impl_wrapped_configILNS1_25lookback_scan_determinismE0ES3_S9_NS6_6detail15normal_iteratorINS6_10device_ptrItEEEENSD_INSE_IjEEEESG_SI_PmS8_NS6_8equal_toItEEEE10hipError_tPvRmT2_T3_mT4_T5_T6_T7_T8_P12ihipStream_tbENKUlT_T0_E_clISt17integral_constantIbLb0EES13_EEDaSY_SZ_EUlSY_E_NS1_11comp_targetILNS1_3genE4ELNS1_11target_archE910ELNS1_3gpuE8ELNS1_3repE0EEENS1_30default_config_static_selectorELNS0_4arch9wavefront6targetE1EEEvT1_
                                        ; -- End function
	.section	.AMDGPU.csdata,"",@progbits
; Kernel info:
; codeLenInByte = 17704
; NumSgprs: 68
; NumVgprs: 108
; NumAgprs: 0
; TotalNumVgprs: 108
; ScratchSize: 0
; MemoryBound: 0
; FloatMode: 240
; IeeeMode: 1
; LDSByteSize: 15360 bytes/workgroup (compile time only)
; SGPRBlocks: 8
; VGPRBlocks: 13
; NumSGPRsForWavesPerEU: 68
; NumVGPRsForWavesPerEU: 108
; AccumOffset: 108
; Occupancy: 4
; WaveLimiterHint : 1
; COMPUTE_PGM_RSRC2:SCRATCH_EN: 0
; COMPUTE_PGM_RSRC2:USER_SGPR: 6
; COMPUTE_PGM_RSRC2:TRAP_HANDLER: 0
; COMPUTE_PGM_RSRC2:TGID_X_EN: 1
; COMPUTE_PGM_RSRC2:TGID_Y_EN: 0
; COMPUTE_PGM_RSRC2:TGID_Z_EN: 0
; COMPUTE_PGM_RSRC2:TIDIG_COMP_CNT: 0
; COMPUTE_PGM_RSRC3_GFX90A:ACCUM_OFFSET: 26
; COMPUTE_PGM_RSRC3_GFX90A:TG_SPLIT: 0
	.section	.text._ZN7rocprim17ROCPRIM_400000_NS6detail17trampoline_kernelINS0_14default_configENS1_29reduce_by_key_config_selectorItjN6thrust23THRUST_200600_302600_NS4plusIjEEEEZZNS1_33reduce_by_key_impl_wrapped_configILNS1_25lookback_scan_determinismE0ES3_S9_NS6_6detail15normal_iteratorINS6_10device_ptrItEEEENSD_INSE_IjEEEESG_SI_PmS8_NS6_8equal_toItEEEE10hipError_tPvRmT2_T3_mT4_T5_T6_T7_T8_P12ihipStream_tbENKUlT_T0_E_clISt17integral_constantIbLb0EES13_EEDaSY_SZ_EUlSY_E_NS1_11comp_targetILNS1_3genE3ELNS1_11target_archE908ELNS1_3gpuE7ELNS1_3repE0EEENS1_30default_config_static_selectorELNS0_4arch9wavefront6targetE1EEEvT1_,"axG",@progbits,_ZN7rocprim17ROCPRIM_400000_NS6detail17trampoline_kernelINS0_14default_configENS1_29reduce_by_key_config_selectorItjN6thrust23THRUST_200600_302600_NS4plusIjEEEEZZNS1_33reduce_by_key_impl_wrapped_configILNS1_25lookback_scan_determinismE0ES3_S9_NS6_6detail15normal_iteratorINS6_10device_ptrItEEEENSD_INSE_IjEEEESG_SI_PmS8_NS6_8equal_toItEEEE10hipError_tPvRmT2_T3_mT4_T5_T6_T7_T8_P12ihipStream_tbENKUlT_T0_E_clISt17integral_constantIbLb0EES13_EEDaSY_SZ_EUlSY_E_NS1_11comp_targetILNS1_3genE3ELNS1_11target_archE908ELNS1_3gpuE7ELNS1_3repE0EEENS1_30default_config_static_selectorELNS0_4arch9wavefront6targetE1EEEvT1_,comdat
	.protected	_ZN7rocprim17ROCPRIM_400000_NS6detail17trampoline_kernelINS0_14default_configENS1_29reduce_by_key_config_selectorItjN6thrust23THRUST_200600_302600_NS4plusIjEEEEZZNS1_33reduce_by_key_impl_wrapped_configILNS1_25lookback_scan_determinismE0ES3_S9_NS6_6detail15normal_iteratorINS6_10device_ptrItEEEENSD_INSE_IjEEEESG_SI_PmS8_NS6_8equal_toItEEEE10hipError_tPvRmT2_T3_mT4_T5_T6_T7_T8_P12ihipStream_tbENKUlT_T0_E_clISt17integral_constantIbLb0EES13_EEDaSY_SZ_EUlSY_E_NS1_11comp_targetILNS1_3genE3ELNS1_11target_archE908ELNS1_3gpuE7ELNS1_3repE0EEENS1_30default_config_static_selectorELNS0_4arch9wavefront6targetE1EEEvT1_ ; -- Begin function _ZN7rocprim17ROCPRIM_400000_NS6detail17trampoline_kernelINS0_14default_configENS1_29reduce_by_key_config_selectorItjN6thrust23THRUST_200600_302600_NS4plusIjEEEEZZNS1_33reduce_by_key_impl_wrapped_configILNS1_25lookback_scan_determinismE0ES3_S9_NS6_6detail15normal_iteratorINS6_10device_ptrItEEEENSD_INSE_IjEEEESG_SI_PmS8_NS6_8equal_toItEEEE10hipError_tPvRmT2_T3_mT4_T5_T6_T7_T8_P12ihipStream_tbENKUlT_T0_E_clISt17integral_constantIbLb0EES13_EEDaSY_SZ_EUlSY_E_NS1_11comp_targetILNS1_3genE3ELNS1_11target_archE908ELNS1_3gpuE7ELNS1_3repE0EEENS1_30default_config_static_selectorELNS0_4arch9wavefront6targetE1EEEvT1_
	.globl	_ZN7rocprim17ROCPRIM_400000_NS6detail17trampoline_kernelINS0_14default_configENS1_29reduce_by_key_config_selectorItjN6thrust23THRUST_200600_302600_NS4plusIjEEEEZZNS1_33reduce_by_key_impl_wrapped_configILNS1_25lookback_scan_determinismE0ES3_S9_NS6_6detail15normal_iteratorINS6_10device_ptrItEEEENSD_INSE_IjEEEESG_SI_PmS8_NS6_8equal_toItEEEE10hipError_tPvRmT2_T3_mT4_T5_T6_T7_T8_P12ihipStream_tbENKUlT_T0_E_clISt17integral_constantIbLb0EES13_EEDaSY_SZ_EUlSY_E_NS1_11comp_targetILNS1_3genE3ELNS1_11target_archE908ELNS1_3gpuE7ELNS1_3repE0EEENS1_30default_config_static_selectorELNS0_4arch9wavefront6targetE1EEEvT1_
	.p2align	8
	.type	_ZN7rocprim17ROCPRIM_400000_NS6detail17trampoline_kernelINS0_14default_configENS1_29reduce_by_key_config_selectorItjN6thrust23THRUST_200600_302600_NS4plusIjEEEEZZNS1_33reduce_by_key_impl_wrapped_configILNS1_25lookback_scan_determinismE0ES3_S9_NS6_6detail15normal_iteratorINS6_10device_ptrItEEEENSD_INSE_IjEEEESG_SI_PmS8_NS6_8equal_toItEEEE10hipError_tPvRmT2_T3_mT4_T5_T6_T7_T8_P12ihipStream_tbENKUlT_T0_E_clISt17integral_constantIbLb0EES13_EEDaSY_SZ_EUlSY_E_NS1_11comp_targetILNS1_3genE3ELNS1_11target_archE908ELNS1_3gpuE7ELNS1_3repE0EEENS1_30default_config_static_selectorELNS0_4arch9wavefront6targetE1EEEvT1_,@function
_ZN7rocprim17ROCPRIM_400000_NS6detail17trampoline_kernelINS0_14default_configENS1_29reduce_by_key_config_selectorItjN6thrust23THRUST_200600_302600_NS4plusIjEEEEZZNS1_33reduce_by_key_impl_wrapped_configILNS1_25lookback_scan_determinismE0ES3_S9_NS6_6detail15normal_iteratorINS6_10device_ptrItEEEENSD_INSE_IjEEEESG_SI_PmS8_NS6_8equal_toItEEEE10hipError_tPvRmT2_T3_mT4_T5_T6_T7_T8_P12ihipStream_tbENKUlT_T0_E_clISt17integral_constantIbLb0EES13_EEDaSY_SZ_EUlSY_E_NS1_11comp_targetILNS1_3genE3ELNS1_11target_archE908ELNS1_3gpuE7ELNS1_3repE0EEENS1_30default_config_static_selectorELNS0_4arch9wavefront6targetE1EEEvT1_: ; @_ZN7rocprim17ROCPRIM_400000_NS6detail17trampoline_kernelINS0_14default_configENS1_29reduce_by_key_config_selectorItjN6thrust23THRUST_200600_302600_NS4plusIjEEEEZZNS1_33reduce_by_key_impl_wrapped_configILNS1_25lookback_scan_determinismE0ES3_S9_NS6_6detail15normal_iteratorINS6_10device_ptrItEEEENSD_INSE_IjEEEESG_SI_PmS8_NS6_8equal_toItEEEE10hipError_tPvRmT2_T3_mT4_T5_T6_T7_T8_P12ihipStream_tbENKUlT_T0_E_clISt17integral_constantIbLb0EES13_EEDaSY_SZ_EUlSY_E_NS1_11comp_targetILNS1_3genE3ELNS1_11target_archE908ELNS1_3gpuE7ELNS1_3repE0EEENS1_30default_config_static_selectorELNS0_4arch9wavefront6targetE1EEEvT1_
; %bb.0:
	.section	.rodata,"a",@progbits
	.p2align	6, 0x0
	.amdhsa_kernel _ZN7rocprim17ROCPRIM_400000_NS6detail17trampoline_kernelINS0_14default_configENS1_29reduce_by_key_config_selectorItjN6thrust23THRUST_200600_302600_NS4plusIjEEEEZZNS1_33reduce_by_key_impl_wrapped_configILNS1_25lookback_scan_determinismE0ES3_S9_NS6_6detail15normal_iteratorINS6_10device_ptrItEEEENSD_INSE_IjEEEESG_SI_PmS8_NS6_8equal_toItEEEE10hipError_tPvRmT2_T3_mT4_T5_T6_T7_T8_P12ihipStream_tbENKUlT_T0_E_clISt17integral_constantIbLb0EES13_EEDaSY_SZ_EUlSY_E_NS1_11comp_targetILNS1_3genE3ELNS1_11target_archE908ELNS1_3gpuE7ELNS1_3repE0EEENS1_30default_config_static_selectorELNS0_4arch9wavefront6targetE1EEEvT1_
		.amdhsa_group_segment_fixed_size 0
		.amdhsa_private_segment_fixed_size 0
		.amdhsa_kernarg_size 120
		.amdhsa_user_sgpr_count 6
		.amdhsa_user_sgpr_private_segment_buffer 1
		.amdhsa_user_sgpr_dispatch_ptr 0
		.amdhsa_user_sgpr_queue_ptr 0
		.amdhsa_user_sgpr_kernarg_segment_ptr 1
		.amdhsa_user_sgpr_dispatch_id 0
		.amdhsa_user_sgpr_flat_scratch_init 0
		.amdhsa_user_sgpr_kernarg_preload_length 0
		.amdhsa_user_sgpr_kernarg_preload_offset 0
		.amdhsa_user_sgpr_private_segment_size 0
		.amdhsa_uses_dynamic_stack 0
		.amdhsa_system_sgpr_private_segment_wavefront_offset 0
		.amdhsa_system_sgpr_workgroup_id_x 1
		.amdhsa_system_sgpr_workgroup_id_y 0
		.amdhsa_system_sgpr_workgroup_id_z 0
		.amdhsa_system_sgpr_workgroup_info 0
		.amdhsa_system_vgpr_workitem_id 0
		.amdhsa_next_free_vgpr 1
		.amdhsa_next_free_sgpr 0
		.amdhsa_accum_offset 4
		.amdhsa_reserve_vcc 0
		.amdhsa_reserve_flat_scratch 0
		.amdhsa_float_round_mode_32 0
		.amdhsa_float_round_mode_16_64 0
		.amdhsa_float_denorm_mode_32 3
		.amdhsa_float_denorm_mode_16_64 3
		.amdhsa_dx10_clamp 1
		.amdhsa_ieee_mode 1
		.amdhsa_fp16_overflow 0
		.amdhsa_tg_split 0
		.amdhsa_exception_fp_ieee_invalid_op 0
		.amdhsa_exception_fp_denorm_src 0
		.amdhsa_exception_fp_ieee_div_zero 0
		.amdhsa_exception_fp_ieee_overflow 0
		.amdhsa_exception_fp_ieee_underflow 0
		.amdhsa_exception_fp_ieee_inexact 0
		.amdhsa_exception_int_div_zero 0
	.end_amdhsa_kernel
	.section	.text._ZN7rocprim17ROCPRIM_400000_NS6detail17trampoline_kernelINS0_14default_configENS1_29reduce_by_key_config_selectorItjN6thrust23THRUST_200600_302600_NS4plusIjEEEEZZNS1_33reduce_by_key_impl_wrapped_configILNS1_25lookback_scan_determinismE0ES3_S9_NS6_6detail15normal_iteratorINS6_10device_ptrItEEEENSD_INSE_IjEEEESG_SI_PmS8_NS6_8equal_toItEEEE10hipError_tPvRmT2_T3_mT4_T5_T6_T7_T8_P12ihipStream_tbENKUlT_T0_E_clISt17integral_constantIbLb0EES13_EEDaSY_SZ_EUlSY_E_NS1_11comp_targetILNS1_3genE3ELNS1_11target_archE908ELNS1_3gpuE7ELNS1_3repE0EEENS1_30default_config_static_selectorELNS0_4arch9wavefront6targetE1EEEvT1_,"axG",@progbits,_ZN7rocprim17ROCPRIM_400000_NS6detail17trampoline_kernelINS0_14default_configENS1_29reduce_by_key_config_selectorItjN6thrust23THRUST_200600_302600_NS4plusIjEEEEZZNS1_33reduce_by_key_impl_wrapped_configILNS1_25lookback_scan_determinismE0ES3_S9_NS6_6detail15normal_iteratorINS6_10device_ptrItEEEENSD_INSE_IjEEEESG_SI_PmS8_NS6_8equal_toItEEEE10hipError_tPvRmT2_T3_mT4_T5_T6_T7_T8_P12ihipStream_tbENKUlT_T0_E_clISt17integral_constantIbLb0EES13_EEDaSY_SZ_EUlSY_E_NS1_11comp_targetILNS1_3genE3ELNS1_11target_archE908ELNS1_3gpuE7ELNS1_3repE0EEENS1_30default_config_static_selectorELNS0_4arch9wavefront6targetE1EEEvT1_,comdat
.Lfunc_end736:
	.size	_ZN7rocprim17ROCPRIM_400000_NS6detail17trampoline_kernelINS0_14default_configENS1_29reduce_by_key_config_selectorItjN6thrust23THRUST_200600_302600_NS4plusIjEEEEZZNS1_33reduce_by_key_impl_wrapped_configILNS1_25lookback_scan_determinismE0ES3_S9_NS6_6detail15normal_iteratorINS6_10device_ptrItEEEENSD_INSE_IjEEEESG_SI_PmS8_NS6_8equal_toItEEEE10hipError_tPvRmT2_T3_mT4_T5_T6_T7_T8_P12ihipStream_tbENKUlT_T0_E_clISt17integral_constantIbLb0EES13_EEDaSY_SZ_EUlSY_E_NS1_11comp_targetILNS1_3genE3ELNS1_11target_archE908ELNS1_3gpuE7ELNS1_3repE0EEENS1_30default_config_static_selectorELNS0_4arch9wavefront6targetE1EEEvT1_, .Lfunc_end736-_ZN7rocprim17ROCPRIM_400000_NS6detail17trampoline_kernelINS0_14default_configENS1_29reduce_by_key_config_selectorItjN6thrust23THRUST_200600_302600_NS4plusIjEEEEZZNS1_33reduce_by_key_impl_wrapped_configILNS1_25lookback_scan_determinismE0ES3_S9_NS6_6detail15normal_iteratorINS6_10device_ptrItEEEENSD_INSE_IjEEEESG_SI_PmS8_NS6_8equal_toItEEEE10hipError_tPvRmT2_T3_mT4_T5_T6_T7_T8_P12ihipStream_tbENKUlT_T0_E_clISt17integral_constantIbLb0EES13_EEDaSY_SZ_EUlSY_E_NS1_11comp_targetILNS1_3genE3ELNS1_11target_archE908ELNS1_3gpuE7ELNS1_3repE0EEENS1_30default_config_static_selectorELNS0_4arch9wavefront6targetE1EEEvT1_
                                        ; -- End function
	.section	.AMDGPU.csdata,"",@progbits
; Kernel info:
; codeLenInByte = 0
; NumSgprs: 4
; NumVgprs: 0
; NumAgprs: 0
; TotalNumVgprs: 0
; ScratchSize: 0
; MemoryBound: 0
; FloatMode: 240
; IeeeMode: 1
; LDSByteSize: 0 bytes/workgroup (compile time only)
; SGPRBlocks: 0
; VGPRBlocks: 0
; NumSGPRsForWavesPerEU: 4
; NumVGPRsForWavesPerEU: 1
; AccumOffset: 4
; Occupancy: 8
; WaveLimiterHint : 0
; COMPUTE_PGM_RSRC2:SCRATCH_EN: 0
; COMPUTE_PGM_RSRC2:USER_SGPR: 6
; COMPUTE_PGM_RSRC2:TRAP_HANDLER: 0
; COMPUTE_PGM_RSRC2:TGID_X_EN: 1
; COMPUTE_PGM_RSRC2:TGID_Y_EN: 0
; COMPUTE_PGM_RSRC2:TGID_Z_EN: 0
; COMPUTE_PGM_RSRC2:TIDIG_COMP_CNT: 0
; COMPUTE_PGM_RSRC3_GFX90A:ACCUM_OFFSET: 0
; COMPUTE_PGM_RSRC3_GFX90A:TG_SPLIT: 0
	.section	.text._ZN7rocprim17ROCPRIM_400000_NS6detail17trampoline_kernelINS0_14default_configENS1_29reduce_by_key_config_selectorItjN6thrust23THRUST_200600_302600_NS4plusIjEEEEZZNS1_33reduce_by_key_impl_wrapped_configILNS1_25lookback_scan_determinismE0ES3_S9_NS6_6detail15normal_iteratorINS6_10device_ptrItEEEENSD_INSE_IjEEEESG_SI_PmS8_NS6_8equal_toItEEEE10hipError_tPvRmT2_T3_mT4_T5_T6_T7_T8_P12ihipStream_tbENKUlT_T0_E_clISt17integral_constantIbLb0EES13_EEDaSY_SZ_EUlSY_E_NS1_11comp_targetILNS1_3genE2ELNS1_11target_archE906ELNS1_3gpuE6ELNS1_3repE0EEENS1_30default_config_static_selectorELNS0_4arch9wavefront6targetE1EEEvT1_,"axG",@progbits,_ZN7rocprim17ROCPRIM_400000_NS6detail17trampoline_kernelINS0_14default_configENS1_29reduce_by_key_config_selectorItjN6thrust23THRUST_200600_302600_NS4plusIjEEEEZZNS1_33reduce_by_key_impl_wrapped_configILNS1_25lookback_scan_determinismE0ES3_S9_NS6_6detail15normal_iteratorINS6_10device_ptrItEEEENSD_INSE_IjEEEESG_SI_PmS8_NS6_8equal_toItEEEE10hipError_tPvRmT2_T3_mT4_T5_T6_T7_T8_P12ihipStream_tbENKUlT_T0_E_clISt17integral_constantIbLb0EES13_EEDaSY_SZ_EUlSY_E_NS1_11comp_targetILNS1_3genE2ELNS1_11target_archE906ELNS1_3gpuE6ELNS1_3repE0EEENS1_30default_config_static_selectorELNS0_4arch9wavefront6targetE1EEEvT1_,comdat
	.protected	_ZN7rocprim17ROCPRIM_400000_NS6detail17trampoline_kernelINS0_14default_configENS1_29reduce_by_key_config_selectorItjN6thrust23THRUST_200600_302600_NS4plusIjEEEEZZNS1_33reduce_by_key_impl_wrapped_configILNS1_25lookback_scan_determinismE0ES3_S9_NS6_6detail15normal_iteratorINS6_10device_ptrItEEEENSD_INSE_IjEEEESG_SI_PmS8_NS6_8equal_toItEEEE10hipError_tPvRmT2_T3_mT4_T5_T6_T7_T8_P12ihipStream_tbENKUlT_T0_E_clISt17integral_constantIbLb0EES13_EEDaSY_SZ_EUlSY_E_NS1_11comp_targetILNS1_3genE2ELNS1_11target_archE906ELNS1_3gpuE6ELNS1_3repE0EEENS1_30default_config_static_selectorELNS0_4arch9wavefront6targetE1EEEvT1_ ; -- Begin function _ZN7rocprim17ROCPRIM_400000_NS6detail17trampoline_kernelINS0_14default_configENS1_29reduce_by_key_config_selectorItjN6thrust23THRUST_200600_302600_NS4plusIjEEEEZZNS1_33reduce_by_key_impl_wrapped_configILNS1_25lookback_scan_determinismE0ES3_S9_NS6_6detail15normal_iteratorINS6_10device_ptrItEEEENSD_INSE_IjEEEESG_SI_PmS8_NS6_8equal_toItEEEE10hipError_tPvRmT2_T3_mT4_T5_T6_T7_T8_P12ihipStream_tbENKUlT_T0_E_clISt17integral_constantIbLb0EES13_EEDaSY_SZ_EUlSY_E_NS1_11comp_targetILNS1_3genE2ELNS1_11target_archE906ELNS1_3gpuE6ELNS1_3repE0EEENS1_30default_config_static_selectorELNS0_4arch9wavefront6targetE1EEEvT1_
	.globl	_ZN7rocprim17ROCPRIM_400000_NS6detail17trampoline_kernelINS0_14default_configENS1_29reduce_by_key_config_selectorItjN6thrust23THRUST_200600_302600_NS4plusIjEEEEZZNS1_33reduce_by_key_impl_wrapped_configILNS1_25lookback_scan_determinismE0ES3_S9_NS6_6detail15normal_iteratorINS6_10device_ptrItEEEENSD_INSE_IjEEEESG_SI_PmS8_NS6_8equal_toItEEEE10hipError_tPvRmT2_T3_mT4_T5_T6_T7_T8_P12ihipStream_tbENKUlT_T0_E_clISt17integral_constantIbLb0EES13_EEDaSY_SZ_EUlSY_E_NS1_11comp_targetILNS1_3genE2ELNS1_11target_archE906ELNS1_3gpuE6ELNS1_3repE0EEENS1_30default_config_static_selectorELNS0_4arch9wavefront6targetE1EEEvT1_
	.p2align	8
	.type	_ZN7rocprim17ROCPRIM_400000_NS6detail17trampoline_kernelINS0_14default_configENS1_29reduce_by_key_config_selectorItjN6thrust23THRUST_200600_302600_NS4plusIjEEEEZZNS1_33reduce_by_key_impl_wrapped_configILNS1_25lookback_scan_determinismE0ES3_S9_NS6_6detail15normal_iteratorINS6_10device_ptrItEEEENSD_INSE_IjEEEESG_SI_PmS8_NS6_8equal_toItEEEE10hipError_tPvRmT2_T3_mT4_T5_T6_T7_T8_P12ihipStream_tbENKUlT_T0_E_clISt17integral_constantIbLb0EES13_EEDaSY_SZ_EUlSY_E_NS1_11comp_targetILNS1_3genE2ELNS1_11target_archE906ELNS1_3gpuE6ELNS1_3repE0EEENS1_30default_config_static_selectorELNS0_4arch9wavefront6targetE1EEEvT1_,@function
_ZN7rocprim17ROCPRIM_400000_NS6detail17trampoline_kernelINS0_14default_configENS1_29reduce_by_key_config_selectorItjN6thrust23THRUST_200600_302600_NS4plusIjEEEEZZNS1_33reduce_by_key_impl_wrapped_configILNS1_25lookback_scan_determinismE0ES3_S9_NS6_6detail15normal_iteratorINS6_10device_ptrItEEEENSD_INSE_IjEEEESG_SI_PmS8_NS6_8equal_toItEEEE10hipError_tPvRmT2_T3_mT4_T5_T6_T7_T8_P12ihipStream_tbENKUlT_T0_E_clISt17integral_constantIbLb0EES13_EEDaSY_SZ_EUlSY_E_NS1_11comp_targetILNS1_3genE2ELNS1_11target_archE906ELNS1_3gpuE6ELNS1_3repE0EEENS1_30default_config_static_selectorELNS0_4arch9wavefront6targetE1EEEvT1_: ; @_ZN7rocprim17ROCPRIM_400000_NS6detail17trampoline_kernelINS0_14default_configENS1_29reduce_by_key_config_selectorItjN6thrust23THRUST_200600_302600_NS4plusIjEEEEZZNS1_33reduce_by_key_impl_wrapped_configILNS1_25lookback_scan_determinismE0ES3_S9_NS6_6detail15normal_iteratorINS6_10device_ptrItEEEENSD_INSE_IjEEEESG_SI_PmS8_NS6_8equal_toItEEEE10hipError_tPvRmT2_T3_mT4_T5_T6_T7_T8_P12ihipStream_tbENKUlT_T0_E_clISt17integral_constantIbLb0EES13_EEDaSY_SZ_EUlSY_E_NS1_11comp_targetILNS1_3genE2ELNS1_11target_archE906ELNS1_3gpuE6ELNS1_3repE0EEENS1_30default_config_static_selectorELNS0_4arch9wavefront6targetE1EEEvT1_
; %bb.0:
	.section	.rodata,"a",@progbits
	.p2align	6, 0x0
	.amdhsa_kernel _ZN7rocprim17ROCPRIM_400000_NS6detail17trampoline_kernelINS0_14default_configENS1_29reduce_by_key_config_selectorItjN6thrust23THRUST_200600_302600_NS4plusIjEEEEZZNS1_33reduce_by_key_impl_wrapped_configILNS1_25lookback_scan_determinismE0ES3_S9_NS6_6detail15normal_iteratorINS6_10device_ptrItEEEENSD_INSE_IjEEEESG_SI_PmS8_NS6_8equal_toItEEEE10hipError_tPvRmT2_T3_mT4_T5_T6_T7_T8_P12ihipStream_tbENKUlT_T0_E_clISt17integral_constantIbLb0EES13_EEDaSY_SZ_EUlSY_E_NS1_11comp_targetILNS1_3genE2ELNS1_11target_archE906ELNS1_3gpuE6ELNS1_3repE0EEENS1_30default_config_static_selectorELNS0_4arch9wavefront6targetE1EEEvT1_
		.amdhsa_group_segment_fixed_size 0
		.amdhsa_private_segment_fixed_size 0
		.amdhsa_kernarg_size 120
		.amdhsa_user_sgpr_count 6
		.amdhsa_user_sgpr_private_segment_buffer 1
		.amdhsa_user_sgpr_dispatch_ptr 0
		.amdhsa_user_sgpr_queue_ptr 0
		.amdhsa_user_sgpr_kernarg_segment_ptr 1
		.amdhsa_user_sgpr_dispatch_id 0
		.amdhsa_user_sgpr_flat_scratch_init 0
		.amdhsa_user_sgpr_kernarg_preload_length 0
		.amdhsa_user_sgpr_kernarg_preload_offset 0
		.amdhsa_user_sgpr_private_segment_size 0
		.amdhsa_uses_dynamic_stack 0
		.amdhsa_system_sgpr_private_segment_wavefront_offset 0
		.amdhsa_system_sgpr_workgroup_id_x 1
		.amdhsa_system_sgpr_workgroup_id_y 0
		.amdhsa_system_sgpr_workgroup_id_z 0
		.amdhsa_system_sgpr_workgroup_info 0
		.amdhsa_system_vgpr_workitem_id 0
		.amdhsa_next_free_vgpr 1
		.amdhsa_next_free_sgpr 0
		.amdhsa_accum_offset 4
		.amdhsa_reserve_vcc 0
		.amdhsa_reserve_flat_scratch 0
		.amdhsa_float_round_mode_32 0
		.amdhsa_float_round_mode_16_64 0
		.amdhsa_float_denorm_mode_32 3
		.amdhsa_float_denorm_mode_16_64 3
		.amdhsa_dx10_clamp 1
		.amdhsa_ieee_mode 1
		.amdhsa_fp16_overflow 0
		.amdhsa_tg_split 0
		.amdhsa_exception_fp_ieee_invalid_op 0
		.amdhsa_exception_fp_denorm_src 0
		.amdhsa_exception_fp_ieee_div_zero 0
		.amdhsa_exception_fp_ieee_overflow 0
		.amdhsa_exception_fp_ieee_underflow 0
		.amdhsa_exception_fp_ieee_inexact 0
		.amdhsa_exception_int_div_zero 0
	.end_amdhsa_kernel
	.section	.text._ZN7rocprim17ROCPRIM_400000_NS6detail17trampoline_kernelINS0_14default_configENS1_29reduce_by_key_config_selectorItjN6thrust23THRUST_200600_302600_NS4plusIjEEEEZZNS1_33reduce_by_key_impl_wrapped_configILNS1_25lookback_scan_determinismE0ES3_S9_NS6_6detail15normal_iteratorINS6_10device_ptrItEEEENSD_INSE_IjEEEESG_SI_PmS8_NS6_8equal_toItEEEE10hipError_tPvRmT2_T3_mT4_T5_T6_T7_T8_P12ihipStream_tbENKUlT_T0_E_clISt17integral_constantIbLb0EES13_EEDaSY_SZ_EUlSY_E_NS1_11comp_targetILNS1_3genE2ELNS1_11target_archE906ELNS1_3gpuE6ELNS1_3repE0EEENS1_30default_config_static_selectorELNS0_4arch9wavefront6targetE1EEEvT1_,"axG",@progbits,_ZN7rocprim17ROCPRIM_400000_NS6detail17trampoline_kernelINS0_14default_configENS1_29reduce_by_key_config_selectorItjN6thrust23THRUST_200600_302600_NS4plusIjEEEEZZNS1_33reduce_by_key_impl_wrapped_configILNS1_25lookback_scan_determinismE0ES3_S9_NS6_6detail15normal_iteratorINS6_10device_ptrItEEEENSD_INSE_IjEEEESG_SI_PmS8_NS6_8equal_toItEEEE10hipError_tPvRmT2_T3_mT4_T5_T6_T7_T8_P12ihipStream_tbENKUlT_T0_E_clISt17integral_constantIbLb0EES13_EEDaSY_SZ_EUlSY_E_NS1_11comp_targetILNS1_3genE2ELNS1_11target_archE906ELNS1_3gpuE6ELNS1_3repE0EEENS1_30default_config_static_selectorELNS0_4arch9wavefront6targetE1EEEvT1_,comdat
.Lfunc_end737:
	.size	_ZN7rocprim17ROCPRIM_400000_NS6detail17trampoline_kernelINS0_14default_configENS1_29reduce_by_key_config_selectorItjN6thrust23THRUST_200600_302600_NS4plusIjEEEEZZNS1_33reduce_by_key_impl_wrapped_configILNS1_25lookback_scan_determinismE0ES3_S9_NS6_6detail15normal_iteratorINS6_10device_ptrItEEEENSD_INSE_IjEEEESG_SI_PmS8_NS6_8equal_toItEEEE10hipError_tPvRmT2_T3_mT4_T5_T6_T7_T8_P12ihipStream_tbENKUlT_T0_E_clISt17integral_constantIbLb0EES13_EEDaSY_SZ_EUlSY_E_NS1_11comp_targetILNS1_3genE2ELNS1_11target_archE906ELNS1_3gpuE6ELNS1_3repE0EEENS1_30default_config_static_selectorELNS0_4arch9wavefront6targetE1EEEvT1_, .Lfunc_end737-_ZN7rocprim17ROCPRIM_400000_NS6detail17trampoline_kernelINS0_14default_configENS1_29reduce_by_key_config_selectorItjN6thrust23THRUST_200600_302600_NS4plusIjEEEEZZNS1_33reduce_by_key_impl_wrapped_configILNS1_25lookback_scan_determinismE0ES3_S9_NS6_6detail15normal_iteratorINS6_10device_ptrItEEEENSD_INSE_IjEEEESG_SI_PmS8_NS6_8equal_toItEEEE10hipError_tPvRmT2_T3_mT4_T5_T6_T7_T8_P12ihipStream_tbENKUlT_T0_E_clISt17integral_constantIbLb0EES13_EEDaSY_SZ_EUlSY_E_NS1_11comp_targetILNS1_3genE2ELNS1_11target_archE906ELNS1_3gpuE6ELNS1_3repE0EEENS1_30default_config_static_selectorELNS0_4arch9wavefront6targetE1EEEvT1_
                                        ; -- End function
	.section	.AMDGPU.csdata,"",@progbits
; Kernel info:
; codeLenInByte = 0
; NumSgprs: 4
; NumVgprs: 0
; NumAgprs: 0
; TotalNumVgprs: 0
; ScratchSize: 0
; MemoryBound: 0
; FloatMode: 240
; IeeeMode: 1
; LDSByteSize: 0 bytes/workgroup (compile time only)
; SGPRBlocks: 0
; VGPRBlocks: 0
; NumSGPRsForWavesPerEU: 4
; NumVGPRsForWavesPerEU: 1
; AccumOffset: 4
; Occupancy: 8
; WaveLimiterHint : 0
; COMPUTE_PGM_RSRC2:SCRATCH_EN: 0
; COMPUTE_PGM_RSRC2:USER_SGPR: 6
; COMPUTE_PGM_RSRC2:TRAP_HANDLER: 0
; COMPUTE_PGM_RSRC2:TGID_X_EN: 1
; COMPUTE_PGM_RSRC2:TGID_Y_EN: 0
; COMPUTE_PGM_RSRC2:TGID_Z_EN: 0
; COMPUTE_PGM_RSRC2:TIDIG_COMP_CNT: 0
; COMPUTE_PGM_RSRC3_GFX90A:ACCUM_OFFSET: 0
; COMPUTE_PGM_RSRC3_GFX90A:TG_SPLIT: 0
	.section	.text._ZN7rocprim17ROCPRIM_400000_NS6detail17trampoline_kernelINS0_14default_configENS1_29reduce_by_key_config_selectorItjN6thrust23THRUST_200600_302600_NS4plusIjEEEEZZNS1_33reduce_by_key_impl_wrapped_configILNS1_25lookback_scan_determinismE0ES3_S9_NS6_6detail15normal_iteratorINS6_10device_ptrItEEEENSD_INSE_IjEEEESG_SI_PmS8_NS6_8equal_toItEEEE10hipError_tPvRmT2_T3_mT4_T5_T6_T7_T8_P12ihipStream_tbENKUlT_T0_E_clISt17integral_constantIbLb0EES13_EEDaSY_SZ_EUlSY_E_NS1_11comp_targetILNS1_3genE10ELNS1_11target_archE1201ELNS1_3gpuE5ELNS1_3repE0EEENS1_30default_config_static_selectorELNS0_4arch9wavefront6targetE1EEEvT1_,"axG",@progbits,_ZN7rocprim17ROCPRIM_400000_NS6detail17trampoline_kernelINS0_14default_configENS1_29reduce_by_key_config_selectorItjN6thrust23THRUST_200600_302600_NS4plusIjEEEEZZNS1_33reduce_by_key_impl_wrapped_configILNS1_25lookback_scan_determinismE0ES3_S9_NS6_6detail15normal_iteratorINS6_10device_ptrItEEEENSD_INSE_IjEEEESG_SI_PmS8_NS6_8equal_toItEEEE10hipError_tPvRmT2_T3_mT4_T5_T6_T7_T8_P12ihipStream_tbENKUlT_T0_E_clISt17integral_constantIbLb0EES13_EEDaSY_SZ_EUlSY_E_NS1_11comp_targetILNS1_3genE10ELNS1_11target_archE1201ELNS1_3gpuE5ELNS1_3repE0EEENS1_30default_config_static_selectorELNS0_4arch9wavefront6targetE1EEEvT1_,comdat
	.protected	_ZN7rocprim17ROCPRIM_400000_NS6detail17trampoline_kernelINS0_14default_configENS1_29reduce_by_key_config_selectorItjN6thrust23THRUST_200600_302600_NS4plusIjEEEEZZNS1_33reduce_by_key_impl_wrapped_configILNS1_25lookback_scan_determinismE0ES3_S9_NS6_6detail15normal_iteratorINS6_10device_ptrItEEEENSD_INSE_IjEEEESG_SI_PmS8_NS6_8equal_toItEEEE10hipError_tPvRmT2_T3_mT4_T5_T6_T7_T8_P12ihipStream_tbENKUlT_T0_E_clISt17integral_constantIbLb0EES13_EEDaSY_SZ_EUlSY_E_NS1_11comp_targetILNS1_3genE10ELNS1_11target_archE1201ELNS1_3gpuE5ELNS1_3repE0EEENS1_30default_config_static_selectorELNS0_4arch9wavefront6targetE1EEEvT1_ ; -- Begin function _ZN7rocprim17ROCPRIM_400000_NS6detail17trampoline_kernelINS0_14default_configENS1_29reduce_by_key_config_selectorItjN6thrust23THRUST_200600_302600_NS4plusIjEEEEZZNS1_33reduce_by_key_impl_wrapped_configILNS1_25lookback_scan_determinismE0ES3_S9_NS6_6detail15normal_iteratorINS6_10device_ptrItEEEENSD_INSE_IjEEEESG_SI_PmS8_NS6_8equal_toItEEEE10hipError_tPvRmT2_T3_mT4_T5_T6_T7_T8_P12ihipStream_tbENKUlT_T0_E_clISt17integral_constantIbLb0EES13_EEDaSY_SZ_EUlSY_E_NS1_11comp_targetILNS1_3genE10ELNS1_11target_archE1201ELNS1_3gpuE5ELNS1_3repE0EEENS1_30default_config_static_selectorELNS0_4arch9wavefront6targetE1EEEvT1_
	.globl	_ZN7rocprim17ROCPRIM_400000_NS6detail17trampoline_kernelINS0_14default_configENS1_29reduce_by_key_config_selectorItjN6thrust23THRUST_200600_302600_NS4plusIjEEEEZZNS1_33reduce_by_key_impl_wrapped_configILNS1_25lookback_scan_determinismE0ES3_S9_NS6_6detail15normal_iteratorINS6_10device_ptrItEEEENSD_INSE_IjEEEESG_SI_PmS8_NS6_8equal_toItEEEE10hipError_tPvRmT2_T3_mT4_T5_T6_T7_T8_P12ihipStream_tbENKUlT_T0_E_clISt17integral_constantIbLb0EES13_EEDaSY_SZ_EUlSY_E_NS1_11comp_targetILNS1_3genE10ELNS1_11target_archE1201ELNS1_3gpuE5ELNS1_3repE0EEENS1_30default_config_static_selectorELNS0_4arch9wavefront6targetE1EEEvT1_
	.p2align	8
	.type	_ZN7rocprim17ROCPRIM_400000_NS6detail17trampoline_kernelINS0_14default_configENS1_29reduce_by_key_config_selectorItjN6thrust23THRUST_200600_302600_NS4plusIjEEEEZZNS1_33reduce_by_key_impl_wrapped_configILNS1_25lookback_scan_determinismE0ES3_S9_NS6_6detail15normal_iteratorINS6_10device_ptrItEEEENSD_INSE_IjEEEESG_SI_PmS8_NS6_8equal_toItEEEE10hipError_tPvRmT2_T3_mT4_T5_T6_T7_T8_P12ihipStream_tbENKUlT_T0_E_clISt17integral_constantIbLb0EES13_EEDaSY_SZ_EUlSY_E_NS1_11comp_targetILNS1_3genE10ELNS1_11target_archE1201ELNS1_3gpuE5ELNS1_3repE0EEENS1_30default_config_static_selectorELNS0_4arch9wavefront6targetE1EEEvT1_,@function
_ZN7rocprim17ROCPRIM_400000_NS6detail17trampoline_kernelINS0_14default_configENS1_29reduce_by_key_config_selectorItjN6thrust23THRUST_200600_302600_NS4plusIjEEEEZZNS1_33reduce_by_key_impl_wrapped_configILNS1_25lookback_scan_determinismE0ES3_S9_NS6_6detail15normal_iteratorINS6_10device_ptrItEEEENSD_INSE_IjEEEESG_SI_PmS8_NS6_8equal_toItEEEE10hipError_tPvRmT2_T3_mT4_T5_T6_T7_T8_P12ihipStream_tbENKUlT_T0_E_clISt17integral_constantIbLb0EES13_EEDaSY_SZ_EUlSY_E_NS1_11comp_targetILNS1_3genE10ELNS1_11target_archE1201ELNS1_3gpuE5ELNS1_3repE0EEENS1_30default_config_static_selectorELNS0_4arch9wavefront6targetE1EEEvT1_: ; @_ZN7rocprim17ROCPRIM_400000_NS6detail17trampoline_kernelINS0_14default_configENS1_29reduce_by_key_config_selectorItjN6thrust23THRUST_200600_302600_NS4plusIjEEEEZZNS1_33reduce_by_key_impl_wrapped_configILNS1_25lookback_scan_determinismE0ES3_S9_NS6_6detail15normal_iteratorINS6_10device_ptrItEEEENSD_INSE_IjEEEESG_SI_PmS8_NS6_8equal_toItEEEE10hipError_tPvRmT2_T3_mT4_T5_T6_T7_T8_P12ihipStream_tbENKUlT_T0_E_clISt17integral_constantIbLb0EES13_EEDaSY_SZ_EUlSY_E_NS1_11comp_targetILNS1_3genE10ELNS1_11target_archE1201ELNS1_3gpuE5ELNS1_3repE0EEENS1_30default_config_static_selectorELNS0_4arch9wavefront6targetE1EEEvT1_
; %bb.0:
	.section	.rodata,"a",@progbits
	.p2align	6, 0x0
	.amdhsa_kernel _ZN7rocprim17ROCPRIM_400000_NS6detail17trampoline_kernelINS0_14default_configENS1_29reduce_by_key_config_selectorItjN6thrust23THRUST_200600_302600_NS4plusIjEEEEZZNS1_33reduce_by_key_impl_wrapped_configILNS1_25lookback_scan_determinismE0ES3_S9_NS6_6detail15normal_iteratorINS6_10device_ptrItEEEENSD_INSE_IjEEEESG_SI_PmS8_NS6_8equal_toItEEEE10hipError_tPvRmT2_T3_mT4_T5_T6_T7_T8_P12ihipStream_tbENKUlT_T0_E_clISt17integral_constantIbLb0EES13_EEDaSY_SZ_EUlSY_E_NS1_11comp_targetILNS1_3genE10ELNS1_11target_archE1201ELNS1_3gpuE5ELNS1_3repE0EEENS1_30default_config_static_selectorELNS0_4arch9wavefront6targetE1EEEvT1_
		.amdhsa_group_segment_fixed_size 0
		.amdhsa_private_segment_fixed_size 0
		.amdhsa_kernarg_size 120
		.amdhsa_user_sgpr_count 6
		.amdhsa_user_sgpr_private_segment_buffer 1
		.amdhsa_user_sgpr_dispatch_ptr 0
		.amdhsa_user_sgpr_queue_ptr 0
		.amdhsa_user_sgpr_kernarg_segment_ptr 1
		.amdhsa_user_sgpr_dispatch_id 0
		.amdhsa_user_sgpr_flat_scratch_init 0
		.amdhsa_user_sgpr_kernarg_preload_length 0
		.amdhsa_user_sgpr_kernarg_preload_offset 0
		.amdhsa_user_sgpr_private_segment_size 0
		.amdhsa_uses_dynamic_stack 0
		.amdhsa_system_sgpr_private_segment_wavefront_offset 0
		.amdhsa_system_sgpr_workgroup_id_x 1
		.amdhsa_system_sgpr_workgroup_id_y 0
		.amdhsa_system_sgpr_workgroup_id_z 0
		.amdhsa_system_sgpr_workgroup_info 0
		.amdhsa_system_vgpr_workitem_id 0
		.amdhsa_next_free_vgpr 1
		.amdhsa_next_free_sgpr 0
		.amdhsa_accum_offset 4
		.amdhsa_reserve_vcc 0
		.amdhsa_reserve_flat_scratch 0
		.amdhsa_float_round_mode_32 0
		.amdhsa_float_round_mode_16_64 0
		.amdhsa_float_denorm_mode_32 3
		.amdhsa_float_denorm_mode_16_64 3
		.amdhsa_dx10_clamp 1
		.amdhsa_ieee_mode 1
		.amdhsa_fp16_overflow 0
		.amdhsa_tg_split 0
		.amdhsa_exception_fp_ieee_invalid_op 0
		.amdhsa_exception_fp_denorm_src 0
		.amdhsa_exception_fp_ieee_div_zero 0
		.amdhsa_exception_fp_ieee_overflow 0
		.amdhsa_exception_fp_ieee_underflow 0
		.amdhsa_exception_fp_ieee_inexact 0
		.amdhsa_exception_int_div_zero 0
	.end_amdhsa_kernel
	.section	.text._ZN7rocprim17ROCPRIM_400000_NS6detail17trampoline_kernelINS0_14default_configENS1_29reduce_by_key_config_selectorItjN6thrust23THRUST_200600_302600_NS4plusIjEEEEZZNS1_33reduce_by_key_impl_wrapped_configILNS1_25lookback_scan_determinismE0ES3_S9_NS6_6detail15normal_iteratorINS6_10device_ptrItEEEENSD_INSE_IjEEEESG_SI_PmS8_NS6_8equal_toItEEEE10hipError_tPvRmT2_T3_mT4_T5_T6_T7_T8_P12ihipStream_tbENKUlT_T0_E_clISt17integral_constantIbLb0EES13_EEDaSY_SZ_EUlSY_E_NS1_11comp_targetILNS1_3genE10ELNS1_11target_archE1201ELNS1_3gpuE5ELNS1_3repE0EEENS1_30default_config_static_selectorELNS0_4arch9wavefront6targetE1EEEvT1_,"axG",@progbits,_ZN7rocprim17ROCPRIM_400000_NS6detail17trampoline_kernelINS0_14default_configENS1_29reduce_by_key_config_selectorItjN6thrust23THRUST_200600_302600_NS4plusIjEEEEZZNS1_33reduce_by_key_impl_wrapped_configILNS1_25lookback_scan_determinismE0ES3_S9_NS6_6detail15normal_iteratorINS6_10device_ptrItEEEENSD_INSE_IjEEEESG_SI_PmS8_NS6_8equal_toItEEEE10hipError_tPvRmT2_T3_mT4_T5_T6_T7_T8_P12ihipStream_tbENKUlT_T0_E_clISt17integral_constantIbLb0EES13_EEDaSY_SZ_EUlSY_E_NS1_11comp_targetILNS1_3genE10ELNS1_11target_archE1201ELNS1_3gpuE5ELNS1_3repE0EEENS1_30default_config_static_selectorELNS0_4arch9wavefront6targetE1EEEvT1_,comdat
.Lfunc_end738:
	.size	_ZN7rocprim17ROCPRIM_400000_NS6detail17trampoline_kernelINS0_14default_configENS1_29reduce_by_key_config_selectorItjN6thrust23THRUST_200600_302600_NS4plusIjEEEEZZNS1_33reduce_by_key_impl_wrapped_configILNS1_25lookback_scan_determinismE0ES3_S9_NS6_6detail15normal_iteratorINS6_10device_ptrItEEEENSD_INSE_IjEEEESG_SI_PmS8_NS6_8equal_toItEEEE10hipError_tPvRmT2_T3_mT4_T5_T6_T7_T8_P12ihipStream_tbENKUlT_T0_E_clISt17integral_constantIbLb0EES13_EEDaSY_SZ_EUlSY_E_NS1_11comp_targetILNS1_3genE10ELNS1_11target_archE1201ELNS1_3gpuE5ELNS1_3repE0EEENS1_30default_config_static_selectorELNS0_4arch9wavefront6targetE1EEEvT1_, .Lfunc_end738-_ZN7rocprim17ROCPRIM_400000_NS6detail17trampoline_kernelINS0_14default_configENS1_29reduce_by_key_config_selectorItjN6thrust23THRUST_200600_302600_NS4plusIjEEEEZZNS1_33reduce_by_key_impl_wrapped_configILNS1_25lookback_scan_determinismE0ES3_S9_NS6_6detail15normal_iteratorINS6_10device_ptrItEEEENSD_INSE_IjEEEESG_SI_PmS8_NS6_8equal_toItEEEE10hipError_tPvRmT2_T3_mT4_T5_T6_T7_T8_P12ihipStream_tbENKUlT_T0_E_clISt17integral_constantIbLb0EES13_EEDaSY_SZ_EUlSY_E_NS1_11comp_targetILNS1_3genE10ELNS1_11target_archE1201ELNS1_3gpuE5ELNS1_3repE0EEENS1_30default_config_static_selectorELNS0_4arch9wavefront6targetE1EEEvT1_
                                        ; -- End function
	.section	.AMDGPU.csdata,"",@progbits
; Kernel info:
; codeLenInByte = 0
; NumSgprs: 4
; NumVgprs: 0
; NumAgprs: 0
; TotalNumVgprs: 0
; ScratchSize: 0
; MemoryBound: 0
; FloatMode: 240
; IeeeMode: 1
; LDSByteSize: 0 bytes/workgroup (compile time only)
; SGPRBlocks: 0
; VGPRBlocks: 0
; NumSGPRsForWavesPerEU: 4
; NumVGPRsForWavesPerEU: 1
; AccumOffset: 4
; Occupancy: 8
; WaveLimiterHint : 0
; COMPUTE_PGM_RSRC2:SCRATCH_EN: 0
; COMPUTE_PGM_RSRC2:USER_SGPR: 6
; COMPUTE_PGM_RSRC2:TRAP_HANDLER: 0
; COMPUTE_PGM_RSRC2:TGID_X_EN: 1
; COMPUTE_PGM_RSRC2:TGID_Y_EN: 0
; COMPUTE_PGM_RSRC2:TGID_Z_EN: 0
; COMPUTE_PGM_RSRC2:TIDIG_COMP_CNT: 0
; COMPUTE_PGM_RSRC3_GFX90A:ACCUM_OFFSET: 0
; COMPUTE_PGM_RSRC3_GFX90A:TG_SPLIT: 0
	.section	.text._ZN7rocprim17ROCPRIM_400000_NS6detail17trampoline_kernelINS0_14default_configENS1_29reduce_by_key_config_selectorItjN6thrust23THRUST_200600_302600_NS4plusIjEEEEZZNS1_33reduce_by_key_impl_wrapped_configILNS1_25lookback_scan_determinismE0ES3_S9_NS6_6detail15normal_iteratorINS6_10device_ptrItEEEENSD_INSE_IjEEEESG_SI_PmS8_NS6_8equal_toItEEEE10hipError_tPvRmT2_T3_mT4_T5_T6_T7_T8_P12ihipStream_tbENKUlT_T0_E_clISt17integral_constantIbLb0EES13_EEDaSY_SZ_EUlSY_E_NS1_11comp_targetILNS1_3genE10ELNS1_11target_archE1200ELNS1_3gpuE4ELNS1_3repE0EEENS1_30default_config_static_selectorELNS0_4arch9wavefront6targetE1EEEvT1_,"axG",@progbits,_ZN7rocprim17ROCPRIM_400000_NS6detail17trampoline_kernelINS0_14default_configENS1_29reduce_by_key_config_selectorItjN6thrust23THRUST_200600_302600_NS4plusIjEEEEZZNS1_33reduce_by_key_impl_wrapped_configILNS1_25lookback_scan_determinismE0ES3_S9_NS6_6detail15normal_iteratorINS6_10device_ptrItEEEENSD_INSE_IjEEEESG_SI_PmS8_NS6_8equal_toItEEEE10hipError_tPvRmT2_T3_mT4_T5_T6_T7_T8_P12ihipStream_tbENKUlT_T0_E_clISt17integral_constantIbLb0EES13_EEDaSY_SZ_EUlSY_E_NS1_11comp_targetILNS1_3genE10ELNS1_11target_archE1200ELNS1_3gpuE4ELNS1_3repE0EEENS1_30default_config_static_selectorELNS0_4arch9wavefront6targetE1EEEvT1_,comdat
	.protected	_ZN7rocprim17ROCPRIM_400000_NS6detail17trampoline_kernelINS0_14default_configENS1_29reduce_by_key_config_selectorItjN6thrust23THRUST_200600_302600_NS4plusIjEEEEZZNS1_33reduce_by_key_impl_wrapped_configILNS1_25lookback_scan_determinismE0ES3_S9_NS6_6detail15normal_iteratorINS6_10device_ptrItEEEENSD_INSE_IjEEEESG_SI_PmS8_NS6_8equal_toItEEEE10hipError_tPvRmT2_T3_mT4_T5_T6_T7_T8_P12ihipStream_tbENKUlT_T0_E_clISt17integral_constantIbLb0EES13_EEDaSY_SZ_EUlSY_E_NS1_11comp_targetILNS1_3genE10ELNS1_11target_archE1200ELNS1_3gpuE4ELNS1_3repE0EEENS1_30default_config_static_selectorELNS0_4arch9wavefront6targetE1EEEvT1_ ; -- Begin function _ZN7rocprim17ROCPRIM_400000_NS6detail17trampoline_kernelINS0_14default_configENS1_29reduce_by_key_config_selectorItjN6thrust23THRUST_200600_302600_NS4plusIjEEEEZZNS1_33reduce_by_key_impl_wrapped_configILNS1_25lookback_scan_determinismE0ES3_S9_NS6_6detail15normal_iteratorINS6_10device_ptrItEEEENSD_INSE_IjEEEESG_SI_PmS8_NS6_8equal_toItEEEE10hipError_tPvRmT2_T3_mT4_T5_T6_T7_T8_P12ihipStream_tbENKUlT_T0_E_clISt17integral_constantIbLb0EES13_EEDaSY_SZ_EUlSY_E_NS1_11comp_targetILNS1_3genE10ELNS1_11target_archE1200ELNS1_3gpuE4ELNS1_3repE0EEENS1_30default_config_static_selectorELNS0_4arch9wavefront6targetE1EEEvT1_
	.globl	_ZN7rocprim17ROCPRIM_400000_NS6detail17trampoline_kernelINS0_14default_configENS1_29reduce_by_key_config_selectorItjN6thrust23THRUST_200600_302600_NS4plusIjEEEEZZNS1_33reduce_by_key_impl_wrapped_configILNS1_25lookback_scan_determinismE0ES3_S9_NS6_6detail15normal_iteratorINS6_10device_ptrItEEEENSD_INSE_IjEEEESG_SI_PmS8_NS6_8equal_toItEEEE10hipError_tPvRmT2_T3_mT4_T5_T6_T7_T8_P12ihipStream_tbENKUlT_T0_E_clISt17integral_constantIbLb0EES13_EEDaSY_SZ_EUlSY_E_NS1_11comp_targetILNS1_3genE10ELNS1_11target_archE1200ELNS1_3gpuE4ELNS1_3repE0EEENS1_30default_config_static_selectorELNS0_4arch9wavefront6targetE1EEEvT1_
	.p2align	8
	.type	_ZN7rocprim17ROCPRIM_400000_NS6detail17trampoline_kernelINS0_14default_configENS1_29reduce_by_key_config_selectorItjN6thrust23THRUST_200600_302600_NS4plusIjEEEEZZNS1_33reduce_by_key_impl_wrapped_configILNS1_25lookback_scan_determinismE0ES3_S9_NS6_6detail15normal_iteratorINS6_10device_ptrItEEEENSD_INSE_IjEEEESG_SI_PmS8_NS6_8equal_toItEEEE10hipError_tPvRmT2_T3_mT4_T5_T6_T7_T8_P12ihipStream_tbENKUlT_T0_E_clISt17integral_constantIbLb0EES13_EEDaSY_SZ_EUlSY_E_NS1_11comp_targetILNS1_3genE10ELNS1_11target_archE1200ELNS1_3gpuE4ELNS1_3repE0EEENS1_30default_config_static_selectorELNS0_4arch9wavefront6targetE1EEEvT1_,@function
_ZN7rocprim17ROCPRIM_400000_NS6detail17trampoline_kernelINS0_14default_configENS1_29reduce_by_key_config_selectorItjN6thrust23THRUST_200600_302600_NS4plusIjEEEEZZNS1_33reduce_by_key_impl_wrapped_configILNS1_25lookback_scan_determinismE0ES3_S9_NS6_6detail15normal_iteratorINS6_10device_ptrItEEEENSD_INSE_IjEEEESG_SI_PmS8_NS6_8equal_toItEEEE10hipError_tPvRmT2_T3_mT4_T5_T6_T7_T8_P12ihipStream_tbENKUlT_T0_E_clISt17integral_constantIbLb0EES13_EEDaSY_SZ_EUlSY_E_NS1_11comp_targetILNS1_3genE10ELNS1_11target_archE1200ELNS1_3gpuE4ELNS1_3repE0EEENS1_30default_config_static_selectorELNS0_4arch9wavefront6targetE1EEEvT1_: ; @_ZN7rocprim17ROCPRIM_400000_NS6detail17trampoline_kernelINS0_14default_configENS1_29reduce_by_key_config_selectorItjN6thrust23THRUST_200600_302600_NS4plusIjEEEEZZNS1_33reduce_by_key_impl_wrapped_configILNS1_25lookback_scan_determinismE0ES3_S9_NS6_6detail15normal_iteratorINS6_10device_ptrItEEEENSD_INSE_IjEEEESG_SI_PmS8_NS6_8equal_toItEEEE10hipError_tPvRmT2_T3_mT4_T5_T6_T7_T8_P12ihipStream_tbENKUlT_T0_E_clISt17integral_constantIbLb0EES13_EEDaSY_SZ_EUlSY_E_NS1_11comp_targetILNS1_3genE10ELNS1_11target_archE1200ELNS1_3gpuE4ELNS1_3repE0EEENS1_30default_config_static_selectorELNS0_4arch9wavefront6targetE1EEEvT1_
; %bb.0:
	.section	.rodata,"a",@progbits
	.p2align	6, 0x0
	.amdhsa_kernel _ZN7rocprim17ROCPRIM_400000_NS6detail17trampoline_kernelINS0_14default_configENS1_29reduce_by_key_config_selectorItjN6thrust23THRUST_200600_302600_NS4plusIjEEEEZZNS1_33reduce_by_key_impl_wrapped_configILNS1_25lookback_scan_determinismE0ES3_S9_NS6_6detail15normal_iteratorINS6_10device_ptrItEEEENSD_INSE_IjEEEESG_SI_PmS8_NS6_8equal_toItEEEE10hipError_tPvRmT2_T3_mT4_T5_T6_T7_T8_P12ihipStream_tbENKUlT_T0_E_clISt17integral_constantIbLb0EES13_EEDaSY_SZ_EUlSY_E_NS1_11comp_targetILNS1_3genE10ELNS1_11target_archE1200ELNS1_3gpuE4ELNS1_3repE0EEENS1_30default_config_static_selectorELNS0_4arch9wavefront6targetE1EEEvT1_
		.amdhsa_group_segment_fixed_size 0
		.amdhsa_private_segment_fixed_size 0
		.amdhsa_kernarg_size 120
		.amdhsa_user_sgpr_count 6
		.amdhsa_user_sgpr_private_segment_buffer 1
		.amdhsa_user_sgpr_dispatch_ptr 0
		.amdhsa_user_sgpr_queue_ptr 0
		.amdhsa_user_sgpr_kernarg_segment_ptr 1
		.amdhsa_user_sgpr_dispatch_id 0
		.amdhsa_user_sgpr_flat_scratch_init 0
		.amdhsa_user_sgpr_kernarg_preload_length 0
		.amdhsa_user_sgpr_kernarg_preload_offset 0
		.amdhsa_user_sgpr_private_segment_size 0
		.amdhsa_uses_dynamic_stack 0
		.amdhsa_system_sgpr_private_segment_wavefront_offset 0
		.amdhsa_system_sgpr_workgroup_id_x 1
		.amdhsa_system_sgpr_workgroup_id_y 0
		.amdhsa_system_sgpr_workgroup_id_z 0
		.amdhsa_system_sgpr_workgroup_info 0
		.amdhsa_system_vgpr_workitem_id 0
		.amdhsa_next_free_vgpr 1
		.amdhsa_next_free_sgpr 0
		.amdhsa_accum_offset 4
		.amdhsa_reserve_vcc 0
		.amdhsa_reserve_flat_scratch 0
		.amdhsa_float_round_mode_32 0
		.amdhsa_float_round_mode_16_64 0
		.amdhsa_float_denorm_mode_32 3
		.amdhsa_float_denorm_mode_16_64 3
		.amdhsa_dx10_clamp 1
		.amdhsa_ieee_mode 1
		.amdhsa_fp16_overflow 0
		.amdhsa_tg_split 0
		.amdhsa_exception_fp_ieee_invalid_op 0
		.amdhsa_exception_fp_denorm_src 0
		.amdhsa_exception_fp_ieee_div_zero 0
		.amdhsa_exception_fp_ieee_overflow 0
		.amdhsa_exception_fp_ieee_underflow 0
		.amdhsa_exception_fp_ieee_inexact 0
		.amdhsa_exception_int_div_zero 0
	.end_amdhsa_kernel
	.section	.text._ZN7rocprim17ROCPRIM_400000_NS6detail17trampoline_kernelINS0_14default_configENS1_29reduce_by_key_config_selectorItjN6thrust23THRUST_200600_302600_NS4plusIjEEEEZZNS1_33reduce_by_key_impl_wrapped_configILNS1_25lookback_scan_determinismE0ES3_S9_NS6_6detail15normal_iteratorINS6_10device_ptrItEEEENSD_INSE_IjEEEESG_SI_PmS8_NS6_8equal_toItEEEE10hipError_tPvRmT2_T3_mT4_T5_T6_T7_T8_P12ihipStream_tbENKUlT_T0_E_clISt17integral_constantIbLb0EES13_EEDaSY_SZ_EUlSY_E_NS1_11comp_targetILNS1_3genE10ELNS1_11target_archE1200ELNS1_3gpuE4ELNS1_3repE0EEENS1_30default_config_static_selectorELNS0_4arch9wavefront6targetE1EEEvT1_,"axG",@progbits,_ZN7rocprim17ROCPRIM_400000_NS6detail17trampoline_kernelINS0_14default_configENS1_29reduce_by_key_config_selectorItjN6thrust23THRUST_200600_302600_NS4plusIjEEEEZZNS1_33reduce_by_key_impl_wrapped_configILNS1_25lookback_scan_determinismE0ES3_S9_NS6_6detail15normal_iteratorINS6_10device_ptrItEEEENSD_INSE_IjEEEESG_SI_PmS8_NS6_8equal_toItEEEE10hipError_tPvRmT2_T3_mT4_T5_T6_T7_T8_P12ihipStream_tbENKUlT_T0_E_clISt17integral_constantIbLb0EES13_EEDaSY_SZ_EUlSY_E_NS1_11comp_targetILNS1_3genE10ELNS1_11target_archE1200ELNS1_3gpuE4ELNS1_3repE0EEENS1_30default_config_static_selectorELNS0_4arch9wavefront6targetE1EEEvT1_,comdat
.Lfunc_end739:
	.size	_ZN7rocprim17ROCPRIM_400000_NS6detail17trampoline_kernelINS0_14default_configENS1_29reduce_by_key_config_selectorItjN6thrust23THRUST_200600_302600_NS4plusIjEEEEZZNS1_33reduce_by_key_impl_wrapped_configILNS1_25lookback_scan_determinismE0ES3_S9_NS6_6detail15normal_iteratorINS6_10device_ptrItEEEENSD_INSE_IjEEEESG_SI_PmS8_NS6_8equal_toItEEEE10hipError_tPvRmT2_T3_mT4_T5_T6_T7_T8_P12ihipStream_tbENKUlT_T0_E_clISt17integral_constantIbLb0EES13_EEDaSY_SZ_EUlSY_E_NS1_11comp_targetILNS1_3genE10ELNS1_11target_archE1200ELNS1_3gpuE4ELNS1_3repE0EEENS1_30default_config_static_selectorELNS0_4arch9wavefront6targetE1EEEvT1_, .Lfunc_end739-_ZN7rocprim17ROCPRIM_400000_NS6detail17trampoline_kernelINS0_14default_configENS1_29reduce_by_key_config_selectorItjN6thrust23THRUST_200600_302600_NS4plusIjEEEEZZNS1_33reduce_by_key_impl_wrapped_configILNS1_25lookback_scan_determinismE0ES3_S9_NS6_6detail15normal_iteratorINS6_10device_ptrItEEEENSD_INSE_IjEEEESG_SI_PmS8_NS6_8equal_toItEEEE10hipError_tPvRmT2_T3_mT4_T5_T6_T7_T8_P12ihipStream_tbENKUlT_T0_E_clISt17integral_constantIbLb0EES13_EEDaSY_SZ_EUlSY_E_NS1_11comp_targetILNS1_3genE10ELNS1_11target_archE1200ELNS1_3gpuE4ELNS1_3repE0EEENS1_30default_config_static_selectorELNS0_4arch9wavefront6targetE1EEEvT1_
                                        ; -- End function
	.section	.AMDGPU.csdata,"",@progbits
; Kernel info:
; codeLenInByte = 0
; NumSgprs: 4
; NumVgprs: 0
; NumAgprs: 0
; TotalNumVgprs: 0
; ScratchSize: 0
; MemoryBound: 0
; FloatMode: 240
; IeeeMode: 1
; LDSByteSize: 0 bytes/workgroup (compile time only)
; SGPRBlocks: 0
; VGPRBlocks: 0
; NumSGPRsForWavesPerEU: 4
; NumVGPRsForWavesPerEU: 1
; AccumOffset: 4
; Occupancy: 8
; WaveLimiterHint : 0
; COMPUTE_PGM_RSRC2:SCRATCH_EN: 0
; COMPUTE_PGM_RSRC2:USER_SGPR: 6
; COMPUTE_PGM_RSRC2:TRAP_HANDLER: 0
; COMPUTE_PGM_RSRC2:TGID_X_EN: 1
; COMPUTE_PGM_RSRC2:TGID_Y_EN: 0
; COMPUTE_PGM_RSRC2:TGID_Z_EN: 0
; COMPUTE_PGM_RSRC2:TIDIG_COMP_CNT: 0
; COMPUTE_PGM_RSRC3_GFX90A:ACCUM_OFFSET: 0
; COMPUTE_PGM_RSRC3_GFX90A:TG_SPLIT: 0
	.section	.text._ZN7rocprim17ROCPRIM_400000_NS6detail17trampoline_kernelINS0_14default_configENS1_29reduce_by_key_config_selectorItjN6thrust23THRUST_200600_302600_NS4plusIjEEEEZZNS1_33reduce_by_key_impl_wrapped_configILNS1_25lookback_scan_determinismE0ES3_S9_NS6_6detail15normal_iteratorINS6_10device_ptrItEEEENSD_INSE_IjEEEESG_SI_PmS8_NS6_8equal_toItEEEE10hipError_tPvRmT2_T3_mT4_T5_T6_T7_T8_P12ihipStream_tbENKUlT_T0_E_clISt17integral_constantIbLb0EES13_EEDaSY_SZ_EUlSY_E_NS1_11comp_targetILNS1_3genE9ELNS1_11target_archE1100ELNS1_3gpuE3ELNS1_3repE0EEENS1_30default_config_static_selectorELNS0_4arch9wavefront6targetE1EEEvT1_,"axG",@progbits,_ZN7rocprim17ROCPRIM_400000_NS6detail17trampoline_kernelINS0_14default_configENS1_29reduce_by_key_config_selectorItjN6thrust23THRUST_200600_302600_NS4plusIjEEEEZZNS1_33reduce_by_key_impl_wrapped_configILNS1_25lookback_scan_determinismE0ES3_S9_NS6_6detail15normal_iteratorINS6_10device_ptrItEEEENSD_INSE_IjEEEESG_SI_PmS8_NS6_8equal_toItEEEE10hipError_tPvRmT2_T3_mT4_T5_T6_T7_T8_P12ihipStream_tbENKUlT_T0_E_clISt17integral_constantIbLb0EES13_EEDaSY_SZ_EUlSY_E_NS1_11comp_targetILNS1_3genE9ELNS1_11target_archE1100ELNS1_3gpuE3ELNS1_3repE0EEENS1_30default_config_static_selectorELNS0_4arch9wavefront6targetE1EEEvT1_,comdat
	.protected	_ZN7rocprim17ROCPRIM_400000_NS6detail17trampoline_kernelINS0_14default_configENS1_29reduce_by_key_config_selectorItjN6thrust23THRUST_200600_302600_NS4plusIjEEEEZZNS1_33reduce_by_key_impl_wrapped_configILNS1_25lookback_scan_determinismE0ES3_S9_NS6_6detail15normal_iteratorINS6_10device_ptrItEEEENSD_INSE_IjEEEESG_SI_PmS8_NS6_8equal_toItEEEE10hipError_tPvRmT2_T3_mT4_T5_T6_T7_T8_P12ihipStream_tbENKUlT_T0_E_clISt17integral_constantIbLb0EES13_EEDaSY_SZ_EUlSY_E_NS1_11comp_targetILNS1_3genE9ELNS1_11target_archE1100ELNS1_3gpuE3ELNS1_3repE0EEENS1_30default_config_static_selectorELNS0_4arch9wavefront6targetE1EEEvT1_ ; -- Begin function _ZN7rocprim17ROCPRIM_400000_NS6detail17trampoline_kernelINS0_14default_configENS1_29reduce_by_key_config_selectorItjN6thrust23THRUST_200600_302600_NS4plusIjEEEEZZNS1_33reduce_by_key_impl_wrapped_configILNS1_25lookback_scan_determinismE0ES3_S9_NS6_6detail15normal_iteratorINS6_10device_ptrItEEEENSD_INSE_IjEEEESG_SI_PmS8_NS6_8equal_toItEEEE10hipError_tPvRmT2_T3_mT4_T5_T6_T7_T8_P12ihipStream_tbENKUlT_T0_E_clISt17integral_constantIbLb0EES13_EEDaSY_SZ_EUlSY_E_NS1_11comp_targetILNS1_3genE9ELNS1_11target_archE1100ELNS1_3gpuE3ELNS1_3repE0EEENS1_30default_config_static_selectorELNS0_4arch9wavefront6targetE1EEEvT1_
	.globl	_ZN7rocprim17ROCPRIM_400000_NS6detail17trampoline_kernelINS0_14default_configENS1_29reduce_by_key_config_selectorItjN6thrust23THRUST_200600_302600_NS4plusIjEEEEZZNS1_33reduce_by_key_impl_wrapped_configILNS1_25lookback_scan_determinismE0ES3_S9_NS6_6detail15normal_iteratorINS6_10device_ptrItEEEENSD_INSE_IjEEEESG_SI_PmS8_NS6_8equal_toItEEEE10hipError_tPvRmT2_T3_mT4_T5_T6_T7_T8_P12ihipStream_tbENKUlT_T0_E_clISt17integral_constantIbLb0EES13_EEDaSY_SZ_EUlSY_E_NS1_11comp_targetILNS1_3genE9ELNS1_11target_archE1100ELNS1_3gpuE3ELNS1_3repE0EEENS1_30default_config_static_selectorELNS0_4arch9wavefront6targetE1EEEvT1_
	.p2align	8
	.type	_ZN7rocprim17ROCPRIM_400000_NS6detail17trampoline_kernelINS0_14default_configENS1_29reduce_by_key_config_selectorItjN6thrust23THRUST_200600_302600_NS4plusIjEEEEZZNS1_33reduce_by_key_impl_wrapped_configILNS1_25lookback_scan_determinismE0ES3_S9_NS6_6detail15normal_iteratorINS6_10device_ptrItEEEENSD_INSE_IjEEEESG_SI_PmS8_NS6_8equal_toItEEEE10hipError_tPvRmT2_T3_mT4_T5_T6_T7_T8_P12ihipStream_tbENKUlT_T0_E_clISt17integral_constantIbLb0EES13_EEDaSY_SZ_EUlSY_E_NS1_11comp_targetILNS1_3genE9ELNS1_11target_archE1100ELNS1_3gpuE3ELNS1_3repE0EEENS1_30default_config_static_selectorELNS0_4arch9wavefront6targetE1EEEvT1_,@function
_ZN7rocprim17ROCPRIM_400000_NS6detail17trampoline_kernelINS0_14default_configENS1_29reduce_by_key_config_selectorItjN6thrust23THRUST_200600_302600_NS4plusIjEEEEZZNS1_33reduce_by_key_impl_wrapped_configILNS1_25lookback_scan_determinismE0ES3_S9_NS6_6detail15normal_iteratorINS6_10device_ptrItEEEENSD_INSE_IjEEEESG_SI_PmS8_NS6_8equal_toItEEEE10hipError_tPvRmT2_T3_mT4_T5_T6_T7_T8_P12ihipStream_tbENKUlT_T0_E_clISt17integral_constantIbLb0EES13_EEDaSY_SZ_EUlSY_E_NS1_11comp_targetILNS1_3genE9ELNS1_11target_archE1100ELNS1_3gpuE3ELNS1_3repE0EEENS1_30default_config_static_selectorELNS0_4arch9wavefront6targetE1EEEvT1_: ; @_ZN7rocprim17ROCPRIM_400000_NS6detail17trampoline_kernelINS0_14default_configENS1_29reduce_by_key_config_selectorItjN6thrust23THRUST_200600_302600_NS4plusIjEEEEZZNS1_33reduce_by_key_impl_wrapped_configILNS1_25lookback_scan_determinismE0ES3_S9_NS6_6detail15normal_iteratorINS6_10device_ptrItEEEENSD_INSE_IjEEEESG_SI_PmS8_NS6_8equal_toItEEEE10hipError_tPvRmT2_T3_mT4_T5_T6_T7_T8_P12ihipStream_tbENKUlT_T0_E_clISt17integral_constantIbLb0EES13_EEDaSY_SZ_EUlSY_E_NS1_11comp_targetILNS1_3genE9ELNS1_11target_archE1100ELNS1_3gpuE3ELNS1_3repE0EEENS1_30default_config_static_selectorELNS0_4arch9wavefront6targetE1EEEvT1_
; %bb.0:
	.section	.rodata,"a",@progbits
	.p2align	6, 0x0
	.amdhsa_kernel _ZN7rocprim17ROCPRIM_400000_NS6detail17trampoline_kernelINS0_14default_configENS1_29reduce_by_key_config_selectorItjN6thrust23THRUST_200600_302600_NS4plusIjEEEEZZNS1_33reduce_by_key_impl_wrapped_configILNS1_25lookback_scan_determinismE0ES3_S9_NS6_6detail15normal_iteratorINS6_10device_ptrItEEEENSD_INSE_IjEEEESG_SI_PmS8_NS6_8equal_toItEEEE10hipError_tPvRmT2_T3_mT4_T5_T6_T7_T8_P12ihipStream_tbENKUlT_T0_E_clISt17integral_constantIbLb0EES13_EEDaSY_SZ_EUlSY_E_NS1_11comp_targetILNS1_3genE9ELNS1_11target_archE1100ELNS1_3gpuE3ELNS1_3repE0EEENS1_30default_config_static_selectorELNS0_4arch9wavefront6targetE1EEEvT1_
		.amdhsa_group_segment_fixed_size 0
		.amdhsa_private_segment_fixed_size 0
		.amdhsa_kernarg_size 120
		.amdhsa_user_sgpr_count 6
		.amdhsa_user_sgpr_private_segment_buffer 1
		.amdhsa_user_sgpr_dispatch_ptr 0
		.amdhsa_user_sgpr_queue_ptr 0
		.amdhsa_user_sgpr_kernarg_segment_ptr 1
		.amdhsa_user_sgpr_dispatch_id 0
		.amdhsa_user_sgpr_flat_scratch_init 0
		.amdhsa_user_sgpr_kernarg_preload_length 0
		.amdhsa_user_sgpr_kernarg_preload_offset 0
		.amdhsa_user_sgpr_private_segment_size 0
		.amdhsa_uses_dynamic_stack 0
		.amdhsa_system_sgpr_private_segment_wavefront_offset 0
		.amdhsa_system_sgpr_workgroup_id_x 1
		.amdhsa_system_sgpr_workgroup_id_y 0
		.amdhsa_system_sgpr_workgroup_id_z 0
		.amdhsa_system_sgpr_workgroup_info 0
		.amdhsa_system_vgpr_workitem_id 0
		.amdhsa_next_free_vgpr 1
		.amdhsa_next_free_sgpr 0
		.amdhsa_accum_offset 4
		.amdhsa_reserve_vcc 0
		.amdhsa_reserve_flat_scratch 0
		.amdhsa_float_round_mode_32 0
		.amdhsa_float_round_mode_16_64 0
		.amdhsa_float_denorm_mode_32 3
		.amdhsa_float_denorm_mode_16_64 3
		.amdhsa_dx10_clamp 1
		.amdhsa_ieee_mode 1
		.amdhsa_fp16_overflow 0
		.amdhsa_tg_split 0
		.amdhsa_exception_fp_ieee_invalid_op 0
		.amdhsa_exception_fp_denorm_src 0
		.amdhsa_exception_fp_ieee_div_zero 0
		.amdhsa_exception_fp_ieee_overflow 0
		.amdhsa_exception_fp_ieee_underflow 0
		.amdhsa_exception_fp_ieee_inexact 0
		.amdhsa_exception_int_div_zero 0
	.end_amdhsa_kernel
	.section	.text._ZN7rocprim17ROCPRIM_400000_NS6detail17trampoline_kernelINS0_14default_configENS1_29reduce_by_key_config_selectorItjN6thrust23THRUST_200600_302600_NS4plusIjEEEEZZNS1_33reduce_by_key_impl_wrapped_configILNS1_25lookback_scan_determinismE0ES3_S9_NS6_6detail15normal_iteratorINS6_10device_ptrItEEEENSD_INSE_IjEEEESG_SI_PmS8_NS6_8equal_toItEEEE10hipError_tPvRmT2_T3_mT4_T5_T6_T7_T8_P12ihipStream_tbENKUlT_T0_E_clISt17integral_constantIbLb0EES13_EEDaSY_SZ_EUlSY_E_NS1_11comp_targetILNS1_3genE9ELNS1_11target_archE1100ELNS1_3gpuE3ELNS1_3repE0EEENS1_30default_config_static_selectorELNS0_4arch9wavefront6targetE1EEEvT1_,"axG",@progbits,_ZN7rocprim17ROCPRIM_400000_NS6detail17trampoline_kernelINS0_14default_configENS1_29reduce_by_key_config_selectorItjN6thrust23THRUST_200600_302600_NS4plusIjEEEEZZNS1_33reduce_by_key_impl_wrapped_configILNS1_25lookback_scan_determinismE0ES3_S9_NS6_6detail15normal_iteratorINS6_10device_ptrItEEEENSD_INSE_IjEEEESG_SI_PmS8_NS6_8equal_toItEEEE10hipError_tPvRmT2_T3_mT4_T5_T6_T7_T8_P12ihipStream_tbENKUlT_T0_E_clISt17integral_constantIbLb0EES13_EEDaSY_SZ_EUlSY_E_NS1_11comp_targetILNS1_3genE9ELNS1_11target_archE1100ELNS1_3gpuE3ELNS1_3repE0EEENS1_30default_config_static_selectorELNS0_4arch9wavefront6targetE1EEEvT1_,comdat
.Lfunc_end740:
	.size	_ZN7rocprim17ROCPRIM_400000_NS6detail17trampoline_kernelINS0_14default_configENS1_29reduce_by_key_config_selectorItjN6thrust23THRUST_200600_302600_NS4plusIjEEEEZZNS1_33reduce_by_key_impl_wrapped_configILNS1_25lookback_scan_determinismE0ES3_S9_NS6_6detail15normal_iteratorINS6_10device_ptrItEEEENSD_INSE_IjEEEESG_SI_PmS8_NS6_8equal_toItEEEE10hipError_tPvRmT2_T3_mT4_T5_T6_T7_T8_P12ihipStream_tbENKUlT_T0_E_clISt17integral_constantIbLb0EES13_EEDaSY_SZ_EUlSY_E_NS1_11comp_targetILNS1_3genE9ELNS1_11target_archE1100ELNS1_3gpuE3ELNS1_3repE0EEENS1_30default_config_static_selectorELNS0_4arch9wavefront6targetE1EEEvT1_, .Lfunc_end740-_ZN7rocprim17ROCPRIM_400000_NS6detail17trampoline_kernelINS0_14default_configENS1_29reduce_by_key_config_selectorItjN6thrust23THRUST_200600_302600_NS4plusIjEEEEZZNS1_33reduce_by_key_impl_wrapped_configILNS1_25lookback_scan_determinismE0ES3_S9_NS6_6detail15normal_iteratorINS6_10device_ptrItEEEENSD_INSE_IjEEEESG_SI_PmS8_NS6_8equal_toItEEEE10hipError_tPvRmT2_T3_mT4_T5_T6_T7_T8_P12ihipStream_tbENKUlT_T0_E_clISt17integral_constantIbLb0EES13_EEDaSY_SZ_EUlSY_E_NS1_11comp_targetILNS1_3genE9ELNS1_11target_archE1100ELNS1_3gpuE3ELNS1_3repE0EEENS1_30default_config_static_selectorELNS0_4arch9wavefront6targetE1EEEvT1_
                                        ; -- End function
	.section	.AMDGPU.csdata,"",@progbits
; Kernel info:
; codeLenInByte = 0
; NumSgprs: 4
; NumVgprs: 0
; NumAgprs: 0
; TotalNumVgprs: 0
; ScratchSize: 0
; MemoryBound: 0
; FloatMode: 240
; IeeeMode: 1
; LDSByteSize: 0 bytes/workgroup (compile time only)
; SGPRBlocks: 0
; VGPRBlocks: 0
; NumSGPRsForWavesPerEU: 4
; NumVGPRsForWavesPerEU: 1
; AccumOffset: 4
; Occupancy: 8
; WaveLimiterHint : 0
; COMPUTE_PGM_RSRC2:SCRATCH_EN: 0
; COMPUTE_PGM_RSRC2:USER_SGPR: 6
; COMPUTE_PGM_RSRC2:TRAP_HANDLER: 0
; COMPUTE_PGM_RSRC2:TGID_X_EN: 1
; COMPUTE_PGM_RSRC2:TGID_Y_EN: 0
; COMPUTE_PGM_RSRC2:TGID_Z_EN: 0
; COMPUTE_PGM_RSRC2:TIDIG_COMP_CNT: 0
; COMPUTE_PGM_RSRC3_GFX90A:ACCUM_OFFSET: 0
; COMPUTE_PGM_RSRC3_GFX90A:TG_SPLIT: 0
	.section	.text._ZN7rocprim17ROCPRIM_400000_NS6detail17trampoline_kernelINS0_14default_configENS1_29reduce_by_key_config_selectorItjN6thrust23THRUST_200600_302600_NS4plusIjEEEEZZNS1_33reduce_by_key_impl_wrapped_configILNS1_25lookback_scan_determinismE0ES3_S9_NS6_6detail15normal_iteratorINS6_10device_ptrItEEEENSD_INSE_IjEEEESG_SI_PmS8_NS6_8equal_toItEEEE10hipError_tPvRmT2_T3_mT4_T5_T6_T7_T8_P12ihipStream_tbENKUlT_T0_E_clISt17integral_constantIbLb0EES13_EEDaSY_SZ_EUlSY_E_NS1_11comp_targetILNS1_3genE8ELNS1_11target_archE1030ELNS1_3gpuE2ELNS1_3repE0EEENS1_30default_config_static_selectorELNS0_4arch9wavefront6targetE1EEEvT1_,"axG",@progbits,_ZN7rocprim17ROCPRIM_400000_NS6detail17trampoline_kernelINS0_14default_configENS1_29reduce_by_key_config_selectorItjN6thrust23THRUST_200600_302600_NS4plusIjEEEEZZNS1_33reduce_by_key_impl_wrapped_configILNS1_25lookback_scan_determinismE0ES3_S9_NS6_6detail15normal_iteratorINS6_10device_ptrItEEEENSD_INSE_IjEEEESG_SI_PmS8_NS6_8equal_toItEEEE10hipError_tPvRmT2_T3_mT4_T5_T6_T7_T8_P12ihipStream_tbENKUlT_T0_E_clISt17integral_constantIbLb0EES13_EEDaSY_SZ_EUlSY_E_NS1_11comp_targetILNS1_3genE8ELNS1_11target_archE1030ELNS1_3gpuE2ELNS1_3repE0EEENS1_30default_config_static_selectorELNS0_4arch9wavefront6targetE1EEEvT1_,comdat
	.protected	_ZN7rocprim17ROCPRIM_400000_NS6detail17trampoline_kernelINS0_14default_configENS1_29reduce_by_key_config_selectorItjN6thrust23THRUST_200600_302600_NS4plusIjEEEEZZNS1_33reduce_by_key_impl_wrapped_configILNS1_25lookback_scan_determinismE0ES3_S9_NS6_6detail15normal_iteratorINS6_10device_ptrItEEEENSD_INSE_IjEEEESG_SI_PmS8_NS6_8equal_toItEEEE10hipError_tPvRmT2_T3_mT4_T5_T6_T7_T8_P12ihipStream_tbENKUlT_T0_E_clISt17integral_constantIbLb0EES13_EEDaSY_SZ_EUlSY_E_NS1_11comp_targetILNS1_3genE8ELNS1_11target_archE1030ELNS1_3gpuE2ELNS1_3repE0EEENS1_30default_config_static_selectorELNS0_4arch9wavefront6targetE1EEEvT1_ ; -- Begin function _ZN7rocprim17ROCPRIM_400000_NS6detail17trampoline_kernelINS0_14default_configENS1_29reduce_by_key_config_selectorItjN6thrust23THRUST_200600_302600_NS4plusIjEEEEZZNS1_33reduce_by_key_impl_wrapped_configILNS1_25lookback_scan_determinismE0ES3_S9_NS6_6detail15normal_iteratorINS6_10device_ptrItEEEENSD_INSE_IjEEEESG_SI_PmS8_NS6_8equal_toItEEEE10hipError_tPvRmT2_T3_mT4_T5_T6_T7_T8_P12ihipStream_tbENKUlT_T0_E_clISt17integral_constantIbLb0EES13_EEDaSY_SZ_EUlSY_E_NS1_11comp_targetILNS1_3genE8ELNS1_11target_archE1030ELNS1_3gpuE2ELNS1_3repE0EEENS1_30default_config_static_selectorELNS0_4arch9wavefront6targetE1EEEvT1_
	.globl	_ZN7rocprim17ROCPRIM_400000_NS6detail17trampoline_kernelINS0_14default_configENS1_29reduce_by_key_config_selectorItjN6thrust23THRUST_200600_302600_NS4plusIjEEEEZZNS1_33reduce_by_key_impl_wrapped_configILNS1_25lookback_scan_determinismE0ES3_S9_NS6_6detail15normal_iteratorINS6_10device_ptrItEEEENSD_INSE_IjEEEESG_SI_PmS8_NS6_8equal_toItEEEE10hipError_tPvRmT2_T3_mT4_T5_T6_T7_T8_P12ihipStream_tbENKUlT_T0_E_clISt17integral_constantIbLb0EES13_EEDaSY_SZ_EUlSY_E_NS1_11comp_targetILNS1_3genE8ELNS1_11target_archE1030ELNS1_3gpuE2ELNS1_3repE0EEENS1_30default_config_static_selectorELNS0_4arch9wavefront6targetE1EEEvT1_
	.p2align	8
	.type	_ZN7rocprim17ROCPRIM_400000_NS6detail17trampoline_kernelINS0_14default_configENS1_29reduce_by_key_config_selectorItjN6thrust23THRUST_200600_302600_NS4plusIjEEEEZZNS1_33reduce_by_key_impl_wrapped_configILNS1_25lookback_scan_determinismE0ES3_S9_NS6_6detail15normal_iteratorINS6_10device_ptrItEEEENSD_INSE_IjEEEESG_SI_PmS8_NS6_8equal_toItEEEE10hipError_tPvRmT2_T3_mT4_T5_T6_T7_T8_P12ihipStream_tbENKUlT_T0_E_clISt17integral_constantIbLb0EES13_EEDaSY_SZ_EUlSY_E_NS1_11comp_targetILNS1_3genE8ELNS1_11target_archE1030ELNS1_3gpuE2ELNS1_3repE0EEENS1_30default_config_static_selectorELNS0_4arch9wavefront6targetE1EEEvT1_,@function
_ZN7rocprim17ROCPRIM_400000_NS6detail17trampoline_kernelINS0_14default_configENS1_29reduce_by_key_config_selectorItjN6thrust23THRUST_200600_302600_NS4plusIjEEEEZZNS1_33reduce_by_key_impl_wrapped_configILNS1_25lookback_scan_determinismE0ES3_S9_NS6_6detail15normal_iteratorINS6_10device_ptrItEEEENSD_INSE_IjEEEESG_SI_PmS8_NS6_8equal_toItEEEE10hipError_tPvRmT2_T3_mT4_T5_T6_T7_T8_P12ihipStream_tbENKUlT_T0_E_clISt17integral_constantIbLb0EES13_EEDaSY_SZ_EUlSY_E_NS1_11comp_targetILNS1_3genE8ELNS1_11target_archE1030ELNS1_3gpuE2ELNS1_3repE0EEENS1_30default_config_static_selectorELNS0_4arch9wavefront6targetE1EEEvT1_: ; @_ZN7rocprim17ROCPRIM_400000_NS6detail17trampoline_kernelINS0_14default_configENS1_29reduce_by_key_config_selectorItjN6thrust23THRUST_200600_302600_NS4plusIjEEEEZZNS1_33reduce_by_key_impl_wrapped_configILNS1_25lookback_scan_determinismE0ES3_S9_NS6_6detail15normal_iteratorINS6_10device_ptrItEEEENSD_INSE_IjEEEESG_SI_PmS8_NS6_8equal_toItEEEE10hipError_tPvRmT2_T3_mT4_T5_T6_T7_T8_P12ihipStream_tbENKUlT_T0_E_clISt17integral_constantIbLb0EES13_EEDaSY_SZ_EUlSY_E_NS1_11comp_targetILNS1_3genE8ELNS1_11target_archE1030ELNS1_3gpuE2ELNS1_3repE0EEENS1_30default_config_static_selectorELNS0_4arch9wavefront6targetE1EEEvT1_
; %bb.0:
	.section	.rodata,"a",@progbits
	.p2align	6, 0x0
	.amdhsa_kernel _ZN7rocprim17ROCPRIM_400000_NS6detail17trampoline_kernelINS0_14default_configENS1_29reduce_by_key_config_selectorItjN6thrust23THRUST_200600_302600_NS4plusIjEEEEZZNS1_33reduce_by_key_impl_wrapped_configILNS1_25lookback_scan_determinismE0ES3_S9_NS6_6detail15normal_iteratorINS6_10device_ptrItEEEENSD_INSE_IjEEEESG_SI_PmS8_NS6_8equal_toItEEEE10hipError_tPvRmT2_T3_mT4_T5_T6_T7_T8_P12ihipStream_tbENKUlT_T0_E_clISt17integral_constantIbLb0EES13_EEDaSY_SZ_EUlSY_E_NS1_11comp_targetILNS1_3genE8ELNS1_11target_archE1030ELNS1_3gpuE2ELNS1_3repE0EEENS1_30default_config_static_selectorELNS0_4arch9wavefront6targetE1EEEvT1_
		.amdhsa_group_segment_fixed_size 0
		.amdhsa_private_segment_fixed_size 0
		.amdhsa_kernarg_size 120
		.amdhsa_user_sgpr_count 6
		.amdhsa_user_sgpr_private_segment_buffer 1
		.amdhsa_user_sgpr_dispatch_ptr 0
		.amdhsa_user_sgpr_queue_ptr 0
		.amdhsa_user_sgpr_kernarg_segment_ptr 1
		.amdhsa_user_sgpr_dispatch_id 0
		.amdhsa_user_sgpr_flat_scratch_init 0
		.amdhsa_user_sgpr_kernarg_preload_length 0
		.amdhsa_user_sgpr_kernarg_preload_offset 0
		.amdhsa_user_sgpr_private_segment_size 0
		.amdhsa_uses_dynamic_stack 0
		.amdhsa_system_sgpr_private_segment_wavefront_offset 0
		.amdhsa_system_sgpr_workgroup_id_x 1
		.amdhsa_system_sgpr_workgroup_id_y 0
		.amdhsa_system_sgpr_workgroup_id_z 0
		.amdhsa_system_sgpr_workgroup_info 0
		.amdhsa_system_vgpr_workitem_id 0
		.amdhsa_next_free_vgpr 1
		.amdhsa_next_free_sgpr 0
		.amdhsa_accum_offset 4
		.amdhsa_reserve_vcc 0
		.amdhsa_reserve_flat_scratch 0
		.amdhsa_float_round_mode_32 0
		.amdhsa_float_round_mode_16_64 0
		.amdhsa_float_denorm_mode_32 3
		.amdhsa_float_denorm_mode_16_64 3
		.amdhsa_dx10_clamp 1
		.amdhsa_ieee_mode 1
		.amdhsa_fp16_overflow 0
		.amdhsa_tg_split 0
		.amdhsa_exception_fp_ieee_invalid_op 0
		.amdhsa_exception_fp_denorm_src 0
		.amdhsa_exception_fp_ieee_div_zero 0
		.amdhsa_exception_fp_ieee_overflow 0
		.amdhsa_exception_fp_ieee_underflow 0
		.amdhsa_exception_fp_ieee_inexact 0
		.amdhsa_exception_int_div_zero 0
	.end_amdhsa_kernel
	.section	.text._ZN7rocprim17ROCPRIM_400000_NS6detail17trampoline_kernelINS0_14default_configENS1_29reduce_by_key_config_selectorItjN6thrust23THRUST_200600_302600_NS4plusIjEEEEZZNS1_33reduce_by_key_impl_wrapped_configILNS1_25lookback_scan_determinismE0ES3_S9_NS6_6detail15normal_iteratorINS6_10device_ptrItEEEENSD_INSE_IjEEEESG_SI_PmS8_NS6_8equal_toItEEEE10hipError_tPvRmT2_T3_mT4_T5_T6_T7_T8_P12ihipStream_tbENKUlT_T0_E_clISt17integral_constantIbLb0EES13_EEDaSY_SZ_EUlSY_E_NS1_11comp_targetILNS1_3genE8ELNS1_11target_archE1030ELNS1_3gpuE2ELNS1_3repE0EEENS1_30default_config_static_selectorELNS0_4arch9wavefront6targetE1EEEvT1_,"axG",@progbits,_ZN7rocprim17ROCPRIM_400000_NS6detail17trampoline_kernelINS0_14default_configENS1_29reduce_by_key_config_selectorItjN6thrust23THRUST_200600_302600_NS4plusIjEEEEZZNS1_33reduce_by_key_impl_wrapped_configILNS1_25lookback_scan_determinismE0ES3_S9_NS6_6detail15normal_iteratorINS6_10device_ptrItEEEENSD_INSE_IjEEEESG_SI_PmS8_NS6_8equal_toItEEEE10hipError_tPvRmT2_T3_mT4_T5_T6_T7_T8_P12ihipStream_tbENKUlT_T0_E_clISt17integral_constantIbLb0EES13_EEDaSY_SZ_EUlSY_E_NS1_11comp_targetILNS1_3genE8ELNS1_11target_archE1030ELNS1_3gpuE2ELNS1_3repE0EEENS1_30default_config_static_selectorELNS0_4arch9wavefront6targetE1EEEvT1_,comdat
.Lfunc_end741:
	.size	_ZN7rocprim17ROCPRIM_400000_NS6detail17trampoline_kernelINS0_14default_configENS1_29reduce_by_key_config_selectorItjN6thrust23THRUST_200600_302600_NS4plusIjEEEEZZNS1_33reduce_by_key_impl_wrapped_configILNS1_25lookback_scan_determinismE0ES3_S9_NS6_6detail15normal_iteratorINS6_10device_ptrItEEEENSD_INSE_IjEEEESG_SI_PmS8_NS6_8equal_toItEEEE10hipError_tPvRmT2_T3_mT4_T5_T6_T7_T8_P12ihipStream_tbENKUlT_T0_E_clISt17integral_constantIbLb0EES13_EEDaSY_SZ_EUlSY_E_NS1_11comp_targetILNS1_3genE8ELNS1_11target_archE1030ELNS1_3gpuE2ELNS1_3repE0EEENS1_30default_config_static_selectorELNS0_4arch9wavefront6targetE1EEEvT1_, .Lfunc_end741-_ZN7rocprim17ROCPRIM_400000_NS6detail17trampoline_kernelINS0_14default_configENS1_29reduce_by_key_config_selectorItjN6thrust23THRUST_200600_302600_NS4plusIjEEEEZZNS1_33reduce_by_key_impl_wrapped_configILNS1_25lookback_scan_determinismE0ES3_S9_NS6_6detail15normal_iteratorINS6_10device_ptrItEEEENSD_INSE_IjEEEESG_SI_PmS8_NS6_8equal_toItEEEE10hipError_tPvRmT2_T3_mT4_T5_T6_T7_T8_P12ihipStream_tbENKUlT_T0_E_clISt17integral_constantIbLb0EES13_EEDaSY_SZ_EUlSY_E_NS1_11comp_targetILNS1_3genE8ELNS1_11target_archE1030ELNS1_3gpuE2ELNS1_3repE0EEENS1_30default_config_static_selectorELNS0_4arch9wavefront6targetE1EEEvT1_
                                        ; -- End function
	.section	.AMDGPU.csdata,"",@progbits
; Kernel info:
; codeLenInByte = 0
; NumSgprs: 4
; NumVgprs: 0
; NumAgprs: 0
; TotalNumVgprs: 0
; ScratchSize: 0
; MemoryBound: 0
; FloatMode: 240
; IeeeMode: 1
; LDSByteSize: 0 bytes/workgroup (compile time only)
; SGPRBlocks: 0
; VGPRBlocks: 0
; NumSGPRsForWavesPerEU: 4
; NumVGPRsForWavesPerEU: 1
; AccumOffset: 4
; Occupancy: 8
; WaveLimiterHint : 0
; COMPUTE_PGM_RSRC2:SCRATCH_EN: 0
; COMPUTE_PGM_RSRC2:USER_SGPR: 6
; COMPUTE_PGM_RSRC2:TRAP_HANDLER: 0
; COMPUTE_PGM_RSRC2:TGID_X_EN: 1
; COMPUTE_PGM_RSRC2:TGID_Y_EN: 0
; COMPUTE_PGM_RSRC2:TGID_Z_EN: 0
; COMPUTE_PGM_RSRC2:TIDIG_COMP_CNT: 0
; COMPUTE_PGM_RSRC3_GFX90A:ACCUM_OFFSET: 0
; COMPUTE_PGM_RSRC3_GFX90A:TG_SPLIT: 0
	.section	.text._ZN7rocprim17ROCPRIM_400000_NS6detail17trampoline_kernelINS0_14default_configENS1_29reduce_by_key_config_selectorItjN6thrust23THRUST_200600_302600_NS4plusIjEEEEZZNS1_33reduce_by_key_impl_wrapped_configILNS1_25lookback_scan_determinismE0ES3_S9_NS6_6detail15normal_iteratorINS6_10device_ptrItEEEENSD_INSE_IjEEEESG_SI_PmS8_NS6_8equal_toItEEEE10hipError_tPvRmT2_T3_mT4_T5_T6_T7_T8_P12ihipStream_tbENKUlT_T0_E_clISt17integral_constantIbLb1EES13_EEDaSY_SZ_EUlSY_E_NS1_11comp_targetILNS1_3genE0ELNS1_11target_archE4294967295ELNS1_3gpuE0ELNS1_3repE0EEENS1_30default_config_static_selectorELNS0_4arch9wavefront6targetE1EEEvT1_,"axG",@progbits,_ZN7rocprim17ROCPRIM_400000_NS6detail17trampoline_kernelINS0_14default_configENS1_29reduce_by_key_config_selectorItjN6thrust23THRUST_200600_302600_NS4plusIjEEEEZZNS1_33reduce_by_key_impl_wrapped_configILNS1_25lookback_scan_determinismE0ES3_S9_NS6_6detail15normal_iteratorINS6_10device_ptrItEEEENSD_INSE_IjEEEESG_SI_PmS8_NS6_8equal_toItEEEE10hipError_tPvRmT2_T3_mT4_T5_T6_T7_T8_P12ihipStream_tbENKUlT_T0_E_clISt17integral_constantIbLb1EES13_EEDaSY_SZ_EUlSY_E_NS1_11comp_targetILNS1_3genE0ELNS1_11target_archE4294967295ELNS1_3gpuE0ELNS1_3repE0EEENS1_30default_config_static_selectorELNS0_4arch9wavefront6targetE1EEEvT1_,comdat
	.protected	_ZN7rocprim17ROCPRIM_400000_NS6detail17trampoline_kernelINS0_14default_configENS1_29reduce_by_key_config_selectorItjN6thrust23THRUST_200600_302600_NS4plusIjEEEEZZNS1_33reduce_by_key_impl_wrapped_configILNS1_25lookback_scan_determinismE0ES3_S9_NS6_6detail15normal_iteratorINS6_10device_ptrItEEEENSD_INSE_IjEEEESG_SI_PmS8_NS6_8equal_toItEEEE10hipError_tPvRmT2_T3_mT4_T5_T6_T7_T8_P12ihipStream_tbENKUlT_T0_E_clISt17integral_constantIbLb1EES13_EEDaSY_SZ_EUlSY_E_NS1_11comp_targetILNS1_3genE0ELNS1_11target_archE4294967295ELNS1_3gpuE0ELNS1_3repE0EEENS1_30default_config_static_selectorELNS0_4arch9wavefront6targetE1EEEvT1_ ; -- Begin function _ZN7rocprim17ROCPRIM_400000_NS6detail17trampoline_kernelINS0_14default_configENS1_29reduce_by_key_config_selectorItjN6thrust23THRUST_200600_302600_NS4plusIjEEEEZZNS1_33reduce_by_key_impl_wrapped_configILNS1_25lookback_scan_determinismE0ES3_S9_NS6_6detail15normal_iteratorINS6_10device_ptrItEEEENSD_INSE_IjEEEESG_SI_PmS8_NS6_8equal_toItEEEE10hipError_tPvRmT2_T3_mT4_T5_T6_T7_T8_P12ihipStream_tbENKUlT_T0_E_clISt17integral_constantIbLb1EES13_EEDaSY_SZ_EUlSY_E_NS1_11comp_targetILNS1_3genE0ELNS1_11target_archE4294967295ELNS1_3gpuE0ELNS1_3repE0EEENS1_30default_config_static_selectorELNS0_4arch9wavefront6targetE1EEEvT1_
	.globl	_ZN7rocprim17ROCPRIM_400000_NS6detail17trampoline_kernelINS0_14default_configENS1_29reduce_by_key_config_selectorItjN6thrust23THRUST_200600_302600_NS4plusIjEEEEZZNS1_33reduce_by_key_impl_wrapped_configILNS1_25lookback_scan_determinismE0ES3_S9_NS6_6detail15normal_iteratorINS6_10device_ptrItEEEENSD_INSE_IjEEEESG_SI_PmS8_NS6_8equal_toItEEEE10hipError_tPvRmT2_T3_mT4_T5_T6_T7_T8_P12ihipStream_tbENKUlT_T0_E_clISt17integral_constantIbLb1EES13_EEDaSY_SZ_EUlSY_E_NS1_11comp_targetILNS1_3genE0ELNS1_11target_archE4294967295ELNS1_3gpuE0ELNS1_3repE0EEENS1_30default_config_static_selectorELNS0_4arch9wavefront6targetE1EEEvT1_
	.p2align	8
	.type	_ZN7rocprim17ROCPRIM_400000_NS6detail17trampoline_kernelINS0_14default_configENS1_29reduce_by_key_config_selectorItjN6thrust23THRUST_200600_302600_NS4plusIjEEEEZZNS1_33reduce_by_key_impl_wrapped_configILNS1_25lookback_scan_determinismE0ES3_S9_NS6_6detail15normal_iteratorINS6_10device_ptrItEEEENSD_INSE_IjEEEESG_SI_PmS8_NS6_8equal_toItEEEE10hipError_tPvRmT2_T3_mT4_T5_T6_T7_T8_P12ihipStream_tbENKUlT_T0_E_clISt17integral_constantIbLb1EES13_EEDaSY_SZ_EUlSY_E_NS1_11comp_targetILNS1_3genE0ELNS1_11target_archE4294967295ELNS1_3gpuE0ELNS1_3repE0EEENS1_30default_config_static_selectorELNS0_4arch9wavefront6targetE1EEEvT1_,@function
_ZN7rocprim17ROCPRIM_400000_NS6detail17trampoline_kernelINS0_14default_configENS1_29reduce_by_key_config_selectorItjN6thrust23THRUST_200600_302600_NS4plusIjEEEEZZNS1_33reduce_by_key_impl_wrapped_configILNS1_25lookback_scan_determinismE0ES3_S9_NS6_6detail15normal_iteratorINS6_10device_ptrItEEEENSD_INSE_IjEEEESG_SI_PmS8_NS6_8equal_toItEEEE10hipError_tPvRmT2_T3_mT4_T5_T6_T7_T8_P12ihipStream_tbENKUlT_T0_E_clISt17integral_constantIbLb1EES13_EEDaSY_SZ_EUlSY_E_NS1_11comp_targetILNS1_3genE0ELNS1_11target_archE4294967295ELNS1_3gpuE0ELNS1_3repE0EEENS1_30default_config_static_selectorELNS0_4arch9wavefront6targetE1EEEvT1_: ; @_ZN7rocprim17ROCPRIM_400000_NS6detail17trampoline_kernelINS0_14default_configENS1_29reduce_by_key_config_selectorItjN6thrust23THRUST_200600_302600_NS4plusIjEEEEZZNS1_33reduce_by_key_impl_wrapped_configILNS1_25lookback_scan_determinismE0ES3_S9_NS6_6detail15normal_iteratorINS6_10device_ptrItEEEENSD_INSE_IjEEEESG_SI_PmS8_NS6_8equal_toItEEEE10hipError_tPvRmT2_T3_mT4_T5_T6_T7_T8_P12ihipStream_tbENKUlT_T0_E_clISt17integral_constantIbLb1EES13_EEDaSY_SZ_EUlSY_E_NS1_11comp_targetILNS1_3genE0ELNS1_11target_archE4294967295ELNS1_3gpuE0ELNS1_3repE0EEENS1_30default_config_static_selectorELNS0_4arch9wavefront6targetE1EEEvT1_
; %bb.0:
	.section	.rodata,"a",@progbits
	.p2align	6, 0x0
	.amdhsa_kernel _ZN7rocprim17ROCPRIM_400000_NS6detail17trampoline_kernelINS0_14default_configENS1_29reduce_by_key_config_selectorItjN6thrust23THRUST_200600_302600_NS4plusIjEEEEZZNS1_33reduce_by_key_impl_wrapped_configILNS1_25lookback_scan_determinismE0ES3_S9_NS6_6detail15normal_iteratorINS6_10device_ptrItEEEENSD_INSE_IjEEEESG_SI_PmS8_NS6_8equal_toItEEEE10hipError_tPvRmT2_T3_mT4_T5_T6_T7_T8_P12ihipStream_tbENKUlT_T0_E_clISt17integral_constantIbLb1EES13_EEDaSY_SZ_EUlSY_E_NS1_11comp_targetILNS1_3genE0ELNS1_11target_archE4294967295ELNS1_3gpuE0ELNS1_3repE0EEENS1_30default_config_static_selectorELNS0_4arch9wavefront6targetE1EEEvT1_
		.amdhsa_group_segment_fixed_size 0
		.amdhsa_private_segment_fixed_size 0
		.amdhsa_kernarg_size 120
		.amdhsa_user_sgpr_count 6
		.amdhsa_user_sgpr_private_segment_buffer 1
		.amdhsa_user_sgpr_dispatch_ptr 0
		.amdhsa_user_sgpr_queue_ptr 0
		.amdhsa_user_sgpr_kernarg_segment_ptr 1
		.amdhsa_user_sgpr_dispatch_id 0
		.amdhsa_user_sgpr_flat_scratch_init 0
		.amdhsa_user_sgpr_kernarg_preload_length 0
		.amdhsa_user_sgpr_kernarg_preload_offset 0
		.amdhsa_user_sgpr_private_segment_size 0
		.amdhsa_uses_dynamic_stack 0
		.amdhsa_system_sgpr_private_segment_wavefront_offset 0
		.amdhsa_system_sgpr_workgroup_id_x 1
		.amdhsa_system_sgpr_workgroup_id_y 0
		.amdhsa_system_sgpr_workgroup_id_z 0
		.amdhsa_system_sgpr_workgroup_info 0
		.amdhsa_system_vgpr_workitem_id 0
		.amdhsa_next_free_vgpr 1
		.amdhsa_next_free_sgpr 0
		.amdhsa_accum_offset 4
		.amdhsa_reserve_vcc 0
		.amdhsa_reserve_flat_scratch 0
		.amdhsa_float_round_mode_32 0
		.amdhsa_float_round_mode_16_64 0
		.amdhsa_float_denorm_mode_32 3
		.amdhsa_float_denorm_mode_16_64 3
		.amdhsa_dx10_clamp 1
		.amdhsa_ieee_mode 1
		.amdhsa_fp16_overflow 0
		.amdhsa_tg_split 0
		.amdhsa_exception_fp_ieee_invalid_op 0
		.amdhsa_exception_fp_denorm_src 0
		.amdhsa_exception_fp_ieee_div_zero 0
		.amdhsa_exception_fp_ieee_overflow 0
		.amdhsa_exception_fp_ieee_underflow 0
		.amdhsa_exception_fp_ieee_inexact 0
		.amdhsa_exception_int_div_zero 0
	.end_amdhsa_kernel
	.section	.text._ZN7rocprim17ROCPRIM_400000_NS6detail17trampoline_kernelINS0_14default_configENS1_29reduce_by_key_config_selectorItjN6thrust23THRUST_200600_302600_NS4plusIjEEEEZZNS1_33reduce_by_key_impl_wrapped_configILNS1_25lookback_scan_determinismE0ES3_S9_NS6_6detail15normal_iteratorINS6_10device_ptrItEEEENSD_INSE_IjEEEESG_SI_PmS8_NS6_8equal_toItEEEE10hipError_tPvRmT2_T3_mT4_T5_T6_T7_T8_P12ihipStream_tbENKUlT_T0_E_clISt17integral_constantIbLb1EES13_EEDaSY_SZ_EUlSY_E_NS1_11comp_targetILNS1_3genE0ELNS1_11target_archE4294967295ELNS1_3gpuE0ELNS1_3repE0EEENS1_30default_config_static_selectorELNS0_4arch9wavefront6targetE1EEEvT1_,"axG",@progbits,_ZN7rocprim17ROCPRIM_400000_NS6detail17trampoline_kernelINS0_14default_configENS1_29reduce_by_key_config_selectorItjN6thrust23THRUST_200600_302600_NS4plusIjEEEEZZNS1_33reduce_by_key_impl_wrapped_configILNS1_25lookback_scan_determinismE0ES3_S9_NS6_6detail15normal_iteratorINS6_10device_ptrItEEEENSD_INSE_IjEEEESG_SI_PmS8_NS6_8equal_toItEEEE10hipError_tPvRmT2_T3_mT4_T5_T6_T7_T8_P12ihipStream_tbENKUlT_T0_E_clISt17integral_constantIbLb1EES13_EEDaSY_SZ_EUlSY_E_NS1_11comp_targetILNS1_3genE0ELNS1_11target_archE4294967295ELNS1_3gpuE0ELNS1_3repE0EEENS1_30default_config_static_selectorELNS0_4arch9wavefront6targetE1EEEvT1_,comdat
.Lfunc_end742:
	.size	_ZN7rocprim17ROCPRIM_400000_NS6detail17trampoline_kernelINS0_14default_configENS1_29reduce_by_key_config_selectorItjN6thrust23THRUST_200600_302600_NS4plusIjEEEEZZNS1_33reduce_by_key_impl_wrapped_configILNS1_25lookback_scan_determinismE0ES3_S9_NS6_6detail15normal_iteratorINS6_10device_ptrItEEEENSD_INSE_IjEEEESG_SI_PmS8_NS6_8equal_toItEEEE10hipError_tPvRmT2_T3_mT4_T5_T6_T7_T8_P12ihipStream_tbENKUlT_T0_E_clISt17integral_constantIbLb1EES13_EEDaSY_SZ_EUlSY_E_NS1_11comp_targetILNS1_3genE0ELNS1_11target_archE4294967295ELNS1_3gpuE0ELNS1_3repE0EEENS1_30default_config_static_selectorELNS0_4arch9wavefront6targetE1EEEvT1_, .Lfunc_end742-_ZN7rocprim17ROCPRIM_400000_NS6detail17trampoline_kernelINS0_14default_configENS1_29reduce_by_key_config_selectorItjN6thrust23THRUST_200600_302600_NS4plusIjEEEEZZNS1_33reduce_by_key_impl_wrapped_configILNS1_25lookback_scan_determinismE0ES3_S9_NS6_6detail15normal_iteratorINS6_10device_ptrItEEEENSD_INSE_IjEEEESG_SI_PmS8_NS6_8equal_toItEEEE10hipError_tPvRmT2_T3_mT4_T5_T6_T7_T8_P12ihipStream_tbENKUlT_T0_E_clISt17integral_constantIbLb1EES13_EEDaSY_SZ_EUlSY_E_NS1_11comp_targetILNS1_3genE0ELNS1_11target_archE4294967295ELNS1_3gpuE0ELNS1_3repE0EEENS1_30default_config_static_selectorELNS0_4arch9wavefront6targetE1EEEvT1_
                                        ; -- End function
	.section	.AMDGPU.csdata,"",@progbits
; Kernel info:
; codeLenInByte = 0
; NumSgprs: 4
; NumVgprs: 0
; NumAgprs: 0
; TotalNumVgprs: 0
; ScratchSize: 0
; MemoryBound: 0
; FloatMode: 240
; IeeeMode: 1
; LDSByteSize: 0 bytes/workgroup (compile time only)
; SGPRBlocks: 0
; VGPRBlocks: 0
; NumSGPRsForWavesPerEU: 4
; NumVGPRsForWavesPerEU: 1
; AccumOffset: 4
; Occupancy: 8
; WaveLimiterHint : 0
; COMPUTE_PGM_RSRC2:SCRATCH_EN: 0
; COMPUTE_PGM_RSRC2:USER_SGPR: 6
; COMPUTE_PGM_RSRC2:TRAP_HANDLER: 0
; COMPUTE_PGM_RSRC2:TGID_X_EN: 1
; COMPUTE_PGM_RSRC2:TGID_Y_EN: 0
; COMPUTE_PGM_RSRC2:TGID_Z_EN: 0
; COMPUTE_PGM_RSRC2:TIDIG_COMP_CNT: 0
; COMPUTE_PGM_RSRC3_GFX90A:ACCUM_OFFSET: 0
; COMPUTE_PGM_RSRC3_GFX90A:TG_SPLIT: 0
	.section	.text._ZN7rocprim17ROCPRIM_400000_NS6detail17trampoline_kernelINS0_14default_configENS1_29reduce_by_key_config_selectorItjN6thrust23THRUST_200600_302600_NS4plusIjEEEEZZNS1_33reduce_by_key_impl_wrapped_configILNS1_25lookback_scan_determinismE0ES3_S9_NS6_6detail15normal_iteratorINS6_10device_ptrItEEEENSD_INSE_IjEEEESG_SI_PmS8_NS6_8equal_toItEEEE10hipError_tPvRmT2_T3_mT4_T5_T6_T7_T8_P12ihipStream_tbENKUlT_T0_E_clISt17integral_constantIbLb1EES13_EEDaSY_SZ_EUlSY_E_NS1_11comp_targetILNS1_3genE5ELNS1_11target_archE942ELNS1_3gpuE9ELNS1_3repE0EEENS1_30default_config_static_selectorELNS0_4arch9wavefront6targetE1EEEvT1_,"axG",@progbits,_ZN7rocprim17ROCPRIM_400000_NS6detail17trampoline_kernelINS0_14default_configENS1_29reduce_by_key_config_selectorItjN6thrust23THRUST_200600_302600_NS4plusIjEEEEZZNS1_33reduce_by_key_impl_wrapped_configILNS1_25lookback_scan_determinismE0ES3_S9_NS6_6detail15normal_iteratorINS6_10device_ptrItEEEENSD_INSE_IjEEEESG_SI_PmS8_NS6_8equal_toItEEEE10hipError_tPvRmT2_T3_mT4_T5_T6_T7_T8_P12ihipStream_tbENKUlT_T0_E_clISt17integral_constantIbLb1EES13_EEDaSY_SZ_EUlSY_E_NS1_11comp_targetILNS1_3genE5ELNS1_11target_archE942ELNS1_3gpuE9ELNS1_3repE0EEENS1_30default_config_static_selectorELNS0_4arch9wavefront6targetE1EEEvT1_,comdat
	.protected	_ZN7rocprim17ROCPRIM_400000_NS6detail17trampoline_kernelINS0_14default_configENS1_29reduce_by_key_config_selectorItjN6thrust23THRUST_200600_302600_NS4plusIjEEEEZZNS1_33reduce_by_key_impl_wrapped_configILNS1_25lookback_scan_determinismE0ES3_S9_NS6_6detail15normal_iteratorINS6_10device_ptrItEEEENSD_INSE_IjEEEESG_SI_PmS8_NS6_8equal_toItEEEE10hipError_tPvRmT2_T3_mT4_T5_T6_T7_T8_P12ihipStream_tbENKUlT_T0_E_clISt17integral_constantIbLb1EES13_EEDaSY_SZ_EUlSY_E_NS1_11comp_targetILNS1_3genE5ELNS1_11target_archE942ELNS1_3gpuE9ELNS1_3repE0EEENS1_30default_config_static_selectorELNS0_4arch9wavefront6targetE1EEEvT1_ ; -- Begin function _ZN7rocprim17ROCPRIM_400000_NS6detail17trampoline_kernelINS0_14default_configENS1_29reduce_by_key_config_selectorItjN6thrust23THRUST_200600_302600_NS4plusIjEEEEZZNS1_33reduce_by_key_impl_wrapped_configILNS1_25lookback_scan_determinismE0ES3_S9_NS6_6detail15normal_iteratorINS6_10device_ptrItEEEENSD_INSE_IjEEEESG_SI_PmS8_NS6_8equal_toItEEEE10hipError_tPvRmT2_T3_mT4_T5_T6_T7_T8_P12ihipStream_tbENKUlT_T0_E_clISt17integral_constantIbLb1EES13_EEDaSY_SZ_EUlSY_E_NS1_11comp_targetILNS1_3genE5ELNS1_11target_archE942ELNS1_3gpuE9ELNS1_3repE0EEENS1_30default_config_static_selectorELNS0_4arch9wavefront6targetE1EEEvT1_
	.globl	_ZN7rocprim17ROCPRIM_400000_NS6detail17trampoline_kernelINS0_14default_configENS1_29reduce_by_key_config_selectorItjN6thrust23THRUST_200600_302600_NS4plusIjEEEEZZNS1_33reduce_by_key_impl_wrapped_configILNS1_25lookback_scan_determinismE0ES3_S9_NS6_6detail15normal_iteratorINS6_10device_ptrItEEEENSD_INSE_IjEEEESG_SI_PmS8_NS6_8equal_toItEEEE10hipError_tPvRmT2_T3_mT4_T5_T6_T7_T8_P12ihipStream_tbENKUlT_T0_E_clISt17integral_constantIbLb1EES13_EEDaSY_SZ_EUlSY_E_NS1_11comp_targetILNS1_3genE5ELNS1_11target_archE942ELNS1_3gpuE9ELNS1_3repE0EEENS1_30default_config_static_selectorELNS0_4arch9wavefront6targetE1EEEvT1_
	.p2align	8
	.type	_ZN7rocprim17ROCPRIM_400000_NS6detail17trampoline_kernelINS0_14default_configENS1_29reduce_by_key_config_selectorItjN6thrust23THRUST_200600_302600_NS4plusIjEEEEZZNS1_33reduce_by_key_impl_wrapped_configILNS1_25lookback_scan_determinismE0ES3_S9_NS6_6detail15normal_iteratorINS6_10device_ptrItEEEENSD_INSE_IjEEEESG_SI_PmS8_NS6_8equal_toItEEEE10hipError_tPvRmT2_T3_mT4_T5_T6_T7_T8_P12ihipStream_tbENKUlT_T0_E_clISt17integral_constantIbLb1EES13_EEDaSY_SZ_EUlSY_E_NS1_11comp_targetILNS1_3genE5ELNS1_11target_archE942ELNS1_3gpuE9ELNS1_3repE0EEENS1_30default_config_static_selectorELNS0_4arch9wavefront6targetE1EEEvT1_,@function
_ZN7rocprim17ROCPRIM_400000_NS6detail17trampoline_kernelINS0_14default_configENS1_29reduce_by_key_config_selectorItjN6thrust23THRUST_200600_302600_NS4plusIjEEEEZZNS1_33reduce_by_key_impl_wrapped_configILNS1_25lookback_scan_determinismE0ES3_S9_NS6_6detail15normal_iteratorINS6_10device_ptrItEEEENSD_INSE_IjEEEESG_SI_PmS8_NS6_8equal_toItEEEE10hipError_tPvRmT2_T3_mT4_T5_T6_T7_T8_P12ihipStream_tbENKUlT_T0_E_clISt17integral_constantIbLb1EES13_EEDaSY_SZ_EUlSY_E_NS1_11comp_targetILNS1_3genE5ELNS1_11target_archE942ELNS1_3gpuE9ELNS1_3repE0EEENS1_30default_config_static_selectorELNS0_4arch9wavefront6targetE1EEEvT1_: ; @_ZN7rocprim17ROCPRIM_400000_NS6detail17trampoline_kernelINS0_14default_configENS1_29reduce_by_key_config_selectorItjN6thrust23THRUST_200600_302600_NS4plusIjEEEEZZNS1_33reduce_by_key_impl_wrapped_configILNS1_25lookback_scan_determinismE0ES3_S9_NS6_6detail15normal_iteratorINS6_10device_ptrItEEEENSD_INSE_IjEEEESG_SI_PmS8_NS6_8equal_toItEEEE10hipError_tPvRmT2_T3_mT4_T5_T6_T7_T8_P12ihipStream_tbENKUlT_T0_E_clISt17integral_constantIbLb1EES13_EEDaSY_SZ_EUlSY_E_NS1_11comp_targetILNS1_3genE5ELNS1_11target_archE942ELNS1_3gpuE9ELNS1_3repE0EEENS1_30default_config_static_selectorELNS0_4arch9wavefront6targetE1EEEvT1_
; %bb.0:
	.section	.rodata,"a",@progbits
	.p2align	6, 0x0
	.amdhsa_kernel _ZN7rocprim17ROCPRIM_400000_NS6detail17trampoline_kernelINS0_14default_configENS1_29reduce_by_key_config_selectorItjN6thrust23THRUST_200600_302600_NS4plusIjEEEEZZNS1_33reduce_by_key_impl_wrapped_configILNS1_25lookback_scan_determinismE0ES3_S9_NS6_6detail15normal_iteratorINS6_10device_ptrItEEEENSD_INSE_IjEEEESG_SI_PmS8_NS6_8equal_toItEEEE10hipError_tPvRmT2_T3_mT4_T5_T6_T7_T8_P12ihipStream_tbENKUlT_T0_E_clISt17integral_constantIbLb1EES13_EEDaSY_SZ_EUlSY_E_NS1_11comp_targetILNS1_3genE5ELNS1_11target_archE942ELNS1_3gpuE9ELNS1_3repE0EEENS1_30default_config_static_selectorELNS0_4arch9wavefront6targetE1EEEvT1_
		.amdhsa_group_segment_fixed_size 0
		.amdhsa_private_segment_fixed_size 0
		.amdhsa_kernarg_size 120
		.amdhsa_user_sgpr_count 6
		.amdhsa_user_sgpr_private_segment_buffer 1
		.amdhsa_user_sgpr_dispatch_ptr 0
		.amdhsa_user_sgpr_queue_ptr 0
		.amdhsa_user_sgpr_kernarg_segment_ptr 1
		.amdhsa_user_sgpr_dispatch_id 0
		.amdhsa_user_sgpr_flat_scratch_init 0
		.amdhsa_user_sgpr_kernarg_preload_length 0
		.amdhsa_user_sgpr_kernarg_preload_offset 0
		.amdhsa_user_sgpr_private_segment_size 0
		.amdhsa_uses_dynamic_stack 0
		.amdhsa_system_sgpr_private_segment_wavefront_offset 0
		.amdhsa_system_sgpr_workgroup_id_x 1
		.amdhsa_system_sgpr_workgroup_id_y 0
		.amdhsa_system_sgpr_workgroup_id_z 0
		.amdhsa_system_sgpr_workgroup_info 0
		.amdhsa_system_vgpr_workitem_id 0
		.amdhsa_next_free_vgpr 1
		.amdhsa_next_free_sgpr 0
		.amdhsa_accum_offset 4
		.amdhsa_reserve_vcc 0
		.amdhsa_reserve_flat_scratch 0
		.amdhsa_float_round_mode_32 0
		.amdhsa_float_round_mode_16_64 0
		.amdhsa_float_denorm_mode_32 3
		.amdhsa_float_denorm_mode_16_64 3
		.amdhsa_dx10_clamp 1
		.amdhsa_ieee_mode 1
		.amdhsa_fp16_overflow 0
		.amdhsa_tg_split 0
		.amdhsa_exception_fp_ieee_invalid_op 0
		.amdhsa_exception_fp_denorm_src 0
		.amdhsa_exception_fp_ieee_div_zero 0
		.amdhsa_exception_fp_ieee_overflow 0
		.amdhsa_exception_fp_ieee_underflow 0
		.amdhsa_exception_fp_ieee_inexact 0
		.amdhsa_exception_int_div_zero 0
	.end_amdhsa_kernel
	.section	.text._ZN7rocprim17ROCPRIM_400000_NS6detail17trampoline_kernelINS0_14default_configENS1_29reduce_by_key_config_selectorItjN6thrust23THRUST_200600_302600_NS4plusIjEEEEZZNS1_33reduce_by_key_impl_wrapped_configILNS1_25lookback_scan_determinismE0ES3_S9_NS6_6detail15normal_iteratorINS6_10device_ptrItEEEENSD_INSE_IjEEEESG_SI_PmS8_NS6_8equal_toItEEEE10hipError_tPvRmT2_T3_mT4_T5_T6_T7_T8_P12ihipStream_tbENKUlT_T0_E_clISt17integral_constantIbLb1EES13_EEDaSY_SZ_EUlSY_E_NS1_11comp_targetILNS1_3genE5ELNS1_11target_archE942ELNS1_3gpuE9ELNS1_3repE0EEENS1_30default_config_static_selectorELNS0_4arch9wavefront6targetE1EEEvT1_,"axG",@progbits,_ZN7rocprim17ROCPRIM_400000_NS6detail17trampoline_kernelINS0_14default_configENS1_29reduce_by_key_config_selectorItjN6thrust23THRUST_200600_302600_NS4plusIjEEEEZZNS1_33reduce_by_key_impl_wrapped_configILNS1_25lookback_scan_determinismE0ES3_S9_NS6_6detail15normal_iteratorINS6_10device_ptrItEEEENSD_INSE_IjEEEESG_SI_PmS8_NS6_8equal_toItEEEE10hipError_tPvRmT2_T3_mT4_T5_T6_T7_T8_P12ihipStream_tbENKUlT_T0_E_clISt17integral_constantIbLb1EES13_EEDaSY_SZ_EUlSY_E_NS1_11comp_targetILNS1_3genE5ELNS1_11target_archE942ELNS1_3gpuE9ELNS1_3repE0EEENS1_30default_config_static_selectorELNS0_4arch9wavefront6targetE1EEEvT1_,comdat
.Lfunc_end743:
	.size	_ZN7rocprim17ROCPRIM_400000_NS6detail17trampoline_kernelINS0_14default_configENS1_29reduce_by_key_config_selectorItjN6thrust23THRUST_200600_302600_NS4plusIjEEEEZZNS1_33reduce_by_key_impl_wrapped_configILNS1_25lookback_scan_determinismE0ES3_S9_NS6_6detail15normal_iteratorINS6_10device_ptrItEEEENSD_INSE_IjEEEESG_SI_PmS8_NS6_8equal_toItEEEE10hipError_tPvRmT2_T3_mT4_T5_T6_T7_T8_P12ihipStream_tbENKUlT_T0_E_clISt17integral_constantIbLb1EES13_EEDaSY_SZ_EUlSY_E_NS1_11comp_targetILNS1_3genE5ELNS1_11target_archE942ELNS1_3gpuE9ELNS1_3repE0EEENS1_30default_config_static_selectorELNS0_4arch9wavefront6targetE1EEEvT1_, .Lfunc_end743-_ZN7rocprim17ROCPRIM_400000_NS6detail17trampoline_kernelINS0_14default_configENS1_29reduce_by_key_config_selectorItjN6thrust23THRUST_200600_302600_NS4plusIjEEEEZZNS1_33reduce_by_key_impl_wrapped_configILNS1_25lookback_scan_determinismE0ES3_S9_NS6_6detail15normal_iteratorINS6_10device_ptrItEEEENSD_INSE_IjEEEESG_SI_PmS8_NS6_8equal_toItEEEE10hipError_tPvRmT2_T3_mT4_T5_T6_T7_T8_P12ihipStream_tbENKUlT_T0_E_clISt17integral_constantIbLb1EES13_EEDaSY_SZ_EUlSY_E_NS1_11comp_targetILNS1_3genE5ELNS1_11target_archE942ELNS1_3gpuE9ELNS1_3repE0EEENS1_30default_config_static_selectorELNS0_4arch9wavefront6targetE1EEEvT1_
                                        ; -- End function
	.section	.AMDGPU.csdata,"",@progbits
; Kernel info:
; codeLenInByte = 0
; NumSgprs: 4
; NumVgprs: 0
; NumAgprs: 0
; TotalNumVgprs: 0
; ScratchSize: 0
; MemoryBound: 0
; FloatMode: 240
; IeeeMode: 1
; LDSByteSize: 0 bytes/workgroup (compile time only)
; SGPRBlocks: 0
; VGPRBlocks: 0
; NumSGPRsForWavesPerEU: 4
; NumVGPRsForWavesPerEU: 1
; AccumOffset: 4
; Occupancy: 8
; WaveLimiterHint : 0
; COMPUTE_PGM_RSRC2:SCRATCH_EN: 0
; COMPUTE_PGM_RSRC2:USER_SGPR: 6
; COMPUTE_PGM_RSRC2:TRAP_HANDLER: 0
; COMPUTE_PGM_RSRC2:TGID_X_EN: 1
; COMPUTE_PGM_RSRC2:TGID_Y_EN: 0
; COMPUTE_PGM_RSRC2:TGID_Z_EN: 0
; COMPUTE_PGM_RSRC2:TIDIG_COMP_CNT: 0
; COMPUTE_PGM_RSRC3_GFX90A:ACCUM_OFFSET: 0
; COMPUTE_PGM_RSRC3_GFX90A:TG_SPLIT: 0
	.section	.text._ZN7rocprim17ROCPRIM_400000_NS6detail17trampoline_kernelINS0_14default_configENS1_29reduce_by_key_config_selectorItjN6thrust23THRUST_200600_302600_NS4plusIjEEEEZZNS1_33reduce_by_key_impl_wrapped_configILNS1_25lookback_scan_determinismE0ES3_S9_NS6_6detail15normal_iteratorINS6_10device_ptrItEEEENSD_INSE_IjEEEESG_SI_PmS8_NS6_8equal_toItEEEE10hipError_tPvRmT2_T3_mT4_T5_T6_T7_T8_P12ihipStream_tbENKUlT_T0_E_clISt17integral_constantIbLb1EES13_EEDaSY_SZ_EUlSY_E_NS1_11comp_targetILNS1_3genE4ELNS1_11target_archE910ELNS1_3gpuE8ELNS1_3repE0EEENS1_30default_config_static_selectorELNS0_4arch9wavefront6targetE1EEEvT1_,"axG",@progbits,_ZN7rocprim17ROCPRIM_400000_NS6detail17trampoline_kernelINS0_14default_configENS1_29reduce_by_key_config_selectorItjN6thrust23THRUST_200600_302600_NS4plusIjEEEEZZNS1_33reduce_by_key_impl_wrapped_configILNS1_25lookback_scan_determinismE0ES3_S9_NS6_6detail15normal_iteratorINS6_10device_ptrItEEEENSD_INSE_IjEEEESG_SI_PmS8_NS6_8equal_toItEEEE10hipError_tPvRmT2_T3_mT4_T5_T6_T7_T8_P12ihipStream_tbENKUlT_T0_E_clISt17integral_constantIbLb1EES13_EEDaSY_SZ_EUlSY_E_NS1_11comp_targetILNS1_3genE4ELNS1_11target_archE910ELNS1_3gpuE8ELNS1_3repE0EEENS1_30default_config_static_selectorELNS0_4arch9wavefront6targetE1EEEvT1_,comdat
	.protected	_ZN7rocprim17ROCPRIM_400000_NS6detail17trampoline_kernelINS0_14default_configENS1_29reduce_by_key_config_selectorItjN6thrust23THRUST_200600_302600_NS4plusIjEEEEZZNS1_33reduce_by_key_impl_wrapped_configILNS1_25lookback_scan_determinismE0ES3_S9_NS6_6detail15normal_iteratorINS6_10device_ptrItEEEENSD_INSE_IjEEEESG_SI_PmS8_NS6_8equal_toItEEEE10hipError_tPvRmT2_T3_mT4_T5_T6_T7_T8_P12ihipStream_tbENKUlT_T0_E_clISt17integral_constantIbLb1EES13_EEDaSY_SZ_EUlSY_E_NS1_11comp_targetILNS1_3genE4ELNS1_11target_archE910ELNS1_3gpuE8ELNS1_3repE0EEENS1_30default_config_static_selectorELNS0_4arch9wavefront6targetE1EEEvT1_ ; -- Begin function _ZN7rocprim17ROCPRIM_400000_NS6detail17trampoline_kernelINS0_14default_configENS1_29reduce_by_key_config_selectorItjN6thrust23THRUST_200600_302600_NS4plusIjEEEEZZNS1_33reduce_by_key_impl_wrapped_configILNS1_25lookback_scan_determinismE0ES3_S9_NS6_6detail15normal_iteratorINS6_10device_ptrItEEEENSD_INSE_IjEEEESG_SI_PmS8_NS6_8equal_toItEEEE10hipError_tPvRmT2_T3_mT4_T5_T6_T7_T8_P12ihipStream_tbENKUlT_T0_E_clISt17integral_constantIbLb1EES13_EEDaSY_SZ_EUlSY_E_NS1_11comp_targetILNS1_3genE4ELNS1_11target_archE910ELNS1_3gpuE8ELNS1_3repE0EEENS1_30default_config_static_selectorELNS0_4arch9wavefront6targetE1EEEvT1_
	.globl	_ZN7rocprim17ROCPRIM_400000_NS6detail17trampoline_kernelINS0_14default_configENS1_29reduce_by_key_config_selectorItjN6thrust23THRUST_200600_302600_NS4plusIjEEEEZZNS1_33reduce_by_key_impl_wrapped_configILNS1_25lookback_scan_determinismE0ES3_S9_NS6_6detail15normal_iteratorINS6_10device_ptrItEEEENSD_INSE_IjEEEESG_SI_PmS8_NS6_8equal_toItEEEE10hipError_tPvRmT2_T3_mT4_T5_T6_T7_T8_P12ihipStream_tbENKUlT_T0_E_clISt17integral_constantIbLb1EES13_EEDaSY_SZ_EUlSY_E_NS1_11comp_targetILNS1_3genE4ELNS1_11target_archE910ELNS1_3gpuE8ELNS1_3repE0EEENS1_30default_config_static_selectorELNS0_4arch9wavefront6targetE1EEEvT1_
	.p2align	8
	.type	_ZN7rocprim17ROCPRIM_400000_NS6detail17trampoline_kernelINS0_14default_configENS1_29reduce_by_key_config_selectorItjN6thrust23THRUST_200600_302600_NS4plusIjEEEEZZNS1_33reduce_by_key_impl_wrapped_configILNS1_25lookback_scan_determinismE0ES3_S9_NS6_6detail15normal_iteratorINS6_10device_ptrItEEEENSD_INSE_IjEEEESG_SI_PmS8_NS6_8equal_toItEEEE10hipError_tPvRmT2_T3_mT4_T5_T6_T7_T8_P12ihipStream_tbENKUlT_T0_E_clISt17integral_constantIbLb1EES13_EEDaSY_SZ_EUlSY_E_NS1_11comp_targetILNS1_3genE4ELNS1_11target_archE910ELNS1_3gpuE8ELNS1_3repE0EEENS1_30default_config_static_selectorELNS0_4arch9wavefront6targetE1EEEvT1_,@function
_ZN7rocprim17ROCPRIM_400000_NS6detail17trampoline_kernelINS0_14default_configENS1_29reduce_by_key_config_selectorItjN6thrust23THRUST_200600_302600_NS4plusIjEEEEZZNS1_33reduce_by_key_impl_wrapped_configILNS1_25lookback_scan_determinismE0ES3_S9_NS6_6detail15normal_iteratorINS6_10device_ptrItEEEENSD_INSE_IjEEEESG_SI_PmS8_NS6_8equal_toItEEEE10hipError_tPvRmT2_T3_mT4_T5_T6_T7_T8_P12ihipStream_tbENKUlT_T0_E_clISt17integral_constantIbLb1EES13_EEDaSY_SZ_EUlSY_E_NS1_11comp_targetILNS1_3genE4ELNS1_11target_archE910ELNS1_3gpuE8ELNS1_3repE0EEENS1_30default_config_static_selectorELNS0_4arch9wavefront6targetE1EEEvT1_: ; @_ZN7rocprim17ROCPRIM_400000_NS6detail17trampoline_kernelINS0_14default_configENS1_29reduce_by_key_config_selectorItjN6thrust23THRUST_200600_302600_NS4plusIjEEEEZZNS1_33reduce_by_key_impl_wrapped_configILNS1_25lookback_scan_determinismE0ES3_S9_NS6_6detail15normal_iteratorINS6_10device_ptrItEEEENSD_INSE_IjEEEESG_SI_PmS8_NS6_8equal_toItEEEE10hipError_tPvRmT2_T3_mT4_T5_T6_T7_T8_P12ihipStream_tbENKUlT_T0_E_clISt17integral_constantIbLb1EES13_EEDaSY_SZ_EUlSY_E_NS1_11comp_targetILNS1_3genE4ELNS1_11target_archE910ELNS1_3gpuE8ELNS1_3repE0EEENS1_30default_config_static_selectorELNS0_4arch9wavefront6targetE1EEEvT1_
; %bb.0:
	s_load_dwordx8 s[36:43], s[4:5], 0x0
	s_load_dwordx4 s[52:55], s[4:5], 0x20
	s_load_dwordx8 s[44:51], s[4:5], 0x38
	s_load_dwordx2 s[60:61], s[4:5], 0x68
	s_load_dwordx4 s[56:59], s[4:5], 0x58
	v_cmp_ne_u32_e64 s[2:3], 0, v0
	v_cmp_eq_u32_e64 s[0:1], 0, v0
	s_and_saveexec_b64 s[6:7], s[0:1]
	s_cbranch_execz .LBB744_4
; %bb.1:
	s_mov_b64 s[10:11], exec
	v_mbcnt_lo_u32_b32 v1, s10, 0
	v_mbcnt_hi_u32_b32 v1, s11, v1
	v_cmp_eq_u32_e32 vcc, 0, v1
                                        ; implicit-def: $vgpr2
	s_and_saveexec_b64 s[8:9], vcc
	s_cbranch_execz .LBB744_3
; %bb.2:
	s_load_dwordx2 s[4:5], s[4:5], 0x70
	s_bcnt1_i32_b64 s10, s[10:11]
	v_mov_b32_e32 v2, 0
	v_mov_b32_e32 v3, s10
	s_waitcnt lgkmcnt(0)
	global_atomic_add v2, v2, v3, s[4:5] glc
.LBB744_3:
	s_or_b64 exec, exec, s[8:9]
	s_waitcnt vmcnt(0)
	v_readfirstlane_b32 s4, v2
	v_add_u32_e32 v1, s4, v1
	v_mov_b32_e32 v2, 0
	ds_write_b32 v2, v1
.LBB744_4:
	s_or_b64 exec, exec, s[6:7]
	v_mov_b32_e32 v3, 0
	s_waitcnt lgkmcnt(0)
	s_lshl_b64 s[4:5], s[38:39], 1
	s_barrier
	ds_read_b32 v1, v3
	s_add_u32 s6, s36, s4
	s_addc_u32 s7, s37, s5
	s_lshl_b64 s[4:5], s[38:39], 2
	s_add_u32 s4, s40, s4
	s_mul_i32 s8, s48, s47
	s_mul_hi_u32 s9, s48, s46
	s_addc_u32 s5, s41, s5
	s_add_i32 s8, s9, s8
	s_mul_i32 s9, s49, s46
	s_add_i32 s8, s8, s9
	s_mul_i32 s9, s48, s46
	s_waitcnt lgkmcnt(0)
	v_readfirstlane_b32 s62, v1
	s_movk_i32 s10, 0xf00
	v_mul_lo_u32 v2, v1, s10
	s_add_u32 s40, s9, s62
	v_lshlrev_b64 v[4:5], 1, v[2:3]
	s_addc_u32 s41, s8, 0
	v_mov_b32_e32 v1, s7
	v_add_co_u32_e32 v6, vcc, s6, v4
	s_add_u32 s6, s50, -1
	v_addc_co_u32_e32 v7, vcc, v1, v5, vcc
	v_lshlrev_b64 v[2:3], 2, v[2:3]
	s_addc_u32 s7, s51, -1
	v_mov_b32_e32 v1, s5
	v_add_co_u32_e32 v8, vcc, s4, v2
	s_cmp_eq_u64 s[40:41], s[6:7]
	v_addc_co_u32_e32 v9, vcc, v1, v3, vcc
	s_cselect_b64 s[36:37], -1, 0
	s_cmp_lg_u64 s[40:41], s[6:7]
	s_mov_b64 s[4:5], -1
	s_cselect_b64 s[48:49], -1, 0
	s_mul_i32 s33, s6, 0xfffff100
	s_and_b64 vcc, exec, s[36:37]
	s_barrier
	s_cbranch_vccnz .LBB744_6
; %bb.5:
	v_lshlrev_b32_e32 v1, 1, v0
	v_add_co_u32_e32 v2, vcc, v6, v1
	v_addc_co_u32_e32 v3, vcc, 0, v7, vcc
	flat_load_ushort v4, v[2:3]
	flat_load_ushort v5, v[2:3] offset:512
	flat_load_ushort v12, v[2:3] offset:1024
	;; [unrolled: 1-line block ×7, first 2 shown]
	v_add_co_u32_e32 v2, vcc, 0x1000, v2
	v_addc_co_u32_e32 v3, vcc, 0, v3, vcc
	flat_load_ushort v24, v[2:3]
	flat_load_ushort v25, v[2:3] offset:512
	flat_load_ushort v26, v[2:3] offset:1024
	flat_load_ushort v27, v[2:3] offset:1536
	flat_load_ushort v28, v[2:3] offset:2048
	flat_load_ushort v29, v[2:3] offset:2560
	flat_load_ushort v30, v[2:3] offset:3072
	v_lshlrev_b32_e32 v2, 2, v0
	v_add_co_u32_e32 v10, vcc, v8, v2
	s_movk_i32 s4, 0x1000
	v_addc_co_u32_e32 v11, vcc, 0, v9, vcc
	v_add_co_u32_e32 v16, vcc, s4, v10
	s_movk_i32 s5, 0x2000
	v_addc_co_u32_e32 v17, vcc, 0, v11, vcc
	;; [unrolled: 3-line block ×3, first 2 shown]
	v_mad_u32_u24 v31, v0, 28, v1
	v_add_co_u32_e32 v20, vcc, s6, v10
	v_addc_co_u32_e32 v21, vcc, 0, v11, vcc
	s_movk_i32 s4, 0xffe6
	v_mad_u32_u24 v35, v0, 15, 3
	v_mad_u32_u24 v34, v0, 15, 5
	v_mad_u32_u24 v32, v0, 15, 7
	v_mad_u32_u24 v33, v0, 15, 11
	s_waitcnt vmcnt(0) lgkmcnt(0)
	ds_write_b16 v1, v4
	ds_write_b16 v1, v5 offset:512
	ds_write_b16 v1, v12 offset:1024
	;; [unrolled: 1-line block ×14, first 2 shown]
	s_waitcnt lgkmcnt(0)
	s_barrier
	ds_read_u16 v1, v31
	ds_read_b128 v[2:5], v31 offset:2
	ds_read_b96 v[12:14], v31 offset:18
	s_waitcnt lgkmcnt(0)
	s_barrier
	flat_load_dword v22, v[10:11]
	flat_load_dword v23, v[10:11] offset:1024
	flat_load_dword v24, v[10:11] offset:2048
	flat_load_dword v25, v[10:11] offset:3072
	flat_load_dword v26, v[16:17]
	flat_load_dword v27, v[16:17] offset:1024
	flat_load_dword v28, v[16:17] offset:2048
	flat_load_dword v29, v[16:17] offset:3072
	;; [unrolled: 4-line block ×3, first 2 shown]
	flat_load_dword v39, v[20:21]
	flat_load_dword v40, v[20:21] offset:1024
	flat_load_dword v41, v[20:21] offset:2048
	v_mul_u32_u24_e32 v11, 15, v0
	v_mad_u32_u24 v20, v0, 15, 1
	v_mad_u32_u24 v15, v0, 15, 9
	;; [unrolled: 1-line block ×3, first 2 shown]
	v_mad_i32_i24 v10, v0, s4, v31
	s_waitcnt vmcnt(0) lgkmcnt(0)
	ds_write2st64_b32 v10, v22, v23 offset1:4
	ds_write2st64_b32 v10, v24, v25 offset0:8 offset1:12
	ds_write2st64_b32 v10, v26, v27 offset0:16 offset1:20
	;; [unrolled: 1-line block ×6, first 2 shown]
	ds_write_b32 v10, v41 offset:14336
	s_waitcnt lgkmcnt(0)
	s_barrier
	s_add_i32 s33, s33, s56
	s_cbranch_execz .LBB744_7
	s_branch .LBB744_68
.LBB744_6:
                                        ; implicit-def: $vgpr2
                                        ; implicit-def: $vgpr12
                                        ; implicit-def: $vgpr21
                                        ; implicit-def: $vgpr33
                                        ; implicit-def: $vgpr15
                                        ; implicit-def: $vgpr32
                                        ; implicit-def: $vgpr34
                                        ; implicit-def: $vgpr35
                                        ; implicit-def: $vgpr20
                                        ; implicit-def: $vgpr11
                                        ; implicit-def: $vgpr1
	s_andn2_b64 vcc, exec, s[4:5]
	s_add_i32 s33, s33, s56
	s_cbranch_vccnz .LBB744_68
.LBB744_7:
	v_cmp_gt_u32_e32 vcc, s33, v0
                                        ; implicit-def: $vgpr1
	s_and_saveexec_b64 s[6:7], vcc
	s_cbranch_execz .LBB744_9
; %bb.8:
	v_lshlrev_b32_e32 v1, 1, v0
	v_add_co_u32_e64 v2, s[4:5], v6, v1
	v_addc_co_u32_e64 v3, s[4:5], 0, v7, s[4:5]
	flat_load_ushort v1, v[2:3]
.LBB744_9:
	s_or_b64 exec, exec, s[6:7]
	v_or_b32_e32 v2, 0x100, v0
	v_cmp_gt_u32_e64 s[4:5], s33, v2
                                        ; implicit-def: $vgpr2
	s_and_saveexec_b64 s[8:9], s[4:5]
	s_cbranch_execz .LBB744_11
; %bb.10:
	v_lshlrev_b32_e32 v2, 1, v0
	v_add_co_u32_e64 v2, s[6:7], v6, v2
	v_addc_co_u32_e64 v3, s[6:7], 0, v7, s[6:7]
	flat_load_ushort v2, v[2:3] offset:512
.LBB744_11:
	s_or_b64 exec, exec, s[8:9]
	v_or_b32_e32 v3, 0x200, v0
	v_cmp_gt_u32_e64 s[6:7], s33, v3
                                        ; implicit-def: $vgpr3
	s_and_saveexec_b64 s[10:11], s[6:7]
	s_cbranch_execz .LBB744_13
; %bb.12:
	v_lshlrev_b32_e32 v3, 1, v0
	v_add_co_u32_e64 v4, s[8:9], v6, v3
	v_addc_co_u32_e64 v5, s[8:9], 0, v7, s[8:9]
	flat_load_ushort v3, v[4:5] offset:1024
.LBB744_13:
	s_or_b64 exec, exec, s[10:11]
	v_or_b32_e32 v4, 0x300, v0
	v_cmp_gt_u32_e64 s[8:9], s33, v4
                                        ; implicit-def: $vgpr4
	s_and_saveexec_b64 s[12:13], s[8:9]
	s_cbranch_execz .LBB744_15
; %bb.14:
	v_lshlrev_b32_e32 v4, 1, v0
	v_add_co_u32_e64 v4, s[10:11], v6, v4
	v_addc_co_u32_e64 v5, s[10:11], 0, v7, s[10:11]
	flat_load_ushort v4, v[4:5] offset:1536
.LBB744_15:
	s_or_b64 exec, exec, s[12:13]
	v_or_b32_e32 v10, 0x400, v0
	v_cmp_gt_u32_e64 s[10:11], s33, v10
                                        ; implicit-def: $vgpr5
	s_and_saveexec_b64 s[14:15], s[10:11]
	s_cbranch_execz .LBB744_17
; %bb.16:
	v_lshlrev_b32_e32 v5, 1, v0
	v_add_co_u32_e64 v12, s[12:13], v6, v5
	v_addc_co_u32_e64 v13, s[12:13], 0, v7, s[12:13]
	flat_load_ushort v5, v[12:13] offset:2048
.LBB744_17:
	s_or_b64 exec, exec, s[14:15]
	v_or_b32_e32 v11, 0x500, v0
	v_cmp_gt_u32_e64 s[12:13], s33, v11
                                        ; implicit-def: $vgpr12
	s_and_saveexec_b64 s[16:17], s[12:13]
	s_cbranch_execz .LBB744_19
; %bb.18:
	v_lshlrev_b32_e32 v12, 1, v0
	v_add_co_u32_e64 v12, s[14:15], v6, v12
	v_addc_co_u32_e64 v13, s[14:15], 0, v7, s[14:15]
	flat_load_ushort v12, v[12:13] offset:2560
.LBB744_19:
	s_or_b64 exec, exec, s[16:17]
	v_or_b32_e32 v15, 0x600, v0
	v_cmp_gt_u32_e64 s[14:15], s33, v15
                                        ; implicit-def: $vgpr13
	s_and_saveexec_b64 s[18:19], s[14:15]
	s_cbranch_execz .LBB744_21
; %bb.20:
	v_lshlrev_b32_e32 v13, 1, v0
	v_add_co_u32_e64 v16, s[16:17], v6, v13
	v_addc_co_u32_e64 v17, s[16:17], 0, v7, s[16:17]
	flat_load_ushort v13, v[16:17] offset:3072
.LBB744_21:
	s_or_b64 exec, exec, s[18:19]
	v_or_b32_e32 v16, 0x700, v0
	v_cmp_gt_u32_e64 s[16:17], s33, v16
                                        ; implicit-def: $vgpr14
	s_and_saveexec_b64 s[20:21], s[16:17]
	s_cbranch_execz .LBB744_23
; %bb.22:
	v_lshlrev_b32_e32 v14, 1, v0
	v_add_co_u32_e64 v18, s[18:19], v6, v14
	v_addc_co_u32_e64 v19, s[18:19], 0, v7, s[18:19]
	flat_load_ushort v14, v[18:19] offset:3584
.LBB744_23:
	s_or_b64 exec, exec, s[20:21]
	v_or_b32_e32 v17, 0x800, v0
	v_cmp_gt_u32_e64 s[18:19], s33, v17
                                        ; implicit-def: $vgpr24
	s_and_saveexec_b64 s[22:23], s[18:19]
	s_cbranch_execz .LBB744_25
; %bb.24:
	v_lshlrev_b32_e32 v18, 1, v17
	v_add_co_u32_e64 v18, s[20:21], v6, v18
	v_addc_co_u32_e64 v19, s[20:21], 0, v7, s[20:21]
	flat_load_ushort v24, v[18:19]
.LBB744_25:
	s_or_b64 exec, exec, s[22:23]
	v_or_b32_e32 v18, 0x900, v0
	v_cmp_gt_u32_e64 s[20:21], s33, v18
                                        ; implicit-def: $vgpr25
	s_and_saveexec_b64 s[24:25], s[20:21]
	s_cbranch_execz .LBB744_27
; %bb.26:
	v_lshlrev_b32_e32 v19, 1, v18
	v_add_co_u32_e64 v20, s[22:23], v6, v19
	v_addc_co_u32_e64 v21, s[22:23], 0, v7, s[22:23]
	flat_load_ushort v25, v[20:21]
.LBB744_27:
	s_or_b64 exec, exec, s[24:25]
	v_or_b32_e32 v19, 0xa00, v0
	v_cmp_gt_u32_e64 s[22:23], s33, v19
                                        ; implicit-def: $vgpr26
	s_and_saveexec_b64 s[26:27], s[22:23]
	s_cbranch_execz .LBB744_29
; %bb.28:
	v_lshlrev_b32_e32 v20, 1, v19
	v_add_co_u32_e64 v20, s[24:25], v6, v20
	v_addc_co_u32_e64 v21, s[24:25], 0, v7, s[24:25]
	flat_load_ushort v26, v[20:21]
.LBB744_29:
	s_or_b64 exec, exec, s[26:27]
	v_or_b32_e32 v20, 0xb00, v0
	v_cmp_gt_u32_e64 s[24:25], s33, v20
                                        ; implicit-def: $vgpr27
	s_and_saveexec_b64 s[28:29], s[24:25]
	s_cbranch_execz .LBB744_31
; %bb.30:
	v_lshlrev_b32_e32 v21, 1, v20
	v_add_co_u32_e64 v22, s[26:27], v6, v21
	v_addc_co_u32_e64 v23, s[26:27], 0, v7, s[26:27]
	flat_load_ushort v27, v[22:23]
.LBB744_31:
	s_or_b64 exec, exec, s[28:29]
	v_or_b32_e32 v21, 0xc00, v0
	v_cmp_gt_u32_e64 s[26:27], s33, v21
                                        ; implicit-def: $vgpr28
	s_and_saveexec_b64 s[30:31], s[26:27]
	s_cbranch_execz .LBB744_33
; %bb.32:
	v_lshlrev_b32_e32 v22, 1, v21
	v_add_co_u32_e64 v22, s[28:29], v6, v22
	v_addc_co_u32_e64 v23, s[28:29], 0, v7, s[28:29]
	flat_load_ushort v28, v[22:23]
.LBB744_33:
	s_or_b64 exec, exec, s[30:31]
	v_or_b32_e32 v22, 0xd00, v0
	v_cmp_gt_u32_e64 s[28:29], s33, v22
                                        ; implicit-def: $vgpr29
	s_and_saveexec_b64 s[34:35], s[28:29]
	s_cbranch_execz .LBB744_35
; %bb.34:
	v_lshlrev_b32_e32 v23, 1, v22
	v_add_co_u32_e64 v30, s[30:31], v6, v23
	v_addc_co_u32_e64 v31, s[30:31], 0, v7, s[30:31]
	flat_load_ushort v29, v[30:31]
.LBB744_35:
	s_or_b64 exec, exec, s[34:35]
	v_or_b32_e32 v23, 0xe00, v0
	v_cmp_gt_u32_e64 s[30:31], s33, v23
                                        ; implicit-def: $vgpr30
	s_and_saveexec_b64 s[38:39], s[30:31]
	s_cbranch_execz .LBB744_37
; %bb.36:
	v_lshlrev_b32_e32 v30, 1, v23
	v_add_co_u32_e64 v30, s[34:35], v6, v30
	v_addc_co_u32_e64 v31, s[34:35], 0, v7, s[34:35]
	flat_load_ushort v30, v[30:31]
.LBB744_37:
	s_or_b64 exec, exec, s[38:39]
	v_lshlrev_b32_e32 v31, 1, v0
	s_waitcnt vmcnt(0) lgkmcnt(0)
	ds_write_b16 v31, v1
	ds_write_b16 v31, v2 offset:512
	ds_write_b16 v31, v3 offset:1024
	;; [unrolled: 1-line block ×14, first 2 shown]
	v_mad_u32_u24 v24, v0, 28, v31
	s_waitcnt lgkmcnt(0)
	s_barrier
	ds_read_u16 v1, v24
	ds_read_b128 v[2:5], v24 offset:2
	ds_read_b96 v[12:14], v24 offset:18
	s_waitcnt lgkmcnt(0)
	s_barrier
	s_waitcnt lgkmcnt(0)
                                        ; implicit-def: $vgpr25
	s_and_saveexec_b64 s[34:35], vcc
	s_cbranch_execz .LBB744_51
; %bb.38:
	v_lshlrev_b32_e32 v25, 2, v0
	v_add_co_u32_e32 v26, vcc, v8, v25
	v_addc_co_u32_e32 v27, vcc, 0, v9, vcc
	flat_load_dword v25, v[26:27]
	s_or_b64 exec, exec, s[34:35]
                                        ; implicit-def: $vgpr26
	s_and_saveexec_b64 s[34:35], s[4:5]
	s_cbranch_execnz .LBB744_52
.LBB744_39:
	s_or_b64 exec, exec, s[34:35]
                                        ; implicit-def: $vgpr27
	s_and_saveexec_b64 s[4:5], s[6:7]
	s_cbranch_execz .LBB744_53
.LBB744_40:
	v_lshlrev_b32_e32 v27, 2, v0
	v_add_co_u32_e32 v28, vcc, v8, v27
	v_addc_co_u32_e32 v29, vcc, 0, v9, vcc
	flat_load_dword v27, v[28:29] offset:2048
	s_or_b64 exec, exec, s[4:5]
                                        ; implicit-def: $vgpr28
	s_and_saveexec_b64 s[4:5], s[8:9]
	s_cbranch_execnz .LBB744_54
.LBB744_41:
	s_or_b64 exec, exec, s[4:5]
                                        ; implicit-def: $vgpr29
	s_and_saveexec_b64 s[4:5], s[10:11]
	s_cbranch_execz .LBB744_55
.LBB744_42:
	v_lshlrev_b32_e32 v10, 2, v10
	v_add_co_u32_e32 v30, vcc, v8, v10
	v_addc_co_u32_e32 v31, vcc, 0, v9, vcc
	flat_load_dword v29, v[30:31]
	s_or_b64 exec, exec, s[4:5]
                                        ; implicit-def: $vgpr10
	s_and_saveexec_b64 s[4:5], s[12:13]
	s_cbranch_execnz .LBB744_56
.LBB744_43:
	s_or_b64 exec, exec, s[4:5]
                                        ; implicit-def: $vgpr30
	s_and_saveexec_b64 s[4:5], s[14:15]
	s_cbranch_execz .LBB744_57
.LBB744_44:
	v_lshlrev_b32_e32 v11, 2, v15
	v_add_co_u32_e32 v30, vcc, v8, v11
	v_addc_co_u32_e32 v31, vcc, 0, v9, vcc
	flat_load_dword v30, v[30:31]
	s_or_b64 exec, exec, s[4:5]
                                        ; implicit-def: $vgpr31
	s_and_saveexec_b64 s[4:5], s[16:17]
	s_cbranch_execnz .LBB744_58
.LBB744_45:
	s_or_b64 exec, exec, s[4:5]
                                        ; implicit-def: $vgpr16
	s_and_saveexec_b64 s[4:5], s[18:19]
	s_cbranch_execz .LBB744_59
.LBB744_46:
	v_lshlrev_b32_e32 v11, 2, v17
	v_add_co_u32_e32 v16, vcc, v8, v11
	v_addc_co_u32_e32 v17, vcc, 0, v9, vcc
	flat_load_dword v16, v[16:17]
	s_or_b64 exec, exec, s[4:5]
                                        ; implicit-def: $vgpr17
	s_and_saveexec_b64 s[4:5], s[20:21]
	s_cbranch_execnz .LBB744_60
.LBB744_47:
	s_or_b64 exec, exec, s[4:5]
                                        ; implicit-def: $vgpr18
	s_and_saveexec_b64 s[4:5], s[22:23]
	s_cbranch_execz .LBB744_61
.LBB744_48:
	v_lshlrev_b32_e32 v11, 2, v19
	v_add_co_u32_e32 v18, vcc, v8, v11
	v_addc_co_u32_e32 v19, vcc, 0, v9, vcc
	flat_load_dword v18, v[18:19]
	s_or_b64 exec, exec, s[4:5]
                                        ; implicit-def: $vgpr19
	s_and_saveexec_b64 s[4:5], s[24:25]
	s_cbranch_execnz .LBB744_62
.LBB744_49:
	s_or_b64 exec, exec, s[4:5]
                                        ; implicit-def: $vgpr36
	s_and_saveexec_b64 s[4:5], s[26:27]
	s_cbranch_execz .LBB744_63
.LBB744_50:
	v_lshlrev_b32_e32 v11, 2, v21
	v_add_co_u32_e32 v20, vcc, v8, v11
	v_addc_co_u32_e32 v21, vcc, 0, v9, vcc
	flat_load_dword v36, v[20:21]
	s_or_b64 exec, exec, s[4:5]
                                        ; implicit-def: $vgpr37
	s_and_saveexec_b64 s[4:5], s[28:29]
	s_cbranch_execz .LBB744_65
	s_branch .LBB744_64
.LBB744_51:
	s_or_b64 exec, exec, s[34:35]
                                        ; implicit-def: $vgpr26
	s_and_saveexec_b64 s[34:35], s[4:5]
	s_cbranch_execz .LBB744_39
.LBB744_52:
	v_lshlrev_b32_e32 v26, 2, v0
	v_add_co_u32_e32 v26, vcc, v8, v26
	v_addc_co_u32_e32 v27, vcc, 0, v9, vcc
	flat_load_dword v26, v[26:27] offset:1024
	s_or_b64 exec, exec, s[34:35]
                                        ; implicit-def: $vgpr27
	s_and_saveexec_b64 s[4:5], s[6:7]
	s_cbranch_execnz .LBB744_40
.LBB744_53:
	s_or_b64 exec, exec, s[4:5]
                                        ; implicit-def: $vgpr28
	s_and_saveexec_b64 s[4:5], s[8:9]
	s_cbranch_execz .LBB744_41
.LBB744_54:
	v_lshlrev_b32_e32 v28, 2, v0
	v_add_co_u32_e32 v28, vcc, v8, v28
	v_addc_co_u32_e32 v29, vcc, 0, v9, vcc
	flat_load_dword v28, v[28:29] offset:3072
	s_or_b64 exec, exec, s[4:5]
                                        ; implicit-def: $vgpr29
	s_and_saveexec_b64 s[4:5], s[10:11]
	s_cbranch_execnz .LBB744_42
.LBB744_55:
	s_or_b64 exec, exec, s[4:5]
                                        ; implicit-def: $vgpr10
	s_and_saveexec_b64 s[4:5], s[12:13]
	s_cbranch_execz .LBB744_43
.LBB744_56:
	v_lshlrev_b32_e32 v10, 2, v11
	v_add_co_u32_e32 v10, vcc, v8, v10
	v_addc_co_u32_e32 v11, vcc, 0, v9, vcc
	flat_load_dword v10, v[10:11]
	s_or_b64 exec, exec, s[4:5]
                                        ; implicit-def: $vgpr30
	s_and_saveexec_b64 s[4:5], s[14:15]
	s_cbranch_execnz .LBB744_44
.LBB744_57:
	s_or_b64 exec, exec, s[4:5]
                                        ; implicit-def: $vgpr31
	s_and_saveexec_b64 s[4:5], s[16:17]
	s_cbranch_execz .LBB744_45
.LBB744_58:
	v_lshlrev_b32_e32 v11, 2, v16
	v_add_co_u32_e32 v32, vcc, v8, v11
	v_addc_co_u32_e32 v33, vcc, 0, v9, vcc
	flat_load_dword v31, v[32:33]
	s_or_b64 exec, exec, s[4:5]
                                        ; implicit-def: $vgpr16
	s_and_saveexec_b64 s[4:5], s[18:19]
	s_cbranch_execnz .LBB744_46
.LBB744_59:
	s_or_b64 exec, exec, s[4:5]
                                        ; implicit-def: $vgpr17
	s_and_saveexec_b64 s[4:5], s[20:21]
	s_cbranch_execz .LBB744_47
.LBB744_60:
	v_lshlrev_b32_e32 v11, 2, v18
	v_add_co_u32_e32 v32, vcc, v8, v11
	v_addc_co_u32_e32 v33, vcc, 0, v9, vcc
	flat_load_dword v17, v[32:33]
	s_or_b64 exec, exec, s[4:5]
                                        ; implicit-def: $vgpr18
	s_and_saveexec_b64 s[4:5], s[22:23]
	s_cbranch_execnz .LBB744_48
.LBB744_61:
	s_or_b64 exec, exec, s[4:5]
                                        ; implicit-def: $vgpr19
	s_and_saveexec_b64 s[4:5], s[24:25]
	s_cbranch_execz .LBB744_49
.LBB744_62:
	v_lshlrev_b32_e32 v11, 2, v20
	v_add_co_u32_e32 v32, vcc, v8, v11
	v_addc_co_u32_e32 v33, vcc, 0, v9, vcc
	flat_load_dword v19, v[32:33]
	s_or_b64 exec, exec, s[4:5]
                                        ; implicit-def: $vgpr36
	s_and_saveexec_b64 s[4:5], s[26:27]
	s_cbranch_execnz .LBB744_50
.LBB744_63:
	s_or_b64 exec, exec, s[4:5]
                                        ; implicit-def: $vgpr37
	s_and_saveexec_b64 s[4:5], s[28:29]
	s_cbranch_execz .LBB744_65
.LBB744_64:
	v_lshlrev_b32_e32 v11, 2, v22
	v_add_co_u32_e32 v20, vcc, v8, v11
	v_addc_co_u32_e32 v21, vcc, 0, v9, vcc
	flat_load_dword v37, v[20:21]
.LBB744_65:
	s_or_b64 exec, exec, s[4:5]
	v_mul_u32_u24_e32 v11, 15, v0
                                        ; implicit-def: $vgpr22
	s_and_saveexec_b64 s[4:5], s[30:31]
	s_cbranch_execz .LBB744_67
; %bb.66:
	v_lshlrev_b32_e32 v15, 2, v23
	v_add_co_u32_e32 v8, vcc, v8, v15
	v_addc_co_u32_e32 v9, vcc, 0, v9, vcc
	flat_load_dword v22, v[8:9]
.LBB744_67:
	s_or_b64 exec, exec, s[4:5]
	s_movk_i32 s4, 0xffe6
	v_add_u32_e32 v20, 1, v11
	v_add_u32_e32 v35, 3, v11
	;; [unrolled: 1-line block ×7, first 2 shown]
	v_mad_i32_i24 v8, v0, s4, v24
	s_waitcnt vmcnt(0) lgkmcnt(0)
	ds_write2st64_b32 v8, v25, v26 offset1:4
	ds_write2st64_b32 v8, v27, v28 offset0:8 offset1:12
	ds_write2st64_b32 v8, v29, v10 offset0:16 offset1:20
	;; [unrolled: 1-line block ×6, first 2 shown]
	ds_write_b32 v8, v22 offset:14336
	s_waitcnt lgkmcnt(0)
	s_barrier
.LBB744_68:
	v_lshlrev_b32_e32 v8, 2, v11
	ds_read2_b32 v[30:31], v8 offset1:2
	ds_read2_b32 v[22:23], v8 offset0:4 offset1:6
	ds_read2_b32 v[18:19], v8 offset0:8 offset1:10
	;; [unrolled: 1-line block ×3, first 2 shown]
	v_lshlrev_b32_e32 v8, 2, v20
	v_lshlrev_b32_e32 v9, 2, v35
	;; [unrolled: 1-line block ×7, first 2 shown]
	ds_read_b32 v75, v8
	ds_read_b32 v74, v9
	;; [unrolled: 1-line block ×7, first 2 shown]
	s_cmp_eq_u64 s[40:41], 0
	s_cselect_b64 s[38:39], -1, 0
	s_cmp_lg_u64 s[40:41], 0
	s_mov_b64 s[6:7], 0
	s_cselect_b64 s[8:9], -1, 0
	s_and_b64 vcc, exec, s[48:49]
	s_waitcnt lgkmcnt(0)
	s_barrier
	s_cbranch_vccz .LBB744_74
; %bb.69:
	s_and_b64 vcc, exec, s[8:9]
	s_cbranch_vccz .LBB744_139
; %bb.70:
	v_add_co_u32_e32 v8, vcc, -2, v6
	v_addc_co_u32_e32 v9, vcc, -1, v7, vcc
	flat_load_ushort v8, v[8:9]
	v_lshrrev_b32_e32 v10, 16, v14
	v_lshlrev_b32_e32 v9, 1, v0
	v_cmp_ne_u16_e32 vcc, v14, v10
	v_cmp_ne_u16_sdwa s[6:7], v13, v14 src0_sel:WORD_1 src1_sel:DWORD
	v_cmp_ne_u16_sdwa s[10:11], v13, v13 src0_sel:DWORD src1_sel:WORD_1
	v_cmp_ne_u16_sdwa s[12:13], v12, v13 src0_sel:WORD_1 src1_sel:DWORD
	v_cmp_ne_u16_sdwa s[14:15], v12, v12 src0_sel:DWORD src1_sel:WORD_1
	;; [unrolled: 2-line block ×6, first 2 shown]
	v_cmp_ne_u16_e64 s[4:5], v1, v2
	ds_write_b16 v9, v10
	s_waitcnt lgkmcnt(0)
	s_barrier
	s_and_saveexec_b64 s[34:35], s[2:3]
	s_cbranch_execz .LBB744_72
; %bb.71:
	s_waitcnt vmcnt(0)
	v_add_u32_e32 v8, -2, v9
	ds_read_u16 v8, v8
.LBB744_72:
	s_or_b64 exec, exec, s[34:35]
	v_cndmask_b32_e64 v15, 0, 1, vcc
	v_cndmask_b32_e64 v54, 0, 1, s[6:7]
	v_cndmask_b32_e64 v55, 0, 1, s[10:11]
	v_cndmask_b32_e64 v56, 0, 1, s[12:13]
	v_cndmask_b32_e64 v57, 0, 1, s[14:15]
	v_cndmask_b32_e64 v58, 0, 1, s[16:17]
	v_cndmask_b32_e64 v59, 0, 1, s[18:19]
	v_cndmask_b32_e64 v60, 0, 1, s[20:21]
	v_cndmask_b32_e64 v61, 0, 1, s[22:23]
	v_cndmask_b32_e64 v62, 0, 1, s[24:25]
	v_cndmask_b32_e64 v63, 0, 1, s[26:27]
	v_cndmask_b32_e64 v64, 0, 1, s[28:29]
	v_cndmask_b32_e64 v65, 0, 1, s[30:31]
	v_cndmask_b32_e64 v66, 0, 1, s[4:5]
	s_waitcnt vmcnt(0) lgkmcnt(0)
	v_cmp_ne_u16_e64 s[4:5], v8, v1
	s_mov_b64 s[6:7], -1
.LBB744_73:
                                        ; implicit-def: $sgpr12
	s_branch .LBB744_75
.LBB744_74:
                                        ; implicit-def: $sgpr4_sgpr5
                                        ; implicit-def: $vgpr15
                                        ; implicit-def: $vgpr54
                                        ; implicit-def: $vgpr55
                                        ; implicit-def: $vgpr56
                                        ; implicit-def: $vgpr57
                                        ; implicit-def: $vgpr58
                                        ; implicit-def: $vgpr59
                                        ; implicit-def: $vgpr60
                                        ; implicit-def: $vgpr61
                                        ; implicit-def: $vgpr62
                                        ; implicit-def: $vgpr63
                                        ; implicit-def: $vgpr64
                                        ; implicit-def: $vgpr65
                                        ; implicit-def: $vgpr66
                                        ; implicit-def: $sgpr12
	s_cbranch_execnz .LBB744_143
.LBB744_75:
	v_mov_b32_e32 v68, s12
	s_and_saveexec_b64 s[2:3], s[6:7]
.LBB744_76:
	v_cndmask_b32_e64 v68, 0, 1, s[4:5]
.LBB744_77:
	s_or_b64 exec, exec, s[2:3]
	s_cmp_eq_u64 s[46:47], 0
	v_add3_u32 v6, v66, v68, v65
	s_cselect_b64 s[34:35], -1, 0
	s_cmp_lg_u32 s62, 0
	v_cmp_eq_u32_e64 s[26:27], 0, v66
	v_cmp_eq_u32_e64 s[24:25], 0, v65
	;; [unrolled: 1-line block ×3, first 2 shown]
	v_add3_u32 v79, v6, v64, v63
	v_cmp_eq_u32_e64 s[20:21], 0, v63
	v_cmp_eq_u32_e64 s[18:19], 0, v62
	v_cmp_eq_u32_e64 s[16:17], 0, v61
	v_cmp_eq_u32_e64 s[14:15], 0, v60
	v_cmp_eq_u32_e64 s[12:13], 0, v59
	v_cmp_eq_u32_e64 s[10:11], 0, v58
	v_cmp_eq_u32_e64 s[8:9], 0, v57
	v_cmp_eq_u32_e64 s[6:7], 0, v56
	v_cmp_eq_u32_e64 s[4:5], 0, v55
	v_cmp_eq_u32_e64 s[2:3], 0, v54
	v_cmp_eq_u32_e32 vcc, 0, v15
	v_mbcnt_lo_u32_b32 v78, -1, 0
	v_lshrrev_b32_e32 v76, 6, v0
	v_or_b32_e32 v77, 63, v0
	s_cbranch_scc0 .LBB744_108
; %bb.78:
	v_cndmask_b32_e64 v6, 0, v30, s[26:27]
	v_add_u32_e32 v6, v6, v75
	v_cndmask_b32_e64 v6, 0, v6, s[24:25]
	v_add_u32_e32 v6, v6, v31
	;; [unrolled: 2-line block ×11, first 2 shown]
	v_cndmask_b32_e64 v6, 0, v6, s[4:5]
	v_add3_u32 v7, v79, v62, v61
	v_add_u32_e32 v6, v6, v16
	v_add3_u32 v7, v7, v60, v59
	v_cndmask_b32_e64 v6, 0, v6, s[2:3]
	v_add3_u32 v7, v7, v58, v57
	v_add_u32_e32 v6, v6, v69
	v_add3_u32 v7, v7, v56, v55
	v_cndmask_b32_e32 v6, 0, v6, vcc
	v_add3_u32 v7, v7, v54, v15
	v_add_u32_e32 v6, v6, v17
	v_mbcnt_hi_u32_b32 v25, -1, v78
	v_and_b32_e32 v8, 15, v25
	v_mov_b32_dpp v10, v6 row_shr:1 row_mask:0xf bank_mask:0xf
	v_cmp_eq_u32_e32 vcc, 0, v7
	v_mov_b32_dpp v9, v7 row_shr:1 row_mask:0xf bank_mask:0xf
	v_cndmask_b32_e32 v10, 0, v10, vcc
	v_cmp_eq_u32_e32 vcc, 0, v8
	v_cndmask_b32_e64 v9, v9, 0, vcc
	v_add_u32_e32 v7, v9, v7
	v_cndmask_b32_e64 v9, v10, 0, vcc
	v_add_u32_e32 v6, v9, v6
	v_cmp_eq_u32_e32 vcc, 0, v7
	v_mov_b32_dpp v9, v7 row_shr:2 row_mask:0xf bank_mask:0xf
	v_cmp_lt_u32_e64 s[28:29], 1, v8
	v_mov_b32_dpp v10, v6 row_shr:2 row_mask:0xf bank_mask:0xf
	v_cndmask_b32_e64 v9, 0, v9, s[28:29]
	s_and_b64 vcc, s[28:29], vcc
	v_cndmask_b32_e32 v10, 0, v10, vcc
	v_add_u32_e32 v7, v7, v9
	v_add_u32_e32 v6, v10, v6
	v_cmp_eq_u32_e32 vcc, 0, v7
	v_mov_b32_dpp v9, v7 row_shr:4 row_mask:0xf bank_mask:0xf
	v_cmp_lt_u32_e64 s[28:29], 3, v8
	v_mov_b32_dpp v10, v6 row_shr:4 row_mask:0xf bank_mask:0xf
	v_cndmask_b32_e64 v9, 0, v9, s[28:29]
	s_and_b64 vcc, s[28:29], vcc
	v_cndmask_b32_e32 v10, 0, v10, vcc
	v_add_u32_e32 v7, v9, v7
	v_add_u32_e32 v6, v6, v10
	v_cmp_eq_u32_e32 vcc, 0, v7
	v_cmp_lt_u32_e64 s[28:29], 7, v8
	v_mov_b32_dpp v9, v7 row_shr:8 row_mask:0xf bank_mask:0xf
	v_mov_b32_dpp v10, v6 row_shr:8 row_mask:0xf bank_mask:0xf
	s_and_b64 vcc, s[28:29], vcc
	v_cndmask_b32_e64 v8, 0, v9, s[28:29]
	v_cndmask_b32_e32 v9, 0, v10, vcc
	v_add_u32_e32 v6, v9, v6
	v_add_u32_e32 v7, v8, v7
	v_bfe_i32 v10, v25, 4, 1
	v_mov_b32_dpp v9, v6 row_bcast:15 row_mask:0xf bank_mask:0xf
	v_mov_b32_dpp v8, v7 row_bcast:15 row_mask:0xf bank_mask:0xf
	v_cmp_eq_u32_e32 vcc, 0, v7
	v_cndmask_b32_e32 v9, 0, v9, vcc
	v_and_b32_e32 v8, v10, v8
	v_add_u32_e32 v7, v8, v7
	v_and_b32_e32 v8, v10, v9
	v_add_u32_e32 v8, v8, v6
	v_mov_b32_dpp v6, v7 row_bcast:31 row_mask:0xf bank_mask:0xf
	v_cmp_eq_u32_e32 vcc, 0, v7
	v_cmp_lt_u32_e64 s[28:29], 31, v25
	v_mov_b32_dpp v9, v8 row_bcast:31 row_mask:0xf bank_mask:0xf
	v_cndmask_b32_e64 v6, 0, v6, s[28:29]
	s_and_b64 vcc, s[28:29], vcc
	v_add_u32_e32 v6, v6, v7
	v_cndmask_b32_e32 v7, 0, v9, vcc
	v_add_u32_e32 v7, v7, v8
	v_cmp_eq_u32_e32 vcc, v77, v0
	v_lshlrev_b32_e32 v8, 3, v76
	s_and_saveexec_b64 s[28:29], vcc
	s_cbranch_execz .LBB744_80
; %bb.79:
	ds_write_b64 v8, v[6:7] offset:1040
.LBB744_80:
	s_or_b64 exec, exec, s[28:29]
	v_cmp_gt_u32_e32 vcc, 4, v0
	s_waitcnt lgkmcnt(0)
	s_barrier
	s_and_saveexec_b64 s[30:31], vcc
	s_cbranch_execz .LBB744_82
; %bb.81:
	v_lshlrev_b32_e32 v9, 3, v0
	ds_read_b64 v[10:11], v9 offset:1040
	v_and_b32_e32 v20, 3, v25
	v_cmp_lt_u32_e64 s[28:29], 1, v20
	s_waitcnt lgkmcnt(0)
	v_mov_b32_dpp v24, v11 row_shr:1 row_mask:0xf bank_mask:0xf
	v_cmp_eq_u32_e32 vcc, 0, v10
	v_mov_b32_dpp v21, v10 row_shr:1 row_mask:0xf bank_mask:0xf
	v_cndmask_b32_e32 v24, 0, v24, vcc
	v_cmp_eq_u32_e32 vcc, 0, v20
	v_cndmask_b32_e64 v21, v21, 0, vcc
	v_add_u32_e32 v10, v21, v10
	v_cndmask_b32_e64 v21, v24, 0, vcc
	v_add_u32_e32 v11, v21, v11
	v_cmp_eq_u32_e32 vcc, 0, v10
	v_mov_b32_dpp v21, v10 row_shr:2 row_mask:0xf bank_mask:0xf
	v_mov_b32_dpp v24, v11 row_shr:2 row_mask:0xf bank_mask:0xf
	v_cndmask_b32_e64 v20, 0, v21, s[28:29]
	s_and_b64 vcc, s[28:29], vcc
	v_add_u32_e32 v10, v20, v10
	v_cndmask_b32_e32 v20, 0, v24, vcc
	v_add_u32_e32 v11, v20, v11
	ds_write_b64 v9, v[10:11] offset:1040
.LBB744_82:
	s_or_b64 exec, exec, s[30:31]
	v_cmp_gt_u32_e32 vcc, 64, v0
	v_cmp_lt_u32_e64 s[28:29], 63, v0
	v_mov_b32_e32 v20, 0
	v_mov_b32_e32 v21, 0
	s_waitcnt lgkmcnt(0)
	s_barrier
	s_and_saveexec_b64 s[30:31], s[28:29]
	s_cbranch_execz .LBB744_84
; %bb.83:
	ds_read_b64 v[20:21], v8 offset:1032
	v_cmp_eq_u32_e64 s[28:29], 0, v6
	s_waitcnt lgkmcnt(0)
	v_add_u32_e32 v8, v20, v6
	v_cndmask_b32_e64 v6, 0, v21, s[28:29]
	v_add_u32_e32 v7, v6, v7
	v_mov_b32_e32 v6, v8
.LBB744_84:
	s_or_b64 exec, exec, s[30:31]
	v_add_u32_e32 v8, -1, v25
	v_and_b32_e32 v9, 64, v25
	v_cmp_lt_i32_e64 s[28:29], v8, v9
	v_cndmask_b32_e64 v8, v8, v25, s[28:29]
	v_lshlrev_b32_e32 v8, 2, v8
	ds_bpermute_b32 v32, v8, v6
	ds_bpermute_b32 v33, v8, v7
	v_cmp_eq_u32_e64 s[28:29], 0, v25
	s_and_saveexec_b64 s[40:41], vcc
	s_cbranch_execz .LBB744_107
; %bb.85:
	v_mov_b32_e32 v11, 0
	ds_read_b64 v[6:7], v11 offset:1064
	s_waitcnt lgkmcnt(0)
	v_readfirstlane_b32 s48, v6
	v_readfirstlane_b32 s49, v7
	s_and_saveexec_b64 s[30:31], s[28:29]
	s_cbranch_execz .LBB744_87
; %bb.86:
	s_add_i32 s46, s62, 64
	s_mov_b32 s47, 0
	s_lshl_b64 s[50:51], s[46:47], 4
	s_add_u32 s50, s44, s50
	s_addc_u32 s51, s45, s51
	s_and_b32 s57, s49, 0xff000000
	s_mov_b32 s56, s47
	s_and_b32 s65, s49, 0xff0000
	s_mov_b32 s64, s47
	s_or_b64 s[56:57], s[64:65], s[56:57]
	s_and_b32 s65, s49, 0xff00
	s_or_b64 s[56:57], s[56:57], s[64:65]
	s_and_b32 s65, s49, 0xff
	s_or_b64 s[46:47], s[56:57], s[64:65]
	v_mov_b32_e32 v8, s48
	v_mov_b32_e32 v9, s47
	;; [unrolled: 1-line block ×3, first 2 shown]
	v_pk_mov_b32 v[6:7], s[50:51], s[50:51] op_sel:[0,1]
	;;#ASMSTART
	global_store_dwordx4 v[6:7], v[8:11] off	
s_waitcnt vmcnt(0)
	;;#ASMEND
.LBB744_87:
	s_or_b64 exec, exec, s[30:31]
	v_xad_u32 v24, v25, -1, s62
	v_add_u32_e32 v10, 64, v24
	v_lshlrev_b64 v[6:7], 4, v[10:11]
	v_mov_b32_e32 v8, s45
	v_add_co_u32_e32 v26, vcc, s44, v6
	v_addc_co_u32_e32 v27, vcc, v8, v7, vcc
	;;#ASMSTART
	global_load_dwordx4 v[6:9], v[26:27] off glc	
s_waitcnt vmcnt(0)
	;;#ASMEND
	v_and_b32_e32 v9, 0xff, v7
	v_and_b32_e32 v10, 0xff00, v7
	;; [unrolled: 1-line block ×3, first 2 shown]
	v_or3_b32 v9, 0, v9, v10
	v_or3_b32 v6, v6, 0, 0
	v_and_b32_e32 v7, 0xff000000, v7
	v_or3_b32 v7, v9, v28, v7
	v_or3_b32 v6, v6, 0, 0
	v_cmp_eq_u16_sdwa s[46:47], v8, v11 src0_sel:BYTE_0 src1_sel:DWORD
	s_and_saveexec_b64 s[30:31], s[46:47]
	s_cbranch_execz .LBB744_93
; %bb.88:
	s_mov_b32 s50, 1
	s_mov_b64 s[46:47], 0
	v_mov_b32_e32 v10, 0
.LBB744_89:                             ; =>This Loop Header: Depth=1
                                        ;     Child Loop BB744_90 Depth 2
	s_max_u32 s51, s50, 1
.LBB744_90:                             ;   Parent Loop BB744_89 Depth=1
                                        ; =>  This Inner Loop Header: Depth=2
	s_add_i32 s51, s51, -1
	s_cmp_eq_u32 s51, 0
	s_sleep 1
	s_cbranch_scc0 .LBB744_90
; %bb.91:                               ;   in Loop: Header=BB744_89 Depth=1
	s_cmp_lt_u32 s50, 32
	s_cselect_b64 s[56:57], -1, 0
	s_cmp_lg_u64 s[56:57], 0
	s_addc_u32 s50, s50, 0
	;;#ASMSTART
	global_load_dwordx4 v[6:9], v[26:27] off glc	
s_waitcnt vmcnt(0)
	;;#ASMEND
	v_cmp_ne_u16_sdwa s[56:57], v8, v10 src0_sel:BYTE_0 src1_sel:DWORD
	s_or_b64 s[46:47], s[56:57], s[46:47]
	s_andn2_b64 exec, exec, s[46:47]
	s_cbranch_execnz .LBB744_89
; %bb.92:
	s_or_b64 exec, exec, s[46:47]
.LBB744_93:
	s_or_b64 exec, exec, s[30:31]
	v_mov_b32_e32 v34, 2
	v_cmp_eq_u16_sdwa s[30:31], v8, v34 src0_sel:BYTE_0 src1_sel:DWORD
	v_lshlrev_b64 v[26:27], v25, -1
	v_and_b32_e32 v9, s31, v27
	v_and_b32_e32 v35, 63, v25
	v_or_b32_e32 v9, 0x80000000, v9
	v_cmp_ne_u32_e32 vcc, 63, v35
	v_and_b32_e32 v10, s30, v26
	v_ffbl_b32_e32 v9, v9
	v_addc_co_u32_e32 v11, vcc, 0, v25, vcc
	v_add_u32_e32 v9, 32, v9
	v_ffbl_b32_e32 v10, v10
	v_lshlrev_b32_e32 v36, 2, v11
	v_min_u32_e32 v9, v10, v9
	ds_bpermute_b32 v10, v36, v7
	v_cmp_eq_u32_e32 vcc, 0, v6
	v_cmp_lt_u32_e64 s[30:31], v35, v9
	ds_bpermute_b32 v11, v36, v6
	s_and_b64 vcc, s[30:31], vcc
	s_waitcnt lgkmcnt(1)
	v_cndmask_b32_e32 v10, 0, v10, vcc
	v_cmp_gt_u32_e32 vcc, 62, v35
	v_add_u32_e32 v7, v10, v7
	v_cndmask_b32_e64 v10, 0, 1, vcc
	v_lshlrev_b32_e32 v10, 1, v10
	v_add_lshl_u32 v37, v10, v25, 2
	s_waitcnt lgkmcnt(0)
	v_cndmask_b32_e64 v11, 0, v11, s[30:31]
	ds_bpermute_b32 v10, v37, v7
	v_add_u32_e32 v6, v11, v6
	ds_bpermute_b32 v11, v37, v6
	v_add_u32_e32 v38, 2, v35
	v_cmp_eq_u32_e32 vcc, 0, v6
	s_waitcnt lgkmcnt(1)
	v_cndmask_b32_e32 v10, 0, v10, vcc
	v_cmp_gt_u32_e32 vcc, v38, v9
	v_cndmask_b32_e64 v10, v10, 0, vcc
	v_add_u32_e32 v7, v10, v7
	s_waitcnt lgkmcnt(0)
	v_cndmask_b32_e64 v10, v11, 0, vcc
	v_cmp_gt_u32_e32 vcc, 60, v35
	v_cndmask_b32_e64 v11, 0, 1, vcc
	v_lshlrev_b32_e32 v11, 2, v11
	v_add_lshl_u32 v39, v11, v25, 2
	ds_bpermute_b32 v11, v39, v7
	v_add_u32_e32 v6, v6, v10
	ds_bpermute_b32 v10, v39, v6
	v_add_u32_e32 v40, 4, v35
	v_cmp_eq_u32_e32 vcc, 0, v6
	s_waitcnt lgkmcnt(1)
	v_cndmask_b32_e32 v11, 0, v11, vcc
	v_cmp_gt_u32_e32 vcc, v40, v9
	v_cndmask_b32_e64 v11, v11, 0, vcc
	s_waitcnt lgkmcnt(0)
	v_cndmask_b32_e64 v10, v10, 0, vcc
	v_cmp_gt_u32_e32 vcc, 56, v35
	v_add_u32_e32 v7, v7, v11
	v_cndmask_b32_e64 v11, 0, 1, vcc
	v_lshlrev_b32_e32 v11, 3, v11
	v_add_lshl_u32 v41, v11, v25, 2
	ds_bpermute_b32 v11, v41, v7
	v_add_u32_e32 v6, v6, v10
	ds_bpermute_b32 v10, v41, v6
	v_add_u32_e32 v42, 8, v35
	v_cmp_eq_u32_e32 vcc, 0, v6
	s_waitcnt lgkmcnt(1)
	v_cndmask_b32_e32 v11, 0, v11, vcc
	v_cmp_gt_u32_e32 vcc, v42, v9
	v_cndmask_b32_e64 v11, v11, 0, vcc
	s_waitcnt lgkmcnt(0)
	v_cndmask_b32_e64 v10, v10, 0, vcc
	v_cmp_gt_u32_e32 vcc, 48, v35
	v_add_u32_e32 v7, v7, v11
	;; [unrolled: 16-line block ×3, first 2 shown]
	v_cndmask_b32_e64 v11, 0, 1, vcc
	v_lshlrev_b32_e32 v11, 5, v11
	v_add_lshl_u32 v45, v11, v25, 2
	ds_bpermute_b32 v11, v45, v7
	v_add_u32_e32 v6, v6, v10
	ds_bpermute_b32 v10, v45, v6
	v_add_u32_e32 v46, 32, v35
	v_cmp_eq_u32_e32 vcc, 0, v6
	s_waitcnt lgkmcnt(1)
	v_cndmask_b32_e32 v11, 0, v11, vcc
	v_cmp_gt_u32_e32 vcc, v46, v9
	v_cndmask_b32_e64 v9, v11, 0, vcc
	v_add_u32_e32 v7, v9, v7
	s_waitcnt lgkmcnt(0)
	v_cndmask_b32_e64 v9, v10, 0, vcc
	v_add_u32_e32 v6, v9, v6
	v_mov_b32_e32 v25, 0
	s_branch .LBB744_95
.LBB744_94:                             ;   in Loop: Header=BB744_95 Depth=1
	s_or_b64 exec, exec, s[30:31]
	v_cmp_eq_u16_sdwa s[30:31], v8, v34 src0_sel:BYTE_0 src1_sel:DWORD
	v_and_b32_e32 v9, s31, v27
	v_or_b32_e32 v9, 0x80000000, v9
	v_and_b32_e32 v28, s30, v26
	v_ffbl_b32_e32 v9, v9
	v_add_u32_e32 v9, 32, v9
	v_ffbl_b32_e32 v28, v28
	v_min_u32_e32 v9, v28, v9
	ds_bpermute_b32 v28, v36, v7
	v_cmp_eq_u32_e32 vcc, 0, v6
	v_cmp_lt_u32_e64 s[30:31], v35, v9
	ds_bpermute_b32 v29, v36, v6
	s_and_b64 vcc, s[30:31], vcc
	s_waitcnt lgkmcnt(1)
	v_cndmask_b32_e32 v28, 0, v28, vcc
	v_add_u32_e32 v7, v28, v7
	ds_bpermute_b32 v28, v37, v7
	s_waitcnt lgkmcnt(1)
	v_cndmask_b32_e64 v29, 0, v29, s[30:31]
	v_add_u32_e32 v6, v29, v6
	v_cmp_eq_u32_e32 vcc, 0, v6
	ds_bpermute_b32 v29, v37, v6
	s_waitcnt lgkmcnt(1)
	v_cndmask_b32_e32 v28, 0, v28, vcc
	v_cmp_gt_u32_e32 vcc, v38, v9
	v_cndmask_b32_e64 v28, v28, 0, vcc
	v_add_u32_e32 v7, v28, v7
	ds_bpermute_b32 v28, v39, v7
	s_waitcnt lgkmcnt(1)
	v_cndmask_b32_e64 v29, v29, 0, vcc
	v_add_u32_e32 v6, v6, v29
	v_cmp_eq_u32_e32 vcc, 0, v6
	ds_bpermute_b32 v29, v39, v6
	s_waitcnt lgkmcnt(1)
	v_cndmask_b32_e32 v28, 0, v28, vcc
	v_cmp_gt_u32_e32 vcc, v40, v9
	v_cndmask_b32_e64 v28, v28, 0, vcc
	v_add_u32_e32 v7, v7, v28
	ds_bpermute_b32 v28, v41, v7
	s_waitcnt lgkmcnt(1)
	v_cndmask_b32_e64 v29, v29, 0, vcc
	v_add_u32_e32 v6, v6, v29
	ds_bpermute_b32 v29, v41, v6
	v_cmp_eq_u32_e32 vcc, 0, v6
	s_waitcnt lgkmcnt(1)
	v_cndmask_b32_e32 v28, 0, v28, vcc
	v_cmp_gt_u32_e32 vcc, v42, v9
	v_cndmask_b32_e64 v28, v28, 0, vcc
	v_add_u32_e32 v7, v7, v28
	ds_bpermute_b32 v28, v43, v7
	s_waitcnt lgkmcnt(1)
	v_cndmask_b32_e64 v29, v29, 0, vcc
	v_add_u32_e32 v6, v6, v29
	ds_bpermute_b32 v29, v43, v6
	v_cmp_eq_u32_e32 vcc, 0, v6
	;; [unrolled: 11-line block ×3, first 2 shown]
	s_waitcnt lgkmcnt(1)
	v_cndmask_b32_e32 v28, 0, v28, vcc
	v_cmp_gt_u32_e32 vcc, v46, v9
	v_cndmask_b32_e64 v9, v28, 0, vcc
	v_add_u32_e32 v7, v9, v7
	s_waitcnt lgkmcnt(0)
	v_cndmask_b32_e64 v9, v29, 0, vcc
	v_cmp_eq_u32_e32 vcc, 0, v10
	v_cndmask_b32_e32 v7, 0, v7, vcc
	v_subrev_u32_e32 v24, 64, v24
	v_add3_u32 v6, v6, v10, v9
	v_add_u32_e32 v7, v7, v11
.LBB744_95:                             ; =>This Loop Header: Depth=1
                                        ;     Child Loop BB744_98 Depth 2
                                        ;       Child Loop BB744_99 Depth 3
	v_cmp_ne_u16_sdwa s[30:31], v8, v34 src0_sel:BYTE_0 src1_sel:DWORD
	v_mov_b32_e32 v11, v7
	v_cndmask_b32_e64 v7, 0, 1, s[30:31]
	;;#ASMSTART
	;;#ASMEND
	v_cmp_ne_u32_e32 vcc, 0, v7
	s_cmp_lg_u64 vcc, exec
	v_mov_b32_e32 v10, v6
	s_cbranch_scc1 .LBB744_102
; %bb.96:                               ;   in Loop: Header=BB744_95 Depth=1
	v_lshlrev_b64 v[6:7], 4, v[24:25]
	v_mov_b32_e32 v8, s45
	v_add_co_u32_e32 v28, vcc, s44, v6
	v_addc_co_u32_e32 v29, vcc, v8, v7, vcc
	;;#ASMSTART
	global_load_dwordx4 v[6:9], v[28:29] off glc	
s_waitcnt vmcnt(0)
	;;#ASMEND
	v_and_b32_e32 v9, 0xff, v7
	v_and_b32_e32 v47, 0xff00, v7
	v_and_b32_e32 v48, 0xff0000, v7
	v_or3_b32 v9, 0, v9, v47
	v_or3_b32 v6, v6, 0, 0
	v_and_b32_e32 v7, 0xff000000, v7
	v_or3_b32 v7, v9, v48, v7
	v_or3_b32 v6, v6, 0, 0
	v_cmp_eq_u16_sdwa s[46:47], v8, v25 src0_sel:BYTE_0 src1_sel:DWORD
	s_and_saveexec_b64 s[30:31], s[46:47]
	s_cbranch_execz .LBB744_94
; %bb.97:                               ;   in Loop: Header=BB744_95 Depth=1
	s_mov_b32 s50, 1
	s_mov_b64 s[46:47], 0
.LBB744_98:                             ;   Parent Loop BB744_95 Depth=1
                                        ; =>  This Loop Header: Depth=2
                                        ;       Child Loop BB744_99 Depth 3
	s_max_u32 s51, s50, 1
.LBB744_99:                             ;   Parent Loop BB744_95 Depth=1
                                        ;     Parent Loop BB744_98 Depth=2
                                        ; =>    This Inner Loop Header: Depth=3
	s_add_i32 s51, s51, -1
	s_cmp_eq_u32 s51, 0
	s_sleep 1
	s_cbranch_scc0 .LBB744_99
; %bb.100:                              ;   in Loop: Header=BB744_98 Depth=2
	s_cmp_lt_u32 s50, 32
	s_cselect_b64 s[56:57], -1, 0
	s_cmp_lg_u64 s[56:57], 0
	s_addc_u32 s50, s50, 0
	;;#ASMSTART
	global_load_dwordx4 v[6:9], v[28:29] off glc	
s_waitcnt vmcnt(0)
	;;#ASMEND
	v_cmp_ne_u16_sdwa s[56:57], v8, v25 src0_sel:BYTE_0 src1_sel:DWORD
	s_or_b64 s[46:47], s[56:57], s[46:47]
	s_andn2_b64 exec, exec, s[46:47]
	s_cbranch_execnz .LBB744_98
; %bb.101:                              ;   in Loop: Header=BB744_95 Depth=1
	s_or_b64 exec, exec, s[46:47]
	s_branch .LBB744_94
.LBB744_102:                            ;   in Loop: Header=BB744_95 Depth=1
                                        ; implicit-def: $vgpr7
                                        ; implicit-def: $vgpr6
                                        ; implicit-def: $vgpr8
	s_cbranch_execz .LBB744_95
; %bb.103:
	s_and_saveexec_b64 s[30:31], s[28:29]
	s_cbranch_execz .LBB744_105
; %bb.104:
	s_cmp_eq_u32 s48, 0
	s_cselect_b64 vcc, -1, 0
	s_mov_b32 s47, 0
	v_cndmask_b32_e32 v6, 0, v11, vcc
	s_add_i32 s46, s62, 64
	v_add_u32_e32 v6, s49, v6
	s_lshl_b64 s[46:47], s[46:47], 4
	s_add_u32 s46, s44, s46
	v_and_b32_e32 v7, 0xff000000, v6
	v_and_b32_e32 v8, 0xff0000, v6
	s_addc_u32 s47, s45, s47
	v_or_b32_e32 v7, v8, v7
	v_and_b32_e32 v8, 0xff00, v6
	v_and_b32_e32 v6, 0xff, v6
	v_add_u32_e32 v24, s48, v10
	v_mov_b32_e32 v27, 0
	v_or3_b32 v25, v7, v8, v6
	v_mov_b32_e32 v26, 2
	v_pk_mov_b32 v[6:7], s[46:47], s[46:47] op_sel:[0,1]
	;;#ASMSTART
	global_store_dwordx4 v[6:7], v[24:27] off	
s_waitcnt vmcnt(0)
	;;#ASMEND
	v_mov_b32_e32 v8, s48
	v_mov_b32_e32 v9, s49
	ds_write_b128 v27, v[8:11] offset:1024
.LBB744_105:
	s_or_b64 exec, exec, s[30:31]
	s_and_b64 exec, exec, s[0:1]
	s_cbranch_execz .LBB744_107
; %bb.106:
	v_mov_b32_e32 v6, 0
	ds_write_b64 v6, v[10:11] offset:1064
.LBB744_107:
	s_or_b64 exec, exec, s[40:41]
	v_mov_b32_e32 v8, 0
	s_waitcnt lgkmcnt(0)
	s_barrier
	ds_read_b64 v[6:7], v8 offset:1064
	v_cndmask_b32_e64 v10, v32, v20, s[28:29]
	v_cmp_eq_u32_e32 vcc, 0, v10
	v_cndmask_b32_e64 v9, v33, v21, s[28:29]
	s_waitcnt lgkmcnt(0)
	v_cndmask_b32_e32 v11, 0, v7, vcc
	v_add_u32_e32 v9, v11, v9
	v_cndmask_b32_e64 v53, v9, v7, s[0:1]
	v_cndmask_b32_e64 v7, v10, 0, s[0:1]
	v_cmp_eq_u32_e32 vcc, 0, v68
	v_add_u32_e32 v52, v6, v7
	v_cndmask_b32_e32 v6, 0, v53, vcc
	v_add_u32_e32 v51, v6, v30
	v_cndmask_b32_e64 v6, 0, v51, s[26:27]
	v_add_u32_e32 v49, v6, v75
	v_cndmask_b32_e64 v6, 0, v49, s[24:25]
	;; [unrolled: 2-line block ×8, first 2 shown]
	v_add_u32_e32 v50, v52, v68
	v_add_u32_e32 v35, v6, v18
	v_add_u32_e32 v48, v50, v66
	v_cndmask_b32_e64 v6, 0, v35, s[10:11]
	v_add_u32_e32 v46, v48, v65
	v_add_u32_e32 v33, v6, v71
	v_add_u32_e32 v44, v46, v64
	v_cndmask_b32_e64 v6, 0, v33, s[8:9]
	;; [unrolled: 4-line block ×3, first 2 shown]
	v_add_u32_e32 v38, v40, v61
	v_add_u32_e32 v27, v6, v70
	s_barrier
	ds_read_b128 v[6:9], v8 offset:1024
	v_add_u32_e32 v36, v38, v60
	v_add_u32_e32 v34, v36, v59
	;; [unrolled: 1-line block ×4, first 2 shown]
	v_cndmask_b32_e64 v10, 0, v27, s[4:5]
	v_add_u32_e32 v26, v28, v56
	v_add_u32_e32 v25, v10, v16
	s_waitcnt lgkmcnt(0)
	v_cmp_eq_u32_e32 vcc, 0, v6
	v_add_u32_e32 v24, v26, v55
	v_cndmask_b32_e64 v10, 0, v25, s[2:3]
	v_cndmask_b32_e32 v9, 0, v9, vcc
	v_add_u32_e32 v20, v24, v54
	v_add_u32_e32 v21, v10, v69
	;; [unrolled: 1-line block ×3, first 2 shown]
	s_branch .LBB744_120
.LBB744_108:
                                        ; implicit-def: $vgpr6
                                        ; implicit-def: $vgpr67
                                        ; implicit-def: $vgpr52_vgpr53
                                        ; implicit-def: $vgpr50_vgpr51
                                        ; implicit-def: $vgpr48_vgpr49
                                        ; implicit-def: $vgpr46_vgpr47
                                        ; implicit-def: $vgpr44_vgpr45
                                        ; implicit-def: $vgpr42_vgpr43
                                        ; implicit-def: $vgpr40_vgpr41
                                        ; implicit-def: $vgpr38_vgpr39
                                        ; implicit-def: $vgpr36_vgpr37
                                        ; implicit-def: $vgpr34_vgpr35
                                        ; implicit-def: $vgpr32_vgpr33
                                        ; implicit-def: $vgpr28_vgpr29
                                        ; implicit-def: $vgpr26_vgpr27
                                        ; implicit-def: $vgpr24_vgpr25
                                        ; implicit-def: $vgpr20_vgpr21
	s_cbranch_execz .LBB744_120
; %bb.109:
	s_and_b64 s[2:3], s[34:35], exec
	s_cselect_b32 s3, 0, s61
	s_cselect_b32 s2, 0, s60
	s_cmp_eq_u64 s[2:3], 0
	v_mov_b32_e32 v10, v30
	s_cbranch_scc1 .LBB744_111
; %bb.110:
	v_mov_b32_e32 v6, 0
	global_load_dword v10, v6, s[2:3]
.LBB744_111:
	v_cmp_eq_u32_e64 s[2:3], 0, v66
	v_cndmask_b32_e64 v6, 0, v30, s[2:3]
	v_add_u32_e32 v6, v6, v75
	v_cmp_eq_u32_e64 s[4:5], 0, v65
	v_cndmask_b32_e64 v6, 0, v6, s[4:5]
	v_add_u32_e32 v6, v6, v31
	;; [unrolled: 3-line block ×11, first 2 shown]
	v_cmp_eq_u32_e64 s[24:25], 0, v55
	v_cndmask_b32_e64 v6, 0, v6, s[24:25]
	v_add3_u32 v7, v79, v62, v61
	v_add_u32_e32 v6, v6, v16
	v_cmp_eq_u32_e32 vcc, 0, v54
	v_add3_u32 v7, v7, v60, v59
	v_cndmask_b32_e32 v6, 0, v6, vcc
	v_add3_u32 v7, v7, v58, v57
	v_add_u32_e32 v6, v6, v69
	v_cmp_eq_u32_e64 s[26:27], 0, v15
	v_add3_u32 v7, v7, v56, v55
	v_cndmask_b32_e64 v6, 0, v6, s[26:27]
	v_add3_u32 v7, v7, v54, v15
	v_add_u32_e32 v6, v6, v17
	v_mbcnt_hi_u32_b32 v11, -1, v78
	v_and_b32_e32 v8, 15, v11
	v_mov_b32_dpp v17, v6 row_shr:1 row_mask:0xf bank_mask:0xf
	v_cmp_eq_u32_e64 s[26:27], 0, v7
	v_mov_b32_dpp v9, v7 row_shr:1 row_mask:0xf bank_mask:0xf
	v_cndmask_b32_e64 v17, 0, v17, s[26:27]
	v_cmp_eq_u32_e64 s[26:27], 0, v8
	v_cndmask_b32_e64 v9, v9, 0, s[26:27]
	v_add_u32_e32 v7, v9, v7
	v_cndmask_b32_e64 v9, v17, 0, s[26:27]
	v_add_u32_e32 v6, v9, v6
	v_cmp_eq_u32_e64 s[26:27], 0, v7
	v_mov_b32_dpp v9, v7 row_shr:2 row_mask:0xf bank_mask:0xf
	v_cmp_lt_u32_e64 s[28:29], 1, v8
	v_mov_b32_dpp v17, v6 row_shr:2 row_mask:0xf bank_mask:0xf
	v_cndmask_b32_e64 v9, 0, v9, s[28:29]
	s_and_b64 s[26:27], s[28:29], s[26:27]
	v_cndmask_b32_e64 v17, 0, v17, s[26:27]
	v_add_u32_e32 v7, v7, v9
	v_add_u32_e32 v6, v17, v6
	v_cmp_eq_u32_e64 s[26:27], 0, v7
	v_mov_b32_dpp v9, v7 row_shr:4 row_mask:0xf bank_mask:0xf
	v_cmp_lt_u32_e64 s[28:29], 3, v8
	v_mov_b32_dpp v17, v6 row_shr:4 row_mask:0xf bank_mask:0xf
	v_cndmask_b32_e64 v9, 0, v9, s[28:29]
	s_and_b64 s[26:27], s[28:29], s[26:27]
	v_cndmask_b32_e64 v17, 0, v17, s[26:27]
	v_add_u32_e32 v7, v9, v7
	v_add_u32_e32 v6, v6, v17
	v_cmp_eq_u32_e64 s[26:27], 0, v7
	v_cmp_lt_u32_e64 s[28:29], 7, v8
	v_mov_b32_dpp v9, v7 row_shr:8 row_mask:0xf bank_mask:0xf
	v_mov_b32_dpp v17, v6 row_shr:8 row_mask:0xf bank_mask:0xf
	s_and_b64 s[26:27], s[28:29], s[26:27]
	v_cndmask_b32_e64 v8, 0, v9, s[28:29]
	v_cndmask_b32_e64 v9, 0, v17, s[26:27]
	v_add_u32_e32 v6, v9, v6
	v_add_u32_e32 v7, v8, v7
	v_bfe_i32 v17, v11, 4, 1
	v_mov_b32_dpp v9, v6 row_bcast:15 row_mask:0xf bank_mask:0xf
	v_mov_b32_dpp v8, v7 row_bcast:15 row_mask:0xf bank_mask:0xf
	v_cmp_eq_u32_e64 s[26:27], 0, v7
	v_cndmask_b32_e64 v9, 0, v9, s[26:27]
	v_and_b32_e32 v8, v17, v8
	v_add_u32_e32 v7, v8, v7
	v_and_b32_e32 v8, v17, v9
	v_add_u32_e32 v8, v8, v6
	v_mov_b32_dpp v6, v7 row_bcast:31 row_mask:0xf bank_mask:0xf
	v_cmp_eq_u32_e64 s[26:27], 0, v7
	v_cmp_lt_u32_e64 s[28:29], 31, v11
	v_mov_b32_dpp v9, v8 row_bcast:31 row_mask:0xf bank_mask:0xf
	v_cndmask_b32_e64 v6, 0, v6, s[28:29]
	s_and_b64 s[26:27], s[28:29], s[26:27]
	v_add_u32_e32 v6, v6, v7
	v_cndmask_b32_e64 v7, 0, v9, s[26:27]
	v_add_u32_e32 v7, v7, v8
	v_cmp_eq_u32_e64 s[26:27], v77, v0
	s_and_saveexec_b64 s[28:29], s[26:27]
	s_cbranch_execz .LBB744_113
; %bb.112:
	v_lshlrev_b32_e32 v8, 3, v76
	ds_write_b64 v8, v[6:7] offset:1040
.LBB744_113:
	s_or_b64 exec, exec, s[28:29]
	v_cmp_gt_u32_e64 s[26:27], 4, v0
	s_waitcnt lgkmcnt(0)
	s_barrier
	s_and_saveexec_b64 s[30:31], s[26:27]
	s_cbranch_execz .LBB744_115
; %bb.114:
	v_lshlrev_b32_e32 v17, 3, v0
	ds_read_b64 v[8:9], v17 offset:1040
	v_and_b32_e32 v20, 3, v11
	v_cmp_lt_u32_e64 s[28:29], 1, v20
	s_waitcnt lgkmcnt(0)
	v_mov_b32_dpp v24, v9 row_shr:1 row_mask:0xf bank_mask:0xf
	v_cmp_eq_u32_e64 s[26:27], 0, v8
	v_mov_b32_dpp v21, v8 row_shr:1 row_mask:0xf bank_mask:0xf
	v_cndmask_b32_e64 v24, 0, v24, s[26:27]
	v_cmp_eq_u32_e64 s[26:27], 0, v20
	v_cndmask_b32_e64 v21, v21, 0, s[26:27]
	v_add_u32_e32 v8, v21, v8
	v_cndmask_b32_e64 v21, v24, 0, s[26:27]
	v_add_u32_e32 v9, v21, v9
	v_cmp_eq_u32_e64 s[26:27], 0, v8
	v_mov_b32_dpp v21, v8 row_shr:2 row_mask:0xf bank_mask:0xf
	v_mov_b32_dpp v24, v9 row_shr:2 row_mask:0xf bank_mask:0xf
	v_cndmask_b32_e64 v20, 0, v21, s[28:29]
	s_and_b64 s[26:27], s[28:29], s[26:27]
	v_add_u32_e32 v8, v20, v8
	v_cndmask_b32_e64 v20, 0, v24, s[26:27]
	v_add_u32_e32 v9, v20, v9
	ds_write_b64 v17, v[8:9] offset:1040
.LBB744_115:
	s_or_b64 exec, exec, s[30:31]
	v_cmp_lt_u32_e64 s[26:27], 63, v0
	v_mov_b32_e32 v17, 0
	v_mov_b32_e32 v8, 0
	s_waitcnt vmcnt(0)
	v_mov_b32_e32 v9, v10
	s_waitcnt lgkmcnt(0)
	s_barrier
	s_and_saveexec_b64 s[28:29], s[26:27]
	s_cbranch_execz .LBB744_117
; %bb.116:
	v_lshlrev_b32_e32 v8, 3, v76
	ds_read_b64 v[8:9], v8 offset:1032
	s_waitcnt lgkmcnt(0)
	v_cmp_eq_u32_e64 s[26:27], 0, v8
	v_cndmask_b32_e64 v20, 0, v10, s[26:27]
	v_add_u32_e32 v9, v20, v9
.LBB744_117:
	s_or_b64 exec, exec, s[28:29]
	v_cmp_eq_u32_e64 s[26:27], 0, v6
	v_add_u32_e32 v20, v8, v6
	v_cndmask_b32_e64 v6, 0, v9, s[26:27]
	v_add_u32_e32 v6, v6, v7
	v_add_u32_e32 v7, -1, v11
	v_and_b32_e32 v21, 64, v11
	v_cmp_lt_i32_e64 s[26:27], v7, v21
	v_cndmask_b32_e64 v7, v7, v11, s[26:27]
	v_lshlrev_b32_e32 v7, 2, v7
	ds_bpermute_b32 v6, v7, v6
	ds_bpermute_b32 v20, v7, v20
	v_cmp_eq_u32_e64 s[26:27], 0, v11
	s_waitcnt lgkmcnt(1)
	v_cndmask_b32_e64 v6, v6, v9, s[26:27]
	s_waitcnt lgkmcnt(0)
	v_cndmask_b32_e64 v7, v20, v8, s[26:27]
	v_cndmask_b32_e64 v53, v6, v10, s[0:1]
	v_cmp_eq_u32_e64 s[26:27], 0, v68
	v_cndmask_b32_e64 v6, 0, v53, s[26:27]
	v_add_u32_e32 v51, v6, v30
	v_cndmask_b32_e64 v6, 0, v51, s[2:3]
	v_add_u32_e32 v49, v6, v75
	;; [unrolled: 2-line block ×8, first 2 shown]
	v_cndmask_b32_e64 v52, v7, 0, s[0:1]
	v_cndmask_b32_e64 v6, 0, v37, s[16:17]
	v_add_u32_e32 v50, v52, v68
	v_add_u32_e32 v35, v6, v18
	v_add_u32_e32 v48, v50, v66
	v_cndmask_b32_e64 v6, 0, v35, s[18:19]
	v_add_u32_e32 v46, v48, v65
	v_add_u32_e32 v33, v6, v71
	v_add_u32_e32 v44, v46, v64
	;; [unrolled: 4-line block ×3, first 2 shown]
	v_cndmask_b32_e64 v6, 0, v29, s[22:23]
	v_add_u32_e32 v38, v40, v61
	v_add_u32_e32 v27, v6, v70
	ds_read_b64 v[6:7], v17 offset:1064
	v_add_u32_e32 v36, v38, v60
	v_add_u32_e32 v34, v36, v59
	;; [unrolled: 1-line block ×3, first 2 shown]
	v_cndmask_b32_e64 v8, 0, v27, s[24:25]
	v_add_u32_e32 v28, v32, v57
	v_add_u32_e32 v25, v8, v16
	;; [unrolled: 1-line block ×3, first 2 shown]
	v_cndmask_b32_e32 v8, 0, v25, vcc
	s_waitcnt lgkmcnt(0)
	v_cmp_eq_u32_e32 vcc, 0, v6
	v_add_u32_e32 v24, v26, v55
	v_add_u32_e32 v21, v8, v69
	v_cndmask_b32_e32 v8, 0, v10, vcc
	v_add_u32_e32 v20, v24, v54
	v_add_u32_e32 v67, v8, v7
	s_and_saveexec_b64 s[2:3], s[0:1]
	s_cbranch_execz .LBB744_119
; %bb.118:
	s_add_u32 s4, s44, 0x400
	v_and_b32_e32 v7, 0xff000000, v67
	v_and_b32_e32 v8, 0xff0000, v67
	s_addc_u32 s5, s45, 0
	v_or_b32_e32 v7, v8, v7
	v_and_b32_e32 v8, 0xff00, v67
	v_and_b32_e32 v10, 0xff, v67
	v_mov_b32_e32 v9, 0
	v_or3_b32 v7, v7, v8, v10
	v_mov_b32_e32 v8, 2
	v_pk_mov_b32 v[10:11], s[4:5], s[4:5] op_sel:[0,1]
	;;#ASMSTART
	global_store_dwordx4 v[10:11], v[6:9] off	
s_waitcnt vmcnt(0)
	;;#ASMEND
.LBB744_119:
	s_or_b64 exec, exec, s[2:3]
	v_mov_b32_e32 v8, 0
.LBB744_120:
	s_and_b64 s[2:3], s[34:35], exec
	s_cselect_b32 s3, 0, s59
	s_cselect_b32 s2, 0, s58
	s_cmp_eq_u64 s[2:3], 0
	v_pk_mov_b32 v[16:17], 0, 0
	s_barrier
	s_cbranch_scc1 .LBB744_122
; %bb.121:
	v_mov_b32_e32 v7, 0
	global_load_dwordx2 v[16:17], v7, s[2:3]
.LBB744_122:
	s_waitcnt vmcnt(0)
	v_lshlrev_b64 v[10:11], 1, v[16:17]
	v_mov_b32_e32 v7, s43
	v_add_co_u32_e32 v18, vcc, s42, v10
	v_mov_b32_e32 v9, 0
	v_addc_co_u32_e32 v19, vcc, v7, v11, vcc
	v_lshlrev_b64 v[10:11], 1, v[8:9]
	v_add_co_u32_e32 v7, vcc, v18, v10
	v_addc_co_u32_e32 v18, vcc, v19, v11, vcc
	v_cmp_eq_u32_e32 vcc, 0, v68
	v_cndmask_b32_e64 v10, 1, 2, vcc
	v_cmp_eq_u32_e32 vcc, 0, v66
	v_cndmask_b32_e64 v11, 1, 2, vcc
	v_cmp_eq_u32_e32 vcc, 0, v65
	v_and_b32_e32 v10, v11, v10
	v_cndmask_b32_e64 v11, 1, 2, vcc
	v_cmp_eq_u32_e32 vcc, 0, v64
	v_and_b32_e32 v10, v10, v11
	;; [unrolled: 3-line block ×13, first 2 shown]
	v_cndmask_b32_e64 v11, 1, 2, vcc
	s_movk_i32 s34, 0x100
	v_and_b32_e32 v10, v10, v11
	v_cmp_gt_u32_e32 vcc, s34, v6
	v_cmp_ne_u32_e64 s[30:31], 0, v68
	v_cmp_ne_u32_e64 s[28:29], 0, v66
	;; [unrolled: 1-line block ×15, first 2 shown]
	s_mov_b64 s[40:41], -1
	v_cmp_gt_i16_e64 s[34:35], 2, v10
	s_cbranch_vccz .LBB744_171
; %bb.123:
	s_and_saveexec_b64 s[40:41], s[34:35]
	s_cbranch_execz .LBB744_170
; %bb.124:
	v_cmp_ne_u16_e32 vcc, 1, v10
	s_mov_b64 s[42:43], 0
	s_and_saveexec_b64 s[34:35], vcc
	s_xor_b64 s[34:35], exec, s[34:35]
	s_cbranch_execz .LBB744_148
; %bb.125:
	s_and_saveexec_b64 s[42:43], s[30:31]
	s_cbranch_execz .LBB744_153
; %bb.126:
	v_sub_u32_e32 v22, v52, v8
	v_mov_b32_e32 v23, 0
	v_lshlrev_b64 v[22:23], 1, v[22:23]
	v_add_co_u32_e32 v22, vcc, v7, v22
	v_addc_co_u32_e32 v23, vcc, v18, v23, vcc
	global_store_short v[22:23], v1, off
	s_or_b64 exec, exec, s[42:43]
	s_and_saveexec_b64 s[42:43], s[28:29]
	s_cbranch_execnz .LBB744_154
.LBB744_127:
	s_or_b64 exec, exec, s[42:43]
	s_and_saveexec_b64 s[42:43], s[26:27]
	s_cbranch_execz .LBB744_155
.LBB744_128:
	v_sub_u32_e32 v22, v48, v8
	v_mov_b32_e32 v23, 0
	v_lshlrev_b64 v[22:23], 1, v[22:23]
	v_add_co_u32_e32 v22, vcc, v7, v22
	v_addc_co_u32_e32 v23, vcc, v18, v23, vcc
	global_store_short_d16_hi v[22:23], v2, off
	s_or_b64 exec, exec, s[42:43]
	s_and_saveexec_b64 s[42:43], s[24:25]
	s_cbranch_execnz .LBB744_156
.LBB744_129:
	s_or_b64 exec, exec, s[42:43]
	s_and_saveexec_b64 s[42:43], s[22:23]
	s_cbranch_execz .LBB744_157
.LBB744_130:
	v_sub_u32_e32 v22, v44, v8
	v_mov_b32_e32 v23, 0
	v_lshlrev_b64 v[22:23], 1, v[22:23]
	v_add_co_u32_e32 v22, vcc, v7, v22
	v_addc_co_u32_e32 v23, vcc, v18, v23, vcc
	global_store_short_d16_hi v[22:23], v3, off
	s_or_b64 exec, exec, s[42:43]
	s_and_saveexec_b64 s[42:43], s[20:21]
	s_cbranch_execnz .LBB744_158
.LBB744_131:
	s_or_b64 exec, exec, s[42:43]
	s_and_saveexec_b64 s[42:43], s[18:19]
	s_cbranch_execz .LBB744_159
.LBB744_132:
	v_sub_u32_e32 v22, v40, v8
	v_mov_b32_e32 v23, 0
	v_lshlrev_b64 v[22:23], 1, v[22:23]
	v_add_co_u32_e32 v22, vcc, v7, v22
	v_addc_co_u32_e32 v23, vcc, v18, v23, vcc
	global_store_short_d16_hi v[22:23], v4, off
	s_or_b64 exec, exec, s[42:43]
	s_and_saveexec_b64 s[42:43], s[16:17]
	s_cbranch_execnz .LBB744_160
.LBB744_133:
	s_or_b64 exec, exec, s[42:43]
	s_and_saveexec_b64 s[42:43], s[14:15]
	s_cbranch_execz .LBB744_161
.LBB744_134:
	v_sub_u32_e32 v22, v36, v8
	v_mov_b32_e32 v23, 0
	v_lshlrev_b64 v[22:23], 1, v[22:23]
	v_add_co_u32_e32 v22, vcc, v7, v22
	v_addc_co_u32_e32 v23, vcc, v18, v23, vcc
	global_store_short_d16_hi v[22:23], v5, off
	s_or_b64 exec, exec, s[42:43]
	s_and_saveexec_b64 s[42:43], s[12:13]
	s_cbranch_execnz .LBB744_162
.LBB744_135:
	s_or_b64 exec, exec, s[42:43]
	s_and_saveexec_b64 s[42:43], s[10:11]
	s_cbranch_execz .LBB744_163
.LBB744_136:
	v_sub_u32_e32 v22, v32, v8
	v_mov_b32_e32 v23, 0
	v_lshlrev_b64 v[22:23], 1, v[22:23]
	v_add_co_u32_e32 v22, vcc, v7, v22
	v_addc_co_u32_e32 v23, vcc, v18, v23, vcc
	global_store_short_d16_hi v[22:23], v12, off
	s_or_b64 exec, exec, s[42:43]
	s_and_saveexec_b64 s[42:43], s[8:9]
	s_cbranch_execnz .LBB744_164
.LBB744_137:
	s_or_b64 exec, exec, s[42:43]
	s_and_saveexec_b64 s[42:43], s[6:7]
	s_cbranch_execz .LBB744_165
.LBB744_138:
	v_sub_u32_e32 v22, v26, v8
	v_mov_b32_e32 v23, 0
	v_lshlrev_b64 v[22:23], 1, v[22:23]
	v_add_co_u32_e32 v22, vcc, v7, v22
	v_addc_co_u32_e32 v23, vcc, v18, v23, vcc
	global_store_short_d16_hi v[22:23], v13, off
	s_or_b64 exec, exec, s[42:43]
	s_and_saveexec_b64 s[42:43], s[4:5]
	s_cbranch_execnz .LBB744_166
	s_branch .LBB744_167
.LBB744_139:
                                        ; implicit-def: $sgpr4_sgpr5
                                        ; implicit-def: $vgpr15
                                        ; implicit-def: $vgpr54
                                        ; implicit-def: $vgpr55
                                        ; implicit-def: $vgpr56
                                        ; implicit-def: $vgpr57
                                        ; implicit-def: $vgpr58
                                        ; implicit-def: $vgpr59
                                        ; implicit-def: $vgpr60
                                        ; implicit-def: $vgpr61
                                        ; implicit-def: $vgpr62
                                        ; implicit-def: $vgpr63
                                        ; implicit-def: $vgpr64
                                        ; implicit-def: $vgpr65
                                        ; implicit-def: $vgpr66
	s_cbranch_execz .LBB744_73
; %bb.140:
	v_cmp_ne_u16_sdwa s[4:5], v13, v14 src0_sel:WORD_1 src1_sel:DWORD
	v_cndmask_b32_e64 v54, 0, 1, s[4:5]
	v_cmp_ne_u16_sdwa s[4:5], v13, v13 src0_sel:DWORD src1_sel:WORD_1
	v_cndmask_b32_e64 v55, 0, 1, s[4:5]
	v_cmp_ne_u16_sdwa s[4:5], v12, v13 src0_sel:WORD_1 src1_sel:DWORD
	v_cndmask_b32_e64 v56, 0, 1, s[4:5]
	v_cmp_ne_u16_sdwa s[4:5], v12, v12 src0_sel:DWORD src1_sel:WORD_1
	v_cndmask_b32_e64 v57, 0, 1, s[4:5]
	v_cmp_ne_u16_sdwa s[4:5], v5, v12 src0_sel:WORD_1 src1_sel:DWORD
	v_cndmask_b32_e64 v58, 0, 1, s[4:5]
	v_cmp_ne_u16_sdwa s[4:5], v5, v5 src0_sel:DWORD src1_sel:WORD_1
	v_cndmask_b32_e64 v59, 0, 1, s[4:5]
	v_cmp_ne_u16_sdwa s[4:5], v4, v5 src0_sel:WORD_1 src1_sel:DWORD
	v_cndmask_b32_e64 v60, 0, 1, s[4:5]
	v_cmp_ne_u16_sdwa s[4:5], v4, v4 src0_sel:DWORD src1_sel:WORD_1
	v_cndmask_b32_e64 v61, 0, 1, s[4:5]
	v_cmp_ne_u16_sdwa s[4:5], v3, v4 src0_sel:WORD_1 src1_sel:DWORD
	v_lshrrev_b32_e32 v9, 16, v14
	v_cndmask_b32_e64 v62, 0, 1, s[4:5]
	v_cmp_ne_u16_sdwa s[4:5], v3, v3 src0_sel:DWORD src1_sel:WORD_1
	v_cmp_ne_u16_e32 vcc, v14, v9
	v_cndmask_b32_e64 v63, 0, 1, s[4:5]
	v_cmp_ne_u16_sdwa s[4:5], v2, v3 src0_sel:WORD_1 src1_sel:DWORD
	v_cndmask_b32_e64 v15, 0, 1, vcc
	v_cndmask_b32_e64 v64, 0, 1, s[4:5]
	v_cmp_ne_u16_sdwa s[4:5], v2, v2 src0_sel:DWORD src1_sel:WORD_1
	v_cmp_ne_u16_e32 vcc, v1, v2
	s_mov_b32 s12, 1
	v_lshlrev_b32_e32 v8, 1, v0
	v_cndmask_b32_e64 v65, 0, 1, s[4:5]
	v_cndmask_b32_e64 v66, 0, 1, vcc
	ds_write_b16 v8, v9
	s_waitcnt lgkmcnt(0)
	s_barrier
	s_waitcnt lgkmcnt(0)
                                        ; implicit-def: $sgpr4_sgpr5
	s_and_saveexec_b64 s[10:11], s[2:3]
	s_xor_b64 s[10:11], exec, s[10:11]
	s_cbranch_execz .LBB744_142
; %bb.141:
	v_add_u32_e32 v8, -2, v8
	ds_read_u16 v8, v8
	s_or_b64 s[6:7], s[6:7], exec
	s_waitcnt lgkmcnt(0)
	v_cmp_ne_u16_e32 vcc, v8, v1
	s_and_b64 s[4:5], vcc, exec
.LBB744_142:
	s_or_b64 exec, exec, s[10:11]
	s_branch .LBB744_75
.LBB744_143:
	s_mul_hi_u32 s5, s40, 0xfffff100
	s_mul_i32 s4, s41, 0xfffff100
	s_sub_i32 s5, s5, s40
	s_add_i32 s5, s5, s4
	s_mul_i32 s4, s40, 0xfffff100
	s_add_u32 s10, s4, s56
	s_addc_u32 s11, s5, s57
	s_and_b64 vcc, exec, s[8:9]
	s_cbranch_vccz .LBB744_150
; %bb.144:
	v_add_co_u32_e32 v6, vcc, -2, v6
	v_addc_co_u32_e32 v7, vcc, -1, v7, vcc
	flat_load_ushort v10, v[6:7]
	v_lshrrev_b32_e32 v11, 16, v14
	v_mad_u32_u24 v8, v0, 15, 14
	v_mov_b32_e32 v9, 0
	v_cmp_gt_u64_e32 vcc, s[10:11], v[8:9]
	v_cmp_ne_u16_e64 s[4:5], v14, v11
	v_mad_u32_u24 v8, v0, 15, 13
	s_and_b64 s[6:7], vcc, s[4:5]
	v_cmp_gt_u64_e32 vcc, s[10:11], v[8:9]
	v_cmp_ne_u16_sdwa s[4:5], v13, v14 src0_sel:WORD_1 src1_sel:DWORD
	v_mad_u32_u24 v8, v0, 15, 12
	s_and_b64 s[8:9], vcc, s[4:5]
	v_cmp_gt_u64_e32 vcc, s[10:11], v[8:9]
	v_cmp_ne_u16_sdwa s[4:5], v13, v13 src0_sel:DWORD src1_sel:WORD_1
	v_mad_u32_u24 v8, v0, 15, 11
	s_and_b64 s[12:13], vcc, s[4:5]
	v_cmp_gt_u64_e32 vcc, s[10:11], v[8:9]
	v_cmp_ne_u16_sdwa s[4:5], v12, v13 src0_sel:WORD_1 src1_sel:DWORD
	v_mad_u32_u24 v8, v0, 15, 10
	s_and_b64 s[14:15], vcc, s[4:5]
	v_cmp_gt_u64_e32 vcc, s[10:11], v[8:9]
	v_cmp_ne_u16_sdwa s[4:5], v12, v12 src0_sel:DWORD src1_sel:WORD_1
	;; [unrolled: 8-line block ×6, first 2 shown]
	v_mad_u32_u24 v8, v0, 15, 1
	s_and_b64 s[34:35], vcc, s[4:5]
	v_cmp_gt_u64_e32 vcc, s[10:11], v[8:9]
	v_cmp_ne_u16_e64 s[4:5], v1, v2
	v_lshlrev_b32_e32 v7, 1, v0
	v_mul_u32_u24_e32 v6, 15, v0
	s_and_b64 s[4:5], vcc, s[4:5]
	ds_write_b16 v7, v11
	s_waitcnt lgkmcnt(0)
	s_barrier
	s_and_saveexec_b64 s[40:41], s[2:3]
	s_cbranch_execz .LBB744_146
; %bb.145:
	v_add_u32_e32 v7, -2, v7
	s_waitcnt vmcnt(0)
	ds_read_u16 v10, v7
.LBB744_146:
	s_or_b64 exec, exec, s[40:41]
	v_mov_b32_e32 v7, v9
	v_cndmask_b32_e64 v66, 0, 1, s[4:5]
	v_cmp_gt_u64_e32 vcc, s[10:11], v[6:7]
	s_waitcnt vmcnt(0) lgkmcnt(0)
	v_cmp_ne_u16_e64 s[4:5], v10, v1
	v_cndmask_b32_e64 v15, 0, 1, s[6:7]
	v_cndmask_b32_e64 v54, 0, 1, s[8:9]
	;; [unrolled: 1-line block ×13, first 2 shown]
	s_and_b64 s[4:5], vcc, s[4:5]
	s_mov_b64 s[6:7], -1
.LBB744_147:
                                        ; implicit-def: $sgpr12
	v_mov_b32_e32 v68, s12
	s_and_saveexec_b64 s[2:3], s[6:7]
	s_cbranch_execnz .LBB744_76
	s_branch .LBB744_77
.LBB744_148:
	s_andn2_saveexec_b64 s[34:35], s[34:35]
	s_cbranch_execz .LBB744_168
.LBB744_149:
	v_sub_u32_e32 v22, v52, v8
	v_mov_b32_e32 v23, 0
	v_lshlrev_b64 v[30:31], 1, v[22:23]
	v_add_co_u32_e32 v30, vcc, v7, v30
	v_addc_co_u32_e32 v31, vcc, v18, v31, vcc
	v_sub_u32_e32 v22, v50, v8
	global_store_short v[30:31], v1, off
	v_lshlrev_b64 v[30:31], 1, v[22:23]
	v_add_co_u32_e32 v30, vcc, v7, v30
	v_addc_co_u32_e32 v31, vcc, v18, v31, vcc
	v_sub_u32_e32 v22, v48, v8
	global_store_short v[30:31], v2, off
	v_lshlrev_b64 v[30:31], 1, v[22:23]
	v_add_co_u32_e32 v30, vcc, v7, v30
	v_addc_co_u32_e32 v31, vcc, v18, v31, vcc
	v_sub_u32_e32 v22, v46, v8
	global_store_short_d16_hi v[30:31], v2, off
	v_lshlrev_b64 v[30:31], 1, v[22:23]
	v_add_co_u32_e32 v30, vcc, v7, v30
	v_addc_co_u32_e32 v31, vcc, v18, v31, vcc
	v_sub_u32_e32 v22, v44, v8
	global_store_short v[30:31], v3, off
	v_lshlrev_b64 v[30:31], 1, v[22:23]
	v_add_co_u32_e32 v30, vcc, v7, v30
	v_addc_co_u32_e32 v31, vcc, v18, v31, vcc
	v_sub_u32_e32 v22, v42, v8
	global_store_short_d16_hi v[30:31], v3, off
	v_lshlrev_b64 v[30:31], 1, v[22:23]
	v_add_co_u32_e32 v30, vcc, v7, v30
	v_addc_co_u32_e32 v31, vcc, v18, v31, vcc
	v_sub_u32_e32 v22, v40, v8
	global_store_short v[30:31], v4, off
	v_lshlrev_b64 v[30:31], 1, v[22:23]
	v_add_co_u32_e32 v30, vcc, v7, v30
	v_addc_co_u32_e32 v31, vcc, v18, v31, vcc
	v_sub_u32_e32 v22, v38, v8
	global_store_short_d16_hi v[30:31], v4, off
	v_lshlrev_b64 v[30:31], 1, v[22:23]
	v_add_co_u32_e32 v30, vcc, v7, v30
	v_addc_co_u32_e32 v31, vcc, v18, v31, vcc
	v_sub_u32_e32 v22, v36, v8
	global_store_short v[30:31], v5, off
	v_lshlrev_b64 v[30:31], 1, v[22:23]
	v_add_co_u32_e32 v30, vcc, v7, v30
	v_addc_co_u32_e32 v31, vcc, v18, v31, vcc
	v_sub_u32_e32 v22, v34, v8
	global_store_short_d16_hi v[30:31], v5, off
	v_lshlrev_b64 v[30:31], 1, v[22:23]
	v_add_co_u32_e32 v30, vcc, v7, v30
	v_addc_co_u32_e32 v31, vcc, v18, v31, vcc
	v_sub_u32_e32 v22, v32, v8
	global_store_short v[30:31], v12, off
	v_lshlrev_b64 v[30:31], 1, v[22:23]
	v_add_co_u32_e32 v30, vcc, v7, v30
	v_addc_co_u32_e32 v31, vcc, v18, v31, vcc
	v_sub_u32_e32 v22, v28, v8
	global_store_short_d16_hi v[30:31], v12, off
	v_lshlrev_b64 v[30:31], 1, v[22:23]
	v_add_co_u32_e32 v30, vcc, v7, v30
	v_addc_co_u32_e32 v31, vcc, v18, v31, vcc
	v_sub_u32_e32 v22, v26, v8
	global_store_short v[30:31], v13, off
	v_lshlrev_b64 v[30:31], 1, v[22:23]
	v_add_co_u32_e32 v30, vcc, v7, v30
	v_sub_u32_e32 v22, v24, v8
	v_addc_co_u32_e32 v31, vcc, v18, v31, vcc
	v_lshlrev_b64 v[22:23], 1, v[22:23]
	v_add_co_u32_e32 v22, vcc, v7, v22
	v_addc_co_u32_e32 v23, vcc, v18, v23, vcc
	s_or_b64 s[42:43], s[42:43], exec
	global_store_short_d16_hi v[30:31], v13, off
	global_store_short v[22:23], v14, off
	s_or_b64 exec, exec, s[34:35]
	s_and_b64 exec, exec, s[42:43]
	s_cbranch_execnz .LBB744_169
	s_branch .LBB744_170
.LBB744_150:
                                        ; implicit-def: $sgpr4_sgpr5
                                        ; implicit-def: $vgpr15
                                        ; implicit-def: $vgpr54
                                        ; implicit-def: $vgpr55
                                        ; implicit-def: $vgpr56
                                        ; implicit-def: $vgpr57
                                        ; implicit-def: $vgpr58
                                        ; implicit-def: $vgpr59
                                        ; implicit-def: $vgpr60
                                        ; implicit-def: $vgpr61
                                        ; implicit-def: $vgpr62
                                        ; implicit-def: $vgpr63
                                        ; implicit-def: $vgpr64
                                        ; implicit-def: $vgpr65
                                        ; implicit-def: $vgpr66
	s_cbranch_execz .LBB744_147
; %bb.151:
	v_lshrrev_b32_e32 v9, 16, v14
	v_mad_u32_u24 v6, v0, 15, 14
	v_mov_b32_e32 v7, 0
	v_cmp_gt_u64_e32 vcc, s[10:11], v[6:7]
	v_cmp_ne_u16_e64 s[4:5], v14, v9
	s_and_b64 s[4:5], vcc, s[4:5]
	v_mad_u32_u24 v6, v0, 15, 13
	v_cndmask_b32_e64 v15, 0, 1, s[4:5]
	v_cmp_gt_u64_e32 vcc, s[10:11], v[6:7]
	v_cmp_ne_u16_sdwa s[4:5], v13, v14 src0_sel:WORD_1 src1_sel:DWORD
	s_and_b64 s[4:5], vcc, s[4:5]
	v_mad_u32_u24 v6, v0, 15, 12
	v_cndmask_b32_e64 v54, 0, 1, s[4:5]
	v_cmp_gt_u64_e32 vcc, s[10:11], v[6:7]
	v_cmp_ne_u16_sdwa s[4:5], v13, v13 src0_sel:DWORD src1_sel:WORD_1
	s_and_b64 s[4:5], vcc, s[4:5]
	v_mad_u32_u24 v6, v0, 15, 11
	v_cndmask_b32_e64 v55, 0, 1, s[4:5]
	v_cmp_gt_u64_e32 vcc, s[10:11], v[6:7]
	v_cmp_ne_u16_sdwa s[4:5], v12, v13 src0_sel:WORD_1 src1_sel:DWORD
	s_and_b64 s[4:5], vcc, s[4:5]
	v_mad_u32_u24 v6, v0, 15, 10
	v_cndmask_b32_e64 v56, 0, 1, s[4:5]
	v_cmp_gt_u64_e32 vcc, s[10:11], v[6:7]
	v_cmp_ne_u16_sdwa s[4:5], v12, v12 src0_sel:DWORD src1_sel:WORD_1
	;; [unrolled: 10-line block ×6, first 2 shown]
	s_and_b64 s[4:5], vcc, s[4:5]
	v_mad_u32_u24 v6, v0, 15, 1
	v_cndmask_b32_e64 v65, 0, 1, s[4:5]
	v_cmp_gt_u64_e32 vcc, s[10:11], v[6:7]
	v_cmp_ne_u16_e64 s[4:5], v1, v2
	s_and_b64 s[4:5], vcc, s[4:5]
	s_mov_b32 s12, 1
	v_lshlrev_b32_e32 v8, 1, v0
	v_cndmask_b32_e64 v66, 0, 1, s[4:5]
	ds_write_b16 v8, v9
	s_waitcnt lgkmcnt(0)
	s_barrier
	s_waitcnt lgkmcnt(0)
                                        ; implicit-def: $sgpr4_sgpr5
	s_and_saveexec_b64 s[8:9], s[2:3]
	s_cbranch_execz .LBB744_190
; %bb.152:
	v_add_u32_e32 v6, -2, v8
	ds_read_u16 v8, v6
	v_mul_u32_u24_e32 v6, 15, v0
	v_cmp_gt_u64_e32 vcc, s[10:11], v[6:7]
	s_or_b64 s[6:7], s[6:7], exec
	s_waitcnt lgkmcnt(0)
	v_cmp_ne_u16_e64 s[2:3], v8, v1
	s_and_b64 s[2:3], vcc, s[2:3]
	s_and_b64 s[4:5], s[2:3], exec
	s_or_b64 exec, exec, s[8:9]
	v_mov_b32_e32 v68, s12
	s_and_saveexec_b64 s[2:3], s[6:7]
	s_cbranch_execz .LBB744_77
	s_branch .LBB744_76
.LBB744_153:
	s_or_b64 exec, exec, s[42:43]
	s_and_saveexec_b64 s[42:43], s[28:29]
	s_cbranch_execz .LBB744_127
.LBB744_154:
	v_sub_u32_e32 v22, v50, v8
	v_mov_b32_e32 v23, 0
	v_lshlrev_b64 v[22:23], 1, v[22:23]
	v_add_co_u32_e32 v22, vcc, v7, v22
	v_addc_co_u32_e32 v23, vcc, v18, v23, vcc
	global_store_short v[22:23], v2, off
	s_or_b64 exec, exec, s[42:43]
	s_and_saveexec_b64 s[42:43], s[26:27]
	s_cbranch_execnz .LBB744_128
.LBB744_155:
	s_or_b64 exec, exec, s[42:43]
	s_and_saveexec_b64 s[42:43], s[24:25]
	s_cbranch_execz .LBB744_129
.LBB744_156:
	v_sub_u32_e32 v22, v46, v8
	v_mov_b32_e32 v23, 0
	v_lshlrev_b64 v[22:23], 1, v[22:23]
	v_add_co_u32_e32 v22, vcc, v7, v22
	v_addc_co_u32_e32 v23, vcc, v18, v23, vcc
	global_store_short v[22:23], v3, off
	s_or_b64 exec, exec, s[42:43]
	s_and_saveexec_b64 s[42:43], s[22:23]
	s_cbranch_execnz .LBB744_130
.LBB744_157:
	s_or_b64 exec, exec, s[42:43]
	s_and_saveexec_b64 s[42:43], s[20:21]
	s_cbranch_execz .LBB744_131
.LBB744_158:
	v_sub_u32_e32 v22, v42, v8
	v_mov_b32_e32 v23, 0
	v_lshlrev_b64 v[22:23], 1, v[22:23]
	v_add_co_u32_e32 v22, vcc, v7, v22
	v_addc_co_u32_e32 v23, vcc, v18, v23, vcc
	global_store_short v[22:23], v4, off
	s_or_b64 exec, exec, s[42:43]
	s_and_saveexec_b64 s[42:43], s[18:19]
	s_cbranch_execnz .LBB744_132
.LBB744_159:
	s_or_b64 exec, exec, s[42:43]
	s_and_saveexec_b64 s[42:43], s[16:17]
	s_cbranch_execz .LBB744_133
.LBB744_160:
	v_sub_u32_e32 v22, v38, v8
	v_mov_b32_e32 v23, 0
	v_lshlrev_b64 v[22:23], 1, v[22:23]
	v_add_co_u32_e32 v22, vcc, v7, v22
	v_addc_co_u32_e32 v23, vcc, v18, v23, vcc
	global_store_short v[22:23], v5, off
	s_or_b64 exec, exec, s[42:43]
	s_and_saveexec_b64 s[42:43], s[14:15]
	s_cbranch_execnz .LBB744_134
.LBB744_161:
	s_or_b64 exec, exec, s[42:43]
	s_and_saveexec_b64 s[42:43], s[12:13]
	s_cbranch_execz .LBB744_135
.LBB744_162:
	v_sub_u32_e32 v22, v34, v8
	v_mov_b32_e32 v23, 0
	v_lshlrev_b64 v[22:23], 1, v[22:23]
	v_add_co_u32_e32 v22, vcc, v7, v22
	v_addc_co_u32_e32 v23, vcc, v18, v23, vcc
	global_store_short v[22:23], v12, off
	s_or_b64 exec, exec, s[42:43]
	s_and_saveexec_b64 s[42:43], s[10:11]
	s_cbranch_execnz .LBB744_136
.LBB744_163:
	s_or_b64 exec, exec, s[42:43]
	s_and_saveexec_b64 s[42:43], s[8:9]
	s_cbranch_execz .LBB744_137
.LBB744_164:
	v_sub_u32_e32 v22, v28, v8
	v_mov_b32_e32 v23, 0
	v_lshlrev_b64 v[22:23], 1, v[22:23]
	v_add_co_u32_e32 v22, vcc, v7, v22
	v_addc_co_u32_e32 v23, vcc, v18, v23, vcc
	global_store_short v[22:23], v13, off
	s_or_b64 exec, exec, s[42:43]
	s_and_saveexec_b64 s[42:43], s[6:7]
	s_cbranch_execnz .LBB744_138
.LBB744_165:
	s_or_b64 exec, exec, s[42:43]
	s_and_saveexec_b64 s[42:43], s[4:5]
	s_cbranch_execz .LBB744_167
.LBB744_166:
	v_sub_u32_e32 v22, v24, v8
	v_mov_b32_e32 v23, 0
	v_lshlrev_b64 v[22:23], 1, v[22:23]
	v_add_co_u32_e32 v22, vcc, v7, v22
	v_addc_co_u32_e32 v23, vcc, v18, v23, vcc
	global_store_short v[22:23], v14, off
.LBB744_167:
	s_or_b64 exec, exec, s[42:43]
	s_and_b64 s[42:43], s[2:3], exec
	s_andn2_saveexec_b64 s[34:35], s[34:35]
	s_cbranch_execnz .LBB744_149
.LBB744_168:
	s_or_b64 exec, exec, s[34:35]
	s_and_b64 exec, exec, s[42:43]
	s_cbranch_execz .LBB744_170
.LBB744_169:
	v_sub_u32_e32 v22, v20, v8
	v_mov_b32_e32 v23, 0
	v_lshlrev_b64 v[22:23], 1, v[22:23]
	v_add_co_u32_e32 v22, vcc, v7, v22
	v_addc_co_u32_e32 v23, vcc, v18, v23, vcc
	global_store_short_d16_hi v[22:23], v14, off
.LBB744_170:
	s_or_b64 exec, exec, s[40:41]
	s_mov_b64 s[40:41], 0
.LBB744_171:
	s_and_b64 vcc, exec, s[40:41]
	s_cbranch_vccz .LBB744_224
; %bb.172:
	v_cmp_gt_i16_e32 vcc, 2, v10
	s_and_saveexec_b64 s[34:35], vcc
	s_cbranch_execz .LBB744_208
; %bb.173:
	v_cmp_ne_u16_e32 vcc, 1, v10
	s_mov_b64 s[42:43], 0
	s_and_saveexec_b64 s[40:41], vcc
	s_xor_b64 s[40:41], exec, s[40:41]
	s_cbranch_execz .LBB744_188
; %bb.174:
	s_and_saveexec_b64 s[42:43], s[30:31]
	s_cbranch_execz .LBB744_191
; %bb.175:
	v_sub_u32_e32 v10, v52, v8
	v_lshlrev_b32_e32 v10, 1, v10
	ds_write_b16 v10, v1
	s_or_b64 exec, exec, s[42:43]
	s_and_saveexec_b64 s[30:31], s[28:29]
	s_cbranch_execnz .LBB744_192
.LBB744_176:
	s_or_b64 exec, exec, s[30:31]
	s_and_saveexec_b64 s[28:29], s[26:27]
	s_cbranch_execz .LBB744_193
.LBB744_177:
	v_sub_u32_e32 v1, v48, v8
	v_lshlrev_b32_e32 v1, 1, v1
	ds_write_b16_d16_hi v1, v2
	s_or_b64 exec, exec, s[28:29]
	s_and_saveexec_b64 s[26:27], s[24:25]
	s_cbranch_execnz .LBB744_194
.LBB744_178:
	s_or_b64 exec, exec, s[26:27]
	s_and_saveexec_b64 s[24:25], s[22:23]
	s_cbranch_execz .LBB744_195
.LBB744_179:
	v_sub_u32_e32 v1, v44, v8
	v_lshlrev_b32_e32 v1, 1, v1
	ds_write_b16_d16_hi v1, v3
	s_or_b64 exec, exec, s[24:25]
	s_and_saveexec_b64 s[22:23], s[20:21]
	s_cbranch_execnz .LBB744_196
.LBB744_180:
	s_or_b64 exec, exec, s[22:23]
	s_and_saveexec_b64 s[20:21], s[18:19]
	s_cbranch_execz .LBB744_197
.LBB744_181:
	v_sub_u32_e32 v1, v40, v8
	v_lshlrev_b32_e32 v1, 1, v1
	ds_write_b16_d16_hi v1, v4
	s_or_b64 exec, exec, s[20:21]
	s_and_saveexec_b64 s[18:19], s[16:17]
	s_cbranch_execnz .LBB744_198
.LBB744_182:
	s_or_b64 exec, exec, s[18:19]
	s_and_saveexec_b64 s[16:17], s[14:15]
	s_cbranch_execz .LBB744_199
.LBB744_183:
	v_sub_u32_e32 v1, v36, v8
	v_lshlrev_b32_e32 v1, 1, v1
	ds_write_b16_d16_hi v1, v5
	s_or_b64 exec, exec, s[16:17]
	s_and_saveexec_b64 s[14:15], s[12:13]
	s_cbranch_execnz .LBB744_200
.LBB744_184:
	s_or_b64 exec, exec, s[14:15]
	s_and_saveexec_b64 s[12:13], s[10:11]
	s_cbranch_execz .LBB744_201
.LBB744_185:
	v_sub_u32_e32 v1, v32, v8
	v_lshlrev_b32_e32 v1, 1, v1
	ds_write_b16_d16_hi v1, v12
	s_or_b64 exec, exec, s[12:13]
	s_and_saveexec_b64 s[10:11], s[8:9]
	s_cbranch_execnz .LBB744_202
.LBB744_186:
	s_or_b64 exec, exec, s[10:11]
	s_and_saveexec_b64 s[8:9], s[6:7]
	s_cbranch_execz .LBB744_203
.LBB744_187:
	v_sub_u32_e32 v1, v26, v8
	v_lshlrev_b32_e32 v1, 1, v1
	ds_write_b16_d16_hi v1, v13
	s_or_b64 exec, exec, s[8:9]
	s_and_saveexec_b64 s[6:7], s[4:5]
	s_cbranch_execnz .LBB744_204
	s_branch .LBB744_205
.LBB744_188:
	s_andn2_saveexec_b64 s[2:3], s[40:41]
	s_cbranch_execz .LBB744_206
.LBB744_189:
	v_sub_u32_e32 v10, v52, v8
	v_lshlrev_b32_e32 v10, 1, v10
	ds_write_b16 v10, v1
	v_sub_u32_e32 v1, v50, v8
	v_lshlrev_b32_e32 v1, 1, v1
	ds_write_b16 v1, v2
	v_sub_u32_e32 v1, v48, v8
	v_lshlrev_b32_e32 v1, 1, v1
	ds_write_b16_d16_hi v1, v2
	v_sub_u32_e32 v1, v46, v8
	v_lshlrev_b32_e32 v1, 1, v1
	ds_write_b16 v1, v3
	v_sub_u32_e32 v1, v44, v8
	v_lshlrev_b32_e32 v1, 1, v1
	ds_write_b16_d16_hi v1, v3
	;; [unrolled: 6-line block ×6, first 2 shown]
	v_sub_u32_e32 v1, v24, v8
	v_lshlrev_b32_e32 v1, 1, v1
	s_or_b64 s[42:43], s[42:43], exec
	ds_write_b16 v1, v14
	s_or_b64 exec, exec, s[2:3]
	s_and_b64 exec, exec, s[42:43]
	s_cbranch_execnz .LBB744_207
	s_branch .LBB744_208
.LBB744_190:
	s_or_b64 exec, exec, s[8:9]
	v_mov_b32_e32 v68, s12
	s_and_saveexec_b64 s[2:3], s[6:7]
	s_cbranch_execnz .LBB744_76
	s_branch .LBB744_77
.LBB744_191:
	s_or_b64 exec, exec, s[42:43]
	s_and_saveexec_b64 s[30:31], s[28:29]
	s_cbranch_execz .LBB744_176
.LBB744_192:
	v_sub_u32_e32 v1, v50, v8
	v_lshlrev_b32_e32 v1, 1, v1
	ds_write_b16 v1, v2
	s_or_b64 exec, exec, s[30:31]
	s_and_saveexec_b64 s[28:29], s[26:27]
	s_cbranch_execnz .LBB744_177
.LBB744_193:
	s_or_b64 exec, exec, s[28:29]
	s_and_saveexec_b64 s[26:27], s[24:25]
	s_cbranch_execz .LBB744_178
.LBB744_194:
	v_sub_u32_e32 v1, v46, v8
	v_lshlrev_b32_e32 v1, 1, v1
	ds_write_b16 v1, v3
	s_or_b64 exec, exec, s[26:27]
	s_and_saveexec_b64 s[24:25], s[22:23]
	s_cbranch_execnz .LBB744_179
.LBB744_195:
	s_or_b64 exec, exec, s[24:25]
	s_and_saveexec_b64 s[22:23], s[20:21]
	s_cbranch_execz .LBB744_180
.LBB744_196:
	v_sub_u32_e32 v1, v42, v8
	v_lshlrev_b32_e32 v1, 1, v1
	ds_write_b16 v1, v4
	s_or_b64 exec, exec, s[22:23]
	s_and_saveexec_b64 s[20:21], s[18:19]
	s_cbranch_execnz .LBB744_181
.LBB744_197:
	s_or_b64 exec, exec, s[20:21]
	s_and_saveexec_b64 s[18:19], s[16:17]
	s_cbranch_execz .LBB744_182
.LBB744_198:
	v_sub_u32_e32 v1, v38, v8
	v_lshlrev_b32_e32 v1, 1, v1
	ds_write_b16 v1, v5
	s_or_b64 exec, exec, s[18:19]
	s_and_saveexec_b64 s[16:17], s[14:15]
	s_cbranch_execnz .LBB744_183
.LBB744_199:
	s_or_b64 exec, exec, s[16:17]
	s_and_saveexec_b64 s[14:15], s[12:13]
	s_cbranch_execz .LBB744_184
.LBB744_200:
	v_sub_u32_e32 v1, v34, v8
	v_lshlrev_b32_e32 v1, 1, v1
	ds_write_b16 v1, v12
	s_or_b64 exec, exec, s[14:15]
	s_and_saveexec_b64 s[12:13], s[10:11]
	s_cbranch_execnz .LBB744_185
.LBB744_201:
	s_or_b64 exec, exec, s[12:13]
	s_and_saveexec_b64 s[10:11], s[8:9]
	s_cbranch_execz .LBB744_186
.LBB744_202:
	v_sub_u32_e32 v1, v28, v8
	v_lshlrev_b32_e32 v1, 1, v1
	ds_write_b16 v1, v13
	s_or_b64 exec, exec, s[10:11]
	s_and_saveexec_b64 s[8:9], s[6:7]
	s_cbranch_execnz .LBB744_187
.LBB744_203:
	s_or_b64 exec, exec, s[8:9]
	s_and_saveexec_b64 s[6:7], s[4:5]
	s_cbranch_execz .LBB744_205
.LBB744_204:
	v_sub_u32_e32 v1, v24, v8
	v_lshlrev_b32_e32 v1, 1, v1
	ds_write_b16 v1, v14
.LBB744_205:
	s_or_b64 exec, exec, s[6:7]
	s_and_b64 s[42:43], s[2:3], exec
                                        ; implicit-def: $vgpr1
                                        ; implicit-def: $vgpr2
	s_andn2_saveexec_b64 s[2:3], s[40:41]
	s_cbranch_execnz .LBB744_189
.LBB744_206:
	s_or_b64 exec, exec, s[2:3]
	s_and_b64 exec, exec, s[42:43]
	s_cbranch_execz .LBB744_208
.LBB744_207:
	v_sub_u32_e32 v1, v20, v8
	v_lshlrev_b32_e32 v1, 1, v1
	ds_write_b16_d16_hi v1, v14
.LBB744_208:
	s_or_b64 exec, exec, s[34:35]
	v_cmp_lt_u32_e32 vcc, v0, v6
	s_waitcnt lgkmcnt(0)
	s_barrier
	s_and_saveexec_b64 s[4:5], vcc
	s_cbranch_execz .LBB744_223
; %bb.209:
	v_xad_u32 v1, v0, -1, v6
	s_movk_i32 s2, 0x1700
	v_cmp_gt_u32_e64 s[6:7], s2, v1
	s_movk_i32 s2, 0x16ff
	v_cmp_lt_u32_e32 vcc, s2, v1
	v_mov_b32_e32 v2, v0
	s_and_saveexec_b64 s[8:9], vcc
	s_cbranch_execz .LBB744_220
; %bb.210:
	v_sub_u32_e32 v2, v0, v6
	v_or_b32_e32 v2, 0xff, v2
	v_cmp_ge_u32_e32 vcc, v2, v0
	s_mov_b64 s[2:3], -1
	v_mov_b32_e32 v2, v0
	s_and_saveexec_b64 s[10:11], vcc
	s_cbranch_execz .LBB744_219
; %bb.211:
	v_lshrrev_b32_e32 v14, 8, v1
	v_or_b32_e32 v3, 0x300, v0
	v_or_b32_e32 v2, 0x200, v0
	v_add_u32_e32 v4, -3, v14
	v_or_b32_e32 v1, 0x100, v0
	v_lshrrev_b32_e32 v5, 2, v4
	v_pk_mov_b32 v[12:13], v[2:3], v[2:3] op_sel:[0,1]
	v_add_u32_e32 v22, 1, v5
	v_cmp_lt_u32_e32 vcc, 11, v4
	v_mov_b32_e32 v31, 0
	v_lshlrev_b32_e32 v19, 1, v0
	v_pk_mov_b32 v[10:11], v[0:1], v[0:1] op_sel:[0,1]
	s_and_saveexec_b64 s[12:13], vcc
	s_cbranch_execz .LBB744_215
; %bb.212:
	v_pk_mov_b32 v[12:13], v[2:3], v[2:3] op_sel:[0,1]
	v_and_b32_e32 v23, 0x7ffffffc, v22
	s_mov_b32 s16, 0
	s_mov_b64 s[14:15], 0
	v_mov_b32_e32 v5, 0
	v_mov_b32_e32 v30, v19
	v_pk_mov_b32 v[10:11], v[0:1], v[0:1] op_sel:[0,1]
.LBB744_213:                            ; =>This Inner Loop Header: Depth=1
	v_mov_b32_e32 v4, v10
	v_lshlrev_b64 v[86:87], 1, v[4:5]
	v_add_u32_e32 v72, 0x400, v11
	v_mov_b32_e32 v73, v5
	v_add_co_u32_e64 v86, s[2:3], v7, v86
	v_lshlrev_b64 v[72:73], 1, v[72:73]
	v_addc_co_u32_e64 v87, s[2:3], v18, v87, s[2:3]
	v_add_u32_e32 v70, 0x400, v12
	v_mov_b32_e32 v71, v5
	v_add_co_u32_e64 v72, s[2:3], v7, v72
	v_lshlrev_b64 v[70:71], 1, v[70:71]
	v_addc_co_u32_e64 v73, s[2:3], v18, v73, s[2:3]
	v_add_u32_e32 v2, 0x400, v13
	v_mov_b32_e32 v3, v5
	v_add_co_u32_e64 v70, s[2:3], v7, v70
	v_add_u32_e32 v23, -4, v23
	v_mov_b32_e32 v4, v11
	v_lshlrev_b64 v[2:3], 1, v[2:3]
	v_addc_co_u32_e64 v71, s[2:3], v18, v71, s[2:3]
	v_add_u32_e32 v78, 0x800, v11
	v_mov_b32_e32 v79, v5
	s_add_i32 s16, s16, 16
	v_cmp_eq_u32_e32 vcc, 0, v23
	v_lshlrev_b64 v[88:89], 1, v[4:5]
	v_add_co_u32_e64 v2, s[2:3], v7, v2
	v_lshlrev_b64 v[78:79], 1, v[78:79]
	v_mov_b32_e32 v4, v12
	v_addc_co_u32_e64 v3, s[2:3], v18, v3, s[2:3]
	s_or_b64 s[14:15], vcc, s[14:15]
	v_add_co_u32_e32 v88, vcc, v7, v88
	v_add_u32_e32 v76, 0x800, v12
	v_mov_b32_e32 v77, v5
	v_add_co_u32_e64 v78, s[2:3], v7, v78
	v_addc_co_u32_e32 v89, vcc, v18, v89, vcc
	v_lshlrev_b64 v[90:91], 1, v[4:5]
	v_lshlrev_b64 v[76:77], 1, v[76:77]
	v_addc_co_u32_e64 v79, s[2:3], v18, v79, s[2:3]
	v_mov_b32_e32 v4, v13
	v_add_co_u32_e32 v90, vcc, v7, v90
	ds_read_u16 v1, v30
	ds_read_u16 v69, v30 offset:512
	ds_read_u16 v94, v30 offset:1024
	;; [unrolled: 1-line block ×7, first 2 shown]
	v_add_u32_e32 v74, 0x800, v13
	v_mov_b32_e32 v75, v5
	v_add_co_u32_e64 v76, s[2:3], v7, v76
	v_addc_co_u32_e32 v91, vcc, v18, v91, vcc
	v_lshlrev_b64 v[92:93], 1, v[4:5]
	v_lshlrev_b64 v[74:75], 1, v[74:75]
	v_addc_co_u32_e64 v77, s[2:3], v18, v77, s[2:3]
	v_add_u32_e32 v4, 0x400, v10
	v_add_co_u32_e32 v92, vcc, v7, v92
	v_add_u32_e32 v84, 0xc00, v11
	v_mov_b32_e32 v85, v5
	ds_read_u16 v100, v30 offset:4096
	ds_read_u16 v101, v30 offset:4608
	;; [unrolled: 1-line block ×8, first 2 shown]
	v_add_co_u32_e64 v74, s[2:3], v7, v74
	v_addc_co_u32_e32 v93, vcc, v18, v93, vcc
	s_waitcnt lgkmcnt(14)
	global_store_short v[86:87], v1, off
	global_store_short v[88:89], v69, off
	s_waitcnt lgkmcnt(13)
	global_store_short v[90:91], v94, off
	v_lshlrev_b64 v[86:87], 1, v[4:5]
	v_lshlrev_b64 v[84:85], 1, v[84:85]
	v_addc_co_u32_e64 v75, s[2:3], v18, v75, s[2:3]
	v_add_u32_e32 v4, 0x800, v10
	v_add_co_u32_e32 v86, vcc, v7, v86
	v_add_u32_e32 v82, 0xc00, v12
	v_mov_b32_e32 v83, v5
	v_add_co_u32_e64 v84, s[2:3], v7, v84
	v_addc_co_u32_e32 v87, vcc, v18, v87, vcc
	v_lshlrev_b64 v[88:89], 1, v[4:5]
	v_lshlrev_b64 v[82:83], 1, v[82:83]
	v_addc_co_u32_e64 v85, s[2:3], v18, v85, s[2:3]
	s_waitcnt lgkmcnt(12)
	global_store_short v[92:93], v95, off
	v_add_u32_e32 v4, 0xc00, v10
	s_waitcnt lgkmcnt(11)
	global_store_short v[86:87], v96, off
	s_waitcnt lgkmcnt(10)
	global_store_short v[72:73], v97, off
	;; [unrolled: 2-line block ×4, first 2 shown]
	v_add_co_u32_e32 v2, vcc, v7, v88
	v_add_u32_e32 v80, 0xc00, v13
	v_mov_b32_e32 v81, v5
	v_add_co_u32_e64 v82, s[2:3], v7, v82
	v_addc_co_u32_e32 v3, vcc, v18, v89, vcc
	v_lshlrev_b64 v[70:71], 1, v[4:5]
	v_lshlrev_b64 v[80:81], 1, v[80:81]
	v_addc_co_u32_e64 v83, s[2:3], v18, v83, s[2:3]
	s_waitcnt lgkmcnt(7)
	global_store_short v[2:3], v100, off
	s_waitcnt lgkmcnt(6)
	global_store_short v[78:79], v101, off
	;; [unrolled: 2-line block ×4, first 2 shown]
	v_add_co_u32_e32 v2, vcc, v7, v70
	v_add_u32_e32 v30, 0x2000, v30
	v_add_u32_e32 v11, 0x1000, v11
	v_mov_b32_e32 v31, s16
	v_add_co_u32_e64 v80, s[2:3], v7, v80
	v_add_u32_e32 v12, 0x1000, v12
	v_add_u32_e32 v13, 0x1000, v13
	;; [unrolled: 1-line block ×3, first 2 shown]
	v_addc_co_u32_e32 v3, vcc, v18, v71, vcc
	v_addc_co_u32_e64 v81, s[2:3], v18, v81, s[2:3]
	s_waitcnt lgkmcnt(3)
	global_store_short v[2:3], v104, off
	s_waitcnt lgkmcnt(2)
	global_store_short v[84:85], v105, off
	;; [unrolled: 2-line block ×4, first 2 shown]
	s_andn2_b64 exec, exec, s[14:15]
	s_cbranch_execnz .LBB744_213
; %bb.214:
	s_or_b64 exec, exec, s[14:15]
.LBB744_215:
	s_or_b64 exec, exec, s[12:13]
	v_and_b32_e32 v1, 3, v22
	v_cmp_ne_u32_e32 vcc, 0, v1
	s_and_saveexec_b64 s[12:13], vcc
	s_cbranch_execz .LBB744_218
; %bb.216:
	v_lshl_or_b32 v4, v31, 9, v19
	s_mov_b64 s[14:15], 0
	v_mov_b32_e32 v3, 0
.LBB744_217:                            ; =>This Inner Loop Header: Depth=1
	v_mov_b32_e32 v2, v10
	v_add_u32_e32 v1, -1, v1
	v_lshlrev_b64 v[22:23], 1, v[2:3]
	v_mov_b32_e32 v2, v11
	v_cmp_eq_u32_e32 vcc, 0, v1
	v_lshlrev_b64 v[30:31], 1, v[2:3]
	ds_read_u16 v5, v4
	ds_read_u16 v19, v4 offset:512
	ds_read_u16 v69, v4 offset:1024
	;; [unrolled: 1-line block ×3, first 2 shown]
	v_mov_b32_e32 v2, v12
	s_or_b64 s[14:15], vcc, s[14:15]
	v_add_co_u32_e32 v30, vcc, v7, v30
	v_addc_co_u32_e32 v31, vcc, v18, v31, vcc
	v_lshlrev_b64 v[70:71], 1, v[2:3]
	v_mov_b32_e32 v2, v13
	v_add_co_u32_e32 v70, vcc, v7, v70
	v_add_co_u32_e64 v22, s[2:3], v7, v22
	v_addc_co_u32_e32 v71, vcc, v18, v71, vcc
	v_lshlrev_b64 v[72:73], 1, v[2:3]
	v_add_u32_e32 v10, 0x400, v10
	v_add_u32_e32 v4, 0x800, v4
	;; [unrolled: 1-line block ×3, first 2 shown]
	v_addc_co_u32_e64 v23, s[2:3], v18, v23, s[2:3]
	v_add_u32_e32 v12, 0x400, v12
	v_add_u32_e32 v13, 0x400, v13
	v_add_co_u32_e32 v72, vcc, v7, v72
	v_addc_co_u32_e32 v73, vcc, v18, v73, vcc
	s_waitcnt lgkmcnt(3)
	global_store_short v[22:23], v5, off
	s_waitcnt lgkmcnt(2)
	global_store_short v[30:31], v19, off
	s_waitcnt lgkmcnt(1)
	global_store_short v[70:71], v69, off
	s_waitcnt lgkmcnt(0)
	global_store_short v[72:73], v74, off
	s_andn2_b64 exec, exec, s[14:15]
	s_cbranch_execnz .LBB744_217
.LBB744_218:
	s_or_b64 exec, exec, s[12:13]
	v_add_u32_e32 v1, 1, v14
	v_and_b32_e32 v3, 0x1fffffc, v1
	v_cmp_ne_u32_e32 vcc, v1, v3
	v_lshl_or_b32 v2, v3, 8, v0
	s_orn2_b64 s[2:3], vcc, exec
.LBB744_219:
	s_or_b64 exec, exec, s[10:11]
	s_andn2_b64 s[6:7], s[6:7], exec
	s_and_b64 s[2:3], s[2:3], exec
	s_or_b64 s[6:7], s[6:7], s[2:3]
.LBB744_220:
	s_or_b64 exec, exec, s[8:9]
	s_and_b64 exec, exec, s[6:7]
	s_cbranch_execz .LBB744_223
; %bb.221:
	v_lshlrev_b32_e32 v1, 1, v2
	s_mov_b64 s[2:3], 0
	v_mov_b32_e32 v3, 0
.LBB744_222:                            ; =>This Inner Loop Header: Depth=1
	v_lshlrev_b64 v[4:5], 1, v[2:3]
	ds_read_u16 v10, v1
	v_add_co_u32_e32 v4, vcc, v7, v4
	v_add_u32_e32 v2, 0x100, v2
	v_addc_co_u32_e32 v5, vcc, v18, v5, vcc
	v_cmp_ge_u32_e32 vcc, v2, v6
	v_add_u32_e32 v1, 0x200, v1
	s_or_b64 s[2:3], vcc, s[2:3]
	s_waitcnt lgkmcnt(0)
	global_store_short v[4:5], v10, off
	s_andn2_b64 exec, exec, s[2:3]
	s_cbranch_execnz .LBB744_222
.LBB744_223:
	s_or_b64 exec, exec, s[4:5]
.LBB744_224:
	s_cmpk_lg_i32 s33, 0xf00
	s_cselect_b64 s[2:3], -1, 0
	v_cndmask_b32_e64 v1, 0, 1, s[38:39]
	s_and_b64 s[2:3], s[2:3], s[36:37]
	v_sub_u32_e32 v3, v6, v1
	v_cndmask_b32_e64 v2, 0, 1, s[2:3]
	s_and_b64 s[0:1], s[0:1], s[38:39]
	v_add_u32_e32 v7, v3, v2
	v_cndmask_b32_e64 v3, v68, 0, s[0:1]
	s_mul_hi_u32 s0, s33, 0x88888889
	s_lshr_b32 s0, s0, 3
	v_mad_i32_i24 v4, v0, -15, s33
	v_cmp_eq_u32_e32 vcc, s0, v0
	v_cmp_ne_u32_e64 s[0:1], 0, v4
	v_cndmask_b32_e64 v5, 1, v3, s[0:1]
	v_cmp_ne_u32_e64 s[0:1], 1, v4
	v_cndmask_b32_e64 v10, 1, v66, s[0:1]
	;; [unrolled: 2-line block ×15, first 2 shown]
	s_and_b64 vcc, vcc, s[36:37]
	v_cndmask_b32_e32 v15, v15, v4, vcc
	v_cndmask_b32_e32 v22, v59, v22, vcc
	;; [unrolled: 1-line block ×3, first 2 shown]
	v_lshlrev_b64 v[4:5], 2, v[16:17]
	v_cndmask_b32_e32 v54, v54, v69, vcc
	v_cndmask_b32_e32 v55, v55, v68, vcc
	;; [unrolled: 1-line block ×12, first 2 shown]
	v_mov_b32_e32 v3, s53
	v_add_co_u32_e32 v10, vcc, s52, v4
	v_addc_co_u32_e32 v3, vcc, v3, v5, vcc
	v_lshlrev_b64 v[4:5], 2, v[8:9]
	v_add_co_u32_e32 v9, vcc, v10, v4
	v_addc_co_u32_e32 v10, vcc, v3, v5, vcc
	v_lshlrev_b32_e32 v3, 2, v1
	v_add_co_u32_e32 v3, vcc, v3, v9
	v_addc_co_u32_e32 v4, vcc, 0, v10, vcc
	v_add_co_u32_e32 v11, vcc, -4, v3
	v_addc_co_u32_e32 v12, vcc, -1, v4, vcc
	v_cmp_eq_u32_e32 vcc, 0, v59
	v_cndmask_b32_e64 v4, 1, 2, vcc
	v_cmp_eq_u32_e32 vcc, 0, v58
	v_cndmask_b32_e64 v5, 1, 2, vcc
	v_cmp_eq_u32_e32 vcc, 0, v57
	v_and_b32_e32 v4, v5, v4
	v_cndmask_b32_e64 v5, 1, 2, vcc
	v_cmp_eq_u32_e32 vcc, 0, v56
	v_and_b32_e32 v4, v4, v5
	v_cndmask_b32_e64 v5, 1, 2, vcc
	v_cmp_eq_u32_e32 vcc, 0, v13
	v_and_b32_e32 v4, v4, v5
	v_cndmask_b32_e64 v5, 1, 2, vcc
	v_cmp_eq_u32_e32 vcc, 0, v14
	v_and_b32_e32 v4, v4, v5
	v_cndmask_b32_e64 v5, 1, 2, vcc
	v_cmp_eq_u32_e32 vcc, 0, v18
	v_and_b32_e32 v4, v4, v5
	v_cndmask_b32_e64 v5, 1, 2, vcc
	v_cmp_eq_u32_e32 vcc, 0, v19
	v_and_b32_e32 v4, v4, v5
	v_cndmask_b32_e64 v5, 1, 2, vcc
	v_cmp_eq_u32_e32 vcc, 0, v22
	v_and_b32_e32 v4, v4, v5
	v_cndmask_b32_e64 v5, 1, 2, vcc
	v_cmp_eq_u32_e32 vcc, 0, v23
	v_and_b32_e32 v4, v4, v5
	v_cndmask_b32_e64 v5, 1, 2, vcc
	v_cmp_eq_u32_e32 vcc, 0, v30
	v_and_b32_e32 v4, v4, v5
	v_cndmask_b32_e64 v5, 1, 2, vcc
	v_cmp_eq_u32_e32 vcc, 0, v31
	v_and_b32_e32 v4, v4, v5
	v_cndmask_b32_e64 v5, 1, 2, vcc
	v_cmp_eq_u32_e32 vcc, 0, v55
	v_and_b32_e32 v4, v4, v5
	v_cndmask_b32_e64 v5, 1, 2, vcc
	v_cmp_eq_u32_e32 vcc, 0, v54
	v_and_b32_e32 v4, v4, v5
	v_cndmask_b32_e64 v5, 1, 2, vcc
	v_cmp_eq_u32_e32 vcc, 0, v15
	v_and_b32_e32 v4, v4, v5
	v_cndmask_b32_e64 v5, 1, 2, vcc
	s_movk_i32 s30, 0x100
	v_and_b32_e32 v4, v4, v5
	v_cmp_gt_u32_e32 vcc, s30, v7
	v_add_u32_e32 v3, v8, v1
	v_cmp_ne_u32_e64 s[28:29], 0, v59
	v_cmp_ne_u32_e64 s[26:27], 0, v58
	;; [unrolled: 1-line block ×15, first 2 shown]
	s_mov_b64 s[34:35], -1
	v_cmp_gt_i16_e64 s[30:31], 2, v4
	s_barrier
	s_cbranch_vccz .LBB744_261
; %bb.225:
	s_and_saveexec_b64 s[34:35], s[30:31]
	s_cbranch_execz .LBB744_260
; %bb.226:
	v_cmp_ne_u16_e32 vcc, 1, v4
	s_mov_b64 s[38:39], 0
	s_and_saveexec_b64 s[30:31], vcc
	s_xor_b64 s[30:31], exec, s[30:31]
	s_cbranch_execz .LBB744_241
; %bb.227:
	s_and_saveexec_b64 s[38:39], s[28:29]
	s_cbranch_execz .LBB744_243
; %bb.228:
	v_sub_u32_e32 v14, v52, v3
	v_mov_b32_e32 v15, 0
	v_lshlrev_b64 v[14:15], 2, v[14:15]
	v_add_co_u32_e32 v14, vcc, v11, v14
	v_addc_co_u32_e32 v15, vcc, v12, v15, vcc
	global_store_dword v[14:15], v53, off
	s_or_b64 exec, exec, s[38:39]
	s_and_saveexec_b64 s[38:39], s[26:27]
	s_cbranch_execnz .LBB744_244
.LBB744_229:
	s_or_b64 exec, exec, s[38:39]
	s_and_saveexec_b64 s[38:39], s[24:25]
	s_cbranch_execz .LBB744_245
.LBB744_230:
	v_sub_u32_e32 v14, v48, v3
	v_mov_b32_e32 v15, 0
	v_lshlrev_b64 v[14:15], 2, v[14:15]
	v_add_co_u32_e32 v14, vcc, v11, v14
	v_addc_co_u32_e32 v15, vcc, v12, v15, vcc
	global_store_dword v[14:15], v49, off
	s_or_b64 exec, exec, s[38:39]
	s_and_saveexec_b64 s[38:39], s[22:23]
	s_cbranch_execnz .LBB744_246
.LBB744_231:
	s_or_b64 exec, exec, s[38:39]
	s_and_saveexec_b64 s[38:39], s[20:21]
	s_cbranch_execz .LBB744_247
.LBB744_232:
	v_sub_u32_e32 v14, v44, v3
	v_mov_b32_e32 v15, 0
	v_lshlrev_b64 v[14:15], 2, v[14:15]
	v_add_co_u32_e32 v14, vcc, v11, v14
	v_addc_co_u32_e32 v15, vcc, v12, v15, vcc
	global_store_dword v[14:15], v45, off
	s_or_b64 exec, exec, s[38:39]
	s_and_saveexec_b64 s[38:39], s[18:19]
	s_cbranch_execnz .LBB744_248
.LBB744_233:
	s_or_b64 exec, exec, s[38:39]
	s_and_saveexec_b64 s[38:39], s[16:17]
	s_cbranch_execz .LBB744_249
.LBB744_234:
	v_sub_u32_e32 v14, v40, v3
	v_mov_b32_e32 v15, 0
	v_lshlrev_b64 v[14:15], 2, v[14:15]
	v_add_co_u32_e32 v14, vcc, v11, v14
	v_addc_co_u32_e32 v15, vcc, v12, v15, vcc
	global_store_dword v[14:15], v41, off
	s_or_b64 exec, exec, s[38:39]
	s_and_saveexec_b64 s[38:39], s[14:15]
	s_cbranch_execnz .LBB744_250
.LBB744_235:
	s_or_b64 exec, exec, s[38:39]
	s_and_saveexec_b64 s[38:39], s[12:13]
	s_cbranch_execz .LBB744_251
.LBB744_236:
	v_sub_u32_e32 v14, v36, v3
	v_mov_b32_e32 v15, 0
	v_lshlrev_b64 v[14:15], 2, v[14:15]
	v_add_co_u32_e32 v14, vcc, v11, v14
	v_addc_co_u32_e32 v15, vcc, v12, v15, vcc
	global_store_dword v[14:15], v37, off
	s_or_b64 exec, exec, s[38:39]
	s_and_saveexec_b64 s[38:39], s[10:11]
	s_cbranch_execnz .LBB744_252
.LBB744_237:
	s_or_b64 exec, exec, s[38:39]
	s_and_saveexec_b64 s[38:39], s[8:9]
	s_cbranch_execz .LBB744_253
.LBB744_238:
	v_sub_u32_e32 v14, v32, v3
	v_mov_b32_e32 v15, 0
	v_lshlrev_b64 v[14:15], 2, v[14:15]
	v_add_co_u32_e32 v14, vcc, v11, v14
	v_addc_co_u32_e32 v15, vcc, v12, v15, vcc
	global_store_dword v[14:15], v33, off
	s_or_b64 exec, exec, s[38:39]
	s_and_saveexec_b64 s[38:39], s[6:7]
	s_cbranch_execnz .LBB744_254
.LBB744_239:
	s_or_b64 exec, exec, s[38:39]
	s_and_saveexec_b64 s[38:39], s[4:5]
	s_cbranch_execz .LBB744_255
.LBB744_240:
	v_sub_u32_e32 v14, v26, v3
	v_mov_b32_e32 v15, 0
	v_lshlrev_b64 v[14:15], 2, v[14:15]
	v_add_co_u32_e32 v14, vcc, v11, v14
	v_addc_co_u32_e32 v15, vcc, v12, v15, vcc
	global_store_dword v[14:15], v27, off
	s_or_b64 exec, exec, s[38:39]
	s_and_saveexec_b64 s[38:39], s[2:3]
	s_cbranch_execnz .LBB744_256
	s_branch .LBB744_257
.LBB744_241:
	s_andn2_saveexec_b64 s[30:31], s[30:31]
	s_cbranch_execz .LBB744_258
.LBB744_242:
	v_sub_u32_e32 v14, v52, v3
	v_mov_b32_e32 v15, 0
	v_lshlrev_b64 v[18:19], 2, v[14:15]
	v_add_co_u32_e32 v18, vcc, v11, v18
	v_addc_co_u32_e32 v19, vcc, v12, v19, vcc
	v_sub_u32_e32 v14, v50, v3
	global_store_dword v[18:19], v53, off
	v_lshlrev_b64 v[18:19], 2, v[14:15]
	v_add_co_u32_e32 v18, vcc, v11, v18
	v_addc_co_u32_e32 v19, vcc, v12, v19, vcc
	v_sub_u32_e32 v14, v48, v3
	global_store_dword v[18:19], v51, off
	;; [unrolled: 5-line block ×12, first 2 shown]
	v_lshlrev_b64 v[18:19], 2, v[14:15]
	v_add_co_u32_e32 v18, vcc, v11, v18
	v_sub_u32_e32 v14, v24, v3
	v_addc_co_u32_e32 v19, vcc, v12, v19, vcc
	v_lshlrev_b64 v[14:15], 2, v[14:15]
	v_add_co_u32_e32 v14, vcc, v11, v14
	v_addc_co_u32_e32 v15, vcc, v12, v15, vcc
	s_or_b64 s[38:39], s[38:39], exec
	global_store_dword v[18:19], v27, off
	global_store_dword v[14:15], v25, off
	s_or_b64 exec, exec, s[30:31]
	s_and_b64 exec, exec, s[38:39]
	s_cbranch_execnz .LBB744_259
	s_branch .LBB744_260
.LBB744_243:
	s_or_b64 exec, exec, s[38:39]
	s_and_saveexec_b64 s[38:39], s[26:27]
	s_cbranch_execz .LBB744_229
.LBB744_244:
	v_sub_u32_e32 v14, v50, v3
	v_mov_b32_e32 v15, 0
	v_lshlrev_b64 v[14:15], 2, v[14:15]
	v_add_co_u32_e32 v14, vcc, v11, v14
	v_addc_co_u32_e32 v15, vcc, v12, v15, vcc
	global_store_dword v[14:15], v51, off
	s_or_b64 exec, exec, s[38:39]
	s_and_saveexec_b64 s[38:39], s[24:25]
	s_cbranch_execnz .LBB744_230
.LBB744_245:
	s_or_b64 exec, exec, s[38:39]
	s_and_saveexec_b64 s[38:39], s[22:23]
	s_cbranch_execz .LBB744_231
.LBB744_246:
	v_sub_u32_e32 v14, v46, v3
	v_mov_b32_e32 v15, 0
	v_lshlrev_b64 v[14:15], 2, v[14:15]
	v_add_co_u32_e32 v14, vcc, v11, v14
	v_addc_co_u32_e32 v15, vcc, v12, v15, vcc
	global_store_dword v[14:15], v47, off
	s_or_b64 exec, exec, s[38:39]
	s_and_saveexec_b64 s[38:39], s[20:21]
	s_cbranch_execnz .LBB744_232
.LBB744_247:
	s_or_b64 exec, exec, s[38:39]
	s_and_saveexec_b64 s[38:39], s[18:19]
	s_cbranch_execz .LBB744_233
.LBB744_248:
	v_sub_u32_e32 v14, v42, v3
	v_mov_b32_e32 v15, 0
	v_lshlrev_b64 v[14:15], 2, v[14:15]
	v_add_co_u32_e32 v14, vcc, v11, v14
	v_addc_co_u32_e32 v15, vcc, v12, v15, vcc
	global_store_dword v[14:15], v43, off
	s_or_b64 exec, exec, s[38:39]
	s_and_saveexec_b64 s[38:39], s[16:17]
	s_cbranch_execnz .LBB744_234
.LBB744_249:
	s_or_b64 exec, exec, s[38:39]
	s_and_saveexec_b64 s[38:39], s[14:15]
	s_cbranch_execz .LBB744_235
.LBB744_250:
	v_sub_u32_e32 v14, v38, v3
	v_mov_b32_e32 v15, 0
	v_lshlrev_b64 v[14:15], 2, v[14:15]
	v_add_co_u32_e32 v14, vcc, v11, v14
	v_addc_co_u32_e32 v15, vcc, v12, v15, vcc
	global_store_dword v[14:15], v39, off
	s_or_b64 exec, exec, s[38:39]
	s_and_saveexec_b64 s[38:39], s[12:13]
	s_cbranch_execnz .LBB744_236
.LBB744_251:
	s_or_b64 exec, exec, s[38:39]
	s_and_saveexec_b64 s[38:39], s[10:11]
	s_cbranch_execz .LBB744_237
.LBB744_252:
	v_sub_u32_e32 v14, v34, v3
	v_mov_b32_e32 v15, 0
	v_lshlrev_b64 v[14:15], 2, v[14:15]
	v_add_co_u32_e32 v14, vcc, v11, v14
	v_addc_co_u32_e32 v15, vcc, v12, v15, vcc
	global_store_dword v[14:15], v35, off
	s_or_b64 exec, exec, s[38:39]
	s_and_saveexec_b64 s[38:39], s[8:9]
	s_cbranch_execnz .LBB744_238
.LBB744_253:
	s_or_b64 exec, exec, s[38:39]
	s_and_saveexec_b64 s[38:39], s[6:7]
	s_cbranch_execz .LBB744_239
.LBB744_254:
	v_sub_u32_e32 v14, v28, v3
	v_mov_b32_e32 v15, 0
	v_lshlrev_b64 v[14:15], 2, v[14:15]
	v_add_co_u32_e32 v14, vcc, v11, v14
	v_addc_co_u32_e32 v15, vcc, v12, v15, vcc
	global_store_dword v[14:15], v29, off
	s_or_b64 exec, exec, s[38:39]
	s_and_saveexec_b64 s[38:39], s[4:5]
	s_cbranch_execnz .LBB744_240
.LBB744_255:
	s_or_b64 exec, exec, s[38:39]
	s_and_saveexec_b64 s[38:39], s[2:3]
	s_cbranch_execz .LBB744_257
.LBB744_256:
	v_sub_u32_e32 v14, v24, v3
	v_mov_b32_e32 v15, 0
	v_lshlrev_b64 v[14:15], 2, v[14:15]
	v_add_co_u32_e32 v14, vcc, v11, v14
	v_addc_co_u32_e32 v15, vcc, v12, v15, vcc
	global_store_dword v[14:15], v25, off
.LBB744_257:
	s_or_b64 exec, exec, s[38:39]
	s_and_b64 s[38:39], s[0:1], exec
	s_andn2_saveexec_b64 s[30:31], s[30:31]
	s_cbranch_execnz .LBB744_242
.LBB744_258:
	s_or_b64 exec, exec, s[30:31]
	s_and_b64 exec, exec, s[38:39]
	s_cbranch_execz .LBB744_260
.LBB744_259:
	v_sub_u32_e32 v14, v20, v3
	v_mov_b32_e32 v15, 0
	v_lshlrev_b64 v[14:15], 2, v[14:15]
	v_add_co_u32_e32 v14, vcc, v11, v14
	v_addc_co_u32_e32 v15, vcc, v12, v15, vcc
	global_store_dword v[14:15], v21, off
.LBB744_260:
	s_or_b64 exec, exec, s[34:35]
	s_mov_b64 s[34:35], 0
.LBB744_261:
	s_and_b64 vcc, exec, s[34:35]
	s_cbranch_vccz .LBB744_313
; %bb.262:
	v_cmp_gt_i16_e32 vcc, 2, v4
	s_and_saveexec_b64 s[30:31], vcc
	s_cbranch_execz .LBB744_297
; %bb.263:
	v_cmp_ne_u16_e32 vcc, 1, v4
	s_mov_b64 s[38:39], 0
	s_and_saveexec_b64 s[34:35], vcc
	s_xor_b64 s[34:35], exec, s[34:35]
	s_cbranch_execz .LBB744_278
; %bb.264:
	s_and_saveexec_b64 s[38:39], s[28:29]
	s_cbranch_execz .LBB744_280
; %bb.265:
	v_sub_u32_e32 v4, v52, v3
	v_lshlrev_b32_e32 v4, 2, v4
	ds_write_b32 v4, v53
	s_or_b64 exec, exec, s[38:39]
	s_and_saveexec_b64 s[28:29], s[26:27]
	s_cbranch_execnz .LBB744_281
.LBB744_266:
	s_or_b64 exec, exec, s[28:29]
	s_and_saveexec_b64 s[26:27], s[24:25]
	s_cbranch_execz .LBB744_282
.LBB744_267:
	v_sub_u32_e32 v4, v48, v3
	v_lshlrev_b32_e32 v4, 2, v4
	ds_write_b32 v4, v49
	s_or_b64 exec, exec, s[26:27]
	s_and_saveexec_b64 s[24:25], s[22:23]
	s_cbranch_execnz .LBB744_283
.LBB744_268:
	s_or_b64 exec, exec, s[24:25]
	s_and_saveexec_b64 s[22:23], s[20:21]
	s_cbranch_execz .LBB744_284
.LBB744_269:
	v_sub_u32_e32 v4, v44, v3
	v_lshlrev_b32_e32 v4, 2, v4
	ds_write_b32 v4, v45
	s_or_b64 exec, exec, s[22:23]
	s_and_saveexec_b64 s[20:21], s[18:19]
	s_cbranch_execnz .LBB744_285
.LBB744_270:
	s_or_b64 exec, exec, s[20:21]
	s_and_saveexec_b64 s[18:19], s[16:17]
	s_cbranch_execz .LBB744_286
.LBB744_271:
	v_sub_u32_e32 v4, v40, v3
	v_lshlrev_b32_e32 v4, 2, v4
	ds_write_b32 v4, v41
	s_or_b64 exec, exec, s[18:19]
	s_and_saveexec_b64 s[16:17], s[14:15]
	s_cbranch_execnz .LBB744_287
.LBB744_272:
	s_or_b64 exec, exec, s[16:17]
	s_and_saveexec_b64 s[14:15], s[12:13]
	s_cbranch_execz .LBB744_288
.LBB744_273:
	v_sub_u32_e32 v4, v36, v3
	v_lshlrev_b32_e32 v4, 2, v4
	ds_write_b32 v4, v37
	s_or_b64 exec, exec, s[14:15]
	s_and_saveexec_b64 s[12:13], s[10:11]
	s_cbranch_execnz .LBB744_289
.LBB744_274:
	s_or_b64 exec, exec, s[12:13]
	s_and_saveexec_b64 s[10:11], s[8:9]
	s_cbranch_execz .LBB744_290
.LBB744_275:
	v_sub_u32_e32 v4, v32, v3
	v_lshlrev_b32_e32 v4, 2, v4
	ds_write_b32 v4, v33
	s_or_b64 exec, exec, s[10:11]
	s_and_saveexec_b64 s[8:9], s[6:7]
	s_cbranch_execnz .LBB744_291
.LBB744_276:
	s_or_b64 exec, exec, s[8:9]
	s_and_saveexec_b64 s[6:7], s[4:5]
	s_cbranch_execz .LBB744_292
.LBB744_277:
	v_sub_u32_e32 v4, v26, v3
	v_lshlrev_b32_e32 v4, 2, v4
	ds_write_b32 v4, v27
	s_or_b64 exec, exec, s[6:7]
	s_and_saveexec_b64 s[4:5], s[2:3]
	s_cbranch_execnz .LBB744_293
	s_branch .LBB744_294
.LBB744_278:
	s_andn2_saveexec_b64 s[0:1], s[34:35]
	s_cbranch_execz .LBB744_295
.LBB744_279:
	v_sub_u32_e32 v4, v52, v3
	v_lshlrev_b32_e32 v4, 2, v4
	ds_write_b32 v4, v53
	v_sub_u32_e32 v4, v50, v3
	v_lshlrev_b32_e32 v4, 2, v4
	ds_write_b32 v4, v51
	;; [unrolled: 3-line block ×13, first 2 shown]
	v_sub_u32_e32 v4, v24, v3
	v_lshlrev_b32_e32 v4, 2, v4
	s_or_b64 s[38:39], s[38:39], exec
	ds_write_b32 v4, v25
	s_or_b64 exec, exec, s[0:1]
	s_and_b64 exec, exec, s[38:39]
	s_cbranch_execnz .LBB744_296
	s_branch .LBB744_297
.LBB744_280:
	s_or_b64 exec, exec, s[38:39]
	s_and_saveexec_b64 s[28:29], s[26:27]
	s_cbranch_execz .LBB744_266
.LBB744_281:
	v_sub_u32_e32 v4, v50, v3
	v_lshlrev_b32_e32 v4, 2, v4
	ds_write_b32 v4, v51
	s_or_b64 exec, exec, s[28:29]
	s_and_saveexec_b64 s[26:27], s[24:25]
	s_cbranch_execnz .LBB744_267
.LBB744_282:
	s_or_b64 exec, exec, s[26:27]
	s_and_saveexec_b64 s[24:25], s[22:23]
	s_cbranch_execz .LBB744_268
.LBB744_283:
	v_sub_u32_e32 v4, v46, v3
	v_lshlrev_b32_e32 v4, 2, v4
	ds_write_b32 v4, v47
	s_or_b64 exec, exec, s[24:25]
	s_and_saveexec_b64 s[22:23], s[20:21]
	s_cbranch_execnz .LBB744_269
.LBB744_284:
	s_or_b64 exec, exec, s[22:23]
	s_and_saveexec_b64 s[20:21], s[18:19]
	s_cbranch_execz .LBB744_270
.LBB744_285:
	v_sub_u32_e32 v4, v42, v3
	v_lshlrev_b32_e32 v4, 2, v4
	ds_write_b32 v4, v43
	s_or_b64 exec, exec, s[20:21]
	s_and_saveexec_b64 s[18:19], s[16:17]
	s_cbranch_execnz .LBB744_271
.LBB744_286:
	s_or_b64 exec, exec, s[18:19]
	s_and_saveexec_b64 s[16:17], s[14:15]
	s_cbranch_execz .LBB744_272
.LBB744_287:
	v_sub_u32_e32 v4, v38, v3
	v_lshlrev_b32_e32 v4, 2, v4
	ds_write_b32 v4, v39
	s_or_b64 exec, exec, s[16:17]
	s_and_saveexec_b64 s[14:15], s[12:13]
	s_cbranch_execnz .LBB744_273
.LBB744_288:
	s_or_b64 exec, exec, s[14:15]
	s_and_saveexec_b64 s[12:13], s[10:11]
	s_cbranch_execz .LBB744_274
.LBB744_289:
	v_sub_u32_e32 v4, v34, v3
	v_lshlrev_b32_e32 v4, 2, v4
	ds_write_b32 v4, v35
	s_or_b64 exec, exec, s[12:13]
	s_and_saveexec_b64 s[10:11], s[8:9]
	s_cbranch_execnz .LBB744_275
.LBB744_290:
	s_or_b64 exec, exec, s[10:11]
	s_and_saveexec_b64 s[8:9], s[6:7]
	s_cbranch_execz .LBB744_276
.LBB744_291:
	v_sub_u32_e32 v4, v28, v3
	v_lshlrev_b32_e32 v4, 2, v4
	ds_write_b32 v4, v29
	s_or_b64 exec, exec, s[8:9]
	s_and_saveexec_b64 s[6:7], s[4:5]
	s_cbranch_execnz .LBB744_277
.LBB744_292:
	s_or_b64 exec, exec, s[6:7]
	s_and_saveexec_b64 s[4:5], s[2:3]
	s_cbranch_execz .LBB744_294
.LBB744_293:
	v_sub_u32_e32 v4, v24, v3
	v_lshlrev_b32_e32 v4, 2, v4
	ds_write_b32 v4, v25
.LBB744_294:
	s_or_b64 exec, exec, s[4:5]
	s_and_b64 s[38:39], s[0:1], exec
                                        ; implicit-def: $vgpr52_vgpr53
                                        ; implicit-def: $vgpr50_vgpr51
                                        ; implicit-def: $vgpr48_vgpr49
                                        ; implicit-def: $vgpr46_vgpr47
                                        ; implicit-def: $vgpr44_vgpr45
                                        ; implicit-def: $vgpr42_vgpr43
                                        ; implicit-def: $vgpr40_vgpr41
                                        ; implicit-def: $vgpr38_vgpr39
                                        ; implicit-def: $vgpr36_vgpr37
                                        ; implicit-def: $vgpr34_vgpr35
                                        ; implicit-def: $vgpr32_vgpr33
                                        ; implicit-def: $vgpr28_vgpr29
                                        ; implicit-def: $vgpr26_vgpr27
                                        ; implicit-def: $vgpr24_vgpr25
	s_andn2_saveexec_b64 s[0:1], s[34:35]
	s_cbranch_execnz .LBB744_279
.LBB744_295:
	s_or_b64 exec, exec, s[0:1]
	s_and_b64 exec, exec, s[38:39]
	s_cbranch_execz .LBB744_297
.LBB744_296:
	v_sub_u32_e32 v3, v20, v3
	v_lshlrev_b32_e32 v3, 2, v3
	ds_write_b32 v3, v21
.LBB744_297:
	s_or_b64 exec, exec, s[30:31]
	v_cmp_lt_u32_e32 vcc, v0, v7
	s_waitcnt lgkmcnt(0)
	s_barrier
	s_and_saveexec_b64 s[2:3], vcc
	s_cbranch_execz .LBB744_312
; %bb.298:
	v_add_u32_e32 v4, v6, v2
	v_xad_u32 v2, v0, -1, v4
	v_sub_u32_e32 v3, v2, v1
	s_movk_i32 s0, 0x1900
	v_cmp_gt_u32_e64 s[4:5], s0, v3
	s_movk_i32 s0, 0x18ff
	v_cmp_lt_u32_e32 vcc, s0, v3
	v_mov_b32_e32 v2, v0
	s_and_saveexec_b64 s[6:7], vcc
	s_cbranch_execz .LBB744_309
; %bb.299:
	v_sub_u32_e32 v2, v0, v4
	v_add_u32_e32 v1, v2, v1
	v_or_b32_e32 v1, 0xff, v1
	v_cmp_ge_u32_e32 vcc, v1, v0
	s_mov_b64 s[0:1], -1
	v_mov_b32_e32 v2, v0
	s_and_saveexec_b64 s[8:9], vcc
	s_cbranch_execz .LBB744_308
; %bb.300:
	v_lshrrev_b32_e32 v13, 8, v3
	v_add_u32_e32 v2, -1, v13
	v_or_b32_e32 v1, 0x100, v0
	v_lshrrev_b32_e32 v3, 1, v2
	v_add_u32_e32 v15, 1, v3
	v_cmp_lt_u32_e32 vcc, 13, v2
	v_mov_b32_e32 v20, 0
	v_lshlrev_b32_e32 v14, 2, v0
	v_pk_mov_b32 v[2:3], v[0:1], v[0:1] op_sel:[0,1]
	s_and_saveexec_b64 s[10:11], vcc
	s_cbranch_execz .LBB744_304
; %bb.301:
	v_and_b32_e32 v18, -8, v15
	s_mov_b32 s14, 0
	s_mov_b64 s[12:13], 0
	v_mov_b32_e32 v5, 0
	v_mov_b32_e32 v19, v14
	v_pk_mov_b32 v[2:3], v[0:1], v[0:1] op_sel:[0,1]
.LBB744_302:                            ; =>This Inner Loop Header: Depth=1
	v_mov_b32_e32 v4, v2
	v_add_u32_e32 v18, -8, v18
	v_lshlrev_b64 v[50:51], 2, v[4:5]
	v_mov_b32_e32 v4, v3
	ds_read2st64_b32 v[22:23], v19 offset1:4
	s_add_i32 s14, s14, 16
	v_cmp_eq_u32_e32 vcc, 0, v18
	v_lshlrev_b64 v[54:55], 2, v[4:5]
	v_add_u32_e32 v4, 0x200, v2
	s_or_b64 s[12:13], vcc, s[12:13]
	v_add_co_u32_e32 v54, vcc, v11, v54
	v_add_u32_e32 v20, 0x200, v3
	v_mov_b32_e32 v21, v5
	ds_read2st64_b32 v[24:25], v19 offset0:8 offset1:12
	ds_read2st64_b32 v[28:29], v19 offset0:16 offset1:20
	v_add_co_u32_e64 v50, s[0:1], v11, v50
	v_addc_co_u32_e32 v55, vcc, v12, v55, vcc
	v_lshlrev_b64 v[56:57], 2, v[4:5]
	v_lshlrev_b64 v[52:53], 2, v[20:21]
	v_addc_co_u32_e64 v51, s[0:1], v12, v51, s[0:1]
	v_add_u32_e32 v4, 0x400, v2
	v_add_co_u32_e32 v56, vcc, v11, v56
	v_add_u32_e32 v26, 0x400, v3
	v_mov_b32_e32 v27, v5
	ds_read2st64_b32 v[32:33], v19 offset0:24 offset1:28
	v_add_co_u32_e64 v52, s[0:1], v11, v52
	v_addc_co_u32_e32 v57, vcc, v12, v57, vcc
	v_lshlrev_b64 v[58:59], 2, v[4:5]
	ds_read2st64_b32 v[36:37], v19 offset0:32 offset1:36
	ds_read2st64_b32 v[40:41], v19 offset0:40 offset1:44
	;; [unrolled: 1-line block ×4, first 2 shown]
	v_lshlrev_b64 v[26:27], 2, v[26:27]
	v_addc_co_u32_e64 v53, s[0:1], v12, v53, s[0:1]
	v_add_u32_e32 v4, 0x600, v2
	s_waitcnt lgkmcnt(7)
	global_store_dword v[50:51], v22, off
	global_store_dword v[54:55], v23, off
	s_waitcnt lgkmcnt(6)
	global_store_dword v[56:57], v24, off
	global_store_dword v[52:53], v25, off
	v_add_co_u32_e32 v22, vcc, v11, v58
	v_add_u32_e32 v30, 0x600, v3
	v_mov_b32_e32 v31, v5
	v_add_co_u32_e64 v26, s[0:1], v11, v26
	v_addc_co_u32_e32 v23, vcc, v12, v59, vcc
	v_lshlrev_b64 v[24:25], 2, v[4:5]
	v_lshlrev_b64 v[30:31], 2, v[30:31]
	v_addc_co_u32_e64 v27, s[0:1], v12, v27, s[0:1]
	v_add_u32_e32 v4, 0x800, v2
	s_waitcnt lgkmcnt(5)
	global_store_dword v[22:23], v28, off
	global_store_dword v[26:27], v29, off
	v_add_co_u32_e32 v22, vcc, v11, v24
	v_add_u32_e32 v34, 0x800, v3
	v_mov_b32_e32 v35, v5
	v_add_co_u32_e64 v30, s[0:1], v11, v30
	v_addc_co_u32_e32 v23, vcc, v12, v25, vcc
	v_lshlrev_b64 v[24:25], 2, v[4:5]
	v_lshlrev_b64 v[34:35], 2, v[34:35]
	v_addc_co_u32_e64 v31, s[0:1], v12, v31, s[0:1]
	v_add_u32_e32 v4, 0xa00, v2
	;; [unrolled: 12-line block ×4, first 2 shown]
	s_waitcnt lgkmcnt(2)
	global_store_dword v[22:23], v40, off
	global_store_dword v[38:39], v41, off
	v_add_co_u32_e32 v22, vcc, v11, v24
	v_add_u32_e32 v46, 0xe00, v3
	v_mov_b32_e32 v47, v5
	v_add_co_u32_e64 v42, s[0:1], v11, v42
	v_addc_co_u32_e32 v23, vcc, v12, v25, vcc
	v_lshlrev_b64 v[24:25], 2, v[4:5]
	v_lshlrev_b64 v[46:47], 2, v[46:47]
	v_addc_co_u32_e64 v43, s[0:1], v12, v43, s[0:1]
	s_waitcnt lgkmcnt(1)
	global_store_dword v[22:23], v44, off
	global_store_dword v[42:43], v45, off
	v_add_co_u32_e32 v22, vcc, v11, v24
	v_add_u32_e32 v19, 0x4000, v19
	v_add_u32_e32 v3, 0x1000, v3
	v_mov_b32_e32 v20, s14
	v_add_co_u32_e64 v46, s[0:1], v11, v46
	v_add_u32_e32 v2, 0x1000, v2
	v_addc_co_u32_e32 v23, vcc, v12, v25, vcc
	v_addc_co_u32_e64 v47, s[0:1], v12, v47, s[0:1]
	s_waitcnt lgkmcnt(0)
	global_store_dword v[22:23], v48, off
	global_store_dword v[46:47], v49, off
	s_andn2_b64 exec, exec, s[12:13]
	s_cbranch_execnz .LBB744_302
; %bb.303:
	s_or_b64 exec, exec, s[12:13]
.LBB744_304:
	s_or_b64 exec, exec, s[10:11]
	v_and_b32_e32 v1, 7, v15
	v_cmp_ne_u32_e32 vcc, 0, v1
	s_and_saveexec_b64 s[10:11], vcc
	s_cbranch_execz .LBB744_307
; %bb.305:
	v_lshl_or_b32 v14, v20, 10, v14
	s_mov_b64 s[12:13], 0
	v_mov_b32_e32 v5, 0
.LBB744_306:                            ; =>This Inner Loop Header: Depth=1
	ds_read2st64_b32 v[18:19], v14 offset1:4
	v_mov_b32_e32 v4, v2
	v_add_u32_e32 v1, -1, v1
	v_lshlrev_b64 v[20:21], 2, v[4:5]
	v_mov_b32_e32 v4, v3
	v_cmp_eq_u32_e32 vcc, 0, v1
	v_add_co_u32_e64 v20, s[0:1], v11, v20
	v_lshlrev_b64 v[22:23], 2, v[4:5]
	v_add_u32_e32 v2, 0x200, v2
	v_add_u32_e32 v14, 0x800, v14
	;; [unrolled: 1-line block ×3, first 2 shown]
	v_addc_co_u32_e64 v21, s[0:1], v12, v21, s[0:1]
	s_or_b64 s[12:13], vcc, s[12:13]
	v_add_co_u32_e32 v22, vcc, v11, v22
	v_addc_co_u32_e32 v23, vcc, v12, v23, vcc
	s_waitcnt lgkmcnt(0)
	global_store_dword v[20:21], v18, off
	global_store_dword v[22:23], v19, off
	s_andn2_b64 exec, exec, s[12:13]
	s_cbranch_execnz .LBB744_306
.LBB744_307:
	s_or_b64 exec, exec, s[10:11]
	v_add_u32_e32 v1, 1, v13
	v_and_b32_e32 v3, 0x1fffffe, v1
	v_cmp_ne_u32_e32 vcc, v1, v3
	v_lshl_or_b32 v2, v3, 8, v0
	s_orn2_b64 s[0:1], vcc, exec
.LBB744_308:
	s_or_b64 exec, exec, s[8:9]
	s_andn2_b64 s[4:5], s[4:5], exec
	s_and_b64 s[0:1], s[0:1], exec
	s_or_b64 s[4:5], s[4:5], s[0:1]
.LBB744_309:
	s_or_b64 exec, exec, s[6:7]
	s_and_b64 exec, exec, s[4:5]
	s_cbranch_execz .LBB744_312
; %bb.310:
	v_lshlrev_b32_e32 v1, 2, v2
	s_mov_b64 s[0:1], 0
	v_mov_b32_e32 v3, 0
.LBB744_311:                            ; =>This Inner Loop Header: Depth=1
	v_lshlrev_b64 v[4:5], 2, v[2:3]
	ds_read_b32 v13, v1
	v_add_co_u32_e32 v4, vcc, v11, v4
	v_add_u32_e32 v2, 0x100, v2
	v_addc_co_u32_e32 v5, vcc, v12, v5, vcc
	v_cmp_ge_u32_e32 vcc, v2, v7
	v_add_u32_e32 v1, 0x400, v1
	s_or_b64 s[0:1], vcc, s[0:1]
	s_waitcnt lgkmcnt(0)
	global_store_dword v[4:5], v13, off
	s_andn2_b64 exec, exec, s[0:1]
	s_cbranch_execnz .LBB744_311
.LBB744_312:
	s_or_b64 exec, exec, s[2:3]
.LBB744_313:
	s_movk_i32 s0, 0xff
	v_cmp_eq_u32_e32 vcc, s0, v0
	s_and_b64 s[0:1], vcc, s[36:37]
	s_and_saveexec_b64 s[2:3], s[0:1]
	s_cbranch_execz .LBB744_316
; %bb.314:
	v_add_co_u32_e32 v0, vcc, v6, v8
	v_addc_co_u32_e64 v1, s[0:1], 0, 0, vcc
	v_add_co_u32_e32 v0, vcc, v0, v16
	v_mov_b32_e32 v7, 0
	v_addc_co_u32_e32 v1, vcc, v1, v17, vcc
	s_cmpk_lg_i32 s33, 0xf00
	global_store_dwordx2 v7, v[0:1], s[54:55]
	s_cbranch_scc1 .LBB744_316
; %bb.315:
	v_lshlrev_b64 v[0:1], 2, v[6:7]
	v_add_co_u32_e32 v0, vcc, v9, v0
	v_addc_co_u32_e32 v1, vcc, v10, v1, vcc
	global_store_dword v[0:1], v67, off offset:-4
.LBB744_316:
	s_endpgm
	.section	.rodata,"a",@progbits
	.p2align	6, 0x0
	.amdhsa_kernel _ZN7rocprim17ROCPRIM_400000_NS6detail17trampoline_kernelINS0_14default_configENS1_29reduce_by_key_config_selectorItjN6thrust23THRUST_200600_302600_NS4plusIjEEEEZZNS1_33reduce_by_key_impl_wrapped_configILNS1_25lookback_scan_determinismE0ES3_S9_NS6_6detail15normal_iteratorINS6_10device_ptrItEEEENSD_INSE_IjEEEESG_SI_PmS8_NS6_8equal_toItEEEE10hipError_tPvRmT2_T3_mT4_T5_T6_T7_T8_P12ihipStream_tbENKUlT_T0_E_clISt17integral_constantIbLb1EES13_EEDaSY_SZ_EUlSY_E_NS1_11comp_targetILNS1_3genE4ELNS1_11target_archE910ELNS1_3gpuE8ELNS1_3repE0EEENS1_30default_config_static_selectorELNS0_4arch9wavefront6targetE1EEEvT1_
		.amdhsa_group_segment_fixed_size 15360
		.amdhsa_private_segment_fixed_size 0
		.amdhsa_kernarg_size 120
		.amdhsa_user_sgpr_count 6
		.amdhsa_user_sgpr_private_segment_buffer 1
		.amdhsa_user_sgpr_dispatch_ptr 0
		.amdhsa_user_sgpr_queue_ptr 0
		.amdhsa_user_sgpr_kernarg_segment_ptr 1
		.amdhsa_user_sgpr_dispatch_id 0
		.amdhsa_user_sgpr_flat_scratch_init 0
		.amdhsa_user_sgpr_kernarg_preload_length 0
		.amdhsa_user_sgpr_kernarg_preload_offset 0
		.amdhsa_user_sgpr_private_segment_size 0
		.amdhsa_uses_dynamic_stack 0
		.amdhsa_system_sgpr_private_segment_wavefront_offset 0
		.amdhsa_system_sgpr_workgroup_id_x 1
		.amdhsa_system_sgpr_workgroup_id_y 0
		.amdhsa_system_sgpr_workgroup_id_z 0
		.amdhsa_system_sgpr_workgroup_info 0
		.amdhsa_system_vgpr_workitem_id 0
		.amdhsa_next_free_vgpr 108
		.amdhsa_next_free_sgpr 66
		.amdhsa_accum_offset 108
		.amdhsa_reserve_vcc 1
		.amdhsa_reserve_flat_scratch 0
		.amdhsa_float_round_mode_32 0
		.amdhsa_float_round_mode_16_64 0
		.amdhsa_float_denorm_mode_32 3
		.amdhsa_float_denorm_mode_16_64 3
		.amdhsa_dx10_clamp 1
		.amdhsa_ieee_mode 1
		.amdhsa_fp16_overflow 0
		.amdhsa_tg_split 0
		.amdhsa_exception_fp_ieee_invalid_op 0
		.amdhsa_exception_fp_denorm_src 0
		.amdhsa_exception_fp_ieee_div_zero 0
		.amdhsa_exception_fp_ieee_overflow 0
		.amdhsa_exception_fp_ieee_underflow 0
		.amdhsa_exception_fp_ieee_inexact 0
		.amdhsa_exception_int_div_zero 0
	.end_amdhsa_kernel
	.section	.text._ZN7rocprim17ROCPRIM_400000_NS6detail17trampoline_kernelINS0_14default_configENS1_29reduce_by_key_config_selectorItjN6thrust23THRUST_200600_302600_NS4plusIjEEEEZZNS1_33reduce_by_key_impl_wrapped_configILNS1_25lookback_scan_determinismE0ES3_S9_NS6_6detail15normal_iteratorINS6_10device_ptrItEEEENSD_INSE_IjEEEESG_SI_PmS8_NS6_8equal_toItEEEE10hipError_tPvRmT2_T3_mT4_T5_T6_T7_T8_P12ihipStream_tbENKUlT_T0_E_clISt17integral_constantIbLb1EES13_EEDaSY_SZ_EUlSY_E_NS1_11comp_targetILNS1_3genE4ELNS1_11target_archE910ELNS1_3gpuE8ELNS1_3repE0EEENS1_30default_config_static_selectorELNS0_4arch9wavefront6targetE1EEEvT1_,"axG",@progbits,_ZN7rocprim17ROCPRIM_400000_NS6detail17trampoline_kernelINS0_14default_configENS1_29reduce_by_key_config_selectorItjN6thrust23THRUST_200600_302600_NS4plusIjEEEEZZNS1_33reduce_by_key_impl_wrapped_configILNS1_25lookback_scan_determinismE0ES3_S9_NS6_6detail15normal_iteratorINS6_10device_ptrItEEEENSD_INSE_IjEEEESG_SI_PmS8_NS6_8equal_toItEEEE10hipError_tPvRmT2_T3_mT4_T5_T6_T7_T8_P12ihipStream_tbENKUlT_T0_E_clISt17integral_constantIbLb1EES13_EEDaSY_SZ_EUlSY_E_NS1_11comp_targetILNS1_3genE4ELNS1_11target_archE910ELNS1_3gpuE8ELNS1_3repE0EEENS1_30default_config_static_selectorELNS0_4arch9wavefront6targetE1EEEvT1_,comdat
.Lfunc_end744:
	.size	_ZN7rocprim17ROCPRIM_400000_NS6detail17trampoline_kernelINS0_14default_configENS1_29reduce_by_key_config_selectorItjN6thrust23THRUST_200600_302600_NS4plusIjEEEEZZNS1_33reduce_by_key_impl_wrapped_configILNS1_25lookback_scan_determinismE0ES3_S9_NS6_6detail15normal_iteratorINS6_10device_ptrItEEEENSD_INSE_IjEEEESG_SI_PmS8_NS6_8equal_toItEEEE10hipError_tPvRmT2_T3_mT4_T5_T6_T7_T8_P12ihipStream_tbENKUlT_T0_E_clISt17integral_constantIbLb1EES13_EEDaSY_SZ_EUlSY_E_NS1_11comp_targetILNS1_3genE4ELNS1_11target_archE910ELNS1_3gpuE8ELNS1_3repE0EEENS1_30default_config_static_selectorELNS0_4arch9wavefront6targetE1EEEvT1_, .Lfunc_end744-_ZN7rocprim17ROCPRIM_400000_NS6detail17trampoline_kernelINS0_14default_configENS1_29reduce_by_key_config_selectorItjN6thrust23THRUST_200600_302600_NS4plusIjEEEEZZNS1_33reduce_by_key_impl_wrapped_configILNS1_25lookback_scan_determinismE0ES3_S9_NS6_6detail15normal_iteratorINS6_10device_ptrItEEEENSD_INSE_IjEEEESG_SI_PmS8_NS6_8equal_toItEEEE10hipError_tPvRmT2_T3_mT4_T5_T6_T7_T8_P12ihipStream_tbENKUlT_T0_E_clISt17integral_constantIbLb1EES13_EEDaSY_SZ_EUlSY_E_NS1_11comp_targetILNS1_3genE4ELNS1_11target_archE910ELNS1_3gpuE8ELNS1_3repE0EEENS1_30default_config_static_selectorELNS0_4arch9wavefront6targetE1EEEvT1_
                                        ; -- End function
	.section	.AMDGPU.csdata,"",@progbits
; Kernel info:
; codeLenInByte = 17812
; NumSgprs: 70
; NumVgprs: 108
; NumAgprs: 0
; TotalNumVgprs: 108
; ScratchSize: 0
; MemoryBound: 0
; FloatMode: 240
; IeeeMode: 1
; LDSByteSize: 15360 bytes/workgroup (compile time only)
; SGPRBlocks: 8
; VGPRBlocks: 13
; NumSGPRsForWavesPerEU: 70
; NumVGPRsForWavesPerEU: 108
; AccumOffset: 108
; Occupancy: 4
; WaveLimiterHint : 1
; COMPUTE_PGM_RSRC2:SCRATCH_EN: 0
; COMPUTE_PGM_RSRC2:USER_SGPR: 6
; COMPUTE_PGM_RSRC2:TRAP_HANDLER: 0
; COMPUTE_PGM_RSRC2:TGID_X_EN: 1
; COMPUTE_PGM_RSRC2:TGID_Y_EN: 0
; COMPUTE_PGM_RSRC2:TGID_Z_EN: 0
; COMPUTE_PGM_RSRC2:TIDIG_COMP_CNT: 0
; COMPUTE_PGM_RSRC3_GFX90A:ACCUM_OFFSET: 26
; COMPUTE_PGM_RSRC3_GFX90A:TG_SPLIT: 0
	.section	.text._ZN7rocprim17ROCPRIM_400000_NS6detail17trampoline_kernelINS0_14default_configENS1_29reduce_by_key_config_selectorItjN6thrust23THRUST_200600_302600_NS4plusIjEEEEZZNS1_33reduce_by_key_impl_wrapped_configILNS1_25lookback_scan_determinismE0ES3_S9_NS6_6detail15normal_iteratorINS6_10device_ptrItEEEENSD_INSE_IjEEEESG_SI_PmS8_NS6_8equal_toItEEEE10hipError_tPvRmT2_T3_mT4_T5_T6_T7_T8_P12ihipStream_tbENKUlT_T0_E_clISt17integral_constantIbLb1EES13_EEDaSY_SZ_EUlSY_E_NS1_11comp_targetILNS1_3genE3ELNS1_11target_archE908ELNS1_3gpuE7ELNS1_3repE0EEENS1_30default_config_static_selectorELNS0_4arch9wavefront6targetE1EEEvT1_,"axG",@progbits,_ZN7rocprim17ROCPRIM_400000_NS6detail17trampoline_kernelINS0_14default_configENS1_29reduce_by_key_config_selectorItjN6thrust23THRUST_200600_302600_NS4plusIjEEEEZZNS1_33reduce_by_key_impl_wrapped_configILNS1_25lookback_scan_determinismE0ES3_S9_NS6_6detail15normal_iteratorINS6_10device_ptrItEEEENSD_INSE_IjEEEESG_SI_PmS8_NS6_8equal_toItEEEE10hipError_tPvRmT2_T3_mT4_T5_T6_T7_T8_P12ihipStream_tbENKUlT_T0_E_clISt17integral_constantIbLb1EES13_EEDaSY_SZ_EUlSY_E_NS1_11comp_targetILNS1_3genE3ELNS1_11target_archE908ELNS1_3gpuE7ELNS1_3repE0EEENS1_30default_config_static_selectorELNS0_4arch9wavefront6targetE1EEEvT1_,comdat
	.protected	_ZN7rocprim17ROCPRIM_400000_NS6detail17trampoline_kernelINS0_14default_configENS1_29reduce_by_key_config_selectorItjN6thrust23THRUST_200600_302600_NS4plusIjEEEEZZNS1_33reduce_by_key_impl_wrapped_configILNS1_25lookback_scan_determinismE0ES3_S9_NS6_6detail15normal_iteratorINS6_10device_ptrItEEEENSD_INSE_IjEEEESG_SI_PmS8_NS6_8equal_toItEEEE10hipError_tPvRmT2_T3_mT4_T5_T6_T7_T8_P12ihipStream_tbENKUlT_T0_E_clISt17integral_constantIbLb1EES13_EEDaSY_SZ_EUlSY_E_NS1_11comp_targetILNS1_3genE3ELNS1_11target_archE908ELNS1_3gpuE7ELNS1_3repE0EEENS1_30default_config_static_selectorELNS0_4arch9wavefront6targetE1EEEvT1_ ; -- Begin function _ZN7rocprim17ROCPRIM_400000_NS6detail17trampoline_kernelINS0_14default_configENS1_29reduce_by_key_config_selectorItjN6thrust23THRUST_200600_302600_NS4plusIjEEEEZZNS1_33reduce_by_key_impl_wrapped_configILNS1_25lookback_scan_determinismE0ES3_S9_NS6_6detail15normal_iteratorINS6_10device_ptrItEEEENSD_INSE_IjEEEESG_SI_PmS8_NS6_8equal_toItEEEE10hipError_tPvRmT2_T3_mT4_T5_T6_T7_T8_P12ihipStream_tbENKUlT_T0_E_clISt17integral_constantIbLb1EES13_EEDaSY_SZ_EUlSY_E_NS1_11comp_targetILNS1_3genE3ELNS1_11target_archE908ELNS1_3gpuE7ELNS1_3repE0EEENS1_30default_config_static_selectorELNS0_4arch9wavefront6targetE1EEEvT1_
	.globl	_ZN7rocprim17ROCPRIM_400000_NS6detail17trampoline_kernelINS0_14default_configENS1_29reduce_by_key_config_selectorItjN6thrust23THRUST_200600_302600_NS4plusIjEEEEZZNS1_33reduce_by_key_impl_wrapped_configILNS1_25lookback_scan_determinismE0ES3_S9_NS6_6detail15normal_iteratorINS6_10device_ptrItEEEENSD_INSE_IjEEEESG_SI_PmS8_NS6_8equal_toItEEEE10hipError_tPvRmT2_T3_mT4_T5_T6_T7_T8_P12ihipStream_tbENKUlT_T0_E_clISt17integral_constantIbLb1EES13_EEDaSY_SZ_EUlSY_E_NS1_11comp_targetILNS1_3genE3ELNS1_11target_archE908ELNS1_3gpuE7ELNS1_3repE0EEENS1_30default_config_static_selectorELNS0_4arch9wavefront6targetE1EEEvT1_
	.p2align	8
	.type	_ZN7rocprim17ROCPRIM_400000_NS6detail17trampoline_kernelINS0_14default_configENS1_29reduce_by_key_config_selectorItjN6thrust23THRUST_200600_302600_NS4plusIjEEEEZZNS1_33reduce_by_key_impl_wrapped_configILNS1_25lookback_scan_determinismE0ES3_S9_NS6_6detail15normal_iteratorINS6_10device_ptrItEEEENSD_INSE_IjEEEESG_SI_PmS8_NS6_8equal_toItEEEE10hipError_tPvRmT2_T3_mT4_T5_T6_T7_T8_P12ihipStream_tbENKUlT_T0_E_clISt17integral_constantIbLb1EES13_EEDaSY_SZ_EUlSY_E_NS1_11comp_targetILNS1_3genE3ELNS1_11target_archE908ELNS1_3gpuE7ELNS1_3repE0EEENS1_30default_config_static_selectorELNS0_4arch9wavefront6targetE1EEEvT1_,@function
_ZN7rocprim17ROCPRIM_400000_NS6detail17trampoline_kernelINS0_14default_configENS1_29reduce_by_key_config_selectorItjN6thrust23THRUST_200600_302600_NS4plusIjEEEEZZNS1_33reduce_by_key_impl_wrapped_configILNS1_25lookback_scan_determinismE0ES3_S9_NS6_6detail15normal_iteratorINS6_10device_ptrItEEEENSD_INSE_IjEEEESG_SI_PmS8_NS6_8equal_toItEEEE10hipError_tPvRmT2_T3_mT4_T5_T6_T7_T8_P12ihipStream_tbENKUlT_T0_E_clISt17integral_constantIbLb1EES13_EEDaSY_SZ_EUlSY_E_NS1_11comp_targetILNS1_3genE3ELNS1_11target_archE908ELNS1_3gpuE7ELNS1_3repE0EEENS1_30default_config_static_selectorELNS0_4arch9wavefront6targetE1EEEvT1_: ; @_ZN7rocprim17ROCPRIM_400000_NS6detail17trampoline_kernelINS0_14default_configENS1_29reduce_by_key_config_selectorItjN6thrust23THRUST_200600_302600_NS4plusIjEEEEZZNS1_33reduce_by_key_impl_wrapped_configILNS1_25lookback_scan_determinismE0ES3_S9_NS6_6detail15normal_iteratorINS6_10device_ptrItEEEENSD_INSE_IjEEEESG_SI_PmS8_NS6_8equal_toItEEEE10hipError_tPvRmT2_T3_mT4_T5_T6_T7_T8_P12ihipStream_tbENKUlT_T0_E_clISt17integral_constantIbLb1EES13_EEDaSY_SZ_EUlSY_E_NS1_11comp_targetILNS1_3genE3ELNS1_11target_archE908ELNS1_3gpuE7ELNS1_3repE0EEENS1_30default_config_static_selectorELNS0_4arch9wavefront6targetE1EEEvT1_
; %bb.0:
	.section	.rodata,"a",@progbits
	.p2align	6, 0x0
	.amdhsa_kernel _ZN7rocprim17ROCPRIM_400000_NS6detail17trampoline_kernelINS0_14default_configENS1_29reduce_by_key_config_selectorItjN6thrust23THRUST_200600_302600_NS4plusIjEEEEZZNS1_33reduce_by_key_impl_wrapped_configILNS1_25lookback_scan_determinismE0ES3_S9_NS6_6detail15normal_iteratorINS6_10device_ptrItEEEENSD_INSE_IjEEEESG_SI_PmS8_NS6_8equal_toItEEEE10hipError_tPvRmT2_T3_mT4_T5_T6_T7_T8_P12ihipStream_tbENKUlT_T0_E_clISt17integral_constantIbLb1EES13_EEDaSY_SZ_EUlSY_E_NS1_11comp_targetILNS1_3genE3ELNS1_11target_archE908ELNS1_3gpuE7ELNS1_3repE0EEENS1_30default_config_static_selectorELNS0_4arch9wavefront6targetE1EEEvT1_
		.amdhsa_group_segment_fixed_size 0
		.amdhsa_private_segment_fixed_size 0
		.amdhsa_kernarg_size 120
		.amdhsa_user_sgpr_count 6
		.amdhsa_user_sgpr_private_segment_buffer 1
		.amdhsa_user_sgpr_dispatch_ptr 0
		.amdhsa_user_sgpr_queue_ptr 0
		.amdhsa_user_sgpr_kernarg_segment_ptr 1
		.amdhsa_user_sgpr_dispatch_id 0
		.amdhsa_user_sgpr_flat_scratch_init 0
		.amdhsa_user_sgpr_kernarg_preload_length 0
		.amdhsa_user_sgpr_kernarg_preload_offset 0
		.amdhsa_user_sgpr_private_segment_size 0
		.amdhsa_uses_dynamic_stack 0
		.amdhsa_system_sgpr_private_segment_wavefront_offset 0
		.amdhsa_system_sgpr_workgroup_id_x 1
		.amdhsa_system_sgpr_workgroup_id_y 0
		.amdhsa_system_sgpr_workgroup_id_z 0
		.amdhsa_system_sgpr_workgroup_info 0
		.amdhsa_system_vgpr_workitem_id 0
		.amdhsa_next_free_vgpr 1
		.amdhsa_next_free_sgpr 0
		.amdhsa_accum_offset 4
		.amdhsa_reserve_vcc 0
		.amdhsa_reserve_flat_scratch 0
		.amdhsa_float_round_mode_32 0
		.amdhsa_float_round_mode_16_64 0
		.amdhsa_float_denorm_mode_32 3
		.amdhsa_float_denorm_mode_16_64 3
		.amdhsa_dx10_clamp 1
		.amdhsa_ieee_mode 1
		.amdhsa_fp16_overflow 0
		.amdhsa_tg_split 0
		.amdhsa_exception_fp_ieee_invalid_op 0
		.amdhsa_exception_fp_denorm_src 0
		.amdhsa_exception_fp_ieee_div_zero 0
		.amdhsa_exception_fp_ieee_overflow 0
		.amdhsa_exception_fp_ieee_underflow 0
		.amdhsa_exception_fp_ieee_inexact 0
		.amdhsa_exception_int_div_zero 0
	.end_amdhsa_kernel
	.section	.text._ZN7rocprim17ROCPRIM_400000_NS6detail17trampoline_kernelINS0_14default_configENS1_29reduce_by_key_config_selectorItjN6thrust23THRUST_200600_302600_NS4plusIjEEEEZZNS1_33reduce_by_key_impl_wrapped_configILNS1_25lookback_scan_determinismE0ES3_S9_NS6_6detail15normal_iteratorINS6_10device_ptrItEEEENSD_INSE_IjEEEESG_SI_PmS8_NS6_8equal_toItEEEE10hipError_tPvRmT2_T3_mT4_T5_T6_T7_T8_P12ihipStream_tbENKUlT_T0_E_clISt17integral_constantIbLb1EES13_EEDaSY_SZ_EUlSY_E_NS1_11comp_targetILNS1_3genE3ELNS1_11target_archE908ELNS1_3gpuE7ELNS1_3repE0EEENS1_30default_config_static_selectorELNS0_4arch9wavefront6targetE1EEEvT1_,"axG",@progbits,_ZN7rocprim17ROCPRIM_400000_NS6detail17trampoline_kernelINS0_14default_configENS1_29reduce_by_key_config_selectorItjN6thrust23THRUST_200600_302600_NS4plusIjEEEEZZNS1_33reduce_by_key_impl_wrapped_configILNS1_25lookback_scan_determinismE0ES3_S9_NS6_6detail15normal_iteratorINS6_10device_ptrItEEEENSD_INSE_IjEEEESG_SI_PmS8_NS6_8equal_toItEEEE10hipError_tPvRmT2_T3_mT4_T5_T6_T7_T8_P12ihipStream_tbENKUlT_T0_E_clISt17integral_constantIbLb1EES13_EEDaSY_SZ_EUlSY_E_NS1_11comp_targetILNS1_3genE3ELNS1_11target_archE908ELNS1_3gpuE7ELNS1_3repE0EEENS1_30default_config_static_selectorELNS0_4arch9wavefront6targetE1EEEvT1_,comdat
.Lfunc_end745:
	.size	_ZN7rocprim17ROCPRIM_400000_NS6detail17trampoline_kernelINS0_14default_configENS1_29reduce_by_key_config_selectorItjN6thrust23THRUST_200600_302600_NS4plusIjEEEEZZNS1_33reduce_by_key_impl_wrapped_configILNS1_25lookback_scan_determinismE0ES3_S9_NS6_6detail15normal_iteratorINS6_10device_ptrItEEEENSD_INSE_IjEEEESG_SI_PmS8_NS6_8equal_toItEEEE10hipError_tPvRmT2_T3_mT4_T5_T6_T7_T8_P12ihipStream_tbENKUlT_T0_E_clISt17integral_constantIbLb1EES13_EEDaSY_SZ_EUlSY_E_NS1_11comp_targetILNS1_3genE3ELNS1_11target_archE908ELNS1_3gpuE7ELNS1_3repE0EEENS1_30default_config_static_selectorELNS0_4arch9wavefront6targetE1EEEvT1_, .Lfunc_end745-_ZN7rocprim17ROCPRIM_400000_NS6detail17trampoline_kernelINS0_14default_configENS1_29reduce_by_key_config_selectorItjN6thrust23THRUST_200600_302600_NS4plusIjEEEEZZNS1_33reduce_by_key_impl_wrapped_configILNS1_25lookback_scan_determinismE0ES3_S9_NS6_6detail15normal_iteratorINS6_10device_ptrItEEEENSD_INSE_IjEEEESG_SI_PmS8_NS6_8equal_toItEEEE10hipError_tPvRmT2_T3_mT4_T5_T6_T7_T8_P12ihipStream_tbENKUlT_T0_E_clISt17integral_constantIbLb1EES13_EEDaSY_SZ_EUlSY_E_NS1_11comp_targetILNS1_3genE3ELNS1_11target_archE908ELNS1_3gpuE7ELNS1_3repE0EEENS1_30default_config_static_selectorELNS0_4arch9wavefront6targetE1EEEvT1_
                                        ; -- End function
	.section	.AMDGPU.csdata,"",@progbits
; Kernel info:
; codeLenInByte = 0
; NumSgprs: 4
; NumVgprs: 0
; NumAgprs: 0
; TotalNumVgprs: 0
; ScratchSize: 0
; MemoryBound: 0
; FloatMode: 240
; IeeeMode: 1
; LDSByteSize: 0 bytes/workgroup (compile time only)
; SGPRBlocks: 0
; VGPRBlocks: 0
; NumSGPRsForWavesPerEU: 4
; NumVGPRsForWavesPerEU: 1
; AccumOffset: 4
; Occupancy: 8
; WaveLimiterHint : 0
; COMPUTE_PGM_RSRC2:SCRATCH_EN: 0
; COMPUTE_PGM_RSRC2:USER_SGPR: 6
; COMPUTE_PGM_RSRC2:TRAP_HANDLER: 0
; COMPUTE_PGM_RSRC2:TGID_X_EN: 1
; COMPUTE_PGM_RSRC2:TGID_Y_EN: 0
; COMPUTE_PGM_RSRC2:TGID_Z_EN: 0
; COMPUTE_PGM_RSRC2:TIDIG_COMP_CNT: 0
; COMPUTE_PGM_RSRC3_GFX90A:ACCUM_OFFSET: 0
; COMPUTE_PGM_RSRC3_GFX90A:TG_SPLIT: 0
	.section	.text._ZN7rocprim17ROCPRIM_400000_NS6detail17trampoline_kernelINS0_14default_configENS1_29reduce_by_key_config_selectorItjN6thrust23THRUST_200600_302600_NS4plusIjEEEEZZNS1_33reduce_by_key_impl_wrapped_configILNS1_25lookback_scan_determinismE0ES3_S9_NS6_6detail15normal_iteratorINS6_10device_ptrItEEEENSD_INSE_IjEEEESG_SI_PmS8_NS6_8equal_toItEEEE10hipError_tPvRmT2_T3_mT4_T5_T6_T7_T8_P12ihipStream_tbENKUlT_T0_E_clISt17integral_constantIbLb1EES13_EEDaSY_SZ_EUlSY_E_NS1_11comp_targetILNS1_3genE2ELNS1_11target_archE906ELNS1_3gpuE6ELNS1_3repE0EEENS1_30default_config_static_selectorELNS0_4arch9wavefront6targetE1EEEvT1_,"axG",@progbits,_ZN7rocprim17ROCPRIM_400000_NS6detail17trampoline_kernelINS0_14default_configENS1_29reduce_by_key_config_selectorItjN6thrust23THRUST_200600_302600_NS4plusIjEEEEZZNS1_33reduce_by_key_impl_wrapped_configILNS1_25lookback_scan_determinismE0ES3_S9_NS6_6detail15normal_iteratorINS6_10device_ptrItEEEENSD_INSE_IjEEEESG_SI_PmS8_NS6_8equal_toItEEEE10hipError_tPvRmT2_T3_mT4_T5_T6_T7_T8_P12ihipStream_tbENKUlT_T0_E_clISt17integral_constantIbLb1EES13_EEDaSY_SZ_EUlSY_E_NS1_11comp_targetILNS1_3genE2ELNS1_11target_archE906ELNS1_3gpuE6ELNS1_3repE0EEENS1_30default_config_static_selectorELNS0_4arch9wavefront6targetE1EEEvT1_,comdat
	.protected	_ZN7rocprim17ROCPRIM_400000_NS6detail17trampoline_kernelINS0_14default_configENS1_29reduce_by_key_config_selectorItjN6thrust23THRUST_200600_302600_NS4plusIjEEEEZZNS1_33reduce_by_key_impl_wrapped_configILNS1_25lookback_scan_determinismE0ES3_S9_NS6_6detail15normal_iteratorINS6_10device_ptrItEEEENSD_INSE_IjEEEESG_SI_PmS8_NS6_8equal_toItEEEE10hipError_tPvRmT2_T3_mT4_T5_T6_T7_T8_P12ihipStream_tbENKUlT_T0_E_clISt17integral_constantIbLb1EES13_EEDaSY_SZ_EUlSY_E_NS1_11comp_targetILNS1_3genE2ELNS1_11target_archE906ELNS1_3gpuE6ELNS1_3repE0EEENS1_30default_config_static_selectorELNS0_4arch9wavefront6targetE1EEEvT1_ ; -- Begin function _ZN7rocprim17ROCPRIM_400000_NS6detail17trampoline_kernelINS0_14default_configENS1_29reduce_by_key_config_selectorItjN6thrust23THRUST_200600_302600_NS4plusIjEEEEZZNS1_33reduce_by_key_impl_wrapped_configILNS1_25lookback_scan_determinismE0ES3_S9_NS6_6detail15normal_iteratorINS6_10device_ptrItEEEENSD_INSE_IjEEEESG_SI_PmS8_NS6_8equal_toItEEEE10hipError_tPvRmT2_T3_mT4_T5_T6_T7_T8_P12ihipStream_tbENKUlT_T0_E_clISt17integral_constantIbLb1EES13_EEDaSY_SZ_EUlSY_E_NS1_11comp_targetILNS1_3genE2ELNS1_11target_archE906ELNS1_3gpuE6ELNS1_3repE0EEENS1_30default_config_static_selectorELNS0_4arch9wavefront6targetE1EEEvT1_
	.globl	_ZN7rocprim17ROCPRIM_400000_NS6detail17trampoline_kernelINS0_14default_configENS1_29reduce_by_key_config_selectorItjN6thrust23THRUST_200600_302600_NS4plusIjEEEEZZNS1_33reduce_by_key_impl_wrapped_configILNS1_25lookback_scan_determinismE0ES3_S9_NS6_6detail15normal_iteratorINS6_10device_ptrItEEEENSD_INSE_IjEEEESG_SI_PmS8_NS6_8equal_toItEEEE10hipError_tPvRmT2_T3_mT4_T5_T6_T7_T8_P12ihipStream_tbENKUlT_T0_E_clISt17integral_constantIbLb1EES13_EEDaSY_SZ_EUlSY_E_NS1_11comp_targetILNS1_3genE2ELNS1_11target_archE906ELNS1_3gpuE6ELNS1_3repE0EEENS1_30default_config_static_selectorELNS0_4arch9wavefront6targetE1EEEvT1_
	.p2align	8
	.type	_ZN7rocprim17ROCPRIM_400000_NS6detail17trampoline_kernelINS0_14default_configENS1_29reduce_by_key_config_selectorItjN6thrust23THRUST_200600_302600_NS4plusIjEEEEZZNS1_33reduce_by_key_impl_wrapped_configILNS1_25lookback_scan_determinismE0ES3_S9_NS6_6detail15normal_iteratorINS6_10device_ptrItEEEENSD_INSE_IjEEEESG_SI_PmS8_NS6_8equal_toItEEEE10hipError_tPvRmT2_T3_mT4_T5_T6_T7_T8_P12ihipStream_tbENKUlT_T0_E_clISt17integral_constantIbLb1EES13_EEDaSY_SZ_EUlSY_E_NS1_11comp_targetILNS1_3genE2ELNS1_11target_archE906ELNS1_3gpuE6ELNS1_3repE0EEENS1_30default_config_static_selectorELNS0_4arch9wavefront6targetE1EEEvT1_,@function
_ZN7rocprim17ROCPRIM_400000_NS6detail17trampoline_kernelINS0_14default_configENS1_29reduce_by_key_config_selectorItjN6thrust23THRUST_200600_302600_NS4plusIjEEEEZZNS1_33reduce_by_key_impl_wrapped_configILNS1_25lookback_scan_determinismE0ES3_S9_NS6_6detail15normal_iteratorINS6_10device_ptrItEEEENSD_INSE_IjEEEESG_SI_PmS8_NS6_8equal_toItEEEE10hipError_tPvRmT2_T3_mT4_T5_T6_T7_T8_P12ihipStream_tbENKUlT_T0_E_clISt17integral_constantIbLb1EES13_EEDaSY_SZ_EUlSY_E_NS1_11comp_targetILNS1_3genE2ELNS1_11target_archE906ELNS1_3gpuE6ELNS1_3repE0EEENS1_30default_config_static_selectorELNS0_4arch9wavefront6targetE1EEEvT1_: ; @_ZN7rocprim17ROCPRIM_400000_NS6detail17trampoline_kernelINS0_14default_configENS1_29reduce_by_key_config_selectorItjN6thrust23THRUST_200600_302600_NS4plusIjEEEEZZNS1_33reduce_by_key_impl_wrapped_configILNS1_25lookback_scan_determinismE0ES3_S9_NS6_6detail15normal_iteratorINS6_10device_ptrItEEEENSD_INSE_IjEEEESG_SI_PmS8_NS6_8equal_toItEEEE10hipError_tPvRmT2_T3_mT4_T5_T6_T7_T8_P12ihipStream_tbENKUlT_T0_E_clISt17integral_constantIbLb1EES13_EEDaSY_SZ_EUlSY_E_NS1_11comp_targetILNS1_3genE2ELNS1_11target_archE906ELNS1_3gpuE6ELNS1_3repE0EEENS1_30default_config_static_selectorELNS0_4arch9wavefront6targetE1EEEvT1_
; %bb.0:
	.section	.rodata,"a",@progbits
	.p2align	6, 0x0
	.amdhsa_kernel _ZN7rocprim17ROCPRIM_400000_NS6detail17trampoline_kernelINS0_14default_configENS1_29reduce_by_key_config_selectorItjN6thrust23THRUST_200600_302600_NS4plusIjEEEEZZNS1_33reduce_by_key_impl_wrapped_configILNS1_25lookback_scan_determinismE0ES3_S9_NS6_6detail15normal_iteratorINS6_10device_ptrItEEEENSD_INSE_IjEEEESG_SI_PmS8_NS6_8equal_toItEEEE10hipError_tPvRmT2_T3_mT4_T5_T6_T7_T8_P12ihipStream_tbENKUlT_T0_E_clISt17integral_constantIbLb1EES13_EEDaSY_SZ_EUlSY_E_NS1_11comp_targetILNS1_3genE2ELNS1_11target_archE906ELNS1_3gpuE6ELNS1_3repE0EEENS1_30default_config_static_selectorELNS0_4arch9wavefront6targetE1EEEvT1_
		.amdhsa_group_segment_fixed_size 0
		.amdhsa_private_segment_fixed_size 0
		.amdhsa_kernarg_size 120
		.amdhsa_user_sgpr_count 6
		.amdhsa_user_sgpr_private_segment_buffer 1
		.amdhsa_user_sgpr_dispatch_ptr 0
		.amdhsa_user_sgpr_queue_ptr 0
		.amdhsa_user_sgpr_kernarg_segment_ptr 1
		.amdhsa_user_sgpr_dispatch_id 0
		.amdhsa_user_sgpr_flat_scratch_init 0
		.amdhsa_user_sgpr_kernarg_preload_length 0
		.amdhsa_user_sgpr_kernarg_preload_offset 0
		.amdhsa_user_sgpr_private_segment_size 0
		.amdhsa_uses_dynamic_stack 0
		.amdhsa_system_sgpr_private_segment_wavefront_offset 0
		.amdhsa_system_sgpr_workgroup_id_x 1
		.amdhsa_system_sgpr_workgroup_id_y 0
		.amdhsa_system_sgpr_workgroup_id_z 0
		.amdhsa_system_sgpr_workgroup_info 0
		.amdhsa_system_vgpr_workitem_id 0
		.amdhsa_next_free_vgpr 1
		.amdhsa_next_free_sgpr 0
		.amdhsa_accum_offset 4
		.amdhsa_reserve_vcc 0
		.amdhsa_reserve_flat_scratch 0
		.amdhsa_float_round_mode_32 0
		.amdhsa_float_round_mode_16_64 0
		.amdhsa_float_denorm_mode_32 3
		.amdhsa_float_denorm_mode_16_64 3
		.amdhsa_dx10_clamp 1
		.amdhsa_ieee_mode 1
		.amdhsa_fp16_overflow 0
		.amdhsa_tg_split 0
		.amdhsa_exception_fp_ieee_invalid_op 0
		.amdhsa_exception_fp_denorm_src 0
		.amdhsa_exception_fp_ieee_div_zero 0
		.amdhsa_exception_fp_ieee_overflow 0
		.amdhsa_exception_fp_ieee_underflow 0
		.amdhsa_exception_fp_ieee_inexact 0
		.amdhsa_exception_int_div_zero 0
	.end_amdhsa_kernel
	.section	.text._ZN7rocprim17ROCPRIM_400000_NS6detail17trampoline_kernelINS0_14default_configENS1_29reduce_by_key_config_selectorItjN6thrust23THRUST_200600_302600_NS4plusIjEEEEZZNS1_33reduce_by_key_impl_wrapped_configILNS1_25lookback_scan_determinismE0ES3_S9_NS6_6detail15normal_iteratorINS6_10device_ptrItEEEENSD_INSE_IjEEEESG_SI_PmS8_NS6_8equal_toItEEEE10hipError_tPvRmT2_T3_mT4_T5_T6_T7_T8_P12ihipStream_tbENKUlT_T0_E_clISt17integral_constantIbLb1EES13_EEDaSY_SZ_EUlSY_E_NS1_11comp_targetILNS1_3genE2ELNS1_11target_archE906ELNS1_3gpuE6ELNS1_3repE0EEENS1_30default_config_static_selectorELNS0_4arch9wavefront6targetE1EEEvT1_,"axG",@progbits,_ZN7rocprim17ROCPRIM_400000_NS6detail17trampoline_kernelINS0_14default_configENS1_29reduce_by_key_config_selectorItjN6thrust23THRUST_200600_302600_NS4plusIjEEEEZZNS1_33reduce_by_key_impl_wrapped_configILNS1_25lookback_scan_determinismE0ES3_S9_NS6_6detail15normal_iteratorINS6_10device_ptrItEEEENSD_INSE_IjEEEESG_SI_PmS8_NS6_8equal_toItEEEE10hipError_tPvRmT2_T3_mT4_T5_T6_T7_T8_P12ihipStream_tbENKUlT_T0_E_clISt17integral_constantIbLb1EES13_EEDaSY_SZ_EUlSY_E_NS1_11comp_targetILNS1_3genE2ELNS1_11target_archE906ELNS1_3gpuE6ELNS1_3repE0EEENS1_30default_config_static_selectorELNS0_4arch9wavefront6targetE1EEEvT1_,comdat
.Lfunc_end746:
	.size	_ZN7rocprim17ROCPRIM_400000_NS6detail17trampoline_kernelINS0_14default_configENS1_29reduce_by_key_config_selectorItjN6thrust23THRUST_200600_302600_NS4plusIjEEEEZZNS1_33reduce_by_key_impl_wrapped_configILNS1_25lookback_scan_determinismE0ES3_S9_NS6_6detail15normal_iteratorINS6_10device_ptrItEEEENSD_INSE_IjEEEESG_SI_PmS8_NS6_8equal_toItEEEE10hipError_tPvRmT2_T3_mT4_T5_T6_T7_T8_P12ihipStream_tbENKUlT_T0_E_clISt17integral_constantIbLb1EES13_EEDaSY_SZ_EUlSY_E_NS1_11comp_targetILNS1_3genE2ELNS1_11target_archE906ELNS1_3gpuE6ELNS1_3repE0EEENS1_30default_config_static_selectorELNS0_4arch9wavefront6targetE1EEEvT1_, .Lfunc_end746-_ZN7rocprim17ROCPRIM_400000_NS6detail17trampoline_kernelINS0_14default_configENS1_29reduce_by_key_config_selectorItjN6thrust23THRUST_200600_302600_NS4plusIjEEEEZZNS1_33reduce_by_key_impl_wrapped_configILNS1_25lookback_scan_determinismE0ES3_S9_NS6_6detail15normal_iteratorINS6_10device_ptrItEEEENSD_INSE_IjEEEESG_SI_PmS8_NS6_8equal_toItEEEE10hipError_tPvRmT2_T3_mT4_T5_T6_T7_T8_P12ihipStream_tbENKUlT_T0_E_clISt17integral_constantIbLb1EES13_EEDaSY_SZ_EUlSY_E_NS1_11comp_targetILNS1_3genE2ELNS1_11target_archE906ELNS1_3gpuE6ELNS1_3repE0EEENS1_30default_config_static_selectorELNS0_4arch9wavefront6targetE1EEEvT1_
                                        ; -- End function
	.section	.AMDGPU.csdata,"",@progbits
; Kernel info:
; codeLenInByte = 0
; NumSgprs: 4
; NumVgprs: 0
; NumAgprs: 0
; TotalNumVgprs: 0
; ScratchSize: 0
; MemoryBound: 0
; FloatMode: 240
; IeeeMode: 1
; LDSByteSize: 0 bytes/workgroup (compile time only)
; SGPRBlocks: 0
; VGPRBlocks: 0
; NumSGPRsForWavesPerEU: 4
; NumVGPRsForWavesPerEU: 1
; AccumOffset: 4
; Occupancy: 8
; WaveLimiterHint : 0
; COMPUTE_PGM_RSRC2:SCRATCH_EN: 0
; COMPUTE_PGM_RSRC2:USER_SGPR: 6
; COMPUTE_PGM_RSRC2:TRAP_HANDLER: 0
; COMPUTE_PGM_RSRC2:TGID_X_EN: 1
; COMPUTE_PGM_RSRC2:TGID_Y_EN: 0
; COMPUTE_PGM_RSRC2:TGID_Z_EN: 0
; COMPUTE_PGM_RSRC2:TIDIG_COMP_CNT: 0
; COMPUTE_PGM_RSRC3_GFX90A:ACCUM_OFFSET: 0
; COMPUTE_PGM_RSRC3_GFX90A:TG_SPLIT: 0
	.section	.text._ZN7rocprim17ROCPRIM_400000_NS6detail17trampoline_kernelINS0_14default_configENS1_29reduce_by_key_config_selectorItjN6thrust23THRUST_200600_302600_NS4plusIjEEEEZZNS1_33reduce_by_key_impl_wrapped_configILNS1_25lookback_scan_determinismE0ES3_S9_NS6_6detail15normal_iteratorINS6_10device_ptrItEEEENSD_INSE_IjEEEESG_SI_PmS8_NS6_8equal_toItEEEE10hipError_tPvRmT2_T3_mT4_T5_T6_T7_T8_P12ihipStream_tbENKUlT_T0_E_clISt17integral_constantIbLb1EES13_EEDaSY_SZ_EUlSY_E_NS1_11comp_targetILNS1_3genE10ELNS1_11target_archE1201ELNS1_3gpuE5ELNS1_3repE0EEENS1_30default_config_static_selectorELNS0_4arch9wavefront6targetE1EEEvT1_,"axG",@progbits,_ZN7rocprim17ROCPRIM_400000_NS6detail17trampoline_kernelINS0_14default_configENS1_29reduce_by_key_config_selectorItjN6thrust23THRUST_200600_302600_NS4plusIjEEEEZZNS1_33reduce_by_key_impl_wrapped_configILNS1_25lookback_scan_determinismE0ES3_S9_NS6_6detail15normal_iteratorINS6_10device_ptrItEEEENSD_INSE_IjEEEESG_SI_PmS8_NS6_8equal_toItEEEE10hipError_tPvRmT2_T3_mT4_T5_T6_T7_T8_P12ihipStream_tbENKUlT_T0_E_clISt17integral_constantIbLb1EES13_EEDaSY_SZ_EUlSY_E_NS1_11comp_targetILNS1_3genE10ELNS1_11target_archE1201ELNS1_3gpuE5ELNS1_3repE0EEENS1_30default_config_static_selectorELNS0_4arch9wavefront6targetE1EEEvT1_,comdat
	.protected	_ZN7rocprim17ROCPRIM_400000_NS6detail17trampoline_kernelINS0_14default_configENS1_29reduce_by_key_config_selectorItjN6thrust23THRUST_200600_302600_NS4plusIjEEEEZZNS1_33reduce_by_key_impl_wrapped_configILNS1_25lookback_scan_determinismE0ES3_S9_NS6_6detail15normal_iteratorINS6_10device_ptrItEEEENSD_INSE_IjEEEESG_SI_PmS8_NS6_8equal_toItEEEE10hipError_tPvRmT2_T3_mT4_T5_T6_T7_T8_P12ihipStream_tbENKUlT_T0_E_clISt17integral_constantIbLb1EES13_EEDaSY_SZ_EUlSY_E_NS1_11comp_targetILNS1_3genE10ELNS1_11target_archE1201ELNS1_3gpuE5ELNS1_3repE0EEENS1_30default_config_static_selectorELNS0_4arch9wavefront6targetE1EEEvT1_ ; -- Begin function _ZN7rocprim17ROCPRIM_400000_NS6detail17trampoline_kernelINS0_14default_configENS1_29reduce_by_key_config_selectorItjN6thrust23THRUST_200600_302600_NS4plusIjEEEEZZNS1_33reduce_by_key_impl_wrapped_configILNS1_25lookback_scan_determinismE0ES3_S9_NS6_6detail15normal_iteratorINS6_10device_ptrItEEEENSD_INSE_IjEEEESG_SI_PmS8_NS6_8equal_toItEEEE10hipError_tPvRmT2_T3_mT4_T5_T6_T7_T8_P12ihipStream_tbENKUlT_T0_E_clISt17integral_constantIbLb1EES13_EEDaSY_SZ_EUlSY_E_NS1_11comp_targetILNS1_3genE10ELNS1_11target_archE1201ELNS1_3gpuE5ELNS1_3repE0EEENS1_30default_config_static_selectorELNS0_4arch9wavefront6targetE1EEEvT1_
	.globl	_ZN7rocprim17ROCPRIM_400000_NS6detail17trampoline_kernelINS0_14default_configENS1_29reduce_by_key_config_selectorItjN6thrust23THRUST_200600_302600_NS4plusIjEEEEZZNS1_33reduce_by_key_impl_wrapped_configILNS1_25lookback_scan_determinismE0ES3_S9_NS6_6detail15normal_iteratorINS6_10device_ptrItEEEENSD_INSE_IjEEEESG_SI_PmS8_NS6_8equal_toItEEEE10hipError_tPvRmT2_T3_mT4_T5_T6_T7_T8_P12ihipStream_tbENKUlT_T0_E_clISt17integral_constantIbLb1EES13_EEDaSY_SZ_EUlSY_E_NS1_11comp_targetILNS1_3genE10ELNS1_11target_archE1201ELNS1_3gpuE5ELNS1_3repE0EEENS1_30default_config_static_selectorELNS0_4arch9wavefront6targetE1EEEvT1_
	.p2align	8
	.type	_ZN7rocprim17ROCPRIM_400000_NS6detail17trampoline_kernelINS0_14default_configENS1_29reduce_by_key_config_selectorItjN6thrust23THRUST_200600_302600_NS4plusIjEEEEZZNS1_33reduce_by_key_impl_wrapped_configILNS1_25lookback_scan_determinismE0ES3_S9_NS6_6detail15normal_iteratorINS6_10device_ptrItEEEENSD_INSE_IjEEEESG_SI_PmS8_NS6_8equal_toItEEEE10hipError_tPvRmT2_T3_mT4_T5_T6_T7_T8_P12ihipStream_tbENKUlT_T0_E_clISt17integral_constantIbLb1EES13_EEDaSY_SZ_EUlSY_E_NS1_11comp_targetILNS1_3genE10ELNS1_11target_archE1201ELNS1_3gpuE5ELNS1_3repE0EEENS1_30default_config_static_selectorELNS0_4arch9wavefront6targetE1EEEvT1_,@function
_ZN7rocprim17ROCPRIM_400000_NS6detail17trampoline_kernelINS0_14default_configENS1_29reduce_by_key_config_selectorItjN6thrust23THRUST_200600_302600_NS4plusIjEEEEZZNS1_33reduce_by_key_impl_wrapped_configILNS1_25lookback_scan_determinismE0ES3_S9_NS6_6detail15normal_iteratorINS6_10device_ptrItEEEENSD_INSE_IjEEEESG_SI_PmS8_NS6_8equal_toItEEEE10hipError_tPvRmT2_T3_mT4_T5_T6_T7_T8_P12ihipStream_tbENKUlT_T0_E_clISt17integral_constantIbLb1EES13_EEDaSY_SZ_EUlSY_E_NS1_11comp_targetILNS1_3genE10ELNS1_11target_archE1201ELNS1_3gpuE5ELNS1_3repE0EEENS1_30default_config_static_selectorELNS0_4arch9wavefront6targetE1EEEvT1_: ; @_ZN7rocprim17ROCPRIM_400000_NS6detail17trampoline_kernelINS0_14default_configENS1_29reduce_by_key_config_selectorItjN6thrust23THRUST_200600_302600_NS4plusIjEEEEZZNS1_33reduce_by_key_impl_wrapped_configILNS1_25lookback_scan_determinismE0ES3_S9_NS6_6detail15normal_iteratorINS6_10device_ptrItEEEENSD_INSE_IjEEEESG_SI_PmS8_NS6_8equal_toItEEEE10hipError_tPvRmT2_T3_mT4_T5_T6_T7_T8_P12ihipStream_tbENKUlT_T0_E_clISt17integral_constantIbLb1EES13_EEDaSY_SZ_EUlSY_E_NS1_11comp_targetILNS1_3genE10ELNS1_11target_archE1201ELNS1_3gpuE5ELNS1_3repE0EEENS1_30default_config_static_selectorELNS0_4arch9wavefront6targetE1EEEvT1_
; %bb.0:
	.section	.rodata,"a",@progbits
	.p2align	6, 0x0
	.amdhsa_kernel _ZN7rocprim17ROCPRIM_400000_NS6detail17trampoline_kernelINS0_14default_configENS1_29reduce_by_key_config_selectorItjN6thrust23THRUST_200600_302600_NS4plusIjEEEEZZNS1_33reduce_by_key_impl_wrapped_configILNS1_25lookback_scan_determinismE0ES3_S9_NS6_6detail15normal_iteratorINS6_10device_ptrItEEEENSD_INSE_IjEEEESG_SI_PmS8_NS6_8equal_toItEEEE10hipError_tPvRmT2_T3_mT4_T5_T6_T7_T8_P12ihipStream_tbENKUlT_T0_E_clISt17integral_constantIbLb1EES13_EEDaSY_SZ_EUlSY_E_NS1_11comp_targetILNS1_3genE10ELNS1_11target_archE1201ELNS1_3gpuE5ELNS1_3repE0EEENS1_30default_config_static_selectorELNS0_4arch9wavefront6targetE1EEEvT1_
		.amdhsa_group_segment_fixed_size 0
		.amdhsa_private_segment_fixed_size 0
		.amdhsa_kernarg_size 120
		.amdhsa_user_sgpr_count 6
		.amdhsa_user_sgpr_private_segment_buffer 1
		.amdhsa_user_sgpr_dispatch_ptr 0
		.amdhsa_user_sgpr_queue_ptr 0
		.amdhsa_user_sgpr_kernarg_segment_ptr 1
		.amdhsa_user_sgpr_dispatch_id 0
		.amdhsa_user_sgpr_flat_scratch_init 0
		.amdhsa_user_sgpr_kernarg_preload_length 0
		.amdhsa_user_sgpr_kernarg_preload_offset 0
		.amdhsa_user_sgpr_private_segment_size 0
		.amdhsa_uses_dynamic_stack 0
		.amdhsa_system_sgpr_private_segment_wavefront_offset 0
		.amdhsa_system_sgpr_workgroup_id_x 1
		.amdhsa_system_sgpr_workgroup_id_y 0
		.amdhsa_system_sgpr_workgroup_id_z 0
		.amdhsa_system_sgpr_workgroup_info 0
		.amdhsa_system_vgpr_workitem_id 0
		.amdhsa_next_free_vgpr 1
		.amdhsa_next_free_sgpr 0
		.amdhsa_accum_offset 4
		.amdhsa_reserve_vcc 0
		.amdhsa_reserve_flat_scratch 0
		.amdhsa_float_round_mode_32 0
		.amdhsa_float_round_mode_16_64 0
		.amdhsa_float_denorm_mode_32 3
		.amdhsa_float_denorm_mode_16_64 3
		.amdhsa_dx10_clamp 1
		.amdhsa_ieee_mode 1
		.amdhsa_fp16_overflow 0
		.amdhsa_tg_split 0
		.amdhsa_exception_fp_ieee_invalid_op 0
		.amdhsa_exception_fp_denorm_src 0
		.amdhsa_exception_fp_ieee_div_zero 0
		.amdhsa_exception_fp_ieee_overflow 0
		.amdhsa_exception_fp_ieee_underflow 0
		.amdhsa_exception_fp_ieee_inexact 0
		.amdhsa_exception_int_div_zero 0
	.end_amdhsa_kernel
	.section	.text._ZN7rocprim17ROCPRIM_400000_NS6detail17trampoline_kernelINS0_14default_configENS1_29reduce_by_key_config_selectorItjN6thrust23THRUST_200600_302600_NS4plusIjEEEEZZNS1_33reduce_by_key_impl_wrapped_configILNS1_25lookback_scan_determinismE0ES3_S9_NS6_6detail15normal_iteratorINS6_10device_ptrItEEEENSD_INSE_IjEEEESG_SI_PmS8_NS6_8equal_toItEEEE10hipError_tPvRmT2_T3_mT4_T5_T6_T7_T8_P12ihipStream_tbENKUlT_T0_E_clISt17integral_constantIbLb1EES13_EEDaSY_SZ_EUlSY_E_NS1_11comp_targetILNS1_3genE10ELNS1_11target_archE1201ELNS1_3gpuE5ELNS1_3repE0EEENS1_30default_config_static_selectorELNS0_4arch9wavefront6targetE1EEEvT1_,"axG",@progbits,_ZN7rocprim17ROCPRIM_400000_NS6detail17trampoline_kernelINS0_14default_configENS1_29reduce_by_key_config_selectorItjN6thrust23THRUST_200600_302600_NS4plusIjEEEEZZNS1_33reduce_by_key_impl_wrapped_configILNS1_25lookback_scan_determinismE0ES3_S9_NS6_6detail15normal_iteratorINS6_10device_ptrItEEEENSD_INSE_IjEEEESG_SI_PmS8_NS6_8equal_toItEEEE10hipError_tPvRmT2_T3_mT4_T5_T6_T7_T8_P12ihipStream_tbENKUlT_T0_E_clISt17integral_constantIbLb1EES13_EEDaSY_SZ_EUlSY_E_NS1_11comp_targetILNS1_3genE10ELNS1_11target_archE1201ELNS1_3gpuE5ELNS1_3repE0EEENS1_30default_config_static_selectorELNS0_4arch9wavefront6targetE1EEEvT1_,comdat
.Lfunc_end747:
	.size	_ZN7rocprim17ROCPRIM_400000_NS6detail17trampoline_kernelINS0_14default_configENS1_29reduce_by_key_config_selectorItjN6thrust23THRUST_200600_302600_NS4plusIjEEEEZZNS1_33reduce_by_key_impl_wrapped_configILNS1_25lookback_scan_determinismE0ES3_S9_NS6_6detail15normal_iteratorINS6_10device_ptrItEEEENSD_INSE_IjEEEESG_SI_PmS8_NS6_8equal_toItEEEE10hipError_tPvRmT2_T3_mT4_T5_T6_T7_T8_P12ihipStream_tbENKUlT_T0_E_clISt17integral_constantIbLb1EES13_EEDaSY_SZ_EUlSY_E_NS1_11comp_targetILNS1_3genE10ELNS1_11target_archE1201ELNS1_3gpuE5ELNS1_3repE0EEENS1_30default_config_static_selectorELNS0_4arch9wavefront6targetE1EEEvT1_, .Lfunc_end747-_ZN7rocprim17ROCPRIM_400000_NS6detail17trampoline_kernelINS0_14default_configENS1_29reduce_by_key_config_selectorItjN6thrust23THRUST_200600_302600_NS4plusIjEEEEZZNS1_33reduce_by_key_impl_wrapped_configILNS1_25lookback_scan_determinismE0ES3_S9_NS6_6detail15normal_iteratorINS6_10device_ptrItEEEENSD_INSE_IjEEEESG_SI_PmS8_NS6_8equal_toItEEEE10hipError_tPvRmT2_T3_mT4_T5_T6_T7_T8_P12ihipStream_tbENKUlT_T0_E_clISt17integral_constantIbLb1EES13_EEDaSY_SZ_EUlSY_E_NS1_11comp_targetILNS1_3genE10ELNS1_11target_archE1201ELNS1_3gpuE5ELNS1_3repE0EEENS1_30default_config_static_selectorELNS0_4arch9wavefront6targetE1EEEvT1_
                                        ; -- End function
	.section	.AMDGPU.csdata,"",@progbits
; Kernel info:
; codeLenInByte = 0
; NumSgprs: 4
; NumVgprs: 0
; NumAgprs: 0
; TotalNumVgprs: 0
; ScratchSize: 0
; MemoryBound: 0
; FloatMode: 240
; IeeeMode: 1
; LDSByteSize: 0 bytes/workgroup (compile time only)
; SGPRBlocks: 0
; VGPRBlocks: 0
; NumSGPRsForWavesPerEU: 4
; NumVGPRsForWavesPerEU: 1
; AccumOffset: 4
; Occupancy: 8
; WaveLimiterHint : 0
; COMPUTE_PGM_RSRC2:SCRATCH_EN: 0
; COMPUTE_PGM_RSRC2:USER_SGPR: 6
; COMPUTE_PGM_RSRC2:TRAP_HANDLER: 0
; COMPUTE_PGM_RSRC2:TGID_X_EN: 1
; COMPUTE_PGM_RSRC2:TGID_Y_EN: 0
; COMPUTE_PGM_RSRC2:TGID_Z_EN: 0
; COMPUTE_PGM_RSRC2:TIDIG_COMP_CNT: 0
; COMPUTE_PGM_RSRC3_GFX90A:ACCUM_OFFSET: 0
; COMPUTE_PGM_RSRC3_GFX90A:TG_SPLIT: 0
	.section	.text._ZN7rocprim17ROCPRIM_400000_NS6detail17trampoline_kernelINS0_14default_configENS1_29reduce_by_key_config_selectorItjN6thrust23THRUST_200600_302600_NS4plusIjEEEEZZNS1_33reduce_by_key_impl_wrapped_configILNS1_25lookback_scan_determinismE0ES3_S9_NS6_6detail15normal_iteratorINS6_10device_ptrItEEEENSD_INSE_IjEEEESG_SI_PmS8_NS6_8equal_toItEEEE10hipError_tPvRmT2_T3_mT4_T5_T6_T7_T8_P12ihipStream_tbENKUlT_T0_E_clISt17integral_constantIbLb1EES13_EEDaSY_SZ_EUlSY_E_NS1_11comp_targetILNS1_3genE10ELNS1_11target_archE1200ELNS1_3gpuE4ELNS1_3repE0EEENS1_30default_config_static_selectorELNS0_4arch9wavefront6targetE1EEEvT1_,"axG",@progbits,_ZN7rocprim17ROCPRIM_400000_NS6detail17trampoline_kernelINS0_14default_configENS1_29reduce_by_key_config_selectorItjN6thrust23THRUST_200600_302600_NS4plusIjEEEEZZNS1_33reduce_by_key_impl_wrapped_configILNS1_25lookback_scan_determinismE0ES3_S9_NS6_6detail15normal_iteratorINS6_10device_ptrItEEEENSD_INSE_IjEEEESG_SI_PmS8_NS6_8equal_toItEEEE10hipError_tPvRmT2_T3_mT4_T5_T6_T7_T8_P12ihipStream_tbENKUlT_T0_E_clISt17integral_constantIbLb1EES13_EEDaSY_SZ_EUlSY_E_NS1_11comp_targetILNS1_3genE10ELNS1_11target_archE1200ELNS1_3gpuE4ELNS1_3repE0EEENS1_30default_config_static_selectorELNS0_4arch9wavefront6targetE1EEEvT1_,comdat
	.protected	_ZN7rocprim17ROCPRIM_400000_NS6detail17trampoline_kernelINS0_14default_configENS1_29reduce_by_key_config_selectorItjN6thrust23THRUST_200600_302600_NS4plusIjEEEEZZNS1_33reduce_by_key_impl_wrapped_configILNS1_25lookback_scan_determinismE0ES3_S9_NS6_6detail15normal_iteratorINS6_10device_ptrItEEEENSD_INSE_IjEEEESG_SI_PmS8_NS6_8equal_toItEEEE10hipError_tPvRmT2_T3_mT4_T5_T6_T7_T8_P12ihipStream_tbENKUlT_T0_E_clISt17integral_constantIbLb1EES13_EEDaSY_SZ_EUlSY_E_NS1_11comp_targetILNS1_3genE10ELNS1_11target_archE1200ELNS1_3gpuE4ELNS1_3repE0EEENS1_30default_config_static_selectorELNS0_4arch9wavefront6targetE1EEEvT1_ ; -- Begin function _ZN7rocprim17ROCPRIM_400000_NS6detail17trampoline_kernelINS0_14default_configENS1_29reduce_by_key_config_selectorItjN6thrust23THRUST_200600_302600_NS4plusIjEEEEZZNS1_33reduce_by_key_impl_wrapped_configILNS1_25lookback_scan_determinismE0ES3_S9_NS6_6detail15normal_iteratorINS6_10device_ptrItEEEENSD_INSE_IjEEEESG_SI_PmS8_NS6_8equal_toItEEEE10hipError_tPvRmT2_T3_mT4_T5_T6_T7_T8_P12ihipStream_tbENKUlT_T0_E_clISt17integral_constantIbLb1EES13_EEDaSY_SZ_EUlSY_E_NS1_11comp_targetILNS1_3genE10ELNS1_11target_archE1200ELNS1_3gpuE4ELNS1_3repE0EEENS1_30default_config_static_selectorELNS0_4arch9wavefront6targetE1EEEvT1_
	.globl	_ZN7rocprim17ROCPRIM_400000_NS6detail17trampoline_kernelINS0_14default_configENS1_29reduce_by_key_config_selectorItjN6thrust23THRUST_200600_302600_NS4plusIjEEEEZZNS1_33reduce_by_key_impl_wrapped_configILNS1_25lookback_scan_determinismE0ES3_S9_NS6_6detail15normal_iteratorINS6_10device_ptrItEEEENSD_INSE_IjEEEESG_SI_PmS8_NS6_8equal_toItEEEE10hipError_tPvRmT2_T3_mT4_T5_T6_T7_T8_P12ihipStream_tbENKUlT_T0_E_clISt17integral_constantIbLb1EES13_EEDaSY_SZ_EUlSY_E_NS1_11comp_targetILNS1_3genE10ELNS1_11target_archE1200ELNS1_3gpuE4ELNS1_3repE0EEENS1_30default_config_static_selectorELNS0_4arch9wavefront6targetE1EEEvT1_
	.p2align	8
	.type	_ZN7rocprim17ROCPRIM_400000_NS6detail17trampoline_kernelINS0_14default_configENS1_29reduce_by_key_config_selectorItjN6thrust23THRUST_200600_302600_NS4plusIjEEEEZZNS1_33reduce_by_key_impl_wrapped_configILNS1_25lookback_scan_determinismE0ES3_S9_NS6_6detail15normal_iteratorINS6_10device_ptrItEEEENSD_INSE_IjEEEESG_SI_PmS8_NS6_8equal_toItEEEE10hipError_tPvRmT2_T3_mT4_T5_T6_T7_T8_P12ihipStream_tbENKUlT_T0_E_clISt17integral_constantIbLb1EES13_EEDaSY_SZ_EUlSY_E_NS1_11comp_targetILNS1_3genE10ELNS1_11target_archE1200ELNS1_3gpuE4ELNS1_3repE0EEENS1_30default_config_static_selectorELNS0_4arch9wavefront6targetE1EEEvT1_,@function
_ZN7rocprim17ROCPRIM_400000_NS6detail17trampoline_kernelINS0_14default_configENS1_29reduce_by_key_config_selectorItjN6thrust23THRUST_200600_302600_NS4plusIjEEEEZZNS1_33reduce_by_key_impl_wrapped_configILNS1_25lookback_scan_determinismE0ES3_S9_NS6_6detail15normal_iteratorINS6_10device_ptrItEEEENSD_INSE_IjEEEESG_SI_PmS8_NS6_8equal_toItEEEE10hipError_tPvRmT2_T3_mT4_T5_T6_T7_T8_P12ihipStream_tbENKUlT_T0_E_clISt17integral_constantIbLb1EES13_EEDaSY_SZ_EUlSY_E_NS1_11comp_targetILNS1_3genE10ELNS1_11target_archE1200ELNS1_3gpuE4ELNS1_3repE0EEENS1_30default_config_static_selectorELNS0_4arch9wavefront6targetE1EEEvT1_: ; @_ZN7rocprim17ROCPRIM_400000_NS6detail17trampoline_kernelINS0_14default_configENS1_29reduce_by_key_config_selectorItjN6thrust23THRUST_200600_302600_NS4plusIjEEEEZZNS1_33reduce_by_key_impl_wrapped_configILNS1_25lookback_scan_determinismE0ES3_S9_NS6_6detail15normal_iteratorINS6_10device_ptrItEEEENSD_INSE_IjEEEESG_SI_PmS8_NS6_8equal_toItEEEE10hipError_tPvRmT2_T3_mT4_T5_T6_T7_T8_P12ihipStream_tbENKUlT_T0_E_clISt17integral_constantIbLb1EES13_EEDaSY_SZ_EUlSY_E_NS1_11comp_targetILNS1_3genE10ELNS1_11target_archE1200ELNS1_3gpuE4ELNS1_3repE0EEENS1_30default_config_static_selectorELNS0_4arch9wavefront6targetE1EEEvT1_
; %bb.0:
	.section	.rodata,"a",@progbits
	.p2align	6, 0x0
	.amdhsa_kernel _ZN7rocprim17ROCPRIM_400000_NS6detail17trampoline_kernelINS0_14default_configENS1_29reduce_by_key_config_selectorItjN6thrust23THRUST_200600_302600_NS4plusIjEEEEZZNS1_33reduce_by_key_impl_wrapped_configILNS1_25lookback_scan_determinismE0ES3_S9_NS6_6detail15normal_iteratorINS6_10device_ptrItEEEENSD_INSE_IjEEEESG_SI_PmS8_NS6_8equal_toItEEEE10hipError_tPvRmT2_T3_mT4_T5_T6_T7_T8_P12ihipStream_tbENKUlT_T0_E_clISt17integral_constantIbLb1EES13_EEDaSY_SZ_EUlSY_E_NS1_11comp_targetILNS1_3genE10ELNS1_11target_archE1200ELNS1_3gpuE4ELNS1_3repE0EEENS1_30default_config_static_selectorELNS0_4arch9wavefront6targetE1EEEvT1_
		.amdhsa_group_segment_fixed_size 0
		.amdhsa_private_segment_fixed_size 0
		.amdhsa_kernarg_size 120
		.amdhsa_user_sgpr_count 6
		.amdhsa_user_sgpr_private_segment_buffer 1
		.amdhsa_user_sgpr_dispatch_ptr 0
		.amdhsa_user_sgpr_queue_ptr 0
		.amdhsa_user_sgpr_kernarg_segment_ptr 1
		.amdhsa_user_sgpr_dispatch_id 0
		.amdhsa_user_sgpr_flat_scratch_init 0
		.amdhsa_user_sgpr_kernarg_preload_length 0
		.amdhsa_user_sgpr_kernarg_preload_offset 0
		.amdhsa_user_sgpr_private_segment_size 0
		.amdhsa_uses_dynamic_stack 0
		.amdhsa_system_sgpr_private_segment_wavefront_offset 0
		.amdhsa_system_sgpr_workgroup_id_x 1
		.amdhsa_system_sgpr_workgroup_id_y 0
		.amdhsa_system_sgpr_workgroup_id_z 0
		.amdhsa_system_sgpr_workgroup_info 0
		.amdhsa_system_vgpr_workitem_id 0
		.amdhsa_next_free_vgpr 1
		.amdhsa_next_free_sgpr 0
		.amdhsa_accum_offset 4
		.amdhsa_reserve_vcc 0
		.amdhsa_reserve_flat_scratch 0
		.amdhsa_float_round_mode_32 0
		.amdhsa_float_round_mode_16_64 0
		.amdhsa_float_denorm_mode_32 3
		.amdhsa_float_denorm_mode_16_64 3
		.amdhsa_dx10_clamp 1
		.amdhsa_ieee_mode 1
		.amdhsa_fp16_overflow 0
		.amdhsa_tg_split 0
		.amdhsa_exception_fp_ieee_invalid_op 0
		.amdhsa_exception_fp_denorm_src 0
		.amdhsa_exception_fp_ieee_div_zero 0
		.amdhsa_exception_fp_ieee_overflow 0
		.amdhsa_exception_fp_ieee_underflow 0
		.amdhsa_exception_fp_ieee_inexact 0
		.amdhsa_exception_int_div_zero 0
	.end_amdhsa_kernel
	.section	.text._ZN7rocprim17ROCPRIM_400000_NS6detail17trampoline_kernelINS0_14default_configENS1_29reduce_by_key_config_selectorItjN6thrust23THRUST_200600_302600_NS4plusIjEEEEZZNS1_33reduce_by_key_impl_wrapped_configILNS1_25lookback_scan_determinismE0ES3_S9_NS6_6detail15normal_iteratorINS6_10device_ptrItEEEENSD_INSE_IjEEEESG_SI_PmS8_NS6_8equal_toItEEEE10hipError_tPvRmT2_T3_mT4_T5_T6_T7_T8_P12ihipStream_tbENKUlT_T0_E_clISt17integral_constantIbLb1EES13_EEDaSY_SZ_EUlSY_E_NS1_11comp_targetILNS1_3genE10ELNS1_11target_archE1200ELNS1_3gpuE4ELNS1_3repE0EEENS1_30default_config_static_selectorELNS0_4arch9wavefront6targetE1EEEvT1_,"axG",@progbits,_ZN7rocprim17ROCPRIM_400000_NS6detail17trampoline_kernelINS0_14default_configENS1_29reduce_by_key_config_selectorItjN6thrust23THRUST_200600_302600_NS4plusIjEEEEZZNS1_33reduce_by_key_impl_wrapped_configILNS1_25lookback_scan_determinismE0ES3_S9_NS6_6detail15normal_iteratorINS6_10device_ptrItEEEENSD_INSE_IjEEEESG_SI_PmS8_NS6_8equal_toItEEEE10hipError_tPvRmT2_T3_mT4_T5_T6_T7_T8_P12ihipStream_tbENKUlT_T0_E_clISt17integral_constantIbLb1EES13_EEDaSY_SZ_EUlSY_E_NS1_11comp_targetILNS1_3genE10ELNS1_11target_archE1200ELNS1_3gpuE4ELNS1_3repE0EEENS1_30default_config_static_selectorELNS0_4arch9wavefront6targetE1EEEvT1_,comdat
.Lfunc_end748:
	.size	_ZN7rocprim17ROCPRIM_400000_NS6detail17trampoline_kernelINS0_14default_configENS1_29reduce_by_key_config_selectorItjN6thrust23THRUST_200600_302600_NS4plusIjEEEEZZNS1_33reduce_by_key_impl_wrapped_configILNS1_25lookback_scan_determinismE0ES3_S9_NS6_6detail15normal_iteratorINS6_10device_ptrItEEEENSD_INSE_IjEEEESG_SI_PmS8_NS6_8equal_toItEEEE10hipError_tPvRmT2_T3_mT4_T5_T6_T7_T8_P12ihipStream_tbENKUlT_T0_E_clISt17integral_constantIbLb1EES13_EEDaSY_SZ_EUlSY_E_NS1_11comp_targetILNS1_3genE10ELNS1_11target_archE1200ELNS1_3gpuE4ELNS1_3repE0EEENS1_30default_config_static_selectorELNS0_4arch9wavefront6targetE1EEEvT1_, .Lfunc_end748-_ZN7rocprim17ROCPRIM_400000_NS6detail17trampoline_kernelINS0_14default_configENS1_29reduce_by_key_config_selectorItjN6thrust23THRUST_200600_302600_NS4plusIjEEEEZZNS1_33reduce_by_key_impl_wrapped_configILNS1_25lookback_scan_determinismE0ES3_S9_NS6_6detail15normal_iteratorINS6_10device_ptrItEEEENSD_INSE_IjEEEESG_SI_PmS8_NS6_8equal_toItEEEE10hipError_tPvRmT2_T3_mT4_T5_T6_T7_T8_P12ihipStream_tbENKUlT_T0_E_clISt17integral_constantIbLb1EES13_EEDaSY_SZ_EUlSY_E_NS1_11comp_targetILNS1_3genE10ELNS1_11target_archE1200ELNS1_3gpuE4ELNS1_3repE0EEENS1_30default_config_static_selectorELNS0_4arch9wavefront6targetE1EEEvT1_
                                        ; -- End function
	.section	.AMDGPU.csdata,"",@progbits
; Kernel info:
; codeLenInByte = 0
; NumSgprs: 4
; NumVgprs: 0
; NumAgprs: 0
; TotalNumVgprs: 0
; ScratchSize: 0
; MemoryBound: 0
; FloatMode: 240
; IeeeMode: 1
; LDSByteSize: 0 bytes/workgroup (compile time only)
; SGPRBlocks: 0
; VGPRBlocks: 0
; NumSGPRsForWavesPerEU: 4
; NumVGPRsForWavesPerEU: 1
; AccumOffset: 4
; Occupancy: 8
; WaveLimiterHint : 0
; COMPUTE_PGM_RSRC2:SCRATCH_EN: 0
; COMPUTE_PGM_RSRC2:USER_SGPR: 6
; COMPUTE_PGM_RSRC2:TRAP_HANDLER: 0
; COMPUTE_PGM_RSRC2:TGID_X_EN: 1
; COMPUTE_PGM_RSRC2:TGID_Y_EN: 0
; COMPUTE_PGM_RSRC2:TGID_Z_EN: 0
; COMPUTE_PGM_RSRC2:TIDIG_COMP_CNT: 0
; COMPUTE_PGM_RSRC3_GFX90A:ACCUM_OFFSET: 0
; COMPUTE_PGM_RSRC3_GFX90A:TG_SPLIT: 0
	.section	.text._ZN7rocprim17ROCPRIM_400000_NS6detail17trampoline_kernelINS0_14default_configENS1_29reduce_by_key_config_selectorItjN6thrust23THRUST_200600_302600_NS4plusIjEEEEZZNS1_33reduce_by_key_impl_wrapped_configILNS1_25lookback_scan_determinismE0ES3_S9_NS6_6detail15normal_iteratorINS6_10device_ptrItEEEENSD_INSE_IjEEEESG_SI_PmS8_NS6_8equal_toItEEEE10hipError_tPvRmT2_T3_mT4_T5_T6_T7_T8_P12ihipStream_tbENKUlT_T0_E_clISt17integral_constantIbLb1EES13_EEDaSY_SZ_EUlSY_E_NS1_11comp_targetILNS1_3genE9ELNS1_11target_archE1100ELNS1_3gpuE3ELNS1_3repE0EEENS1_30default_config_static_selectorELNS0_4arch9wavefront6targetE1EEEvT1_,"axG",@progbits,_ZN7rocprim17ROCPRIM_400000_NS6detail17trampoline_kernelINS0_14default_configENS1_29reduce_by_key_config_selectorItjN6thrust23THRUST_200600_302600_NS4plusIjEEEEZZNS1_33reduce_by_key_impl_wrapped_configILNS1_25lookback_scan_determinismE0ES3_S9_NS6_6detail15normal_iteratorINS6_10device_ptrItEEEENSD_INSE_IjEEEESG_SI_PmS8_NS6_8equal_toItEEEE10hipError_tPvRmT2_T3_mT4_T5_T6_T7_T8_P12ihipStream_tbENKUlT_T0_E_clISt17integral_constantIbLb1EES13_EEDaSY_SZ_EUlSY_E_NS1_11comp_targetILNS1_3genE9ELNS1_11target_archE1100ELNS1_3gpuE3ELNS1_3repE0EEENS1_30default_config_static_selectorELNS0_4arch9wavefront6targetE1EEEvT1_,comdat
	.protected	_ZN7rocprim17ROCPRIM_400000_NS6detail17trampoline_kernelINS0_14default_configENS1_29reduce_by_key_config_selectorItjN6thrust23THRUST_200600_302600_NS4plusIjEEEEZZNS1_33reduce_by_key_impl_wrapped_configILNS1_25lookback_scan_determinismE0ES3_S9_NS6_6detail15normal_iteratorINS6_10device_ptrItEEEENSD_INSE_IjEEEESG_SI_PmS8_NS6_8equal_toItEEEE10hipError_tPvRmT2_T3_mT4_T5_T6_T7_T8_P12ihipStream_tbENKUlT_T0_E_clISt17integral_constantIbLb1EES13_EEDaSY_SZ_EUlSY_E_NS1_11comp_targetILNS1_3genE9ELNS1_11target_archE1100ELNS1_3gpuE3ELNS1_3repE0EEENS1_30default_config_static_selectorELNS0_4arch9wavefront6targetE1EEEvT1_ ; -- Begin function _ZN7rocprim17ROCPRIM_400000_NS6detail17trampoline_kernelINS0_14default_configENS1_29reduce_by_key_config_selectorItjN6thrust23THRUST_200600_302600_NS4plusIjEEEEZZNS1_33reduce_by_key_impl_wrapped_configILNS1_25lookback_scan_determinismE0ES3_S9_NS6_6detail15normal_iteratorINS6_10device_ptrItEEEENSD_INSE_IjEEEESG_SI_PmS8_NS6_8equal_toItEEEE10hipError_tPvRmT2_T3_mT4_T5_T6_T7_T8_P12ihipStream_tbENKUlT_T0_E_clISt17integral_constantIbLb1EES13_EEDaSY_SZ_EUlSY_E_NS1_11comp_targetILNS1_3genE9ELNS1_11target_archE1100ELNS1_3gpuE3ELNS1_3repE0EEENS1_30default_config_static_selectorELNS0_4arch9wavefront6targetE1EEEvT1_
	.globl	_ZN7rocprim17ROCPRIM_400000_NS6detail17trampoline_kernelINS0_14default_configENS1_29reduce_by_key_config_selectorItjN6thrust23THRUST_200600_302600_NS4plusIjEEEEZZNS1_33reduce_by_key_impl_wrapped_configILNS1_25lookback_scan_determinismE0ES3_S9_NS6_6detail15normal_iteratorINS6_10device_ptrItEEEENSD_INSE_IjEEEESG_SI_PmS8_NS6_8equal_toItEEEE10hipError_tPvRmT2_T3_mT4_T5_T6_T7_T8_P12ihipStream_tbENKUlT_T0_E_clISt17integral_constantIbLb1EES13_EEDaSY_SZ_EUlSY_E_NS1_11comp_targetILNS1_3genE9ELNS1_11target_archE1100ELNS1_3gpuE3ELNS1_3repE0EEENS1_30default_config_static_selectorELNS0_4arch9wavefront6targetE1EEEvT1_
	.p2align	8
	.type	_ZN7rocprim17ROCPRIM_400000_NS6detail17trampoline_kernelINS0_14default_configENS1_29reduce_by_key_config_selectorItjN6thrust23THRUST_200600_302600_NS4plusIjEEEEZZNS1_33reduce_by_key_impl_wrapped_configILNS1_25lookback_scan_determinismE0ES3_S9_NS6_6detail15normal_iteratorINS6_10device_ptrItEEEENSD_INSE_IjEEEESG_SI_PmS8_NS6_8equal_toItEEEE10hipError_tPvRmT2_T3_mT4_T5_T6_T7_T8_P12ihipStream_tbENKUlT_T0_E_clISt17integral_constantIbLb1EES13_EEDaSY_SZ_EUlSY_E_NS1_11comp_targetILNS1_3genE9ELNS1_11target_archE1100ELNS1_3gpuE3ELNS1_3repE0EEENS1_30default_config_static_selectorELNS0_4arch9wavefront6targetE1EEEvT1_,@function
_ZN7rocprim17ROCPRIM_400000_NS6detail17trampoline_kernelINS0_14default_configENS1_29reduce_by_key_config_selectorItjN6thrust23THRUST_200600_302600_NS4plusIjEEEEZZNS1_33reduce_by_key_impl_wrapped_configILNS1_25lookback_scan_determinismE0ES3_S9_NS6_6detail15normal_iteratorINS6_10device_ptrItEEEENSD_INSE_IjEEEESG_SI_PmS8_NS6_8equal_toItEEEE10hipError_tPvRmT2_T3_mT4_T5_T6_T7_T8_P12ihipStream_tbENKUlT_T0_E_clISt17integral_constantIbLb1EES13_EEDaSY_SZ_EUlSY_E_NS1_11comp_targetILNS1_3genE9ELNS1_11target_archE1100ELNS1_3gpuE3ELNS1_3repE0EEENS1_30default_config_static_selectorELNS0_4arch9wavefront6targetE1EEEvT1_: ; @_ZN7rocprim17ROCPRIM_400000_NS6detail17trampoline_kernelINS0_14default_configENS1_29reduce_by_key_config_selectorItjN6thrust23THRUST_200600_302600_NS4plusIjEEEEZZNS1_33reduce_by_key_impl_wrapped_configILNS1_25lookback_scan_determinismE0ES3_S9_NS6_6detail15normal_iteratorINS6_10device_ptrItEEEENSD_INSE_IjEEEESG_SI_PmS8_NS6_8equal_toItEEEE10hipError_tPvRmT2_T3_mT4_T5_T6_T7_T8_P12ihipStream_tbENKUlT_T0_E_clISt17integral_constantIbLb1EES13_EEDaSY_SZ_EUlSY_E_NS1_11comp_targetILNS1_3genE9ELNS1_11target_archE1100ELNS1_3gpuE3ELNS1_3repE0EEENS1_30default_config_static_selectorELNS0_4arch9wavefront6targetE1EEEvT1_
; %bb.0:
	.section	.rodata,"a",@progbits
	.p2align	6, 0x0
	.amdhsa_kernel _ZN7rocprim17ROCPRIM_400000_NS6detail17trampoline_kernelINS0_14default_configENS1_29reduce_by_key_config_selectorItjN6thrust23THRUST_200600_302600_NS4plusIjEEEEZZNS1_33reduce_by_key_impl_wrapped_configILNS1_25lookback_scan_determinismE0ES3_S9_NS6_6detail15normal_iteratorINS6_10device_ptrItEEEENSD_INSE_IjEEEESG_SI_PmS8_NS6_8equal_toItEEEE10hipError_tPvRmT2_T3_mT4_T5_T6_T7_T8_P12ihipStream_tbENKUlT_T0_E_clISt17integral_constantIbLb1EES13_EEDaSY_SZ_EUlSY_E_NS1_11comp_targetILNS1_3genE9ELNS1_11target_archE1100ELNS1_3gpuE3ELNS1_3repE0EEENS1_30default_config_static_selectorELNS0_4arch9wavefront6targetE1EEEvT1_
		.amdhsa_group_segment_fixed_size 0
		.amdhsa_private_segment_fixed_size 0
		.amdhsa_kernarg_size 120
		.amdhsa_user_sgpr_count 6
		.amdhsa_user_sgpr_private_segment_buffer 1
		.amdhsa_user_sgpr_dispatch_ptr 0
		.amdhsa_user_sgpr_queue_ptr 0
		.amdhsa_user_sgpr_kernarg_segment_ptr 1
		.amdhsa_user_sgpr_dispatch_id 0
		.amdhsa_user_sgpr_flat_scratch_init 0
		.amdhsa_user_sgpr_kernarg_preload_length 0
		.amdhsa_user_sgpr_kernarg_preload_offset 0
		.amdhsa_user_sgpr_private_segment_size 0
		.amdhsa_uses_dynamic_stack 0
		.amdhsa_system_sgpr_private_segment_wavefront_offset 0
		.amdhsa_system_sgpr_workgroup_id_x 1
		.amdhsa_system_sgpr_workgroup_id_y 0
		.amdhsa_system_sgpr_workgroup_id_z 0
		.amdhsa_system_sgpr_workgroup_info 0
		.amdhsa_system_vgpr_workitem_id 0
		.amdhsa_next_free_vgpr 1
		.amdhsa_next_free_sgpr 0
		.amdhsa_accum_offset 4
		.amdhsa_reserve_vcc 0
		.amdhsa_reserve_flat_scratch 0
		.amdhsa_float_round_mode_32 0
		.amdhsa_float_round_mode_16_64 0
		.amdhsa_float_denorm_mode_32 3
		.amdhsa_float_denorm_mode_16_64 3
		.amdhsa_dx10_clamp 1
		.amdhsa_ieee_mode 1
		.amdhsa_fp16_overflow 0
		.amdhsa_tg_split 0
		.amdhsa_exception_fp_ieee_invalid_op 0
		.amdhsa_exception_fp_denorm_src 0
		.amdhsa_exception_fp_ieee_div_zero 0
		.amdhsa_exception_fp_ieee_overflow 0
		.amdhsa_exception_fp_ieee_underflow 0
		.amdhsa_exception_fp_ieee_inexact 0
		.amdhsa_exception_int_div_zero 0
	.end_amdhsa_kernel
	.section	.text._ZN7rocprim17ROCPRIM_400000_NS6detail17trampoline_kernelINS0_14default_configENS1_29reduce_by_key_config_selectorItjN6thrust23THRUST_200600_302600_NS4plusIjEEEEZZNS1_33reduce_by_key_impl_wrapped_configILNS1_25lookback_scan_determinismE0ES3_S9_NS6_6detail15normal_iteratorINS6_10device_ptrItEEEENSD_INSE_IjEEEESG_SI_PmS8_NS6_8equal_toItEEEE10hipError_tPvRmT2_T3_mT4_T5_T6_T7_T8_P12ihipStream_tbENKUlT_T0_E_clISt17integral_constantIbLb1EES13_EEDaSY_SZ_EUlSY_E_NS1_11comp_targetILNS1_3genE9ELNS1_11target_archE1100ELNS1_3gpuE3ELNS1_3repE0EEENS1_30default_config_static_selectorELNS0_4arch9wavefront6targetE1EEEvT1_,"axG",@progbits,_ZN7rocprim17ROCPRIM_400000_NS6detail17trampoline_kernelINS0_14default_configENS1_29reduce_by_key_config_selectorItjN6thrust23THRUST_200600_302600_NS4plusIjEEEEZZNS1_33reduce_by_key_impl_wrapped_configILNS1_25lookback_scan_determinismE0ES3_S9_NS6_6detail15normal_iteratorINS6_10device_ptrItEEEENSD_INSE_IjEEEESG_SI_PmS8_NS6_8equal_toItEEEE10hipError_tPvRmT2_T3_mT4_T5_T6_T7_T8_P12ihipStream_tbENKUlT_T0_E_clISt17integral_constantIbLb1EES13_EEDaSY_SZ_EUlSY_E_NS1_11comp_targetILNS1_3genE9ELNS1_11target_archE1100ELNS1_3gpuE3ELNS1_3repE0EEENS1_30default_config_static_selectorELNS0_4arch9wavefront6targetE1EEEvT1_,comdat
.Lfunc_end749:
	.size	_ZN7rocprim17ROCPRIM_400000_NS6detail17trampoline_kernelINS0_14default_configENS1_29reduce_by_key_config_selectorItjN6thrust23THRUST_200600_302600_NS4plusIjEEEEZZNS1_33reduce_by_key_impl_wrapped_configILNS1_25lookback_scan_determinismE0ES3_S9_NS6_6detail15normal_iteratorINS6_10device_ptrItEEEENSD_INSE_IjEEEESG_SI_PmS8_NS6_8equal_toItEEEE10hipError_tPvRmT2_T3_mT4_T5_T6_T7_T8_P12ihipStream_tbENKUlT_T0_E_clISt17integral_constantIbLb1EES13_EEDaSY_SZ_EUlSY_E_NS1_11comp_targetILNS1_3genE9ELNS1_11target_archE1100ELNS1_3gpuE3ELNS1_3repE0EEENS1_30default_config_static_selectorELNS0_4arch9wavefront6targetE1EEEvT1_, .Lfunc_end749-_ZN7rocprim17ROCPRIM_400000_NS6detail17trampoline_kernelINS0_14default_configENS1_29reduce_by_key_config_selectorItjN6thrust23THRUST_200600_302600_NS4plusIjEEEEZZNS1_33reduce_by_key_impl_wrapped_configILNS1_25lookback_scan_determinismE0ES3_S9_NS6_6detail15normal_iteratorINS6_10device_ptrItEEEENSD_INSE_IjEEEESG_SI_PmS8_NS6_8equal_toItEEEE10hipError_tPvRmT2_T3_mT4_T5_T6_T7_T8_P12ihipStream_tbENKUlT_T0_E_clISt17integral_constantIbLb1EES13_EEDaSY_SZ_EUlSY_E_NS1_11comp_targetILNS1_3genE9ELNS1_11target_archE1100ELNS1_3gpuE3ELNS1_3repE0EEENS1_30default_config_static_selectorELNS0_4arch9wavefront6targetE1EEEvT1_
                                        ; -- End function
	.section	.AMDGPU.csdata,"",@progbits
; Kernel info:
; codeLenInByte = 0
; NumSgprs: 4
; NumVgprs: 0
; NumAgprs: 0
; TotalNumVgprs: 0
; ScratchSize: 0
; MemoryBound: 0
; FloatMode: 240
; IeeeMode: 1
; LDSByteSize: 0 bytes/workgroup (compile time only)
; SGPRBlocks: 0
; VGPRBlocks: 0
; NumSGPRsForWavesPerEU: 4
; NumVGPRsForWavesPerEU: 1
; AccumOffset: 4
; Occupancy: 8
; WaveLimiterHint : 0
; COMPUTE_PGM_RSRC2:SCRATCH_EN: 0
; COMPUTE_PGM_RSRC2:USER_SGPR: 6
; COMPUTE_PGM_RSRC2:TRAP_HANDLER: 0
; COMPUTE_PGM_RSRC2:TGID_X_EN: 1
; COMPUTE_PGM_RSRC2:TGID_Y_EN: 0
; COMPUTE_PGM_RSRC2:TGID_Z_EN: 0
; COMPUTE_PGM_RSRC2:TIDIG_COMP_CNT: 0
; COMPUTE_PGM_RSRC3_GFX90A:ACCUM_OFFSET: 0
; COMPUTE_PGM_RSRC3_GFX90A:TG_SPLIT: 0
	.section	.text._ZN7rocprim17ROCPRIM_400000_NS6detail17trampoline_kernelINS0_14default_configENS1_29reduce_by_key_config_selectorItjN6thrust23THRUST_200600_302600_NS4plusIjEEEEZZNS1_33reduce_by_key_impl_wrapped_configILNS1_25lookback_scan_determinismE0ES3_S9_NS6_6detail15normal_iteratorINS6_10device_ptrItEEEENSD_INSE_IjEEEESG_SI_PmS8_NS6_8equal_toItEEEE10hipError_tPvRmT2_T3_mT4_T5_T6_T7_T8_P12ihipStream_tbENKUlT_T0_E_clISt17integral_constantIbLb1EES13_EEDaSY_SZ_EUlSY_E_NS1_11comp_targetILNS1_3genE8ELNS1_11target_archE1030ELNS1_3gpuE2ELNS1_3repE0EEENS1_30default_config_static_selectorELNS0_4arch9wavefront6targetE1EEEvT1_,"axG",@progbits,_ZN7rocprim17ROCPRIM_400000_NS6detail17trampoline_kernelINS0_14default_configENS1_29reduce_by_key_config_selectorItjN6thrust23THRUST_200600_302600_NS4plusIjEEEEZZNS1_33reduce_by_key_impl_wrapped_configILNS1_25lookback_scan_determinismE0ES3_S9_NS6_6detail15normal_iteratorINS6_10device_ptrItEEEENSD_INSE_IjEEEESG_SI_PmS8_NS6_8equal_toItEEEE10hipError_tPvRmT2_T3_mT4_T5_T6_T7_T8_P12ihipStream_tbENKUlT_T0_E_clISt17integral_constantIbLb1EES13_EEDaSY_SZ_EUlSY_E_NS1_11comp_targetILNS1_3genE8ELNS1_11target_archE1030ELNS1_3gpuE2ELNS1_3repE0EEENS1_30default_config_static_selectorELNS0_4arch9wavefront6targetE1EEEvT1_,comdat
	.protected	_ZN7rocprim17ROCPRIM_400000_NS6detail17trampoline_kernelINS0_14default_configENS1_29reduce_by_key_config_selectorItjN6thrust23THRUST_200600_302600_NS4plusIjEEEEZZNS1_33reduce_by_key_impl_wrapped_configILNS1_25lookback_scan_determinismE0ES3_S9_NS6_6detail15normal_iteratorINS6_10device_ptrItEEEENSD_INSE_IjEEEESG_SI_PmS8_NS6_8equal_toItEEEE10hipError_tPvRmT2_T3_mT4_T5_T6_T7_T8_P12ihipStream_tbENKUlT_T0_E_clISt17integral_constantIbLb1EES13_EEDaSY_SZ_EUlSY_E_NS1_11comp_targetILNS1_3genE8ELNS1_11target_archE1030ELNS1_3gpuE2ELNS1_3repE0EEENS1_30default_config_static_selectorELNS0_4arch9wavefront6targetE1EEEvT1_ ; -- Begin function _ZN7rocprim17ROCPRIM_400000_NS6detail17trampoline_kernelINS0_14default_configENS1_29reduce_by_key_config_selectorItjN6thrust23THRUST_200600_302600_NS4plusIjEEEEZZNS1_33reduce_by_key_impl_wrapped_configILNS1_25lookback_scan_determinismE0ES3_S9_NS6_6detail15normal_iteratorINS6_10device_ptrItEEEENSD_INSE_IjEEEESG_SI_PmS8_NS6_8equal_toItEEEE10hipError_tPvRmT2_T3_mT4_T5_T6_T7_T8_P12ihipStream_tbENKUlT_T0_E_clISt17integral_constantIbLb1EES13_EEDaSY_SZ_EUlSY_E_NS1_11comp_targetILNS1_3genE8ELNS1_11target_archE1030ELNS1_3gpuE2ELNS1_3repE0EEENS1_30default_config_static_selectorELNS0_4arch9wavefront6targetE1EEEvT1_
	.globl	_ZN7rocprim17ROCPRIM_400000_NS6detail17trampoline_kernelINS0_14default_configENS1_29reduce_by_key_config_selectorItjN6thrust23THRUST_200600_302600_NS4plusIjEEEEZZNS1_33reduce_by_key_impl_wrapped_configILNS1_25lookback_scan_determinismE0ES3_S9_NS6_6detail15normal_iteratorINS6_10device_ptrItEEEENSD_INSE_IjEEEESG_SI_PmS8_NS6_8equal_toItEEEE10hipError_tPvRmT2_T3_mT4_T5_T6_T7_T8_P12ihipStream_tbENKUlT_T0_E_clISt17integral_constantIbLb1EES13_EEDaSY_SZ_EUlSY_E_NS1_11comp_targetILNS1_3genE8ELNS1_11target_archE1030ELNS1_3gpuE2ELNS1_3repE0EEENS1_30default_config_static_selectorELNS0_4arch9wavefront6targetE1EEEvT1_
	.p2align	8
	.type	_ZN7rocprim17ROCPRIM_400000_NS6detail17trampoline_kernelINS0_14default_configENS1_29reduce_by_key_config_selectorItjN6thrust23THRUST_200600_302600_NS4plusIjEEEEZZNS1_33reduce_by_key_impl_wrapped_configILNS1_25lookback_scan_determinismE0ES3_S9_NS6_6detail15normal_iteratorINS6_10device_ptrItEEEENSD_INSE_IjEEEESG_SI_PmS8_NS6_8equal_toItEEEE10hipError_tPvRmT2_T3_mT4_T5_T6_T7_T8_P12ihipStream_tbENKUlT_T0_E_clISt17integral_constantIbLb1EES13_EEDaSY_SZ_EUlSY_E_NS1_11comp_targetILNS1_3genE8ELNS1_11target_archE1030ELNS1_3gpuE2ELNS1_3repE0EEENS1_30default_config_static_selectorELNS0_4arch9wavefront6targetE1EEEvT1_,@function
_ZN7rocprim17ROCPRIM_400000_NS6detail17trampoline_kernelINS0_14default_configENS1_29reduce_by_key_config_selectorItjN6thrust23THRUST_200600_302600_NS4plusIjEEEEZZNS1_33reduce_by_key_impl_wrapped_configILNS1_25lookback_scan_determinismE0ES3_S9_NS6_6detail15normal_iteratorINS6_10device_ptrItEEEENSD_INSE_IjEEEESG_SI_PmS8_NS6_8equal_toItEEEE10hipError_tPvRmT2_T3_mT4_T5_T6_T7_T8_P12ihipStream_tbENKUlT_T0_E_clISt17integral_constantIbLb1EES13_EEDaSY_SZ_EUlSY_E_NS1_11comp_targetILNS1_3genE8ELNS1_11target_archE1030ELNS1_3gpuE2ELNS1_3repE0EEENS1_30default_config_static_selectorELNS0_4arch9wavefront6targetE1EEEvT1_: ; @_ZN7rocprim17ROCPRIM_400000_NS6detail17trampoline_kernelINS0_14default_configENS1_29reduce_by_key_config_selectorItjN6thrust23THRUST_200600_302600_NS4plusIjEEEEZZNS1_33reduce_by_key_impl_wrapped_configILNS1_25lookback_scan_determinismE0ES3_S9_NS6_6detail15normal_iteratorINS6_10device_ptrItEEEENSD_INSE_IjEEEESG_SI_PmS8_NS6_8equal_toItEEEE10hipError_tPvRmT2_T3_mT4_T5_T6_T7_T8_P12ihipStream_tbENKUlT_T0_E_clISt17integral_constantIbLb1EES13_EEDaSY_SZ_EUlSY_E_NS1_11comp_targetILNS1_3genE8ELNS1_11target_archE1030ELNS1_3gpuE2ELNS1_3repE0EEENS1_30default_config_static_selectorELNS0_4arch9wavefront6targetE1EEEvT1_
; %bb.0:
	.section	.rodata,"a",@progbits
	.p2align	6, 0x0
	.amdhsa_kernel _ZN7rocprim17ROCPRIM_400000_NS6detail17trampoline_kernelINS0_14default_configENS1_29reduce_by_key_config_selectorItjN6thrust23THRUST_200600_302600_NS4plusIjEEEEZZNS1_33reduce_by_key_impl_wrapped_configILNS1_25lookback_scan_determinismE0ES3_S9_NS6_6detail15normal_iteratorINS6_10device_ptrItEEEENSD_INSE_IjEEEESG_SI_PmS8_NS6_8equal_toItEEEE10hipError_tPvRmT2_T3_mT4_T5_T6_T7_T8_P12ihipStream_tbENKUlT_T0_E_clISt17integral_constantIbLb1EES13_EEDaSY_SZ_EUlSY_E_NS1_11comp_targetILNS1_3genE8ELNS1_11target_archE1030ELNS1_3gpuE2ELNS1_3repE0EEENS1_30default_config_static_selectorELNS0_4arch9wavefront6targetE1EEEvT1_
		.amdhsa_group_segment_fixed_size 0
		.amdhsa_private_segment_fixed_size 0
		.amdhsa_kernarg_size 120
		.amdhsa_user_sgpr_count 6
		.amdhsa_user_sgpr_private_segment_buffer 1
		.amdhsa_user_sgpr_dispatch_ptr 0
		.amdhsa_user_sgpr_queue_ptr 0
		.amdhsa_user_sgpr_kernarg_segment_ptr 1
		.amdhsa_user_sgpr_dispatch_id 0
		.amdhsa_user_sgpr_flat_scratch_init 0
		.amdhsa_user_sgpr_kernarg_preload_length 0
		.amdhsa_user_sgpr_kernarg_preload_offset 0
		.amdhsa_user_sgpr_private_segment_size 0
		.amdhsa_uses_dynamic_stack 0
		.amdhsa_system_sgpr_private_segment_wavefront_offset 0
		.amdhsa_system_sgpr_workgroup_id_x 1
		.amdhsa_system_sgpr_workgroup_id_y 0
		.amdhsa_system_sgpr_workgroup_id_z 0
		.amdhsa_system_sgpr_workgroup_info 0
		.amdhsa_system_vgpr_workitem_id 0
		.amdhsa_next_free_vgpr 1
		.amdhsa_next_free_sgpr 0
		.amdhsa_accum_offset 4
		.amdhsa_reserve_vcc 0
		.amdhsa_reserve_flat_scratch 0
		.amdhsa_float_round_mode_32 0
		.amdhsa_float_round_mode_16_64 0
		.amdhsa_float_denorm_mode_32 3
		.amdhsa_float_denorm_mode_16_64 3
		.amdhsa_dx10_clamp 1
		.amdhsa_ieee_mode 1
		.amdhsa_fp16_overflow 0
		.amdhsa_tg_split 0
		.amdhsa_exception_fp_ieee_invalid_op 0
		.amdhsa_exception_fp_denorm_src 0
		.amdhsa_exception_fp_ieee_div_zero 0
		.amdhsa_exception_fp_ieee_overflow 0
		.amdhsa_exception_fp_ieee_underflow 0
		.amdhsa_exception_fp_ieee_inexact 0
		.amdhsa_exception_int_div_zero 0
	.end_amdhsa_kernel
	.section	.text._ZN7rocprim17ROCPRIM_400000_NS6detail17trampoline_kernelINS0_14default_configENS1_29reduce_by_key_config_selectorItjN6thrust23THRUST_200600_302600_NS4plusIjEEEEZZNS1_33reduce_by_key_impl_wrapped_configILNS1_25lookback_scan_determinismE0ES3_S9_NS6_6detail15normal_iteratorINS6_10device_ptrItEEEENSD_INSE_IjEEEESG_SI_PmS8_NS6_8equal_toItEEEE10hipError_tPvRmT2_T3_mT4_T5_T6_T7_T8_P12ihipStream_tbENKUlT_T0_E_clISt17integral_constantIbLb1EES13_EEDaSY_SZ_EUlSY_E_NS1_11comp_targetILNS1_3genE8ELNS1_11target_archE1030ELNS1_3gpuE2ELNS1_3repE0EEENS1_30default_config_static_selectorELNS0_4arch9wavefront6targetE1EEEvT1_,"axG",@progbits,_ZN7rocprim17ROCPRIM_400000_NS6detail17trampoline_kernelINS0_14default_configENS1_29reduce_by_key_config_selectorItjN6thrust23THRUST_200600_302600_NS4plusIjEEEEZZNS1_33reduce_by_key_impl_wrapped_configILNS1_25lookback_scan_determinismE0ES3_S9_NS6_6detail15normal_iteratorINS6_10device_ptrItEEEENSD_INSE_IjEEEESG_SI_PmS8_NS6_8equal_toItEEEE10hipError_tPvRmT2_T3_mT4_T5_T6_T7_T8_P12ihipStream_tbENKUlT_T0_E_clISt17integral_constantIbLb1EES13_EEDaSY_SZ_EUlSY_E_NS1_11comp_targetILNS1_3genE8ELNS1_11target_archE1030ELNS1_3gpuE2ELNS1_3repE0EEENS1_30default_config_static_selectorELNS0_4arch9wavefront6targetE1EEEvT1_,comdat
.Lfunc_end750:
	.size	_ZN7rocprim17ROCPRIM_400000_NS6detail17trampoline_kernelINS0_14default_configENS1_29reduce_by_key_config_selectorItjN6thrust23THRUST_200600_302600_NS4plusIjEEEEZZNS1_33reduce_by_key_impl_wrapped_configILNS1_25lookback_scan_determinismE0ES3_S9_NS6_6detail15normal_iteratorINS6_10device_ptrItEEEENSD_INSE_IjEEEESG_SI_PmS8_NS6_8equal_toItEEEE10hipError_tPvRmT2_T3_mT4_T5_T6_T7_T8_P12ihipStream_tbENKUlT_T0_E_clISt17integral_constantIbLb1EES13_EEDaSY_SZ_EUlSY_E_NS1_11comp_targetILNS1_3genE8ELNS1_11target_archE1030ELNS1_3gpuE2ELNS1_3repE0EEENS1_30default_config_static_selectorELNS0_4arch9wavefront6targetE1EEEvT1_, .Lfunc_end750-_ZN7rocprim17ROCPRIM_400000_NS6detail17trampoline_kernelINS0_14default_configENS1_29reduce_by_key_config_selectorItjN6thrust23THRUST_200600_302600_NS4plusIjEEEEZZNS1_33reduce_by_key_impl_wrapped_configILNS1_25lookback_scan_determinismE0ES3_S9_NS6_6detail15normal_iteratorINS6_10device_ptrItEEEENSD_INSE_IjEEEESG_SI_PmS8_NS6_8equal_toItEEEE10hipError_tPvRmT2_T3_mT4_T5_T6_T7_T8_P12ihipStream_tbENKUlT_T0_E_clISt17integral_constantIbLb1EES13_EEDaSY_SZ_EUlSY_E_NS1_11comp_targetILNS1_3genE8ELNS1_11target_archE1030ELNS1_3gpuE2ELNS1_3repE0EEENS1_30default_config_static_selectorELNS0_4arch9wavefront6targetE1EEEvT1_
                                        ; -- End function
	.section	.AMDGPU.csdata,"",@progbits
; Kernel info:
; codeLenInByte = 0
; NumSgprs: 4
; NumVgprs: 0
; NumAgprs: 0
; TotalNumVgprs: 0
; ScratchSize: 0
; MemoryBound: 0
; FloatMode: 240
; IeeeMode: 1
; LDSByteSize: 0 bytes/workgroup (compile time only)
; SGPRBlocks: 0
; VGPRBlocks: 0
; NumSGPRsForWavesPerEU: 4
; NumVGPRsForWavesPerEU: 1
; AccumOffset: 4
; Occupancy: 8
; WaveLimiterHint : 0
; COMPUTE_PGM_RSRC2:SCRATCH_EN: 0
; COMPUTE_PGM_RSRC2:USER_SGPR: 6
; COMPUTE_PGM_RSRC2:TRAP_HANDLER: 0
; COMPUTE_PGM_RSRC2:TGID_X_EN: 1
; COMPUTE_PGM_RSRC2:TGID_Y_EN: 0
; COMPUTE_PGM_RSRC2:TGID_Z_EN: 0
; COMPUTE_PGM_RSRC2:TIDIG_COMP_CNT: 0
; COMPUTE_PGM_RSRC3_GFX90A:ACCUM_OFFSET: 0
; COMPUTE_PGM_RSRC3_GFX90A:TG_SPLIT: 0
	.section	.text._ZN7rocprim17ROCPRIM_400000_NS6detail17trampoline_kernelINS0_14default_configENS1_29reduce_by_key_config_selectorItjN6thrust23THRUST_200600_302600_NS4plusIjEEEEZZNS1_33reduce_by_key_impl_wrapped_configILNS1_25lookback_scan_determinismE0ES3_S9_NS6_6detail15normal_iteratorINS6_10device_ptrItEEEENSD_INSE_IjEEEESG_SI_PmS8_NS6_8equal_toItEEEE10hipError_tPvRmT2_T3_mT4_T5_T6_T7_T8_P12ihipStream_tbENKUlT_T0_E_clISt17integral_constantIbLb1EES12_IbLb0EEEEDaSY_SZ_EUlSY_E_NS1_11comp_targetILNS1_3genE0ELNS1_11target_archE4294967295ELNS1_3gpuE0ELNS1_3repE0EEENS1_30default_config_static_selectorELNS0_4arch9wavefront6targetE1EEEvT1_,"axG",@progbits,_ZN7rocprim17ROCPRIM_400000_NS6detail17trampoline_kernelINS0_14default_configENS1_29reduce_by_key_config_selectorItjN6thrust23THRUST_200600_302600_NS4plusIjEEEEZZNS1_33reduce_by_key_impl_wrapped_configILNS1_25lookback_scan_determinismE0ES3_S9_NS6_6detail15normal_iteratorINS6_10device_ptrItEEEENSD_INSE_IjEEEESG_SI_PmS8_NS6_8equal_toItEEEE10hipError_tPvRmT2_T3_mT4_T5_T6_T7_T8_P12ihipStream_tbENKUlT_T0_E_clISt17integral_constantIbLb1EES12_IbLb0EEEEDaSY_SZ_EUlSY_E_NS1_11comp_targetILNS1_3genE0ELNS1_11target_archE4294967295ELNS1_3gpuE0ELNS1_3repE0EEENS1_30default_config_static_selectorELNS0_4arch9wavefront6targetE1EEEvT1_,comdat
	.protected	_ZN7rocprim17ROCPRIM_400000_NS6detail17trampoline_kernelINS0_14default_configENS1_29reduce_by_key_config_selectorItjN6thrust23THRUST_200600_302600_NS4plusIjEEEEZZNS1_33reduce_by_key_impl_wrapped_configILNS1_25lookback_scan_determinismE0ES3_S9_NS6_6detail15normal_iteratorINS6_10device_ptrItEEEENSD_INSE_IjEEEESG_SI_PmS8_NS6_8equal_toItEEEE10hipError_tPvRmT2_T3_mT4_T5_T6_T7_T8_P12ihipStream_tbENKUlT_T0_E_clISt17integral_constantIbLb1EES12_IbLb0EEEEDaSY_SZ_EUlSY_E_NS1_11comp_targetILNS1_3genE0ELNS1_11target_archE4294967295ELNS1_3gpuE0ELNS1_3repE0EEENS1_30default_config_static_selectorELNS0_4arch9wavefront6targetE1EEEvT1_ ; -- Begin function _ZN7rocprim17ROCPRIM_400000_NS6detail17trampoline_kernelINS0_14default_configENS1_29reduce_by_key_config_selectorItjN6thrust23THRUST_200600_302600_NS4plusIjEEEEZZNS1_33reduce_by_key_impl_wrapped_configILNS1_25lookback_scan_determinismE0ES3_S9_NS6_6detail15normal_iteratorINS6_10device_ptrItEEEENSD_INSE_IjEEEESG_SI_PmS8_NS6_8equal_toItEEEE10hipError_tPvRmT2_T3_mT4_T5_T6_T7_T8_P12ihipStream_tbENKUlT_T0_E_clISt17integral_constantIbLb1EES12_IbLb0EEEEDaSY_SZ_EUlSY_E_NS1_11comp_targetILNS1_3genE0ELNS1_11target_archE4294967295ELNS1_3gpuE0ELNS1_3repE0EEENS1_30default_config_static_selectorELNS0_4arch9wavefront6targetE1EEEvT1_
	.globl	_ZN7rocprim17ROCPRIM_400000_NS6detail17trampoline_kernelINS0_14default_configENS1_29reduce_by_key_config_selectorItjN6thrust23THRUST_200600_302600_NS4plusIjEEEEZZNS1_33reduce_by_key_impl_wrapped_configILNS1_25lookback_scan_determinismE0ES3_S9_NS6_6detail15normal_iteratorINS6_10device_ptrItEEEENSD_INSE_IjEEEESG_SI_PmS8_NS6_8equal_toItEEEE10hipError_tPvRmT2_T3_mT4_T5_T6_T7_T8_P12ihipStream_tbENKUlT_T0_E_clISt17integral_constantIbLb1EES12_IbLb0EEEEDaSY_SZ_EUlSY_E_NS1_11comp_targetILNS1_3genE0ELNS1_11target_archE4294967295ELNS1_3gpuE0ELNS1_3repE0EEENS1_30default_config_static_selectorELNS0_4arch9wavefront6targetE1EEEvT1_
	.p2align	8
	.type	_ZN7rocprim17ROCPRIM_400000_NS6detail17trampoline_kernelINS0_14default_configENS1_29reduce_by_key_config_selectorItjN6thrust23THRUST_200600_302600_NS4plusIjEEEEZZNS1_33reduce_by_key_impl_wrapped_configILNS1_25lookback_scan_determinismE0ES3_S9_NS6_6detail15normal_iteratorINS6_10device_ptrItEEEENSD_INSE_IjEEEESG_SI_PmS8_NS6_8equal_toItEEEE10hipError_tPvRmT2_T3_mT4_T5_T6_T7_T8_P12ihipStream_tbENKUlT_T0_E_clISt17integral_constantIbLb1EES12_IbLb0EEEEDaSY_SZ_EUlSY_E_NS1_11comp_targetILNS1_3genE0ELNS1_11target_archE4294967295ELNS1_3gpuE0ELNS1_3repE0EEENS1_30default_config_static_selectorELNS0_4arch9wavefront6targetE1EEEvT1_,@function
_ZN7rocprim17ROCPRIM_400000_NS6detail17trampoline_kernelINS0_14default_configENS1_29reduce_by_key_config_selectorItjN6thrust23THRUST_200600_302600_NS4plusIjEEEEZZNS1_33reduce_by_key_impl_wrapped_configILNS1_25lookback_scan_determinismE0ES3_S9_NS6_6detail15normal_iteratorINS6_10device_ptrItEEEENSD_INSE_IjEEEESG_SI_PmS8_NS6_8equal_toItEEEE10hipError_tPvRmT2_T3_mT4_T5_T6_T7_T8_P12ihipStream_tbENKUlT_T0_E_clISt17integral_constantIbLb1EES12_IbLb0EEEEDaSY_SZ_EUlSY_E_NS1_11comp_targetILNS1_3genE0ELNS1_11target_archE4294967295ELNS1_3gpuE0ELNS1_3repE0EEENS1_30default_config_static_selectorELNS0_4arch9wavefront6targetE1EEEvT1_: ; @_ZN7rocprim17ROCPRIM_400000_NS6detail17trampoline_kernelINS0_14default_configENS1_29reduce_by_key_config_selectorItjN6thrust23THRUST_200600_302600_NS4plusIjEEEEZZNS1_33reduce_by_key_impl_wrapped_configILNS1_25lookback_scan_determinismE0ES3_S9_NS6_6detail15normal_iteratorINS6_10device_ptrItEEEENSD_INSE_IjEEEESG_SI_PmS8_NS6_8equal_toItEEEE10hipError_tPvRmT2_T3_mT4_T5_T6_T7_T8_P12ihipStream_tbENKUlT_T0_E_clISt17integral_constantIbLb1EES12_IbLb0EEEEDaSY_SZ_EUlSY_E_NS1_11comp_targetILNS1_3genE0ELNS1_11target_archE4294967295ELNS1_3gpuE0ELNS1_3repE0EEENS1_30default_config_static_selectorELNS0_4arch9wavefront6targetE1EEEvT1_
; %bb.0:
	.section	.rodata,"a",@progbits
	.p2align	6, 0x0
	.amdhsa_kernel _ZN7rocprim17ROCPRIM_400000_NS6detail17trampoline_kernelINS0_14default_configENS1_29reduce_by_key_config_selectorItjN6thrust23THRUST_200600_302600_NS4plusIjEEEEZZNS1_33reduce_by_key_impl_wrapped_configILNS1_25lookback_scan_determinismE0ES3_S9_NS6_6detail15normal_iteratorINS6_10device_ptrItEEEENSD_INSE_IjEEEESG_SI_PmS8_NS6_8equal_toItEEEE10hipError_tPvRmT2_T3_mT4_T5_T6_T7_T8_P12ihipStream_tbENKUlT_T0_E_clISt17integral_constantIbLb1EES12_IbLb0EEEEDaSY_SZ_EUlSY_E_NS1_11comp_targetILNS1_3genE0ELNS1_11target_archE4294967295ELNS1_3gpuE0ELNS1_3repE0EEENS1_30default_config_static_selectorELNS0_4arch9wavefront6targetE1EEEvT1_
		.amdhsa_group_segment_fixed_size 0
		.amdhsa_private_segment_fixed_size 0
		.amdhsa_kernarg_size 120
		.amdhsa_user_sgpr_count 6
		.amdhsa_user_sgpr_private_segment_buffer 1
		.amdhsa_user_sgpr_dispatch_ptr 0
		.amdhsa_user_sgpr_queue_ptr 0
		.amdhsa_user_sgpr_kernarg_segment_ptr 1
		.amdhsa_user_sgpr_dispatch_id 0
		.amdhsa_user_sgpr_flat_scratch_init 0
		.amdhsa_user_sgpr_kernarg_preload_length 0
		.amdhsa_user_sgpr_kernarg_preload_offset 0
		.amdhsa_user_sgpr_private_segment_size 0
		.amdhsa_uses_dynamic_stack 0
		.amdhsa_system_sgpr_private_segment_wavefront_offset 0
		.amdhsa_system_sgpr_workgroup_id_x 1
		.amdhsa_system_sgpr_workgroup_id_y 0
		.amdhsa_system_sgpr_workgroup_id_z 0
		.amdhsa_system_sgpr_workgroup_info 0
		.amdhsa_system_vgpr_workitem_id 0
		.amdhsa_next_free_vgpr 1
		.amdhsa_next_free_sgpr 0
		.amdhsa_accum_offset 4
		.amdhsa_reserve_vcc 0
		.amdhsa_reserve_flat_scratch 0
		.amdhsa_float_round_mode_32 0
		.amdhsa_float_round_mode_16_64 0
		.amdhsa_float_denorm_mode_32 3
		.amdhsa_float_denorm_mode_16_64 3
		.amdhsa_dx10_clamp 1
		.amdhsa_ieee_mode 1
		.amdhsa_fp16_overflow 0
		.amdhsa_tg_split 0
		.amdhsa_exception_fp_ieee_invalid_op 0
		.amdhsa_exception_fp_denorm_src 0
		.amdhsa_exception_fp_ieee_div_zero 0
		.amdhsa_exception_fp_ieee_overflow 0
		.amdhsa_exception_fp_ieee_underflow 0
		.amdhsa_exception_fp_ieee_inexact 0
		.amdhsa_exception_int_div_zero 0
	.end_amdhsa_kernel
	.section	.text._ZN7rocprim17ROCPRIM_400000_NS6detail17trampoline_kernelINS0_14default_configENS1_29reduce_by_key_config_selectorItjN6thrust23THRUST_200600_302600_NS4plusIjEEEEZZNS1_33reduce_by_key_impl_wrapped_configILNS1_25lookback_scan_determinismE0ES3_S9_NS6_6detail15normal_iteratorINS6_10device_ptrItEEEENSD_INSE_IjEEEESG_SI_PmS8_NS6_8equal_toItEEEE10hipError_tPvRmT2_T3_mT4_T5_T6_T7_T8_P12ihipStream_tbENKUlT_T0_E_clISt17integral_constantIbLb1EES12_IbLb0EEEEDaSY_SZ_EUlSY_E_NS1_11comp_targetILNS1_3genE0ELNS1_11target_archE4294967295ELNS1_3gpuE0ELNS1_3repE0EEENS1_30default_config_static_selectorELNS0_4arch9wavefront6targetE1EEEvT1_,"axG",@progbits,_ZN7rocprim17ROCPRIM_400000_NS6detail17trampoline_kernelINS0_14default_configENS1_29reduce_by_key_config_selectorItjN6thrust23THRUST_200600_302600_NS4plusIjEEEEZZNS1_33reduce_by_key_impl_wrapped_configILNS1_25lookback_scan_determinismE0ES3_S9_NS6_6detail15normal_iteratorINS6_10device_ptrItEEEENSD_INSE_IjEEEESG_SI_PmS8_NS6_8equal_toItEEEE10hipError_tPvRmT2_T3_mT4_T5_T6_T7_T8_P12ihipStream_tbENKUlT_T0_E_clISt17integral_constantIbLb1EES12_IbLb0EEEEDaSY_SZ_EUlSY_E_NS1_11comp_targetILNS1_3genE0ELNS1_11target_archE4294967295ELNS1_3gpuE0ELNS1_3repE0EEENS1_30default_config_static_selectorELNS0_4arch9wavefront6targetE1EEEvT1_,comdat
.Lfunc_end751:
	.size	_ZN7rocprim17ROCPRIM_400000_NS6detail17trampoline_kernelINS0_14default_configENS1_29reduce_by_key_config_selectorItjN6thrust23THRUST_200600_302600_NS4plusIjEEEEZZNS1_33reduce_by_key_impl_wrapped_configILNS1_25lookback_scan_determinismE0ES3_S9_NS6_6detail15normal_iteratorINS6_10device_ptrItEEEENSD_INSE_IjEEEESG_SI_PmS8_NS6_8equal_toItEEEE10hipError_tPvRmT2_T3_mT4_T5_T6_T7_T8_P12ihipStream_tbENKUlT_T0_E_clISt17integral_constantIbLb1EES12_IbLb0EEEEDaSY_SZ_EUlSY_E_NS1_11comp_targetILNS1_3genE0ELNS1_11target_archE4294967295ELNS1_3gpuE0ELNS1_3repE0EEENS1_30default_config_static_selectorELNS0_4arch9wavefront6targetE1EEEvT1_, .Lfunc_end751-_ZN7rocprim17ROCPRIM_400000_NS6detail17trampoline_kernelINS0_14default_configENS1_29reduce_by_key_config_selectorItjN6thrust23THRUST_200600_302600_NS4plusIjEEEEZZNS1_33reduce_by_key_impl_wrapped_configILNS1_25lookback_scan_determinismE0ES3_S9_NS6_6detail15normal_iteratorINS6_10device_ptrItEEEENSD_INSE_IjEEEESG_SI_PmS8_NS6_8equal_toItEEEE10hipError_tPvRmT2_T3_mT4_T5_T6_T7_T8_P12ihipStream_tbENKUlT_T0_E_clISt17integral_constantIbLb1EES12_IbLb0EEEEDaSY_SZ_EUlSY_E_NS1_11comp_targetILNS1_3genE0ELNS1_11target_archE4294967295ELNS1_3gpuE0ELNS1_3repE0EEENS1_30default_config_static_selectorELNS0_4arch9wavefront6targetE1EEEvT1_
                                        ; -- End function
	.section	.AMDGPU.csdata,"",@progbits
; Kernel info:
; codeLenInByte = 0
; NumSgprs: 4
; NumVgprs: 0
; NumAgprs: 0
; TotalNumVgprs: 0
; ScratchSize: 0
; MemoryBound: 0
; FloatMode: 240
; IeeeMode: 1
; LDSByteSize: 0 bytes/workgroup (compile time only)
; SGPRBlocks: 0
; VGPRBlocks: 0
; NumSGPRsForWavesPerEU: 4
; NumVGPRsForWavesPerEU: 1
; AccumOffset: 4
; Occupancy: 8
; WaveLimiterHint : 0
; COMPUTE_PGM_RSRC2:SCRATCH_EN: 0
; COMPUTE_PGM_RSRC2:USER_SGPR: 6
; COMPUTE_PGM_RSRC2:TRAP_HANDLER: 0
; COMPUTE_PGM_RSRC2:TGID_X_EN: 1
; COMPUTE_PGM_RSRC2:TGID_Y_EN: 0
; COMPUTE_PGM_RSRC2:TGID_Z_EN: 0
; COMPUTE_PGM_RSRC2:TIDIG_COMP_CNT: 0
; COMPUTE_PGM_RSRC3_GFX90A:ACCUM_OFFSET: 0
; COMPUTE_PGM_RSRC3_GFX90A:TG_SPLIT: 0
	.section	.text._ZN7rocprim17ROCPRIM_400000_NS6detail17trampoline_kernelINS0_14default_configENS1_29reduce_by_key_config_selectorItjN6thrust23THRUST_200600_302600_NS4plusIjEEEEZZNS1_33reduce_by_key_impl_wrapped_configILNS1_25lookback_scan_determinismE0ES3_S9_NS6_6detail15normal_iteratorINS6_10device_ptrItEEEENSD_INSE_IjEEEESG_SI_PmS8_NS6_8equal_toItEEEE10hipError_tPvRmT2_T3_mT4_T5_T6_T7_T8_P12ihipStream_tbENKUlT_T0_E_clISt17integral_constantIbLb1EES12_IbLb0EEEEDaSY_SZ_EUlSY_E_NS1_11comp_targetILNS1_3genE5ELNS1_11target_archE942ELNS1_3gpuE9ELNS1_3repE0EEENS1_30default_config_static_selectorELNS0_4arch9wavefront6targetE1EEEvT1_,"axG",@progbits,_ZN7rocprim17ROCPRIM_400000_NS6detail17trampoline_kernelINS0_14default_configENS1_29reduce_by_key_config_selectorItjN6thrust23THRUST_200600_302600_NS4plusIjEEEEZZNS1_33reduce_by_key_impl_wrapped_configILNS1_25lookback_scan_determinismE0ES3_S9_NS6_6detail15normal_iteratorINS6_10device_ptrItEEEENSD_INSE_IjEEEESG_SI_PmS8_NS6_8equal_toItEEEE10hipError_tPvRmT2_T3_mT4_T5_T6_T7_T8_P12ihipStream_tbENKUlT_T0_E_clISt17integral_constantIbLb1EES12_IbLb0EEEEDaSY_SZ_EUlSY_E_NS1_11comp_targetILNS1_3genE5ELNS1_11target_archE942ELNS1_3gpuE9ELNS1_3repE0EEENS1_30default_config_static_selectorELNS0_4arch9wavefront6targetE1EEEvT1_,comdat
	.protected	_ZN7rocprim17ROCPRIM_400000_NS6detail17trampoline_kernelINS0_14default_configENS1_29reduce_by_key_config_selectorItjN6thrust23THRUST_200600_302600_NS4plusIjEEEEZZNS1_33reduce_by_key_impl_wrapped_configILNS1_25lookback_scan_determinismE0ES3_S9_NS6_6detail15normal_iteratorINS6_10device_ptrItEEEENSD_INSE_IjEEEESG_SI_PmS8_NS6_8equal_toItEEEE10hipError_tPvRmT2_T3_mT4_T5_T6_T7_T8_P12ihipStream_tbENKUlT_T0_E_clISt17integral_constantIbLb1EES12_IbLb0EEEEDaSY_SZ_EUlSY_E_NS1_11comp_targetILNS1_3genE5ELNS1_11target_archE942ELNS1_3gpuE9ELNS1_3repE0EEENS1_30default_config_static_selectorELNS0_4arch9wavefront6targetE1EEEvT1_ ; -- Begin function _ZN7rocprim17ROCPRIM_400000_NS6detail17trampoline_kernelINS0_14default_configENS1_29reduce_by_key_config_selectorItjN6thrust23THRUST_200600_302600_NS4plusIjEEEEZZNS1_33reduce_by_key_impl_wrapped_configILNS1_25lookback_scan_determinismE0ES3_S9_NS6_6detail15normal_iteratorINS6_10device_ptrItEEEENSD_INSE_IjEEEESG_SI_PmS8_NS6_8equal_toItEEEE10hipError_tPvRmT2_T3_mT4_T5_T6_T7_T8_P12ihipStream_tbENKUlT_T0_E_clISt17integral_constantIbLb1EES12_IbLb0EEEEDaSY_SZ_EUlSY_E_NS1_11comp_targetILNS1_3genE5ELNS1_11target_archE942ELNS1_3gpuE9ELNS1_3repE0EEENS1_30default_config_static_selectorELNS0_4arch9wavefront6targetE1EEEvT1_
	.globl	_ZN7rocprim17ROCPRIM_400000_NS6detail17trampoline_kernelINS0_14default_configENS1_29reduce_by_key_config_selectorItjN6thrust23THRUST_200600_302600_NS4plusIjEEEEZZNS1_33reduce_by_key_impl_wrapped_configILNS1_25lookback_scan_determinismE0ES3_S9_NS6_6detail15normal_iteratorINS6_10device_ptrItEEEENSD_INSE_IjEEEESG_SI_PmS8_NS6_8equal_toItEEEE10hipError_tPvRmT2_T3_mT4_T5_T6_T7_T8_P12ihipStream_tbENKUlT_T0_E_clISt17integral_constantIbLb1EES12_IbLb0EEEEDaSY_SZ_EUlSY_E_NS1_11comp_targetILNS1_3genE5ELNS1_11target_archE942ELNS1_3gpuE9ELNS1_3repE0EEENS1_30default_config_static_selectorELNS0_4arch9wavefront6targetE1EEEvT1_
	.p2align	8
	.type	_ZN7rocprim17ROCPRIM_400000_NS6detail17trampoline_kernelINS0_14default_configENS1_29reduce_by_key_config_selectorItjN6thrust23THRUST_200600_302600_NS4plusIjEEEEZZNS1_33reduce_by_key_impl_wrapped_configILNS1_25lookback_scan_determinismE0ES3_S9_NS6_6detail15normal_iteratorINS6_10device_ptrItEEEENSD_INSE_IjEEEESG_SI_PmS8_NS6_8equal_toItEEEE10hipError_tPvRmT2_T3_mT4_T5_T6_T7_T8_P12ihipStream_tbENKUlT_T0_E_clISt17integral_constantIbLb1EES12_IbLb0EEEEDaSY_SZ_EUlSY_E_NS1_11comp_targetILNS1_3genE5ELNS1_11target_archE942ELNS1_3gpuE9ELNS1_3repE0EEENS1_30default_config_static_selectorELNS0_4arch9wavefront6targetE1EEEvT1_,@function
_ZN7rocprim17ROCPRIM_400000_NS6detail17trampoline_kernelINS0_14default_configENS1_29reduce_by_key_config_selectorItjN6thrust23THRUST_200600_302600_NS4plusIjEEEEZZNS1_33reduce_by_key_impl_wrapped_configILNS1_25lookback_scan_determinismE0ES3_S9_NS6_6detail15normal_iteratorINS6_10device_ptrItEEEENSD_INSE_IjEEEESG_SI_PmS8_NS6_8equal_toItEEEE10hipError_tPvRmT2_T3_mT4_T5_T6_T7_T8_P12ihipStream_tbENKUlT_T0_E_clISt17integral_constantIbLb1EES12_IbLb0EEEEDaSY_SZ_EUlSY_E_NS1_11comp_targetILNS1_3genE5ELNS1_11target_archE942ELNS1_3gpuE9ELNS1_3repE0EEENS1_30default_config_static_selectorELNS0_4arch9wavefront6targetE1EEEvT1_: ; @_ZN7rocprim17ROCPRIM_400000_NS6detail17trampoline_kernelINS0_14default_configENS1_29reduce_by_key_config_selectorItjN6thrust23THRUST_200600_302600_NS4plusIjEEEEZZNS1_33reduce_by_key_impl_wrapped_configILNS1_25lookback_scan_determinismE0ES3_S9_NS6_6detail15normal_iteratorINS6_10device_ptrItEEEENSD_INSE_IjEEEESG_SI_PmS8_NS6_8equal_toItEEEE10hipError_tPvRmT2_T3_mT4_T5_T6_T7_T8_P12ihipStream_tbENKUlT_T0_E_clISt17integral_constantIbLb1EES12_IbLb0EEEEDaSY_SZ_EUlSY_E_NS1_11comp_targetILNS1_3genE5ELNS1_11target_archE942ELNS1_3gpuE9ELNS1_3repE0EEENS1_30default_config_static_selectorELNS0_4arch9wavefront6targetE1EEEvT1_
; %bb.0:
	.section	.rodata,"a",@progbits
	.p2align	6, 0x0
	.amdhsa_kernel _ZN7rocprim17ROCPRIM_400000_NS6detail17trampoline_kernelINS0_14default_configENS1_29reduce_by_key_config_selectorItjN6thrust23THRUST_200600_302600_NS4plusIjEEEEZZNS1_33reduce_by_key_impl_wrapped_configILNS1_25lookback_scan_determinismE0ES3_S9_NS6_6detail15normal_iteratorINS6_10device_ptrItEEEENSD_INSE_IjEEEESG_SI_PmS8_NS6_8equal_toItEEEE10hipError_tPvRmT2_T3_mT4_T5_T6_T7_T8_P12ihipStream_tbENKUlT_T0_E_clISt17integral_constantIbLb1EES12_IbLb0EEEEDaSY_SZ_EUlSY_E_NS1_11comp_targetILNS1_3genE5ELNS1_11target_archE942ELNS1_3gpuE9ELNS1_3repE0EEENS1_30default_config_static_selectorELNS0_4arch9wavefront6targetE1EEEvT1_
		.amdhsa_group_segment_fixed_size 0
		.amdhsa_private_segment_fixed_size 0
		.amdhsa_kernarg_size 120
		.amdhsa_user_sgpr_count 6
		.amdhsa_user_sgpr_private_segment_buffer 1
		.amdhsa_user_sgpr_dispatch_ptr 0
		.amdhsa_user_sgpr_queue_ptr 0
		.amdhsa_user_sgpr_kernarg_segment_ptr 1
		.amdhsa_user_sgpr_dispatch_id 0
		.amdhsa_user_sgpr_flat_scratch_init 0
		.amdhsa_user_sgpr_kernarg_preload_length 0
		.amdhsa_user_sgpr_kernarg_preload_offset 0
		.amdhsa_user_sgpr_private_segment_size 0
		.amdhsa_uses_dynamic_stack 0
		.amdhsa_system_sgpr_private_segment_wavefront_offset 0
		.amdhsa_system_sgpr_workgroup_id_x 1
		.amdhsa_system_sgpr_workgroup_id_y 0
		.amdhsa_system_sgpr_workgroup_id_z 0
		.amdhsa_system_sgpr_workgroup_info 0
		.amdhsa_system_vgpr_workitem_id 0
		.amdhsa_next_free_vgpr 1
		.amdhsa_next_free_sgpr 0
		.amdhsa_accum_offset 4
		.amdhsa_reserve_vcc 0
		.amdhsa_reserve_flat_scratch 0
		.amdhsa_float_round_mode_32 0
		.amdhsa_float_round_mode_16_64 0
		.amdhsa_float_denorm_mode_32 3
		.amdhsa_float_denorm_mode_16_64 3
		.amdhsa_dx10_clamp 1
		.amdhsa_ieee_mode 1
		.amdhsa_fp16_overflow 0
		.amdhsa_tg_split 0
		.amdhsa_exception_fp_ieee_invalid_op 0
		.amdhsa_exception_fp_denorm_src 0
		.amdhsa_exception_fp_ieee_div_zero 0
		.amdhsa_exception_fp_ieee_overflow 0
		.amdhsa_exception_fp_ieee_underflow 0
		.amdhsa_exception_fp_ieee_inexact 0
		.amdhsa_exception_int_div_zero 0
	.end_amdhsa_kernel
	.section	.text._ZN7rocprim17ROCPRIM_400000_NS6detail17trampoline_kernelINS0_14default_configENS1_29reduce_by_key_config_selectorItjN6thrust23THRUST_200600_302600_NS4plusIjEEEEZZNS1_33reduce_by_key_impl_wrapped_configILNS1_25lookback_scan_determinismE0ES3_S9_NS6_6detail15normal_iteratorINS6_10device_ptrItEEEENSD_INSE_IjEEEESG_SI_PmS8_NS6_8equal_toItEEEE10hipError_tPvRmT2_T3_mT4_T5_T6_T7_T8_P12ihipStream_tbENKUlT_T0_E_clISt17integral_constantIbLb1EES12_IbLb0EEEEDaSY_SZ_EUlSY_E_NS1_11comp_targetILNS1_3genE5ELNS1_11target_archE942ELNS1_3gpuE9ELNS1_3repE0EEENS1_30default_config_static_selectorELNS0_4arch9wavefront6targetE1EEEvT1_,"axG",@progbits,_ZN7rocprim17ROCPRIM_400000_NS6detail17trampoline_kernelINS0_14default_configENS1_29reduce_by_key_config_selectorItjN6thrust23THRUST_200600_302600_NS4plusIjEEEEZZNS1_33reduce_by_key_impl_wrapped_configILNS1_25lookback_scan_determinismE0ES3_S9_NS6_6detail15normal_iteratorINS6_10device_ptrItEEEENSD_INSE_IjEEEESG_SI_PmS8_NS6_8equal_toItEEEE10hipError_tPvRmT2_T3_mT4_T5_T6_T7_T8_P12ihipStream_tbENKUlT_T0_E_clISt17integral_constantIbLb1EES12_IbLb0EEEEDaSY_SZ_EUlSY_E_NS1_11comp_targetILNS1_3genE5ELNS1_11target_archE942ELNS1_3gpuE9ELNS1_3repE0EEENS1_30default_config_static_selectorELNS0_4arch9wavefront6targetE1EEEvT1_,comdat
.Lfunc_end752:
	.size	_ZN7rocprim17ROCPRIM_400000_NS6detail17trampoline_kernelINS0_14default_configENS1_29reduce_by_key_config_selectorItjN6thrust23THRUST_200600_302600_NS4plusIjEEEEZZNS1_33reduce_by_key_impl_wrapped_configILNS1_25lookback_scan_determinismE0ES3_S9_NS6_6detail15normal_iteratorINS6_10device_ptrItEEEENSD_INSE_IjEEEESG_SI_PmS8_NS6_8equal_toItEEEE10hipError_tPvRmT2_T3_mT4_T5_T6_T7_T8_P12ihipStream_tbENKUlT_T0_E_clISt17integral_constantIbLb1EES12_IbLb0EEEEDaSY_SZ_EUlSY_E_NS1_11comp_targetILNS1_3genE5ELNS1_11target_archE942ELNS1_3gpuE9ELNS1_3repE0EEENS1_30default_config_static_selectorELNS0_4arch9wavefront6targetE1EEEvT1_, .Lfunc_end752-_ZN7rocprim17ROCPRIM_400000_NS6detail17trampoline_kernelINS0_14default_configENS1_29reduce_by_key_config_selectorItjN6thrust23THRUST_200600_302600_NS4plusIjEEEEZZNS1_33reduce_by_key_impl_wrapped_configILNS1_25lookback_scan_determinismE0ES3_S9_NS6_6detail15normal_iteratorINS6_10device_ptrItEEEENSD_INSE_IjEEEESG_SI_PmS8_NS6_8equal_toItEEEE10hipError_tPvRmT2_T3_mT4_T5_T6_T7_T8_P12ihipStream_tbENKUlT_T0_E_clISt17integral_constantIbLb1EES12_IbLb0EEEEDaSY_SZ_EUlSY_E_NS1_11comp_targetILNS1_3genE5ELNS1_11target_archE942ELNS1_3gpuE9ELNS1_3repE0EEENS1_30default_config_static_selectorELNS0_4arch9wavefront6targetE1EEEvT1_
                                        ; -- End function
	.section	.AMDGPU.csdata,"",@progbits
; Kernel info:
; codeLenInByte = 0
; NumSgprs: 4
; NumVgprs: 0
; NumAgprs: 0
; TotalNumVgprs: 0
; ScratchSize: 0
; MemoryBound: 0
; FloatMode: 240
; IeeeMode: 1
; LDSByteSize: 0 bytes/workgroup (compile time only)
; SGPRBlocks: 0
; VGPRBlocks: 0
; NumSGPRsForWavesPerEU: 4
; NumVGPRsForWavesPerEU: 1
; AccumOffset: 4
; Occupancy: 8
; WaveLimiterHint : 0
; COMPUTE_PGM_RSRC2:SCRATCH_EN: 0
; COMPUTE_PGM_RSRC2:USER_SGPR: 6
; COMPUTE_PGM_RSRC2:TRAP_HANDLER: 0
; COMPUTE_PGM_RSRC2:TGID_X_EN: 1
; COMPUTE_PGM_RSRC2:TGID_Y_EN: 0
; COMPUTE_PGM_RSRC2:TGID_Z_EN: 0
; COMPUTE_PGM_RSRC2:TIDIG_COMP_CNT: 0
; COMPUTE_PGM_RSRC3_GFX90A:ACCUM_OFFSET: 0
; COMPUTE_PGM_RSRC3_GFX90A:TG_SPLIT: 0
	.section	.text._ZN7rocprim17ROCPRIM_400000_NS6detail17trampoline_kernelINS0_14default_configENS1_29reduce_by_key_config_selectorItjN6thrust23THRUST_200600_302600_NS4plusIjEEEEZZNS1_33reduce_by_key_impl_wrapped_configILNS1_25lookback_scan_determinismE0ES3_S9_NS6_6detail15normal_iteratorINS6_10device_ptrItEEEENSD_INSE_IjEEEESG_SI_PmS8_NS6_8equal_toItEEEE10hipError_tPvRmT2_T3_mT4_T5_T6_T7_T8_P12ihipStream_tbENKUlT_T0_E_clISt17integral_constantIbLb1EES12_IbLb0EEEEDaSY_SZ_EUlSY_E_NS1_11comp_targetILNS1_3genE4ELNS1_11target_archE910ELNS1_3gpuE8ELNS1_3repE0EEENS1_30default_config_static_selectorELNS0_4arch9wavefront6targetE1EEEvT1_,"axG",@progbits,_ZN7rocprim17ROCPRIM_400000_NS6detail17trampoline_kernelINS0_14default_configENS1_29reduce_by_key_config_selectorItjN6thrust23THRUST_200600_302600_NS4plusIjEEEEZZNS1_33reduce_by_key_impl_wrapped_configILNS1_25lookback_scan_determinismE0ES3_S9_NS6_6detail15normal_iteratorINS6_10device_ptrItEEEENSD_INSE_IjEEEESG_SI_PmS8_NS6_8equal_toItEEEE10hipError_tPvRmT2_T3_mT4_T5_T6_T7_T8_P12ihipStream_tbENKUlT_T0_E_clISt17integral_constantIbLb1EES12_IbLb0EEEEDaSY_SZ_EUlSY_E_NS1_11comp_targetILNS1_3genE4ELNS1_11target_archE910ELNS1_3gpuE8ELNS1_3repE0EEENS1_30default_config_static_selectorELNS0_4arch9wavefront6targetE1EEEvT1_,comdat
	.protected	_ZN7rocprim17ROCPRIM_400000_NS6detail17trampoline_kernelINS0_14default_configENS1_29reduce_by_key_config_selectorItjN6thrust23THRUST_200600_302600_NS4plusIjEEEEZZNS1_33reduce_by_key_impl_wrapped_configILNS1_25lookback_scan_determinismE0ES3_S9_NS6_6detail15normal_iteratorINS6_10device_ptrItEEEENSD_INSE_IjEEEESG_SI_PmS8_NS6_8equal_toItEEEE10hipError_tPvRmT2_T3_mT4_T5_T6_T7_T8_P12ihipStream_tbENKUlT_T0_E_clISt17integral_constantIbLb1EES12_IbLb0EEEEDaSY_SZ_EUlSY_E_NS1_11comp_targetILNS1_3genE4ELNS1_11target_archE910ELNS1_3gpuE8ELNS1_3repE0EEENS1_30default_config_static_selectorELNS0_4arch9wavefront6targetE1EEEvT1_ ; -- Begin function _ZN7rocprim17ROCPRIM_400000_NS6detail17trampoline_kernelINS0_14default_configENS1_29reduce_by_key_config_selectorItjN6thrust23THRUST_200600_302600_NS4plusIjEEEEZZNS1_33reduce_by_key_impl_wrapped_configILNS1_25lookback_scan_determinismE0ES3_S9_NS6_6detail15normal_iteratorINS6_10device_ptrItEEEENSD_INSE_IjEEEESG_SI_PmS8_NS6_8equal_toItEEEE10hipError_tPvRmT2_T3_mT4_T5_T6_T7_T8_P12ihipStream_tbENKUlT_T0_E_clISt17integral_constantIbLb1EES12_IbLb0EEEEDaSY_SZ_EUlSY_E_NS1_11comp_targetILNS1_3genE4ELNS1_11target_archE910ELNS1_3gpuE8ELNS1_3repE0EEENS1_30default_config_static_selectorELNS0_4arch9wavefront6targetE1EEEvT1_
	.globl	_ZN7rocprim17ROCPRIM_400000_NS6detail17trampoline_kernelINS0_14default_configENS1_29reduce_by_key_config_selectorItjN6thrust23THRUST_200600_302600_NS4plusIjEEEEZZNS1_33reduce_by_key_impl_wrapped_configILNS1_25lookback_scan_determinismE0ES3_S9_NS6_6detail15normal_iteratorINS6_10device_ptrItEEEENSD_INSE_IjEEEESG_SI_PmS8_NS6_8equal_toItEEEE10hipError_tPvRmT2_T3_mT4_T5_T6_T7_T8_P12ihipStream_tbENKUlT_T0_E_clISt17integral_constantIbLb1EES12_IbLb0EEEEDaSY_SZ_EUlSY_E_NS1_11comp_targetILNS1_3genE4ELNS1_11target_archE910ELNS1_3gpuE8ELNS1_3repE0EEENS1_30default_config_static_selectorELNS0_4arch9wavefront6targetE1EEEvT1_
	.p2align	8
	.type	_ZN7rocprim17ROCPRIM_400000_NS6detail17trampoline_kernelINS0_14default_configENS1_29reduce_by_key_config_selectorItjN6thrust23THRUST_200600_302600_NS4plusIjEEEEZZNS1_33reduce_by_key_impl_wrapped_configILNS1_25lookback_scan_determinismE0ES3_S9_NS6_6detail15normal_iteratorINS6_10device_ptrItEEEENSD_INSE_IjEEEESG_SI_PmS8_NS6_8equal_toItEEEE10hipError_tPvRmT2_T3_mT4_T5_T6_T7_T8_P12ihipStream_tbENKUlT_T0_E_clISt17integral_constantIbLb1EES12_IbLb0EEEEDaSY_SZ_EUlSY_E_NS1_11comp_targetILNS1_3genE4ELNS1_11target_archE910ELNS1_3gpuE8ELNS1_3repE0EEENS1_30default_config_static_selectorELNS0_4arch9wavefront6targetE1EEEvT1_,@function
_ZN7rocprim17ROCPRIM_400000_NS6detail17trampoline_kernelINS0_14default_configENS1_29reduce_by_key_config_selectorItjN6thrust23THRUST_200600_302600_NS4plusIjEEEEZZNS1_33reduce_by_key_impl_wrapped_configILNS1_25lookback_scan_determinismE0ES3_S9_NS6_6detail15normal_iteratorINS6_10device_ptrItEEEENSD_INSE_IjEEEESG_SI_PmS8_NS6_8equal_toItEEEE10hipError_tPvRmT2_T3_mT4_T5_T6_T7_T8_P12ihipStream_tbENKUlT_T0_E_clISt17integral_constantIbLb1EES12_IbLb0EEEEDaSY_SZ_EUlSY_E_NS1_11comp_targetILNS1_3genE4ELNS1_11target_archE910ELNS1_3gpuE8ELNS1_3repE0EEENS1_30default_config_static_selectorELNS0_4arch9wavefront6targetE1EEEvT1_: ; @_ZN7rocprim17ROCPRIM_400000_NS6detail17trampoline_kernelINS0_14default_configENS1_29reduce_by_key_config_selectorItjN6thrust23THRUST_200600_302600_NS4plusIjEEEEZZNS1_33reduce_by_key_impl_wrapped_configILNS1_25lookback_scan_determinismE0ES3_S9_NS6_6detail15normal_iteratorINS6_10device_ptrItEEEENSD_INSE_IjEEEESG_SI_PmS8_NS6_8equal_toItEEEE10hipError_tPvRmT2_T3_mT4_T5_T6_T7_T8_P12ihipStream_tbENKUlT_T0_E_clISt17integral_constantIbLb1EES12_IbLb0EEEEDaSY_SZ_EUlSY_E_NS1_11comp_targetILNS1_3genE4ELNS1_11target_archE910ELNS1_3gpuE8ELNS1_3repE0EEENS1_30default_config_static_selectorELNS0_4arch9wavefront6targetE1EEEvT1_
; %bb.0:
	s_load_dwordx8 s[36:43], s[4:5], 0x0
	s_load_dwordx4 s[52:55], s[4:5], 0x20
	s_load_dwordx8 s[44:51], s[4:5], 0x38
	s_load_dwordx2 s[60:61], s[4:5], 0x68
	s_load_dwordx4 s[56:59], s[4:5], 0x58
	s_waitcnt lgkmcnt(0)
	s_lshl_b64 s[0:1], s[38:39], 1
	s_add_u32 s4, s36, s0
	s_addc_u32 s5, s37, s1
	s_lshl_b64 s[0:1], s[38:39], 2
	s_add_u32 s8, s40, s0
	s_addc_u32 s9, s41, s1
	s_mul_i32 s0, s48, s47
	s_mul_hi_u32 s1, s48, s46
	s_add_i32 s0, s1, s0
	s_mul_i32 s1, s49, s46
	s_add_i32 s10, s0, s1
	s_mul_i32 s0, s6, 0xf00
	s_mov_b32 s1, 0
	s_lshl_b64 s[2:3], s[0:1], 1
	s_add_u32 s7, s4, s2
	s_mul_i32 s11, s48, s46
	s_addc_u32 s48, s5, s3
	s_lshl_b64 s[0:1], s[0:1], 2
	s_add_u32 s49, s8, s0
	s_addc_u32 s62, s9, s1
	s_add_u32 s38, s11, s6
	s_addc_u32 s39, s10, 0
	s_add_u32 s2, s50, -1
	s_addc_u32 s3, s51, -1
	s_cmp_eq_u64 s[38:39], s[2:3]
	s_cselect_b64 s[34:35], -1, 0
	s_cmp_lg_u64 s[38:39], s[2:3]
	s_mov_b64 s[0:1], -1
	s_cselect_b64 s[40:41], -1, 0
	s_mul_i32 s33, s2, 0xfffff100
	s_and_b64 vcc, exec, s[34:35]
	s_cbranch_vccnz .LBB753_2
; %bb.1:
	v_lshlrev_b32_e32 v1, 1, v0
	v_mov_b32_e32 v3, s48
	v_add_co_u32_e32 v2, vcc, s7, v1
	v_addc_co_u32_e32 v3, vcc, 0, v3, vcc
	flat_load_ushort v4, v[2:3]
	flat_load_ushort v5, v[2:3] offset:512
	flat_load_ushort v12, v[2:3] offset:1024
	;; [unrolled: 1-line block ×7, first 2 shown]
	v_add_co_u32_e32 v2, vcc, 0x1000, v2
	v_addc_co_u32_e32 v3, vcc, 0, v3, vcc
	flat_load_ushort v20, v[2:3]
	flat_load_ushort v21, v[2:3] offset:512
	flat_load_ushort v22, v[2:3] offset:1024
	;; [unrolled: 1-line block ×6, first 2 shown]
	v_lshlrev_b32_e32 v2, 2, v0
	v_mov_b32_e32 v3, s62
	v_add_co_u32_e32 v6, vcc, s49, v2
	s_movk_i32 s0, 0x1000
	v_addc_co_u32_e32 v7, vcc, 0, v3, vcc
	v_add_co_u32_e32 v8, vcc, s0, v6
	s_movk_i32 s1, 0x2000
	v_addc_co_u32_e32 v9, vcc, 0, v7, vcc
	;; [unrolled: 3-line block ×3, first 2 shown]
	v_mad_u32_u24 v30, v0, 28, v1
	v_add_co_u32_e32 v16, vcc, s2, v6
	v_addc_co_u32_e32 v17, vcc, 0, v7, vcc
	s_movk_i32 s0, 0xffe6
	v_mad_u32_u24 v29, v0, 15, 3
	v_mad_u32_u24 v28, v0, 15, 5
	;; [unrolled: 1-line block ×3, first 2 shown]
	s_waitcnt vmcnt(0) lgkmcnt(0)
	ds_write_b16 v1, v4
	ds_write_b16 v1, v5 offset:512
	ds_write_b16 v1, v12 offset:1024
	;; [unrolled: 1-line block ×14, first 2 shown]
	s_waitcnt lgkmcnt(0)
	s_barrier
	ds_read_u16 v1, v30
	ds_read_b128 v[2:5], v30 offset:2
	ds_read_b96 v[12:14], v30 offset:18
	s_waitcnt lgkmcnt(0)
	s_barrier
	flat_load_dword v18, v[6:7]
	flat_load_dword v19, v[6:7] offset:1024
	flat_load_dword v20, v[6:7] offset:2048
	flat_load_dword v21, v[6:7] offset:3072
	flat_load_dword v22, v[8:9]
	flat_load_dword v23, v[8:9] offset:1024
	flat_load_dword v24, v[8:9] offset:2048
	flat_load_dword v25, v[8:9] offset:3072
	;; [unrolled: 4-line block ×3, first 2 shown]
	flat_load_dword v34, v[16:17]
	flat_load_dword v35, v[16:17] offset:1024
	flat_load_dword v36, v[16:17] offset:2048
	v_mul_u32_u24_e32 v8, 15, v0
	v_mad_u32_u24 v10, v0, 15, 1
	v_mad_u32_u24 v15, v0, 15, 7
	;; [unrolled: 1-line block ×4, first 2 shown]
	v_mad_i32_i24 v6, v0, s0, v30
	s_waitcnt vmcnt(0) lgkmcnt(0)
	ds_write2st64_b32 v6, v18, v19 offset1:4
	ds_write2st64_b32 v6, v20, v21 offset0:8 offset1:12
	ds_write2st64_b32 v6, v22, v23 offset0:16 offset1:20
	;; [unrolled: 1-line block ×6, first 2 shown]
	ds_write_b32 v6, v36 offset:14336
	s_waitcnt lgkmcnt(0)
	s_barrier
	s_add_i32 s33, s33, s56
	s_cbranch_execz .LBB753_3
	s_branch .LBB753_64
.LBB753_2:
                                        ; implicit-def: $vgpr2
                                        ; implicit-def: $vgpr12
                                        ; implicit-def: $vgpr11
                                        ; implicit-def: $vgpr27
                                        ; implicit-def: $vgpr9
                                        ; implicit-def: $vgpr15
                                        ; implicit-def: $vgpr28
                                        ; implicit-def: $vgpr29
                                        ; implicit-def: $vgpr10
                                        ; implicit-def: $vgpr8
                                        ; implicit-def: $vgpr1
	s_andn2_b64 vcc, exec, s[0:1]
	s_add_i32 s33, s33, s56
	s_cbranch_vccnz .LBB753_64
.LBB753_3:
	v_cmp_gt_u32_e32 vcc, s33, v0
                                        ; implicit-def: $vgpr1
	s_and_saveexec_b64 s[2:3], vcc
	s_cbranch_execz .LBB753_5
; %bb.4:
	v_lshlrev_b32_e32 v1, 1, v0
	v_mov_b32_e32 v3, s48
	v_add_co_u32_e64 v2, s[0:1], s7, v1
	v_addc_co_u32_e64 v3, s[0:1], 0, v3, s[0:1]
	flat_load_ushort v1, v[2:3]
.LBB753_5:
	s_or_b64 exec, exec, s[2:3]
	v_or_b32_e32 v2, 0x100, v0
	v_cmp_gt_u32_e64 s[0:1], s33, v2
                                        ; implicit-def: $vgpr2
	s_and_saveexec_b64 s[4:5], s[0:1]
	s_cbranch_execz .LBB753_7
; %bb.6:
	v_lshlrev_b32_e32 v2, 1, v0
	v_mov_b32_e32 v3, s48
	v_add_co_u32_e64 v2, s[2:3], s7, v2
	v_addc_co_u32_e64 v3, s[2:3], 0, v3, s[2:3]
	flat_load_ushort v2, v[2:3] offset:512
.LBB753_7:
	s_or_b64 exec, exec, s[4:5]
	v_or_b32_e32 v3, 0x200, v0
	v_cmp_gt_u32_e64 s[2:3], s33, v3
                                        ; implicit-def: $vgpr3
	s_and_saveexec_b64 s[8:9], s[2:3]
	s_cbranch_execz .LBB753_9
; %bb.8:
	v_lshlrev_b32_e32 v3, 1, v0
	v_mov_b32_e32 v5, s48
	v_add_co_u32_e64 v4, s[4:5], s7, v3
	v_addc_co_u32_e64 v5, s[4:5], 0, v5, s[4:5]
	flat_load_ushort v3, v[4:5] offset:1024
.LBB753_9:
	s_or_b64 exec, exec, s[8:9]
	v_or_b32_e32 v4, 0x300, v0
	v_cmp_gt_u32_e64 s[4:5], s33, v4
                                        ; implicit-def: $vgpr4
	s_and_saveexec_b64 s[10:11], s[4:5]
	s_cbranch_execz .LBB753_11
; %bb.10:
	v_lshlrev_b32_e32 v4, 1, v0
	v_mov_b32_e32 v5, s48
	v_add_co_u32_e64 v4, s[8:9], s7, v4
	v_addc_co_u32_e64 v5, s[8:9], 0, v5, s[8:9]
	flat_load_ushort v4, v[4:5] offset:1536
.LBB753_11:
	s_or_b64 exec, exec, s[10:11]
	v_or_b32_e32 v6, 0x400, v0
	v_cmp_gt_u32_e64 s[28:29], s33, v6
                                        ; implicit-def: $vgpr5
	s_and_saveexec_b64 s[10:11], s[28:29]
	s_cbranch_execz .LBB753_13
; %bb.12:
	v_lshlrev_b32_e32 v5, 1, v0
	v_mov_b32_e32 v7, s48
	v_add_co_u32_e64 v8, s[8:9], s7, v5
	v_addc_co_u32_e64 v9, s[8:9], 0, v7, s[8:9]
	flat_load_ushort v5, v[8:9] offset:2048
.LBB753_13:
	s_or_b64 exec, exec, s[10:11]
	v_or_b32_e32 v7, 0x500, v0
	v_cmp_gt_u32_e64 s[8:9], s33, v7
                                        ; implicit-def: $vgpr12
	s_and_saveexec_b64 s[12:13], s[8:9]
	s_cbranch_execz .LBB753_15
; %bb.14:
	v_lshlrev_b32_e32 v8, 1, v0
	v_mov_b32_e32 v9, s48
	v_add_co_u32_e64 v8, s[10:11], s7, v8
	v_addc_co_u32_e64 v9, s[10:11], 0, v9, s[10:11]
	flat_load_ushort v12, v[8:9] offset:2560
.LBB753_15:
	s_or_b64 exec, exec, s[12:13]
	v_or_b32_e32 v8, 0x600, v0
	v_cmp_gt_u32_e64 s[10:11], s33, v8
                                        ; implicit-def: $vgpr13
	s_and_saveexec_b64 s[14:15], s[10:11]
	s_cbranch_execz .LBB753_17
; %bb.16:
	v_lshlrev_b32_e32 v9, 1, v0
	v_mov_b32_e32 v11, s48
	v_add_co_u32_e64 v10, s[12:13], s7, v9
	v_addc_co_u32_e64 v11, s[12:13], 0, v11, s[12:13]
	flat_load_ushort v13, v[10:11] offset:3072
.LBB753_17:
	s_or_b64 exec, exec, s[14:15]
	v_or_b32_e32 v9, 0x700, v0
	v_cmp_gt_u32_e64 s[12:13], s33, v9
                                        ; implicit-def: $vgpr14
	s_and_saveexec_b64 s[16:17], s[12:13]
	s_cbranch_execz .LBB753_19
; %bb.18:
	v_lshlrev_b32_e32 v10, 1, v0
	v_mov_b32_e32 v11, s48
	v_add_co_u32_e64 v10, s[14:15], s7, v10
	v_addc_co_u32_e64 v11, s[14:15], 0, v11, s[14:15]
	flat_load_ushort v14, v[10:11] offset:3584
.LBB753_19:
	s_or_b64 exec, exec, s[16:17]
	v_or_b32_e32 v10, 0x800, v0
	v_cmp_gt_u32_e64 s[14:15], s33, v10
                                        ; implicit-def: $vgpr20
	s_and_saveexec_b64 s[18:19], s[14:15]
	s_cbranch_execz .LBB753_21
; %bb.20:
	v_lshlrev_b32_e32 v11, 1, v10
	v_mov_b32_e32 v15, s48
	v_add_co_u32_e64 v16, s[16:17], s7, v11
	v_addc_co_u32_e64 v17, s[16:17], 0, v15, s[16:17]
	flat_load_ushort v20, v[16:17]
.LBB753_21:
	s_or_b64 exec, exec, s[18:19]
	v_or_b32_e32 v11, 0x900, v0
	v_cmp_gt_u32_e64 s[16:17], s33, v11
                                        ; implicit-def: $vgpr21
	s_and_saveexec_b64 s[20:21], s[16:17]
	s_cbranch_execz .LBB753_23
; %bb.22:
	v_lshlrev_b32_e32 v15, 1, v11
	v_mov_b32_e32 v17, s48
	v_add_co_u32_e64 v16, s[18:19], s7, v15
	v_addc_co_u32_e64 v17, s[18:19], 0, v17, s[18:19]
	flat_load_ushort v21, v[16:17]
.LBB753_23:
	s_or_b64 exec, exec, s[20:21]
	v_or_b32_e32 v15, 0xa00, v0
	v_cmp_gt_u32_e64 s[18:19], s33, v15
                                        ; implicit-def: $vgpr22
	s_and_saveexec_b64 s[22:23], s[18:19]
	s_cbranch_execz .LBB753_25
; %bb.24:
	v_lshlrev_b32_e32 v16, 1, v15
	v_mov_b32_e32 v17, s48
	v_add_co_u32_e64 v16, s[20:21], s7, v16
	v_addc_co_u32_e64 v17, s[20:21], 0, v17, s[20:21]
	flat_load_ushort v22, v[16:17]
.LBB753_25:
	s_or_b64 exec, exec, s[22:23]
	v_or_b32_e32 v16, 0xb00, v0
	v_cmp_gt_u32_e64 s[20:21], s33, v16
                                        ; implicit-def: $vgpr23
	s_and_saveexec_b64 s[24:25], s[20:21]
	s_cbranch_execz .LBB753_27
; %bb.26:
	v_lshlrev_b32_e32 v17, 1, v16
	v_mov_b32_e32 v19, s48
	v_add_co_u32_e64 v18, s[22:23], s7, v17
	v_addc_co_u32_e64 v19, s[22:23], 0, v19, s[22:23]
	flat_load_ushort v23, v[18:19]
.LBB753_27:
	s_or_b64 exec, exec, s[24:25]
	v_or_b32_e32 v17, 0xc00, v0
	v_cmp_gt_u32_e64 s[22:23], s33, v17
                                        ; implicit-def: $vgpr24
	s_and_saveexec_b64 s[26:27], s[22:23]
	s_cbranch_execz .LBB753_29
; %bb.28:
	v_lshlrev_b32_e32 v18, 1, v17
	v_mov_b32_e32 v19, s48
	v_add_co_u32_e64 v18, s[24:25], s7, v18
	v_addc_co_u32_e64 v19, s[24:25], 0, v19, s[24:25]
	flat_load_ushort v24, v[18:19]
.LBB753_29:
	s_or_b64 exec, exec, s[26:27]
	v_or_b32_e32 v18, 0xd00, v0
	v_cmp_gt_u32_e64 s[24:25], s33, v18
                                        ; implicit-def: $vgpr25
	s_and_saveexec_b64 s[30:31], s[24:25]
	s_cbranch_execz .LBB753_31
; %bb.30:
	v_lshlrev_b32_e32 v19, 1, v18
	v_mov_b32_e32 v25, s48
	v_add_co_u32_e64 v26, s[26:27], s7, v19
	v_addc_co_u32_e64 v27, s[26:27], 0, v25, s[26:27]
	flat_load_ushort v25, v[26:27]
.LBB753_31:
	s_or_b64 exec, exec, s[30:31]
	v_or_b32_e32 v19, 0xe00, v0
	v_cmp_gt_u32_e64 s[26:27], s33, v19
                                        ; implicit-def: $vgpr26
	s_and_saveexec_b64 s[36:37], s[26:27]
	s_cbranch_execz .LBB753_33
; %bb.32:
	v_lshlrev_b32_e32 v26, 1, v19
	v_mov_b32_e32 v27, s48
	v_add_co_u32_e64 v26, s[30:31], s7, v26
	v_addc_co_u32_e64 v27, s[30:31], 0, v27, s[30:31]
	flat_load_ushort v26, v[26:27]
.LBB753_33:
	s_or_b64 exec, exec, s[36:37]
	v_lshlrev_b32_e32 v27, 1, v0
	s_waitcnt vmcnt(0) lgkmcnt(0)
	ds_write_b16 v27, v1
	ds_write_b16 v27, v2 offset:512
	ds_write_b16 v27, v3 offset:1024
	;; [unrolled: 1-line block ×14, first 2 shown]
	v_mad_u32_u24 v20, v0, 28, v27
	s_waitcnt lgkmcnt(0)
	s_barrier
	ds_read_u16 v1, v20
	ds_read_b128 v[2:5], v20 offset:2
	ds_read_b96 v[12:14], v20 offset:18
	s_waitcnt lgkmcnt(0)
	s_barrier
	s_waitcnt lgkmcnt(0)
                                        ; implicit-def: $vgpr21
	s_and_saveexec_b64 s[30:31], vcc
	s_cbranch_execz .LBB753_47
; %bb.34:
	v_lshlrev_b32_e32 v21, 2, v0
	v_mov_b32_e32 v23, s62
	v_add_co_u32_e32 v22, vcc, s49, v21
	v_addc_co_u32_e32 v23, vcc, 0, v23, vcc
	flat_load_dword v21, v[22:23]
	s_or_b64 exec, exec, s[30:31]
                                        ; implicit-def: $vgpr22
	s_and_saveexec_b64 s[30:31], s[0:1]
	s_cbranch_execnz .LBB753_48
.LBB753_35:
	s_or_b64 exec, exec, s[30:31]
                                        ; implicit-def: $vgpr23
	s_and_saveexec_b64 s[0:1], s[2:3]
	s_cbranch_execz .LBB753_49
.LBB753_36:
	v_lshlrev_b32_e32 v23, 2, v0
	v_mov_b32_e32 v25, s62
	v_add_co_u32_e32 v24, vcc, s49, v23
	v_addc_co_u32_e32 v25, vcc, 0, v25, vcc
	flat_load_dword v23, v[24:25] offset:2048
	s_or_b64 exec, exec, s[0:1]
                                        ; implicit-def: $vgpr24
	s_and_saveexec_b64 s[0:1], s[4:5]
	s_cbranch_execnz .LBB753_50
.LBB753_37:
	s_or_b64 exec, exec, s[0:1]
                                        ; implicit-def: $vgpr25
	s_and_saveexec_b64 s[0:1], s[28:29]
	s_cbranch_execz .LBB753_51
.LBB753_38:
	v_lshlrev_b32_e32 v6, 2, v6
	v_mov_b32_e32 v25, s62
	v_add_co_u32_e32 v26, vcc, s49, v6
	v_addc_co_u32_e32 v27, vcc, 0, v25, vcc
	flat_load_dword v25, v[26:27]
	s_or_b64 exec, exec, s[0:1]
                                        ; implicit-def: $vgpr6
	s_and_saveexec_b64 s[0:1], s[8:9]
	s_cbranch_execnz .LBB753_52
.LBB753_39:
	s_or_b64 exec, exec, s[0:1]
                                        ; implicit-def: $vgpr7
	s_and_saveexec_b64 s[0:1], s[10:11]
	s_cbranch_execz .LBB753_53
.LBB753_40:
	v_lshlrev_b32_e32 v7, 2, v8
	v_mov_b32_e32 v8, s62
	v_add_co_u32_e32 v26, vcc, s49, v7
	v_addc_co_u32_e32 v27, vcc, 0, v8, vcc
	flat_load_dword v7, v[26:27]
	s_or_b64 exec, exec, s[0:1]
                                        ; implicit-def: $vgpr26
	s_and_saveexec_b64 s[0:1], s[12:13]
	s_cbranch_execnz .LBB753_54
.LBB753_41:
	s_or_b64 exec, exec, s[0:1]
                                        ; implicit-def: $vgpr30
	s_and_saveexec_b64 s[0:1], s[14:15]
	s_cbranch_execz .LBB753_55
.LBB753_42:
	v_lshlrev_b32_e32 v8, 2, v10
	v_mov_b32_e32 v9, s62
	v_add_co_u32_e32 v8, vcc, s49, v8
	v_addc_co_u32_e32 v9, vcc, 0, v9, vcc
	flat_load_dword v30, v[8:9]
	s_or_b64 exec, exec, s[0:1]
                                        ; implicit-def: $vgpr31
	s_and_saveexec_b64 s[0:1], s[16:17]
	s_cbranch_execnz .LBB753_56
.LBB753_43:
	s_or_b64 exec, exec, s[0:1]
                                        ; implicit-def: $vgpr32
	s_and_saveexec_b64 s[0:1], s[18:19]
	s_cbranch_execz .LBB753_57
.LBB753_44:
	v_lshlrev_b32_e32 v8, 2, v15
	v_mov_b32_e32 v9, s62
	v_add_co_u32_e32 v8, vcc, s49, v8
	v_addc_co_u32_e32 v9, vcc, 0, v9, vcc
	flat_load_dword v32, v[8:9]
	s_or_b64 exec, exec, s[0:1]
                                        ; implicit-def: $vgpr33
	s_and_saveexec_b64 s[0:1], s[20:21]
	s_cbranch_execnz .LBB753_58
.LBB753_45:
	s_or_b64 exec, exec, s[0:1]
                                        ; implicit-def: $vgpr16
	s_and_saveexec_b64 s[0:1], s[22:23]
	s_cbranch_execz .LBB753_59
.LBB753_46:
	v_lshlrev_b32_e32 v8, 2, v17
	v_mov_b32_e32 v9, s62
	v_add_co_u32_e32 v8, vcc, s49, v8
	v_addc_co_u32_e32 v9, vcc, 0, v9, vcc
	flat_load_dword v16, v[8:9]
	s_or_b64 exec, exec, s[0:1]
                                        ; implicit-def: $vgpr17
	s_and_saveexec_b64 s[0:1], s[24:25]
	s_cbranch_execz .LBB753_61
	s_branch .LBB753_60
.LBB753_47:
	s_or_b64 exec, exec, s[30:31]
                                        ; implicit-def: $vgpr22
	s_and_saveexec_b64 s[30:31], s[0:1]
	s_cbranch_execz .LBB753_35
.LBB753_48:
	v_lshlrev_b32_e32 v22, 2, v0
	v_mov_b32_e32 v23, s62
	v_add_co_u32_e32 v22, vcc, s49, v22
	v_addc_co_u32_e32 v23, vcc, 0, v23, vcc
	flat_load_dword v22, v[22:23] offset:1024
	s_or_b64 exec, exec, s[30:31]
                                        ; implicit-def: $vgpr23
	s_and_saveexec_b64 s[0:1], s[2:3]
	s_cbranch_execnz .LBB753_36
.LBB753_49:
	s_or_b64 exec, exec, s[0:1]
                                        ; implicit-def: $vgpr24
	s_and_saveexec_b64 s[0:1], s[4:5]
	s_cbranch_execz .LBB753_37
.LBB753_50:
	v_lshlrev_b32_e32 v24, 2, v0
	v_mov_b32_e32 v25, s62
	v_add_co_u32_e32 v24, vcc, s49, v24
	v_addc_co_u32_e32 v25, vcc, 0, v25, vcc
	flat_load_dword v24, v[24:25] offset:3072
	s_or_b64 exec, exec, s[0:1]
                                        ; implicit-def: $vgpr25
	s_and_saveexec_b64 s[0:1], s[28:29]
	s_cbranch_execnz .LBB753_38
.LBB753_51:
	s_or_b64 exec, exec, s[0:1]
                                        ; implicit-def: $vgpr6
	s_and_saveexec_b64 s[0:1], s[8:9]
	s_cbranch_execz .LBB753_39
.LBB753_52:
	v_lshlrev_b32_e32 v6, 2, v7
	v_mov_b32_e32 v7, s62
	v_add_co_u32_e32 v6, vcc, s49, v6
	v_addc_co_u32_e32 v7, vcc, 0, v7, vcc
	flat_load_dword v6, v[6:7]
	s_or_b64 exec, exec, s[0:1]
                                        ; implicit-def: $vgpr7
	s_and_saveexec_b64 s[0:1], s[10:11]
	s_cbranch_execnz .LBB753_40
.LBB753_53:
	s_or_b64 exec, exec, s[0:1]
                                        ; implicit-def: $vgpr26
	s_and_saveexec_b64 s[0:1], s[12:13]
	s_cbranch_execz .LBB753_41
.LBB753_54:
	v_lshlrev_b32_e32 v8, 2, v9
	v_mov_b32_e32 v9, s62
	v_add_co_u32_e32 v8, vcc, s49, v8
	v_addc_co_u32_e32 v9, vcc, 0, v9, vcc
	flat_load_dword v26, v[8:9]
	s_or_b64 exec, exec, s[0:1]
                                        ; implicit-def: $vgpr30
	s_and_saveexec_b64 s[0:1], s[14:15]
	s_cbranch_execnz .LBB753_42
.LBB753_55:
	s_or_b64 exec, exec, s[0:1]
                                        ; implicit-def: $vgpr31
	s_and_saveexec_b64 s[0:1], s[16:17]
	s_cbranch_execz .LBB753_43
.LBB753_56:
	v_lshlrev_b32_e32 v8, 2, v11
	v_mov_b32_e32 v9, s62
	v_add_co_u32_e32 v8, vcc, s49, v8
	v_addc_co_u32_e32 v9, vcc, 0, v9, vcc
	flat_load_dword v31, v[8:9]
	s_or_b64 exec, exec, s[0:1]
                                        ; implicit-def: $vgpr32
	s_and_saveexec_b64 s[0:1], s[18:19]
	s_cbranch_execnz .LBB753_44
.LBB753_57:
	s_or_b64 exec, exec, s[0:1]
                                        ; implicit-def: $vgpr33
	s_and_saveexec_b64 s[0:1], s[20:21]
	s_cbranch_execz .LBB753_45
.LBB753_58:
	v_lshlrev_b32_e32 v8, 2, v16
	v_mov_b32_e32 v9, s62
	v_add_co_u32_e32 v8, vcc, s49, v8
	v_addc_co_u32_e32 v9, vcc, 0, v9, vcc
	flat_load_dword v33, v[8:9]
	s_or_b64 exec, exec, s[0:1]
                                        ; implicit-def: $vgpr16
	s_and_saveexec_b64 s[0:1], s[22:23]
	s_cbranch_execnz .LBB753_46
.LBB753_59:
	s_or_b64 exec, exec, s[0:1]
                                        ; implicit-def: $vgpr17
	s_and_saveexec_b64 s[0:1], s[24:25]
	s_cbranch_execz .LBB753_61
.LBB753_60:
	v_lshlrev_b32_e32 v8, 2, v18
	v_mov_b32_e32 v9, s62
	v_add_co_u32_e32 v8, vcc, s49, v8
	v_addc_co_u32_e32 v9, vcc, 0, v9, vcc
	flat_load_dword v17, v[8:9]
.LBB753_61:
	s_or_b64 exec, exec, s[0:1]
	v_mul_u32_u24_e32 v8, 15, v0
                                        ; implicit-def: $vgpr18
	s_and_saveexec_b64 s[0:1], s[26:27]
	s_cbranch_execz .LBB753_63
; %bb.62:
	v_lshlrev_b32_e32 v9, 2, v19
	v_mov_b32_e32 v11, s62
	v_add_co_u32_e32 v10, vcc, s49, v9
	v_addc_co_u32_e32 v11, vcc, 0, v11, vcc
	flat_load_dword v18, v[10:11]
.LBB753_63:
	s_or_b64 exec, exec, s[0:1]
	s_movk_i32 s0, 0xffe6
	v_add_u32_e32 v10, 1, v8
	v_add_u32_e32 v29, 3, v8
	;; [unrolled: 1-line block ×7, first 2 shown]
	v_mad_i32_i24 v19, v0, s0, v20
	s_waitcnt vmcnt(0) lgkmcnt(0)
	ds_write2st64_b32 v19, v21, v22 offset1:4
	ds_write2st64_b32 v19, v23, v24 offset0:8 offset1:12
	ds_write2st64_b32 v19, v25, v6 offset0:16 offset1:20
	;; [unrolled: 1-line block ×6, first 2 shown]
	ds_write_b32 v19, v18 offset:14336
	s_waitcnt lgkmcnt(0)
	s_barrier
.LBB753_64:
	v_lshlrev_b32_e32 v6, 2, v8
	ds_read2_b32 v[24:25], v6 offset1:2
	ds_read2_b32 v[20:21], v6 offset0:4 offset1:6
	ds_read2_b32 v[18:19], v6 offset0:8 offset1:10
	;; [unrolled: 1-line block ×3, first 2 shown]
	v_lshlrev_b32_e32 v6, 2, v10
	v_lshlrev_b32_e32 v7, 2, v29
	;; [unrolled: 1-line block ×7, first 2 shown]
	ds_read_b32 v75, v6
	ds_read_b32 v74, v7
	;; [unrolled: 1-line block ×7, first 2 shown]
	s_cmp_eq_u64 s[38:39], 0
	s_cselect_b64 s[36:37], -1, 0
	s_cmp_lg_u64 s[38:39], 0
	s_mov_b64 s[2:3], 0
	s_cselect_b64 s[4:5], -1, 0
	s_and_b64 vcc, exec, s[40:41]
	s_waitcnt lgkmcnt(0)
	s_barrier
	s_cbranch_vccz .LBB753_70
; %bb.65:
	s_and_b64 vcc, exec, s[4:5]
	s_cbranch_vccz .LBB753_135
; %bb.66:
	v_mov_b32_e32 v7, s48
	v_add_co_u32_e64 v6, vcc, -2, s7
	v_addc_co_u32_e32 v7, vcc, -1, v7, vcc
	flat_load_ushort v6, v[6:7]
	v_lshrrev_b32_e32 v8, 16, v14
	v_lshlrev_b32_e32 v7, 1, v0
	v_cmp_ne_u16_e32 vcc, v14, v8
	v_cmp_ne_u16_sdwa s[8:9], v13, v14 src0_sel:WORD_1 src1_sel:DWORD
	v_cmp_ne_u16_sdwa s[10:11], v13, v13 src0_sel:DWORD src1_sel:WORD_1
	v_cmp_ne_u16_sdwa s[12:13], v12, v13 src0_sel:WORD_1 src1_sel:DWORD
	v_cmp_ne_u16_sdwa s[14:15], v12, v12 src0_sel:DWORD src1_sel:WORD_1
	;; [unrolled: 2-line block ×6, first 2 shown]
	v_cmp_ne_u16_e64 s[0:1], v1, v2
	v_cmp_ne_u32_e64 s[2:3], 0, v0
	ds_write_b16 v7, v8
	s_waitcnt lgkmcnt(0)
	s_barrier
	s_and_saveexec_b64 s[40:41], s[2:3]
	s_cbranch_execz .LBB753_68
; %bb.67:
	s_waitcnt vmcnt(0)
	v_add_u32_e32 v6, -2, v7
	ds_read_u16 v6, v6
.LBB753_68:
	s_or_b64 exec, exec, s[40:41]
	v_cndmask_b32_e64 v15, 0, 1, vcc
	v_cndmask_b32_e64 v54, 0, 1, s[8:9]
	v_cndmask_b32_e64 v55, 0, 1, s[10:11]
	;; [unrolled: 1-line block ×13, first 2 shown]
	s_waitcnt vmcnt(0) lgkmcnt(0)
	v_cmp_ne_u16_e64 s[0:1], v6, v1
	s_mov_b64 s[2:3], -1
.LBB753_69:
                                        ; implicit-def: $sgpr10
	s_branch .LBB753_71
.LBB753_70:
                                        ; implicit-def: $sgpr0_sgpr1
                                        ; implicit-def: $vgpr15
                                        ; implicit-def: $vgpr54
                                        ; implicit-def: $vgpr55
                                        ; implicit-def: $vgpr56
                                        ; implicit-def: $vgpr57
                                        ; implicit-def: $vgpr58
                                        ; implicit-def: $vgpr59
                                        ; implicit-def: $vgpr60
                                        ; implicit-def: $vgpr61
                                        ; implicit-def: $vgpr62
                                        ; implicit-def: $vgpr63
                                        ; implicit-def: $vgpr64
                                        ; implicit-def: $vgpr65
                                        ; implicit-def: $vgpr66
                                        ; implicit-def: $sgpr10
	s_cbranch_execnz .LBB753_139
.LBB753_71:
	v_mov_b32_e32 v68, s10
	s_and_saveexec_b64 s[4:5], s[2:3]
.LBB753_72:
	v_cndmask_b32_e64 v68, 0, 1, s[0:1]
.LBB753_73:
	s_or_b64 exec, exec, s[4:5]
	s_cmp_eq_u64 s[46:47], 0
	v_add3_u32 v6, v66, v68, v65
	s_cselect_b64 s[38:39], -1, 0
	s_cmp_lg_u32 s6, 0
	v_cmp_eq_u32_e64 s[24:25], 0, v66
	v_cmp_eq_u32_e64 s[22:23], 0, v65
	v_cmp_eq_u32_e64 s[20:21], 0, v64
	v_add3_u32 v79, v6, v64, v63
	v_cmp_eq_u32_e64 s[18:19], 0, v63
	v_cmp_eq_u32_e64 s[16:17], 0, v62
	v_cmp_eq_u32_e64 s[14:15], 0, v61
	v_cmp_eq_u32_e64 s[12:13], 0, v60
	v_cmp_eq_u32_e64 s[10:11], 0, v59
	v_cmp_eq_u32_e64 s[8:9], 0, v58
	v_cmp_eq_u32_e64 s[28:29], 0, v57
	v_cmp_eq_u32_e64 s[4:5], 0, v56
	v_cmp_eq_u32_e64 s[2:3], 0, v55
	v_cmp_eq_u32_e64 s[0:1], 0, v54
	v_cmp_eq_u32_e32 vcc, 0, v15
	v_mbcnt_lo_u32_b32 v78, -1, 0
	v_lshrrev_b32_e32 v76, 6, v0
	v_or_b32_e32 v77, 63, v0
	s_cbranch_scc0 .LBB753_104
; %bb.74:
	v_cndmask_b32_e64 v6, 0, v24, s[24:25]
	v_add_u32_e32 v6, v6, v75
	v_cndmask_b32_e64 v6, 0, v6, s[22:23]
	v_add_u32_e32 v6, v6, v25
	;; [unrolled: 2-line block ×11, first 2 shown]
	v_cndmask_b32_e64 v6, 0, v6, s[2:3]
	v_add3_u32 v7, v79, v62, v61
	v_add_u32_e32 v6, v6, v16
	v_add3_u32 v7, v7, v60, v59
	v_cndmask_b32_e64 v6, 0, v6, s[0:1]
	v_add3_u32 v7, v7, v58, v57
	v_add_u32_e32 v6, v6, v69
	v_add3_u32 v7, v7, v56, v55
	v_cndmask_b32_e32 v6, 0, v6, vcc
	v_add3_u32 v7, v7, v54, v15
	v_add_u32_e32 v6, v6, v17
	v_mbcnt_hi_u32_b32 v27, -1, v78
	v_and_b32_e32 v8, 15, v27
	v_mov_b32_dpp v10, v6 row_shr:1 row_mask:0xf bank_mask:0xf
	v_cmp_eq_u32_e32 vcc, 0, v7
	v_mov_b32_dpp v9, v7 row_shr:1 row_mask:0xf bank_mask:0xf
	v_cndmask_b32_e32 v10, 0, v10, vcc
	v_cmp_eq_u32_e32 vcc, 0, v8
	v_cndmask_b32_e64 v9, v9, 0, vcc
	v_add_u32_e32 v7, v9, v7
	v_cndmask_b32_e64 v9, v10, 0, vcc
	v_add_u32_e32 v6, v9, v6
	v_cmp_eq_u32_e32 vcc, 0, v7
	v_mov_b32_dpp v9, v7 row_shr:2 row_mask:0xf bank_mask:0xf
	v_cmp_lt_u32_e64 s[26:27], 1, v8
	v_mov_b32_dpp v10, v6 row_shr:2 row_mask:0xf bank_mask:0xf
	v_cndmask_b32_e64 v9, 0, v9, s[26:27]
	s_and_b64 vcc, s[26:27], vcc
	v_cndmask_b32_e32 v10, 0, v10, vcc
	v_add_u32_e32 v7, v7, v9
	v_add_u32_e32 v6, v10, v6
	v_cmp_eq_u32_e32 vcc, 0, v7
	v_mov_b32_dpp v9, v7 row_shr:4 row_mask:0xf bank_mask:0xf
	v_cmp_lt_u32_e64 s[26:27], 3, v8
	v_mov_b32_dpp v10, v6 row_shr:4 row_mask:0xf bank_mask:0xf
	v_cndmask_b32_e64 v9, 0, v9, s[26:27]
	s_and_b64 vcc, s[26:27], vcc
	v_cndmask_b32_e32 v10, 0, v10, vcc
	v_add_u32_e32 v7, v9, v7
	v_add_u32_e32 v6, v6, v10
	v_cmp_eq_u32_e32 vcc, 0, v7
	v_cmp_lt_u32_e64 s[26:27], 7, v8
	v_mov_b32_dpp v9, v7 row_shr:8 row_mask:0xf bank_mask:0xf
	v_mov_b32_dpp v10, v6 row_shr:8 row_mask:0xf bank_mask:0xf
	s_and_b64 vcc, s[26:27], vcc
	v_cndmask_b32_e64 v8, 0, v9, s[26:27]
	v_cndmask_b32_e32 v9, 0, v10, vcc
	v_add_u32_e32 v6, v9, v6
	v_add_u32_e32 v7, v8, v7
	v_bfe_i32 v10, v27, 4, 1
	v_mov_b32_dpp v9, v6 row_bcast:15 row_mask:0xf bank_mask:0xf
	v_mov_b32_dpp v8, v7 row_bcast:15 row_mask:0xf bank_mask:0xf
	v_cmp_eq_u32_e32 vcc, 0, v7
	v_cndmask_b32_e32 v9, 0, v9, vcc
	v_and_b32_e32 v8, v10, v8
	v_add_u32_e32 v7, v8, v7
	v_and_b32_e32 v8, v10, v9
	v_add_u32_e32 v8, v8, v6
	v_mov_b32_dpp v6, v7 row_bcast:31 row_mask:0xf bank_mask:0xf
	v_cmp_eq_u32_e32 vcc, 0, v7
	v_cmp_lt_u32_e64 s[26:27], 31, v27
	v_mov_b32_dpp v9, v8 row_bcast:31 row_mask:0xf bank_mask:0xf
	v_cndmask_b32_e64 v6, 0, v6, s[26:27]
	s_and_b64 vcc, s[26:27], vcc
	v_add_u32_e32 v6, v6, v7
	v_cndmask_b32_e32 v7, 0, v9, vcc
	v_add_u32_e32 v7, v7, v8
	v_cmp_eq_u32_e32 vcc, v77, v0
	v_lshlrev_b32_e32 v8, 3, v76
	s_and_saveexec_b64 s[26:27], vcc
	s_cbranch_execz .LBB753_76
; %bb.75:
	ds_write_b64 v8, v[6:7] offset:1040
.LBB753_76:
	s_or_b64 exec, exec, s[26:27]
	v_cmp_gt_u32_e32 vcc, 4, v0
	s_waitcnt lgkmcnt(0)
	s_barrier
	s_and_saveexec_b64 s[30:31], vcc
	s_cbranch_execz .LBB753_78
; %bb.77:
	v_lshlrev_b32_e32 v9, 3, v0
	ds_read_b64 v[10:11], v9 offset:1040
	v_and_b32_e32 v22, 3, v27
	v_cmp_lt_u32_e64 s[26:27], 1, v22
	s_waitcnt lgkmcnt(0)
	v_mov_b32_dpp v26, v11 row_shr:1 row_mask:0xf bank_mask:0xf
	v_cmp_eq_u32_e32 vcc, 0, v10
	v_mov_b32_dpp v23, v10 row_shr:1 row_mask:0xf bank_mask:0xf
	v_cndmask_b32_e32 v26, 0, v26, vcc
	v_cmp_eq_u32_e32 vcc, 0, v22
	v_cndmask_b32_e64 v23, v23, 0, vcc
	v_add_u32_e32 v10, v23, v10
	v_cndmask_b32_e64 v23, v26, 0, vcc
	v_add_u32_e32 v11, v23, v11
	v_cmp_eq_u32_e32 vcc, 0, v10
	v_mov_b32_dpp v23, v10 row_shr:2 row_mask:0xf bank_mask:0xf
	v_mov_b32_dpp v26, v11 row_shr:2 row_mask:0xf bank_mask:0xf
	v_cndmask_b32_e64 v22, 0, v23, s[26:27]
	s_and_b64 vcc, s[26:27], vcc
	v_add_u32_e32 v10, v22, v10
	v_cndmask_b32_e32 v22, 0, v26, vcc
	v_add_u32_e32 v11, v22, v11
	ds_write_b64 v9, v[10:11] offset:1040
.LBB753_78:
	s_or_b64 exec, exec, s[30:31]
	v_cmp_gt_u32_e32 vcc, 64, v0
	v_cmp_lt_u32_e64 s[26:27], 63, v0
	v_mov_b32_e32 v22, 0
	v_mov_b32_e32 v23, 0
	s_waitcnt lgkmcnt(0)
	s_barrier
	s_and_saveexec_b64 s[30:31], s[26:27]
	s_cbranch_execz .LBB753_80
; %bb.79:
	ds_read_b64 v[22:23], v8 offset:1032
	v_cmp_eq_u32_e64 s[26:27], 0, v6
	s_waitcnt lgkmcnt(0)
	v_add_u32_e32 v8, v22, v6
	v_cndmask_b32_e64 v6, 0, v23, s[26:27]
	v_add_u32_e32 v7, v6, v7
	v_mov_b32_e32 v6, v8
.LBB753_80:
	s_or_b64 exec, exec, s[30:31]
	v_add_u32_e32 v8, -1, v27
	v_and_b32_e32 v9, 64, v27
	v_cmp_lt_i32_e64 s[26:27], v8, v9
	v_cndmask_b32_e64 v8, v8, v27, s[26:27]
	v_lshlrev_b32_e32 v8, 2, v8
	ds_bpermute_b32 v32, v8, v6
	ds_bpermute_b32 v33, v8, v7
	v_cmp_eq_u32_e64 s[26:27], 0, v27
	s_and_saveexec_b64 s[40:41], vcc
	s_cbranch_execz .LBB753_103
; %bb.81:
	v_mov_b32_e32 v11, 0
	ds_read_b64 v[6:7], v11 offset:1064
	s_waitcnt lgkmcnt(0)
	v_readfirstlane_b32 s7, v6
	v_readfirstlane_b32 s48, v7
	s_and_saveexec_b64 s[30:31], s[26:27]
	s_cbranch_execz .LBB753_83
; %bb.82:
	s_add_i32 s46, s6, 64
	s_mov_b32 s47, 0
	s_lshl_b64 s[50:51], s[46:47], 4
	s_add_u32 s50, s44, s50
	s_addc_u32 s51, s45, s51
	s_and_b32 s57, s48, 0xff000000
	s_mov_b32 s56, s47
	s_and_b32 s63, s48, 0xff0000
	s_mov_b32 s62, s47
	s_or_b64 s[56:57], s[62:63], s[56:57]
	s_and_b32 s63, s48, 0xff00
	s_or_b64 s[56:57], s[56:57], s[62:63]
	s_and_b32 s63, s48, 0xff
	s_or_b64 s[46:47], s[56:57], s[62:63]
	v_mov_b32_e32 v8, s7
	v_mov_b32_e32 v9, s47
	v_mov_b32_e32 v10, 1
	v_pk_mov_b32 v[6:7], s[50:51], s[50:51] op_sel:[0,1]
	;;#ASMSTART
	global_store_dwordx4 v[6:7], v[8:11] off	
s_waitcnt vmcnt(0)
	;;#ASMEND
.LBB753_83:
	s_or_b64 exec, exec, s[30:31]
	v_xad_u32 v26, v27, -1, s6
	v_add_u32_e32 v10, 64, v26
	v_lshlrev_b64 v[6:7], 4, v[10:11]
	v_mov_b32_e32 v8, s45
	v_add_co_u32_e32 v28, vcc, s44, v6
	v_addc_co_u32_e32 v29, vcc, v8, v7, vcc
	;;#ASMSTART
	global_load_dwordx4 v[6:9], v[28:29] off glc	
s_waitcnt vmcnt(0)
	;;#ASMEND
	v_and_b32_e32 v9, 0xff, v7
	v_and_b32_e32 v10, 0xff00, v7
	;; [unrolled: 1-line block ×3, first 2 shown]
	v_or3_b32 v9, 0, v9, v10
	v_or3_b32 v6, v6, 0, 0
	v_and_b32_e32 v7, 0xff000000, v7
	v_or3_b32 v7, v9, v30, v7
	v_or3_b32 v6, v6, 0, 0
	v_cmp_eq_u16_sdwa s[46:47], v8, v11 src0_sel:BYTE_0 src1_sel:DWORD
	s_and_saveexec_b64 s[30:31], s[46:47]
	s_cbranch_execz .LBB753_89
; %bb.84:
	s_mov_b32 s49, 1
	s_mov_b64 s[46:47], 0
	v_mov_b32_e32 v10, 0
.LBB753_85:                             ; =>This Loop Header: Depth=1
                                        ;     Child Loop BB753_86 Depth 2
	s_max_u32 s50, s49, 1
.LBB753_86:                             ;   Parent Loop BB753_85 Depth=1
                                        ; =>  This Inner Loop Header: Depth=2
	s_add_i32 s50, s50, -1
	s_cmp_eq_u32 s50, 0
	s_sleep 1
	s_cbranch_scc0 .LBB753_86
; %bb.87:                               ;   in Loop: Header=BB753_85 Depth=1
	s_cmp_lt_u32 s49, 32
	s_cselect_b64 s[50:51], -1, 0
	s_cmp_lg_u64 s[50:51], 0
	s_addc_u32 s49, s49, 0
	;;#ASMSTART
	global_load_dwordx4 v[6:9], v[28:29] off glc	
s_waitcnt vmcnt(0)
	;;#ASMEND
	v_cmp_ne_u16_sdwa s[50:51], v8, v10 src0_sel:BYTE_0 src1_sel:DWORD
	s_or_b64 s[46:47], s[50:51], s[46:47]
	s_andn2_b64 exec, exec, s[46:47]
	s_cbranch_execnz .LBB753_85
; %bb.88:
	s_or_b64 exec, exec, s[46:47]
.LBB753_89:
	s_or_b64 exec, exec, s[30:31]
	v_mov_b32_e32 v34, 2
	v_cmp_eq_u16_sdwa s[30:31], v8, v34 src0_sel:BYTE_0 src1_sel:DWORD
	v_lshlrev_b64 v[28:29], v27, -1
	v_and_b32_e32 v9, s31, v29
	v_and_b32_e32 v35, 63, v27
	v_or_b32_e32 v9, 0x80000000, v9
	v_cmp_ne_u32_e32 vcc, 63, v35
	v_and_b32_e32 v10, s30, v28
	v_ffbl_b32_e32 v9, v9
	v_addc_co_u32_e32 v11, vcc, 0, v27, vcc
	v_add_u32_e32 v9, 32, v9
	v_ffbl_b32_e32 v10, v10
	v_lshlrev_b32_e32 v36, 2, v11
	v_min_u32_e32 v9, v10, v9
	ds_bpermute_b32 v10, v36, v7
	v_cmp_eq_u32_e32 vcc, 0, v6
	v_cmp_lt_u32_e64 s[30:31], v35, v9
	ds_bpermute_b32 v11, v36, v6
	s_and_b64 vcc, s[30:31], vcc
	s_waitcnt lgkmcnt(1)
	v_cndmask_b32_e32 v10, 0, v10, vcc
	v_cmp_gt_u32_e32 vcc, 62, v35
	v_add_u32_e32 v7, v10, v7
	v_cndmask_b32_e64 v10, 0, 1, vcc
	v_lshlrev_b32_e32 v10, 1, v10
	v_add_lshl_u32 v37, v10, v27, 2
	s_waitcnt lgkmcnt(0)
	v_cndmask_b32_e64 v11, 0, v11, s[30:31]
	ds_bpermute_b32 v10, v37, v7
	v_add_u32_e32 v6, v11, v6
	ds_bpermute_b32 v11, v37, v6
	v_add_u32_e32 v38, 2, v35
	v_cmp_eq_u32_e32 vcc, 0, v6
	s_waitcnt lgkmcnt(1)
	v_cndmask_b32_e32 v10, 0, v10, vcc
	v_cmp_gt_u32_e32 vcc, v38, v9
	v_cndmask_b32_e64 v10, v10, 0, vcc
	v_add_u32_e32 v7, v10, v7
	s_waitcnt lgkmcnt(0)
	v_cndmask_b32_e64 v10, v11, 0, vcc
	v_cmp_gt_u32_e32 vcc, 60, v35
	v_cndmask_b32_e64 v11, 0, 1, vcc
	v_lshlrev_b32_e32 v11, 2, v11
	v_add_lshl_u32 v39, v11, v27, 2
	ds_bpermute_b32 v11, v39, v7
	v_add_u32_e32 v6, v6, v10
	ds_bpermute_b32 v10, v39, v6
	v_add_u32_e32 v40, 4, v35
	v_cmp_eq_u32_e32 vcc, 0, v6
	s_waitcnt lgkmcnt(1)
	v_cndmask_b32_e32 v11, 0, v11, vcc
	v_cmp_gt_u32_e32 vcc, v40, v9
	v_cndmask_b32_e64 v11, v11, 0, vcc
	s_waitcnt lgkmcnt(0)
	v_cndmask_b32_e64 v10, v10, 0, vcc
	v_cmp_gt_u32_e32 vcc, 56, v35
	v_add_u32_e32 v7, v7, v11
	v_cndmask_b32_e64 v11, 0, 1, vcc
	v_lshlrev_b32_e32 v11, 3, v11
	v_add_lshl_u32 v41, v11, v27, 2
	ds_bpermute_b32 v11, v41, v7
	v_add_u32_e32 v6, v6, v10
	ds_bpermute_b32 v10, v41, v6
	v_add_u32_e32 v42, 8, v35
	v_cmp_eq_u32_e32 vcc, 0, v6
	s_waitcnt lgkmcnt(1)
	v_cndmask_b32_e32 v11, 0, v11, vcc
	v_cmp_gt_u32_e32 vcc, v42, v9
	v_cndmask_b32_e64 v11, v11, 0, vcc
	s_waitcnt lgkmcnt(0)
	v_cndmask_b32_e64 v10, v10, 0, vcc
	v_cmp_gt_u32_e32 vcc, 48, v35
	v_add_u32_e32 v7, v7, v11
	v_cndmask_b32_e64 v11, 0, 1, vcc
	v_lshlrev_b32_e32 v11, 4, v11
	v_add_lshl_u32 v43, v11, v27, 2
	ds_bpermute_b32 v11, v43, v7
	v_add_u32_e32 v6, v6, v10
	ds_bpermute_b32 v10, v43, v6
	v_add_u32_e32 v44, 16, v35
	v_cmp_eq_u32_e32 vcc, 0, v6
	s_waitcnt lgkmcnt(1)
	v_cndmask_b32_e32 v11, 0, v11, vcc
	v_cmp_gt_u32_e32 vcc, v44, v9
	v_cndmask_b32_e64 v11, v11, 0, vcc
	s_waitcnt lgkmcnt(0)
	v_cndmask_b32_e64 v10, v10, 0, vcc
	v_cmp_gt_u32_e32 vcc, 32, v35
	v_add_u32_e32 v7, v7, v11
	v_cndmask_b32_e64 v11, 0, 1, vcc
	v_lshlrev_b32_e32 v11, 5, v11
	v_add_lshl_u32 v45, v11, v27, 2
	ds_bpermute_b32 v11, v45, v7
	v_add_u32_e32 v6, v6, v10
	ds_bpermute_b32 v10, v45, v6
	v_add_u32_e32 v46, 32, v35
	v_cmp_eq_u32_e32 vcc, 0, v6
	s_waitcnt lgkmcnt(1)
	v_cndmask_b32_e32 v11, 0, v11, vcc
	v_cmp_gt_u32_e32 vcc, v46, v9
	v_cndmask_b32_e64 v9, v11, 0, vcc
	v_add_u32_e32 v7, v9, v7
	s_waitcnt lgkmcnt(0)
	v_cndmask_b32_e64 v9, v10, 0, vcc
	v_add_u32_e32 v6, v9, v6
	v_mov_b32_e32 v27, 0
	s_branch .LBB753_91
.LBB753_90:                             ;   in Loop: Header=BB753_91 Depth=1
	s_or_b64 exec, exec, s[30:31]
	v_cmp_eq_u16_sdwa s[30:31], v8, v34 src0_sel:BYTE_0 src1_sel:DWORD
	v_and_b32_e32 v9, s31, v29
	v_or_b32_e32 v9, 0x80000000, v9
	v_and_b32_e32 v30, s30, v28
	v_ffbl_b32_e32 v9, v9
	v_add_u32_e32 v9, 32, v9
	v_ffbl_b32_e32 v30, v30
	v_min_u32_e32 v9, v30, v9
	ds_bpermute_b32 v30, v36, v7
	v_cmp_eq_u32_e32 vcc, 0, v6
	v_cmp_lt_u32_e64 s[30:31], v35, v9
	ds_bpermute_b32 v31, v36, v6
	s_and_b64 vcc, s[30:31], vcc
	s_waitcnt lgkmcnt(1)
	v_cndmask_b32_e32 v30, 0, v30, vcc
	v_add_u32_e32 v7, v30, v7
	ds_bpermute_b32 v30, v37, v7
	s_waitcnt lgkmcnt(1)
	v_cndmask_b32_e64 v31, 0, v31, s[30:31]
	v_add_u32_e32 v6, v31, v6
	v_cmp_eq_u32_e32 vcc, 0, v6
	ds_bpermute_b32 v31, v37, v6
	s_waitcnt lgkmcnt(1)
	v_cndmask_b32_e32 v30, 0, v30, vcc
	v_cmp_gt_u32_e32 vcc, v38, v9
	v_cndmask_b32_e64 v30, v30, 0, vcc
	v_add_u32_e32 v7, v30, v7
	ds_bpermute_b32 v30, v39, v7
	s_waitcnt lgkmcnt(1)
	v_cndmask_b32_e64 v31, v31, 0, vcc
	v_add_u32_e32 v6, v6, v31
	v_cmp_eq_u32_e32 vcc, 0, v6
	ds_bpermute_b32 v31, v39, v6
	s_waitcnt lgkmcnt(1)
	v_cndmask_b32_e32 v30, 0, v30, vcc
	v_cmp_gt_u32_e32 vcc, v40, v9
	v_cndmask_b32_e64 v30, v30, 0, vcc
	v_add_u32_e32 v7, v7, v30
	ds_bpermute_b32 v30, v41, v7
	s_waitcnt lgkmcnt(1)
	v_cndmask_b32_e64 v31, v31, 0, vcc
	v_add_u32_e32 v6, v6, v31
	ds_bpermute_b32 v31, v41, v6
	v_cmp_eq_u32_e32 vcc, 0, v6
	s_waitcnt lgkmcnt(1)
	v_cndmask_b32_e32 v30, 0, v30, vcc
	v_cmp_gt_u32_e32 vcc, v42, v9
	v_cndmask_b32_e64 v30, v30, 0, vcc
	v_add_u32_e32 v7, v7, v30
	ds_bpermute_b32 v30, v43, v7
	s_waitcnt lgkmcnt(1)
	v_cndmask_b32_e64 v31, v31, 0, vcc
	v_add_u32_e32 v6, v6, v31
	ds_bpermute_b32 v31, v43, v6
	v_cmp_eq_u32_e32 vcc, 0, v6
	;; [unrolled: 11-line block ×3, first 2 shown]
	s_waitcnt lgkmcnt(1)
	v_cndmask_b32_e32 v30, 0, v30, vcc
	v_cmp_gt_u32_e32 vcc, v46, v9
	v_cndmask_b32_e64 v9, v30, 0, vcc
	v_add_u32_e32 v7, v9, v7
	s_waitcnt lgkmcnt(0)
	v_cndmask_b32_e64 v9, v31, 0, vcc
	v_cmp_eq_u32_e32 vcc, 0, v10
	v_cndmask_b32_e32 v7, 0, v7, vcc
	v_subrev_u32_e32 v26, 64, v26
	v_add3_u32 v6, v6, v10, v9
	v_add_u32_e32 v7, v7, v11
.LBB753_91:                             ; =>This Loop Header: Depth=1
                                        ;     Child Loop BB753_94 Depth 2
                                        ;       Child Loop BB753_95 Depth 3
	v_cmp_ne_u16_sdwa s[30:31], v8, v34 src0_sel:BYTE_0 src1_sel:DWORD
	v_mov_b32_e32 v11, v7
	v_cndmask_b32_e64 v7, 0, 1, s[30:31]
	;;#ASMSTART
	;;#ASMEND
	v_cmp_ne_u32_e32 vcc, 0, v7
	s_cmp_lg_u64 vcc, exec
	v_mov_b32_e32 v10, v6
	s_cbranch_scc1 .LBB753_98
; %bb.92:                               ;   in Loop: Header=BB753_91 Depth=1
	v_lshlrev_b64 v[6:7], 4, v[26:27]
	v_mov_b32_e32 v8, s45
	v_add_co_u32_e32 v30, vcc, s44, v6
	v_addc_co_u32_e32 v31, vcc, v8, v7, vcc
	;;#ASMSTART
	global_load_dwordx4 v[6:9], v[30:31] off glc	
s_waitcnt vmcnt(0)
	;;#ASMEND
	v_and_b32_e32 v9, 0xff, v7
	v_and_b32_e32 v47, 0xff00, v7
	;; [unrolled: 1-line block ×3, first 2 shown]
	v_or3_b32 v9, 0, v9, v47
	v_or3_b32 v6, v6, 0, 0
	v_and_b32_e32 v7, 0xff000000, v7
	v_or3_b32 v7, v9, v48, v7
	v_or3_b32 v6, v6, 0, 0
	v_cmp_eq_u16_sdwa s[46:47], v8, v27 src0_sel:BYTE_0 src1_sel:DWORD
	s_and_saveexec_b64 s[30:31], s[46:47]
	s_cbranch_execz .LBB753_90
; %bb.93:                               ;   in Loop: Header=BB753_91 Depth=1
	s_mov_b32 s49, 1
	s_mov_b64 s[46:47], 0
.LBB753_94:                             ;   Parent Loop BB753_91 Depth=1
                                        ; =>  This Loop Header: Depth=2
                                        ;       Child Loop BB753_95 Depth 3
	s_max_u32 s50, s49, 1
.LBB753_95:                             ;   Parent Loop BB753_91 Depth=1
                                        ;     Parent Loop BB753_94 Depth=2
                                        ; =>    This Inner Loop Header: Depth=3
	s_add_i32 s50, s50, -1
	s_cmp_eq_u32 s50, 0
	s_sleep 1
	s_cbranch_scc0 .LBB753_95
; %bb.96:                               ;   in Loop: Header=BB753_94 Depth=2
	s_cmp_lt_u32 s49, 32
	s_cselect_b64 s[50:51], -1, 0
	s_cmp_lg_u64 s[50:51], 0
	s_addc_u32 s49, s49, 0
	;;#ASMSTART
	global_load_dwordx4 v[6:9], v[30:31] off glc	
s_waitcnt vmcnt(0)
	;;#ASMEND
	v_cmp_ne_u16_sdwa s[50:51], v8, v27 src0_sel:BYTE_0 src1_sel:DWORD
	s_or_b64 s[46:47], s[50:51], s[46:47]
	s_andn2_b64 exec, exec, s[46:47]
	s_cbranch_execnz .LBB753_94
; %bb.97:                               ;   in Loop: Header=BB753_91 Depth=1
	s_or_b64 exec, exec, s[46:47]
	s_branch .LBB753_90
.LBB753_98:                             ;   in Loop: Header=BB753_91 Depth=1
                                        ; implicit-def: $vgpr7
                                        ; implicit-def: $vgpr6
                                        ; implicit-def: $vgpr8
	s_cbranch_execz .LBB753_91
; %bb.99:
	s_and_saveexec_b64 s[30:31], s[26:27]
	s_cbranch_execz .LBB753_101
; %bb.100:
	s_cmp_eq_u32 s7, 0
	s_cselect_b64 vcc, -1, 0
	s_mov_b32 s47, 0
	v_cndmask_b32_e32 v6, 0, v11, vcc
	s_add_i32 s46, s6, 64
	v_add_u32_e32 v6, s48, v6
	s_lshl_b64 s[46:47], s[46:47], 4
	s_add_u32 s46, s44, s46
	v_and_b32_e32 v7, 0xff000000, v6
	v_and_b32_e32 v8, 0xff0000, v6
	s_addc_u32 s47, s45, s47
	v_or_b32_e32 v7, v8, v7
	v_and_b32_e32 v8, 0xff00, v6
	v_and_b32_e32 v6, 0xff, v6
	v_add_u32_e32 v26, s7, v10
	v_mov_b32_e32 v29, 0
	v_or3_b32 v27, v7, v8, v6
	v_mov_b32_e32 v28, 2
	v_pk_mov_b32 v[6:7], s[46:47], s[46:47] op_sel:[0,1]
	;;#ASMSTART
	global_store_dwordx4 v[6:7], v[26:29] off	
s_waitcnt vmcnt(0)
	;;#ASMEND
	v_mov_b32_e32 v8, s7
	v_mov_b32_e32 v9, s48
	ds_write_b128 v29, v[8:11] offset:1024
.LBB753_101:
	s_or_b64 exec, exec, s[30:31]
	v_cmp_eq_u32_e32 vcc, 0, v0
	s_and_b64 exec, exec, vcc
	s_cbranch_execz .LBB753_103
; %bb.102:
	v_mov_b32_e32 v6, 0
	ds_write_b64 v6, v[10:11] offset:1064
.LBB753_103:
	s_or_b64 exec, exec, s[40:41]
	v_mov_b32_e32 v8, 0
	s_waitcnt lgkmcnt(0)
	s_barrier
	ds_read_b64 v[6:7], v8 offset:1064
	v_cndmask_b32_e64 v10, v32, v22, s[26:27]
	v_cmp_eq_u32_e32 vcc, 0, v10
	v_cndmask_b32_e64 v9, v33, v23, s[26:27]
	s_waitcnt lgkmcnt(0)
	v_cndmask_b32_e32 v11, 0, v7, vcc
	v_add_u32_e32 v9, v11, v9
	v_cmp_eq_u32_e32 vcc, 0, v0
	v_cndmask_b32_e32 v53, v9, v7, vcc
	v_cndmask_b32_e64 v7, v10, 0, vcc
	v_cmp_eq_u32_e32 vcc, 0, v68
	v_add_u32_e32 v52, v6, v7
	v_cndmask_b32_e32 v6, 0, v53, vcc
	v_add_u32_e32 v51, v6, v24
	v_cndmask_b32_e64 v6, 0, v51, s[24:25]
	v_add_u32_e32 v49, v6, v75
	v_cndmask_b32_e64 v6, 0, v49, s[22:23]
	;; [unrolled: 2-line block ×8, first 2 shown]
	v_add_u32_e32 v50, v52, v68
	v_add_u32_e32 v35, v6, v18
	v_add_u32_e32 v48, v50, v66
	v_cndmask_b32_e64 v6, 0, v35, s[8:9]
	v_add_u32_e32 v46, v48, v65
	v_add_u32_e32 v33, v6, v71
	v_add_u32_e32 v44, v46, v64
	v_cndmask_b32_e64 v6, 0, v33, s[28:29]
	;; [unrolled: 4-line block ×3, first 2 shown]
	v_add_u32_e32 v38, v40, v61
	v_add_u32_e32 v29, v6, v70
	s_barrier
	ds_read_b128 v[6:9], v8 offset:1024
	v_add_u32_e32 v36, v38, v60
	v_add_u32_e32 v34, v36, v59
	;; [unrolled: 1-line block ×4, first 2 shown]
	v_cndmask_b32_e64 v10, 0, v29, s[2:3]
	v_add_u32_e32 v28, v30, v56
	v_add_u32_e32 v27, v10, v16
	s_waitcnt lgkmcnt(0)
	v_cmp_eq_u32_e32 vcc, 0, v6
	v_add_u32_e32 v26, v28, v55
	v_cndmask_b32_e64 v10, 0, v27, s[0:1]
	v_cndmask_b32_e32 v9, 0, v9, vcc
	v_add_u32_e32 v22, v26, v54
	v_add_u32_e32 v23, v10, v69
	;; [unrolled: 1-line block ×3, first 2 shown]
	s_branch .LBB753_116
.LBB753_104:
                                        ; implicit-def: $vgpr6
                                        ; implicit-def: $vgpr67
                                        ; implicit-def: $vgpr52_vgpr53
                                        ; implicit-def: $vgpr50_vgpr51
                                        ; implicit-def: $vgpr48_vgpr49
                                        ; implicit-def: $vgpr46_vgpr47
                                        ; implicit-def: $vgpr44_vgpr45
                                        ; implicit-def: $vgpr42_vgpr43
                                        ; implicit-def: $vgpr40_vgpr41
                                        ; implicit-def: $vgpr38_vgpr39
                                        ; implicit-def: $vgpr36_vgpr37
                                        ; implicit-def: $vgpr34_vgpr35
                                        ; implicit-def: $vgpr32_vgpr33
                                        ; implicit-def: $vgpr30_vgpr31
                                        ; implicit-def: $vgpr28_vgpr29
                                        ; implicit-def: $vgpr26_vgpr27
                                        ; implicit-def: $vgpr22_vgpr23
	s_cbranch_execz .LBB753_116
; %bb.105:
	s_and_b64 s[0:1], s[38:39], exec
	s_cselect_b32 s1, 0, s61
	s_cselect_b32 s0, 0, s60
	s_cmp_eq_u64 s[0:1], 0
	v_mov_b32_e32 v10, v24
	s_cbranch_scc1 .LBB753_107
; %bb.106:
	v_mov_b32_e32 v6, 0
	global_load_dword v10, v6, s[0:1]
.LBB753_107:
	v_cmp_eq_u32_e64 s[0:1], 0, v66
	v_cndmask_b32_e64 v6, 0, v24, s[0:1]
	v_add_u32_e32 v6, v6, v75
	v_cmp_eq_u32_e64 s[2:3], 0, v65
	v_cndmask_b32_e64 v6, 0, v6, s[2:3]
	v_add_u32_e32 v6, v6, v25
	;; [unrolled: 3-line block ×11, first 2 shown]
	v_cmp_eq_u32_e64 s[22:23], 0, v55
	v_cndmask_b32_e64 v6, 0, v6, s[22:23]
	v_add3_u32 v7, v79, v62, v61
	v_add_u32_e32 v6, v6, v16
	v_cmp_eq_u32_e32 vcc, 0, v54
	v_add3_u32 v7, v7, v60, v59
	v_cndmask_b32_e32 v6, 0, v6, vcc
	v_add3_u32 v7, v7, v58, v57
	v_add_u32_e32 v6, v6, v69
	v_cmp_eq_u32_e64 s[24:25], 0, v15
	v_add3_u32 v7, v7, v56, v55
	v_cndmask_b32_e64 v6, 0, v6, s[24:25]
	v_add3_u32 v7, v7, v54, v15
	v_add_u32_e32 v6, v6, v17
	v_mbcnt_hi_u32_b32 v11, -1, v78
	v_and_b32_e32 v8, 15, v11
	v_mov_b32_dpp v17, v6 row_shr:1 row_mask:0xf bank_mask:0xf
	v_cmp_eq_u32_e64 s[24:25], 0, v7
	v_mov_b32_dpp v9, v7 row_shr:1 row_mask:0xf bank_mask:0xf
	v_cndmask_b32_e64 v17, 0, v17, s[24:25]
	v_cmp_eq_u32_e64 s[24:25], 0, v8
	v_cndmask_b32_e64 v9, v9, 0, s[24:25]
	v_add_u32_e32 v7, v9, v7
	v_cndmask_b32_e64 v9, v17, 0, s[24:25]
	v_add_u32_e32 v6, v9, v6
	v_cmp_eq_u32_e64 s[24:25], 0, v7
	v_mov_b32_dpp v9, v7 row_shr:2 row_mask:0xf bank_mask:0xf
	v_cmp_lt_u32_e64 s[26:27], 1, v8
	v_mov_b32_dpp v17, v6 row_shr:2 row_mask:0xf bank_mask:0xf
	v_cndmask_b32_e64 v9, 0, v9, s[26:27]
	s_and_b64 s[24:25], s[26:27], s[24:25]
	v_cndmask_b32_e64 v17, 0, v17, s[24:25]
	v_add_u32_e32 v7, v7, v9
	v_add_u32_e32 v6, v17, v6
	v_cmp_eq_u32_e64 s[24:25], 0, v7
	v_mov_b32_dpp v9, v7 row_shr:4 row_mask:0xf bank_mask:0xf
	v_cmp_lt_u32_e64 s[26:27], 3, v8
	v_mov_b32_dpp v17, v6 row_shr:4 row_mask:0xf bank_mask:0xf
	v_cndmask_b32_e64 v9, 0, v9, s[26:27]
	s_and_b64 s[24:25], s[26:27], s[24:25]
	v_cndmask_b32_e64 v17, 0, v17, s[24:25]
	v_add_u32_e32 v7, v9, v7
	v_add_u32_e32 v6, v6, v17
	v_cmp_eq_u32_e64 s[24:25], 0, v7
	v_cmp_lt_u32_e64 s[26:27], 7, v8
	v_mov_b32_dpp v9, v7 row_shr:8 row_mask:0xf bank_mask:0xf
	v_mov_b32_dpp v17, v6 row_shr:8 row_mask:0xf bank_mask:0xf
	s_and_b64 s[24:25], s[26:27], s[24:25]
	v_cndmask_b32_e64 v8, 0, v9, s[26:27]
	v_cndmask_b32_e64 v9, 0, v17, s[24:25]
	v_add_u32_e32 v6, v9, v6
	v_add_u32_e32 v7, v8, v7
	v_bfe_i32 v17, v11, 4, 1
	v_mov_b32_dpp v9, v6 row_bcast:15 row_mask:0xf bank_mask:0xf
	v_mov_b32_dpp v8, v7 row_bcast:15 row_mask:0xf bank_mask:0xf
	v_cmp_eq_u32_e64 s[24:25], 0, v7
	v_cndmask_b32_e64 v9, 0, v9, s[24:25]
	v_and_b32_e32 v8, v17, v8
	v_add_u32_e32 v7, v8, v7
	v_and_b32_e32 v8, v17, v9
	v_add_u32_e32 v8, v8, v6
	v_mov_b32_dpp v6, v7 row_bcast:31 row_mask:0xf bank_mask:0xf
	v_cmp_eq_u32_e64 s[24:25], 0, v7
	v_cmp_lt_u32_e64 s[26:27], 31, v11
	v_mov_b32_dpp v9, v8 row_bcast:31 row_mask:0xf bank_mask:0xf
	v_cndmask_b32_e64 v6, 0, v6, s[26:27]
	s_and_b64 s[24:25], s[26:27], s[24:25]
	v_add_u32_e32 v6, v6, v7
	v_cndmask_b32_e64 v7, 0, v9, s[24:25]
	v_add_u32_e32 v7, v7, v8
	v_cmp_eq_u32_e64 s[24:25], v77, v0
	s_and_saveexec_b64 s[26:27], s[24:25]
	s_cbranch_execz .LBB753_109
; %bb.108:
	v_lshlrev_b32_e32 v8, 3, v76
	ds_write_b64 v8, v[6:7] offset:1040
.LBB753_109:
	s_or_b64 exec, exec, s[26:27]
	v_cmp_gt_u32_e64 s[24:25], 4, v0
	s_waitcnt lgkmcnt(0)
	s_barrier
	s_and_saveexec_b64 s[28:29], s[24:25]
	s_cbranch_execz .LBB753_111
; %bb.110:
	v_lshlrev_b32_e32 v17, 3, v0
	ds_read_b64 v[8:9], v17 offset:1040
	v_and_b32_e32 v22, 3, v11
	v_cmp_lt_u32_e64 s[26:27], 1, v22
	s_waitcnt lgkmcnt(0)
	v_mov_b32_dpp v26, v9 row_shr:1 row_mask:0xf bank_mask:0xf
	v_cmp_eq_u32_e64 s[24:25], 0, v8
	v_mov_b32_dpp v23, v8 row_shr:1 row_mask:0xf bank_mask:0xf
	v_cndmask_b32_e64 v26, 0, v26, s[24:25]
	v_cmp_eq_u32_e64 s[24:25], 0, v22
	v_cndmask_b32_e64 v23, v23, 0, s[24:25]
	v_add_u32_e32 v8, v23, v8
	v_cndmask_b32_e64 v23, v26, 0, s[24:25]
	v_add_u32_e32 v9, v23, v9
	v_cmp_eq_u32_e64 s[24:25], 0, v8
	v_mov_b32_dpp v23, v8 row_shr:2 row_mask:0xf bank_mask:0xf
	v_mov_b32_dpp v26, v9 row_shr:2 row_mask:0xf bank_mask:0xf
	v_cndmask_b32_e64 v22, 0, v23, s[26:27]
	s_and_b64 s[24:25], s[26:27], s[24:25]
	v_add_u32_e32 v8, v22, v8
	v_cndmask_b32_e64 v22, 0, v26, s[24:25]
	v_add_u32_e32 v9, v22, v9
	ds_write_b64 v17, v[8:9] offset:1040
.LBB753_111:
	s_or_b64 exec, exec, s[28:29]
	v_cmp_lt_u32_e64 s[24:25], 63, v0
	v_mov_b32_e32 v17, 0
	v_mov_b32_e32 v8, 0
	s_waitcnt vmcnt(0)
	v_mov_b32_e32 v9, v10
	s_waitcnt lgkmcnt(0)
	s_barrier
	s_and_saveexec_b64 s[26:27], s[24:25]
	s_cbranch_execz .LBB753_113
; %bb.112:
	v_lshlrev_b32_e32 v8, 3, v76
	ds_read_b64 v[8:9], v8 offset:1032
	s_waitcnt lgkmcnt(0)
	v_cmp_eq_u32_e64 s[24:25], 0, v8
	v_cndmask_b32_e64 v22, 0, v10, s[24:25]
	v_add_u32_e32 v9, v22, v9
.LBB753_113:
	s_or_b64 exec, exec, s[26:27]
	v_cmp_eq_u32_e64 s[24:25], 0, v6
	v_add_u32_e32 v22, v8, v6
	v_cndmask_b32_e64 v6, 0, v9, s[24:25]
	v_add_u32_e32 v6, v6, v7
	v_add_u32_e32 v7, -1, v11
	v_and_b32_e32 v23, 64, v11
	v_cmp_lt_i32_e64 s[24:25], v7, v23
	v_cndmask_b32_e64 v7, v7, v11, s[24:25]
	v_lshlrev_b32_e32 v7, 2, v7
	ds_bpermute_b32 v22, v7, v22
	ds_bpermute_b32 v6, v7, v6
	v_cmp_eq_u32_e64 s[24:25], 0, v11
	v_cmp_eq_u32_e64 s[26:27], 0, v68
	s_waitcnt lgkmcnt(1)
	v_cndmask_b32_e64 v7, v22, v8, s[24:25]
	s_waitcnt lgkmcnt(0)
	v_cndmask_b32_e64 v6, v6, v9, s[24:25]
	v_cmp_eq_u32_e64 s[24:25], 0, v0
	v_cndmask_b32_e64 v53, v6, v10, s[24:25]
	v_cndmask_b32_e64 v6, 0, v53, s[26:27]
	v_add_u32_e32 v51, v6, v24
	v_cndmask_b32_e64 v6, 0, v51, s[0:1]
	v_add_u32_e32 v49, v6, v75
	;; [unrolled: 2-line block ×8, first 2 shown]
	v_cndmask_b32_e64 v52, v7, 0, s[24:25]
	v_cndmask_b32_e64 v6, 0, v37, s[14:15]
	v_add_u32_e32 v50, v52, v68
	v_add_u32_e32 v35, v6, v18
	v_add_u32_e32 v48, v50, v66
	v_cndmask_b32_e64 v6, 0, v35, s[16:17]
	v_add_u32_e32 v46, v48, v65
	v_add_u32_e32 v33, v6, v71
	v_add_u32_e32 v44, v46, v64
	;; [unrolled: 4-line block ×3, first 2 shown]
	v_cndmask_b32_e64 v6, 0, v31, s[20:21]
	v_add_u32_e32 v38, v40, v61
	v_add_u32_e32 v29, v6, v70
	ds_read_b64 v[6:7], v17 offset:1064
	v_add_u32_e32 v36, v38, v60
	v_add_u32_e32 v34, v36, v59
	;; [unrolled: 1-line block ×3, first 2 shown]
	v_cndmask_b32_e64 v8, 0, v29, s[22:23]
	v_add_u32_e32 v30, v32, v57
	v_add_u32_e32 v27, v8, v16
	;; [unrolled: 1-line block ×3, first 2 shown]
	v_cndmask_b32_e32 v8, 0, v27, vcc
	s_waitcnt lgkmcnt(0)
	v_cmp_eq_u32_e32 vcc, 0, v6
	v_add_u32_e32 v26, v28, v55
	v_add_u32_e32 v23, v8, v69
	v_cndmask_b32_e32 v8, 0, v10, vcc
	v_add_u32_e32 v22, v26, v54
	v_add_u32_e32 v67, v8, v7
	s_and_saveexec_b64 s[0:1], s[24:25]
	s_cbranch_execz .LBB753_115
; %bb.114:
	s_add_u32 s2, s44, 0x400
	v_and_b32_e32 v7, 0xff000000, v67
	v_and_b32_e32 v8, 0xff0000, v67
	s_addc_u32 s3, s45, 0
	v_or_b32_e32 v7, v8, v7
	v_and_b32_e32 v8, 0xff00, v67
	v_and_b32_e32 v10, 0xff, v67
	v_mov_b32_e32 v9, 0
	v_or3_b32 v7, v7, v8, v10
	v_mov_b32_e32 v8, 2
	v_pk_mov_b32 v[10:11], s[2:3], s[2:3] op_sel:[0,1]
	;;#ASMSTART
	global_store_dwordx4 v[10:11], v[6:9] off	
s_waitcnt vmcnt(0)
	;;#ASMEND
.LBB753_115:
	s_or_b64 exec, exec, s[0:1]
	v_mov_b32_e32 v8, 0
.LBB753_116:
	s_and_b64 s[0:1], s[38:39], exec
	s_cselect_b32 s1, 0, s59
	s_cselect_b32 s0, 0, s58
	s_cmp_eq_u64 s[0:1], 0
	v_pk_mov_b32 v[16:17], 0, 0
	s_barrier
	s_cbranch_scc1 .LBB753_118
; %bb.117:
	v_mov_b32_e32 v7, 0
	global_load_dwordx2 v[16:17], v7, s[0:1]
.LBB753_118:
	s_waitcnt vmcnt(0)
	v_lshlrev_b64 v[10:11], 1, v[16:17]
	v_mov_b32_e32 v7, s43
	v_add_co_u32_e32 v18, vcc, s42, v10
	v_mov_b32_e32 v9, 0
	v_addc_co_u32_e32 v19, vcc, v7, v11, vcc
	v_lshlrev_b64 v[10:11], 1, v[8:9]
	v_add_co_u32_e32 v7, vcc, v18, v10
	v_addc_co_u32_e32 v18, vcc, v19, v11, vcc
	v_cmp_eq_u32_e32 vcc, 0, v68
	v_cndmask_b32_e64 v10, 1, 2, vcc
	v_cmp_eq_u32_e32 vcc, 0, v66
	v_cndmask_b32_e64 v11, 1, 2, vcc
	v_cmp_eq_u32_e32 vcc, 0, v65
	v_and_b32_e32 v10, v11, v10
	v_cndmask_b32_e64 v11, 1, 2, vcc
	v_cmp_eq_u32_e32 vcc, 0, v64
	v_and_b32_e32 v10, v10, v11
	v_cndmask_b32_e64 v11, 1, 2, vcc
	v_cmp_eq_u32_e32 vcc, 0, v63
	v_and_b32_e32 v10, v10, v11
	v_cndmask_b32_e64 v11, 1, 2, vcc
	v_cmp_eq_u32_e32 vcc, 0, v62
	v_and_b32_e32 v10, v10, v11
	v_cndmask_b32_e64 v11, 1, 2, vcc
	v_cmp_eq_u32_e32 vcc, 0, v61
	v_and_b32_e32 v10, v10, v11
	v_cndmask_b32_e64 v11, 1, 2, vcc
	v_cmp_eq_u32_e32 vcc, 0, v60
	v_and_b32_e32 v10, v10, v11
	v_cndmask_b32_e64 v11, 1, 2, vcc
	v_cmp_eq_u32_e32 vcc, 0, v59
	v_and_b32_e32 v10, v10, v11
	v_cndmask_b32_e64 v11, 1, 2, vcc
	v_cmp_eq_u32_e32 vcc, 0, v58
	v_and_b32_e32 v10, v10, v11
	v_cndmask_b32_e64 v11, 1, 2, vcc
	v_cmp_eq_u32_e32 vcc, 0, v57
	v_and_b32_e32 v10, v10, v11
	v_cndmask_b32_e64 v11, 1, 2, vcc
	v_cmp_eq_u32_e32 vcc, 0, v56
	v_and_b32_e32 v10, v10, v11
	v_cndmask_b32_e64 v11, 1, 2, vcc
	v_cmp_eq_u32_e32 vcc, 0, v55
	v_and_b32_e32 v10, v10, v11
	v_cndmask_b32_e64 v11, 1, 2, vcc
	v_cmp_eq_u32_e32 vcc, 0, v54
	v_and_b32_e32 v10, v10, v11
	v_cndmask_b32_e64 v11, 1, 2, vcc
	v_cmp_eq_u32_e32 vcc, 0, v15
	v_and_b32_e32 v10, v10, v11
	v_cndmask_b32_e64 v11, 1, 2, vcc
	s_movk_i32 s30, 0x100
	v_and_b32_e32 v10, v10, v11
	v_cmp_gt_u32_e32 vcc, s30, v6
	v_cmp_ne_u32_e64 s[28:29], 0, v68
	v_cmp_ne_u32_e64 s[26:27], 0, v66
	;; [unrolled: 1-line block ×15, first 2 shown]
	s_mov_b64 s[38:39], -1
	v_cmp_gt_i16_e64 s[30:31], 2, v10
	s_cbranch_vccz .LBB753_167
; %bb.119:
	s_and_saveexec_b64 s[38:39], s[30:31]
	s_cbranch_execz .LBB753_166
; %bb.120:
	v_cmp_ne_u16_e32 vcc, 1, v10
	s_mov_b64 s[40:41], 0
	s_and_saveexec_b64 s[30:31], vcc
	s_xor_b64 s[30:31], exec, s[30:31]
	s_cbranch_execz .LBB753_144
; %bb.121:
	s_and_saveexec_b64 s[40:41], s[28:29]
	s_cbranch_execz .LBB753_149
; %bb.122:
	v_sub_u32_e32 v20, v52, v8
	v_mov_b32_e32 v21, 0
	v_lshlrev_b64 v[20:21], 1, v[20:21]
	v_add_co_u32_e32 v20, vcc, v7, v20
	v_addc_co_u32_e32 v21, vcc, v18, v21, vcc
	global_store_short v[20:21], v1, off
	s_or_b64 exec, exec, s[40:41]
	s_and_saveexec_b64 s[40:41], s[26:27]
	s_cbranch_execnz .LBB753_150
.LBB753_123:
	s_or_b64 exec, exec, s[40:41]
	s_and_saveexec_b64 s[40:41], s[24:25]
	s_cbranch_execz .LBB753_151
.LBB753_124:
	v_sub_u32_e32 v20, v48, v8
	v_mov_b32_e32 v21, 0
	v_lshlrev_b64 v[20:21], 1, v[20:21]
	v_add_co_u32_e32 v20, vcc, v7, v20
	v_addc_co_u32_e32 v21, vcc, v18, v21, vcc
	global_store_short_d16_hi v[20:21], v2, off
	s_or_b64 exec, exec, s[40:41]
	s_and_saveexec_b64 s[40:41], s[22:23]
	s_cbranch_execnz .LBB753_152
.LBB753_125:
	s_or_b64 exec, exec, s[40:41]
	s_and_saveexec_b64 s[40:41], s[20:21]
	s_cbranch_execz .LBB753_153
.LBB753_126:
	v_sub_u32_e32 v20, v44, v8
	v_mov_b32_e32 v21, 0
	v_lshlrev_b64 v[20:21], 1, v[20:21]
	v_add_co_u32_e32 v20, vcc, v7, v20
	v_addc_co_u32_e32 v21, vcc, v18, v21, vcc
	global_store_short_d16_hi v[20:21], v3, off
	s_or_b64 exec, exec, s[40:41]
	s_and_saveexec_b64 s[40:41], s[18:19]
	s_cbranch_execnz .LBB753_154
.LBB753_127:
	s_or_b64 exec, exec, s[40:41]
	s_and_saveexec_b64 s[40:41], s[16:17]
	s_cbranch_execz .LBB753_155
.LBB753_128:
	v_sub_u32_e32 v20, v40, v8
	v_mov_b32_e32 v21, 0
	v_lshlrev_b64 v[20:21], 1, v[20:21]
	v_add_co_u32_e32 v20, vcc, v7, v20
	v_addc_co_u32_e32 v21, vcc, v18, v21, vcc
	global_store_short_d16_hi v[20:21], v4, off
	s_or_b64 exec, exec, s[40:41]
	s_and_saveexec_b64 s[40:41], s[14:15]
	s_cbranch_execnz .LBB753_156
.LBB753_129:
	s_or_b64 exec, exec, s[40:41]
	s_and_saveexec_b64 s[40:41], s[12:13]
	s_cbranch_execz .LBB753_157
.LBB753_130:
	v_sub_u32_e32 v20, v36, v8
	v_mov_b32_e32 v21, 0
	v_lshlrev_b64 v[20:21], 1, v[20:21]
	v_add_co_u32_e32 v20, vcc, v7, v20
	v_addc_co_u32_e32 v21, vcc, v18, v21, vcc
	global_store_short_d16_hi v[20:21], v5, off
	s_or_b64 exec, exec, s[40:41]
	s_and_saveexec_b64 s[40:41], s[10:11]
	s_cbranch_execnz .LBB753_158
.LBB753_131:
	s_or_b64 exec, exec, s[40:41]
	s_and_saveexec_b64 s[40:41], s[8:9]
	s_cbranch_execz .LBB753_159
.LBB753_132:
	v_sub_u32_e32 v20, v32, v8
	v_mov_b32_e32 v21, 0
	v_lshlrev_b64 v[20:21], 1, v[20:21]
	v_add_co_u32_e32 v20, vcc, v7, v20
	v_addc_co_u32_e32 v21, vcc, v18, v21, vcc
	global_store_short_d16_hi v[20:21], v12, off
	s_or_b64 exec, exec, s[40:41]
	s_and_saveexec_b64 s[40:41], s[6:7]
	s_cbranch_execnz .LBB753_160
.LBB753_133:
	s_or_b64 exec, exec, s[40:41]
	s_and_saveexec_b64 s[40:41], s[4:5]
	s_cbranch_execz .LBB753_161
.LBB753_134:
	v_sub_u32_e32 v20, v28, v8
	v_mov_b32_e32 v21, 0
	v_lshlrev_b64 v[20:21], 1, v[20:21]
	v_add_co_u32_e32 v20, vcc, v7, v20
	v_addc_co_u32_e32 v21, vcc, v18, v21, vcc
	global_store_short_d16_hi v[20:21], v13, off
	s_or_b64 exec, exec, s[40:41]
	s_and_saveexec_b64 s[40:41], s[2:3]
	s_cbranch_execnz .LBB753_162
	s_branch .LBB753_163
.LBB753_135:
                                        ; implicit-def: $sgpr0_sgpr1
                                        ; implicit-def: $vgpr15
                                        ; implicit-def: $vgpr54
                                        ; implicit-def: $vgpr55
                                        ; implicit-def: $vgpr56
                                        ; implicit-def: $vgpr57
                                        ; implicit-def: $vgpr58
                                        ; implicit-def: $vgpr59
                                        ; implicit-def: $vgpr60
                                        ; implicit-def: $vgpr61
                                        ; implicit-def: $vgpr62
                                        ; implicit-def: $vgpr63
                                        ; implicit-def: $vgpr64
                                        ; implicit-def: $vgpr65
                                        ; implicit-def: $vgpr66
	s_cbranch_execz .LBB753_69
; %bb.136:
	v_cmp_ne_u16_sdwa s[0:1], v13, v14 src0_sel:WORD_1 src1_sel:DWORD
	v_cndmask_b32_e64 v54, 0, 1, s[0:1]
	v_cmp_ne_u16_sdwa s[0:1], v13, v13 src0_sel:DWORD src1_sel:WORD_1
	v_cndmask_b32_e64 v55, 0, 1, s[0:1]
	v_cmp_ne_u16_sdwa s[0:1], v12, v13 src0_sel:WORD_1 src1_sel:DWORD
	v_cndmask_b32_e64 v56, 0, 1, s[0:1]
	v_cmp_ne_u16_sdwa s[0:1], v12, v12 src0_sel:DWORD src1_sel:WORD_1
	v_cndmask_b32_e64 v57, 0, 1, s[0:1]
	;; [unrolled: 4-line block ×4, first 2 shown]
	v_cmp_ne_u16_sdwa s[0:1], v3, v4 src0_sel:WORD_1 src1_sel:DWORD
	v_lshrrev_b32_e32 v7, 16, v14
	v_cndmask_b32_e64 v62, 0, 1, s[0:1]
	v_cmp_ne_u16_sdwa s[0:1], v3, v3 src0_sel:DWORD src1_sel:WORD_1
	v_cmp_ne_u16_e32 vcc, v14, v7
	v_cndmask_b32_e64 v63, 0, 1, s[0:1]
	v_cmp_ne_u16_sdwa s[0:1], v2, v3 src0_sel:WORD_1 src1_sel:DWORD
	v_cndmask_b32_e64 v15, 0, 1, vcc
	v_cndmask_b32_e64 v64, 0, 1, s[0:1]
	v_cmp_ne_u16_sdwa s[0:1], v2, v2 src0_sel:DWORD src1_sel:WORD_1
	v_cmp_ne_u16_e32 vcc, v1, v2
	s_mov_b32 s10, 1
	v_lshlrev_b32_e32 v6, 1, v0
	v_cndmask_b32_e64 v65, 0, 1, s[0:1]
	v_cndmask_b32_e64 v66, 0, 1, vcc
	v_cmp_ne_u32_e32 vcc, 0, v0
	ds_write_b16 v6, v7
	s_waitcnt lgkmcnt(0)
	s_barrier
	s_waitcnt lgkmcnt(0)
                                        ; implicit-def: $sgpr0_sgpr1
	s_and_saveexec_b64 s[8:9], vcc
	s_xor_b64 s[8:9], exec, s[8:9]
	s_cbranch_execz .LBB753_138
; %bb.137:
	v_add_u32_e32 v6, -2, v6
	ds_read_u16 v6, v6
	s_or_b64 s[2:3], s[2:3], exec
	s_waitcnt lgkmcnt(0)
	v_cmp_ne_u16_e32 vcc, v6, v1
	s_and_b64 s[0:1], vcc, exec
.LBB753_138:
	s_or_b64 exec, exec, s[8:9]
	s_branch .LBB753_71
.LBB753_139:
	s_mul_hi_u32 s1, s38, 0xfffff100
	s_mul_i32 s0, s39, 0xfffff100
	s_sub_i32 s1, s1, s38
	s_add_i32 s1, s1, s0
	s_mul_i32 s0, s38, 0xfffff100
	s_add_u32 s8, s0, s56
	s_addc_u32 s9, s1, s57
	s_and_b64 vcc, exec, s[4:5]
	s_cbranch_vccz .LBB753_146
; %bb.140:
	v_mov_b32_e32 v7, s48
	v_add_co_u32_e64 v6, vcc, -2, s7
	v_addc_co_u32_e32 v7, vcc, -1, v7, vcc
	flat_load_ushort v10, v[6:7]
	v_lshrrev_b32_e32 v11, 16, v14
	v_mad_u32_u24 v8, v0, 15, 14
	v_mov_b32_e32 v9, 0
	v_cmp_gt_u64_e32 vcc, s[8:9], v[8:9]
	v_cmp_ne_u16_e64 s[0:1], v14, v11
	v_mad_u32_u24 v8, v0, 15, 13
	s_and_b64 s[2:3], vcc, s[0:1]
	v_cmp_gt_u64_e32 vcc, s[8:9], v[8:9]
	v_cmp_ne_u16_sdwa s[0:1], v13, v14 src0_sel:WORD_1 src1_sel:DWORD
	v_mad_u32_u24 v8, v0, 15, 12
	s_and_b64 s[4:5], vcc, s[0:1]
	v_cmp_gt_u64_e32 vcc, s[8:9], v[8:9]
	v_cmp_ne_u16_sdwa s[0:1], v13, v13 src0_sel:DWORD src1_sel:WORD_1
	v_mad_u32_u24 v8, v0, 15, 11
	s_and_b64 s[10:11], vcc, s[0:1]
	v_cmp_gt_u64_e32 vcc, s[8:9], v[8:9]
	v_cmp_ne_u16_sdwa s[0:1], v12, v13 src0_sel:WORD_1 src1_sel:DWORD
	v_mad_u32_u24 v8, v0, 15, 10
	s_and_b64 s[12:13], vcc, s[0:1]
	v_cmp_gt_u64_e32 vcc, s[8:9], v[8:9]
	v_cmp_ne_u16_sdwa s[0:1], v12, v12 src0_sel:DWORD src1_sel:WORD_1
	;; [unrolled: 8-line block ×6, first 2 shown]
	v_mad_u32_u24 v8, v0, 15, 1
	s_and_b64 s[30:31], vcc, s[0:1]
	v_cmp_gt_u64_e32 vcc, s[8:9], v[8:9]
	v_cmp_ne_u16_e64 s[0:1], v1, v2
	v_lshlrev_b32_e32 v7, 1, v0
	v_mul_u32_u24_e32 v6, 15, v0
	s_and_b64 s[0:1], vcc, s[0:1]
	v_cmp_ne_u32_e32 vcc, 0, v0
	ds_write_b16 v7, v11
	s_waitcnt lgkmcnt(0)
	s_barrier
	s_and_saveexec_b64 s[38:39], vcc
	s_cbranch_execz .LBB753_142
; %bb.141:
	v_add_u32_e32 v7, -2, v7
	s_waitcnt vmcnt(0)
	ds_read_u16 v10, v7
.LBB753_142:
	s_or_b64 exec, exec, s[38:39]
	v_mov_b32_e32 v7, v9
	v_cndmask_b32_e64 v66, 0, 1, s[0:1]
	v_cmp_gt_u64_e32 vcc, s[8:9], v[6:7]
	s_waitcnt vmcnt(0) lgkmcnt(0)
	v_cmp_ne_u16_e64 s[0:1], v10, v1
	v_cndmask_b32_e64 v15, 0, 1, s[2:3]
	v_cndmask_b32_e64 v54, 0, 1, s[4:5]
	;; [unrolled: 1-line block ×13, first 2 shown]
	s_and_b64 s[0:1], vcc, s[0:1]
	s_mov_b64 s[2:3], -1
.LBB753_143:
                                        ; implicit-def: $sgpr10
	v_mov_b32_e32 v68, s10
	s_and_saveexec_b64 s[4:5], s[2:3]
	s_cbranch_execnz .LBB753_72
	s_branch .LBB753_73
.LBB753_144:
	s_andn2_saveexec_b64 s[30:31], s[30:31]
	s_cbranch_execz .LBB753_164
.LBB753_145:
	v_sub_u32_e32 v20, v52, v8
	v_mov_b32_e32 v21, 0
	v_lshlrev_b64 v[24:25], 1, v[20:21]
	v_add_co_u32_e32 v24, vcc, v7, v24
	v_addc_co_u32_e32 v25, vcc, v18, v25, vcc
	v_sub_u32_e32 v20, v50, v8
	global_store_short v[24:25], v1, off
	v_lshlrev_b64 v[24:25], 1, v[20:21]
	v_add_co_u32_e32 v24, vcc, v7, v24
	v_addc_co_u32_e32 v25, vcc, v18, v25, vcc
	v_sub_u32_e32 v20, v48, v8
	global_store_short v[24:25], v2, off
	v_lshlrev_b64 v[24:25], 1, v[20:21]
	v_add_co_u32_e32 v24, vcc, v7, v24
	v_addc_co_u32_e32 v25, vcc, v18, v25, vcc
	v_sub_u32_e32 v20, v46, v8
	global_store_short_d16_hi v[24:25], v2, off
	v_lshlrev_b64 v[24:25], 1, v[20:21]
	v_add_co_u32_e32 v24, vcc, v7, v24
	v_addc_co_u32_e32 v25, vcc, v18, v25, vcc
	v_sub_u32_e32 v20, v44, v8
	global_store_short v[24:25], v3, off
	v_lshlrev_b64 v[24:25], 1, v[20:21]
	v_add_co_u32_e32 v24, vcc, v7, v24
	v_addc_co_u32_e32 v25, vcc, v18, v25, vcc
	v_sub_u32_e32 v20, v42, v8
	global_store_short_d16_hi v[24:25], v3, off
	;; [unrolled: 10-line block ×5, first 2 shown]
	v_lshlrev_b64 v[24:25], 1, v[20:21]
	v_add_co_u32_e32 v24, vcc, v7, v24
	v_addc_co_u32_e32 v25, vcc, v18, v25, vcc
	v_sub_u32_e32 v20, v28, v8
	global_store_short v[24:25], v13, off
	v_lshlrev_b64 v[24:25], 1, v[20:21]
	v_add_co_u32_e32 v24, vcc, v7, v24
	v_sub_u32_e32 v20, v26, v8
	v_addc_co_u32_e32 v25, vcc, v18, v25, vcc
	v_lshlrev_b64 v[20:21], 1, v[20:21]
	v_add_co_u32_e32 v20, vcc, v7, v20
	v_addc_co_u32_e32 v21, vcc, v18, v21, vcc
	s_or_b64 s[40:41], s[40:41], exec
	global_store_short_d16_hi v[24:25], v13, off
	global_store_short v[20:21], v14, off
	s_or_b64 exec, exec, s[30:31]
	s_and_b64 exec, exec, s[40:41]
	s_cbranch_execnz .LBB753_165
	s_branch .LBB753_166
.LBB753_146:
                                        ; implicit-def: $sgpr0_sgpr1
                                        ; implicit-def: $vgpr15
                                        ; implicit-def: $vgpr54
                                        ; implicit-def: $vgpr55
                                        ; implicit-def: $vgpr56
                                        ; implicit-def: $vgpr57
                                        ; implicit-def: $vgpr58
                                        ; implicit-def: $vgpr59
                                        ; implicit-def: $vgpr60
                                        ; implicit-def: $vgpr61
                                        ; implicit-def: $vgpr62
                                        ; implicit-def: $vgpr63
                                        ; implicit-def: $vgpr64
                                        ; implicit-def: $vgpr65
                                        ; implicit-def: $vgpr66
	s_cbranch_execz .LBB753_143
; %bb.147:
	v_lshrrev_b32_e32 v9, 16, v14
	v_mad_u32_u24 v6, v0, 15, 14
	v_mov_b32_e32 v7, 0
	v_cmp_gt_u64_e32 vcc, s[8:9], v[6:7]
	v_cmp_ne_u16_e64 s[0:1], v14, v9
	s_and_b64 s[0:1], vcc, s[0:1]
	v_mad_u32_u24 v6, v0, 15, 13
	v_cndmask_b32_e64 v15, 0, 1, s[0:1]
	v_cmp_gt_u64_e32 vcc, s[8:9], v[6:7]
	v_cmp_ne_u16_sdwa s[0:1], v13, v14 src0_sel:WORD_1 src1_sel:DWORD
	s_and_b64 s[0:1], vcc, s[0:1]
	v_mad_u32_u24 v6, v0, 15, 12
	v_cndmask_b32_e64 v54, 0, 1, s[0:1]
	v_cmp_gt_u64_e32 vcc, s[8:9], v[6:7]
	v_cmp_ne_u16_sdwa s[0:1], v13, v13 src0_sel:DWORD src1_sel:WORD_1
	s_and_b64 s[0:1], vcc, s[0:1]
	v_mad_u32_u24 v6, v0, 15, 11
	v_cndmask_b32_e64 v55, 0, 1, s[0:1]
	v_cmp_gt_u64_e32 vcc, s[8:9], v[6:7]
	v_cmp_ne_u16_sdwa s[0:1], v12, v13 src0_sel:WORD_1 src1_sel:DWORD
	s_and_b64 s[0:1], vcc, s[0:1]
	v_mad_u32_u24 v6, v0, 15, 10
	v_cndmask_b32_e64 v56, 0, 1, s[0:1]
	v_cmp_gt_u64_e32 vcc, s[8:9], v[6:7]
	v_cmp_ne_u16_sdwa s[0:1], v12, v12 src0_sel:DWORD src1_sel:WORD_1
	;; [unrolled: 10-line block ×6, first 2 shown]
	s_and_b64 s[0:1], vcc, s[0:1]
	v_mad_u32_u24 v6, v0, 15, 1
	v_cndmask_b32_e64 v65, 0, 1, s[0:1]
	v_cmp_gt_u64_e32 vcc, s[8:9], v[6:7]
	v_cmp_ne_u16_e64 s[0:1], v1, v2
	s_and_b64 s[0:1], vcc, s[0:1]
	s_mov_b32 s10, 1
	v_lshlrev_b32_e32 v8, 1, v0
	v_cndmask_b32_e64 v66, 0, 1, s[0:1]
	v_cmp_ne_u32_e32 vcc, 0, v0
	ds_write_b16 v8, v9
	s_waitcnt lgkmcnt(0)
	s_barrier
	s_waitcnt lgkmcnt(0)
                                        ; implicit-def: $sgpr0_sgpr1
	s_and_saveexec_b64 s[4:5], vcc
	s_cbranch_execz .LBB753_186
; %bb.148:
	v_add_u32_e32 v6, -2, v8
	ds_read_u16 v8, v6
	v_mul_u32_u24_e32 v6, 15, v0
	v_cmp_gt_u64_e32 vcc, s[8:9], v[6:7]
	s_or_b64 s[2:3], s[2:3], exec
	s_waitcnt lgkmcnt(0)
	v_cmp_ne_u16_e64 s[0:1], v8, v1
	s_and_b64 s[0:1], vcc, s[0:1]
	s_and_b64 s[0:1], s[0:1], exec
	s_or_b64 exec, exec, s[4:5]
	v_mov_b32_e32 v68, s10
	s_and_saveexec_b64 s[4:5], s[2:3]
	s_cbranch_execz .LBB753_73
	s_branch .LBB753_72
.LBB753_149:
	s_or_b64 exec, exec, s[40:41]
	s_and_saveexec_b64 s[40:41], s[26:27]
	s_cbranch_execz .LBB753_123
.LBB753_150:
	v_sub_u32_e32 v20, v50, v8
	v_mov_b32_e32 v21, 0
	v_lshlrev_b64 v[20:21], 1, v[20:21]
	v_add_co_u32_e32 v20, vcc, v7, v20
	v_addc_co_u32_e32 v21, vcc, v18, v21, vcc
	global_store_short v[20:21], v2, off
	s_or_b64 exec, exec, s[40:41]
	s_and_saveexec_b64 s[40:41], s[24:25]
	s_cbranch_execnz .LBB753_124
.LBB753_151:
	s_or_b64 exec, exec, s[40:41]
	s_and_saveexec_b64 s[40:41], s[22:23]
	s_cbranch_execz .LBB753_125
.LBB753_152:
	v_sub_u32_e32 v20, v46, v8
	v_mov_b32_e32 v21, 0
	v_lshlrev_b64 v[20:21], 1, v[20:21]
	v_add_co_u32_e32 v20, vcc, v7, v20
	v_addc_co_u32_e32 v21, vcc, v18, v21, vcc
	global_store_short v[20:21], v3, off
	s_or_b64 exec, exec, s[40:41]
	s_and_saveexec_b64 s[40:41], s[20:21]
	s_cbranch_execnz .LBB753_126
.LBB753_153:
	s_or_b64 exec, exec, s[40:41]
	s_and_saveexec_b64 s[40:41], s[18:19]
	s_cbranch_execz .LBB753_127
.LBB753_154:
	v_sub_u32_e32 v20, v42, v8
	v_mov_b32_e32 v21, 0
	v_lshlrev_b64 v[20:21], 1, v[20:21]
	v_add_co_u32_e32 v20, vcc, v7, v20
	v_addc_co_u32_e32 v21, vcc, v18, v21, vcc
	global_store_short v[20:21], v4, off
	s_or_b64 exec, exec, s[40:41]
	s_and_saveexec_b64 s[40:41], s[16:17]
	s_cbranch_execnz .LBB753_128
.LBB753_155:
	s_or_b64 exec, exec, s[40:41]
	s_and_saveexec_b64 s[40:41], s[14:15]
	s_cbranch_execz .LBB753_129
.LBB753_156:
	v_sub_u32_e32 v20, v38, v8
	v_mov_b32_e32 v21, 0
	v_lshlrev_b64 v[20:21], 1, v[20:21]
	v_add_co_u32_e32 v20, vcc, v7, v20
	v_addc_co_u32_e32 v21, vcc, v18, v21, vcc
	global_store_short v[20:21], v5, off
	s_or_b64 exec, exec, s[40:41]
	s_and_saveexec_b64 s[40:41], s[12:13]
	s_cbranch_execnz .LBB753_130
.LBB753_157:
	s_or_b64 exec, exec, s[40:41]
	s_and_saveexec_b64 s[40:41], s[10:11]
	s_cbranch_execz .LBB753_131
.LBB753_158:
	v_sub_u32_e32 v20, v34, v8
	v_mov_b32_e32 v21, 0
	v_lshlrev_b64 v[20:21], 1, v[20:21]
	v_add_co_u32_e32 v20, vcc, v7, v20
	v_addc_co_u32_e32 v21, vcc, v18, v21, vcc
	global_store_short v[20:21], v12, off
	s_or_b64 exec, exec, s[40:41]
	s_and_saveexec_b64 s[40:41], s[8:9]
	s_cbranch_execnz .LBB753_132
.LBB753_159:
	s_or_b64 exec, exec, s[40:41]
	s_and_saveexec_b64 s[40:41], s[6:7]
	s_cbranch_execz .LBB753_133
.LBB753_160:
	v_sub_u32_e32 v20, v30, v8
	v_mov_b32_e32 v21, 0
	v_lshlrev_b64 v[20:21], 1, v[20:21]
	v_add_co_u32_e32 v20, vcc, v7, v20
	v_addc_co_u32_e32 v21, vcc, v18, v21, vcc
	global_store_short v[20:21], v13, off
	s_or_b64 exec, exec, s[40:41]
	s_and_saveexec_b64 s[40:41], s[4:5]
	s_cbranch_execnz .LBB753_134
.LBB753_161:
	s_or_b64 exec, exec, s[40:41]
	s_and_saveexec_b64 s[40:41], s[2:3]
	s_cbranch_execz .LBB753_163
.LBB753_162:
	v_sub_u32_e32 v20, v26, v8
	v_mov_b32_e32 v21, 0
	v_lshlrev_b64 v[20:21], 1, v[20:21]
	v_add_co_u32_e32 v20, vcc, v7, v20
	v_addc_co_u32_e32 v21, vcc, v18, v21, vcc
	global_store_short v[20:21], v14, off
.LBB753_163:
	s_or_b64 exec, exec, s[40:41]
	s_and_b64 s[40:41], s[0:1], exec
	s_andn2_saveexec_b64 s[30:31], s[30:31]
	s_cbranch_execnz .LBB753_145
.LBB753_164:
	s_or_b64 exec, exec, s[30:31]
	s_and_b64 exec, exec, s[40:41]
	s_cbranch_execz .LBB753_166
.LBB753_165:
	v_sub_u32_e32 v20, v22, v8
	v_mov_b32_e32 v21, 0
	v_lshlrev_b64 v[20:21], 1, v[20:21]
	v_add_co_u32_e32 v20, vcc, v7, v20
	v_addc_co_u32_e32 v21, vcc, v18, v21, vcc
	global_store_short_d16_hi v[20:21], v14, off
.LBB753_166:
	s_or_b64 exec, exec, s[38:39]
	s_mov_b64 s[38:39], 0
.LBB753_167:
	s_and_b64 vcc, exec, s[38:39]
	s_cbranch_vccz .LBB753_220
; %bb.168:
	v_cmp_gt_i16_e32 vcc, 2, v10
	s_and_saveexec_b64 s[30:31], vcc
	s_cbranch_execz .LBB753_204
; %bb.169:
	v_cmp_ne_u16_e32 vcc, 1, v10
	s_mov_b64 s[40:41], 0
	s_and_saveexec_b64 s[38:39], vcc
	s_xor_b64 s[38:39], exec, s[38:39]
	s_cbranch_execz .LBB753_184
; %bb.170:
	s_and_saveexec_b64 s[40:41], s[28:29]
	s_cbranch_execz .LBB753_187
; %bb.171:
	v_sub_u32_e32 v10, v52, v8
	v_lshlrev_b32_e32 v10, 1, v10
	ds_write_b16 v10, v1
	s_or_b64 exec, exec, s[40:41]
	s_and_saveexec_b64 s[28:29], s[26:27]
	s_cbranch_execnz .LBB753_188
.LBB753_172:
	s_or_b64 exec, exec, s[28:29]
	s_and_saveexec_b64 s[26:27], s[24:25]
	s_cbranch_execz .LBB753_189
.LBB753_173:
	v_sub_u32_e32 v1, v48, v8
	v_lshlrev_b32_e32 v1, 1, v1
	ds_write_b16_d16_hi v1, v2
	s_or_b64 exec, exec, s[26:27]
	s_and_saveexec_b64 s[24:25], s[22:23]
	s_cbranch_execnz .LBB753_190
.LBB753_174:
	s_or_b64 exec, exec, s[24:25]
	s_and_saveexec_b64 s[22:23], s[20:21]
	s_cbranch_execz .LBB753_191
.LBB753_175:
	v_sub_u32_e32 v1, v44, v8
	v_lshlrev_b32_e32 v1, 1, v1
	ds_write_b16_d16_hi v1, v3
	s_or_b64 exec, exec, s[22:23]
	s_and_saveexec_b64 s[20:21], s[18:19]
	s_cbranch_execnz .LBB753_192
.LBB753_176:
	s_or_b64 exec, exec, s[20:21]
	s_and_saveexec_b64 s[18:19], s[16:17]
	s_cbranch_execz .LBB753_193
.LBB753_177:
	v_sub_u32_e32 v1, v40, v8
	v_lshlrev_b32_e32 v1, 1, v1
	ds_write_b16_d16_hi v1, v4
	s_or_b64 exec, exec, s[18:19]
	s_and_saveexec_b64 s[16:17], s[14:15]
	s_cbranch_execnz .LBB753_194
.LBB753_178:
	s_or_b64 exec, exec, s[16:17]
	s_and_saveexec_b64 s[14:15], s[12:13]
	s_cbranch_execz .LBB753_195
.LBB753_179:
	v_sub_u32_e32 v1, v36, v8
	v_lshlrev_b32_e32 v1, 1, v1
	ds_write_b16_d16_hi v1, v5
	s_or_b64 exec, exec, s[14:15]
	s_and_saveexec_b64 s[12:13], s[10:11]
	s_cbranch_execnz .LBB753_196
.LBB753_180:
	s_or_b64 exec, exec, s[12:13]
	s_and_saveexec_b64 s[10:11], s[8:9]
	s_cbranch_execz .LBB753_197
.LBB753_181:
	v_sub_u32_e32 v1, v32, v8
	v_lshlrev_b32_e32 v1, 1, v1
	ds_write_b16_d16_hi v1, v12
	s_or_b64 exec, exec, s[10:11]
	s_and_saveexec_b64 s[8:9], s[6:7]
	s_cbranch_execnz .LBB753_198
.LBB753_182:
	s_or_b64 exec, exec, s[8:9]
	s_and_saveexec_b64 s[6:7], s[4:5]
	s_cbranch_execz .LBB753_199
.LBB753_183:
	v_sub_u32_e32 v1, v28, v8
	v_lshlrev_b32_e32 v1, 1, v1
	ds_write_b16_d16_hi v1, v13
	s_or_b64 exec, exec, s[6:7]
	s_and_saveexec_b64 s[4:5], s[2:3]
	s_cbranch_execnz .LBB753_200
	s_branch .LBB753_201
.LBB753_184:
	s_andn2_saveexec_b64 s[0:1], s[38:39]
	s_cbranch_execz .LBB753_202
.LBB753_185:
	v_sub_u32_e32 v10, v52, v8
	v_lshlrev_b32_e32 v10, 1, v10
	ds_write_b16 v10, v1
	v_sub_u32_e32 v1, v50, v8
	v_lshlrev_b32_e32 v1, 1, v1
	ds_write_b16 v1, v2
	v_sub_u32_e32 v1, v48, v8
	v_lshlrev_b32_e32 v1, 1, v1
	ds_write_b16_d16_hi v1, v2
	v_sub_u32_e32 v1, v46, v8
	v_lshlrev_b32_e32 v1, 1, v1
	ds_write_b16 v1, v3
	v_sub_u32_e32 v1, v44, v8
	v_lshlrev_b32_e32 v1, 1, v1
	ds_write_b16_d16_hi v1, v3
	;; [unrolled: 6-line block ×6, first 2 shown]
	v_sub_u32_e32 v1, v26, v8
	v_lshlrev_b32_e32 v1, 1, v1
	s_or_b64 s[40:41], s[40:41], exec
	ds_write_b16 v1, v14
	s_or_b64 exec, exec, s[0:1]
	s_and_b64 exec, exec, s[40:41]
	s_cbranch_execnz .LBB753_203
	s_branch .LBB753_204
.LBB753_186:
	s_or_b64 exec, exec, s[4:5]
	v_mov_b32_e32 v68, s10
	s_and_saveexec_b64 s[4:5], s[2:3]
	s_cbranch_execnz .LBB753_72
	s_branch .LBB753_73
.LBB753_187:
	s_or_b64 exec, exec, s[40:41]
	s_and_saveexec_b64 s[28:29], s[26:27]
	s_cbranch_execz .LBB753_172
.LBB753_188:
	v_sub_u32_e32 v1, v50, v8
	v_lshlrev_b32_e32 v1, 1, v1
	ds_write_b16 v1, v2
	s_or_b64 exec, exec, s[28:29]
	s_and_saveexec_b64 s[26:27], s[24:25]
	s_cbranch_execnz .LBB753_173
.LBB753_189:
	s_or_b64 exec, exec, s[26:27]
	s_and_saveexec_b64 s[24:25], s[22:23]
	s_cbranch_execz .LBB753_174
.LBB753_190:
	v_sub_u32_e32 v1, v46, v8
	v_lshlrev_b32_e32 v1, 1, v1
	ds_write_b16 v1, v3
	s_or_b64 exec, exec, s[24:25]
	s_and_saveexec_b64 s[22:23], s[20:21]
	s_cbranch_execnz .LBB753_175
.LBB753_191:
	s_or_b64 exec, exec, s[22:23]
	s_and_saveexec_b64 s[20:21], s[18:19]
	s_cbranch_execz .LBB753_176
.LBB753_192:
	v_sub_u32_e32 v1, v42, v8
	v_lshlrev_b32_e32 v1, 1, v1
	ds_write_b16 v1, v4
	s_or_b64 exec, exec, s[20:21]
	s_and_saveexec_b64 s[18:19], s[16:17]
	s_cbranch_execnz .LBB753_177
.LBB753_193:
	s_or_b64 exec, exec, s[18:19]
	s_and_saveexec_b64 s[16:17], s[14:15]
	s_cbranch_execz .LBB753_178
.LBB753_194:
	v_sub_u32_e32 v1, v38, v8
	v_lshlrev_b32_e32 v1, 1, v1
	ds_write_b16 v1, v5
	s_or_b64 exec, exec, s[16:17]
	s_and_saveexec_b64 s[14:15], s[12:13]
	s_cbranch_execnz .LBB753_179
.LBB753_195:
	s_or_b64 exec, exec, s[14:15]
	s_and_saveexec_b64 s[12:13], s[10:11]
	s_cbranch_execz .LBB753_180
.LBB753_196:
	v_sub_u32_e32 v1, v34, v8
	v_lshlrev_b32_e32 v1, 1, v1
	ds_write_b16 v1, v12
	s_or_b64 exec, exec, s[12:13]
	s_and_saveexec_b64 s[10:11], s[8:9]
	s_cbranch_execnz .LBB753_181
.LBB753_197:
	s_or_b64 exec, exec, s[10:11]
	s_and_saveexec_b64 s[8:9], s[6:7]
	s_cbranch_execz .LBB753_182
.LBB753_198:
	v_sub_u32_e32 v1, v30, v8
	v_lshlrev_b32_e32 v1, 1, v1
	ds_write_b16 v1, v13
	s_or_b64 exec, exec, s[8:9]
	s_and_saveexec_b64 s[6:7], s[4:5]
	s_cbranch_execnz .LBB753_183
.LBB753_199:
	s_or_b64 exec, exec, s[6:7]
	s_and_saveexec_b64 s[4:5], s[2:3]
	s_cbranch_execz .LBB753_201
.LBB753_200:
	v_sub_u32_e32 v1, v26, v8
	v_lshlrev_b32_e32 v1, 1, v1
	ds_write_b16 v1, v14
.LBB753_201:
	s_or_b64 exec, exec, s[4:5]
	s_and_b64 s[40:41], s[0:1], exec
                                        ; implicit-def: $vgpr1
                                        ; implicit-def: $vgpr2
	s_andn2_saveexec_b64 s[0:1], s[38:39]
	s_cbranch_execnz .LBB753_185
.LBB753_202:
	s_or_b64 exec, exec, s[0:1]
	s_and_b64 exec, exec, s[40:41]
	s_cbranch_execz .LBB753_204
.LBB753_203:
	v_sub_u32_e32 v1, v22, v8
	v_lshlrev_b32_e32 v1, 1, v1
	ds_write_b16_d16_hi v1, v14
.LBB753_204:
	s_or_b64 exec, exec, s[30:31]
	v_cmp_lt_u32_e32 vcc, v0, v6
	s_waitcnt lgkmcnt(0)
	s_barrier
	s_and_saveexec_b64 s[2:3], vcc
	s_cbranch_execz .LBB753_219
; %bb.205:
	v_xad_u32 v1, v0, -1, v6
	s_movk_i32 s0, 0x1700
	v_cmp_gt_u32_e64 s[4:5], s0, v1
	s_movk_i32 s0, 0x16ff
	v_cmp_lt_u32_e32 vcc, s0, v1
	v_mov_b32_e32 v2, v0
	s_and_saveexec_b64 s[6:7], vcc
	s_cbranch_execz .LBB753_216
; %bb.206:
	v_sub_u32_e32 v2, v0, v6
	v_or_b32_e32 v2, 0xff, v2
	v_cmp_ge_u32_e32 vcc, v2, v0
	s_mov_b64 s[0:1], -1
	v_mov_b32_e32 v2, v0
	s_and_saveexec_b64 s[8:9], vcc
	s_cbranch_execz .LBB753_215
; %bb.207:
	v_lshrrev_b32_e32 v14, 8, v1
	v_or_b32_e32 v3, 0x300, v0
	v_or_b32_e32 v2, 0x200, v0
	v_add_u32_e32 v4, -3, v14
	v_or_b32_e32 v1, 0x100, v0
	v_lshrrev_b32_e32 v5, 2, v4
	v_pk_mov_b32 v[12:13], v[2:3], v[2:3] op_sel:[0,1]
	v_add_u32_e32 v20, 1, v5
	v_cmp_lt_u32_e32 vcc, 11, v4
	v_mov_b32_e32 v25, 0
	v_lshlrev_b32_e32 v19, 1, v0
	v_pk_mov_b32 v[10:11], v[0:1], v[0:1] op_sel:[0,1]
	s_and_saveexec_b64 s[10:11], vcc
	s_cbranch_execz .LBB753_211
; %bb.208:
	v_pk_mov_b32 v[12:13], v[2:3], v[2:3] op_sel:[0,1]
	v_and_b32_e32 v21, 0x7ffffffc, v20
	s_mov_b32 s14, 0
	s_mov_b64 s[12:13], 0
	v_mov_b32_e32 v5, 0
	v_mov_b32_e32 v24, v19
	v_pk_mov_b32 v[10:11], v[0:1], v[0:1] op_sel:[0,1]
.LBB753_209:                            ; =>This Inner Loop Header: Depth=1
	v_mov_b32_e32 v4, v10
	v_lshlrev_b64 v[86:87], 1, v[4:5]
	v_add_u32_e32 v72, 0x400, v11
	v_mov_b32_e32 v73, v5
	v_add_co_u32_e64 v86, s[0:1], v7, v86
	v_lshlrev_b64 v[72:73], 1, v[72:73]
	v_addc_co_u32_e64 v87, s[0:1], v18, v87, s[0:1]
	v_add_u32_e32 v70, 0x400, v12
	v_mov_b32_e32 v71, v5
	v_add_co_u32_e64 v72, s[0:1], v7, v72
	v_lshlrev_b64 v[70:71], 1, v[70:71]
	v_addc_co_u32_e64 v73, s[0:1], v18, v73, s[0:1]
	v_add_u32_e32 v2, 0x400, v13
	v_mov_b32_e32 v3, v5
	v_add_co_u32_e64 v70, s[0:1], v7, v70
	v_add_u32_e32 v21, -4, v21
	v_mov_b32_e32 v4, v11
	v_lshlrev_b64 v[2:3], 1, v[2:3]
	v_addc_co_u32_e64 v71, s[0:1], v18, v71, s[0:1]
	v_add_u32_e32 v78, 0x800, v11
	v_mov_b32_e32 v79, v5
	s_add_i32 s14, s14, 16
	v_cmp_eq_u32_e32 vcc, 0, v21
	v_lshlrev_b64 v[88:89], 1, v[4:5]
	v_add_co_u32_e64 v2, s[0:1], v7, v2
	v_lshlrev_b64 v[78:79], 1, v[78:79]
	v_mov_b32_e32 v4, v12
	v_addc_co_u32_e64 v3, s[0:1], v18, v3, s[0:1]
	s_or_b64 s[12:13], vcc, s[12:13]
	v_add_co_u32_e32 v88, vcc, v7, v88
	v_add_u32_e32 v76, 0x800, v12
	v_mov_b32_e32 v77, v5
	v_add_co_u32_e64 v78, s[0:1], v7, v78
	v_addc_co_u32_e32 v89, vcc, v18, v89, vcc
	v_lshlrev_b64 v[90:91], 1, v[4:5]
	v_lshlrev_b64 v[76:77], 1, v[76:77]
	v_addc_co_u32_e64 v79, s[0:1], v18, v79, s[0:1]
	v_mov_b32_e32 v4, v13
	v_add_co_u32_e32 v90, vcc, v7, v90
	ds_read_u16 v1, v24
	ds_read_u16 v69, v24 offset:512
	ds_read_u16 v94, v24 offset:1024
	;; [unrolled: 1-line block ×7, first 2 shown]
	v_add_u32_e32 v74, 0x800, v13
	v_mov_b32_e32 v75, v5
	v_add_co_u32_e64 v76, s[0:1], v7, v76
	v_addc_co_u32_e32 v91, vcc, v18, v91, vcc
	v_lshlrev_b64 v[92:93], 1, v[4:5]
	v_lshlrev_b64 v[74:75], 1, v[74:75]
	v_addc_co_u32_e64 v77, s[0:1], v18, v77, s[0:1]
	v_add_u32_e32 v4, 0x400, v10
	v_add_co_u32_e32 v92, vcc, v7, v92
	v_add_u32_e32 v84, 0xc00, v11
	v_mov_b32_e32 v85, v5
	ds_read_u16 v100, v24 offset:4096
	ds_read_u16 v101, v24 offset:4608
	;; [unrolled: 1-line block ×8, first 2 shown]
	v_add_co_u32_e64 v74, s[0:1], v7, v74
	v_addc_co_u32_e32 v93, vcc, v18, v93, vcc
	s_waitcnt lgkmcnt(14)
	global_store_short v[86:87], v1, off
	global_store_short v[88:89], v69, off
	s_waitcnt lgkmcnt(13)
	global_store_short v[90:91], v94, off
	v_lshlrev_b64 v[86:87], 1, v[4:5]
	v_lshlrev_b64 v[84:85], 1, v[84:85]
	v_addc_co_u32_e64 v75, s[0:1], v18, v75, s[0:1]
	v_add_u32_e32 v4, 0x800, v10
	v_add_co_u32_e32 v86, vcc, v7, v86
	v_add_u32_e32 v82, 0xc00, v12
	v_mov_b32_e32 v83, v5
	v_add_co_u32_e64 v84, s[0:1], v7, v84
	v_addc_co_u32_e32 v87, vcc, v18, v87, vcc
	v_lshlrev_b64 v[88:89], 1, v[4:5]
	v_lshlrev_b64 v[82:83], 1, v[82:83]
	v_addc_co_u32_e64 v85, s[0:1], v18, v85, s[0:1]
	s_waitcnt lgkmcnt(12)
	global_store_short v[92:93], v95, off
	v_add_u32_e32 v4, 0xc00, v10
	s_waitcnt lgkmcnt(11)
	global_store_short v[86:87], v96, off
	s_waitcnt lgkmcnt(10)
	global_store_short v[72:73], v97, off
	;; [unrolled: 2-line block ×4, first 2 shown]
	v_add_co_u32_e32 v2, vcc, v7, v88
	v_add_u32_e32 v80, 0xc00, v13
	v_mov_b32_e32 v81, v5
	v_add_co_u32_e64 v82, s[0:1], v7, v82
	v_addc_co_u32_e32 v3, vcc, v18, v89, vcc
	v_lshlrev_b64 v[70:71], 1, v[4:5]
	v_lshlrev_b64 v[80:81], 1, v[80:81]
	v_addc_co_u32_e64 v83, s[0:1], v18, v83, s[0:1]
	s_waitcnt lgkmcnt(7)
	global_store_short v[2:3], v100, off
	s_waitcnt lgkmcnt(6)
	global_store_short v[78:79], v101, off
	;; [unrolled: 2-line block ×4, first 2 shown]
	v_add_co_u32_e32 v2, vcc, v7, v70
	v_add_u32_e32 v24, 0x2000, v24
	v_add_u32_e32 v11, 0x1000, v11
	v_mov_b32_e32 v25, s14
	v_add_co_u32_e64 v80, s[0:1], v7, v80
	v_add_u32_e32 v12, 0x1000, v12
	v_add_u32_e32 v13, 0x1000, v13
	;; [unrolled: 1-line block ×3, first 2 shown]
	v_addc_co_u32_e32 v3, vcc, v18, v71, vcc
	v_addc_co_u32_e64 v81, s[0:1], v18, v81, s[0:1]
	s_waitcnt lgkmcnt(3)
	global_store_short v[2:3], v104, off
	s_waitcnt lgkmcnt(2)
	global_store_short v[84:85], v105, off
	s_waitcnt lgkmcnt(1)
	global_store_short v[82:83], v106, off
	s_waitcnt lgkmcnt(0)
	global_store_short v[80:81], v107, off
	s_andn2_b64 exec, exec, s[12:13]
	s_cbranch_execnz .LBB753_209
; %bb.210:
	s_or_b64 exec, exec, s[12:13]
.LBB753_211:
	s_or_b64 exec, exec, s[10:11]
	v_and_b32_e32 v1, 3, v20
	v_cmp_ne_u32_e32 vcc, 0, v1
	s_and_saveexec_b64 s[10:11], vcc
	s_cbranch_execz .LBB753_214
; %bb.212:
	v_lshl_or_b32 v4, v25, 9, v19
	s_mov_b64 s[12:13], 0
	v_mov_b32_e32 v3, 0
.LBB753_213:                            ; =>This Inner Loop Header: Depth=1
	v_mov_b32_e32 v2, v10
	v_add_u32_e32 v1, -1, v1
	v_lshlrev_b64 v[20:21], 1, v[2:3]
	v_mov_b32_e32 v2, v11
	v_cmp_eq_u32_e32 vcc, 0, v1
	v_lshlrev_b64 v[24:25], 1, v[2:3]
	ds_read_u16 v5, v4
	ds_read_u16 v19, v4 offset:512
	ds_read_u16 v69, v4 offset:1024
	ds_read_u16 v74, v4 offset:1536
	v_mov_b32_e32 v2, v12
	s_or_b64 s[12:13], vcc, s[12:13]
	v_add_co_u32_e32 v24, vcc, v7, v24
	v_addc_co_u32_e32 v25, vcc, v18, v25, vcc
	v_lshlrev_b64 v[70:71], 1, v[2:3]
	v_mov_b32_e32 v2, v13
	v_add_co_u32_e32 v70, vcc, v7, v70
	v_add_co_u32_e64 v20, s[0:1], v7, v20
	v_addc_co_u32_e32 v71, vcc, v18, v71, vcc
	v_lshlrev_b64 v[72:73], 1, v[2:3]
	v_add_u32_e32 v10, 0x400, v10
	v_add_u32_e32 v4, 0x800, v4
	;; [unrolled: 1-line block ×3, first 2 shown]
	v_addc_co_u32_e64 v21, s[0:1], v18, v21, s[0:1]
	v_add_u32_e32 v12, 0x400, v12
	v_add_u32_e32 v13, 0x400, v13
	v_add_co_u32_e32 v72, vcc, v7, v72
	v_addc_co_u32_e32 v73, vcc, v18, v73, vcc
	s_waitcnt lgkmcnt(3)
	global_store_short v[20:21], v5, off
	s_waitcnt lgkmcnt(2)
	global_store_short v[24:25], v19, off
	;; [unrolled: 2-line block ×4, first 2 shown]
	s_andn2_b64 exec, exec, s[12:13]
	s_cbranch_execnz .LBB753_213
.LBB753_214:
	s_or_b64 exec, exec, s[10:11]
	v_add_u32_e32 v1, 1, v14
	v_and_b32_e32 v3, 0x1fffffc, v1
	v_cmp_ne_u32_e32 vcc, v1, v3
	v_lshl_or_b32 v2, v3, 8, v0
	s_orn2_b64 s[0:1], vcc, exec
.LBB753_215:
	s_or_b64 exec, exec, s[8:9]
	s_andn2_b64 s[4:5], s[4:5], exec
	s_and_b64 s[0:1], s[0:1], exec
	s_or_b64 s[4:5], s[4:5], s[0:1]
.LBB753_216:
	s_or_b64 exec, exec, s[6:7]
	s_and_b64 exec, exec, s[4:5]
	s_cbranch_execz .LBB753_219
; %bb.217:
	v_lshlrev_b32_e32 v1, 1, v2
	s_mov_b64 s[0:1], 0
	v_mov_b32_e32 v3, 0
.LBB753_218:                            ; =>This Inner Loop Header: Depth=1
	v_lshlrev_b64 v[4:5], 1, v[2:3]
	ds_read_u16 v10, v1
	v_add_co_u32_e32 v4, vcc, v7, v4
	v_add_u32_e32 v2, 0x100, v2
	v_addc_co_u32_e32 v5, vcc, v18, v5, vcc
	v_cmp_ge_u32_e32 vcc, v2, v6
	v_add_u32_e32 v1, 0x200, v1
	s_or_b64 s[0:1], vcc, s[0:1]
	s_waitcnt lgkmcnt(0)
	global_store_short v[4:5], v10, off
	s_andn2_b64 exec, exec, s[0:1]
	s_cbranch_execnz .LBB753_218
.LBB753_219:
	s_or_b64 exec, exec, s[2:3]
.LBB753_220:
	s_cmpk_lg_i32 s33, 0xf00
	s_cselect_b64 s[0:1], -1, 0
	v_cndmask_b32_e64 v1, 0, 1, s[36:37]
	s_and_b64 s[0:1], s[34:35], s[0:1]
	v_cmp_eq_u32_e32 vcc, 0, v0
	v_sub_u32_e32 v3, v6, v1
	v_cndmask_b32_e64 v2, 0, 1, s[0:1]
	s_and_b64 s[0:1], vcc, s[36:37]
	v_add_u32_e32 v7, v3, v2
	v_cndmask_b32_e64 v3, v68, 0, s[0:1]
	s_mul_hi_u32 s0, s33, 0x88888889
	s_lshr_b32 s0, s0, 3
	v_mad_i32_i24 v4, v0, -15, s33
	v_cmp_eq_u32_e32 vcc, s0, v0
	v_cmp_ne_u32_e64 s[0:1], 0, v4
	v_cndmask_b32_e64 v5, 1, v3, s[0:1]
	v_cmp_ne_u32_e64 s[0:1], 1, v4
	v_cndmask_b32_e64 v10, 1, v66, s[0:1]
	;; [unrolled: 2-line block ×15, first 2 shown]
	s_and_b64 vcc, s[34:35], vcc
	v_cndmask_b32_e32 v15, v15, v4, vcc
	v_cndmask_b32_e32 v20, v59, v20, vcc
	;; [unrolled: 1-line block ×3, first 2 shown]
	v_lshlrev_b64 v[4:5], 2, v[16:17]
	v_cndmask_b32_e32 v54, v54, v69, vcc
	v_cndmask_b32_e32 v55, v55, v68, vcc
	;; [unrolled: 1-line block ×12, first 2 shown]
	v_mov_b32_e32 v3, s53
	v_add_co_u32_e32 v10, vcc, s52, v4
	v_addc_co_u32_e32 v3, vcc, v3, v5, vcc
	v_lshlrev_b64 v[4:5], 2, v[8:9]
	v_add_co_u32_e32 v9, vcc, v10, v4
	v_addc_co_u32_e32 v10, vcc, v3, v5, vcc
	v_lshlrev_b32_e32 v3, 2, v1
	v_add_co_u32_e32 v3, vcc, v3, v9
	v_addc_co_u32_e32 v4, vcc, 0, v10, vcc
	v_add_co_u32_e32 v11, vcc, -4, v3
	v_addc_co_u32_e32 v12, vcc, -1, v4, vcc
	v_cmp_eq_u32_e32 vcc, 0, v59
	v_cndmask_b32_e64 v4, 1, 2, vcc
	v_cmp_eq_u32_e32 vcc, 0, v58
	v_cndmask_b32_e64 v5, 1, 2, vcc
	v_cmp_eq_u32_e32 vcc, 0, v57
	v_and_b32_e32 v4, v5, v4
	v_cndmask_b32_e64 v5, 1, 2, vcc
	v_cmp_eq_u32_e32 vcc, 0, v56
	v_and_b32_e32 v4, v4, v5
	;; [unrolled: 3-line block ×13, first 2 shown]
	v_cndmask_b32_e64 v5, 1, 2, vcc
	s_movk_i32 s30, 0x100
	v_and_b32_e32 v4, v4, v5
	v_cmp_gt_u32_e32 vcc, s30, v7
	v_add_u32_e32 v3, v8, v1
	v_cmp_ne_u32_e64 s[28:29], 0, v59
	v_cmp_ne_u32_e64 s[26:27], 0, v58
	;; [unrolled: 1-line block ×15, first 2 shown]
	s_mov_b64 s[36:37], -1
	v_cmp_gt_i16_e64 s[30:31], 2, v4
	s_barrier
	s_cbranch_vccz .LBB753_257
; %bb.221:
	s_and_saveexec_b64 s[36:37], s[30:31]
	s_cbranch_execz .LBB753_256
; %bb.222:
	v_cmp_ne_u16_e32 vcc, 1, v4
	s_mov_b64 s[38:39], 0
	s_and_saveexec_b64 s[30:31], vcc
	s_xor_b64 s[30:31], exec, s[30:31]
	s_cbranch_execz .LBB753_237
; %bb.223:
	s_and_saveexec_b64 s[38:39], s[28:29]
	s_cbranch_execz .LBB753_239
; %bb.224:
	v_sub_u32_e32 v14, v52, v3
	v_mov_b32_e32 v15, 0
	v_lshlrev_b64 v[14:15], 2, v[14:15]
	v_add_co_u32_e32 v14, vcc, v11, v14
	v_addc_co_u32_e32 v15, vcc, v12, v15, vcc
	global_store_dword v[14:15], v53, off
	s_or_b64 exec, exec, s[38:39]
	s_and_saveexec_b64 s[38:39], s[26:27]
	s_cbranch_execnz .LBB753_240
.LBB753_225:
	s_or_b64 exec, exec, s[38:39]
	s_and_saveexec_b64 s[38:39], s[24:25]
	s_cbranch_execz .LBB753_241
.LBB753_226:
	v_sub_u32_e32 v14, v48, v3
	v_mov_b32_e32 v15, 0
	v_lshlrev_b64 v[14:15], 2, v[14:15]
	v_add_co_u32_e32 v14, vcc, v11, v14
	v_addc_co_u32_e32 v15, vcc, v12, v15, vcc
	global_store_dword v[14:15], v49, off
	s_or_b64 exec, exec, s[38:39]
	s_and_saveexec_b64 s[38:39], s[22:23]
	s_cbranch_execnz .LBB753_242
.LBB753_227:
	s_or_b64 exec, exec, s[38:39]
	s_and_saveexec_b64 s[38:39], s[20:21]
	s_cbranch_execz .LBB753_243
.LBB753_228:
	v_sub_u32_e32 v14, v44, v3
	v_mov_b32_e32 v15, 0
	v_lshlrev_b64 v[14:15], 2, v[14:15]
	v_add_co_u32_e32 v14, vcc, v11, v14
	v_addc_co_u32_e32 v15, vcc, v12, v15, vcc
	global_store_dword v[14:15], v45, off
	s_or_b64 exec, exec, s[38:39]
	s_and_saveexec_b64 s[38:39], s[18:19]
	s_cbranch_execnz .LBB753_244
.LBB753_229:
	s_or_b64 exec, exec, s[38:39]
	s_and_saveexec_b64 s[38:39], s[16:17]
	s_cbranch_execz .LBB753_245
.LBB753_230:
	v_sub_u32_e32 v14, v40, v3
	v_mov_b32_e32 v15, 0
	v_lshlrev_b64 v[14:15], 2, v[14:15]
	v_add_co_u32_e32 v14, vcc, v11, v14
	v_addc_co_u32_e32 v15, vcc, v12, v15, vcc
	global_store_dword v[14:15], v41, off
	s_or_b64 exec, exec, s[38:39]
	s_and_saveexec_b64 s[38:39], s[14:15]
	s_cbranch_execnz .LBB753_246
.LBB753_231:
	s_or_b64 exec, exec, s[38:39]
	s_and_saveexec_b64 s[38:39], s[12:13]
	s_cbranch_execz .LBB753_247
.LBB753_232:
	v_sub_u32_e32 v14, v36, v3
	v_mov_b32_e32 v15, 0
	v_lshlrev_b64 v[14:15], 2, v[14:15]
	v_add_co_u32_e32 v14, vcc, v11, v14
	v_addc_co_u32_e32 v15, vcc, v12, v15, vcc
	global_store_dword v[14:15], v37, off
	s_or_b64 exec, exec, s[38:39]
	s_and_saveexec_b64 s[38:39], s[10:11]
	s_cbranch_execnz .LBB753_248
.LBB753_233:
	s_or_b64 exec, exec, s[38:39]
	s_and_saveexec_b64 s[38:39], s[8:9]
	s_cbranch_execz .LBB753_249
.LBB753_234:
	v_sub_u32_e32 v14, v32, v3
	v_mov_b32_e32 v15, 0
	v_lshlrev_b64 v[14:15], 2, v[14:15]
	v_add_co_u32_e32 v14, vcc, v11, v14
	v_addc_co_u32_e32 v15, vcc, v12, v15, vcc
	global_store_dword v[14:15], v33, off
	s_or_b64 exec, exec, s[38:39]
	s_and_saveexec_b64 s[38:39], s[6:7]
	s_cbranch_execnz .LBB753_250
.LBB753_235:
	s_or_b64 exec, exec, s[38:39]
	s_and_saveexec_b64 s[38:39], s[4:5]
	s_cbranch_execz .LBB753_251
.LBB753_236:
	v_sub_u32_e32 v14, v28, v3
	v_mov_b32_e32 v15, 0
	v_lshlrev_b64 v[14:15], 2, v[14:15]
	v_add_co_u32_e32 v14, vcc, v11, v14
	v_addc_co_u32_e32 v15, vcc, v12, v15, vcc
	global_store_dword v[14:15], v29, off
	s_or_b64 exec, exec, s[38:39]
	s_and_saveexec_b64 s[38:39], s[2:3]
	s_cbranch_execnz .LBB753_252
	s_branch .LBB753_253
.LBB753_237:
	s_andn2_saveexec_b64 s[30:31], s[30:31]
	s_cbranch_execz .LBB753_254
.LBB753_238:
	v_sub_u32_e32 v14, v52, v3
	v_mov_b32_e32 v15, 0
	v_lshlrev_b64 v[18:19], 2, v[14:15]
	v_add_co_u32_e32 v18, vcc, v11, v18
	v_addc_co_u32_e32 v19, vcc, v12, v19, vcc
	v_sub_u32_e32 v14, v50, v3
	global_store_dword v[18:19], v53, off
	v_lshlrev_b64 v[18:19], 2, v[14:15]
	v_add_co_u32_e32 v18, vcc, v11, v18
	v_addc_co_u32_e32 v19, vcc, v12, v19, vcc
	v_sub_u32_e32 v14, v48, v3
	global_store_dword v[18:19], v51, off
	;; [unrolled: 5-line block ×12, first 2 shown]
	v_lshlrev_b64 v[18:19], 2, v[14:15]
	v_add_co_u32_e32 v18, vcc, v11, v18
	v_sub_u32_e32 v14, v26, v3
	v_addc_co_u32_e32 v19, vcc, v12, v19, vcc
	v_lshlrev_b64 v[14:15], 2, v[14:15]
	v_add_co_u32_e32 v14, vcc, v11, v14
	v_addc_co_u32_e32 v15, vcc, v12, v15, vcc
	s_or_b64 s[38:39], s[38:39], exec
	global_store_dword v[18:19], v29, off
	global_store_dword v[14:15], v27, off
	s_or_b64 exec, exec, s[30:31]
	s_and_b64 exec, exec, s[38:39]
	s_cbranch_execnz .LBB753_255
	s_branch .LBB753_256
.LBB753_239:
	s_or_b64 exec, exec, s[38:39]
	s_and_saveexec_b64 s[38:39], s[26:27]
	s_cbranch_execz .LBB753_225
.LBB753_240:
	v_sub_u32_e32 v14, v50, v3
	v_mov_b32_e32 v15, 0
	v_lshlrev_b64 v[14:15], 2, v[14:15]
	v_add_co_u32_e32 v14, vcc, v11, v14
	v_addc_co_u32_e32 v15, vcc, v12, v15, vcc
	global_store_dword v[14:15], v51, off
	s_or_b64 exec, exec, s[38:39]
	s_and_saveexec_b64 s[38:39], s[24:25]
	s_cbranch_execnz .LBB753_226
.LBB753_241:
	s_or_b64 exec, exec, s[38:39]
	s_and_saveexec_b64 s[38:39], s[22:23]
	s_cbranch_execz .LBB753_227
.LBB753_242:
	v_sub_u32_e32 v14, v46, v3
	v_mov_b32_e32 v15, 0
	v_lshlrev_b64 v[14:15], 2, v[14:15]
	v_add_co_u32_e32 v14, vcc, v11, v14
	v_addc_co_u32_e32 v15, vcc, v12, v15, vcc
	global_store_dword v[14:15], v47, off
	s_or_b64 exec, exec, s[38:39]
	s_and_saveexec_b64 s[38:39], s[20:21]
	s_cbranch_execnz .LBB753_228
.LBB753_243:
	s_or_b64 exec, exec, s[38:39]
	s_and_saveexec_b64 s[38:39], s[18:19]
	s_cbranch_execz .LBB753_229
.LBB753_244:
	v_sub_u32_e32 v14, v42, v3
	v_mov_b32_e32 v15, 0
	v_lshlrev_b64 v[14:15], 2, v[14:15]
	v_add_co_u32_e32 v14, vcc, v11, v14
	v_addc_co_u32_e32 v15, vcc, v12, v15, vcc
	global_store_dword v[14:15], v43, off
	s_or_b64 exec, exec, s[38:39]
	s_and_saveexec_b64 s[38:39], s[16:17]
	s_cbranch_execnz .LBB753_230
.LBB753_245:
	s_or_b64 exec, exec, s[38:39]
	s_and_saveexec_b64 s[38:39], s[14:15]
	s_cbranch_execz .LBB753_231
.LBB753_246:
	v_sub_u32_e32 v14, v38, v3
	v_mov_b32_e32 v15, 0
	v_lshlrev_b64 v[14:15], 2, v[14:15]
	v_add_co_u32_e32 v14, vcc, v11, v14
	v_addc_co_u32_e32 v15, vcc, v12, v15, vcc
	global_store_dword v[14:15], v39, off
	s_or_b64 exec, exec, s[38:39]
	s_and_saveexec_b64 s[38:39], s[12:13]
	s_cbranch_execnz .LBB753_232
.LBB753_247:
	s_or_b64 exec, exec, s[38:39]
	s_and_saveexec_b64 s[38:39], s[10:11]
	s_cbranch_execz .LBB753_233
.LBB753_248:
	v_sub_u32_e32 v14, v34, v3
	v_mov_b32_e32 v15, 0
	v_lshlrev_b64 v[14:15], 2, v[14:15]
	v_add_co_u32_e32 v14, vcc, v11, v14
	v_addc_co_u32_e32 v15, vcc, v12, v15, vcc
	global_store_dword v[14:15], v35, off
	s_or_b64 exec, exec, s[38:39]
	s_and_saveexec_b64 s[38:39], s[8:9]
	s_cbranch_execnz .LBB753_234
.LBB753_249:
	s_or_b64 exec, exec, s[38:39]
	s_and_saveexec_b64 s[38:39], s[6:7]
	s_cbranch_execz .LBB753_235
.LBB753_250:
	v_sub_u32_e32 v14, v30, v3
	v_mov_b32_e32 v15, 0
	v_lshlrev_b64 v[14:15], 2, v[14:15]
	v_add_co_u32_e32 v14, vcc, v11, v14
	v_addc_co_u32_e32 v15, vcc, v12, v15, vcc
	global_store_dword v[14:15], v31, off
	s_or_b64 exec, exec, s[38:39]
	s_and_saveexec_b64 s[38:39], s[4:5]
	s_cbranch_execnz .LBB753_236
.LBB753_251:
	s_or_b64 exec, exec, s[38:39]
	s_and_saveexec_b64 s[38:39], s[2:3]
	s_cbranch_execz .LBB753_253
.LBB753_252:
	v_sub_u32_e32 v14, v26, v3
	v_mov_b32_e32 v15, 0
	v_lshlrev_b64 v[14:15], 2, v[14:15]
	v_add_co_u32_e32 v14, vcc, v11, v14
	v_addc_co_u32_e32 v15, vcc, v12, v15, vcc
	global_store_dword v[14:15], v27, off
.LBB753_253:
	s_or_b64 exec, exec, s[38:39]
	s_and_b64 s[38:39], s[0:1], exec
	s_andn2_saveexec_b64 s[30:31], s[30:31]
	s_cbranch_execnz .LBB753_238
.LBB753_254:
	s_or_b64 exec, exec, s[30:31]
	s_and_b64 exec, exec, s[38:39]
	s_cbranch_execz .LBB753_256
.LBB753_255:
	v_sub_u32_e32 v14, v22, v3
	v_mov_b32_e32 v15, 0
	v_lshlrev_b64 v[14:15], 2, v[14:15]
	v_add_co_u32_e32 v14, vcc, v11, v14
	v_addc_co_u32_e32 v15, vcc, v12, v15, vcc
	global_store_dword v[14:15], v23, off
.LBB753_256:
	s_or_b64 exec, exec, s[36:37]
	s_mov_b64 s[36:37], 0
.LBB753_257:
	s_and_b64 vcc, exec, s[36:37]
	s_cbranch_vccz .LBB753_309
; %bb.258:
	v_cmp_gt_i16_e32 vcc, 2, v4
	s_and_saveexec_b64 s[30:31], vcc
	s_cbranch_execz .LBB753_293
; %bb.259:
	v_cmp_ne_u16_e32 vcc, 1, v4
	s_mov_b64 s[38:39], 0
	s_and_saveexec_b64 s[36:37], vcc
	s_xor_b64 s[36:37], exec, s[36:37]
	s_cbranch_execz .LBB753_274
; %bb.260:
	s_and_saveexec_b64 s[38:39], s[28:29]
	s_cbranch_execz .LBB753_276
; %bb.261:
	v_sub_u32_e32 v4, v52, v3
	v_lshlrev_b32_e32 v4, 2, v4
	ds_write_b32 v4, v53
	s_or_b64 exec, exec, s[38:39]
	s_and_saveexec_b64 s[28:29], s[26:27]
	s_cbranch_execnz .LBB753_277
.LBB753_262:
	s_or_b64 exec, exec, s[28:29]
	s_and_saveexec_b64 s[26:27], s[24:25]
	s_cbranch_execz .LBB753_278
.LBB753_263:
	v_sub_u32_e32 v4, v48, v3
	v_lshlrev_b32_e32 v4, 2, v4
	ds_write_b32 v4, v49
	s_or_b64 exec, exec, s[26:27]
	s_and_saveexec_b64 s[24:25], s[22:23]
	s_cbranch_execnz .LBB753_279
.LBB753_264:
	s_or_b64 exec, exec, s[24:25]
	s_and_saveexec_b64 s[22:23], s[20:21]
	s_cbranch_execz .LBB753_280
.LBB753_265:
	v_sub_u32_e32 v4, v44, v3
	v_lshlrev_b32_e32 v4, 2, v4
	ds_write_b32 v4, v45
	s_or_b64 exec, exec, s[22:23]
	s_and_saveexec_b64 s[20:21], s[18:19]
	s_cbranch_execnz .LBB753_281
.LBB753_266:
	s_or_b64 exec, exec, s[20:21]
	s_and_saveexec_b64 s[18:19], s[16:17]
	s_cbranch_execz .LBB753_282
.LBB753_267:
	v_sub_u32_e32 v4, v40, v3
	v_lshlrev_b32_e32 v4, 2, v4
	ds_write_b32 v4, v41
	s_or_b64 exec, exec, s[18:19]
	s_and_saveexec_b64 s[16:17], s[14:15]
	s_cbranch_execnz .LBB753_283
.LBB753_268:
	s_or_b64 exec, exec, s[16:17]
	s_and_saveexec_b64 s[14:15], s[12:13]
	s_cbranch_execz .LBB753_284
.LBB753_269:
	v_sub_u32_e32 v4, v36, v3
	v_lshlrev_b32_e32 v4, 2, v4
	ds_write_b32 v4, v37
	s_or_b64 exec, exec, s[14:15]
	s_and_saveexec_b64 s[12:13], s[10:11]
	s_cbranch_execnz .LBB753_285
.LBB753_270:
	s_or_b64 exec, exec, s[12:13]
	s_and_saveexec_b64 s[10:11], s[8:9]
	s_cbranch_execz .LBB753_286
.LBB753_271:
	v_sub_u32_e32 v4, v32, v3
	v_lshlrev_b32_e32 v4, 2, v4
	ds_write_b32 v4, v33
	s_or_b64 exec, exec, s[10:11]
	s_and_saveexec_b64 s[8:9], s[6:7]
	s_cbranch_execnz .LBB753_287
.LBB753_272:
	s_or_b64 exec, exec, s[8:9]
	s_and_saveexec_b64 s[6:7], s[4:5]
	s_cbranch_execz .LBB753_288
.LBB753_273:
	v_sub_u32_e32 v4, v28, v3
	v_lshlrev_b32_e32 v4, 2, v4
	ds_write_b32 v4, v29
	s_or_b64 exec, exec, s[6:7]
	s_and_saveexec_b64 s[4:5], s[2:3]
	s_cbranch_execnz .LBB753_289
	s_branch .LBB753_290
.LBB753_274:
	s_andn2_saveexec_b64 s[0:1], s[36:37]
	s_cbranch_execz .LBB753_291
.LBB753_275:
	v_sub_u32_e32 v4, v52, v3
	v_lshlrev_b32_e32 v4, 2, v4
	ds_write_b32 v4, v53
	v_sub_u32_e32 v4, v50, v3
	v_lshlrev_b32_e32 v4, 2, v4
	ds_write_b32 v4, v51
	;; [unrolled: 3-line block ×13, first 2 shown]
	v_sub_u32_e32 v4, v26, v3
	v_lshlrev_b32_e32 v4, 2, v4
	s_or_b64 s[38:39], s[38:39], exec
	ds_write_b32 v4, v27
	s_or_b64 exec, exec, s[0:1]
	s_and_b64 exec, exec, s[38:39]
	s_cbranch_execnz .LBB753_292
	s_branch .LBB753_293
.LBB753_276:
	s_or_b64 exec, exec, s[38:39]
	s_and_saveexec_b64 s[28:29], s[26:27]
	s_cbranch_execz .LBB753_262
.LBB753_277:
	v_sub_u32_e32 v4, v50, v3
	v_lshlrev_b32_e32 v4, 2, v4
	ds_write_b32 v4, v51
	s_or_b64 exec, exec, s[28:29]
	s_and_saveexec_b64 s[26:27], s[24:25]
	s_cbranch_execnz .LBB753_263
.LBB753_278:
	s_or_b64 exec, exec, s[26:27]
	s_and_saveexec_b64 s[24:25], s[22:23]
	s_cbranch_execz .LBB753_264
.LBB753_279:
	v_sub_u32_e32 v4, v46, v3
	v_lshlrev_b32_e32 v4, 2, v4
	ds_write_b32 v4, v47
	s_or_b64 exec, exec, s[24:25]
	s_and_saveexec_b64 s[22:23], s[20:21]
	s_cbranch_execnz .LBB753_265
.LBB753_280:
	s_or_b64 exec, exec, s[22:23]
	s_and_saveexec_b64 s[20:21], s[18:19]
	s_cbranch_execz .LBB753_266
.LBB753_281:
	v_sub_u32_e32 v4, v42, v3
	v_lshlrev_b32_e32 v4, 2, v4
	ds_write_b32 v4, v43
	s_or_b64 exec, exec, s[20:21]
	s_and_saveexec_b64 s[18:19], s[16:17]
	s_cbranch_execnz .LBB753_267
.LBB753_282:
	s_or_b64 exec, exec, s[18:19]
	s_and_saveexec_b64 s[16:17], s[14:15]
	s_cbranch_execz .LBB753_268
.LBB753_283:
	v_sub_u32_e32 v4, v38, v3
	v_lshlrev_b32_e32 v4, 2, v4
	ds_write_b32 v4, v39
	s_or_b64 exec, exec, s[16:17]
	s_and_saveexec_b64 s[14:15], s[12:13]
	s_cbranch_execnz .LBB753_269
.LBB753_284:
	s_or_b64 exec, exec, s[14:15]
	s_and_saveexec_b64 s[12:13], s[10:11]
	s_cbranch_execz .LBB753_270
.LBB753_285:
	v_sub_u32_e32 v4, v34, v3
	v_lshlrev_b32_e32 v4, 2, v4
	ds_write_b32 v4, v35
	s_or_b64 exec, exec, s[12:13]
	s_and_saveexec_b64 s[10:11], s[8:9]
	s_cbranch_execnz .LBB753_271
.LBB753_286:
	s_or_b64 exec, exec, s[10:11]
	s_and_saveexec_b64 s[8:9], s[6:7]
	s_cbranch_execz .LBB753_272
.LBB753_287:
	v_sub_u32_e32 v4, v30, v3
	v_lshlrev_b32_e32 v4, 2, v4
	ds_write_b32 v4, v31
	s_or_b64 exec, exec, s[8:9]
	s_and_saveexec_b64 s[6:7], s[4:5]
	s_cbranch_execnz .LBB753_273
.LBB753_288:
	s_or_b64 exec, exec, s[6:7]
	s_and_saveexec_b64 s[4:5], s[2:3]
	s_cbranch_execz .LBB753_290
.LBB753_289:
	v_sub_u32_e32 v4, v26, v3
	v_lshlrev_b32_e32 v4, 2, v4
	ds_write_b32 v4, v27
.LBB753_290:
	s_or_b64 exec, exec, s[4:5]
	s_and_b64 s[38:39], s[0:1], exec
                                        ; implicit-def: $vgpr52_vgpr53
                                        ; implicit-def: $vgpr50_vgpr51
                                        ; implicit-def: $vgpr48_vgpr49
                                        ; implicit-def: $vgpr46_vgpr47
                                        ; implicit-def: $vgpr44_vgpr45
                                        ; implicit-def: $vgpr42_vgpr43
                                        ; implicit-def: $vgpr40_vgpr41
                                        ; implicit-def: $vgpr38_vgpr39
                                        ; implicit-def: $vgpr36_vgpr37
                                        ; implicit-def: $vgpr34_vgpr35
                                        ; implicit-def: $vgpr32_vgpr33
                                        ; implicit-def: $vgpr30_vgpr31
                                        ; implicit-def: $vgpr28_vgpr29
                                        ; implicit-def: $vgpr26_vgpr27
	s_andn2_saveexec_b64 s[0:1], s[36:37]
	s_cbranch_execnz .LBB753_275
.LBB753_291:
	s_or_b64 exec, exec, s[0:1]
	s_and_b64 exec, exec, s[38:39]
	s_cbranch_execz .LBB753_293
.LBB753_292:
	v_sub_u32_e32 v3, v22, v3
	v_lshlrev_b32_e32 v3, 2, v3
	ds_write_b32 v3, v23
.LBB753_293:
	s_or_b64 exec, exec, s[30:31]
	v_cmp_lt_u32_e32 vcc, v0, v7
	s_waitcnt lgkmcnt(0)
	s_barrier
	s_and_saveexec_b64 s[2:3], vcc
	s_cbranch_execz .LBB753_308
; %bb.294:
	v_add_u32_e32 v4, v6, v2
	v_xad_u32 v2, v0, -1, v4
	v_sub_u32_e32 v3, v2, v1
	s_movk_i32 s0, 0x1900
	v_cmp_gt_u32_e64 s[4:5], s0, v3
	s_movk_i32 s0, 0x18ff
	v_cmp_lt_u32_e32 vcc, s0, v3
	v_mov_b32_e32 v2, v0
	s_and_saveexec_b64 s[6:7], vcc
	s_cbranch_execz .LBB753_305
; %bb.295:
	v_sub_u32_e32 v2, v0, v4
	v_add_u32_e32 v1, v2, v1
	v_or_b32_e32 v1, 0xff, v1
	v_cmp_ge_u32_e32 vcc, v1, v0
	s_mov_b64 s[0:1], -1
	v_mov_b32_e32 v2, v0
	s_and_saveexec_b64 s[8:9], vcc
	s_cbranch_execz .LBB753_304
; %bb.296:
	v_lshrrev_b32_e32 v13, 8, v3
	v_add_u32_e32 v2, -1, v13
	v_or_b32_e32 v1, 0x100, v0
	v_lshrrev_b32_e32 v3, 1, v2
	v_add_u32_e32 v15, 1, v3
	v_cmp_lt_u32_e32 vcc, 13, v2
	v_mov_b32_e32 v20, 0
	v_lshlrev_b32_e32 v14, 2, v0
	v_pk_mov_b32 v[2:3], v[0:1], v[0:1] op_sel:[0,1]
	s_and_saveexec_b64 s[10:11], vcc
	s_cbranch_execz .LBB753_300
; %bb.297:
	v_and_b32_e32 v18, -8, v15
	s_mov_b32 s14, 0
	s_mov_b64 s[12:13], 0
	v_mov_b32_e32 v5, 0
	v_mov_b32_e32 v19, v14
	v_pk_mov_b32 v[2:3], v[0:1], v[0:1] op_sel:[0,1]
.LBB753_298:                            ; =>This Inner Loop Header: Depth=1
	v_mov_b32_e32 v4, v2
	v_add_u32_e32 v18, -8, v18
	v_lshlrev_b64 v[50:51], 2, v[4:5]
	v_mov_b32_e32 v4, v3
	ds_read2st64_b32 v[22:23], v19 offset1:4
	s_add_i32 s14, s14, 16
	v_cmp_eq_u32_e32 vcc, 0, v18
	v_lshlrev_b64 v[54:55], 2, v[4:5]
	v_add_u32_e32 v4, 0x200, v2
	s_or_b64 s[12:13], vcc, s[12:13]
	v_add_co_u32_e32 v54, vcc, v11, v54
	v_add_u32_e32 v20, 0x200, v3
	v_mov_b32_e32 v21, v5
	ds_read2st64_b32 v[24:25], v19 offset0:8 offset1:12
	ds_read2st64_b32 v[28:29], v19 offset0:16 offset1:20
	v_add_co_u32_e64 v50, s[0:1], v11, v50
	v_addc_co_u32_e32 v55, vcc, v12, v55, vcc
	v_lshlrev_b64 v[56:57], 2, v[4:5]
	v_lshlrev_b64 v[52:53], 2, v[20:21]
	v_addc_co_u32_e64 v51, s[0:1], v12, v51, s[0:1]
	v_add_u32_e32 v4, 0x400, v2
	v_add_co_u32_e32 v56, vcc, v11, v56
	v_add_u32_e32 v26, 0x400, v3
	v_mov_b32_e32 v27, v5
	ds_read2st64_b32 v[32:33], v19 offset0:24 offset1:28
	v_add_co_u32_e64 v52, s[0:1], v11, v52
	v_addc_co_u32_e32 v57, vcc, v12, v57, vcc
	v_lshlrev_b64 v[58:59], 2, v[4:5]
	ds_read2st64_b32 v[36:37], v19 offset0:32 offset1:36
	ds_read2st64_b32 v[40:41], v19 offset0:40 offset1:44
	;; [unrolled: 1-line block ×4, first 2 shown]
	v_lshlrev_b64 v[26:27], 2, v[26:27]
	v_addc_co_u32_e64 v53, s[0:1], v12, v53, s[0:1]
	v_add_u32_e32 v4, 0x600, v2
	s_waitcnt lgkmcnt(7)
	global_store_dword v[50:51], v22, off
	global_store_dword v[54:55], v23, off
	s_waitcnt lgkmcnt(6)
	global_store_dword v[56:57], v24, off
	global_store_dword v[52:53], v25, off
	v_add_co_u32_e32 v22, vcc, v11, v58
	v_add_u32_e32 v30, 0x600, v3
	v_mov_b32_e32 v31, v5
	v_add_co_u32_e64 v26, s[0:1], v11, v26
	v_addc_co_u32_e32 v23, vcc, v12, v59, vcc
	v_lshlrev_b64 v[24:25], 2, v[4:5]
	v_lshlrev_b64 v[30:31], 2, v[30:31]
	v_addc_co_u32_e64 v27, s[0:1], v12, v27, s[0:1]
	v_add_u32_e32 v4, 0x800, v2
	s_waitcnt lgkmcnt(5)
	global_store_dword v[22:23], v28, off
	global_store_dword v[26:27], v29, off
	v_add_co_u32_e32 v22, vcc, v11, v24
	v_add_u32_e32 v34, 0x800, v3
	v_mov_b32_e32 v35, v5
	v_add_co_u32_e64 v30, s[0:1], v11, v30
	v_addc_co_u32_e32 v23, vcc, v12, v25, vcc
	v_lshlrev_b64 v[24:25], 2, v[4:5]
	v_lshlrev_b64 v[34:35], 2, v[34:35]
	v_addc_co_u32_e64 v31, s[0:1], v12, v31, s[0:1]
	v_add_u32_e32 v4, 0xa00, v2
	;; [unrolled: 12-line block ×4, first 2 shown]
	s_waitcnt lgkmcnt(2)
	global_store_dword v[22:23], v40, off
	global_store_dword v[38:39], v41, off
	v_add_co_u32_e32 v22, vcc, v11, v24
	v_add_u32_e32 v46, 0xe00, v3
	v_mov_b32_e32 v47, v5
	v_add_co_u32_e64 v42, s[0:1], v11, v42
	v_addc_co_u32_e32 v23, vcc, v12, v25, vcc
	v_lshlrev_b64 v[24:25], 2, v[4:5]
	v_lshlrev_b64 v[46:47], 2, v[46:47]
	v_addc_co_u32_e64 v43, s[0:1], v12, v43, s[0:1]
	s_waitcnt lgkmcnt(1)
	global_store_dword v[22:23], v44, off
	global_store_dword v[42:43], v45, off
	v_add_co_u32_e32 v22, vcc, v11, v24
	v_add_u32_e32 v19, 0x4000, v19
	v_add_u32_e32 v3, 0x1000, v3
	v_mov_b32_e32 v20, s14
	v_add_co_u32_e64 v46, s[0:1], v11, v46
	v_add_u32_e32 v2, 0x1000, v2
	v_addc_co_u32_e32 v23, vcc, v12, v25, vcc
	v_addc_co_u32_e64 v47, s[0:1], v12, v47, s[0:1]
	s_waitcnt lgkmcnt(0)
	global_store_dword v[22:23], v48, off
	global_store_dword v[46:47], v49, off
	s_andn2_b64 exec, exec, s[12:13]
	s_cbranch_execnz .LBB753_298
; %bb.299:
	s_or_b64 exec, exec, s[12:13]
.LBB753_300:
	s_or_b64 exec, exec, s[10:11]
	v_and_b32_e32 v1, 7, v15
	v_cmp_ne_u32_e32 vcc, 0, v1
	s_and_saveexec_b64 s[10:11], vcc
	s_cbranch_execz .LBB753_303
; %bb.301:
	v_lshl_or_b32 v14, v20, 10, v14
	s_mov_b64 s[12:13], 0
	v_mov_b32_e32 v5, 0
.LBB753_302:                            ; =>This Inner Loop Header: Depth=1
	ds_read2st64_b32 v[18:19], v14 offset1:4
	v_mov_b32_e32 v4, v2
	v_add_u32_e32 v1, -1, v1
	v_lshlrev_b64 v[20:21], 2, v[4:5]
	v_mov_b32_e32 v4, v3
	v_cmp_eq_u32_e32 vcc, 0, v1
	v_add_co_u32_e64 v20, s[0:1], v11, v20
	v_lshlrev_b64 v[22:23], 2, v[4:5]
	v_add_u32_e32 v2, 0x200, v2
	v_add_u32_e32 v14, 0x800, v14
	v_add_u32_e32 v3, 0x200, v3
	v_addc_co_u32_e64 v21, s[0:1], v12, v21, s[0:1]
	s_or_b64 s[12:13], vcc, s[12:13]
	v_add_co_u32_e32 v22, vcc, v11, v22
	v_addc_co_u32_e32 v23, vcc, v12, v23, vcc
	s_waitcnt lgkmcnt(0)
	global_store_dword v[20:21], v18, off
	global_store_dword v[22:23], v19, off
	s_andn2_b64 exec, exec, s[12:13]
	s_cbranch_execnz .LBB753_302
.LBB753_303:
	s_or_b64 exec, exec, s[10:11]
	v_add_u32_e32 v1, 1, v13
	v_and_b32_e32 v3, 0x1fffffe, v1
	v_cmp_ne_u32_e32 vcc, v1, v3
	v_lshl_or_b32 v2, v3, 8, v0
	s_orn2_b64 s[0:1], vcc, exec
.LBB753_304:
	s_or_b64 exec, exec, s[8:9]
	s_andn2_b64 s[4:5], s[4:5], exec
	s_and_b64 s[0:1], s[0:1], exec
	s_or_b64 s[4:5], s[4:5], s[0:1]
.LBB753_305:
	s_or_b64 exec, exec, s[6:7]
	s_and_b64 exec, exec, s[4:5]
	s_cbranch_execz .LBB753_308
; %bb.306:
	v_lshlrev_b32_e32 v1, 2, v2
	s_mov_b64 s[0:1], 0
	v_mov_b32_e32 v3, 0
.LBB753_307:                            ; =>This Inner Loop Header: Depth=1
	v_lshlrev_b64 v[4:5], 2, v[2:3]
	ds_read_b32 v13, v1
	v_add_co_u32_e32 v4, vcc, v11, v4
	v_add_u32_e32 v2, 0x100, v2
	v_addc_co_u32_e32 v5, vcc, v12, v5, vcc
	v_cmp_ge_u32_e32 vcc, v2, v7
	v_add_u32_e32 v1, 0x400, v1
	s_or_b64 s[0:1], vcc, s[0:1]
	s_waitcnt lgkmcnt(0)
	global_store_dword v[4:5], v13, off
	s_andn2_b64 exec, exec, s[0:1]
	s_cbranch_execnz .LBB753_307
.LBB753_308:
	s_or_b64 exec, exec, s[2:3]
.LBB753_309:
	s_movk_i32 s0, 0xff
	v_cmp_eq_u32_e32 vcc, s0, v0
	s_and_b64 s[0:1], vcc, s[34:35]
	s_and_saveexec_b64 s[2:3], s[0:1]
	s_cbranch_execz .LBB753_312
; %bb.310:
	v_add_co_u32_e32 v0, vcc, v6, v8
	v_addc_co_u32_e64 v1, s[0:1], 0, 0, vcc
	v_add_co_u32_e32 v0, vcc, v0, v16
	v_mov_b32_e32 v7, 0
	v_addc_co_u32_e32 v1, vcc, v1, v17, vcc
	s_cmpk_lg_i32 s33, 0xf00
	global_store_dwordx2 v7, v[0:1], s[54:55]
	s_cbranch_scc1 .LBB753_312
; %bb.311:
	v_lshlrev_b64 v[0:1], 2, v[6:7]
	v_add_co_u32_e32 v0, vcc, v9, v0
	v_addc_co_u32_e32 v1, vcc, v10, v1, vcc
	global_store_dword v[0:1], v67, off offset:-4
.LBB753_312:
	s_endpgm
	.section	.rodata,"a",@progbits
	.p2align	6, 0x0
	.amdhsa_kernel _ZN7rocprim17ROCPRIM_400000_NS6detail17trampoline_kernelINS0_14default_configENS1_29reduce_by_key_config_selectorItjN6thrust23THRUST_200600_302600_NS4plusIjEEEEZZNS1_33reduce_by_key_impl_wrapped_configILNS1_25lookback_scan_determinismE0ES3_S9_NS6_6detail15normal_iteratorINS6_10device_ptrItEEEENSD_INSE_IjEEEESG_SI_PmS8_NS6_8equal_toItEEEE10hipError_tPvRmT2_T3_mT4_T5_T6_T7_T8_P12ihipStream_tbENKUlT_T0_E_clISt17integral_constantIbLb1EES12_IbLb0EEEEDaSY_SZ_EUlSY_E_NS1_11comp_targetILNS1_3genE4ELNS1_11target_archE910ELNS1_3gpuE8ELNS1_3repE0EEENS1_30default_config_static_selectorELNS0_4arch9wavefront6targetE1EEEvT1_
		.amdhsa_group_segment_fixed_size 15360
		.amdhsa_private_segment_fixed_size 0
		.amdhsa_kernarg_size 120
		.amdhsa_user_sgpr_count 6
		.amdhsa_user_sgpr_private_segment_buffer 1
		.amdhsa_user_sgpr_dispatch_ptr 0
		.amdhsa_user_sgpr_queue_ptr 0
		.amdhsa_user_sgpr_kernarg_segment_ptr 1
		.amdhsa_user_sgpr_dispatch_id 0
		.amdhsa_user_sgpr_flat_scratch_init 0
		.amdhsa_user_sgpr_kernarg_preload_length 0
		.amdhsa_user_sgpr_kernarg_preload_offset 0
		.amdhsa_user_sgpr_private_segment_size 0
		.amdhsa_uses_dynamic_stack 0
		.amdhsa_system_sgpr_private_segment_wavefront_offset 0
		.amdhsa_system_sgpr_workgroup_id_x 1
		.amdhsa_system_sgpr_workgroup_id_y 0
		.amdhsa_system_sgpr_workgroup_id_z 0
		.amdhsa_system_sgpr_workgroup_info 0
		.amdhsa_system_vgpr_workitem_id 0
		.amdhsa_next_free_vgpr 108
		.amdhsa_next_free_sgpr 64
		.amdhsa_accum_offset 108
		.amdhsa_reserve_vcc 1
		.amdhsa_reserve_flat_scratch 0
		.amdhsa_float_round_mode_32 0
		.amdhsa_float_round_mode_16_64 0
		.amdhsa_float_denorm_mode_32 3
		.amdhsa_float_denorm_mode_16_64 3
		.amdhsa_dx10_clamp 1
		.amdhsa_ieee_mode 1
		.amdhsa_fp16_overflow 0
		.amdhsa_tg_split 0
		.amdhsa_exception_fp_ieee_invalid_op 0
		.amdhsa_exception_fp_denorm_src 0
		.amdhsa_exception_fp_ieee_div_zero 0
		.amdhsa_exception_fp_ieee_overflow 0
		.amdhsa_exception_fp_ieee_underflow 0
		.amdhsa_exception_fp_ieee_inexact 0
		.amdhsa_exception_int_div_zero 0
	.end_amdhsa_kernel
	.section	.text._ZN7rocprim17ROCPRIM_400000_NS6detail17trampoline_kernelINS0_14default_configENS1_29reduce_by_key_config_selectorItjN6thrust23THRUST_200600_302600_NS4plusIjEEEEZZNS1_33reduce_by_key_impl_wrapped_configILNS1_25lookback_scan_determinismE0ES3_S9_NS6_6detail15normal_iteratorINS6_10device_ptrItEEEENSD_INSE_IjEEEESG_SI_PmS8_NS6_8equal_toItEEEE10hipError_tPvRmT2_T3_mT4_T5_T6_T7_T8_P12ihipStream_tbENKUlT_T0_E_clISt17integral_constantIbLb1EES12_IbLb0EEEEDaSY_SZ_EUlSY_E_NS1_11comp_targetILNS1_3genE4ELNS1_11target_archE910ELNS1_3gpuE8ELNS1_3repE0EEENS1_30default_config_static_selectorELNS0_4arch9wavefront6targetE1EEEvT1_,"axG",@progbits,_ZN7rocprim17ROCPRIM_400000_NS6detail17trampoline_kernelINS0_14default_configENS1_29reduce_by_key_config_selectorItjN6thrust23THRUST_200600_302600_NS4plusIjEEEEZZNS1_33reduce_by_key_impl_wrapped_configILNS1_25lookback_scan_determinismE0ES3_S9_NS6_6detail15normal_iteratorINS6_10device_ptrItEEEENSD_INSE_IjEEEESG_SI_PmS8_NS6_8equal_toItEEEE10hipError_tPvRmT2_T3_mT4_T5_T6_T7_T8_P12ihipStream_tbENKUlT_T0_E_clISt17integral_constantIbLb1EES12_IbLb0EEEEDaSY_SZ_EUlSY_E_NS1_11comp_targetILNS1_3genE4ELNS1_11target_archE910ELNS1_3gpuE8ELNS1_3repE0EEENS1_30default_config_static_selectorELNS0_4arch9wavefront6targetE1EEEvT1_,comdat
.Lfunc_end753:
	.size	_ZN7rocprim17ROCPRIM_400000_NS6detail17trampoline_kernelINS0_14default_configENS1_29reduce_by_key_config_selectorItjN6thrust23THRUST_200600_302600_NS4plusIjEEEEZZNS1_33reduce_by_key_impl_wrapped_configILNS1_25lookback_scan_determinismE0ES3_S9_NS6_6detail15normal_iteratorINS6_10device_ptrItEEEENSD_INSE_IjEEEESG_SI_PmS8_NS6_8equal_toItEEEE10hipError_tPvRmT2_T3_mT4_T5_T6_T7_T8_P12ihipStream_tbENKUlT_T0_E_clISt17integral_constantIbLb1EES12_IbLb0EEEEDaSY_SZ_EUlSY_E_NS1_11comp_targetILNS1_3genE4ELNS1_11target_archE910ELNS1_3gpuE8ELNS1_3repE0EEENS1_30default_config_static_selectorELNS0_4arch9wavefront6targetE1EEEvT1_, .Lfunc_end753-_ZN7rocprim17ROCPRIM_400000_NS6detail17trampoline_kernelINS0_14default_configENS1_29reduce_by_key_config_selectorItjN6thrust23THRUST_200600_302600_NS4plusIjEEEEZZNS1_33reduce_by_key_impl_wrapped_configILNS1_25lookback_scan_determinismE0ES3_S9_NS6_6detail15normal_iteratorINS6_10device_ptrItEEEENSD_INSE_IjEEEESG_SI_PmS8_NS6_8equal_toItEEEE10hipError_tPvRmT2_T3_mT4_T5_T6_T7_T8_P12ihipStream_tbENKUlT_T0_E_clISt17integral_constantIbLb1EES12_IbLb0EEEEDaSY_SZ_EUlSY_E_NS1_11comp_targetILNS1_3genE4ELNS1_11target_archE910ELNS1_3gpuE8ELNS1_3repE0EEENS1_30default_config_static_selectorELNS0_4arch9wavefront6targetE1EEEvT1_
                                        ; -- End function
	.section	.AMDGPU.csdata,"",@progbits
; Kernel info:
; codeLenInByte = 17828
; NumSgprs: 68
; NumVgprs: 108
; NumAgprs: 0
; TotalNumVgprs: 108
; ScratchSize: 0
; MemoryBound: 0
; FloatMode: 240
; IeeeMode: 1
; LDSByteSize: 15360 bytes/workgroup (compile time only)
; SGPRBlocks: 8
; VGPRBlocks: 13
; NumSGPRsForWavesPerEU: 68
; NumVGPRsForWavesPerEU: 108
; AccumOffset: 108
; Occupancy: 4
; WaveLimiterHint : 1
; COMPUTE_PGM_RSRC2:SCRATCH_EN: 0
; COMPUTE_PGM_RSRC2:USER_SGPR: 6
; COMPUTE_PGM_RSRC2:TRAP_HANDLER: 0
; COMPUTE_PGM_RSRC2:TGID_X_EN: 1
; COMPUTE_PGM_RSRC2:TGID_Y_EN: 0
; COMPUTE_PGM_RSRC2:TGID_Z_EN: 0
; COMPUTE_PGM_RSRC2:TIDIG_COMP_CNT: 0
; COMPUTE_PGM_RSRC3_GFX90A:ACCUM_OFFSET: 26
; COMPUTE_PGM_RSRC3_GFX90A:TG_SPLIT: 0
	.section	.text._ZN7rocprim17ROCPRIM_400000_NS6detail17trampoline_kernelINS0_14default_configENS1_29reduce_by_key_config_selectorItjN6thrust23THRUST_200600_302600_NS4plusIjEEEEZZNS1_33reduce_by_key_impl_wrapped_configILNS1_25lookback_scan_determinismE0ES3_S9_NS6_6detail15normal_iteratorINS6_10device_ptrItEEEENSD_INSE_IjEEEESG_SI_PmS8_NS6_8equal_toItEEEE10hipError_tPvRmT2_T3_mT4_T5_T6_T7_T8_P12ihipStream_tbENKUlT_T0_E_clISt17integral_constantIbLb1EES12_IbLb0EEEEDaSY_SZ_EUlSY_E_NS1_11comp_targetILNS1_3genE3ELNS1_11target_archE908ELNS1_3gpuE7ELNS1_3repE0EEENS1_30default_config_static_selectorELNS0_4arch9wavefront6targetE1EEEvT1_,"axG",@progbits,_ZN7rocprim17ROCPRIM_400000_NS6detail17trampoline_kernelINS0_14default_configENS1_29reduce_by_key_config_selectorItjN6thrust23THRUST_200600_302600_NS4plusIjEEEEZZNS1_33reduce_by_key_impl_wrapped_configILNS1_25lookback_scan_determinismE0ES3_S9_NS6_6detail15normal_iteratorINS6_10device_ptrItEEEENSD_INSE_IjEEEESG_SI_PmS8_NS6_8equal_toItEEEE10hipError_tPvRmT2_T3_mT4_T5_T6_T7_T8_P12ihipStream_tbENKUlT_T0_E_clISt17integral_constantIbLb1EES12_IbLb0EEEEDaSY_SZ_EUlSY_E_NS1_11comp_targetILNS1_3genE3ELNS1_11target_archE908ELNS1_3gpuE7ELNS1_3repE0EEENS1_30default_config_static_selectorELNS0_4arch9wavefront6targetE1EEEvT1_,comdat
	.protected	_ZN7rocprim17ROCPRIM_400000_NS6detail17trampoline_kernelINS0_14default_configENS1_29reduce_by_key_config_selectorItjN6thrust23THRUST_200600_302600_NS4plusIjEEEEZZNS1_33reduce_by_key_impl_wrapped_configILNS1_25lookback_scan_determinismE0ES3_S9_NS6_6detail15normal_iteratorINS6_10device_ptrItEEEENSD_INSE_IjEEEESG_SI_PmS8_NS6_8equal_toItEEEE10hipError_tPvRmT2_T3_mT4_T5_T6_T7_T8_P12ihipStream_tbENKUlT_T0_E_clISt17integral_constantIbLb1EES12_IbLb0EEEEDaSY_SZ_EUlSY_E_NS1_11comp_targetILNS1_3genE3ELNS1_11target_archE908ELNS1_3gpuE7ELNS1_3repE0EEENS1_30default_config_static_selectorELNS0_4arch9wavefront6targetE1EEEvT1_ ; -- Begin function _ZN7rocprim17ROCPRIM_400000_NS6detail17trampoline_kernelINS0_14default_configENS1_29reduce_by_key_config_selectorItjN6thrust23THRUST_200600_302600_NS4plusIjEEEEZZNS1_33reduce_by_key_impl_wrapped_configILNS1_25lookback_scan_determinismE0ES3_S9_NS6_6detail15normal_iteratorINS6_10device_ptrItEEEENSD_INSE_IjEEEESG_SI_PmS8_NS6_8equal_toItEEEE10hipError_tPvRmT2_T3_mT4_T5_T6_T7_T8_P12ihipStream_tbENKUlT_T0_E_clISt17integral_constantIbLb1EES12_IbLb0EEEEDaSY_SZ_EUlSY_E_NS1_11comp_targetILNS1_3genE3ELNS1_11target_archE908ELNS1_3gpuE7ELNS1_3repE0EEENS1_30default_config_static_selectorELNS0_4arch9wavefront6targetE1EEEvT1_
	.globl	_ZN7rocprim17ROCPRIM_400000_NS6detail17trampoline_kernelINS0_14default_configENS1_29reduce_by_key_config_selectorItjN6thrust23THRUST_200600_302600_NS4plusIjEEEEZZNS1_33reduce_by_key_impl_wrapped_configILNS1_25lookback_scan_determinismE0ES3_S9_NS6_6detail15normal_iteratorINS6_10device_ptrItEEEENSD_INSE_IjEEEESG_SI_PmS8_NS6_8equal_toItEEEE10hipError_tPvRmT2_T3_mT4_T5_T6_T7_T8_P12ihipStream_tbENKUlT_T0_E_clISt17integral_constantIbLb1EES12_IbLb0EEEEDaSY_SZ_EUlSY_E_NS1_11comp_targetILNS1_3genE3ELNS1_11target_archE908ELNS1_3gpuE7ELNS1_3repE0EEENS1_30default_config_static_selectorELNS0_4arch9wavefront6targetE1EEEvT1_
	.p2align	8
	.type	_ZN7rocprim17ROCPRIM_400000_NS6detail17trampoline_kernelINS0_14default_configENS1_29reduce_by_key_config_selectorItjN6thrust23THRUST_200600_302600_NS4plusIjEEEEZZNS1_33reduce_by_key_impl_wrapped_configILNS1_25lookback_scan_determinismE0ES3_S9_NS6_6detail15normal_iteratorINS6_10device_ptrItEEEENSD_INSE_IjEEEESG_SI_PmS8_NS6_8equal_toItEEEE10hipError_tPvRmT2_T3_mT4_T5_T6_T7_T8_P12ihipStream_tbENKUlT_T0_E_clISt17integral_constantIbLb1EES12_IbLb0EEEEDaSY_SZ_EUlSY_E_NS1_11comp_targetILNS1_3genE3ELNS1_11target_archE908ELNS1_3gpuE7ELNS1_3repE0EEENS1_30default_config_static_selectorELNS0_4arch9wavefront6targetE1EEEvT1_,@function
_ZN7rocprim17ROCPRIM_400000_NS6detail17trampoline_kernelINS0_14default_configENS1_29reduce_by_key_config_selectorItjN6thrust23THRUST_200600_302600_NS4plusIjEEEEZZNS1_33reduce_by_key_impl_wrapped_configILNS1_25lookback_scan_determinismE0ES3_S9_NS6_6detail15normal_iteratorINS6_10device_ptrItEEEENSD_INSE_IjEEEESG_SI_PmS8_NS6_8equal_toItEEEE10hipError_tPvRmT2_T3_mT4_T5_T6_T7_T8_P12ihipStream_tbENKUlT_T0_E_clISt17integral_constantIbLb1EES12_IbLb0EEEEDaSY_SZ_EUlSY_E_NS1_11comp_targetILNS1_3genE3ELNS1_11target_archE908ELNS1_3gpuE7ELNS1_3repE0EEENS1_30default_config_static_selectorELNS0_4arch9wavefront6targetE1EEEvT1_: ; @_ZN7rocprim17ROCPRIM_400000_NS6detail17trampoline_kernelINS0_14default_configENS1_29reduce_by_key_config_selectorItjN6thrust23THRUST_200600_302600_NS4plusIjEEEEZZNS1_33reduce_by_key_impl_wrapped_configILNS1_25lookback_scan_determinismE0ES3_S9_NS6_6detail15normal_iteratorINS6_10device_ptrItEEEENSD_INSE_IjEEEESG_SI_PmS8_NS6_8equal_toItEEEE10hipError_tPvRmT2_T3_mT4_T5_T6_T7_T8_P12ihipStream_tbENKUlT_T0_E_clISt17integral_constantIbLb1EES12_IbLb0EEEEDaSY_SZ_EUlSY_E_NS1_11comp_targetILNS1_3genE3ELNS1_11target_archE908ELNS1_3gpuE7ELNS1_3repE0EEENS1_30default_config_static_selectorELNS0_4arch9wavefront6targetE1EEEvT1_
; %bb.0:
	.section	.rodata,"a",@progbits
	.p2align	6, 0x0
	.amdhsa_kernel _ZN7rocprim17ROCPRIM_400000_NS6detail17trampoline_kernelINS0_14default_configENS1_29reduce_by_key_config_selectorItjN6thrust23THRUST_200600_302600_NS4plusIjEEEEZZNS1_33reduce_by_key_impl_wrapped_configILNS1_25lookback_scan_determinismE0ES3_S9_NS6_6detail15normal_iteratorINS6_10device_ptrItEEEENSD_INSE_IjEEEESG_SI_PmS8_NS6_8equal_toItEEEE10hipError_tPvRmT2_T3_mT4_T5_T6_T7_T8_P12ihipStream_tbENKUlT_T0_E_clISt17integral_constantIbLb1EES12_IbLb0EEEEDaSY_SZ_EUlSY_E_NS1_11comp_targetILNS1_3genE3ELNS1_11target_archE908ELNS1_3gpuE7ELNS1_3repE0EEENS1_30default_config_static_selectorELNS0_4arch9wavefront6targetE1EEEvT1_
		.amdhsa_group_segment_fixed_size 0
		.amdhsa_private_segment_fixed_size 0
		.amdhsa_kernarg_size 120
		.amdhsa_user_sgpr_count 6
		.amdhsa_user_sgpr_private_segment_buffer 1
		.amdhsa_user_sgpr_dispatch_ptr 0
		.amdhsa_user_sgpr_queue_ptr 0
		.amdhsa_user_sgpr_kernarg_segment_ptr 1
		.amdhsa_user_sgpr_dispatch_id 0
		.amdhsa_user_sgpr_flat_scratch_init 0
		.amdhsa_user_sgpr_kernarg_preload_length 0
		.amdhsa_user_sgpr_kernarg_preload_offset 0
		.amdhsa_user_sgpr_private_segment_size 0
		.amdhsa_uses_dynamic_stack 0
		.amdhsa_system_sgpr_private_segment_wavefront_offset 0
		.amdhsa_system_sgpr_workgroup_id_x 1
		.amdhsa_system_sgpr_workgroup_id_y 0
		.amdhsa_system_sgpr_workgroup_id_z 0
		.amdhsa_system_sgpr_workgroup_info 0
		.amdhsa_system_vgpr_workitem_id 0
		.amdhsa_next_free_vgpr 1
		.amdhsa_next_free_sgpr 0
		.amdhsa_accum_offset 4
		.amdhsa_reserve_vcc 0
		.amdhsa_reserve_flat_scratch 0
		.amdhsa_float_round_mode_32 0
		.amdhsa_float_round_mode_16_64 0
		.amdhsa_float_denorm_mode_32 3
		.amdhsa_float_denorm_mode_16_64 3
		.amdhsa_dx10_clamp 1
		.amdhsa_ieee_mode 1
		.amdhsa_fp16_overflow 0
		.amdhsa_tg_split 0
		.amdhsa_exception_fp_ieee_invalid_op 0
		.amdhsa_exception_fp_denorm_src 0
		.amdhsa_exception_fp_ieee_div_zero 0
		.amdhsa_exception_fp_ieee_overflow 0
		.amdhsa_exception_fp_ieee_underflow 0
		.amdhsa_exception_fp_ieee_inexact 0
		.amdhsa_exception_int_div_zero 0
	.end_amdhsa_kernel
	.section	.text._ZN7rocprim17ROCPRIM_400000_NS6detail17trampoline_kernelINS0_14default_configENS1_29reduce_by_key_config_selectorItjN6thrust23THRUST_200600_302600_NS4plusIjEEEEZZNS1_33reduce_by_key_impl_wrapped_configILNS1_25lookback_scan_determinismE0ES3_S9_NS6_6detail15normal_iteratorINS6_10device_ptrItEEEENSD_INSE_IjEEEESG_SI_PmS8_NS6_8equal_toItEEEE10hipError_tPvRmT2_T3_mT4_T5_T6_T7_T8_P12ihipStream_tbENKUlT_T0_E_clISt17integral_constantIbLb1EES12_IbLb0EEEEDaSY_SZ_EUlSY_E_NS1_11comp_targetILNS1_3genE3ELNS1_11target_archE908ELNS1_3gpuE7ELNS1_3repE0EEENS1_30default_config_static_selectorELNS0_4arch9wavefront6targetE1EEEvT1_,"axG",@progbits,_ZN7rocprim17ROCPRIM_400000_NS6detail17trampoline_kernelINS0_14default_configENS1_29reduce_by_key_config_selectorItjN6thrust23THRUST_200600_302600_NS4plusIjEEEEZZNS1_33reduce_by_key_impl_wrapped_configILNS1_25lookback_scan_determinismE0ES3_S9_NS6_6detail15normal_iteratorINS6_10device_ptrItEEEENSD_INSE_IjEEEESG_SI_PmS8_NS6_8equal_toItEEEE10hipError_tPvRmT2_T3_mT4_T5_T6_T7_T8_P12ihipStream_tbENKUlT_T0_E_clISt17integral_constantIbLb1EES12_IbLb0EEEEDaSY_SZ_EUlSY_E_NS1_11comp_targetILNS1_3genE3ELNS1_11target_archE908ELNS1_3gpuE7ELNS1_3repE0EEENS1_30default_config_static_selectorELNS0_4arch9wavefront6targetE1EEEvT1_,comdat
.Lfunc_end754:
	.size	_ZN7rocprim17ROCPRIM_400000_NS6detail17trampoline_kernelINS0_14default_configENS1_29reduce_by_key_config_selectorItjN6thrust23THRUST_200600_302600_NS4plusIjEEEEZZNS1_33reduce_by_key_impl_wrapped_configILNS1_25lookback_scan_determinismE0ES3_S9_NS6_6detail15normal_iteratorINS6_10device_ptrItEEEENSD_INSE_IjEEEESG_SI_PmS8_NS6_8equal_toItEEEE10hipError_tPvRmT2_T3_mT4_T5_T6_T7_T8_P12ihipStream_tbENKUlT_T0_E_clISt17integral_constantIbLb1EES12_IbLb0EEEEDaSY_SZ_EUlSY_E_NS1_11comp_targetILNS1_3genE3ELNS1_11target_archE908ELNS1_3gpuE7ELNS1_3repE0EEENS1_30default_config_static_selectorELNS0_4arch9wavefront6targetE1EEEvT1_, .Lfunc_end754-_ZN7rocprim17ROCPRIM_400000_NS6detail17trampoline_kernelINS0_14default_configENS1_29reduce_by_key_config_selectorItjN6thrust23THRUST_200600_302600_NS4plusIjEEEEZZNS1_33reduce_by_key_impl_wrapped_configILNS1_25lookback_scan_determinismE0ES3_S9_NS6_6detail15normal_iteratorINS6_10device_ptrItEEEENSD_INSE_IjEEEESG_SI_PmS8_NS6_8equal_toItEEEE10hipError_tPvRmT2_T3_mT4_T5_T6_T7_T8_P12ihipStream_tbENKUlT_T0_E_clISt17integral_constantIbLb1EES12_IbLb0EEEEDaSY_SZ_EUlSY_E_NS1_11comp_targetILNS1_3genE3ELNS1_11target_archE908ELNS1_3gpuE7ELNS1_3repE0EEENS1_30default_config_static_selectorELNS0_4arch9wavefront6targetE1EEEvT1_
                                        ; -- End function
	.section	.AMDGPU.csdata,"",@progbits
; Kernel info:
; codeLenInByte = 0
; NumSgprs: 4
; NumVgprs: 0
; NumAgprs: 0
; TotalNumVgprs: 0
; ScratchSize: 0
; MemoryBound: 0
; FloatMode: 240
; IeeeMode: 1
; LDSByteSize: 0 bytes/workgroup (compile time only)
; SGPRBlocks: 0
; VGPRBlocks: 0
; NumSGPRsForWavesPerEU: 4
; NumVGPRsForWavesPerEU: 1
; AccumOffset: 4
; Occupancy: 8
; WaveLimiterHint : 0
; COMPUTE_PGM_RSRC2:SCRATCH_EN: 0
; COMPUTE_PGM_RSRC2:USER_SGPR: 6
; COMPUTE_PGM_RSRC2:TRAP_HANDLER: 0
; COMPUTE_PGM_RSRC2:TGID_X_EN: 1
; COMPUTE_PGM_RSRC2:TGID_Y_EN: 0
; COMPUTE_PGM_RSRC2:TGID_Z_EN: 0
; COMPUTE_PGM_RSRC2:TIDIG_COMP_CNT: 0
; COMPUTE_PGM_RSRC3_GFX90A:ACCUM_OFFSET: 0
; COMPUTE_PGM_RSRC3_GFX90A:TG_SPLIT: 0
	.section	.text._ZN7rocprim17ROCPRIM_400000_NS6detail17trampoline_kernelINS0_14default_configENS1_29reduce_by_key_config_selectorItjN6thrust23THRUST_200600_302600_NS4plusIjEEEEZZNS1_33reduce_by_key_impl_wrapped_configILNS1_25lookback_scan_determinismE0ES3_S9_NS6_6detail15normal_iteratorINS6_10device_ptrItEEEENSD_INSE_IjEEEESG_SI_PmS8_NS6_8equal_toItEEEE10hipError_tPvRmT2_T3_mT4_T5_T6_T7_T8_P12ihipStream_tbENKUlT_T0_E_clISt17integral_constantIbLb1EES12_IbLb0EEEEDaSY_SZ_EUlSY_E_NS1_11comp_targetILNS1_3genE2ELNS1_11target_archE906ELNS1_3gpuE6ELNS1_3repE0EEENS1_30default_config_static_selectorELNS0_4arch9wavefront6targetE1EEEvT1_,"axG",@progbits,_ZN7rocprim17ROCPRIM_400000_NS6detail17trampoline_kernelINS0_14default_configENS1_29reduce_by_key_config_selectorItjN6thrust23THRUST_200600_302600_NS4plusIjEEEEZZNS1_33reduce_by_key_impl_wrapped_configILNS1_25lookback_scan_determinismE0ES3_S9_NS6_6detail15normal_iteratorINS6_10device_ptrItEEEENSD_INSE_IjEEEESG_SI_PmS8_NS6_8equal_toItEEEE10hipError_tPvRmT2_T3_mT4_T5_T6_T7_T8_P12ihipStream_tbENKUlT_T0_E_clISt17integral_constantIbLb1EES12_IbLb0EEEEDaSY_SZ_EUlSY_E_NS1_11comp_targetILNS1_3genE2ELNS1_11target_archE906ELNS1_3gpuE6ELNS1_3repE0EEENS1_30default_config_static_selectorELNS0_4arch9wavefront6targetE1EEEvT1_,comdat
	.protected	_ZN7rocprim17ROCPRIM_400000_NS6detail17trampoline_kernelINS0_14default_configENS1_29reduce_by_key_config_selectorItjN6thrust23THRUST_200600_302600_NS4plusIjEEEEZZNS1_33reduce_by_key_impl_wrapped_configILNS1_25lookback_scan_determinismE0ES3_S9_NS6_6detail15normal_iteratorINS6_10device_ptrItEEEENSD_INSE_IjEEEESG_SI_PmS8_NS6_8equal_toItEEEE10hipError_tPvRmT2_T3_mT4_T5_T6_T7_T8_P12ihipStream_tbENKUlT_T0_E_clISt17integral_constantIbLb1EES12_IbLb0EEEEDaSY_SZ_EUlSY_E_NS1_11comp_targetILNS1_3genE2ELNS1_11target_archE906ELNS1_3gpuE6ELNS1_3repE0EEENS1_30default_config_static_selectorELNS0_4arch9wavefront6targetE1EEEvT1_ ; -- Begin function _ZN7rocprim17ROCPRIM_400000_NS6detail17trampoline_kernelINS0_14default_configENS1_29reduce_by_key_config_selectorItjN6thrust23THRUST_200600_302600_NS4plusIjEEEEZZNS1_33reduce_by_key_impl_wrapped_configILNS1_25lookback_scan_determinismE0ES3_S9_NS6_6detail15normal_iteratorINS6_10device_ptrItEEEENSD_INSE_IjEEEESG_SI_PmS8_NS6_8equal_toItEEEE10hipError_tPvRmT2_T3_mT4_T5_T6_T7_T8_P12ihipStream_tbENKUlT_T0_E_clISt17integral_constantIbLb1EES12_IbLb0EEEEDaSY_SZ_EUlSY_E_NS1_11comp_targetILNS1_3genE2ELNS1_11target_archE906ELNS1_3gpuE6ELNS1_3repE0EEENS1_30default_config_static_selectorELNS0_4arch9wavefront6targetE1EEEvT1_
	.globl	_ZN7rocprim17ROCPRIM_400000_NS6detail17trampoline_kernelINS0_14default_configENS1_29reduce_by_key_config_selectorItjN6thrust23THRUST_200600_302600_NS4plusIjEEEEZZNS1_33reduce_by_key_impl_wrapped_configILNS1_25lookback_scan_determinismE0ES3_S9_NS6_6detail15normal_iteratorINS6_10device_ptrItEEEENSD_INSE_IjEEEESG_SI_PmS8_NS6_8equal_toItEEEE10hipError_tPvRmT2_T3_mT4_T5_T6_T7_T8_P12ihipStream_tbENKUlT_T0_E_clISt17integral_constantIbLb1EES12_IbLb0EEEEDaSY_SZ_EUlSY_E_NS1_11comp_targetILNS1_3genE2ELNS1_11target_archE906ELNS1_3gpuE6ELNS1_3repE0EEENS1_30default_config_static_selectorELNS0_4arch9wavefront6targetE1EEEvT1_
	.p2align	8
	.type	_ZN7rocprim17ROCPRIM_400000_NS6detail17trampoline_kernelINS0_14default_configENS1_29reduce_by_key_config_selectorItjN6thrust23THRUST_200600_302600_NS4plusIjEEEEZZNS1_33reduce_by_key_impl_wrapped_configILNS1_25lookback_scan_determinismE0ES3_S9_NS6_6detail15normal_iteratorINS6_10device_ptrItEEEENSD_INSE_IjEEEESG_SI_PmS8_NS6_8equal_toItEEEE10hipError_tPvRmT2_T3_mT4_T5_T6_T7_T8_P12ihipStream_tbENKUlT_T0_E_clISt17integral_constantIbLb1EES12_IbLb0EEEEDaSY_SZ_EUlSY_E_NS1_11comp_targetILNS1_3genE2ELNS1_11target_archE906ELNS1_3gpuE6ELNS1_3repE0EEENS1_30default_config_static_selectorELNS0_4arch9wavefront6targetE1EEEvT1_,@function
_ZN7rocprim17ROCPRIM_400000_NS6detail17trampoline_kernelINS0_14default_configENS1_29reduce_by_key_config_selectorItjN6thrust23THRUST_200600_302600_NS4plusIjEEEEZZNS1_33reduce_by_key_impl_wrapped_configILNS1_25lookback_scan_determinismE0ES3_S9_NS6_6detail15normal_iteratorINS6_10device_ptrItEEEENSD_INSE_IjEEEESG_SI_PmS8_NS6_8equal_toItEEEE10hipError_tPvRmT2_T3_mT4_T5_T6_T7_T8_P12ihipStream_tbENKUlT_T0_E_clISt17integral_constantIbLb1EES12_IbLb0EEEEDaSY_SZ_EUlSY_E_NS1_11comp_targetILNS1_3genE2ELNS1_11target_archE906ELNS1_3gpuE6ELNS1_3repE0EEENS1_30default_config_static_selectorELNS0_4arch9wavefront6targetE1EEEvT1_: ; @_ZN7rocprim17ROCPRIM_400000_NS6detail17trampoline_kernelINS0_14default_configENS1_29reduce_by_key_config_selectorItjN6thrust23THRUST_200600_302600_NS4plusIjEEEEZZNS1_33reduce_by_key_impl_wrapped_configILNS1_25lookback_scan_determinismE0ES3_S9_NS6_6detail15normal_iteratorINS6_10device_ptrItEEEENSD_INSE_IjEEEESG_SI_PmS8_NS6_8equal_toItEEEE10hipError_tPvRmT2_T3_mT4_T5_T6_T7_T8_P12ihipStream_tbENKUlT_T0_E_clISt17integral_constantIbLb1EES12_IbLb0EEEEDaSY_SZ_EUlSY_E_NS1_11comp_targetILNS1_3genE2ELNS1_11target_archE906ELNS1_3gpuE6ELNS1_3repE0EEENS1_30default_config_static_selectorELNS0_4arch9wavefront6targetE1EEEvT1_
; %bb.0:
	.section	.rodata,"a",@progbits
	.p2align	6, 0x0
	.amdhsa_kernel _ZN7rocprim17ROCPRIM_400000_NS6detail17trampoline_kernelINS0_14default_configENS1_29reduce_by_key_config_selectorItjN6thrust23THRUST_200600_302600_NS4plusIjEEEEZZNS1_33reduce_by_key_impl_wrapped_configILNS1_25lookback_scan_determinismE0ES3_S9_NS6_6detail15normal_iteratorINS6_10device_ptrItEEEENSD_INSE_IjEEEESG_SI_PmS8_NS6_8equal_toItEEEE10hipError_tPvRmT2_T3_mT4_T5_T6_T7_T8_P12ihipStream_tbENKUlT_T0_E_clISt17integral_constantIbLb1EES12_IbLb0EEEEDaSY_SZ_EUlSY_E_NS1_11comp_targetILNS1_3genE2ELNS1_11target_archE906ELNS1_3gpuE6ELNS1_3repE0EEENS1_30default_config_static_selectorELNS0_4arch9wavefront6targetE1EEEvT1_
		.amdhsa_group_segment_fixed_size 0
		.amdhsa_private_segment_fixed_size 0
		.amdhsa_kernarg_size 120
		.amdhsa_user_sgpr_count 6
		.amdhsa_user_sgpr_private_segment_buffer 1
		.amdhsa_user_sgpr_dispatch_ptr 0
		.amdhsa_user_sgpr_queue_ptr 0
		.amdhsa_user_sgpr_kernarg_segment_ptr 1
		.amdhsa_user_sgpr_dispatch_id 0
		.amdhsa_user_sgpr_flat_scratch_init 0
		.amdhsa_user_sgpr_kernarg_preload_length 0
		.amdhsa_user_sgpr_kernarg_preload_offset 0
		.amdhsa_user_sgpr_private_segment_size 0
		.amdhsa_uses_dynamic_stack 0
		.amdhsa_system_sgpr_private_segment_wavefront_offset 0
		.amdhsa_system_sgpr_workgroup_id_x 1
		.amdhsa_system_sgpr_workgroup_id_y 0
		.amdhsa_system_sgpr_workgroup_id_z 0
		.amdhsa_system_sgpr_workgroup_info 0
		.amdhsa_system_vgpr_workitem_id 0
		.amdhsa_next_free_vgpr 1
		.amdhsa_next_free_sgpr 0
		.amdhsa_accum_offset 4
		.amdhsa_reserve_vcc 0
		.amdhsa_reserve_flat_scratch 0
		.amdhsa_float_round_mode_32 0
		.amdhsa_float_round_mode_16_64 0
		.amdhsa_float_denorm_mode_32 3
		.amdhsa_float_denorm_mode_16_64 3
		.amdhsa_dx10_clamp 1
		.amdhsa_ieee_mode 1
		.amdhsa_fp16_overflow 0
		.amdhsa_tg_split 0
		.amdhsa_exception_fp_ieee_invalid_op 0
		.amdhsa_exception_fp_denorm_src 0
		.amdhsa_exception_fp_ieee_div_zero 0
		.amdhsa_exception_fp_ieee_overflow 0
		.amdhsa_exception_fp_ieee_underflow 0
		.amdhsa_exception_fp_ieee_inexact 0
		.amdhsa_exception_int_div_zero 0
	.end_amdhsa_kernel
	.section	.text._ZN7rocprim17ROCPRIM_400000_NS6detail17trampoline_kernelINS0_14default_configENS1_29reduce_by_key_config_selectorItjN6thrust23THRUST_200600_302600_NS4plusIjEEEEZZNS1_33reduce_by_key_impl_wrapped_configILNS1_25lookback_scan_determinismE0ES3_S9_NS6_6detail15normal_iteratorINS6_10device_ptrItEEEENSD_INSE_IjEEEESG_SI_PmS8_NS6_8equal_toItEEEE10hipError_tPvRmT2_T3_mT4_T5_T6_T7_T8_P12ihipStream_tbENKUlT_T0_E_clISt17integral_constantIbLb1EES12_IbLb0EEEEDaSY_SZ_EUlSY_E_NS1_11comp_targetILNS1_3genE2ELNS1_11target_archE906ELNS1_3gpuE6ELNS1_3repE0EEENS1_30default_config_static_selectorELNS0_4arch9wavefront6targetE1EEEvT1_,"axG",@progbits,_ZN7rocprim17ROCPRIM_400000_NS6detail17trampoline_kernelINS0_14default_configENS1_29reduce_by_key_config_selectorItjN6thrust23THRUST_200600_302600_NS4plusIjEEEEZZNS1_33reduce_by_key_impl_wrapped_configILNS1_25lookback_scan_determinismE0ES3_S9_NS6_6detail15normal_iteratorINS6_10device_ptrItEEEENSD_INSE_IjEEEESG_SI_PmS8_NS6_8equal_toItEEEE10hipError_tPvRmT2_T3_mT4_T5_T6_T7_T8_P12ihipStream_tbENKUlT_T0_E_clISt17integral_constantIbLb1EES12_IbLb0EEEEDaSY_SZ_EUlSY_E_NS1_11comp_targetILNS1_3genE2ELNS1_11target_archE906ELNS1_3gpuE6ELNS1_3repE0EEENS1_30default_config_static_selectorELNS0_4arch9wavefront6targetE1EEEvT1_,comdat
.Lfunc_end755:
	.size	_ZN7rocprim17ROCPRIM_400000_NS6detail17trampoline_kernelINS0_14default_configENS1_29reduce_by_key_config_selectorItjN6thrust23THRUST_200600_302600_NS4plusIjEEEEZZNS1_33reduce_by_key_impl_wrapped_configILNS1_25lookback_scan_determinismE0ES3_S9_NS6_6detail15normal_iteratorINS6_10device_ptrItEEEENSD_INSE_IjEEEESG_SI_PmS8_NS6_8equal_toItEEEE10hipError_tPvRmT2_T3_mT4_T5_T6_T7_T8_P12ihipStream_tbENKUlT_T0_E_clISt17integral_constantIbLb1EES12_IbLb0EEEEDaSY_SZ_EUlSY_E_NS1_11comp_targetILNS1_3genE2ELNS1_11target_archE906ELNS1_3gpuE6ELNS1_3repE0EEENS1_30default_config_static_selectorELNS0_4arch9wavefront6targetE1EEEvT1_, .Lfunc_end755-_ZN7rocprim17ROCPRIM_400000_NS6detail17trampoline_kernelINS0_14default_configENS1_29reduce_by_key_config_selectorItjN6thrust23THRUST_200600_302600_NS4plusIjEEEEZZNS1_33reduce_by_key_impl_wrapped_configILNS1_25lookback_scan_determinismE0ES3_S9_NS6_6detail15normal_iteratorINS6_10device_ptrItEEEENSD_INSE_IjEEEESG_SI_PmS8_NS6_8equal_toItEEEE10hipError_tPvRmT2_T3_mT4_T5_T6_T7_T8_P12ihipStream_tbENKUlT_T0_E_clISt17integral_constantIbLb1EES12_IbLb0EEEEDaSY_SZ_EUlSY_E_NS1_11comp_targetILNS1_3genE2ELNS1_11target_archE906ELNS1_3gpuE6ELNS1_3repE0EEENS1_30default_config_static_selectorELNS0_4arch9wavefront6targetE1EEEvT1_
                                        ; -- End function
	.section	.AMDGPU.csdata,"",@progbits
; Kernel info:
; codeLenInByte = 0
; NumSgprs: 4
; NumVgprs: 0
; NumAgprs: 0
; TotalNumVgprs: 0
; ScratchSize: 0
; MemoryBound: 0
; FloatMode: 240
; IeeeMode: 1
; LDSByteSize: 0 bytes/workgroup (compile time only)
; SGPRBlocks: 0
; VGPRBlocks: 0
; NumSGPRsForWavesPerEU: 4
; NumVGPRsForWavesPerEU: 1
; AccumOffset: 4
; Occupancy: 8
; WaveLimiterHint : 0
; COMPUTE_PGM_RSRC2:SCRATCH_EN: 0
; COMPUTE_PGM_RSRC2:USER_SGPR: 6
; COMPUTE_PGM_RSRC2:TRAP_HANDLER: 0
; COMPUTE_PGM_RSRC2:TGID_X_EN: 1
; COMPUTE_PGM_RSRC2:TGID_Y_EN: 0
; COMPUTE_PGM_RSRC2:TGID_Z_EN: 0
; COMPUTE_PGM_RSRC2:TIDIG_COMP_CNT: 0
; COMPUTE_PGM_RSRC3_GFX90A:ACCUM_OFFSET: 0
; COMPUTE_PGM_RSRC3_GFX90A:TG_SPLIT: 0
	.section	.text._ZN7rocprim17ROCPRIM_400000_NS6detail17trampoline_kernelINS0_14default_configENS1_29reduce_by_key_config_selectorItjN6thrust23THRUST_200600_302600_NS4plusIjEEEEZZNS1_33reduce_by_key_impl_wrapped_configILNS1_25lookback_scan_determinismE0ES3_S9_NS6_6detail15normal_iteratorINS6_10device_ptrItEEEENSD_INSE_IjEEEESG_SI_PmS8_NS6_8equal_toItEEEE10hipError_tPvRmT2_T3_mT4_T5_T6_T7_T8_P12ihipStream_tbENKUlT_T0_E_clISt17integral_constantIbLb1EES12_IbLb0EEEEDaSY_SZ_EUlSY_E_NS1_11comp_targetILNS1_3genE10ELNS1_11target_archE1201ELNS1_3gpuE5ELNS1_3repE0EEENS1_30default_config_static_selectorELNS0_4arch9wavefront6targetE1EEEvT1_,"axG",@progbits,_ZN7rocprim17ROCPRIM_400000_NS6detail17trampoline_kernelINS0_14default_configENS1_29reduce_by_key_config_selectorItjN6thrust23THRUST_200600_302600_NS4plusIjEEEEZZNS1_33reduce_by_key_impl_wrapped_configILNS1_25lookback_scan_determinismE0ES3_S9_NS6_6detail15normal_iteratorINS6_10device_ptrItEEEENSD_INSE_IjEEEESG_SI_PmS8_NS6_8equal_toItEEEE10hipError_tPvRmT2_T3_mT4_T5_T6_T7_T8_P12ihipStream_tbENKUlT_T0_E_clISt17integral_constantIbLb1EES12_IbLb0EEEEDaSY_SZ_EUlSY_E_NS1_11comp_targetILNS1_3genE10ELNS1_11target_archE1201ELNS1_3gpuE5ELNS1_3repE0EEENS1_30default_config_static_selectorELNS0_4arch9wavefront6targetE1EEEvT1_,comdat
	.protected	_ZN7rocprim17ROCPRIM_400000_NS6detail17trampoline_kernelINS0_14default_configENS1_29reduce_by_key_config_selectorItjN6thrust23THRUST_200600_302600_NS4plusIjEEEEZZNS1_33reduce_by_key_impl_wrapped_configILNS1_25lookback_scan_determinismE0ES3_S9_NS6_6detail15normal_iteratorINS6_10device_ptrItEEEENSD_INSE_IjEEEESG_SI_PmS8_NS6_8equal_toItEEEE10hipError_tPvRmT2_T3_mT4_T5_T6_T7_T8_P12ihipStream_tbENKUlT_T0_E_clISt17integral_constantIbLb1EES12_IbLb0EEEEDaSY_SZ_EUlSY_E_NS1_11comp_targetILNS1_3genE10ELNS1_11target_archE1201ELNS1_3gpuE5ELNS1_3repE0EEENS1_30default_config_static_selectorELNS0_4arch9wavefront6targetE1EEEvT1_ ; -- Begin function _ZN7rocprim17ROCPRIM_400000_NS6detail17trampoline_kernelINS0_14default_configENS1_29reduce_by_key_config_selectorItjN6thrust23THRUST_200600_302600_NS4plusIjEEEEZZNS1_33reduce_by_key_impl_wrapped_configILNS1_25lookback_scan_determinismE0ES3_S9_NS6_6detail15normal_iteratorINS6_10device_ptrItEEEENSD_INSE_IjEEEESG_SI_PmS8_NS6_8equal_toItEEEE10hipError_tPvRmT2_T3_mT4_T5_T6_T7_T8_P12ihipStream_tbENKUlT_T0_E_clISt17integral_constantIbLb1EES12_IbLb0EEEEDaSY_SZ_EUlSY_E_NS1_11comp_targetILNS1_3genE10ELNS1_11target_archE1201ELNS1_3gpuE5ELNS1_3repE0EEENS1_30default_config_static_selectorELNS0_4arch9wavefront6targetE1EEEvT1_
	.globl	_ZN7rocprim17ROCPRIM_400000_NS6detail17trampoline_kernelINS0_14default_configENS1_29reduce_by_key_config_selectorItjN6thrust23THRUST_200600_302600_NS4plusIjEEEEZZNS1_33reduce_by_key_impl_wrapped_configILNS1_25lookback_scan_determinismE0ES3_S9_NS6_6detail15normal_iteratorINS6_10device_ptrItEEEENSD_INSE_IjEEEESG_SI_PmS8_NS6_8equal_toItEEEE10hipError_tPvRmT2_T3_mT4_T5_T6_T7_T8_P12ihipStream_tbENKUlT_T0_E_clISt17integral_constantIbLb1EES12_IbLb0EEEEDaSY_SZ_EUlSY_E_NS1_11comp_targetILNS1_3genE10ELNS1_11target_archE1201ELNS1_3gpuE5ELNS1_3repE0EEENS1_30default_config_static_selectorELNS0_4arch9wavefront6targetE1EEEvT1_
	.p2align	8
	.type	_ZN7rocprim17ROCPRIM_400000_NS6detail17trampoline_kernelINS0_14default_configENS1_29reduce_by_key_config_selectorItjN6thrust23THRUST_200600_302600_NS4plusIjEEEEZZNS1_33reduce_by_key_impl_wrapped_configILNS1_25lookback_scan_determinismE0ES3_S9_NS6_6detail15normal_iteratorINS6_10device_ptrItEEEENSD_INSE_IjEEEESG_SI_PmS8_NS6_8equal_toItEEEE10hipError_tPvRmT2_T3_mT4_T5_T6_T7_T8_P12ihipStream_tbENKUlT_T0_E_clISt17integral_constantIbLb1EES12_IbLb0EEEEDaSY_SZ_EUlSY_E_NS1_11comp_targetILNS1_3genE10ELNS1_11target_archE1201ELNS1_3gpuE5ELNS1_3repE0EEENS1_30default_config_static_selectorELNS0_4arch9wavefront6targetE1EEEvT1_,@function
_ZN7rocprim17ROCPRIM_400000_NS6detail17trampoline_kernelINS0_14default_configENS1_29reduce_by_key_config_selectorItjN6thrust23THRUST_200600_302600_NS4plusIjEEEEZZNS1_33reduce_by_key_impl_wrapped_configILNS1_25lookback_scan_determinismE0ES3_S9_NS6_6detail15normal_iteratorINS6_10device_ptrItEEEENSD_INSE_IjEEEESG_SI_PmS8_NS6_8equal_toItEEEE10hipError_tPvRmT2_T3_mT4_T5_T6_T7_T8_P12ihipStream_tbENKUlT_T0_E_clISt17integral_constantIbLb1EES12_IbLb0EEEEDaSY_SZ_EUlSY_E_NS1_11comp_targetILNS1_3genE10ELNS1_11target_archE1201ELNS1_3gpuE5ELNS1_3repE0EEENS1_30default_config_static_selectorELNS0_4arch9wavefront6targetE1EEEvT1_: ; @_ZN7rocprim17ROCPRIM_400000_NS6detail17trampoline_kernelINS0_14default_configENS1_29reduce_by_key_config_selectorItjN6thrust23THRUST_200600_302600_NS4plusIjEEEEZZNS1_33reduce_by_key_impl_wrapped_configILNS1_25lookback_scan_determinismE0ES3_S9_NS6_6detail15normal_iteratorINS6_10device_ptrItEEEENSD_INSE_IjEEEESG_SI_PmS8_NS6_8equal_toItEEEE10hipError_tPvRmT2_T3_mT4_T5_T6_T7_T8_P12ihipStream_tbENKUlT_T0_E_clISt17integral_constantIbLb1EES12_IbLb0EEEEDaSY_SZ_EUlSY_E_NS1_11comp_targetILNS1_3genE10ELNS1_11target_archE1201ELNS1_3gpuE5ELNS1_3repE0EEENS1_30default_config_static_selectorELNS0_4arch9wavefront6targetE1EEEvT1_
; %bb.0:
	.section	.rodata,"a",@progbits
	.p2align	6, 0x0
	.amdhsa_kernel _ZN7rocprim17ROCPRIM_400000_NS6detail17trampoline_kernelINS0_14default_configENS1_29reduce_by_key_config_selectorItjN6thrust23THRUST_200600_302600_NS4plusIjEEEEZZNS1_33reduce_by_key_impl_wrapped_configILNS1_25lookback_scan_determinismE0ES3_S9_NS6_6detail15normal_iteratorINS6_10device_ptrItEEEENSD_INSE_IjEEEESG_SI_PmS8_NS6_8equal_toItEEEE10hipError_tPvRmT2_T3_mT4_T5_T6_T7_T8_P12ihipStream_tbENKUlT_T0_E_clISt17integral_constantIbLb1EES12_IbLb0EEEEDaSY_SZ_EUlSY_E_NS1_11comp_targetILNS1_3genE10ELNS1_11target_archE1201ELNS1_3gpuE5ELNS1_3repE0EEENS1_30default_config_static_selectorELNS0_4arch9wavefront6targetE1EEEvT1_
		.amdhsa_group_segment_fixed_size 0
		.amdhsa_private_segment_fixed_size 0
		.amdhsa_kernarg_size 120
		.amdhsa_user_sgpr_count 6
		.amdhsa_user_sgpr_private_segment_buffer 1
		.amdhsa_user_sgpr_dispatch_ptr 0
		.amdhsa_user_sgpr_queue_ptr 0
		.amdhsa_user_sgpr_kernarg_segment_ptr 1
		.amdhsa_user_sgpr_dispatch_id 0
		.amdhsa_user_sgpr_flat_scratch_init 0
		.amdhsa_user_sgpr_kernarg_preload_length 0
		.amdhsa_user_sgpr_kernarg_preload_offset 0
		.amdhsa_user_sgpr_private_segment_size 0
		.amdhsa_uses_dynamic_stack 0
		.amdhsa_system_sgpr_private_segment_wavefront_offset 0
		.amdhsa_system_sgpr_workgroup_id_x 1
		.amdhsa_system_sgpr_workgroup_id_y 0
		.amdhsa_system_sgpr_workgroup_id_z 0
		.amdhsa_system_sgpr_workgroup_info 0
		.amdhsa_system_vgpr_workitem_id 0
		.amdhsa_next_free_vgpr 1
		.amdhsa_next_free_sgpr 0
		.amdhsa_accum_offset 4
		.amdhsa_reserve_vcc 0
		.amdhsa_reserve_flat_scratch 0
		.amdhsa_float_round_mode_32 0
		.amdhsa_float_round_mode_16_64 0
		.amdhsa_float_denorm_mode_32 3
		.amdhsa_float_denorm_mode_16_64 3
		.amdhsa_dx10_clamp 1
		.amdhsa_ieee_mode 1
		.amdhsa_fp16_overflow 0
		.amdhsa_tg_split 0
		.amdhsa_exception_fp_ieee_invalid_op 0
		.amdhsa_exception_fp_denorm_src 0
		.amdhsa_exception_fp_ieee_div_zero 0
		.amdhsa_exception_fp_ieee_overflow 0
		.amdhsa_exception_fp_ieee_underflow 0
		.amdhsa_exception_fp_ieee_inexact 0
		.amdhsa_exception_int_div_zero 0
	.end_amdhsa_kernel
	.section	.text._ZN7rocprim17ROCPRIM_400000_NS6detail17trampoline_kernelINS0_14default_configENS1_29reduce_by_key_config_selectorItjN6thrust23THRUST_200600_302600_NS4plusIjEEEEZZNS1_33reduce_by_key_impl_wrapped_configILNS1_25lookback_scan_determinismE0ES3_S9_NS6_6detail15normal_iteratorINS6_10device_ptrItEEEENSD_INSE_IjEEEESG_SI_PmS8_NS6_8equal_toItEEEE10hipError_tPvRmT2_T3_mT4_T5_T6_T7_T8_P12ihipStream_tbENKUlT_T0_E_clISt17integral_constantIbLb1EES12_IbLb0EEEEDaSY_SZ_EUlSY_E_NS1_11comp_targetILNS1_3genE10ELNS1_11target_archE1201ELNS1_3gpuE5ELNS1_3repE0EEENS1_30default_config_static_selectorELNS0_4arch9wavefront6targetE1EEEvT1_,"axG",@progbits,_ZN7rocprim17ROCPRIM_400000_NS6detail17trampoline_kernelINS0_14default_configENS1_29reduce_by_key_config_selectorItjN6thrust23THRUST_200600_302600_NS4plusIjEEEEZZNS1_33reduce_by_key_impl_wrapped_configILNS1_25lookback_scan_determinismE0ES3_S9_NS6_6detail15normal_iteratorINS6_10device_ptrItEEEENSD_INSE_IjEEEESG_SI_PmS8_NS6_8equal_toItEEEE10hipError_tPvRmT2_T3_mT4_T5_T6_T7_T8_P12ihipStream_tbENKUlT_T0_E_clISt17integral_constantIbLb1EES12_IbLb0EEEEDaSY_SZ_EUlSY_E_NS1_11comp_targetILNS1_3genE10ELNS1_11target_archE1201ELNS1_3gpuE5ELNS1_3repE0EEENS1_30default_config_static_selectorELNS0_4arch9wavefront6targetE1EEEvT1_,comdat
.Lfunc_end756:
	.size	_ZN7rocprim17ROCPRIM_400000_NS6detail17trampoline_kernelINS0_14default_configENS1_29reduce_by_key_config_selectorItjN6thrust23THRUST_200600_302600_NS4plusIjEEEEZZNS1_33reduce_by_key_impl_wrapped_configILNS1_25lookback_scan_determinismE0ES3_S9_NS6_6detail15normal_iteratorINS6_10device_ptrItEEEENSD_INSE_IjEEEESG_SI_PmS8_NS6_8equal_toItEEEE10hipError_tPvRmT2_T3_mT4_T5_T6_T7_T8_P12ihipStream_tbENKUlT_T0_E_clISt17integral_constantIbLb1EES12_IbLb0EEEEDaSY_SZ_EUlSY_E_NS1_11comp_targetILNS1_3genE10ELNS1_11target_archE1201ELNS1_3gpuE5ELNS1_3repE0EEENS1_30default_config_static_selectorELNS0_4arch9wavefront6targetE1EEEvT1_, .Lfunc_end756-_ZN7rocprim17ROCPRIM_400000_NS6detail17trampoline_kernelINS0_14default_configENS1_29reduce_by_key_config_selectorItjN6thrust23THRUST_200600_302600_NS4plusIjEEEEZZNS1_33reduce_by_key_impl_wrapped_configILNS1_25lookback_scan_determinismE0ES3_S9_NS6_6detail15normal_iteratorINS6_10device_ptrItEEEENSD_INSE_IjEEEESG_SI_PmS8_NS6_8equal_toItEEEE10hipError_tPvRmT2_T3_mT4_T5_T6_T7_T8_P12ihipStream_tbENKUlT_T0_E_clISt17integral_constantIbLb1EES12_IbLb0EEEEDaSY_SZ_EUlSY_E_NS1_11comp_targetILNS1_3genE10ELNS1_11target_archE1201ELNS1_3gpuE5ELNS1_3repE0EEENS1_30default_config_static_selectorELNS0_4arch9wavefront6targetE1EEEvT1_
                                        ; -- End function
	.section	.AMDGPU.csdata,"",@progbits
; Kernel info:
; codeLenInByte = 0
; NumSgprs: 4
; NumVgprs: 0
; NumAgprs: 0
; TotalNumVgprs: 0
; ScratchSize: 0
; MemoryBound: 0
; FloatMode: 240
; IeeeMode: 1
; LDSByteSize: 0 bytes/workgroup (compile time only)
; SGPRBlocks: 0
; VGPRBlocks: 0
; NumSGPRsForWavesPerEU: 4
; NumVGPRsForWavesPerEU: 1
; AccumOffset: 4
; Occupancy: 8
; WaveLimiterHint : 0
; COMPUTE_PGM_RSRC2:SCRATCH_EN: 0
; COMPUTE_PGM_RSRC2:USER_SGPR: 6
; COMPUTE_PGM_RSRC2:TRAP_HANDLER: 0
; COMPUTE_PGM_RSRC2:TGID_X_EN: 1
; COMPUTE_PGM_RSRC2:TGID_Y_EN: 0
; COMPUTE_PGM_RSRC2:TGID_Z_EN: 0
; COMPUTE_PGM_RSRC2:TIDIG_COMP_CNT: 0
; COMPUTE_PGM_RSRC3_GFX90A:ACCUM_OFFSET: 0
; COMPUTE_PGM_RSRC3_GFX90A:TG_SPLIT: 0
	.section	.text._ZN7rocprim17ROCPRIM_400000_NS6detail17trampoline_kernelINS0_14default_configENS1_29reduce_by_key_config_selectorItjN6thrust23THRUST_200600_302600_NS4plusIjEEEEZZNS1_33reduce_by_key_impl_wrapped_configILNS1_25lookback_scan_determinismE0ES3_S9_NS6_6detail15normal_iteratorINS6_10device_ptrItEEEENSD_INSE_IjEEEESG_SI_PmS8_NS6_8equal_toItEEEE10hipError_tPvRmT2_T3_mT4_T5_T6_T7_T8_P12ihipStream_tbENKUlT_T0_E_clISt17integral_constantIbLb1EES12_IbLb0EEEEDaSY_SZ_EUlSY_E_NS1_11comp_targetILNS1_3genE10ELNS1_11target_archE1200ELNS1_3gpuE4ELNS1_3repE0EEENS1_30default_config_static_selectorELNS0_4arch9wavefront6targetE1EEEvT1_,"axG",@progbits,_ZN7rocprim17ROCPRIM_400000_NS6detail17trampoline_kernelINS0_14default_configENS1_29reduce_by_key_config_selectorItjN6thrust23THRUST_200600_302600_NS4plusIjEEEEZZNS1_33reduce_by_key_impl_wrapped_configILNS1_25lookback_scan_determinismE0ES3_S9_NS6_6detail15normal_iteratorINS6_10device_ptrItEEEENSD_INSE_IjEEEESG_SI_PmS8_NS6_8equal_toItEEEE10hipError_tPvRmT2_T3_mT4_T5_T6_T7_T8_P12ihipStream_tbENKUlT_T0_E_clISt17integral_constantIbLb1EES12_IbLb0EEEEDaSY_SZ_EUlSY_E_NS1_11comp_targetILNS1_3genE10ELNS1_11target_archE1200ELNS1_3gpuE4ELNS1_3repE0EEENS1_30default_config_static_selectorELNS0_4arch9wavefront6targetE1EEEvT1_,comdat
	.protected	_ZN7rocprim17ROCPRIM_400000_NS6detail17trampoline_kernelINS0_14default_configENS1_29reduce_by_key_config_selectorItjN6thrust23THRUST_200600_302600_NS4plusIjEEEEZZNS1_33reduce_by_key_impl_wrapped_configILNS1_25lookback_scan_determinismE0ES3_S9_NS6_6detail15normal_iteratorINS6_10device_ptrItEEEENSD_INSE_IjEEEESG_SI_PmS8_NS6_8equal_toItEEEE10hipError_tPvRmT2_T3_mT4_T5_T6_T7_T8_P12ihipStream_tbENKUlT_T0_E_clISt17integral_constantIbLb1EES12_IbLb0EEEEDaSY_SZ_EUlSY_E_NS1_11comp_targetILNS1_3genE10ELNS1_11target_archE1200ELNS1_3gpuE4ELNS1_3repE0EEENS1_30default_config_static_selectorELNS0_4arch9wavefront6targetE1EEEvT1_ ; -- Begin function _ZN7rocprim17ROCPRIM_400000_NS6detail17trampoline_kernelINS0_14default_configENS1_29reduce_by_key_config_selectorItjN6thrust23THRUST_200600_302600_NS4plusIjEEEEZZNS1_33reduce_by_key_impl_wrapped_configILNS1_25lookback_scan_determinismE0ES3_S9_NS6_6detail15normal_iteratorINS6_10device_ptrItEEEENSD_INSE_IjEEEESG_SI_PmS8_NS6_8equal_toItEEEE10hipError_tPvRmT2_T3_mT4_T5_T6_T7_T8_P12ihipStream_tbENKUlT_T0_E_clISt17integral_constantIbLb1EES12_IbLb0EEEEDaSY_SZ_EUlSY_E_NS1_11comp_targetILNS1_3genE10ELNS1_11target_archE1200ELNS1_3gpuE4ELNS1_3repE0EEENS1_30default_config_static_selectorELNS0_4arch9wavefront6targetE1EEEvT1_
	.globl	_ZN7rocprim17ROCPRIM_400000_NS6detail17trampoline_kernelINS0_14default_configENS1_29reduce_by_key_config_selectorItjN6thrust23THRUST_200600_302600_NS4plusIjEEEEZZNS1_33reduce_by_key_impl_wrapped_configILNS1_25lookback_scan_determinismE0ES3_S9_NS6_6detail15normal_iteratorINS6_10device_ptrItEEEENSD_INSE_IjEEEESG_SI_PmS8_NS6_8equal_toItEEEE10hipError_tPvRmT2_T3_mT4_T5_T6_T7_T8_P12ihipStream_tbENKUlT_T0_E_clISt17integral_constantIbLb1EES12_IbLb0EEEEDaSY_SZ_EUlSY_E_NS1_11comp_targetILNS1_3genE10ELNS1_11target_archE1200ELNS1_3gpuE4ELNS1_3repE0EEENS1_30default_config_static_selectorELNS0_4arch9wavefront6targetE1EEEvT1_
	.p2align	8
	.type	_ZN7rocprim17ROCPRIM_400000_NS6detail17trampoline_kernelINS0_14default_configENS1_29reduce_by_key_config_selectorItjN6thrust23THRUST_200600_302600_NS4plusIjEEEEZZNS1_33reduce_by_key_impl_wrapped_configILNS1_25lookback_scan_determinismE0ES3_S9_NS6_6detail15normal_iteratorINS6_10device_ptrItEEEENSD_INSE_IjEEEESG_SI_PmS8_NS6_8equal_toItEEEE10hipError_tPvRmT2_T3_mT4_T5_T6_T7_T8_P12ihipStream_tbENKUlT_T0_E_clISt17integral_constantIbLb1EES12_IbLb0EEEEDaSY_SZ_EUlSY_E_NS1_11comp_targetILNS1_3genE10ELNS1_11target_archE1200ELNS1_3gpuE4ELNS1_3repE0EEENS1_30default_config_static_selectorELNS0_4arch9wavefront6targetE1EEEvT1_,@function
_ZN7rocprim17ROCPRIM_400000_NS6detail17trampoline_kernelINS0_14default_configENS1_29reduce_by_key_config_selectorItjN6thrust23THRUST_200600_302600_NS4plusIjEEEEZZNS1_33reduce_by_key_impl_wrapped_configILNS1_25lookback_scan_determinismE0ES3_S9_NS6_6detail15normal_iteratorINS6_10device_ptrItEEEENSD_INSE_IjEEEESG_SI_PmS8_NS6_8equal_toItEEEE10hipError_tPvRmT2_T3_mT4_T5_T6_T7_T8_P12ihipStream_tbENKUlT_T0_E_clISt17integral_constantIbLb1EES12_IbLb0EEEEDaSY_SZ_EUlSY_E_NS1_11comp_targetILNS1_3genE10ELNS1_11target_archE1200ELNS1_3gpuE4ELNS1_3repE0EEENS1_30default_config_static_selectorELNS0_4arch9wavefront6targetE1EEEvT1_: ; @_ZN7rocprim17ROCPRIM_400000_NS6detail17trampoline_kernelINS0_14default_configENS1_29reduce_by_key_config_selectorItjN6thrust23THRUST_200600_302600_NS4plusIjEEEEZZNS1_33reduce_by_key_impl_wrapped_configILNS1_25lookback_scan_determinismE0ES3_S9_NS6_6detail15normal_iteratorINS6_10device_ptrItEEEENSD_INSE_IjEEEESG_SI_PmS8_NS6_8equal_toItEEEE10hipError_tPvRmT2_T3_mT4_T5_T6_T7_T8_P12ihipStream_tbENKUlT_T0_E_clISt17integral_constantIbLb1EES12_IbLb0EEEEDaSY_SZ_EUlSY_E_NS1_11comp_targetILNS1_3genE10ELNS1_11target_archE1200ELNS1_3gpuE4ELNS1_3repE0EEENS1_30default_config_static_selectorELNS0_4arch9wavefront6targetE1EEEvT1_
; %bb.0:
	.section	.rodata,"a",@progbits
	.p2align	6, 0x0
	.amdhsa_kernel _ZN7rocprim17ROCPRIM_400000_NS6detail17trampoline_kernelINS0_14default_configENS1_29reduce_by_key_config_selectorItjN6thrust23THRUST_200600_302600_NS4plusIjEEEEZZNS1_33reduce_by_key_impl_wrapped_configILNS1_25lookback_scan_determinismE0ES3_S9_NS6_6detail15normal_iteratorINS6_10device_ptrItEEEENSD_INSE_IjEEEESG_SI_PmS8_NS6_8equal_toItEEEE10hipError_tPvRmT2_T3_mT4_T5_T6_T7_T8_P12ihipStream_tbENKUlT_T0_E_clISt17integral_constantIbLb1EES12_IbLb0EEEEDaSY_SZ_EUlSY_E_NS1_11comp_targetILNS1_3genE10ELNS1_11target_archE1200ELNS1_3gpuE4ELNS1_3repE0EEENS1_30default_config_static_selectorELNS0_4arch9wavefront6targetE1EEEvT1_
		.amdhsa_group_segment_fixed_size 0
		.amdhsa_private_segment_fixed_size 0
		.amdhsa_kernarg_size 120
		.amdhsa_user_sgpr_count 6
		.amdhsa_user_sgpr_private_segment_buffer 1
		.amdhsa_user_sgpr_dispatch_ptr 0
		.amdhsa_user_sgpr_queue_ptr 0
		.amdhsa_user_sgpr_kernarg_segment_ptr 1
		.amdhsa_user_sgpr_dispatch_id 0
		.amdhsa_user_sgpr_flat_scratch_init 0
		.amdhsa_user_sgpr_kernarg_preload_length 0
		.amdhsa_user_sgpr_kernarg_preload_offset 0
		.amdhsa_user_sgpr_private_segment_size 0
		.amdhsa_uses_dynamic_stack 0
		.amdhsa_system_sgpr_private_segment_wavefront_offset 0
		.amdhsa_system_sgpr_workgroup_id_x 1
		.amdhsa_system_sgpr_workgroup_id_y 0
		.amdhsa_system_sgpr_workgroup_id_z 0
		.amdhsa_system_sgpr_workgroup_info 0
		.amdhsa_system_vgpr_workitem_id 0
		.amdhsa_next_free_vgpr 1
		.amdhsa_next_free_sgpr 0
		.amdhsa_accum_offset 4
		.amdhsa_reserve_vcc 0
		.amdhsa_reserve_flat_scratch 0
		.amdhsa_float_round_mode_32 0
		.amdhsa_float_round_mode_16_64 0
		.amdhsa_float_denorm_mode_32 3
		.amdhsa_float_denorm_mode_16_64 3
		.amdhsa_dx10_clamp 1
		.amdhsa_ieee_mode 1
		.amdhsa_fp16_overflow 0
		.amdhsa_tg_split 0
		.amdhsa_exception_fp_ieee_invalid_op 0
		.amdhsa_exception_fp_denorm_src 0
		.amdhsa_exception_fp_ieee_div_zero 0
		.amdhsa_exception_fp_ieee_overflow 0
		.amdhsa_exception_fp_ieee_underflow 0
		.amdhsa_exception_fp_ieee_inexact 0
		.amdhsa_exception_int_div_zero 0
	.end_amdhsa_kernel
	.section	.text._ZN7rocprim17ROCPRIM_400000_NS6detail17trampoline_kernelINS0_14default_configENS1_29reduce_by_key_config_selectorItjN6thrust23THRUST_200600_302600_NS4plusIjEEEEZZNS1_33reduce_by_key_impl_wrapped_configILNS1_25lookback_scan_determinismE0ES3_S9_NS6_6detail15normal_iteratorINS6_10device_ptrItEEEENSD_INSE_IjEEEESG_SI_PmS8_NS6_8equal_toItEEEE10hipError_tPvRmT2_T3_mT4_T5_T6_T7_T8_P12ihipStream_tbENKUlT_T0_E_clISt17integral_constantIbLb1EES12_IbLb0EEEEDaSY_SZ_EUlSY_E_NS1_11comp_targetILNS1_3genE10ELNS1_11target_archE1200ELNS1_3gpuE4ELNS1_3repE0EEENS1_30default_config_static_selectorELNS0_4arch9wavefront6targetE1EEEvT1_,"axG",@progbits,_ZN7rocprim17ROCPRIM_400000_NS6detail17trampoline_kernelINS0_14default_configENS1_29reduce_by_key_config_selectorItjN6thrust23THRUST_200600_302600_NS4plusIjEEEEZZNS1_33reduce_by_key_impl_wrapped_configILNS1_25lookback_scan_determinismE0ES3_S9_NS6_6detail15normal_iteratorINS6_10device_ptrItEEEENSD_INSE_IjEEEESG_SI_PmS8_NS6_8equal_toItEEEE10hipError_tPvRmT2_T3_mT4_T5_T6_T7_T8_P12ihipStream_tbENKUlT_T0_E_clISt17integral_constantIbLb1EES12_IbLb0EEEEDaSY_SZ_EUlSY_E_NS1_11comp_targetILNS1_3genE10ELNS1_11target_archE1200ELNS1_3gpuE4ELNS1_3repE0EEENS1_30default_config_static_selectorELNS0_4arch9wavefront6targetE1EEEvT1_,comdat
.Lfunc_end757:
	.size	_ZN7rocprim17ROCPRIM_400000_NS6detail17trampoline_kernelINS0_14default_configENS1_29reduce_by_key_config_selectorItjN6thrust23THRUST_200600_302600_NS4plusIjEEEEZZNS1_33reduce_by_key_impl_wrapped_configILNS1_25lookback_scan_determinismE0ES3_S9_NS6_6detail15normal_iteratorINS6_10device_ptrItEEEENSD_INSE_IjEEEESG_SI_PmS8_NS6_8equal_toItEEEE10hipError_tPvRmT2_T3_mT4_T5_T6_T7_T8_P12ihipStream_tbENKUlT_T0_E_clISt17integral_constantIbLb1EES12_IbLb0EEEEDaSY_SZ_EUlSY_E_NS1_11comp_targetILNS1_3genE10ELNS1_11target_archE1200ELNS1_3gpuE4ELNS1_3repE0EEENS1_30default_config_static_selectorELNS0_4arch9wavefront6targetE1EEEvT1_, .Lfunc_end757-_ZN7rocprim17ROCPRIM_400000_NS6detail17trampoline_kernelINS0_14default_configENS1_29reduce_by_key_config_selectorItjN6thrust23THRUST_200600_302600_NS4plusIjEEEEZZNS1_33reduce_by_key_impl_wrapped_configILNS1_25lookback_scan_determinismE0ES3_S9_NS6_6detail15normal_iteratorINS6_10device_ptrItEEEENSD_INSE_IjEEEESG_SI_PmS8_NS6_8equal_toItEEEE10hipError_tPvRmT2_T3_mT4_T5_T6_T7_T8_P12ihipStream_tbENKUlT_T0_E_clISt17integral_constantIbLb1EES12_IbLb0EEEEDaSY_SZ_EUlSY_E_NS1_11comp_targetILNS1_3genE10ELNS1_11target_archE1200ELNS1_3gpuE4ELNS1_3repE0EEENS1_30default_config_static_selectorELNS0_4arch9wavefront6targetE1EEEvT1_
                                        ; -- End function
	.section	.AMDGPU.csdata,"",@progbits
; Kernel info:
; codeLenInByte = 0
; NumSgprs: 4
; NumVgprs: 0
; NumAgprs: 0
; TotalNumVgprs: 0
; ScratchSize: 0
; MemoryBound: 0
; FloatMode: 240
; IeeeMode: 1
; LDSByteSize: 0 bytes/workgroup (compile time only)
; SGPRBlocks: 0
; VGPRBlocks: 0
; NumSGPRsForWavesPerEU: 4
; NumVGPRsForWavesPerEU: 1
; AccumOffset: 4
; Occupancy: 8
; WaveLimiterHint : 0
; COMPUTE_PGM_RSRC2:SCRATCH_EN: 0
; COMPUTE_PGM_RSRC2:USER_SGPR: 6
; COMPUTE_PGM_RSRC2:TRAP_HANDLER: 0
; COMPUTE_PGM_RSRC2:TGID_X_EN: 1
; COMPUTE_PGM_RSRC2:TGID_Y_EN: 0
; COMPUTE_PGM_RSRC2:TGID_Z_EN: 0
; COMPUTE_PGM_RSRC2:TIDIG_COMP_CNT: 0
; COMPUTE_PGM_RSRC3_GFX90A:ACCUM_OFFSET: 0
; COMPUTE_PGM_RSRC3_GFX90A:TG_SPLIT: 0
	.section	.text._ZN7rocprim17ROCPRIM_400000_NS6detail17trampoline_kernelINS0_14default_configENS1_29reduce_by_key_config_selectorItjN6thrust23THRUST_200600_302600_NS4plusIjEEEEZZNS1_33reduce_by_key_impl_wrapped_configILNS1_25lookback_scan_determinismE0ES3_S9_NS6_6detail15normal_iteratorINS6_10device_ptrItEEEENSD_INSE_IjEEEESG_SI_PmS8_NS6_8equal_toItEEEE10hipError_tPvRmT2_T3_mT4_T5_T6_T7_T8_P12ihipStream_tbENKUlT_T0_E_clISt17integral_constantIbLb1EES12_IbLb0EEEEDaSY_SZ_EUlSY_E_NS1_11comp_targetILNS1_3genE9ELNS1_11target_archE1100ELNS1_3gpuE3ELNS1_3repE0EEENS1_30default_config_static_selectorELNS0_4arch9wavefront6targetE1EEEvT1_,"axG",@progbits,_ZN7rocprim17ROCPRIM_400000_NS6detail17trampoline_kernelINS0_14default_configENS1_29reduce_by_key_config_selectorItjN6thrust23THRUST_200600_302600_NS4plusIjEEEEZZNS1_33reduce_by_key_impl_wrapped_configILNS1_25lookback_scan_determinismE0ES3_S9_NS6_6detail15normal_iteratorINS6_10device_ptrItEEEENSD_INSE_IjEEEESG_SI_PmS8_NS6_8equal_toItEEEE10hipError_tPvRmT2_T3_mT4_T5_T6_T7_T8_P12ihipStream_tbENKUlT_T0_E_clISt17integral_constantIbLb1EES12_IbLb0EEEEDaSY_SZ_EUlSY_E_NS1_11comp_targetILNS1_3genE9ELNS1_11target_archE1100ELNS1_3gpuE3ELNS1_3repE0EEENS1_30default_config_static_selectorELNS0_4arch9wavefront6targetE1EEEvT1_,comdat
	.protected	_ZN7rocprim17ROCPRIM_400000_NS6detail17trampoline_kernelINS0_14default_configENS1_29reduce_by_key_config_selectorItjN6thrust23THRUST_200600_302600_NS4plusIjEEEEZZNS1_33reduce_by_key_impl_wrapped_configILNS1_25lookback_scan_determinismE0ES3_S9_NS6_6detail15normal_iteratorINS6_10device_ptrItEEEENSD_INSE_IjEEEESG_SI_PmS8_NS6_8equal_toItEEEE10hipError_tPvRmT2_T3_mT4_T5_T6_T7_T8_P12ihipStream_tbENKUlT_T0_E_clISt17integral_constantIbLb1EES12_IbLb0EEEEDaSY_SZ_EUlSY_E_NS1_11comp_targetILNS1_3genE9ELNS1_11target_archE1100ELNS1_3gpuE3ELNS1_3repE0EEENS1_30default_config_static_selectorELNS0_4arch9wavefront6targetE1EEEvT1_ ; -- Begin function _ZN7rocprim17ROCPRIM_400000_NS6detail17trampoline_kernelINS0_14default_configENS1_29reduce_by_key_config_selectorItjN6thrust23THRUST_200600_302600_NS4plusIjEEEEZZNS1_33reduce_by_key_impl_wrapped_configILNS1_25lookback_scan_determinismE0ES3_S9_NS6_6detail15normal_iteratorINS6_10device_ptrItEEEENSD_INSE_IjEEEESG_SI_PmS8_NS6_8equal_toItEEEE10hipError_tPvRmT2_T3_mT4_T5_T6_T7_T8_P12ihipStream_tbENKUlT_T0_E_clISt17integral_constantIbLb1EES12_IbLb0EEEEDaSY_SZ_EUlSY_E_NS1_11comp_targetILNS1_3genE9ELNS1_11target_archE1100ELNS1_3gpuE3ELNS1_3repE0EEENS1_30default_config_static_selectorELNS0_4arch9wavefront6targetE1EEEvT1_
	.globl	_ZN7rocprim17ROCPRIM_400000_NS6detail17trampoline_kernelINS0_14default_configENS1_29reduce_by_key_config_selectorItjN6thrust23THRUST_200600_302600_NS4plusIjEEEEZZNS1_33reduce_by_key_impl_wrapped_configILNS1_25lookback_scan_determinismE0ES3_S9_NS6_6detail15normal_iteratorINS6_10device_ptrItEEEENSD_INSE_IjEEEESG_SI_PmS8_NS6_8equal_toItEEEE10hipError_tPvRmT2_T3_mT4_T5_T6_T7_T8_P12ihipStream_tbENKUlT_T0_E_clISt17integral_constantIbLb1EES12_IbLb0EEEEDaSY_SZ_EUlSY_E_NS1_11comp_targetILNS1_3genE9ELNS1_11target_archE1100ELNS1_3gpuE3ELNS1_3repE0EEENS1_30default_config_static_selectorELNS0_4arch9wavefront6targetE1EEEvT1_
	.p2align	8
	.type	_ZN7rocprim17ROCPRIM_400000_NS6detail17trampoline_kernelINS0_14default_configENS1_29reduce_by_key_config_selectorItjN6thrust23THRUST_200600_302600_NS4plusIjEEEEZZNS1_33reduce_by_key_impl_wrapped_configILNS1_25lookback_scan_determinismE0ES3_S9_NS6_6detail15normal_iteratorINS6_10device_ptrItEEEENSD_INSE_IjEEEESG_SI_PmS8_NS6_8equal_toItEEEE10hipError_tPvRmT2_T3_mT4_T5_T6_T7_T8_P12ihipStream_tbENKUlT_T0_E_clISt17integral_constantIbLb1EES12_IbLb0EEEEDaSY_SZ_EUlSY_E_NS1_11comp_targetILNS1_3genE9ELNS1_11target_archE1100ELNS1_3gpuE3ELNS1_3repE0EEENS1_30default_config_static_selectorELNS0_4arch9wavefront6targetE1EEEvT1_,@function
_ZN7rocprim17ROCPRIM_400000_NS6detail17trampoline_kernelINS0_14default_configENS1_29reduce_by_key_config_selectorItjN6thrust23THRUST_200600_302600_NS4plusIjEEEEZZNS1_33reduce_by_key_impl_wrapped_configILNS1_25lookback_scan_determinismE0ES3_S9_NS6_6detail15normal_iteratorINS6_10device_ptrItEEEENSD_INSE_IjEEEESG_SI_PmS8_NS6_8equal_toItEEEE10hipError_tPvRmT2_T3_mT4_T5_T6_T7_T8_P12ihipStream_tbENKUlT_T0_E_clISt17integral_constantIbLb1EES12_IbLb0EEEEDaSY_SZ_EUlSY_E_NS1_11comp_targetILNS1_3genE9ELNS1_11target_archE1100ELNS1_3gpuE3ELNS1_3repE0EEENS1_30default_config_static_selectorELNS0_4arch9wavefront6targetE1EEEvT1_: ; @_ZN7rocprim17ROCPRIM_400000_NS6detail17trampoline_kernelINS0_14default_configENS1_29reduce_by_key_config_selectorItjN6thrust23THRUST_200600_302600_NS4plusIjEEEEZZNS1_33reduce_by_key_impl_wrapped_configILNS1_25lookback_scan_determinismE0ES3_S9_NS6_6detail15normal_iteratorINS6_10device_ptrItEEEENSD_INSE_IjEEEESG_SI_PmS8_NS6_8equal_toItEEEE10hipError_tPvRmT2_T3_mT4_T5_T6_T7_T8_P12ihipStream_tbENKUlT_T0_E_clISt17integral_constantIbLb1EES12_IbLb0EEEEDaSY_SZ_EUlSY_E_NS1_11comp_targetILNS1_3genE9ELNS1_11target_archE1100ELNS1_3gpuE3ELNS1_3repE0EEENS1_30default_config_static_selectorELNS0_4arch9wavefront6targetE1EEEvT1_
; %bb.0:
	.section	.rodata,"a",@progbits
	.p2align	6, 0x0
	.amdhsa_kernel _ZN7rocprim17ROCPRIM_400000_NS6detail17trampoline_kernelINS0_14default_configENS1_29reduce_by_key_config_selectorItjN6thrust23THRUST_200600_302600_NS4plusIjEEEEZZNS1_33reduce_by_key_impl_wrapped_configILNS1_25lookback_scan_determinismE0ES3_S9_NS6_6detail15normal_iteratorINS6_10device_ptrItEEEENSD_INSE_IjEEEESG_SI_PmS8_NS6_8equal_toItEEEE10hipError_tPvRmT2_T3_mT4_T5_T6_T7_T8_P12ihipStream_tbENKUlT_T0_E_clISt17integral_constantIbLb1EES12_IbLb0EEEEDaSY_SZ_EUlSY_E_NS1_11comp_targetILNS1_3genE9ELNS1_11target_archE1100ELNS1_3gpuE3ELNS1_3repE0EEENS1_30default_config_static_selectorELNS0_4arch9wavefront6targetE1EEEvT1_
		.amdhsa_group_segment_fixed_size 0
		.amdhsa_private_segment_fixed_size 0
		.amdhsa_kernarg_size 120
		.amdhsa_user_sgpr_count 6
		.amdhsa_user_sgpr_private_segment_buffer 1
		.amdhsa_user_sgpr_dispatch_ptr 0
		.amdhsa_user_sgpr_queue_ptr 0
		.amdhsa_user_sgpr_kernarg_segment_ptr 1
		.amdhsa_user_sgpr_dispatch_id 0
		.amdhsa_user_sgpr_flat_scratch_init 0
		.amdhsa_user_sgpr_kernarg_preload_length 0
		.amdhsa_user_sgpr_kernarg_preload_offset 0
		.amdhsa_user_sgpr_private_segment_size 0
		.amdhsa_uses_dynamic_stack 0
		.amdhsa_system_sgpr_private_segment_wavefront_offset 0
		.amdhsa_system_sgpr_workgroup_id_x 1
		.amdhsa_system_sgpr_workgroup_id_y 0
		.amdhsa_system_sgpr_workgroup_id_z 0
		.amdhsa_system_sgpr_workgroup_info 0
		.amdhsa_system_vgpr_workitem_id 0
		.amdhsa_next_free_vgpr 1
		.amdhsa_next_free_sgpr 0
		.amdhsa_accum_offset 4
		.amdhsa_reserve_vcc 0
		.amdhsa_reserve_flat_scratch 0
		.amdhsa_float_round_mode_32 0
		.amdhsa_float_round_mode_16_64 0
		.amdhsa_float_denorm_mode_32 3
		.amdhsa_float_denorm_mode_16_64 3
		.amdhsa_dx10_clamp 1
		.amdhsa_ieee_mode 1
		.amdhsa_fp16_overflow 0
		.amdhsa_tg_split 0
		.amdhsa_exception_fp_ieee_invalid_op 0
		.amdhsa_exception_fp_denorm_src 0
		.amdhsa_exception_fp_ieee_div_zero 0
		.amdhsa_exception_fp_ieee_overflow 0
		.amdhsa_exception_fp_ieee_underflow 0
		.amdhsa_exception_fp_ieee_inexact 0
		.amdhsa_exception_int_div_zero 0
	.end_amdhsa_kernel
	.section	.text._ZN7rocprim17ROCPRIM_400000_NS6detail17trampoline_kernelINS0_14default_configENS1_29reduce_by_key_config_selectorItjN6thrust23THRUST_200600_302600_NS4plusIjEEEEZZNS1_33reduce_by_key_impl_wrapped_configILNS1_25lookback_scan_determinismE0ES3_S9_NS6_6detail15normal_iteratorINS6_10device_ptrItEEEENSD_INSE_IjEEEESG_SI_PmS8_NS6_8equal_toItEEEE10hipError_tPvRmT2_T3_mT4_T5_T6_T7_T8_P12ihipStream_tbENKUlT_T0_E_clISt17integral_constantIbLb1EES12_IbLb0EEEEDaSY_SZ_EUlSY_E_NS1_11comp_targetILNS1_3genE9ELNS1_11target_archE1100ELNS1_3gpuE3ELNS1_3repE0EEENS1_30default_config_static_selectorELNS0_4arch9wavefront6targetE1EEEvT1_,"axG",@progbits,_ZN7rocprim17ROCPRIM_400000_NS6detail17trampoline_kernelINS0_14default_configENS1_29reduce_by_key_config_selectorItjN6thrust23THRUST_200600_302600_NS4plusIjEEEEZZNS1_33reduce_by_key_impl_wrapped_configILNS1_25lookback_scan_determinismE0ES3_S9_NS6_6detail15normal_iteratorINS6_10device_ptrItEEEENSD_INSE_IjEEEESG_SI_PmS8_NS6_8equal_toItEEEE10hipError_tPvRmT2_T3_mT4_T5_T6_T7_T8_P12ihipStream_tbENKUlT_T0_E_clISt17integral_constantIbLb1EES12_IbLb0EEEEDaSY_SZ_EUlSY_E_NS1_11comp_targetILNS1_3genE9ELNS1_11target_archE1100ELNS1_3gpuE3ELNS1_3repE0EEENS1_30default_config_static_selectorELNS0_4arch9wavefront6targetE1EEEvT1_,comdat
.Lfunc_end758:
	.size	_ZN7rocprim17ROCPRIM_400000_NS6detail17trampoline_kernelINS0_14default_configENS1_29reduce_by_key_config_selectorItjN6thrust23THRUST_200600_302600_NS4plusIjEEEEZZNS1_33reduce_by_key_impl_wrapped_configILNS1_25lookback_scan_determinismE0ES3_S9_NS6_6detail15normal_iteratorINS6_10device_ptrItEEEENSD_INSE_IjEEEESG_SI_PmS8_NS6_8equal_toItEEEE10hipError_tPvRmT2_T3_mT4_T5_T6_T7_T8_P12ihipStream_tbENKUlT_T0_E_clISt17integral_constantIbLb1EES12_IbLb0EEEEDaSY_SZ_EUlSY_E_NS1_11comp_targetILNS1_3genE9ELNS1_11target_archE1100ELNS1_3gpuE3ELNS1_3repE0EEENS1_30default_config_static_selectorELNS0_4arch9wavefront6targetE1EEEvT1_, .Lfunc_end758-_ZN7rocprim17ROCPRIM_400000_NS6detail17trampoline_kernelINS0_14default_configENS1_29reduce_by_key_config_selectorItjN6thrust23THRUST_200600_302600_NS4plusIjEEEEZZNS1_33reduce_by_key_impl_wrapped_configILNS1_25lookback_scan_determinismE0ES3_S9_NS6_6detail15normal_iteratorINS6_10device_ptrItEEEENSD_INSE_IjEEEESG_SI_PmS8_NS6_8equal_toItEEEE10hipError_tPvRmT2_T3_mT4_T5_T6_T7_T8_P12ihipStream_tbENKUlT_T0_E_clISt17integral_constantIbLb1EES12_IbLb0EEEEDaSY_SZ_EUlSY_E_NS1_11comp_targetILNS1_3genE9ELNS1_11target_archE1100ELNS1_3gpuE3ELNS1_3repE0EEENS1_30default_config_static_selectorELNS0_4arch9wavefront6targetE1EEEvT1_
                                        ; -- End function
	.section	.AMDGPU.csdata,"",@progbits
; Kernel info:
; codeLenInByte = 0
; NumSgprs: 4
; NumVgprs: 0
; NumAgprs: 0
; TotalNumVgprs: 0
; ScratchSize: 0
; MemoryBound: 0
; FloatMode: 240
; IeeeMode: 1
; LDSByteSize: 0 bytes/workgroup (compile time only)
; SGPRBlocks: 0
; VGPRBlocks: 0
; NumSGPRsForWavesPerEU: 4
; NumVGPRsForWavesPerEU: 1
; AccumOffset: 4
; Occupancy: 8
; WaveLimiterHint : 0
; COMPUTE_PGM_RSRC2:SCRATCH_EN: 0
; COMPUTE_PGM_RSRC2:USER_SGPR: 6
; COMPUTE_PGM_RSRC2:TRAP_HANDLER: 0
; COMPUTE_PGM_RSRC2:TGID_X_EN: 1
; COMPUTE_PGM_RSRC2:TGID_Y_EN: 0
; COMPUTE_PGM_RSRC2:TGID_Z_EN: 0
; COMPUTE_PGM_RSRC2:TIDIG_COMP_CNT: 0
; COMPUTE_PGM_RSRC3_GFX90A:ACCUM_OFFSET: 0
; COMPUTE_PGM_RSRC3_GFX90A:TG_SPLIT: 0
	.section	.text._ZN7rocprim17ROCPRIM_400000_NS6detail17trampoline_kernelINS0_14default_configENS1_29reduce_by_key_config_selectorItjN6thrust23THRUST_200600_302600_NS4plusIjEEEEZZNS1_33reduce_by_key_impl_wrapped_configILNS1_25lookback_scan_determinismE0ES3_S9_NS6_6detail15normal_iteratorINS6_10device_ptrItEEEENSD_INSE_IjEEEESG_SI_PmS8_NS6_8equal_toItEEEE10hipError_tPvRmT2_T3_mT4_T5_T6_T7_T8_P12ihipStream_tbENKUlT_T0_E_clISt17integral_constantIbLb1EES12_IbLb0EEEEDaSY_SZ_EUlSY_E_NS1_11comp_targetILNS1_3genE8ELNS1_11target_archE1030ELNS1_3gpuE2ELNS1_3repE0EEENS1_30default_config_static_selectorELNS0_4arch9wavefront6targetE1EEEvT1_,"axG",@progbits,_ZN7rocprim17ROCPRIM_400000_NS6detail17trampoline_kernelINS0_14default_configENS1_29reduce_by_key_config_selectorItjN6thrust23THRUST_200600_302600_NS4plusIjEEEEZZNS1_33reduce_by_key_impl_wrapped_configILNS1_25lookback_scan_determinismE0ES3_S9_NS6_6detail15normal_iteratorINS6_10device_ptrItEEEENSD_INSE_IjEEEESG_SI_PmS8_NS6_8equal_toItEEEE10hipError_tPvRmT2_T3_mT4_T5_T6_T7_T8_P12ihipStream_tbENKUlT_T0_E_clISt17integral_constantIbLb1EES12_IbLb0EEEEDaSY_SZ_EUlSY_E_NS1_11comp_targetILNS1_3genE8ELNS1_11target_archE1030ELNS1_3gpuE2ELNS1_3repE0EEENS1_30default_config_static_selectorELNS0_4arch9wavefront6targetE1EEEvT1_,comdat
	.protected	_ZN7rocprim17ROCPRIM_400000_NS6detail17trampoline_kernelINS0_14default_configENS1_29reduce_by_key_config_selectorItjN6thrust23THRUST_200600_302600_NS4plusIjEEEEZZNS1_33reduce_by_key_impl_wrapped_configILNS1_25lookback_scan_determinismE0ES3_S9_NS6_6detail15normal_iteratorINS6_10device_ptrItEEEENSD_INSE_IjEEEESG_SI_PmS8_NS6_8equal_toItEEEE10hipError_tPvRmT2_T3_mT4_T5_T6_T7_T8_P12ihipStream_tbENKUlT_T0_E_clISt17integral_constantIbLb1EES12_IbLb0EEEEDaSY_SZ_EUlSY_E_NS1_11comp_targetILNS1_3genE8ELNS1_11target_archE1030ELNS1_3gpuE2ELNS1_3repE0EEENS1_30default_config_static_selectorELNS0_4arch9wavefront6targetE1EEEvT1_ ; -- Begin function _ZN7rocprim17ROCPRIM_400000_NS6detail17trampoline_kernelINS0_14default_configENS1_29reduce_by_key_config_selectorItjN6thrust23THRUST_200600_302600_NS4plusIjEEEEZZNS1_33reduce_by_key_impl_wrapped_configILNS1_25lookback_scan_determinismE0ES3_S9_NS6_6detail15normal_iteratorINS6_10device_ptrItEEEENSD_INSE_IjEEEESG_SI_PmS8_NS6_8equal_toItEEEE10hipError_tPvRmT2_T3_mT4_T5_T6_T7_T8_P12ihipStream_tbENKUlT_T0_E_clISt17integral_constantIbLb1EES12_IbLb0EEEEDaSY_SZ_EUlSY_E_NS1_11comp_targetILNS1_3genE8ELNS1_11target_archE1030ELNS1_3gpuE2ELNS1_3repE0EEENS1_30default_config_static_selectorELNS0_4arch9wavefront6targetE1EEEvT1_
	.globl	_ZN7rocprim17ROCPRIM_400000_NS6detail17trampoline_kernelINS0_14default_configENS1_29reduce_by_key_config_selectorItjN6thrust23THRUST_200600_302600_NS4plusIjEEEEZZNS1_33reduce_by_key_impl_wrapped_configILNS1_25lookback_scan_determinismE0ES3_S9_NS6_6detail15normal_iteratorINS6_10device_ptrItEEEENSD_INSE_IjEEEESG_SI_PmS8_NS6_8equal_toItEEEE10hipError_tPvRmT2_T3_mT4_T5_T6_T7_T8_P12ihipStream_tbENKUlT_T0_E_clISt17integral_constantIbLb1EES12_IbLb0EEEEDaSY_SZ_EUlSY_E_NS1_11comp_targetILNS1_3genE8ELNS1_11target_archE1030ELNS1_3gpuE2ELNS1_3repE0EEENS1_30default_config_static_selectorELNS0_4arch9wavefront6targetE1EEEvT1_
	.p2align	8
	.type	_ZN7rocprim17ROCPRIM_400000_NS6detail17trampoline_kernelINS0_14default_configENS1_29reduce_by_key_config_selectorItjN6thrust23THRUST_200600_302600_NS4plusIjEEEEZZNS1_33reduce_by_key_impl_wrapped_configILNS1_25lookback_scan_determinismE0ES3_S9_NS6_6detail15normal_iteratorINS6_10device_ptrItEEEENSD_INSE_IjEEEESG_SI_PmS8_NS6_8equal_toItEEEE10hipError_tPvRmT2_T3_mT4_T5_T6_T7_T8_P12ihipStream_tbENKUlT_T0_E_clISt17integral_constantIbLb1EES12_IbLb0EEEEDaSY_SZ_EUlSY_E_NS1_11comp_targetILNS1_3genE8ELNS1_11target_archE1030ELNS1_3gpuE2ELNS1_3repE0EEENS1_30default_config_static_selectorELNS0_4arch9wavefront6targetE1EEEvT1_,@function
_ZN7rocprim17ROCPRIM_400000_NS6detail17trampoline_kernelINS0_14default_configENS1_29reduce_by_key_config_selectorItjN6thrust23THRUST_200600_302600_NS4plusIjEEEEZZNS1_33reduce_by_key_impl_wrapped_configILNS1_25lookback_scan_determinismE0ES3_S9_NS6_6detail15normal_iteratorINS6_10device_ptrItEEEENSD_INSE_IjEEEESG_SI_PmS8_NS6_8equal_toItEEEE10hipError_tPvRmT2_T3_mT4_T5_T6_T7_T8_P12ihipStream_tbENKUlT_T0_E_clISt17integral_constantIbLb1EES12_IbLb0EEEEDaSY_SZ_EUlSY_E_NS1_11comp_targetILNS1_3genE8ELNS1_11target_archE1030ELNS1_3gpuE2ELNS1_3repE0EEENS1_30default_config_static_selectorELNS0_4arch9wavefront6targetE1EEEvT1_: ; @_ZN7rocprim17ROCPRIM_400000_NS6detail17trampoline_kernelINS0_14default_configENS1_29reduce_by_key_config_selectorItjN6thrust23THRUST_200600_302600_NS4plusIjEEEEZZNS1_33reduce_by_key_impl_wrapped_configILNS1_25lookback_scan_determinismE0ES3_S9_NS6_6detail15normal_iteratorINS6_10device_ptrItEEEENSD_INSE_IjEEEESG_SI_PmS8_NS6_8equal_toItEEEE10hipError_tPvRmT2_T3_mT4_T5_T6_T7_T8_P12ihipStream_tbENKUlT_T0_E_clISt17integral_constantIbLb1EES12_IbLb0EEEEDaSY_SZ_EUlSY_E_NS1_11comp_targetILNS1_3genE8ELNS1_11target_archE1030ELNS1_3gpuE2ELNS1_3repE0EEENS1_30default_config_static_selectorELNS0_4arch9wavefront6targetE1EEEvT1_
; %bb.0:
	.section	.rodata,"a",@progbits
	.p2align	6, 0x0
	.amdhsa_kernel _ZN7rocprim17ROCPRIM_400000_NS6detail17trampoline_kernelINS0_14default_configENS1_29reduce_by_key_config_selectorItjN6thrust23THRUST_200600_302600_NS4plusIjEEEEZZNS1_33reduce_by_key_impl_wrapped_configILNS1_25lookback_scan_determinismE0ES3_S9_NS6_6detail15normal_iteratorINS6_10device_ptrItEEEENSD_INSE_IjEEEESG_SI_PmS8_NS6_8equal_toItEEEE10hipError_tPvRmT2_T3_mT4_T5_T6_T7_T8_P12ihipStream_tbENKUlT_T0_E_clISt17integral_constantIbLb1EES12_IbLb0EEEEDaSY_SZ_EUlSY_E_NS1_11comp_targetILNS1_3genE8ELNS1_11target_archE1030ELNS1_3gpuE2ELNS1_3repE0EEENS1_30default_config_static_selectorELNS0_4arch9wavefront6targetE1EEEvT1_
		.amdhsa_group_segment_fixed_size 0
		.amdhsa_private_segment_fixed_size 0
		.amdhsa_kernarg_size 120
		.amdhsa_user_sgpr_count 6
		.amdhsa_user_sgpr_private_segment_buffer 1
		.amdhsa_user_sgpr_dispatch_ptr 0
		.amdhsa_user_sgpr_queue_ptr 0
		.amdhsa_user_sgpr_kernarg_segment_ptr 1
		.amdhsa_user_sgpr_dispatch_id 0
		.amdhsa_user_sgpr_flat_scratch_init 0
		.amdhsa_user_sgpr_kernarg_preload_length 0
		.amdhsa_user_sgpr_kernarg_preload_offset 0
		.amdhsa_user_sgpr_private_segment_size 0
		.amdhsa_uses_dynamic_stack 0
		.amdhsa_system_sgpr_private_segment_wavefront_offset 0
		.amdhsa_system_sgpr_workgroup_id_x 1
		.amdhsa_system_sgpr_workgroup_id_y 0
		.amdhsa_system_sgpr_workgroup_id_z 0
		.amdhsa_system_sgpr_workgroup_info 0
		.amdhsa_system_vgpr_workitem_id 0
		.amdhsa_next_free_vgpr 1
		.amdhsa_next_free_sgpr 0
		.amdhsa_accum_offset 4
		.amdhsa_reserve_vcc 0
		.amdhsa_reserve_flat_scratch 0
		.amdhsa_float_round_mode_32 0
		.amdhsa_float_round_mode_16_64 0
		.amdhsa_float_denorm_mode_32 3
		.amdhsa_float_denorm_mode_16_64 3
		.amdhsa_dx10_clamp 1
		.amdhsa_ieee_mode 1
		.amdhsa_fp16_overflow 0
		.amdhsa_tg_split 0
		.amdhsa_exception_fp_ieee_invalid_op 0
		.amdhsa_exception_fp_denorm_src 0
		.amdhsa_exception_fp_ieee_div_zero 0
		.amdhsa_exception_fp_ieee_overflow 0
		.amdhsa_exception_fp_ieee_underflow 0
		.amdhsa_exception_fp_ieee_inexact 0
		.amdhsa_exception_int_div_zero 0
	.end_amdhsa_kernel
	.section	.text._ZN7rocprim17ROCPRIM_400000_NS6detail17trampoline_kernelINS0_14default_configENS1_29reduce_by_key_config_selectorItjN6thrust23THRUST_200600_302600_NS4plusIjEEEEZZNS1_33reduce_by_key_impl_wrapped_configILNS1_25lookback_scan_determinismE0ES3_S9_NS6_6detail15normal_iteratorINS6_10device_ptrItEEEENSD_INSE_IjEEEESG_SI_PmS8_NS6_8equal_toItEEEE10hipError_tPvRmT2_T3_mT4_T5_T6_T7_T8_P12ihipStream_tbENKUlT_T0_E_clISt17integral_constantIbLb1EES12_IbLb0EEEEDaSY_SZ_EUlSY_E_NS1_11comp_targetILNS1_3genE8ELNS1_11target_archE1030ELNS1_3gpuE2ELNS1_3repE0EEENS1_30default_config_static_selectorELNS0_4arch9wavefront6targetE1EEEvT1_,"axG",@progbits,_ZN7rocprim17ROCPRIM_400000_NS6detail17trampoline_kernelINS0_14default_configENS1_29reduce_by_key_config_selectorItjN6thrust23THRUST_200600_302600_NS4plusIjEEEEZZNS1_33reduce_by_key_impl_wrapped_configILNS1_25lookback_scan_determinismE0ES3_S9_NS6_6detail15normal_iteratorINS6_10device_ptrItEEEENSD_INSE_IjEEEESG_SI_PmS8_NS6_8equal_toItEEEE10hipError_tPvRmT2_T3_mT4_T5_T6_T7_T8_P12ihipStream_tbENKUlT_T0_E_clISt17integral_constantIbLb1EES12_IbLb0EEEEDaSY_SZ_EUlSY_E_NS1_11comp_targetILNS1_3genE8ELNS1_11target_archE1030ELNS1_3gpuE2ELNS1_3repE0EEENS1_30default_config_static_selectorELNS0_4arch9wavefront6targetE1EEEvT1_,comdat
.Lfunc_end759:
	.size	_ZN7rocprim17ROCPRIM_400000_NS6detail17trampoline_kernelINS0_14default_configENS1_29reduce_by_key_config_selectorItjN6thrust23THRUST_200600_302600_NS4plusIjEEEEZZNS1_33reduce_by_key_impl_wrapped_configILNS1_25lookback_scan_determinismE0ES3_S9_NS6_6detail15normal_iteratorINS6_10device_ptrItEEEENSD_INSE_IjEEEESG_SI_PmS8_NS6_8equal_toItEEEE10hipError_tPvRmT2_T3_mT4_T5_T6_T7_T8_P12ihipStream_tbENKUlT_T0_E_clISt17integral_constantIbLb1EES12_IbLb0EEEEDaSY_SZ_EUlSY_E_NS1_11comp_targetILNS1_3genE8ELNS1_11target_archE1030ELNS1_3gpuE2ELNS1_3repE0EEENS1_30default_config_static_selectorELNS0_4arch9wavefront6targetE1EEEvT1_, .Lfunc_end759-_ZN7rocprim17ROCPRIM_400000_NS6detail17trampoline_kernelINS0_14default_configENS1_29reduce_by_key_config_selectorItjN6thrust23THRUST_200600_302600_NS4plusIjEEEEZZNS1_33reduce_by_key_impl_wrapped_configILNS1_25lookback_scan_determinismE0ES3_S9_NS6_6detail15normal_iteratorINS6_10device_ptrItEEEENSD_INSE_IjEEEESG_SI_PmS8_NS6_8equal_toItEEEE10hipError_tPvRmT2_T3_mT4_T5_T6_T7_T8_P12ihipStream_tbENKUlT_T0_E_clISt17integral_constantIbLb1EES12_IbLb0EEEEDaSY_SZ_EUlSY_E_NS1_11comp_targetILNS1_3genE8ELNS1_11target_archE1030ELNS1_3gpuE2ELNS1_3repE0EEENS1_30default_config_static_selectorELNS0_4arch9wavefront6targetE1EEEvT1_
                                        ; -- End function
	.section	.AMDGPU.csdata,"",@progbits
; Kernel info:
; codeLenInByte = 0
; NumSgprs: 4
; NumVgprs: 0
; NumAgprs: 0
; TotalNumVgprs: 0
; ScratchSize: 0
; MemoryBound: 0
; FloatMode: 240
; IeeeMode: 1
; LDSByteSize: 0 bytes/workgroup (compile time only)
; SGPRBlocks: 0
; VGPRBlocks: 0
; NumSGPRsForWavesPerEU: 4
; NumVGPRsForWavesPerEU: 1
; AccumOffset: 4
; Occupancy: 8
; WaveLimiterHint : 0
; COMPUTE_PGM_RSRC2:SCRATCH_EN: 0
; COMPUTE_PGM_RSRC2:USER_SGPR: 6
; COMPUTE_PGM_RSRC2:TRAP_HANDLER: 0
; COMPUTE_PGM_RSRC2:TGID_X_EN: 1
; COMPUTE_PGM_RSRC2:TGID_Y_EN: 0
; COMPUTE_PGM_RSRC2:TGID_Z_EN: 0
; COMPUTE_PGM_RSRC2:TIDIG_COMP_CNT: 0
; COMPUTE_PGM_RSRC3_GFX90A:ACCUM_OFFSET: 0
; COMPUTE_PGM_RSRC3_GFX90A:TG_SPLIT: 0
	.section	.text._ZN7rocprim17ROCPRIM_400000_NS6detail17trampoline_kernelINS0_14default_configENS1_29reduce_by_key_config_selectorItjN6thrust23THRUST_200600_302600_NS4plusIjEEEEZZNS1_33reduce_by_key_impl_wrapped_configILNS1_25lookback_scan_determinismE0ES3_S9_NS6_6detail15normal_iteratorINS6_10device_ptrItEEEENSD_INSE_IjEEEESG_SI_PmS8_NS6_8equal_toItEEEE10hipError_tPvRmT2_T3_mT4_T5_T6_T7_T8_P12ihipStream_tbENKUlT_T0_E_clISt17integral_constantIbLb0EES12_IbLb1EEEEDaSY_SZ_EUlSY_E_NS1_11comp_targetILNS1_3genE0ELNS1_11target_archE4294967295ELNS1_3gpuE0ELNS1_3repE0EEENS1_30default_config_static_selectorELNS0_4arch9wavefront6targetE1EEEvT1_,"axG",@progbits,_ZN7rocprim17ROCPRIM_400000_NS6detail17trampoline_kernelINS0_14default_configENS1_29reduce_by_key_config_selectorItjN6thrust23THRUST_200600_302600_NS4plusIjEEEEZZNS1_33reduce_by_key_impl_wrapped_configILNS1_25lookback_scan_determinismE0ES3_S9_NS6_6detail15normal_iteratorINS6_10device_ptrItEEEENSD_INSE_IjEEEESG_SI_PmS8_NS6_8equal_toItEEEE10hipError_tPvRmT2_T3_mT4_T5_T6_T7_T8_P12ihipStream_tbENKUlT_T0_E_clISt17integral_constantIbLb0EES12_IbLb1EEEEDaSY_SZ_EUlSY_E_NS1_11comp_targetILNS1_3genE0ELNS1_11target_archE4294967295ELNS1_3gpuE0ELNS1_3repE0EEENS1_30default_config_static_selectorELNS0_4arch9wavefront6targetE1EEEvT1_,comdat
	.protected	_ZN7rocprim17ROCPRIM_400000_NS6detail17trampoline_kernelINS0_14default_configENS1_29reduce_by_key_config_selectorItjN6thrust23THRUST_200600_302600_NS4plusIjEEEEZZNS1_33reduce_by_key_impl_wrapped_configILNS1_25lookback_scan_determinismE0ES3_S9_NS6_6detail15normal_iteratorINS6_10device_ptrItEEEENSD_INSE_IjEEEESG_SI_PmS8_NS6_8equal_toItEEEE10hipError_tPvRmT2_T3_mT4_T5_T6_T7_T8_P12ihipStream_tbENKUlT_T0_E_clISt17integral_constantIbLb0EES12_IbLb1EEEEDaSY_SZ_EUlSY_E_NS1_11comp_targetILNS1_3genE0ELNS1_11target_archE4294967295ELNS1_3gpuE0ELNS1_3repE0EEENS1_30default_config_static_selectorELNS0_4arch9wavefront6targetE1EEEvT1_ ; -- Begin function _ZN7rocprim17ROCPRIM_400000_NS6detail17trampoline_kernelINS0_14default_configENS1_29reduce_by_key_config_selectorItjN6thrust23THRUST_200600_302600_NS4plusIjEEEEZZNS1_33reduce_by_key_impl_wrapped_configILNS1_25lookback_scan_determinismE0ES3_S9_NS6_6detail15normal_iteratorINS6_10device_ptrItEEEENSD_INSE_IjEEEESG_SI_PmS8_NS6_8equal_toItEEEE10hipError_tPvRmT2_T3_mT4_T5_T6_T7_T8_P12ihipStream_tbENKUlT_T0_E_clISt17integral_constantIbLb0EES12_IbLb1EEEEDaSY_SZ_EUlSY_E_NS1_11comp_targetILNS1_3genE0ELNS1_11target_archE4294967295ELNS1_3gpuE0ELNS1_3repE0EEENS1_30default_config_static_selectorELNS0_4arch9wavefront6targetE1EEEvT1_
	.globl	_ZN7rocprim17ROCPRIM_400000_NS6detail17trampoline_kernelINS0_14default_configENS1_29reduce_by_key_config_selectorItjN6thrust23THRUST_200600_302600_NS4plusIjEEEEZZNS1_33reduce_by_key_impl_wrapped_configILNS1_25lookback_scan_determinismE0ES3_S9_NS6_6detail15normal_iteratorINS6_10device_ptrItEEEENSD_INSE_IjEEEESG_SI_PmS8_NS6_8equal_toItEEEE10hipError_tPvRmT2_T3_mT4_T5_T6_T7_T8_P12ihipStream_tbENKUlT_T0_E_clISt17integral_constantIbLb0EES12_IbLb1EEEEDaSY_SZ_EUlSY_E_NS1_11comp_targetILNS1_3genE0ELNS1_11target_archE4294967295ELNS1_3gpuE0ELNS1_3repE0EEENS1_30default_config_static_selectorELNS0_4arch9wavefront6targetE1EEEvT1_
	.p2align	8
	.type	_ZN7rocprim17ROCPRIM_400000_NS6detail17trampoline_kernelINS0_14default_configENS1_29reduce_by_key_config_selectorItjN6thrust23THRUST_200600_302600_NS4plusIjEEEEZZNS1_33reduce_by_key_impl_wrapped_configILNS1_25lookback_scan_determinismE0ES3_S9_NS6_6detail15normal_iteratorINS6_10device_ptrItEEEENSD_INSE_IjEEEESG_SI_PmS8_NS6_8equal_toItEEEE10hipError_tPvRmT2_T3_mT4_T5_T6_T7_T8_P12ihipStream_tbENKUlT_T0_E_clISt17integral_constantIbLb0EES12_IbLb1EEEEDaSY_SZ_EUlSY_E_NS1_11comp_targetILNS1_3genE0ELNS1_11target_archE4294967295ELNS1_3gpuE0ELNS1_3repE0EEENS1_30default_config_static_selectorELNS0_4arch9wavefront6targetE1EEEvT1_,@function
_ZN7rocprim17ROCPRIM_400000_NS6detail17trampoline_kernelINS0_14default_configENS1_29reduce_by_key_config_selectorItjN6thrust23THRUST_200600_302600_NS4plusIjEEEEZZNS1_33reduce_by_key_impl_wrapped_configILNS1_25lookback_scan_determinismE0ES3_S9_NS6_6detail15normal_iteratorINS6_10device_ptrItEEEENSD_INSE_IjEEEESG_SI_PmS8_NS6_8equal_toItEEEE10hipError_tPvRmT2_T3_mT4_T5_T6_T7_T8_P12ihipStream_tbENKUlT_T0_E_clISt17integral_constantIbLb0EES12_IbLb1EEEEDaSY_SZ_EUlSY_E_NS1_11comp_targetILNS1_3genE0ELNS1_11target_archE4294967295ELNS1_3gpuE0ELNS1_3repE0EEENS1_30default_config_static_selectorELNS0_4arch9wavefront6targetE1EEEvT1_: ; @_ZN7rocprim17ROCPRIM_400000_NS6detail17trampoline_kernelINS0_14default_configENS1_29reduce_by_key_config_selectorItjN6thrust23THRUST_200600_302600_NS4plusIjEEEEZZNS1_33reduce_by_key_impl_wrapped_configILNS1_25lookback_scan_determinismE0ES3_S9_NS6_6detail15normal_iteratorINS6_10device_ptrItEEEENSD_INSE_IjEEEESG_SI_PmS8_NS6_8equal_toItEEEE10hipError_tPvRmT2_T3_mT4_T5_T6_T7_T8_P12ihipStream_tbENKUlT_T0_E_clISt17integral_constantIbLb0EES12_IbLb1EEEEDaSY_SZ_EUlSY_E_NS1_11comp_targetILNS1_3genE0ELNS1_11target_archE4294967295ELNS1_3gpuE0ELNS1_3repE0EEENS1_30default_config_static_selectorELNS0_4arch9wavefront6targetE1EEEvT1_
; %bb.0:
	.section	.rodata,"a",@progbits
	.p2align	6, 0x0
	.amdhsa_kernel _ZN7rocprim17ROCPRIM_400000_NS6detail17trampoline_kernelINS0_14default_configENS1_29reduce_by_key_config_selectorItjN6thrust23THRUST_200600_302600_NS4plusIjEEEEZZNS1_33reduce_by_key_impl_wrapped_configILNS1_25lookback_scan_determinismE0ES3_S9_NS6_6detail15normal_iteratorINS6_10device_ptrItEEEENSD_INSE_IjEEEESG_SI_PmS8_NS6_8equal_toItEEEE10hipError_tPvRmT2_T3_mT4_T5_T6_T7_T8_P12ihipStream_tbENKUlT_T0_E_clISt17integral_constantIbLb0EES12_IbLb1EEEEDaSY_SZ_EUlSY_E_NS1_11comp_targetILNS1_3genE0ELNS1_11target_archE4294967295ELNS1_3gpuE0ELNS1_3repE0EEENS1_30default_config_static_selectorELNS0_4arch9wavefront6targetE1EEEvT1_
		.amdhsa_group_segment_fixed_size 0
		.amdhsa_private_segment_fixed_size 0
		.amdhsa_kernarg_size 120
		.amdhsa_user_sgpr_count 6
		.amdhsa_user_sgpr_private_segment_buffer 1
		.amdhsa_user_sgpr_dispatch_ptr 0
		.amdhsa_user_sgpr_queue_ptr 0
		.amdhsa_user_sgpr_kernarg_segment_ptr 1
		.amdhsa_user_sgpr_dispatch_id 0
		.amdhsa_user_sgpr_flat_scratch_init 0
		.amdhsa_user_sgpr_kernarg_preload_length 0
		.amdhsa_user_sgpr_kernarg_preload_offset 0
		.amdhsa_user_sgpr_private_segment_size 0
		.amdhsa_uses_dynamic_stack 0
		.amdhsa_system_sgpr_private_segment_wavefront_offset 0
		.amdhsa_system_sgpr_workgroup_id_x 1
		.amdhsa_system_sgpr_workgroup_id_y 0
		.amdhsa_system_sgpr_workgroup_id_z 0
		.amdhsa_system_sgpr_workgroup_info 0
		.amdhsa_system_vgpr_workitem_id 0
		.amdhsa_next_free_vgpr 1
		.amdhsa_next_free_sgpr 0
		.amdhsa_accum_offset 4
		.amdhsa_reserve_vcc 0
		.amdhsa_reserve_flat_scratch 0
		.amdhsa_float_round_mode_32 0
		.amdhsa_float_round_mode_16_64 0
		.amdhsa_float_denorm_mode_32 3
		.amdhsa_float_denorm_mode_16_64 3
		.amdhsa_dx10_clamp 1
		.amdhsa_ieee_mode 1
		.amdhsa_fp16_overflow 0
		.amdhsa_tg_split 0
		.amdhsa_exception_fp_ieee_invalid_op 0
		.amdhsa_exception_fp_denorm_src 0
		.amdhsa_exception_fp_ieee_div_zero 0
		.amdhsa_exception_fp_ieee_overflow 0
		.amdhsa_exception_fp_ieee_underflow 0
		.amdhsa_exception_fp_ieee_inexact 0
		.amdhsa_exception_int_div_zero 0
	.end_amdhsa_kernel
	.section	.text._ZN7rocprim17ROCPRIM_400000_NS6detail17trampoline_kernelINS0_14default_configENS1_29reduce_by_key_config_selectorItjN6thrust23THRUST_200600_302600_NS4plusIjEEEEZZNS1_33reduce_by_key_impl_wrapped_configILNS1_25lookback_scan_determinismE0ES3_S9_NS6_6detail15normal_iteratorINS6_10device_ptrItEEEENSD_INSE_IjEEEESG_SI_PmS8_NS6_8equal_toItEEEE10hipError_tPvRmT2_T3_mT4_T5_T6_T7_T8_P12ihipStream_tbENKUlT_T0_E_clISt17integral_constantIbLb0EES12_IbLb1EEEEDaSY_SZ_EUlSY_E_NS1_11comp_targetILNS1_3genE0ELNS1_11target_archE4294967295ELNS1_3gpuE0ELNS1_3repE0EEENS1_30default_config_static_selectorELNS0_4arch9wavefront6targetE1EEEvT1_,"axG",@progbits,_ZN7rocprim17ROCPRIM_400000_NS6detail17trampoline_kernelINS0_14default_configENS1_29reduce_by_key_config_selectorItjN6thrust23THRUST_200600_302600_NS4plusIjEEEEZZNS1_33reduce_by_key_impl_wrapped_configILNS1_25lookback_scan_determinismE0ES3_S9_NS6_6detail15normal_iteratorINS6_10device_ptrItEEEENSD_INSE_IjEEEESG_SI_PmS8_NS6_8equal_toItEEEE10hipError_tPvRmT2_T3_mT4_T5_T6_T7_T8_P12ihipStream_tbENKUlT_T0_E_clISt17integral_constantIbLb0EES12_IbLb1EEEEDaSY_SZ_EUlSY_E_NS1_11comp_targetILNS1_3genE0ELNS1_11target_archE4294967295ELNS1_3gpuE0ELNS1_3repE0EEENS1_30default_config_static_selectorELNS0_4arch9wavefront6targetE1EEEvT1_,comdat
.Lfunc_end760:
	.size	_ZN7rocprim17ROCPRIM_400000_NS6detail17trampoline_kernelINS0_14default_configENS1_29reduce_by_key_config_selectorItjN6thrust23THRUST_200600_302600_NS4plusIjEEEEZZNS1_33reduce_by_key_impl_wrapped_configILNS1_25lookback_scan_determinismE0ES3_S9_NS6_6detail15normal_iteratorINS6_10device_ptrItEEEENSD_INSE_IjEEEESG_SI_PmS8_NS6_8equal_toItEEEE10hipError_tPvRmT2_T3_mT4_T5_T6_T7_T8_P12ihipStream_tbENKUlT_T0_E_clISt17integral_constantIbLb0EES12_IbLb1EEEEDaSY_SZ_EUlSY_E_NS1_11comp_targetILNS1_3genE0ELNS1_11target_archE4294967295ELNS1_3gpuE0ELNS1_3repE0EEENS1_30default_config_static_selectorELNS0_4arch9wavefront6targetE1EEEvT1_, .Lfunc_end760-_ZN7rocprim17ROCPRIM_400000_NS6detail17trampoline_kernelINS0_14default_configENS1_29reduce_by_key_config_selectorItjN6thrust23THRUST_200600_302600_NS4plusIjEEEEZZNS1_33reduce_by_key_impl_wrapped_configILNS1_25lookback_scan_determinismE0ES3_S9_NS6_6detail15normal_iteratorINS6_10device_ptrItEEEENSD_INSE_IjEEEESG_SI_PmS8_NS6_8equal_toItEEEE10hipError_tPvRmT2_T3_mT4_T5_T6_T7_T8_P12ihipStream_tbENKUlT_T0_E_clISt17integral_constantIbLb0EES12_IbLb1EEEEDaSY_SZ_EUlSY_E_NS1_11comp_targetILNS1_3genE0ELNS1_11target_archE4294967295ELNS1_3gpuE0ELNS1_3repE0EEENS1_30default_config_static_selectorELNS0_4arch9wavefront6targetE1EEEvT1_
                                        ; -- End function
	.section	.AMDGPU.csdata,"",@progbits
; Kernel info:
; codeLenInByte = 0
; NumSgprs: 4
; NumVgprs: 0
; NumAgprs: 0
; TotalNumVgprs: 0
; ScratchSize: 0
; MemoryBound: 0
; FloatMode: 240
; IeeeMode: 1
; LDSByteSize: 0 bytes/workgroup (compile time only)
; SGPRBlocks: 0
; VGPRBlocks: 0
; NumSGPRsForWavesPerEU: 4
; NumVGPRsForWavesPerEU: 1
; AccumOffset: 4
; Occupancy: 8
; WaveLimiterHint : 0
; COMPUTE_PGM_RSRC2:SCRATCH_EN: 0
; COMPUTE_PGM_RSRC2:USER_SGPR: 6
; COMPUTE_PGM_RSRC2:TRAP_HANDLER: 0
; COMPUTE_PGM_RSRC2:TGID_X_EN: 1
; COMPUTE_PGM_RSRC2:TGID_Y_EN: 0
; COMPUTE_PGM_RSRC2:TGID_Z_EN: 0
; COMPUTE_PGM_RSRC2:TIDIG_COMP_CNT: 0
; COMPUTE_PGM_RSRC3_GFX90A:ACCUM_OFFSET: 0
; COMPUTE_PGM_RSRC3_GFX90A:TG_SPLIT: 0
	.section	.text._ZN7rocprim17ROCPRIM_400000_NS6detail17trampoline_kernelINS0_14default_configENS1_29reduce_by_key_config_selectorItjN6thrust23THRUST_200600_302600_NS4plusIjEEEEZZNS1_33reduce_by_key_impl_wrapped_configILNS1_25lookback_scan_determinismE0ES3_S9_NS6_6detail15normal_iteratorINS6_10device_ptrItEEEENSD_INSE_IjEEEESG_SI_PmS8_NS6_8equal_toItEEEE10hipError_tPvRmT2_T3_mT4_T5_T6_T7_T8_P12ihipStream_tbENKUlT_T0_E_clISt17integral_constantIbLb0EES12_IbLb1EEEEDaSY_SZ_EUlSY_E_NS1_11comp_targetILNS1_3genE5ELNS1_11target_archE942ELNS1_3gpuE9ELNS1_3repE0EEENS1_30default_config_static_selectorELNS0_4arch9wavefront6targetE1EEEvT1_,"axG",@progbits,_ZN7rocprim17ROCPRIM_400000_NS6detail17trampoline_kernelINS0_14default_configENS1_29reduce_by_key_config_selectorItjN6thrust23THRUST_200600_302600_NS4plusIjEEEEZZNS1_33reduce_by_key_impl_wrapped_configILNS1_25lookback_scan_determinismE0ES3_S9_NS6_6detail15normal_iteratorINS6_10device_ptrItEEEENSD_INSE_IjEEEESG_SI_PmS8_NS6_8equal_toItEEEE10hipError_tPvRmT2_T3_mT4_T5_T6_T7_T8_P12ihipStream_tbENKUlT_T0_E_clISt17integral_constantIbLb0EES12_IbLb1EEEEDaSY_SZ_EUlSY_E_NS1_11comp_targetILNS1_3genE5ELNS1_11target_archE942ELNS1_3gpuE9ELNS1_3repE0EEENS1_30default_config_static_selectorELNS0_4arch9wavefront6targetE1EEEvT1_,comdat
	.protected	_ZN7rocprim17ROCPRIM_400000_NS6detail17trampoline_kernelINS0_14default_configENS1_29reduce_by_key_config_selectorItjN6thrust23THRUST_200600_302600_NS4plusIjEEEEZZNS1_33reduce_by_key_impl_wrapped_configILNS1_25lookback_scan_determinismE0ES3_S9_NS6_6detail15normal_iteratorINS6_10device_ptrItEEEENSD_INSE_IjEEEESG_SI_PmS8_NS6_8equal_toItEEEE10hipError_tPvRmT2_T3_mT4_T5_T6_T7_T8_P12ihipStream_tbENKUlT_T0_E_clISt17integral_constantIbLb0EES12_IbLb1EEEEDaSY_SZ_EUlSY_E_NS1_11comp_targetILNS1_3genE5ELNS1_11target_archE942ELNS1_3gpuE9ELNS1_3repE0EEENS1_30default_config_static_selectorELNS0_4arch9wavefront6targetE1EEEvT1_ ; -- Begin function _ZN7rocprim17ROCPRIM_400000_NS6detail17trampoline_kernelINS0_14default_configENS1_29reduce_by_key_config_selectorItjN6thrust23THRUST_200600_302600_NS4plusIjEEEEZZNS1_33reduce_by_key_impl_wrapped_configILNS1_25lookback_scan_determinismE0ES3_S9_NS6_6detail15normal_iteratorINS6_10device_ptrItEEEENSD_INSE_IjEEEESG_SI_PmS8_NS6_8equal_toItEEEE10hipError_tPvRmT2_T3_mT4_T5_T6_T7_T8_P12ihipStream_tbENKUlT_T0_E_clISt17integral_constantIbLb0EES12_IbLb1EEEEDaSY_SZ_EUlSY_E_NS1_11comp_targetILNS1_3genE5ELNS1_11target_archE942ELNS1_3gpuE9ELNS1_3repE0EEENS1_30default_config_static_selectorELNS0_4arch9wavefront6targetE1EEEvT1_
	.globl	_ZN7rocprim17ROCPRIM_400000_NS6detail17trampoline_kernelINS0_14default_configENS1_29reduce_by_key_config_selectorItjN6thrust23THRUST_200600_302600_NS4plusIjEEEEZZNS1_33reduce_by_key_impl_wrapped_configILNS1_25lookback_scan_determinismE0ES3_S9_NS6_6detail15normal_iteratorINS6_10device_ptrItEEEENSD_INSE_IjEEEESG_SI_PmS8_NS6_8equal_toItEEEE10hipError_tPvRmT2_T3_mT4_T5_T6_T7_T8_P12ihipStream_tbENKUlT_T0_E_clISt17integral_constantIbLb0EES12_IbLb1EEEEDaSY_SZ_EUlSY_E_NS1_11comp_targetILNS1_3genE5ELNS1_11target_archE942ELNS1_3gpuE9ELNS1_3repE0EEENS1_30default_config_static_selectorELNS0_4arch9wavefront6targetE1EEEvT1_
	.p2align	8
	.type	_ZN7rocprim17ROCPRIM_400000_NS6detail17trampoline_kernelINS0_14default_configENS1_29reduce_by_key_config_selectorItjN6thrust23THRUST_200600_302600_NS4plusIjEEEEZZNS1_33reduce_by_key_impl_wrapped_configILNS1_25lookback_scan_determinismE0ES3_S9_NS6_6detail15normal_iteratorINS6_10device_ptrItEEEENSD_INSE_IjEEEESG_SI_PmS8_NS6_8equal_toItEEEE10hipError_tPvRmT2_T3_mT4_T5_T6_T7_T8_P12ihipStream_tbENKUlT_T0_E_clISt17integral_constantIbLb0EES12_IbLb1EEEEDaSY_SZ_EUlSY_E_NS1_11comp_targetILNS1_3genE5ELNS1_11target_archE942ELNS1_3gpuE9ELNS1_3repE0EEENS1_30default_config_static_selectorELNS0_4arch9wavefront6targetE1EEEvT1_,@function
_ZN7rocprim17ROCPRIM_400000_NS6detail17trampoline_kernelINS0_14default_configENS1_29reduce_by_key_config_selectorItjN6thrust23THRUST_200600_302600_NS4plusIjEEEEZZNS1_33reduce_by_key_impl_wrapped_configILNS1_25lookback_scan_determinismE0ES3_S9_NS6_6detail15normal_iteratorINS6_10device_ptrItEEEENSD_INSE_IjEEEESG_SI_PmS8_NS6_8equal_toItEEEE10hipError_tPvRmT2_T3_mT4_T5_T6_T7_T8_P12ihipStream_tbENKUlT_T0_E_clISt17integral_constantIbLb0EES12_IbLb1EEEEDaSY_SZ_EUlSY_E_NS1_11comp_targetILNS1_3genE5ELNS1_11target_archE942ELNS1_3gpuE9ELNS1_3repE0EEENS1_30default_config_static_selectorELNS0_4arch9wavefront6targetE1EEEvT1_: ; @_ZN7rocprim17ROCPRIM_400000_NS6detail17trampoline_kernelINS0_14default_configENS1_29reduce_by_key_config_selectorItjN6thrust23THRUST_200600_302600_NS4plusIjEEEEZZNS1_33reduce_by_key_impl_wrapped_configILNS1_25lookback_scan_determinismE0ES3_S9_NS6_6detail15normal_iteratorINS6_10device_ptrItEEEENSD_INSE_IjEEEESG_SI_PmS8_NS6_8equal_toItEEEE10hipError_tPvRmT2_T3_mT4_T5_T6_T7_T8_P12ihipStream_tbENKUlT_T0_E_clISt17integral_constantIbLb0EES12_IbLb1EEEEDaSY_SZ_EUlSY_E_NS1_11comp_targetILNS1_3genE5ELNS1_11target_archE942ELNS1_3gpuE9ELNS1_3repE0EEENS1_30default_config_static_selectorELNS0_4arch9wavefront6targetE1EEEvT1_
; %bb.0:
	.section	.rodata,"a",@progbits
	.p2align	6, 0x0
	.amdhsa_kernel _ZN7rocprim17ROCPRIM_400000_NS6detail17trampoline_kernelINS0_14default_configENS1_29reduce_by_key_config_selectorItjN6thrust23THRUST_200600_302600_NS4plusIjEEEEZZNS1_33reduce_by_key_impl_wrapped_configILNS1_25lookback_scan_determinismE0ES3_S9_NS6_6detail15normal_iteratorINS6_10device_ptrItEEEENSD_INSE_IjEEEESG_SI_PmS8_NS6_8equal_toItEEEE10hipError_tPvRmT2_T3_mT4_T5_T6_T7_T8_P12ihipStream_tbENKUlT_T0_E_clISt17integral_constantIbLb0EES12_IbLb1EEEEDaSY_SZ_EUlSY_E_NS1_11comp_targetILNS1_3genE5ELNS1_11target_archE942ELNS1_3gpuE9ELNS1_3repE0EEENS1_30default_config_static_selectorELNS0_4arch9wavefront6targetE1EEEvT1_
		.amdhsa_group_segment_fixed_size 0
		.amdhsa_private_segment_fixed_size 0
		.amdhsa_kernarg_size 120
		.amdhsa_user_sgpr_count 6
		.amdhsa_user_sgpr_private_segment_buffer 1
		.amdhsa_user_sgpr_dispatch_ptr 0
		.amdhsa_user_sgpr_queue_ptr 0
		.amdhsa_user_sgpr_kernarg_segment_ptr 1
		.amdhsa_user_sgpr_dispatch_id 0
		.amdhsa_user_sgpr_flat_scratch_init 0
		.amdhsa_user_sgpr_kernarg_preload_length 0
		.amdhsa_user_sgpr_kernarg_preload_offset 0
		.amdhsa_user_sgpr_private_segment_size 0
		.amdhsa_uses_dynamic_stack 0
		.amdhsa_system_sgpr_private_segment_wavefront_offset 0
		.amdhsa_system_sgpr_workgroup_id_x 1
		.amdhsa_system_sgpr_workgroup_id_y 0
		.amdhsa_system_sgpr_workgroup_id_z 0
		.amdhsa_system_sgpr_workgroup_info 0
		.amdhsa_system_vgpr_workitem_id 0
		.amdhsa_next_free_vgpr 1
		.amdhsa_next_free_sgpr 0
		.amdhsa_accum_offset 4
		.amdhsa_reserve_vcc 0
		.amdhsa_reserve_flat_scratch 0
		.amdhsa_float_round_mode_32 0
		.amdhsa_float_round_mode_16_64 0
		.amdhsa_float_denorm_mode_32 3
		.amdhsa_float_denorm_mode_16_64 3
		.amdhsa_dx10_clamp 1
		.amdhsa_ieee_mode 1
		.amdhsa_fp16_overflow 0
		.amdhsa_tg_split 0
		.amdhsa_exception_fp_ieee_invalid_op 0
		.amdhsa_exception_fp_denorm_src 0
		.amdhsa_exception_fp_ieee_div_zero 0
		.amdhsa_exception_fp_ieee_overflow 0
		.amdhsa_exception_fp_ieee_underflow 0
		.amdhsa_exception_fp_ieee_inexact 0
		.amdhsa_exception_int_div_zero 0
	.end_amdhsa_kernel
	.section	.text._ZN7rocprim17ROCPRIM_400000_NS6detail17trampoline_kernelINS0_14default_configENS1_29reduce_by_key_config_selectorItjN6thrust23THRUST_200600_302600_NS4plusIjEEEEZZNS1_33reduce_by_key_impl_wrapped_configILNS1_25lookback_scan_determinismE0ES3_S9_NS6_6detail15normal_iteratorINS6_10device_ptrItEEEENSD_INSE_IjEEEESG_SI_PmS8_NS6_8equal_toItEEEE10hipError_tPvRmT2_T3_mT4_T5_T6_T7_T8_P12ihipStream_tbENKUlT_T0_E_clISt17integral_constantIbLb0EES12_IbLb1EEEEDaSY_SZ_EUlSY_E_NS1_11comp_targetILNS1_3genE5ELNS1_11target_archE942ELNS1_3gpuE9ELNS1_3repE0EEENS1_30default_config_static_selectorELNS0_4arch9wavefront6targetE1EEEvT1_,"axG",@progbits,_ZN7rocprim17ROCPRIM_400000_NS6detail17trampoline_kernelINS0_14default_configENS1_29reduce_by_key_config_selectorItjN6thrust23THRUST_200600_302600_NS4plusIjEEEEZZNS1_33reduce_by_key_impl_wrapped_configILNS1_25lookback_scan_determinismE0ES3_S9_NS6_6detail15normal_iteratorINS6_10device_ptrItEEEENSD_INSE_IjEEEESG_SI_PmS8_NS6_8equal_toItEEEE10hipError_tPvRmT2_T3_mT4_T5_T6_T7_T8_P12ihipStream_tbENKUlT_T0_E_clISt17integral_constantIbLb0EES12_IbLb1EEEEDaSY_SZ_EUlSY_E_NS1_11comp_targetILNS1_3genE5ELNS1_11target_archE942ELNS1_3gpuE9ELNS1_3repE0EEENS1_30default_config_static_selectorELNS0_4arch9wavefront6targetE1EEEvT1_,comdat
.Lfunc_end761:
	.size	_ZN7rocprim17ROCPRIM_400000_NS6detail17trampoline_kernelINS0_14default_configENS1_29reduce_by_key_config_selectorItjN6thrust23THRUST_200600_302600_NS4plusIjEEEEZZNS1_33reduce_by_key_impl_wrapped_configILNS1_25lookback_scan_determinismE0ES3_S9_NS6_6detail15normal_iteratorINS6_10device_ptrItEEEENSD_INSE_IjEEEESG_SI_PmS8_NS6_8equal_toItEEEE10hipError_tPvRmT2_T3_mT4_T5_T6_T7_T8_P12ihipStream_tbENKUlT_T0_E_clISt17integral_constantIbLb0EES12_IbLb1EEEEDaSY_SZ_EUlSY_E_NS1_11comp_targetILNS1_3genE5ELNS1_11target_archE942ELNS1_3gpuE9ELNS1_3repE0EEENS1_30default_config_static_selectorELNS0_4arch9wavefront6targetE1EEEvT1_, .Lfunc_end761-_ZN7rocprim17ROCPRIM_400000_NS6detail17trampoline_kernelINS0_14default_configENS1_29reduce_by_key_config_selectorItjN6thrust23THRUST_200600_302600_NS4plusIjEEEEZZNS1_33reduce_by_key_impl_wrapped_configILNS1_25lookback_scan_determinismE0ES3_S9_NS6_6detail15normal_iteratorINS6_10device_ptrItEEEENSD_INSE_IjEEEESG_SI_PmS8_NS6_8equal_toItEEEE10hipError_tPvRmT2_T3_mT4_T5_T6_T7_T8_P12ihipStream_tbENKUlT_T0_E_clISt17integral_constantIbLb0EES12_IbLb1EEEEDaSY_SZ_EUlSY_E_NS1_11comp_targetILNS1_3genE5ELNS1_11target_archE942ELNS1_3gpuE9ELNS1_3repE0EEENS1_30default_config_static_selectorELNS0_4arch9wavefront6targetE1EEEvT1_
                                        ; -- End function
	.section	.AMDGPU.csdata,"",@progbits
; Kernel info:
; codeLenInByte = 0
; NumSgprs: 4
; NumVgprs: 0
; NumAgprs: 0
; TotalNumVgprs: 0
; ScratchSize: 0
; MemoryBound: 0
; FloatMode: 240
; IeeeMode: 1
; LDSByteSize: 0 bytes/workgroup (compile time only)
; SGPRBlocks: 0
; VGPRBlocks: 0
; NumSGPRsForWavesPerEU: 4
; NumVGPRsForWavesPerEU: 1
; AccumOffset: 4
; Occupancy: 8
; WaveLimiterHint : 0
; COMPUTE_PGM_RSRC2:SCRATCH_EN: 0
; COMPUTE_PGM_RSRC2:USER_SGPR: 6
; COMPUTE_PGM_RSRC2:TRAP_HANDLER: 0
; COMPUTE_PGM_RSRC2:TGID_X_EN: 1
; COMPUTE_PGM_RSRC2:TGID_Y_EN: 0
; COMPUTE_PGM_RSRC2:TGID_Z_EN: 0
; COMPUTE_PGM_RSRC2:TIDIG_COMP_CNT: 0
; COMPUTE_PGM_RSRC3_GFX90A:ACCUM_OFFSET: 0
; COMPUTE_PGM_RSRC3_GFX90A:TG_SPLIT: 0
	.section	.text._ZN7rocprim17ROCPRIM_400000_NS6detail17trampoline_kernelINS0_14default_configENS1_29reduce_by_key_config_selectorItjN6thrust23THRUST_200600_302600_NS4plusIjEEEEZZNS1_33reduce_by_key_impl_wrapped_configILNS1_25lookback_scan_determinismE0ES3_S9_NS6_6detail15normal_iteratorINS6_10device_ptrItEEEENSD_INSE_IjEEEESG_SI_PmS8_NS6_8equal_toItEEEE10hipError_tPvRmT2_T3_mT4_T5_T6_T7_T8_P12ihipStream_tbENKUlT_T0_E_clISt17integral_constantIbLb0EES12_IbLb1EEEEDaSY_SZ_EUlSY_E_NS1_11comp_targetILNS1_3genE4ELNS1_11target_archE910ELNS1_3gpuE8ELNS1_3repE0EEENS1_30default_config_static_selectorELNS0_4arch9wavefront6targetE1EEEvT1_,"axG",@progbits,_ZN7rocprim17ROCPRIM_400000_NS6detail17trampoline_kernelINS0_14default_configENS1_29reduce_by_key_config_selectorItjN6thrust23THRUST_200600_302600_NS4plusIjEEEEZZNS1_33reduce_by_key_impl_wrapped_configILNS1_25lookback_scan_determinismE0ES3_S9_NS6_6detail15normal_iteratorINS6_10device_ptrItEEEENSD_INSE_IjEEEESG_SI_PmS8_NS6_8equal_toItEEEE10hipError_tPvRmT2_T3_mT4_T5_T6_T7_T8_P12ihipStream_tbENKUlT_T0_E_clISt17integral_constantIbLb0EES12_IbLb1EEEEDaSY_SZ_EUlSY_E_NS1_11comp_targetILNS1_3genE4ELNS1_11target_archE910ELNS1_3gpuE8ELNS1_3repE0EEENS1_30default_config_static_selectorELNS0_4arch9wavefront6targetE1EEEvT1_,comdat
	.protected	_ZN7rocprim17ROCPRIM_400000_NS6detail17trampoline_kernelINS0_14default_configENS1_29reduce_by_key_config_selectorItjN6thrust23THRUST_200600_302600_NS4plusIjEEEEZZNS1_33reduce_by_key_impl_wrapped_configILNS1_25lookback_scan_determinismE0ES3_S9_NS6_6detail15normal_iteratorINS6_10device_ptrItEEEENSD_INSE_IjEEEESG_SI_PmS8_NS6_8equal_toItEEEE10hipError_tPvRmT2_T3_mT4_T5_T6_T7_T8_P12ihipStream_tbENKUlT_T0_E_clISt17integral_constantIbLb0EES12_IbLb1EEEEDaSY_SZ_EUlSY_E_NS1_11comp_targetILNS1_3genE4ELNS1_11target_archE910ELNS1_3gpuE8ELNS1_3repE0EEENS1_30default_config_static_selectorELNS0_4arch9wavefront6targetE1EEEvT1_ ; -- Begin function _ZN7rocprim17ROCPRIM_400000_NS6detail17trampoline_kernelINS0_14default_configENS1_29reduce_by_key_config_selectorItjN6thrust23THRUST_200600_302600_NS4plusIjEEEEZZNS1_33reduce_by_key_impl_wrapped_configILNS1_25lookback_scan_determinismE0ES3_S9_NS6_6detail15normal_iteratorINS6_10device_ptrItEEEENSD_INSE_IjEEEESG_SI_PmS8_NS6_8equal_toItEEEE10hipError_tPvRmT2_T3_mT4_T5_T6_T7_T8_P12ihipStream_tbENKUlT_T0_E_clISt17integral_constantIbLb0EES12_IbLb1EEEEDaSY_SZ_EUlSY_E_NS1_11comp_targetILNS1_3genE4ELNS1_11target_archE910ELNS1_3gpuE8ELNS1_3repE0EEENS1_30default_config_static_selectorELNS0_4arch9wavefront6targetE1EEEvT1_
	.globl	_ZN7rocprim17ROCPRIM_400000_NS6detail17trampoline_kernelINS0_14default_configENS1_29reduce_by_key_config_selectorItjN6thrust23THRUST_200600_302600_NS4plusIjEEEEZZNS1_33reduce_by_key_impl_wrapped_configILNS1_25lookback_scan_determinismE0ES3_S9_NS6_6detail15normal_iteratorINS6_10device_ptrItEEEENSD_INSE_IjEEEESG_SI_PmS8_NS6_8equal_toItEEEE10hipError_tPvRmT2_T3_mT4_T5_T6_T7_T8_P12ihipStream_tbENKUlT_T0_E_clISt17integral_constantIbLb0EES12_IbLb1EEEEDaSY_SZ_EUlSY_E_NS1_11comp_targetILNS1_3genE4ELNS1_11target_archE910ELNS1_3gpuE8ELNS1_3repE0EEENS1_30default_config_static_selectorELNS0_4arch9wavefront6targetE1EEEvT1_
	.p2align	8
	.type	_ZN7rocprim17ROCPRIM_400000_NS6detail17trampoline_kernelINS0_14default_configENS1_29reduce_by_key_config_selectorItjN6thrust23THRUST_200600_302600_NS4plusIjEEEEZZNS1_33reduce_by_key_impl_wrapped_configILNS1_25lookback_scan_determinismE0ES3_S9_NS6_6detail15normal_iteratorINS6_10device_ptrItEEEENSD_INSE_IjEEEESG_SI_PmS8_NS6_8equal_toItEEEE10hipError_tPvRmT2_T3_mT4_T5_T6_T7_T8_P12ihipStream_tbENKUlT_T0_E_clISt17integral_constantIbLb0EES12_IbLb1EEEEDaSY_SZ_EUlSY_E_NS1_11comp_targetILNS1_3genE4ELNS1_11target_archE910ELNS1_3gpuE8ELNS1_3repE0EEENS1_30default_config_static_selectorELNS0_4arch9wavefront6targetE1EEEvT1_,@function
_ZN7rocprim17ROCPRIM_400000_NS6detail17trampoline_kernelINS0_14default_configENS1_29reduce_by_key_config_selectorItjN6thrust23THRUST_200600_302600_NS4plusIjEEEEZZNS1_33reduce_by_key_impl_wrapped_configILNS1_25lookback_scan_determinismE0ES3_S9_NS6_6detail15normal_iteratorINS6_10device_ptrItEEEENSD_INSE_IjEEEESG_SI_PmS8_NS6_8equal_toItEEEE10hipError_tPvRmT2_T3_mT4_T5_T6_T7_T8_P12ihipStream_tbENKUlT_T0_E_clISt17integral_constantIbLb0EES12_IbLb1EEEEDaSY_SZ_EUlSY_E_NS1_11comp_targetILNS1_3genE4ELNS1_11target_archE910ELNS1_3gpuE8ELNS1_3repE0EEENS1_30default_config_static_selectorELNS0_4arch9wavefront6targetE1EEEvT1_: ; @_ZN7rocprim17ROCPRIM_400000_NS6detail17trampoline_kernelINS0_14default_configENS1_29reduce_by_key_config_selectorItjN6thrust23THRUST_200600_302600_NS4plusIjEEEEZZNS1_33reduce_by_key_impl_wrapped_configILNS1_25lookback_scan_determinismE0ES3_S9_NS6_6detail15normal_iteratorINS6_10device_ptrItEEEENSD_INSE_IjEEEESG_SI_PmS8_NS6_8equal_toItEEEE10hipError_tPvRmT2_T3_mT4_T5_T6_T7_T8_P12ihipStream_tbENKUlT_T0_E_clISt17integral_constantIbLb0EES12_IbLb1EEEEDaSY_SZ_EUlSY_E_NS1_11comp_targetILNS1_3genE4ELNS1_11target_archE910ELNS1_3gpuE8ELNS1_3repE0EEENS1_30default_config_static_selectorELNS0_4arch9wavefront6targetE1EEEvT1_
; %bb.0:
	s_load_dwordx8 s[36:43], s[4:5], 0x0
	s_load_dwordx4 s[52:55], s[4:5], 0x20
	s_load_dwordx8 s[44:51], s[4:5], 0x38
	s_load_dwordx2 s[60:61], s[4:5], 0x68
	s_load_dwordx4 s[56:59], s[4:5], 0x58
	v_cmp_ne_u32_e64 s[2:3], 0, v0
	v_cmp_eq_u32_e64 s[0:1], 0, v0
	s_and_saveexec_b64 s[6:7], s[0:1]
	s_cbranch_execz .LBB762_4
; %bb.1:
	s_mov_b64 s[10:11], exec
	v_mbcnt_lo_u32_b32 v1, s10, 0
	v_mbcnt_hi_u32_b32 v1, s11, v1
	v_cmp_eq_u32_e32 vcc, 0, v1
                                        ; implicit-def: $vgpr2
	s_and_saveexec_b64 s[8:9], vcc
	s_cbranch_execz .LBB762_3
; %bb.2:
	s_load_dwordx2 s[4:5], s[4:5], 0x70
	s_bcnt1_i32_b64 s10, s[10:11]
	v_mov_b32_e32 v2, 0
	v_mov_b32_e32 v3, s10
	s_waitcnt lgkmcnt(0)
	global_atomic_add v2, v2, v3, s[4:5] glc
.LBB762_3:
	s_or_b64 exec, exec, s[8:9]
	s_waitcnt vmcnt(0)
	v_readfirstlane_b32 s4, v2
	v_add_u32_e32 v1, s4, v1
	v_mov_b32_e32 v2, 0
	ds_write_b32 v2, v1
.LBB762_4:
	s_or_b64 exec, exec, s[6:7]
	v_mov_b32_e32 v3, 0
	s_waitcnt lgkmcnt(0)
	s_lshl_b64 s[4:5], s[38:39], 1
	s_barrier
	ds_read_b32 v1, v3
	s_add_u32 s6, s36, s4
	s_addc_u32 s7, s37, s5
	s_lshl_b64 s[4:5], s[38:39], 2
	s_add_u32 s4, s40, s4
	s_mul_i32 s8, s48, s47
	s_mul_hi_u32 s9, s48, s46
	s_addc_u32 s5, s41, s5
	s_add_i32 s8, s9, s8
	s_mul_i32 s9, s49, s46
	s_add_i32 s8, s8, s9
	s_mul_i32 s9, s48, s46
	s_waitcnt lgkmcnt(0)
	v_readfirstlane_b32 s62, v1
	s_movk_i32 s10, 0xf00
	v_mul_lo_u32 v2, v1, s10
	s_add_u32 s40, s9, s62
	v_lshlrev_b64 v[4:5], 1, v[2:3]
	s_addc_u32 s41, s8, 0
	v_mov_b32_e32 v1, s7
	v_add_co_u32_e32 v7, vcc, s6, v4
	s_add_u32 s6, s50, -1
	v_addc_co_u32_e32 v9, vcc, v1, v5, vcc
	v_lshlrev_b64 v[2:3], 2, v[2:3]
	s_addc_u32 s7, s51, -1
	v_mov_b32_e32 v1, s5
	v_add_co_u32_e32 v11, vcc, s4, v2
	s_cmp_eq_u64 s[40:41], s[6:7]
	v_addc_co_u32_e32 v15, vcc, v1, v3, vcc
	s_cselect_b64 s[36:37], -1, 0
	s_cmp_lg_u64 s[40:41], s[6:7]
	s_mov_b64 s[4:5], -1
	s_cselect_b64 s[48:49], -1, 0
	s_mul_i32 s33, s6, 0xfffff100
	s_and_b64 vcc, exec, s[36:37]
	v_mad_u32_u24 v6, v0, 15, 1
	v_mad_u32_u24 v8, v0, 15, 3
	;; [unrolled: 1-line block ×7, first 2 shown]
	s_barrier
	s_cbranch_vccnz .LBB762_6
; %bb.5:
	v_lshlrev_b32_e32 v1, 1, v0
	v_add_co_u32_e32 v2, vcc, v7, v1
	v_addc_co_u32_e32 v3, vcc, 0, v9, vcc
	flat_load_ushort v4, v[2:3]
	flat_load_ushort v5, v[2:3] offset:512
	flat_load_ushort v12, v[2:3] offset:1024
	;; [unrolled: 1-line block ×7, first 2 shown]
	v_add_co_u32_e32 v2, vcc, 0x1000, v2
	v_addc_co_u32_e32 v3, vcc, 0, v3, vcc
	flat_load_ushort v25, v[2:3]
	flat_load_ushort v32, v[2:3] offset:512
	flat_load_ushort v33, v[2:3] offset:1024
	flat_load_ushort v34, v[2:3] offset:1536
	flat_load_ushort v35, v[2:3] offset:2048
	flat_load_ushort v36, v[2:3] offset:2560
	flat_load_ushort v37, v[2:3] offset:3072
	v_lshlrev_b32_e32 v2, 2, v0
	v_add_co_u32_e32 v16, vcc, v11, v2
	s_movk_i32 s4, 0x1000
	v_addc_co_u32_e32 v17, vcc, 0, v15, vcc
	v_add_co_u32_e32 v26, vcc, s4, v16
	s_movk_i32 s5, 0x2000
	v_addc_co_u32_e32 v27, vcc, 0, v17, vcc
	v_add_co_u32_e32 v28, vcc, s5, v16
	s_movk_i32 s6, 0x3000
	v_addc_co_u32_e32 v29, vcc, 0, v17, vcc
	v_mad_u32_u24 v38, v0, 28, v1
	v_add_co_u32_e32 v30, vcc, s6, v16
	v_addc_co_u32_e32 v31, vcc, 0, v17, vcc
	s_movk_i32 s4, 0xffe6
	s_waitcnt vmcnt(0) lgkmcnt(0)
	ds_write_b16 v1, v4
	ds_write_b16 v1, v5 offset:512
	ds_write_b16 v1, v12 offset:1024
	;; [unrolled: 1-line block ×14, first 2 shown]
	s_waitcnt lgkmcnt(0)
	s_barrier
	ds_read_u16 v1, v38
	ds_read_b128 v[2:5], v38 offset:2
	ds_read_b96 v[12:14], v38 offset:18
	s_waitcnt lgkmcnt(0)
	s_barrier
	flat_load_dword v21, v[16:17]
	flat_load_dword v23, v[16:17] offset:1024
	flat_load_dword v25, v[16:17] offset:2048
	flat_load_dword v32, v[16:17] offset:3072
	flat_load_dword v33, v[26:27]
	flat_load_dword v34, v[26:27] offset:1024
	flat_load_dword v35, v[26:27] offset:2048
	flat_load_dword v36, v[26:27] offset:3072
	;; [unrolled: 4-line block ×3, first 2 shown]
	flat_load_dword v42, v[30:31]
	flat_load_dword v43, v[30:31] offset:1024
	flat_load_dword v44, v[30:31] offset:2048
	v_mul_u32_u24_e32 v19, 15, v0
	v_mad_i32_i24 v16, v0, s4, v38
	s_mov_b64 s[4:5], 0
	s_waitcnt vmcnt(0) lgkmcnt(0)
	ds_write2st64_b32 v16, v21, v23 offset1:4
	ds_write2st64_b32 v16, v25, v32 offset0:8 offset1:12
	ds_write2st64_b32 v16, v33, v34 offset0:16 offset1:20
	;; [unrolled: 1-line block ×6, first 2 shown]
	ds_write_b32 v16, v44 offset:14336
	s_waitcnt lgkmcnt(0)
	s_barrier
	s_branch .LBB762_7
.LBB762_6:
                                        ; implicit-def: $vgpr2
                                        ; implicit-def: $vgpr12
                                        ; implicit-def: $vgpr19
                                        ; implicit-def: $vgpr1
.LBB762_7:
	s_add_i32 s33, s33, s56
	s_andn2_b64 vcc, exec, s[4:5]
	v_mov_b32_e32 v26, v24
	v_mov_b32_e32 v28, v22
	;; [unrolled: 1-line block ×7, first 2 shown]
	s_cbranch_vccnz .LBB762_69
; %bb.8:
	v_cmp_gt_u32_e32 vcc, s33, v0
                                        ; implicit-def: $vgpr1
	s_and_saveexec_b64 s[6:7], vcc
	s_cbranch_execz .LBB762_10
; %bb.9:
	v_lshlrev_b32_e32 v1, 1, v0
	v_add_co_u32_e64 v2, s[4:5], v7, v1
	v_addc_co_u32_e64 v3, s[4:5], 0, v9, s[4:5]
	flat_load_ushort v1, v[2:3]
.LBB762_10:
	s_or_b64 exec, exec, s[6:7]
	v_or_b32_e32 v2, 0x100, v0
	v_cmp_gt_u32_e64 s[4:5], s33, v2
                                        ; implicit-def: $vgpr2
	s_and_saveexec_b64 s[8:9], s[4:5]
	s_cbranch_execz .LBB762_12
; %bb.11:
	v_lshlrev_b32_e32 v2, 1, v0
	v_add_co_u32_e64 v2, s[6:7], v7, v2
	v_addc_co_u32_e64 v3, s[6:7], 0, v9, s[6:7]
	flat_load_ushort v2, v[2:3] offset:512
.LBB762_12:
	s_or_b64 exec, exec, s[8:9]
	v_or_b32_e32 v3, 0x200, v0
	v_cmp_gt_u32_e64 s[6:7], s33, v3
                                        ; implicit-def: $vgpr3
	s_and_saveexec_b64 s[10:11], s[6:7]
	s_cbranch_execz .LBB762_14
; %bb.13:
	v_lshlrev_b32_e32 v3, 1, v0
	v_add_co_u32_e64 v4, s[8:9], v7, v3
	v_addc_co_u32_e64 v5, s[8:9], 0, v9, s[8:9]
	flat_load_ushort v3, v[4:5] offset:1024
.LBB762_14:
	s_or_b64 exec, exec, s[10:11]
	v_or_b32_e32 v4, 0x300, v0
	v_cmp_gt_u32_e64 s[8:9], s33, v4
                                        ; implicit-def: $vgpr4
	s_and_saveexec_b64 s[12:13], s[8:9]
	s_cbranch_execz .LBB762_16
; %bb.15:
	v_lshlrev_b32_e32 v4, 1, v0
	v_add_co_u32_e64 v4, s[10:11], v7, v4
	v_addc_co_u32_e64 v5, s[10:11], 0, v9, s[10:11]
	flat_load_ushort v4, v[4:5] offset:1536
.LBB762_16:
	s_or_b64 exec, exec, s[12:13]
	v_or_b32_e32 v16, 0x400, v0
	v_cmp_gt_u32_e64 s[10:11], s33, v16
                                        ; implicit-def: $vgpr5
	s_and_saveexec_b64 s[14:15], s[10:11]
	s_cbranch_execz .LBB762_18
; %bb.17:
	v_lshlrev_b32_e32 v5, 1, v0
	v_add_co_u32_e64 v12, s[12:13], v7, v5
	v_addc_co_u32_e64 v13, s[12:13], 0, v9, s[12:13]
	flat_load_ushort v5, v[12:13] offset:2048
.LBB762_18:
	s_or_b64 exec, exec, s[14:15]
	v_or_b32_e32 v17, 0x500, v0
	v_cmp_gt_u32_e64 s[12:13], s33, v17
                                        ; implicit-def: $vgpr12
	s_and_saveexec_b64 s[16:17], s[12:13]
	s_cbranch_execz .LBB762_20
; %bb.19:
	v_lshlrev_b32_e32 v12, 1, v0
	v_add_co_u32_e64 v12, s[14:15], v7, v12
	v_addc_co_u32_e64 v13, s[14:15], 0, v9, s[14:15]
	flat_load_ushort v12, v[12:13] offset:2560
.LBB762_20:
	s_or_b64 exec, exec, s[16:17]
	v_or_b32_e32 v19, 0x600, v0
	v_cmp_gt_u32_e64 s[14:15], s33, v19
                                        ; implicit-def: $vgpr13
	s_and_saveexec_b64 s[18:19], s[14:15]
	s_cbranch_execz .LBB762_22
; %bb.21:
	v_lshlrev_b32_e32 v13, 1, v0
	v_add_co_u32_e64 v26, s[16:17], v7, v13
	v_addc_co_u32_e64 v27, s[16:17], 0, v9, s[16:17]
	flat_load_ushort v13, v[26:27] offset:3072
.LBB762_22:
	s_or_b64 exec, exec, s[18:19]
	v_or_b32_e32 v21, 0x700, v0
	v_cmp_gt_u32_e64 s[16:17], s33, v21
                                        ; implicit-def: $vgpr14
	s_and_saveexec_b64 s[20:21], s[16:17]
	s_cbranch_execz .LBB762_24
; %bb.23:
	v_lshlrev_b32_e32 v14, 1, v0
	v_add_co_u32_e64 v26, s[18:19], v7, v14
	v_addc_co_u32_e64 v27, s[18:19], 0, v9, s[18:19]
	flat_load_ushort v14, v[26:27] offset:3584
.LBB762_24:
	s_or_b64 exec, exec, s[20:21]
	v_or_b32_e32 v23, 0x800, v0
	v_cmp_gt_u32_e64 s[18:19], s33, v23
                                        ; implicit-def: $vgpr31
	s_and_saveexec_b64 s[22:23], s[18:19]
	s_cbranch_execz .LBB762_26
; %bb.25:
	v_lshlrev_b32_e32 v25, 1, v23
	v_add_co_u32_e64 v26, s[20:21], v7, v25
	v_addc_co_u32_e64 v27, s[20:21], 0, v9, s[20:21]
	flat_load_ushort v31, v[26:27]
.LBB762_26:
	s_or_b64 exec, exec, s[22:23]
	v_or_b32_e32 v25, 0x900, v0
	v_cmp_gt_u32_e64 s[20:21], s33, v25
                                        ; implicit-def: $vgpr32
	s_and_saveexec_b64 s[24:25], s[20:21]
	s_cbranch_execz .LBB762_28
; %bb.27:
	v_lshlrev_b32_e32 v26, 1, v25
	v_add_co_u32_e64 v26, s[22:23], v7, v26
	v_addc_co_u32_e64 v27, s[22:23], 0, v9, s[22:23]
	flat_load_ushort v32, v[26:27]
.LBB762_28:
	s_or_b64 exec, exec, s[24:25]
	v_or_b32_e32 v26, 0xa00, v0
	v_cmp_gt_u32_e64 s[22:23], s33, v26
                                        ; implicit-def: $vgpr33
	s_and_saveexec_b64 s[26:27], s[22:23]
	s_cbranch_execz .LBB762_30
; %bb.29:
	v_lshlrev_b32_e32 v27, 1, v26
	v_add_co_u32_e64 v28, s[24:25], v7, v27
	v_addc_co_u32_e64 v29, s[24:25], 0, v9, s[24:25]
	flat_load_ushort v33, v[28:29]
.LBB762_30:
	s_or_b64 exec, exec, s[26:27]
	v_or_b32_e32 v27, 0xb00, v0
	v_cmp_gt_u32_e64 s[24:25], s33, v27
                                        ; implicit-def: $vgpr34
	s_and_saveexec_b64 s[28:29], s[24:25]
	s_cbranch_execz .LBB762_32
; %bb.31:
	v_lshlrev_b32_e32 v28, 1, v27
	v_add_co_u32_e64 v28, s[26:27], v7, v28
	v_addc_co_u32_e64 v29, s[26:27], 0, v9, s[26:27]
	flat_load_ushort v34, v[28:29]
.LBB762_32:
	s_or_b64 exec, exec, s[28:29]
	v_or_b32_e32 v28, 0xc00, v0
	v_cmp_gt_u32_e64 s[26:27], s33, v28
                                        ; implicit-def: $vgpr35
	s_and_saveexec_b64 s[30:31], s[26:27]
	s_cbranch_execz .LBB762_34
; %bb.33:
	v_lshlrev_b32_e32 v29, 1, v28
	v_add_co_u32_e64 v36, s[28:29], v7, v29
	v_addc_co_u32_e64 v37, s[28:29], 0, v9, s[28:29]
	flat_load_ushort v35, v[36:37]
.LBB762_34:
	s_or_b64 exec, exec, s[30:31]
	v_or_b32_e32 v29, 0xd00, v0
	v_cmp_gt_u32_e64 s[28:29], s33, v29
                                        ; implicit-def: $vgpr36
	s_and_saveexec_b64 s[34:35], s[28:29]
	s_cbranch_execz .LBB762_36
; %bb.35:
	v_lshlrev_b32_e32 v30, 1, v29
	v_add_co_u32_e64 v36, s[30:31], v7, v30
	v_addc_co_u32_e64 v37, s[30:31], 0, v9, s[30:31]
	flat_load_ushort v36, v[36:37]
.LBB762_36:
	s_or_b64 exec, exec, s[34:35]
	v_or_b32_e32 v30, 0xe00, v0
	v_cmp_gt_u32_e64 s[30:31], s33, v30
                                        ; implicit-def: $vgpr37
	s_and_saveexec_b64 s[38:39], s[30:31]
	s_cbranch_execz .LBB762_38
; %bb.37:
	v_lshlrev_b32_e32 v37, 1, v30
	v_add_co_u32_e64 v38, s[34:35], v7, v37
	v_addc_co_u32_e64 v39, s[34:35], 0, v9, s[34:35]
	flat_load_ushort v37, v[38:39]
.LBB762_38:
	s_or_b64 exec, exec, s[38:39]
	v_lshlrev_b32_e32 v38, 1, v0
	s_waitcnt vmcnt(0) lgkmcnt(0)
	ds_write_b16 v38, v1
	ds_write_b16 v38, v2 offset:512
	ds_write_b16 v38, v3 offset:1024
	;; [unrolled: 1-line block ×14, first 2 shown]
	v_mad_u32_u24 v31, v0, 28, v38
	s_waitcnt lgkmcnt(0)
	s_barrier
	ds_read_u16 v1, v31
	ds_read_b128 v[2:5], v31 offset:2
	ds_read_b96 v[12:14], v31 offset:18
	s_waitcnt lgkmcnt(0)
	s_barrier
	s_waitcnt lgkmcnt(0)
                                        ; implicit-def: $vgpr32
	s_and_saveexec_b64 s[34:35], vcc
	s_cbranch_execz .LBB762_52
; %bb.39:
	v_lshlrev_b32_e32 v32, 2, v0
	v_add_co_u32_e32 v32, vcc, v11, v32
	v_addc_co_u32_e32 v33, vcc, 0, v15, vcc
	flat_load_dword v32, v[32:33]
	s_or_b64 exec, exec, s[34:35]
                                        ; implicit-def: $vgpr33
	s_and_saveexec_b64 s[34:35], s[4:5]
	s_cbranch_execnz .LBB762_53
.LBB762_40:
	s_or_b64 exec, exec, s[34:35]
                                        ; implicit-def: $vgpr34
	s_and_saveexec_b64 s[4:5], s[6:7]
	s_cbranch_execz .LBB762_54
.LBB762_41:
	v_lshlrev_b32_e32 v34, 2, v0
	v_add_co_u32_e32 v34, vcc, v11, v34
	v_addc_co_u32_e32 v35, vcc, 0, v15, vcc
	flat_load_dword v34, v[34:35] offset:2048
	s_or_b64 exec, exec, s[4:5]
                                        ; implicit-def: $vgpr35
	s_and_saveexec_b64 s[4:5], s[8:9]
	s_cbranch_execnz .LBB762_55
.LBB762_42:
	s_or_b64 exec, exec, s[4:5]
                                        ; implicit-def: $vgpr36
	s_and_saveexec_b64 s[4:5], s[10:11]
	s_cbranch_execz .LBB762_56
.LBB762_43:
	v_lshlrev_b32_e32 v16, 2, v16
	v_add_co_u32_e32 v36, vcc, v11, v16
	v_addc_co_u32_e32 v37, vcc, 0, v15, vcc
	flat_load_dword v36, v[36:37]
	s_or_b64 exec, exec, s[4:5]
                                        ; implicit-def: $vgpr16
	s_and_saveexec_b64 s[4:5], s[12:13]
	s_cbranch_execnz .LBB762_57
.LBB762_44:
	s_or_b64 exec, exec, s[4:5]
                                        ; implicit-def: $vgpr17
	s_and_saveexec_b64 s[4:5], s[14:15]
	s_cbranch_execz .LBB762_58
.LBB762_45:
	v_lshlrev_b32_e32 v17, 2, v19
	v_add_co_u32_e32 v38, vcc, v11, v17
	v_addc_co_u32_e32 v39, vcc, 0, v15, vcc
	flat_load_dword v17, v[38:39]
	s_or_b64 exec, exec, s[4:5]
                                        ; implicit-def: $vgpr37
	s_and_saveexec_b64 s[4:5], s[16:17]
	s_cbranch_execnz .LBB762_59
.LBB762_46:
	s_or_b64 exec, exec, s[4:5]
                                        ; implicit-def: $vgpr21
	s_and_saveexec_b64 s[4:5], s[18:19]
	s_cbranch_execz .LBB762_60
.LBB762_47:
	v_lshlrev_b32_e32 v19, 2, v23
	v_add_co_u32_e32 v38, vcc, v11, v19
	v_addc_co_u32_e32 v39, vcc, 0, v15, vcc
	flat_load_dword v21, v[38:39]
	s_or_b64 exec, exec, s[4:5]
                                        ; implicit-def: $vgpr23
	s_and_saveexec_b64 s[4:5], s[20:21]
	s_cbranch_execnz .LBB762_61
.LBB762_48:
	s_or_b64 exec, exec, s[4:5]
                                        ; implicit-def: $vgpr25
	s_and_saveexec_b64 s[4:5], s[22:23]
	s_cbranch_execz .LBB762_62
.LBB762_49:
	v_lshlrev_b32_e32 v19, 2, v26
	v_add_co_u32_e32 v38, vcc, v11, v19
	v_addc_co_u32_e32 v39, vcc, 0, v15, vcc
	flat_load_dword v25, v[38:39]
	s_or_b64 exec, exec, s[4:5]
                                        ; implicit-def: $vgpr38
	s_and_saveexec_b64 s[4:5], s[24:25]
	s_cbranch_execnz .LBB762_63
.LBB762_50:
	s_or_b64 exec, exec, s[4:5]
                                        ; implicit-def: $vgpr41
	s_and_saveexec_b64 s[4:5], s[26:27]
	s_cbranch_execz .LBB762_64
.LBB762_51:
	v_lshlrev_b32_e32 v19, 2, v28
	v_add_co_u32_e32 v26, vcc, v11, v19
	v_addc_co_u32_e32 v27, vcc, 0, v15, vcc
	flat_load_dword v41, v[26:27]
	s_or_b64 exec, exec, s[4:5]
                                        ; implicit-def: $vgpr42
	s_and_saveexec_b64 s[4:5], s[28:29]
	s_cbranch_execz .LBB762_66
	s_branch .LBB762_65
.LBB762_52:
	s_or_b64 exec, exec, s[34:35]
                                        ; implicit-def: $vgpr33
	s_and_saveexec_b64 s[34:35], s[4:5]
	s_cbranch_execz .LBB762_40
.LBB762_53:
	v_lshlrev_b32_e32 v33, 2, v0
	v_add_co_u32_e32 v34, vcc, v11, v33
	v_addc_co_u32_e32 v35, vcc, 0, v15, vcc
	flat_load_dword v33, v[34:35] offset:1024
	s_or_b64 exec, exec, s[34:35]
                                        ; implicit-def: $vgpr34
	s_and_saveexec_b64 s[4:5], s[6:7]
	s_cbranch_execnz .LBB762_41
.LBB762_54:
	s_or_b64 exec, exec, s[4:5]
                                        ; implicit-def: $vgpr35
	s_and_saveexec_b64 s[4:5], s[8:9]
	s_cbranch_execz .LBB762_42
.LBB762_55:
	v_lshlrev_b32_e32 v35, 2, v0
	v_add_co_u32_e32 v36, vcc, v11, v35
	v_addc_co_u32_e32 v37, vcc, 0, v15, vcc
	flat_load_dword v35, v[36:37] offset:3072
	s_or_b64 exec, exec, s[4:5]
                                        ; implicit-def: $vgpr36
	s_and_saveexec_b64 s[4:5], s[10:11]
	s_cbranch_execnz .LBB762_43
.LBB762_56:
	s_or_b64 exec, exec, s[4:5]
                                        ; implicit-def: $vgpr16
	s_and_saveexec_b64 s[4:5], s[12:13]
	s_cbranch_execz .LBB762_44
.LBB762_57:
	v_lshlrev_b32_e32 v16, 2, v17
	v_add_co_u32_e32 v16, vcc, v11, v16
	v_addc_co_u32_e32 v17, vcc, 0, v15, vcc
	flat_load_dword v16, v[16:17]
	s_or_b64 exec, exec, s[4:5]
                                        ; implicit-def: $vgpr17
	s_and_saveexec_b64 s[4:5], s[14:15]
	s_cbranch_execnz .LBB762_45
.LBB762_58:
	s_or_b64 exec, exec, s[4:5]
                                        ; implicit-def: $vgpr37
	s_and_saveexec_b64 s[4:5], s[16:17]
	s_cbranch_execz .LBB762_46
.LBB762_59:
	v_lshlrev_b32_e32 v19, 2, v21
	v_add_co_u32_e32 v38, vcc, v11, v19
	v_addc_co_u32_e32 v39, vcc, 0, v15, vcc
	flat_load_dword v37, v[38:39]
	s_or_b64 exec, exec, s[4:5]
                                        ; implicit-def: $vgpr21
	s_and_saveexec_b64 s[4:5], s[18:19]
	s_cbranch_execnz .LBB762_47
.LBB762_60:
	s_or_b64 exec, exec, s[4:5]
                                        ; implicit-def: $vgpr23
	s_and_saveexec_b64 s[4:5], s[20:21]
	s_cbranch_execz .LBB762_48
.LBB762_61:
	v_lshlrev_b32_e32 v19, 2, v25
	v_add_co_u32_e32 v38, vcc, v11, v19
	v_addc_co_u32_e32 v39, vcc, 0, v15, vcc
	flat_load_dword v23, v[38:39]
	s_or_b64 exec, exec, s[4:5]
                                        ; implicit-def: $vgpr25
	s_and_saveexec_b64 s[4:5], s[22:23]
	s_cbranch_execnz .LBB762_49
.LBB762_62:
	s_or_b64 exec, exec, s[4:5]
                                        ; implicit-def: $vgpr38
	s_and_saveexec_b64 s[4:5], s[24:25]
	s_cbranch_execz .LBB762_50
.LBB762_63:
	v_lshlrev_b32_e32 v19, 2, v27
	v_add_co_u32_e32 v26, vcc, v11, v19
	v_addc_co_u32_e32 v27, vcc, 0, v15, vcc
	flat_load_dword v38, v[26:27]
	s_or_b64 exec, exec, s[4:5]
                                        ; implicit-def: $vgpr41
	s_and_saveexec_b64 s[4:5], s[26:27]
	s_cbranch_execnz .LBB762_51
.LBB762_64:
	s_or_b64 exec, exec, s[4:5]
                                        ; implicit-def: $vgpr42
	s_and_saveexec_b64 s[4:5], s[28:29]
	s_cbranch_execz .LBB762_66
.LBB762_65:
	v_lshlrev_b32_e32 v19, 2, v29
	v_add_co_u32_e32 v26, vcc, v11, v19
	v_addc_co_u32_e32 v27, vcc, 0, v15, vcc
	flat_load_dword v42, v[26:27]
.LBB762_66:
	s_or_b64 exec, exec, s[4:5]
	v_mul_u32_u24_e32 v19, 15, v0
                                        ; implicit-def: $vgpr43
	s_and_saveexec_b64 s[4:5], s[30:31]
	s_cbranch_execz .LBB762_68
; %bb.67:
	v_lshlrev_b32_e32 v26, 2, v30
	v_add_co_u32_e32 v26, vcc, v11, v26
	v_addc_co_u32_e32 v27, vcc, 0, v15, vcc
	flat_load_dword v43, v[26:27]
.LBB762_68:
	s_or_b64 exec, exec, s[4:5]
	s_movk_i32 s4, 0xffe6
	v_add_u32_e32 v39, 1, v19
	v_add_u32_e32 v40, 3, v19
	;; [unrolled: 1-line block ×7, first 2 shown]
	v_mad_i32_i24 v11, v0, s4, v31
	s_waitcnt vmcnt(0) lgkmcnt(0)
	ds_write2st64_b32 v11, v32, v33 offset1:4
	ds_write2st64_b32 v11, v34, v35 offset0:8 offset1:12
	ds_write2st64_b32 v11, v36, v16 offset0:16 offset1:20
	;; [unrolled: 1-line block ×6, first 2 shown]
	ds_write_b32 v11, v43 offset:14336
	s_waitcnt lgkmcnt(0)
	s_barrier
.LBB762_69:
	v_lshlrev_b32_e32 v11, 2, v19
	ds_read2_b32 v[52:53], v11 offset1:2
	ds_read2_b32 v[50:51], v11 offset0:4 offset1:6
	ds_read2_b32 v[48:49], v11 offset0:8 offset1:10
	;; [unrolled: 1-line block ×3, first 2 shown]
	v_lshlrev_b32_e32 v11, 2, v39
	v_lshlrev_b32_e32 v15, 2, v40
	;; [unrolled: 1-line block ×7, first 2 shown]
	ds_read_b32 v75, v11
	ds_read_b32 v74, v15
	;; [unrolled: 1-line block ×7, first 2 shown]
	s_cmp_eq_u64 s[40:41], 0
	s_cselect_b64 s[38:39], -1, 0
	s_cmp_lg_u64 s[40:41], 0
	s_mov_b64 s[6:7], 0
	s_cselect_b64 s[8:9], -1, 0
	s_and_b64 vcc, exec, s[48:49]
	s_waitcnt lgkmcnt(0)
	s_barrier
	s_cbranch_vccz .LBB762_75
; %bb.70:
	s_and_b64 vcc, exec, s[8:9]
	s_cbranch_vccz .LBB762_136
; %bb.71:
	v_add_co_u32_e32 v26, vcc, -2, v7
	v_addc_co_u32_e32 v27, vcc, -1, v9, vcc
	flat_load_ushort v11, v[26:27]
	v_lshrrev_b32_e32 v19, 16, v14
	v_lshlrev_b32_e32 v15, 1, v0
	v_cmp_ne_u16_e32 vcc, v14, v19
	v_cmp_ne_u16_sdwa s[6:7], v13, v14 src0_sel:WORD_1 src1_sel:DWORD
	v_cmp_ne_u16_sdwa s[10:11], v13, v13 src0_sel:DWORD src1_sel:WORD_1
	v_cmp_ne_u16_sdwa s[12:13], v12, v13 src0_sel:WORD_1 src1_sel:DWORD
	v_cmp_ne_u16_sdwa s[14:15], v12, v12 src0_sel:DWORD src1_sel:WORD_1
	;; [unrolled: 2-line block ×6, first 2 shown]
	v_cmp_ne_u16_e64 s[4:5], v1, v2
	ds_write_b16 v15, v19
	s_waitcnt lgkmcnt(0)
	s_barrier
	s_and_saveexec_b64 s[34:35], s[2:3]
	s_cbranch_execz .LBB762_73
; %bb.72:
	s_waitcnt vmcnt(0)
	v_add_u32_e32 v11, -2, v15
	ds_read_u16 v11, v11
.LBB762_73:
	s_or_b64 exec, exec, s[34:35]
	v_cndmask_b32_e64 v15, 0, 1, vcc
	v_cndmask_b32_e64 v54, 0, 1, s[6:7]
	v_cndmask_b32_e64 v55, 0, 1, s[10:11]
	;; [unrolled: 1-line block ×13, first 2 shown]
	s_waitcnt vmcnt(0) lgkmcnt(0)
	v_cmp_ne_u16_e64 s[4:5], v11, v1
	s_mov_b64 s[6:7], -1
.LBB762_74:
                                        ; implicit-def: $sgpr12
	s_branch .LBB762_76
.LBB762_75:
                                        ; implicit-def: $sgpr4_sgpr5
                                        ; implicit-def: $vgpr15
                                        ; implicit-def: $vgpr54
                                        ; implicit-def: $vgpr55
                                        ; implicit-def: $vgpr56
                                        ; implicit-def: $vgpr57
                                        ; implicit-def: $vgpr58
                                        ; implicit-def: $vgpr59
                                        ; implicit-def: $vgpr60
                                        ; implicit-def: $vgpr61
                                        ; implicit-def: $vgpr62
                                        ; implicit-def: $vgpr63
                                        ; implicit-def: $vgpr64
                                        ; implicit-def: $vgpr65
                                        ; implicit-def: $vgpr66
                                        ; implicit-def: $sgpr12
	s_cbranch_execnz .LBB762_140
.LBB762_76:
	v_mov_b32_e32 v68, s12
	s_and_saveexec_b64 s[2:3], s[6:7]
.LBB762_77:
	v_cndmask_b32_e64 v68, 0, 1, s[4:5]
.LBB762_78:
	s_or_b64 exec, exec, s[2:3]
	s_cmp_eq_u64 s[46:47], 0
	v_add3_u32 v6, v66, v68, v65
	s_cselect_b64 s[34:35], -1, 0
	s_cmp_lg_u32 s62, 0
	v_cmp_eq_u32_e64 s[26:27], 0, v66
	v_cmp_eq_u32_e64 s[24:25], 0, v65
	;; [unrolled: 1-line block ×3, first 2 shown]
	v_add3_u32 v79, v6, v64, v63
	v_cmp_eq_u32_e64 s[20:21], 0, v63
	v_cmp_eq_u32_e64 s[18:19], 0, v62
	;; [unrolled: 1-line block ×10, first 2 shown]
	v_cmp_eq_u32_e32 vcc, 0, v15
	v_mbcnt_lo_u32_b32 v78, -1, 0
	v_lshrrev_b32_e32 v76, 6, v0
	v_or_b32_e32 v77, 63, v0
	s_cbranch_scc0 .LBB762_105
; %bb.79:
	v_cndmask_b32_e64 v6, 0, v52, s[26:27]
	v_add_u32_e32 v6, v6, v75
	v_cndmask_b32_e64 v6, 0, v6, s[24:25]
	v_add_u32_e32 v6, v6, v53
	;; [unrolled: 2-line block ×11, first 2 shown]
	v_cndmask_b32_e64 v6, 0, v6, s[4:5]
	v_add3_u32 v7, v79, v62, v61
	v_add_u32_e32 v6, v6, v16
	v_add3_u32 v7, v7, v60, v59
	v_cndmask_b32_e64 v6, 0, v6, s[2:3]
	v_add3_u32 v7, v7, v58, v57
	v_add_u32_e32 v6, v6, v69
	v_add3_u32 v7, v7, v56, v55
	v_cndmask_b32_e32 v6, 0, v6, vcc
	v_add3_u32 v7, v7, v54, v15
	v_add_u32_e32 v6, v6, v17
	v_mbcnt_hi_u32_b32 v21, -1, v78
	v_and_b32_e32 v8, 15, v21
	v_mov_b32_dpp v10, v6 row_shr:1 row_mask:0xf bank_mask:0xf
	v_cmp_eq_u32_e32 vcc, 0, v7
	v_mov_b32_dpp v9, v7 row_shr:1 row_mask:0xf bank_mask:0xf
	v_cndmask_b32_e32 v10, 0, v10, vcc
	v_cmp_eq_u32_e32 vcc, 0, v8
	v_cndmask_b32_e64 v9, v9, 0, vcc
	v_add_u32_e32 v7, v9, v7
	v_cndmask_b32_e64 v9, v10, 0, vcc
	v_add_u32_e32 v6, v9, v6
	v_cmp_eq_u32_e32 vcc, 0, v7
	v_mov_b32_dpp v9, v7 row_shr:2 row_mask:0xf bank_mask:0xf
	v_cmp_lt_u32_e64 s[28:29], 1, v8
	v_mov_b32_dpp v10, v6 row_shr:2 row_mask:0xf bank_mask:0xf
	v_cndmask_b32_e64 v9, 0, v9, s[28:29]
	s_and_b64 vcc, s[28:29], vcc
	v_cndmask_b32_e32 v10, 0, v10, vcc
	v_add_u32_e32 v7, v7, v9
	v_add_u32_e32 v6, v10, v6
	v_cmp_eq_u32_e32 vcc, 0, v7
	v_mov_b32_dpp v9, v7 row_shr:4 row_mask:0xf bank_mask:0xf
	v_cmp_lt_u32_e64 s[28:29], 3, v8
	v_mov_b32_dpp v10, v6 row_shr:4 row_mask:0xf bank_mask:0xf
	v_cndmask_b32_e64 v9, 0, v9, s[28:29]
	s_and_b64 vcc, s[28:29], vcc
	v_cndmask_b32_e32 v10, 0, v10, vcc
	v_add_u32_e32 v7, v9, v7
	v_add_u32_e32 v6, v6, v10
	v_cmp_eq_u32_e32 vcc, 0, v7
	v_cmp_lt_u32_e64 s[28:29], 7, v8
	v_mov_b32_dpp v9, v7 row_shr:8 row_mask:0xf bank_mask:0xf
	v_mov_b32_dpp v10, v6 row_shr:8 row_mask:0xf bank_mask:0xf
	s_and_b64 vcc, s[28:29], vcc
	v_cndmask_b32_e64 v8, 0, v9, s[28:29]
	v_cndmask_b32_e32 v9, 0, v10, vcc
	v_add_u32_e32 v6, v9, v6
	v_add_u32_e32 v7, v8, v7
	v_bfe_i32 v10, v21, 4, 1
	v_mov_b32_dpp v9, v6 row_bcast:15 row_mask:0xf bank_mask:0xf
	v_mov_b32_dpp v8, v7 row_bcast:15 row_mask:0xf bank_mask:0xf
	v_cmp_eq_u32_e32 vcc, 0, v7
	v_cndmask_b32_e32 v9, 0, v9, vcc
	v_and_b32_e32 v8, v10, v8
	v_add_u32_e32 v7, v8, v7
	v_and_b32_e32 v8, v10, v9
	v_add_u32_e32 v8, v8, v6
	v_mov_b32_dpp v6, v7 row_bcast:31 row_mask:0xf bank_mask:0xf
	v_cmp_eq_u32_e32 vcc, 0, v7
	v_cmp_lt_u32_e64 s[28:29], 31, v21
	v_mov_b32_dpp v9, v8 row_bcast:31 row_mask:0xf bank_mask:0xf
	v_cndmask_b32_e64 v6, 0, v6, s[28:29]
	s_and_b64 vcc, s[28:29], vcc
	v_add_u32_e32 v6, v6, v7
	v_cndmask_b32_e32 v7, 0, v9, vcc
	v_add_u32_e32 v7, v7, v8
	v_cmp_eq_u32_e32 vcc, v77, v0
	v_lshlrev_b32_e32 v8, 3, v76
	s_and_saveexec_b64 s[28:29], vcc
	s_cbranch_execz .LBB762_81
; %bb.80:
	ds_write_b64 v8, v[6:7] offset:1040
.LBB762_81:
	s_or_b64 exec, exec, s[28:29]
	v_cmp_gt_u32_e32 vcc, 4, v0
	s_waitcnt lgkmcnt(0)
	s_barrier
	s_and_saveexec_b64 s[30:31], vcc
	s_cbranch_execz .LBB762_83
; %bb.82:
	v_lshlrev_b32_e32 v9, 3, v0
	ds_read_b64 v[10:11], v9 offset:1040
	v_and_b32_e32 v18, 3, v21
	v_cmp_lt_u32_e64 s[28:29], 1, v18
	s_waitcnt lgkmcnt(0)
	v_mov_b32_dpp v20, v11 row_shr:1 row_mask:0xf bank_mask:0xf
	v_cmp_eq_u32_e32 vcc, 0, v10
	v_mov_b32_dpp v19, v10 row_shr:1 row_mask:0xf bank_mask:0xf
	v_cndmask_b32_e32 v20, 0, v20, vcc
	v_cmp_eq_u32_e32 vcc, 0, v18
	v_cndmask_b32_e64 v19, v19, 0, vcc
	v_add_u32_e32 v10, v19, v10
	v_cndmask_b32_e64 v19, v20, 0, vcc
	v_add_u32_e32 v11, v19, v11
	v_cmp_eq_u32_e32 vcc, 0, v10
	v_mov_b32_dpp v19, v10 row_shr:2 row_mask:0xf bank_mask:0xf
	v_mov_b32_dpp v20, v11 row_shr:2 row_mask:0xf bank_mask:0xf
	v_cndmask_b32_e64 v18, 0, v19, s[28:29]
	s_and_b64 vcc, s[28:29], vcc
	v_add_u32_e32 v10, v18, v10
	v_cndmask_b32_e32 v18, 0, v20, vcc
	v_add_u32_e32 v11, v18, v11
	ds_write_b64 v9, v[10:11] offset:1040
.LBB762_83:
	s_or_b64 exec, exec, s[30:31]
	v_cmp_gt_u32_e32 vcc, 64, v0
	v_cmp_lt_u32_e64 s[28:29], 63, v0
	v_mov_b32_e32 v18, 0
	v_mov_b32_e32 v19, 0
	s_waitcnt lgkmcnt(0)
	s_barrier
	s_and_saveexec_b64 s[30:31], s[28:29]
	s_cbranch_execz .LBB762_85
; %bb.84:
	ds_read_b64 v[18:19], v8 offset:1032
	v_cmp_eq_u32_e64 s[28:29], 0, v6
	s_waitcnt lgkmcnt(0)
	v_add_u32_e32 v8, v18, v6
	v_cndmask_b32_e64 v6, 0, v19, s[28:29]
	v_add_u32_e32 v7, v6, v7
	v_mov_b32_e32 v6, v8
.LBB762_85:
	s_or_b64 exec, exec, s[30:31]
	v_add_u32_e32 v8, -1, v21
	v_and_b32_e32 v9, 64, v21
	v_cmp_lt_i32_e64 s[28:29], v8, v9
	v_cndmask_b32_e64 v8, v8, v21, s[28:29]
	v_lshlrev_b32_e32 v8, 2, v8
	ds_bpermute_b32 v26, v8, v6
	ds_bpermute_b32 v27, v8, v7
	v_cmp_eq_u32_e64 s[28:29], 0, v21
	s_and_saveexec_b64 s[40:41], vcc
	s_cbranch_execz .LBB762_104
; %bb.86:
	v_mov_b32_e32 v11, 0
	ds_read_b64 v[6:7], v11 offset:1064
	s_waitcnt lgkmcnt(0)
	v_readfirstlane_b32 s48, v6
	v_readfirstlane_b32 s49, v7
	s_and_saveexec_b64 s[30:31], s[28:29]
	s_cbranch_execz .LBB762_88
; %bb.87:
	s_add_i32 s46, s62, 64
	s_mov_b32 s47, 0
	s_lshl_b64 s[50:51], s[46:47], 4
	s_add_u32 s50, s44, s50
	s_addc_u32 s51, s45, s51
	s_and_b32 s57, s49, 0xff000000
	s_mov_b32 s56, s47
	s_and_b32 s65, s49, 0xff0000
	s_mov_b32 s64, s47
	s_or_b64 s[56:57], s[64:65], s[56:57]
	s_and_b32 s65, s49, 0xff00
	s_or_b64 s[56:57], s[56:57], s[64:65]
	s_and_b32 s65, s49, 0xff
	s_or_b64 s[46:47], s[56:57], s[64:65]
	v_mov_b32_e32 v8, s48
	v_mov_b32_e32 v9, s47
	;; [unrolled: 1-line block ×3, first 2 shown]
	v_pk_mov_b32 v[6:7], s[50:51], s[50:51] op_sel:[0,1]
	;;#ASMSTART
	global_store_dwordx4 v[6:7], v[8:11] off	
s_waitcnt vmcnt(0)
	;;#ASMEND
.LBB762_88:
	s_or_b64 exec, exec, s[30:31]
	v_xad_u32 v20, v21, -1, s62
	v_add_u32_e32 v10, 64, v20
	v_lshlrev_b64 v[6:7], 4, v[10:11]
	v_mov_b32_e32 v8, s45
	v_add_co_u32_e32 v22, vcc, s44, v6
	v_addc_co_u32_e32 v23, vcc, v8, v7, vcc
	;;#ASMSTART
	global_load_dwordx4 v[6:9], v[22:23] off glc	
s_waitcnt vmcnt(0)
	;;#ASMEND
	v_and_b32_e32 v9, 0xff, v7
	v_and_b32_e32 v10, 0xff00, v7
	;; [unrolled: 1-line block ×3, first 2 shown]
	v_or3_b32 v9, 0, v9, v10
	v_or3_b32 v6, v6, 0, 0
	v_and_b32_e32 v7, 0xff000000, v7
	v_or3_b32 v7, v9, v24, v7
	v_or3_b32 v6, v6, 0, 0
	v_cmp_eq_u16_sdwa s[46:47], v8, v11 src0_sel:BYTE_0 src1_sel:DWORD
	s_and_saveexec_b64 s[30:31], s[46:47]
	s_cbranch_execz .LBB762_92
; %bb.89:
	s_mov_b64 s[46:47], 0
	v_mov_b32_e32 v10, 0
.LBB762_90:                             ; =>This Inner Loop Header: Depth=1
	;;#ASMSTART
	global_load_dwordx4 v[6:9], v[22:23] off glc	
s_waitcnt vmcnt(0)
	;;#ASMEND
	v_cmp_ne_u16_sdwa s[50:51], v8, v10 src0_sel:BYTE_0 src1_sel:DWORD
	s_or_b64 s[46:47], s[50:51], s[46:47]
	s_andn2_b64 exec, exec, s[46:47]
	s_cbranch_execnz .LBB762_90
; %bb.91:
	s_or_b64 exec, exec, s[46:47]
.LBB762_92:
	s_or_b64 exec, exec, s[30:31]
	v_mov_b32_e32 v28, 2
	v_cmp_eq_u16_sdwa s[30:31], v8, v28 src0_sel:BYTE_0 src1_sel:DWORD
	v_lshlrev_b64 v[22:23], v21, -1
	v_and_b32_e32 v9, s31, v23
	v_and_b32_e32 v29, 63, v21
	v_or_b32_e32 v9, 0x80000000, v9
	v_cmp_ne_u32_e32 vcc, 63, v29
	v_and_b32_e32 v10, s30, v22
	v_ffbl_b32_e32 v9, v9
	v_addc_co_u32_e32 v11, vcc, 0, v21, vcc
	v_add_u32_e32 v9, 32, v9
	v_ffbl_b32_e32 v10, v10
	v_lshlrev_b32_e32 v30, 2, v11
	v_min_u32_e32 v9, v10, v9
	ds_bpermute_b32 v10, v30, v7
	v_cmp_eq_u32_e32 vcc, 0, v6
	v_cmp_lt_u32_e64 s[30:31], v29, v9
	ds_bpermute_b32 v11, v30, v6
	s_and_b64 vcc, s[30:31], vcc
	s_waitcnt lgkmcnt(1)
	v_cndmask_b32_e32 v10, 0, v10, vcc
	v_cmp_gt_u32_e32 vcc, 62, v29
	v_add_u32_e32 v7, v10, v7
	v_cndmask_b32_e64 v10, 0, 1, vcc
	v_lshlrev_b32_e32 v10, 1, v10
	v_add_lshl_u32 v31, v10, v21, 2
	s_waitcnt lgkmcnt(0)
	v_cndmask_b32_e64 v11, 0, v11, s[30:31]
	ds_bpermute_b32 v10, v31, v7
	v_add_u32_e32 v6, v11, v6
	ds_bpermute_b32 v11, v31, v6
	v_add_u32_e32 v32, 2, v29
	v_cmp_eq_u32_e32 vcc, 0, v6
	s_waitcnt lgkmcnt(1)
	v_cndmask_b32_e32 v10, 0, v10, vcc
	v_cmp_gt_u32_e32 vcc, v32, v9
	v_cndmask_b32_e64 v10, v10, 0, vcc
	v_add_u32_e32 v7, v10, v7
	s_waitcnt lgkmcnt(0)
	v_cndmask_b32_e64 v10, v11, 0, vcc
	v_cmp_gt_u32_e32 vcc, 60, v29
	v_cndmask_b32_e64 v11, 0, 1, vcc
	v_lshlrev_b32_e32 v11, 2, v11
	v_add_lshl_u32 v33, v11, v21, 2
	ds_bpermute_b32 v11, v33, v7
	v_add_u32_e32 v6, v6, v10
	ds_bpermute_b32 v10, v33, v6
	v_add_u32_e32 v34, 4, v29
	v_cmp_eq_u32_e32 vcc, 0, v6
	s_waitcnt lgkmcnt(1)
	v_cndmask_b32_e32 v11, 0, v11, vcc
	v_cmp_gt_u32_e32 vcc, v34, v9
	v_cndmask_b32_e64 v11, v11, 0, vcc
	s_waitcnt lgkmcnt(0)
	v_cndmask_b32_e64 v10, v10, 0, vcc
	v_cmp_gt_u32_e32 vcc, 56, v29
	v_add_u32_e32 v7, v7, v11
	v_cndmask_b32_e64 v11, 0, 1, vcc
	v_lshlrev_b32_e32 v11, 3, v11
	v_add_lshl_u32 v35, v11, v21, 2
	ds_bpermute_b32 v11, v35, v7
	v_add_u32_e32 v6, v6, v10
	ds_bpermute_b32 v10, v35, v6
	v_add_u32_e32 v36, 8, v29
	v_cmp_eq_u32_e32 vcc, 0, v6
	s_waitcnt lgkmcnt(1)
	v_cndmask_b32_e32 v11, 0, v11, vcc
	v_cmp_gt_u32_e32 vcc, v36, v9
	v_cndmask_b32_e64 v11, v11, 0, vcc
	s_waitcnt lgkmcnt(0)
	v_cndmask_b32_e64 v10, v10, 0, vcc
	v_cmp_gt_u32_e32 vcc, 48, v29
	v_add_u32_e32 v7, v7, v11
	;; [unrolled: 16-line block ×3, first 2 shown]
	v_cndmask_b32_e64 v11, 0, 1, vcc
	v_lshlrev_b32_e32 v11, 5, v11
	v_add_lshl_u32 v39, v11, v21, 2
	ds_bpermute_b32 v11, v39, v7
	v_add_u32_e32 v6, v6, v10
	ds_bpermute_b32 v10, v39, v6
	v_add_u32_e32 v40, 32, v29
	v_cmp_eq_u32_e32 vcc, 0, v6
	s_waitcnt lgkmcnt(1)
	v_cndmask_b32_e32 v11, 0, v11, vcc
	v_cmp_gt_u32_e32 vcc, v40, v9
	v_cndmask_b32_e64 v9, v11, 0, vcc
	v_add_u32_e32 v7, v9, v7
	s_waitcnt lgkmcnt(0)
	v_cndmask_b32_e64 v9, v10, 0, vcc
	v_add_u32_e32 v6, v9, v6
	v_mov_b32_e32 v21, 0
	s_branch .LBB762_94
.LBB762_93:                             ;   in Loop: Header=BB762_94 Depth=1
	s_or_b64 exec, exec, s[30:31]
	v_cmp_eq_u16_sdwa s[30:31], v8, v28 src0_sel:BYTE_0 src1_sel:DWORD
	v_and_b32_e32 v9, s31, v23
	v_or_b32_e32 v9, 0x80000000, v9
	v_and_b32_e32 v24, s30, v22
	v_ffbl_b32_e32 v9, v9
	v_add_u32_e32 v9, 32, v9
	v_ffbl_b32_e32 v24, v24
	v_min_u32_e32 v9, v24, v9
	ds_bpermute_b32 v24, v30, v7
	v_cmp_eq_u32_e32 vcc, 0, v6
	v_cmp_lt_u32_e64 s[30:31], v29, v9
	ds_bpermute_b32 v25, v30, v6
	s_and_b64 vcc, s[30:31], vcc
	s_waitcnt lgkmcnt(1)
	v_cndmask_b32_e32 v24, 0, v24, vcc
	v_add_u32_e32 v7, v24, v7
	ds_bpermute_b32 v24, v31, v7
	s_waitcnt lgkmcnt(1)
	v_cndmask_b32_e64 v25, 0, v25, s[30:31]
	v_add_u32_e32 v6, v25, v6
	v_cmp_eq_u32_e32 vcc, 0, v6
	ds_bpermute_b32 v25, v31, v6
	s_waitcnt lgkmcnt(1)
	v_cndmask_b32_e32 v24, 0, v24, vcc
	v_cmp_gt_u32_e32 vcc, v32, v9
	v_cndmask_b32_e64 v24, v24, 0, vcc
	v_add_u32_e32 v7, v24, v7
	ds_bpermute_b32 v24, v33, v7
	s_waitcnt lgkmcnt(1)
	v_cndmask_b32_e64 v25, v25, 0, vcc
	v_add_u32_e32 v6, v6, v25
	v_cmp_eq_u32_e32 vcc, 0, v6
	ds_bpermute_b32 v25, v33, v6
	s_waitcnt lgkmcnt(1)
	v_cndmask_b32_e32 v24, 0, v24, vcc
	v_cmp_gt_u32_e32 vcc, v34, v9
	v_cndmask_b32_e64 v24, v24, 0, vcc
	v_add_u32_e32 v7, v7, v24
	ds_bpermute_b32 v24, v35, v7
	s_waitcnt lgkmcnt(1)
	v_cndmask_b32_e64 v25, v25, 0, vcc
	v_add_u32_e32 v6, v6, v25
	ds_bpermute_b32 v25, v35, v6
	v_cmp_eq_u32_e32 vcc, 0, v6
	s_waitcnt lgkmcnt(1)
	v_cndmask_b32_e32 v24, 0, v24, vcc
	v_cmp_gt_u32_e32 vcc, v36, v9
	v_cndmask_b32_e64 v24, v24, 0, vcc
	v_add_u32_e32 v7, v7, v24
	ds_bpermute_b32 v24, v37, v7
	s_waitcnt lgkmcnt(1)
	v_cndmask_b32_e64 v25, v25, 0, vcc
	v_add_u32_e32 v6, v6, v25
	ds_bpermute_b32 v25, v37, v6
	v_cmp_eq_u32_e32 vcc, 0, v6
	;; [unrolled: 11-line block ×3, first 2 shown]
	s_waitcnt lgkmcnt(1)
	v_cndmask_b32_e32 v24, 0, v24, vcc
	v_cmp_gt_u32_e32 vcc, v40, v9
	v_cndmask_b32_e64 v9, v24, 0, vcc
	v_add_u32_e32 v7, v9, v7
	s_waitcnt lgkmcnt(0)
	v_cndmask_b32_e64 v9, v25, 0, vcc
	v_cmp_eq_u32_e32 vcc, 0, v10
	v_cndmask_b32_e32 v7, 0, v7, vcc
	v_subrev_u32_e32 v20, 64, v20
	v_add3_u32 v6, v6, v10, v9
	v_add_u32_e32 v7, v7, v11
.LBB762_94:                             ; =>This Loop Header: Depth=1
                                        ;     Child Loop BB762_97 Depth 2
	v_cmp_ne_u16_sdwa s[30:31], v8, v28 src0_sel:BYTE_0 src1_sel:DWORD
	v_mov_b32_e32 v11, v7
	v_cndmask_b32_e64 v7, 0, 1, s[30:31]
	;;#ASMSTART
	;;#ASMEND
	v_cmp_ne_u32_e32 vcc, 0, v7
	s_cmp_lg_u64 vcc, exec
	v_mov_b32_e32 v10, v6
	s_cbranch_scc1 .LBB762_99
; %bb.95:                               ;   in Loop: Header=BB762_94 Depth=1
	v_lshlrev_b64 v[6:7], 4, v[20:21]
	v_mov_b32_e32 v8, s45
	v_add_co_u32_e32 v24, vcc, s44, v6
	v_addc_co_u32_e32 v25, vcc, v8, v7, vcc
	;;#ASMSTART
	global_load_dwordx4 v[6:9], v[24:25] off glc	
s_waitcnt vmcnt(0)
	;;#ASMEND
	v_and_b32_e32 v9, 0xff, v7
	v_and_b32_e32 v41, 0xff00, v7
	;; [unrolled: 1-line block ×3, first 2 shown]
	v_or3_b32 v9, 0, v9, v41
	v_or3_b32 v6, v6, 0, 0
	v_and_b32_e32 v7, 0xff000000, v7
	v_or3_b32 v7, v9, v42, v7
	v_or3_b32 v6, v6, 0, 0
	v_cmp_eq_u16_sdwa s[46:47], v8, v21 src0_sel:BYTE_0 src1_sel:DWORD
	s_and_saveexec_b64 s[30:31], s[46:47]
	s_cbranch_execz .LBB762_93
; %bb.96:                               ;   in Loop: Header=BB762_94 Depth=1
	s_mov_b64 s[46:47], 0
.LBB762_97:                             ;   Parent Loop BB762_94 Depth=1
                                        ; =>  This Inner Loop Header: Depth=2
	;;#ASMSTART
	global_load_dwordx4 v[6:9], v[24:25] off glc	
s_waitcnt vmcnt(0)
	;;#ASMEND
	v_cmp_ne_u16_sdwa s[50:51], v8, v21 src0_sel:BYTE_0 src1_sel:DWORD
	s_or_b64 s[46:47], s[50:51], s[46:47]
	s_andn2_b64 exec, exec, s[46:47]
	s_cbranch_execnz .LBB762_97
; %bb.98:                               ;   in Loop: Header=BB762_94 Depth=1
	s_or_b64 exec, exec, s[46:47]
	s_branch .LBB762_93
.LBB762_99:                             ;   in Loop: Header=BB762_94 Depth=1
                                        ; implicit-def: $vgpr7
                                        ; implicit-def: $vgpr6
                                        ; implicit-def: $vgpr8
	s_cbranch_execz .LBB762_94
; %bb.100:
	s_and_saveexec_b64 s[30:31], s[28:29]
	s_cbranch_execz .LBB762_102
; %bb.101:
	s_cmp_eq_u32 s48, 0
	s_cselect_b64 vcc, -1, 0
	s_mov_b32 s47, 0
	v_cndmask_b32_e32 v6, 0, v11, vcc
	s_add_i32 s46, s62, 64
	v_add_u32_e32 v6, s49, v6
	s_lshl_b64 s[46:47], s[46:47], 4
	s_add_u32 s46, s44, s46
	v_and_b32_e32 v7, 0xff000000, v6
	v_and_b32_e32 v8, 0xff0000, v6
	s_addc_u32 s47, s45, s47
	v_or_b32_e32 v7, v8, v7
	v_and_b32_e32 v8, 0xff00, v6
	v_and_b32_e32 v6, 0xff, v6
	v_add_u32_e32 v20, s48, v10
	v_mov_b32_e32 v23, 0
	v_or3_b32 v21, v7, v8, v6
	v_mov_b32_e32 v22, 2
	v_pk_mov_b32 v[6:7], s[46:47], s[46:47] op_sel:[0,1]
	;;#ASMSTART
	global_store_dwordx4 v[6:7], v[20:23] off	
s_waitcnt vmcnt(0)
	;;#ASMEND
	v_mov_b32_e32 v8, s48
	v_mov_b32_e32 v9, s49
	ds_write_b128 v23, v[8:11] offset:1024
.LBB762_102:
	s_or_b64 exec, exec, s[30:31]
	s_and_b64 exec, exec, s[0:1]
	s_cbranch_execz .LBB762_104
; %bb.103:
	v_mov_b32_e32 v6, 0
	ds_write_b64 v6, v[10:11] offset:1064
.LBB762_104:
	s_or_b64 exec, exec, s[40:41]
	v_mov_b32_e32 v8, 0
	s_waitcnt lgkmcnt(0)
	s_barrier
	ds_read_b64 v[6:7], v8 offset:1064
	v_cndmask_b32_e64 v10, v26, v18, s[28:29]
	v_cmp_eq_u32_e32 vcc, 0, v10
	v_cndmask_b32_e64 v9, v27, v19, s[28:29]
	s_waitcnt lgkmcnt(0)
	v_cndmask_b32_e32 v11, 0, v7, vcc
	v_add_u32_e32 v9, v11, v9
	v_cndmask_b32_e64 v47, v9, v7, s[0:1]
	v_cndmask_b32_e64 v7, v10, 0, s[0:1]
	v_cmp_eq_u32_e32 vcc, 0, v68
	v_add_u32_e32 v46, v6, v7
	v_cndmask_b32_e32 v6, 0, v47, vcc
	v_add_u32_e32 v45, v6, v52
	v_cndmask_b32_e64 v6, 0, v45, s[26:27]
	v_add_u32_e32 v43, v6, v75
	v_cndmask_b32_e64 v6, 0, v43, s[24:25]
	;; [unrolled: 2-line block ×8, first 2 shown]
	v_add_u32_e32 v44, v46, v68
	v_add_u32_e32 v29, v6, v48
	v_add_u32_e32 v42, v44, v66
	v_cndmask_b32_e64 v6, 0, v29, s[10:11]
	v_add_u32_e32 v40, v42, v65
	v_add_u32_e32 v27, v6, v71
	v_add_u32_e32 v38, v40, v64
	v_cndmask_b32_e64 v6, 0, v27, s[8:9]
	;; [unrolled: 4-line block ×3, first 2 shown]
	v_add_u32_e32 v32, v34, v61
	v_add_u32_e32 v23, v6, v70
	s_barrier
	ds_read_b128 v[6:9], v8 offset:1024
	v_add_u32_e32 v30, v32, v60
	v_add_u32_e32 v28, v30, v59
	;; [unrolled: 1-line block ×4, first 2 shown]
	v_cndmask_b32_e64 v10, 0, v23, s[4:5]
	v_add_u32_e32 v22, v24, v56
	v_add_u32_e32 v21, v10, v16
	s_waitcnt lgkmcnt(0)
	v_cmp_eq_u32_e32 vcc, 0, v6
	v_add_u32_e32 v20, v22, v55
	v_cndmask_b32_e64 v10, 0, v21, s[2:3]
	v_cndmask_b32_e32 v9, 0, v9, vcc
	v_add_u32_e32 v18, v20, v54
	v_add_u32_e32 v19, v10, v69
	;; [unrolled: 1-line block ×3, first 2 shown]
	s_branch .LBB762_117
.LBB762_105:
                                        ; implicit-def: $vgpr6
                                        ; implicit-def: $vgpr67
                                        ; implicit-def: $vgpr46_vgpr47
                                        ; implicit-def: $vgpr44_vgpr45
                                        ; implicit-def: $vgpr42_vgpr43
                                        ; implicit-def: $vgpr40_vgpr41
                                        ; implicit-def: $vgpr38_vgpr39
                                        ; implicit-def: $vgpr36_vgpr37
                                        ; implicit-def: $vgpr34_vgpr35
                                        ; implicit-def: $vgpr32_vgpr33
                                        ; implicit-def: $vgpr30_vgpr31
                                        ; implicit-def: $vgpr28_vgpr29
                                        ; implicit-def: $vgpr26_vgpr27
                                        ; implicit-def: $vgpr24_vgpr25
                                        ; implicit-def: $vgpr22_vgpr23
                                        ; implicit-def: $vgpr20_vgpr21
                                        ; implicit-def: $vgpr18_vgpr19
	s_cbranch_execz .LBB762_117
; %bb.106:
	s_and_b64 s[2:3], s[34:35], exec
	s_cselect_b32 s3, 0, s61
	s_cselect_b32 s2, 0, s60
	s_cmp_eq_u64 s[2:3], 0
	v_mov_b32_e32 v10, v52
	s_cbranch_scc1 .LBB762_108
; %bb.107:
	v_mov_b32_e32 v6, 0
	global_load_dword v10, v6, s[2:3]
.LBB762_108:
	v_cmp_eq_u32_e64 s[2:3], 0, v66
	v_cndmask_b32_e64 v6, 0, v52, s[2:3]
	v_add_u32_e32 v6, v6, v75
	v_cmp_eq_u32_e64 s[4:5], 0, v65
	v_cndmask_b32_e64 v6, 0, v6, s[4:5]
	v_add_u32_e32 v6, v6, v53
	;; [unrolled: 3-line block ×11, first 2 shown]
	v_cmp_eq_u32_e64 s[24:25], 0, v55
	v_cndmask_b32_e64 v6, 0, v6, s[24:25]
	v_add3_u32 v7, v79, v62, v61
	v_add_u32_e32 v6, v6, v16
	v_cmp_eq_u32_e32 vcc, 0, v54
	v_add3_u32 v7, v7, v60, v59
	v_cndmask_b32_e32 v6, 0, v6, vcc
	v_add3_u32 v7, v7, v58, v57
	v_add_u32_e32 v6, v6, v69
	v_cmp_eq_u32_e64 s[26:27], 0, v15
	v_add3_u32 v7, v7, v56, v55
	v_cndmask_b32_e64 v6, 0, v6, s[26:27]
	v_add3_u32 v7, v7, v54, v15
	v_add_u32_e32 v6, v6, v17
	v_mbcnt_hi_u32_b32 v11, -1, v78
	v_and_b32_e32 v8, 15, v11
	v_mov_b32_dpp v17, v6 row_shr:1 row_mask:0xf bank_mask:0xf
	v_cmp_eq_u32_e64 s[26:27], 0, v7
	v_mov_b32_dpp v9, v7 row_shr:1 row_mask:0xf bank_mask:0xf
	v_cndmask_b32_e64 v17, 0, v17, s[26:27]
	v_cmp_eq_u32_e64 s[26:27], 0, v8
	v_cndmask_b32_e64 v9, v9, 0, s[26:27]
	v_add_u32_e32 v7, v9, v7
	v_cndmask_b32_e64 v9, v17, 0, s[26:27]
	v_add_u32_e32 v6, v9, v6
	v_cmp_eq_u32_e64 s[26:27], 0, v7
	v_mov_b32_dpp v9, v7 row_shr:2 row_mask:0xf bank_mask:0xf
	v_cmp_lt_u32_e64 s[28:29], 1, v8
	v_mov_b32_dpp v17, v6 row_shr:2 row_mask:0xf bank_mask:0xf
	v_cndmask_b32_e64 v9, 0, v9, s[28:29]
	s_and_b64 s[26:27], s[28:29], s[26:27]
	v_cndmask_b32_e64 v17, 0, v17, s[26:27]
	v_add_u32_e32 v7, v7, v9
	v_add_u32_e32 v6, v17, v6
	v_cmp_eq_u32_e64 s[26:27], 0, v7
	v_mov_b32_dpp v9, v7 row_shr:4 row_mask:0xf bank_mask:0xf
	v_cmp_lt_u32_e64 s[28:29], 3, v8
	v_mov_b32_dpp v17, v6 row_shr:4 row_mask:0xf bank_mask:0xf
	v_cndmask_b32_e64 v9, 0, v9, s[28:29]
	s_and_b64 s[26:27], s[28:29], s[26:27]
	v_cndmask_b32_e64 v17, 0, v17, s[26:27]
	v_add_u32_e32 v7, v9, v7
	v_add_u32_e32 v6, v6, v17
	v_cmp_eq_u32_e64 s[26:27], 0, v7
	v_cmp_lt_u32_e64 s[28:29], 7, v8
	v_mov_b32_dpp v9, v7 row_shr:8 row_mask:0xf bank_mask:0xf
	v_mov_b32_dpp v17, v6 row_shr:8 row_mask:0xf bank_mask:0xf
	s_and_b64 s[26:27], s[28:29], s[26:27]
	v_cndmask_b32_e64 v8, 0, v9, s[28:29]
	v_cndmask_b32_e64 v9, 0, v17, s[26:27]
	v_add_u32_e32 v6, v9, v6
	v_add_u32_e32 v7, v8, v7
	v_bfe_i32 v17, v11, 4, 1
	v_mov_b32_dpp v9, v6 row_bcast:15 row_mask:0xf bank_mask:0xf
	v_mov_b32_dpp v8, v7 row_bcast:15 row_mask:0xf bank_mask:0xf
	v_cmp_eq_u32_e64 s[26:27], 0, v7
	v_cndmask_b32_e64 v9, 0, v9, s[26:27]
	v_and_b32_e32 v8, v17, v8
	v_add_u32_e32 v7, v8, v7
	v_and_b32_e32 v8, v17, v9
	v_add_u32_e32 v8, v8, v6
	v_mov_b32_dpp v6, v7 row_bcast:31 row_mask:0xf bank_mask:0xf
	v_cmp_eq_u32_e64 s[26:27], 0, v7
	v_cmp_lt_u32_e64 s[28:29], 31, v11
	v_mov_b32_dpp v9, v8 row_bcast:31 row_mask:0xf bank_mask:0xf
	v_cndmask_b32_e64 v6, 0, v6, s[28:29]
	s_and_b64 s[26:27], s[28:29], s[26:27]
	v_add_u32_e32 v6, v6, v7
	v_cndmask_b32_e64 v7, 0, v9, s[26:27]
	v_add_u32_e32 v7, v7, v8
	v_cmp_eq_u32_e64 s[26:27], v77, v0
	v_lshlrev_b32_e32 v9, 3, v76
	s_and_saveexec_b64 s[28:29], s[26:27]
	s_cbranch_execz .LBB762_110
; %bb.109:
	ds_write_b64 v9, v[6:7] offset:1040
.LBB762_110:
	s_or_b64 exec, exec, s[28:29]
	v_cmp_gt_u32_e64 s[26:27], 4, v0
	s_waitcnt lgkmcnt(0)
	s_barrier
	s_and_saveexec_b64 s[30:31], s[26:27]
	s_cbranch_execz .LBB762_112
; %bb.111:
	v_lshlrev_b32_e32 v8, 3, v0
	ds_read_b64 v[18:19], v8 offset:1040
	v_and_b32_e32 v17, 3, v11
	v_cmp_lt_u32_e64 s[28:29], 1, v17
	s_waitcnt lgkmcnt(0)
	v_mov_b32_dpp v21, v19 row_shr:1 row_mask:0xf bank_mask:0xf
	v_cmp_eq_u32_e64 s[26:27], 0, v18
	v_mov_b32_dpp v20, v18 row_shr:1 row_mask:0xf bank_mask:0xf
	v_cndmask_b32_e64 v21, 0, v21, s[26:27]
	v_cmp_eq_u32_e64 s[26:27], 0, v17
	v_cndmask_b32_e64 v20, v20, 0, s[26:27]
	v_add_u32_e32 v18, v20, v18
	v_cndmask_b32_e64 v20, v21, 0, s[26:27]
	v_add_u32_e32 v19, v20, v19
	v_cmp_eq_u32_e64 s[26:27], 0, v18
	v_mov_b32_dpp v20, v18 row_shr:2 row_mask:0xf bank_mask:0xf
	v_mov_b32_dpp v21, v19 row_shr:2 row_mask:0xf bank_mask:0xf
	v_cndmask_b32_e64 v17, 0, v20, s[28:29]
	s_and_b64 s[26:27], s[28:29], s[26:27]
	v_add_u32_e32 v18, v17, v18
	v_cndmask_b32_e64 v17, 0, v21, s[26:27]
	v_add_u32_e32 v19, v17, v19
	ds_write_b64 v8, v[18:19] offset:1040
.LBB762_112:
	s_or_b64 exec, exec, s[30:31]
	v_cmp_lt_u32_e64 s[26:27], 63, v0
	v_mov_b32_e32 v17, 0
	v_mov_b32_e32 v8, 0
	s_waitcnt vmcnt(0)
	v_mov_b32_e32 v18, v10
	s_waitcnt lgkmcnt(0)
	s_barrier
	s_and_saveexec_b64 s[28:29], s[26:27]
	s_cbranch_execz .LBB762_114
; %bb.113:
	ds_read_b64 v[8:9], v9 offset:1032
	s_waitcnt lgkmcnt(0)
	v_cmp_eq_u32_e64 s[26:27], 0, v8
	v_cndmask_b32_e64 v18, 0, v10, s[26:27]
	v_add_u32_e32 v18, v18, v9
.LBB762_114:
	s_or_b64 exec, exec, s[28:29]
	v_cmp_eq_u32_e64 s[26:27], 0, v6
	v_add_u32_e32 v9, v8, v6
	v_cndmask_b32_e64 v6, 0, v18, s[26:27]
	v_add_u32_e32 v6, v6, v7
	v_add_u32_e32 v7, -1, v11
	v_and_b32_e32 v19, 64, v11
	v_cmp_lt_i32_e64 s[26:27], v7, v19
	v_cndmask_b32_e64 v7, v7, v11, s[26:27]
	v_lshlrev_b32_e32 v7, 2, v7
	ds_bpermute_b32 v6, v7, v6
	ds_bpermute_b32 v9, v7, v9
	v_cmp_eq_u32_e64 s[26:27], 0, v11
	s_waitcnt lgkmcnt(1)
	v_cndmask_b32_e64 v6, v6, v18, s[26:27]
	s_waitcnt lgkmcnt(0)
	v_cndmask_b32_e64 v7, v9, v8, s[26:27]
	v_cndmask_b32_e64 v47, v6, v10, s[0:1]
	v_cmp_eq_u32_e64 s[26:27], 0, v68
	v_cndmask_b32_e64 v6, 0, v47, s[26:27]
	v_add_u32_e32 v45, v6, v52
	v_cndmask_b32_e64 v6, 0, v45, s[2:3]
	v_add_u32_e32 v43, v6, v75
	v_cndmask_b32_e64 v6, 0, v43, s[4:5]
	v_add_u32_e32 v41, v6, v53
	v_cndmask_b32_e64 v6, 0, v41, s[6:7]
	v_add_u32_e32 v39, v6, v74
	v_cndmask_b32_e64 v6, 0, v39, s[8:9]
	v_add_u32_e32 v37, v6, v50
	v_cndmask_b32_e64 v6, 0, v37, s[10:11]
	v_add_u32_e32 v35, v6, v73
	v_cndmask_b32_e64 v6, 0, v35, s[12:13]
	v_add_u32_e32 v33, v6, v51
	v_cndmask_b32_e64 v6, 0, v33, s[14:15]
	v_add_u32_e32 v31, v6, v72
	v_cndmask_b32_e64 v46, v7, 0, s[0:1]
	v_cndmask_b32_e64 v6, 0, v31, s[16:17]
	v_add_u32_e32 v44, v46, v68
	v_add_u32_e32 v29, v6, v48
	v_add_u32_e32 v42, v44, v66
	v_cndmask_b32_e64 v6, 0, v29, s[18:19]
	v_add_u32_e32 v40, v42, v65
	v_add_u32_e32 v27, v6, v71
	v_add_u32_e32 v38, v40, v64
	;; [unrolled: 4-line block ×3, first 2 shown]
	v_cndmask_b32_e64 v6, 0, v25, s[22:23]
	v_add_u32_e32 v32, v34, v61
	v_add_u32_e32 v23, v6, v70
	ds_read_b64 v[6:7], v17 offset:1064
	v_add_u32_e32 v30, v32, v60
	v_add_u32_e32 v28, v30, v59
	;; [unrolled: 1-line block ×3, first 2 shown]
	v_cndmask_b32_e64 v8, 0, v23, s[24:25]
	v_add_u32_e32 v24, v26, v57
	v_add_u32_e32 v21, v8, v16
	;; [unrolled: 1-line block ×3, first 2 shown]
	v_cndmask_b32_e32 v8, 0, v21, vcc
	s_waitcnt lgkmcnt(0)
	v_cmp_eq_u32_e32 vcc, 0, v6
	v_add_u32_e32 v20, v22, v55
	v_add_u32_e32 v19, v8, v69
	v_cndmask_b32_e32 v8, 0, v10, vcc
	v_add_u32_e32 v18, v20, v54
	v_add_u32_e32 v67, v8, v7
	s_and_saveexec_b64 s[2:3], s[0:1]
	s_cbranch_execz .LBB762_116
; %bb.115:
	s_add_u32 s4, s44, 0x400
	v_and_b32_e32 v7, 0xff000000, v67
	v_and_b32_e32 v8, 0xff0000, v67
	s_addc_u32 s5, s45, 0
	v_or_b32_e32 v7, v8, v7
	v_and_b32_e32 v8, 0xff00, v67
	v_and_b32_e32 v10, 0xff, v67
	v_mov_b32_e32 v9, 0
	v_or3_b32 v7, v7, v8, v10
	v_mov_b32_e32 v8, 2
	v_pk_mov_b32 v[10:11], s[4:5], s[4:5] op_sel:[0,1]
	;;#ASMSTART
	global_store_dwordx4 v[10:11], v[6:9] off	
s_waitcnt vmcnt(0)
	;;#ASMEND
.LBB762_116:
	s_or_b64 exec, exec, s[2:3]
	v_mov_b32_e32 v8, 0
.LBB762_117:
	s_and_b64 s[2:3], s[34:35], exec
	s_cselect_b32 s3, 0, s59
	s_cselect_b32 s2, 0, s58
	s_cmp_eq_u64 s[2:3], 0
	v_pk_mov_b32 v[16:17], 0, 0
	s_barrier
	s_cbranch_scc1 .LBB762_119
; %bb.118:
	v_mov_b32_e32 v7, 0
	global_load_dwordx2 v[16:17], v7, s[2:3]
.LBB762_119:
	s_waitcnt vmcnt(0)
	v_lshlrev_b64 v[10:11], 1, v[16:17]
	v_mov_b32_e32 v7, s43
	v_add_co_u32_e32 v48, vcc, s42, v10
	v_mov_b32_e32 v9, 0
	v_addc_co_u32_e32 v49, vcc, v7, v11, vcc
	v_lshlrev_b64 v[10:11], 1, v[8:9]
	v_add_co_u32_e32 v7, vcc, v48, v10
	v_addc_co_u32_e32 v48, vcc, v49, v11, vcc
	v_cmp_eq_u32_e32 vcc, 0, v68
	v_cndmask_b32_e64 v10, 1, 2, vcc
	v_cmp_eq_u32_e32 vcc, 0, v66
	v_cndmask_b32_e64 v11, 1, 2, vcc
	v_cmp_eq_u32_e32 vcc, 0, v65
	v_and_b32_e32 v10, v11, v10
	v_cndmask_b32_e64 v11, 1, 2, vcc
	v_cmp_eq_u32_e32 vcc, 0, v64
	v_and_b32_e32 v10, v10, v11
	;; [unrolled: 3-line block ×13, first 2 shown]
	v_cndmask_b32_e64 v11, 1, 2, vcc
	s_movk_i32 s34, 0x100
	v_and_b32_e32 v10, v10, v11
	v_cmp_gt_u32_e32 vcc, s34, v6
	v_cmp_ne_u32_e64 s[30:31], 0, v68
	v_cmp_ne_u32_e64 s[28:29], 0, v66
	;; [unrolled: 1-line block ×15, first 2 shown]
	s_mov_b64 s[40:41], -1
	v_cmp_gt_i16_e64 s[34:35], 2, v10
	s_cbranch_vccz .LBB762_168
; %bb.120:
	s_and_saveexec_b64 s[40:41], s[34:35]
	s_cbranch_execz .LBB762_167
; %bb.121:
	v_cmp_ne_u16_e32 vcc, 1, v10
	s_mov_b64 s[42:43], 0
	s_and_saveexec_b64 s[34:35], vcc
	s_xor_b64 s[34:35], exec, s[34:35]
	s_cbranch_execz .LBB762_145
; %bb.122:
	s_and_saveexec_b64 s[42:43], s[30:31]
	s_cbranch_execz .LBB762_150
; %bb.123:
	v_sub_u32_e32 v50, v46, v8
	v_mov_b32_e32 v51, 0
	v_lshlrev_b64 v[50:51], 1, v[50:51]
	v_add_co_u32_e32 v50, vcc, v7, v50
	v_addc_co_u32_e32 v51, vcc, v48, v51, vcc
	global_store_short v[50:51], v1, off
	s_or_b64 exec, exec, s[42:43]
	s_and_saveexec_b64 s[42:43], s[28:29]
	s_cbranch_execnz .LBB762_151
.LBB762_124:
	s_or_b64 exec, exec, s[42:43]
	s_and_saveexec_b64 s[42:43], s[26:27]
	s_cbranch_execz .LBB762_152
.LBB762_125:
	v_sub_u32_e32 v50, v42, v8
	v_mov_b32_e32 v51, 0
	v_lshlrev_b64 v[50:51], 1, v[50:51]
	v_add_co_u32_e32 v50, vcc, v7, v50
	v_addc_co_u32_e32 v51, vcc, v48, v51, vcc
	global_store_short_d16_hi v[50:51], v2, off
	s_or_b64 exec, exec, s[42:43]
	s_and_saveexec_b64 s[42:43], s[24:25]
	s_cbranch_execnz .LBB762_153
.LBB762_126:
	s_or_b64 exec, exec, s[42:43]
	s_and_saveexec_b64 s[42:43], s[22:23]
	s_cbranch_execz .LBB762_154
.LBB762_127:
	v_sub_u32_e32 v50, v38, v8
	v_mov_b32_e32 v51, 0
	v_lshlrev_b64 v[50:51], 1, v[50:51]
	v_add_co_u32_e32 v50, vcc, v7, v50
	v_addc_co_u32_e32 v51, vcc, v48, v51, vcc
	global_store_short_d16_hi v[50:51], v3, off
	s_or_b64 exec, exec, s[42:43]
	s_and_saveexec_b64 s[42:43], s[20:21]
	s_cbranch_execnz .LBB762_155
.LBB762_128:
	s_or_b64 exec, exec, s[42:43]
	s_and_saveexec_b64 s[42:43], s[18:19]
	s_cbranch_execz .LBB762_156
.LBB762_129:
	v_sub_u32_e32 v50, v34, v8
	v_mov_b32_e32 v51, 0
	v_lshlrev_b64 v[50:51], 1, v[50:51]
	v_add_co_u32_e32 v50, vcc, v7, v50
	v_addc_co_u32_e32 v51, vcc, v48, v51, vcc
	global_store_short_d16_hi v[50:51], v4, off
	s_or_b64 exec, exec, s[42:43]
	s_and_saveexec_b64 s[42:43], s[16:17]
	s_cbranch_execnz .LBB762_157
.LBB762_130:
	s_or_b64 exec, exec, s[42:43]
	s_and_saveexec_b64 s[42:43], s[14:15]
	s_cbranch_execz .LBB762_158
.LBB762_131:
	v_sub_u32_e32 v50, v30, v8
	v_mov_b32_e32 v51, 0
	v_lshlrev_b64 v[50:51], 1, v[50:51]
	v_add_co_u32_e32 v50, vcc, v7, v50
	v_addc_co_u32_e32 v51, vcc, v48, v51, vcc
	global_store_short_d16_hi v[50:51], v5, off
	s_or_b64 exec, exec, s[42:43]
	s_and_saveexec_b64 s[42:43], s[12:13]
	s_cbranch_execnz .LBB762_159
.LBB762_132:
	s_or_b64 exec, exec, s[42:43]
	s_and_saveexec_b64 s[42:43], s[10:11]
	s_cbranch_execz .LBB762_160
.LBB762_133:
	v_sub_u32_e32 v50, v26, v8
	v_mov_b32_e32 v51, 0
	v_lshlrev_b64 v[50:51], 1, v[50:51]
	v_add_co_u32_e32 v50, vcc, v7, v50
	v_addc_co_u32_e32 v51, vcc, v48, v51, vcc
	global_store_short_d16_hi v[50:51], v12, off
	s_or_b64 exec, exec, s[42:43]
	s_and_saveexec_b64 s[42:43], s[8:9]
	s_cbranch_execnz .LBB762_161
.LBB762_134:
	s_or_b64 exec, exec, s[42:43]
	s_and_saveexec_b64 s[42:43], s[6:7]
	s_cbranch_execz .LBB762_162
.LBB762_135:
	v_sub_u32_e32 v50, v22, v8
	v_mov_b32_e32 v51, 0
	v_lshlrev_b64 v[50:51], 1, v[50:51]
	v_add_co_u32_e32 v50, vcc, v7, v50
	v_addc_co_u32_e32 v51, vcc, v48, v51, vcc
	global_store_short_d16_hi v[50:51], v13, off
	s_or_b64 exec, exec, s[42:43]
	s_and_saveexec_b64 s[42:43], s[4:5]
	s_cbranch_execnz .LBB762_163
	s_branch .LBB762_164
.LBB762_136:
                                        ; implicit-def: $sgpr4_sgpr5
                                        ; implicit-def: $vgpr15
                                        ; implicit-def: $vgpr54
                                        ; implicit-def: $vgpr55
                                        ; implicit-def: $vgpr56
                                        ; implicit-def: $vgpr57
                                        ; implicit-def: $vgpr58
                                        ; implicit-def: $vgpr59
                                        ; implicit-def: $vgpr60
                                        ; implicit-def: $vgpr61
                                        ; implicit-def: $vgpr62
                                        ; implicit-def: $vgpr63
                                        ; implicit-def: $vgpr64
                                        ; implicit-def: $vgpr65
                                        ; implicit-def: $vgpr66
	s_cbranch_execz .LBB762_74
; %bb.137:
	v_cmp_ne_u16_sdwa s[4:5], v13, v14 src0_sel:WORD_1 src1_sel:DWORD
	v_cndmask_b32_e64 v54, 0, 1, s[4:5]
	v_cmp_ne_u16_sdwa s[4:5], v13, v13 src0_sel:DWORD src1_sel:WORD_1
	v_cndmask_b32_e64 v55, 0, 1, s[4:5]
	v_cmp_ne_u16_sdwa s[4:5], v12, v13 src0_sel:WORD_1 src1_sel:DWORD
	v_cndmask_b32_e64 v56, 0, 1, s[4:5]
	v_cmp_ne_u16_sdwa s[4:5], v12, v12 src0_sel:DWORD src1_sel:WORD_1
	v_cndmask_b32_e64 v57, 0, 1, s[4:5]
	;; [unrolled: 4-line block ×4, first 2 shown]
	v_cmp_ne_u16_sdwa s[4:5], v3, v4 src0_sel:WORD_1 src1_sel:DWORD
	v_lshrrev_b32_e32 v15, 16, v14
	v_cndmask_b32_e64 v62, 0, 1, s[4:5]
	v_cmp_ne_u16_sdwa s[4:5], v3, v3 src0_sel:DWORD src1_sel:WORD_1
	v_lshlrev_b32_e32 v11, 1, v0
	v_cmp_ne_u16_e32 vcc, v14, v15
	v_cndmask_b32_e64 v63, 0, 1, s[4:5]
	v_cmp_ne_u16_sdwa s[4:5], v2, v3 src0_sel:WORD_1 src1_sel:DWORD
	ds_write_b16 v11, v15
	v_cndmask_b32_e64 v15, 0, 1, vcc
	v_cndmask_b32_e64 v64, 0, 1, s[4:5]
	v_cmp_ne_u16_sdwa s[4:5], v2, v2 src0_sel:DWORD src1_sel:WORD_1
	v_cmp_ne_u16_e32 vcc, v1, v2
	s_mov_b32 s12, 1
	v_cndmask_b32_e64 v65, 0, 1, s[4:5]
	v_cndmask_b32_e64 v66, 0, 1, vcc
	s_waitcnt lgkmcnt(0)
	s_barrier
	s_waitcnt lgkmcnt(0)
                                        ; implicit-def: $sgpr4_sgpr5
	s_and_saveexec_b64 s[10:11], s[2:3]
	s_xor_b64 s[10:11], exec, s[10:11]
	s_cbranch_execz .LBB762_139
; %bb.138:
	v_add_u32_e32 v11, -2, v11
	ds_read_u16 v11, v11
	s_or_b64 s[6:7], s[6:7], exec
	s_waitcnt lgkmcnt(0)
	v_cmp_ne_u16_e32 vcc, v11, v1
	s_and_b64 s[4:5], vcc, exec
.LBB762_139:
	s_or_b64 exec, exec, s[10:11]
	s_branch .LBB762_76
.LBB762_140:
	s_mul_hi_u32 s5, s40, 0xfffff100
	s_mul_i32 s4, s41, 0xfffff100
	s_sub_i32 s5, s5, s40
	s_add_i32 s5, s5, s4
	s_mul_i32 s4, s40, 0xfffff100
	s_add_u32 s10, s4, s56
	s_addc_u32 s11, s5, s57
	s_and_b64 vcc, exec, s[8:9]
	v_lshrrev_b32_e32 v42, 16, v14
	v_mad_u32_u24 v26, v0, 15, 14
	v_cmp_ne_u16_sdwa s[8:9], v13, v14 src0_sel:WORD_1 src1_sel:DWORD
	v_mad_u32_u24 v38, v0, 15, 12
	v_cmp_ne_u16_sdwa s[14:15], v13, v13 src0_sel:DWORD src1_sel:WORD_1
	v_cmp_ne_u16_sdwa s[18:19], v12, v13 src0_sel:WORD_1 src1_sel:DWORD
	v_mad_u32_u24 v36, v0, 15, 10
	v_cmp_ne_u16_sdwa s[24:25], v12, v12 src0_sel:DWORD src1_sel:WORD_1
	;; [unrolled: 3-line block ×6, first 2 shown]
	v_cmp_ne_u16_e64 s[4:5], v1, v2
	s_cbranch_vccz .LBB762_147
; %bb.141:
	v_add_co_u32_e32 v40, vcc, -2, v7
	v_addc_co_u32_e32 v41, vcc, -1, v9, vcc
	flat_load_ushort v43, v[40:41]
	v_mov_b32_e32 v27, 0
	v_cmp_gt_u64_e32 vcc, s[10:11], v[26:27]
	v_cmp_ne_u16_e64 s[6:7], v14, v42
	v_mov_b32_e32 v25, v27
	s_and_b64 s[6:7], vcc, s[6:7]
	v_cmp_gt_u64_e32 vcc, s[10:11], v[24:25]
	v_mov_b32_e32 v39, v27
	s_and_b64 s[8:9], vcc, s[8:9]
	v_cmp_gt_u64_e32 vcc, s[10:11], v[38:39]
	;; [unrolled: 3-line block ×13, first 2 shown]
	v_lshlrev_b32_e32 v15, 1, v0
	v_mul_u32_u24_e32 v40, 15, v0
	s_and_b64 s[4:5], vcc, s[4:5]
	ds_write_b16 v15, v42
	s_waitcnt lgkmcnt(0)
	s_barrier
	s_and_saveexec_b64 s[40:41], s[2:3]
	s_cbranch_execz .LBB762_143
; %bb.142:
	v_add_u32_e32 v7, -2, v15
	s_waitcnt vmcnt(0)
	ds_read_u16 v43, v7
.LBB762_143:
	s_or_b64 exec, exec, s[40:41]
	v_mov_b32_e32 v41, v27
	v_cndmask_b32_e64 v66, 0, 1, s[4:5]
	v_cmp_gt_u64_e32 vcc, s[10:11], v[40:41]
	s_waitcnt vmcnt(0) lgkmcnt(0)
	v_cmp_ne_u16_e64 s[4:5], v43, v1
	v_cndmask_b32_e64 v15, 0, 1, s[6:7]
	v_cndmask_b32_e64 v54, 0, 1, s[8:9]
	;; [unrolled: 1-line block ×13, first 2 shown]
	s_and_b64 s[4:5], vcc, s[4:5]
	s_mov_b64 s[6:7], -1
.LBB762_144:
                                        ; implicit-def: $sgpr12
	v_mov_b32_e32 v68, s12
	s_and_saveexec_b64 s[2:3], s[6:7]
	s_cbranch_execnz .LBB762_77
	s_branch .LBB762_78
.LBB762_145:
	s_andn2_saveexec_b64 s[34:35], s[34:35]
	s_cbranch_execz .LBB762_165
.LBB762_146:
	v_sub_u32_e32 v50, v46, v8
	v_mov_b32_e32 v51, 0
	v_lshlrev_b64 v[52:53], 1, v[50:51]
	v_add_co_u32_e32 v52, vcc, v7, v52
	v_addc_co_u32_e32 v53, vcc, v48, v53, vcc
	v_sub_u32_e32 v50, v44, v8
	global_store_short v[52:53], v1, off
	v_lshlrev_b64 v[52:53], 1, v[50:51]
	v_add_co_u32_e32 v52, vcc, v7, v52
	v_addc_co_u32_e32 v53, vcc, v48, v53, vcc
	v_sub_u32_e32 v50, v42, v8
	global_store_short v[52:53], v2, off
	v_lshlrev_b64 v[52:53], 1, v[50:51]
	v_add_co_u32_e32 v52, vcc, v7, v52
	v_addc_co_u32_e32 v53, vcc, v48, v53, vcc
	v_sub_u32_e32 v50, v40, v8
	global_store_short_d16_hi v[52:53], v2, off
	v_lshlrev_b64 v[52:53], 1, v[50:51]
	v_add_co_u32_e32 v52, vcc, v7, v52
	v_addc_co_u32_e32 v53, vcc, v48, v53, vcc
	v_sub_u32_e32 v50, v38, v8
	global_store_short v[52:53], v3, off
	v_lshlrev_b64 v[52:53], 1, v[50:51]
	v_add_co_u32_e32 v52, vcc, v7, v52
	v_addc_co_u32_e32 v53, vcc, v48, v53, vcc
	v_sub_u32_e32 v50, v36, v8
	global_store_short_d16_hi v[52:53], v3, off
	;; [unrolled: 10-line block ×5, first 2 shown]
	v_lshlrev_b64 v[52:53], 1, v[50:51]
	v_add_co_u32_e32 v52, vcc, v7, v52
	v_addc_co_u32_e32 v53, vcc, v48, v53, vcc
	v_sub_u32_e32 v50, v22, v8
	global_store_short v[52:53], v13, off
	v_lshlrev_b64 v[52:53], 1, v[50:51]
	v_add_co_u32_e32 v52, vcc, v7, v52
	v_sub_u32_e32 v50, v20, v8
	v_addc_co_u32_e32 v53, vcc, v48, v53, vcc
	v_lshlrev_b64 v[50:51], 1, v[50:51]
	v_add_co_u32_e32 v50, vcc, v7, v50
	v_addc_co_u32_e32 v51, vcc, v48, v51, vcc
	s_or_b64 s[42:43], s[42:43], exec
	global_store_short_d16_hi v[52:53], v13, off
	global_store_short v[50:51], v14, off
	s_or_b64 exec, exec, s[34:35]
	s_and_b64 exec, exec, s[42:43]
	s_cbranch_execnz .LBB762_166
	s_branch .LBB762_167
.LBB762_147:
                                        ; implicit-def: $sgpr4_sgpr5
                                        ; implicit-def: $vgpr15
                                        ; implicit-def: $vgpr54
                                        ; implicit-def: $vgpr55
                                        ; implicit-def: $vgpr56
                                        ; implicit-def: $vgpr57
                                        ; implicit-def: $vgpr58
                                        ; implicit-def: $vgpr59
                                        ; implicit-def: $vgpr60
                                        ; implicit-def: $vgpr61
                                        ; implicit-def: $vgpr62
                                        ; implicit-def: $vgpr63
                                        ; implicit-def: $vgpr64
                                        ; implicit-def: $vgpr65
                                        ; implicit-def: $vgpr66
	s_cbranch_execz .LBB762_144
; %bb.148:
	v_mov_b32_e32 v27, 0
	v_cmp_gt_u64_e32 vcc, s[10:11], v[26:27]
	v_cmp_ne_u16_e64 s[4:5], v14, v42
	s_and_b64 s[4:5], vcc, s[4:5]
	v_mov_b32_e32 v25, v27
	v_cndmask_b32_e64 v15, 0, 1, s[4:5]
	v_cmp_gt_u64_e32 vcc, s[10:11], v[24:25]
	v_cmp_ne_u16_sdwa s[4:5], v13, v14 src0_sel:WORD_1 src1_sel:DWORD
	s_and_b64 s[4:5], vcc, s[4:5]
	v_mov_b32_e32 v39, v27
	v_cndmask_b32_e64 v54, 0, 1, s[4:5]
	v_cmp_gt_u64_e32 vcc, s[10:11], v[38:39]
	v_cmp_ne_u16_sdwa s[4:5], v13, v13 src0_sel:DWORD src1_sel:WORD_1
	s_and_b64 s[4:5], vcc, s[4:5]
	v_mov_b32_e32 v23, v27
	v_cndmask_b32_e64 v55, 0, 1, s[4:5]
	v_cmp_gt_u64_e32 vcc, s[10:11], v[22:23]
	v_cmp_ne_u16_sdwa s[4:5], v12, v13 src0_sel:WORD_1 src1_sel:DWORD
	s_and_b64 s[4:5], vcc, s[4:5]
	v_mov_b32_e32 v37, v27
	v_cndmask_b32_e64 v56, 0, 1, s[4:5]
	v_cmp_gt_u64_e32 vcc, s[10:11], v[36:37]
	v_cmp_ne_u16_sdwa s[4:5], v12, v12 src0_sel:DWORD src1_sel:WORD_1
	;; [unrolled: 10-line block ×6, first 2 shown]
	s_and_b64 s[4:5], vcc, s[4:5]
	v_mov_b32_e32 v7, v27
	v_cndmask_b32_e64 v65, 0, 1, s[4:5]
	v_cmp_gt_u64_e32 vcc, s[10:11], v[6:7]
	v_cmp_ne_u16_e64 s[4:5], v1, v2
	s_and_b64 s[4:5], vcc, s[4:5]
	s_mov_b32 s12, 1
	v_lshlrev_b32_e32 v40, 1, v0
	v_cndmask_b32_e64 v66, 0, 1, s[4:5]
	ds_write_b16 v40, v42
	s_waitcnt lgkmcnt(0)
	s_barrier
	s_waitcnt lgkmcnt(0)
                                        ; implicit-def: $sgpr4_sgpr5
	s_and_saveexec_b64 s[8:9], s[2:3]
	s_cbranch_execz .LBB762_187
; %bb.149:
	v_add_u32_e32 v6, -2, v40
	ds_read_u16 v6, v6
	v_mul_u32_u24_e32 v26, 15, v0
	v_cmp_gt_u64_e32 vcc, s[10:11], v[26:27]
	s_or_b64 s[6:7], s[6:7], exec
	s_waitcnt lgkmcnt(0)
	v_cmp_ne_u16_e64 s[2:3], v6, v1
	s_and_b64 s[2:3], vcc, s[2:3]
	s_and_b64 s[4:5], s[2:3], exec
	s_or_b64 exec, exec, s[8:9]
	v_mov_b32_e32 v68, s12
	s_and_saveexec_b64 s[2:3], s[6:7]
	s_cbranch_execz .LBB762_78
	s_branch .LBB762_77
.LBB762_150:
	s_or_b64 exec, exec, s[42:43]
	s_and_saveexec_b64 s[42:43], s[28:29]
	s_cbranch_execz .LBB762_124
.LBB762_151:
	v_sub_u32_e32 v50, v44, v8
	v_mov_b32_e32 v51, 0
	v_lshlrev_b64 v[50:51], 1, v[50:51]
	v_add_co_u32_e32 v50, vcc, v7, v50
	v_addc_co_u32_e32 v51, vcc, v48, v51, vcc
	global_store_short v[50:51], v2, off
	s_or_b64 exec, exec, s[42:43]
	s_and_saveexec_b64 s[42:43], s[26:27]
	s_cbranch_execnz .LBB762_125
.LBB762_152:
	s_or_b64 exec, exec, s[42:43]
	s_and_saveexec_b64 s[42:43], s[24:25]
	s_cbranch_execz .LBB762_126
.LBB762_153:
	v_sub_u32_e32 v50, v40, v8
	v_mov_b32_e32 v51, 0
	v_lshlrev_b64 v[50:51], 1, v[50:51]
	v_add_co_u32_e32 v50, vcc, v7, v50
	v_addc_co_u32_e32 v51, vcc, v48, v51, vcc
	global_store_short v[50:51], v3, off
	s_or_b64 exec, exec, s[42:43]
	s_and_saveexec_b64 s[42:43], s[22:23]
	s_cbranch_execnz .LBB762_127
.LBB762_154:
	s_or_b64 exec, exec, s[42:43]
	s_and_saveexec_b64 s[42:43], s[20:21]
	s_cbranch_execz .LBB762_128
.LBB762_155:
	v_sub_u32_e32 v50, v36, v8
	v_mov_b32_e32 v51, 0
	v_lshlrev_b64 v[50:51], 1, v[50:51]
	v_add_co_u32_e32 v50, vcc, v7, v50
	v_addc_co_u32_e32 v51, vcc, v48, v51, vcc
	global_store_short v[50:51], v4, off
	s_or_b64 exec, exec, s[42:43]
	s_and_saveexec_b64 s[42:43], s[18:19]
	s_cbranch_execnz .LBB762_129
.LBB762_156:
	s_or_b64 exec, exec, s[42:43]
	s_and_saveexec_b64 s[42:43], s[16:17]
	s_cbranch_execz .LBB762_130
.LBB762_157:
	v_sub_u32_e32 v50, v32, v8
	v_mov_b32_e32 v51, 0
	v_lshlrev_b64 v[50:51], 1, v[50:51]
	v_add_co_u32_e32 v50, vcc, v7, v50
	v_addc_co_u32_e32 v51, vcc, v48, v51, vcc
	global_store_short v[50:51], v5, off
	s_or_b64 exec, exec, s[42:43]
	s_and_saveexec_b64 s[42:43], s[14:15]
	s_cbranch_execnz .LBB762_131
.LBB762_158:
	s_or_b64 exec, exec, s[42:43]
	s_and_saveexec_b64 s[42:43], s[12:13]
	s_cbranch_execz .LBB762_132
.LBB762_159:
	v_sub_u32_e32 v50, v28, v8
	v_mov_b32_e32 v51, 0
	v_lshlrev_b64 v[50:51], 1, v[50:51]
	v_add_co_u32_e32 v50, vcc, v7, v50
	v_addc_co_u32_e32 v51, vcc, v48, v51, vcc
	global_store_short v[50:51], v12, off
	s_or_b64 exec, exec, s[42:43]
	s_and_saveexec_b64 s[42:43], s[10:11]
	s_cbranch_execnz .LBB762_133
.LBB762_160:
	s_or_b64 exec, exec, s[42:43]
	s_and_saveexec_b64 s[42:43], s[8:9]
	s_cbranch_execz .LBB762_134
.LBB762_161:
	v_sub_u32_e32 v50, v24, v8
	v_mov_b32_e32 v51, 0
	v_lshlrev_b64 v[50:51], 1, v[50:51]
	v_add_co_u32_e32 v50, vcc, v7, v50
	v_addc_co_u32_e32 v51, vcc, v48, v51, vcc
	global_store_short v[50:51], v13, off
	s_or_b64 exec, exec, s[42:43]
	s_and_saveexec_b64 s[42:43], s[6:7]
	s_cbranch_execnz .LBB762_135
.LBB762_162:
	s_or_b64 exec, exec, s[42:43]
	s_and_saveexec_b64 s[42:43], s[4:5]
	s_cbranch_execz .LBB762_164
.LBB762_163:
	v_sub_u32_e32 v50, v20, v8
	v_mov_b32_e32 v51, 0
	v_lshlrev_b64 v[50:51], 1, v[50:51]
	v_add_co_u32_e32 v50, vcc, v7, v50
	v_addc_co_u32_e32 v51, vcc, v48, v51, vcc
	global_store_short v[50:51], v14, off
.LBB762_164:
	s_or_b64 exec, exec, s[42:43]
	s_and_b64 s[42:43], s[2:3], exec
	s_andn2_saveexec_b64 s[34:35], s[34:35]
	s_cbranch_execnz .LBB762_146
.LBB762_165:
	s_or_b64 exec, exec, s[34:35]
	s_and_b64 exec, exec, s[42:43]
	s_cbranch_execz .LBB762_167
.LBB762_166:
	v_sub_u32_e32 v50, v18, v8
	v_mov_b32_e32 v51, 0
	v_lshlrev_b64 v[50:51], 1, v[50:51]
	v_add_co_u32_e32 v50, vcc, v7, v50
	v_addc_co_u32_e32 v51, vcc, v48, v51, vcc
	global_store_short_d16_hi v[50:51], v14, off
.LBB762_167:
	s_or_b64 exec, exec, s[40:41]
	s_mov_b64 s[40:41], 0
.LBB762_168:
	s_and_b64 vcc, exec, s[40:41]
	s_cbranch_vccz .LBB762_221
; %bb.169:
	v_cmp_gt_i16_e32 vcc, 2, v10
	s_and_saveexec_b64 s[34:35], vcc
	s_cbranch_execz .LBB762_205
; %bb.170:
	v_cmp_ne_u16_e32 vcc, 1, v10
	s_mov_b64 s[42:43], 0
	s_and_saveexec_b64 s[40:41], vcc
	s_xor_b64 s[40:41], exec, s[40:41]
	s_cbranch_execz .LBB762_185
; %bb.171:
	s_and_saveexec_b64 s[42:43], s[30:31]
	s_cbranch_execz .LBB762_188
; %bb.172:
	v_sub_u32_e32 v10, v46, v8
	v_lshlrev_b32_e32 v10, 1, v10
	ds_write_b16 v10, v1
	s_or_b64 exec, exec, s[42:43]
	s_and_saveexec_b64 s[30:31], s[28:29]
	s_cbranch_execnz .LBB762_189
.LBB762_173:
	s_or_b64 exec, exec, s[30:31]
	s_and_saveexec_b64 s[28:29], s[26:27]
	s_cbranch_execz .LBB762_190
.LBB762_174:
	v_sub_u32_e32 v1, v42, v8
	v_lshlrev_b32_e32 v1, 1, v1
	ds_write_b16_d16_hi v1, v2
	s_or_b64 exec, exec, s[28:29]
	s_and_saveexec_b64 s[26:27], s[24:25]
	s_cbranch_execnz .LBB762_191
.LBB762_175:
	s_or_b64 exec, exec, s[26:27]
	s_and_saveexec_b64 s[24:25], s[22:23]
	s_cbranch_execz .LBB762_192
.LBB762_176:
	v_sub_u32_e32 v1, v38, v8
	v_lshlrev_b32_e32 v1, 1, v1
	ds_write_b16_d16_hi v1, v3
	s_or_b64 exec, exec, s[24:25]
	s_and_saveexec_b64 s[22:23], s[20:21]
	s_cbranch_execnz .LBB762_193
.LBB762_177:
	s_or_b64 exec, exec, s[22:23]
	s_and_saveexec_b64 s[20:21], s[18:19]
	s_cbranch_execz .LBB762_194
.LBB762_178:
	v_sub_u32_e32 v1, v34, v8
	v_lshlrev_b32_e32 v1, 1, v1
	ds_write_b16_d16_hi v1, v4
	s_or_b64 exec, exec, s[20:21]
	s_and_saveexec_b64 s[18:19], s[16:17]
	s_cbranch_execnz .LBB762_195
.LBB762_179:
	s_or_b64 exec, exec, s[18:19]
	s_and_saveexec_b64 s[16:17], s[14:15]
	s_cbranch_execz .LBB762_196
.LBB762_180:
	v_sub_u32_e32 v1, v30, v8
	v_lshlrev_b32_e32 v1, 1, v1
	ds_write_b16_d16_hi v1, v5
	s_or_b64 exec, exec, s[16:17]
	s_and_saveexec_b64 s[14:15], s[12:13]
	s_cbranch_execnz .LBB762_197
.LBB762_181:
	s_or_b64 exec, exec, s[14:15]
	s_and_saveexec_b64 s[12:13], s[10:11]
	s_cbranch_execz .LBB762_198
.LBB762_182:
	v_sub_u32_e32 v1, v26, v8
	v_lshlrev_b32_e32 v1, 1, v1
	ds_write_b16_d16_hi v1, v12
	s_or_b64 exec, exec, s[12:13]
	s_and_saveexec_b64 s[10:11], s[8:9]
	s_cbranch_execnz .LBB762_199
.LBB762_183:
	s_or_b64 exec, exec, s[10:11]
	s_and_saveexec_b64 s[8:9], s[6:7]
	s_cbranch_execz .LBB762_200
.LBB762_184:
	v_sub_u32_e32 v1, v22, v8
	v_lshlrev_b32_e32 v1, 1, v1
	ds_write_b16_d16_hi v1, v13
	s_or_b64 exec, exec, s[8:9]
	s_and_saveexec_b64 s[6:7], s[4:5]
	s_cbranch_execnz .LBB762_201
	s_branch .LBB762_202
.LBB762_185:
	s_andn2_saveexec_b64 s[2:3], s[40:41]
	s_cbranch_execz .LBB762_203
.LBB762_186:
	v_sub_u32_e32 v10, v46, v8
	v_lshlrev_b32_e32 v10, 1, v10
	ds_write_b16 v10, v1
	v_sub_u32_e32 v1, v44, v8
	v_lshlrev_b32_e32 v1, 1, v1
	ds_write_b16 v1, v2
	v_sub_u32_e32 v1, v42, v8
	v_lshlrev_b32_e32 v1, 1, v1
	ds_write_b16_d16_hi v1, v2
	v_sub_u32_e32 v1, v40, v8
	v_lshlrev_b32_e32 v1, 1, v1
	ds_write_b16 v1, v3
	v_sub_u32_e32 v1, v38, v8
	v_lshlrev_b32_e32 v1, 1, v1
	ds_write_b16_d16_hi v1, v3
	;; [unrolled: 6-line block ×6, first 2 shown]
	v_sub_u32_e32 v1, v20, v8
	v_lshlrev_b32_e32 v1, 1, v1
	s_or_b64 s[42:43], s[42:43], exec
	ds_write_b16 v1, v14
	s_or_b64 exec, exec, s[2:3]
	s_and_b64 exec, exec, s[42:43]
	s_cbranch_execnz .LBB762_204
	s_branch .LBB762_205
.LBB762_187:
	s_or_b64 exec, exec, s[8:9]
	v_mov_b32_e32 v68, s12
	s_and_saveexec_b64 s[2:3], s[6:7]
	s_cbranch_execnz .LBB762_77
	s_branch .LBB762_78
.LBB762_188:
	s_or_b64 exec, exec, s[42:43]
	s_and_saveexec_b64 s[30:31], s[28:29]
	s_cbranch_execz .LBB762_173
.LBB762_189:
	v_sub_u32_e32 v1, v44, v8
	v_lshlrev_b32_e32 v1, 1, v1
	ds_write_b16 v1, v2
	s_or_b64 exec, exec, s[30:31]
	s_and_saveexec_b64 s[28:29], s[26:27]
	s_cbranch_execnz .LBB762_174
.LBB762_190:
	s_or_b64 exec, exec, s[28:29]
	s_and_saveexec_b64 s[26:27], s[24:25]
	s_cbranch_execz .LBB762_175
.LBB762_191:
	v_sub_u32_e32 v1, v40, v8
	v_lshlrev_b32_e32 v1, 1, v1
	ds_write_b16 v1, v3
	s_or_b64 exec, exec, s[26:27]
	s_and_saveexec_b64 s[24:25], s[22:23]
	s_cbranch_execnz .LBB762_176
.LBB762_192:
	s_or_b64 exec, exec, s[24:25]
	s_and_saveexec_b64 s[22:23], s[20:21]
	s_cbranch_execz .LBB762_177
.LBB762_193:
	v_sub_u32_e32 v1, v36, v8
	v_lshlrev_b32_e32 v1, 1, v1
	ds_write_b16 v1, v4
	s_or_b64 exec, exec, s[22:23]
	s_and_saveexec_b64 s[20:21], s[18:19]
	s_cbranch_execnz .LBB762_178
.LBB762_194:
	s_or_b64 exec, exec, s[20:21]
	s_and_saveexec_b64 s[18:19], s[16:17]
	s_cbranch_execz .LBB762_179
.LBB762_195:
	v_sub_u32_e32 v1, v32, v8
	v_lshlrev_b32_e32 v1, 1, v1
	ds_write_b16 v1, v5
	s_or_b64 exec, exec, s[18:19]
	s_and_saveexec_b64 s[16:17], s[14:15]
	s_cbranch_execnz .LBB762_180
.LBB762_196:
	s_or_b64 exec, exec, s[16:17]
	s_and_saveexec_b64 s[14:15], s[12:13]
	s_cbranch_execz .LBB762_181
.LBB762_197:
	v_sub_u32_e32 v1, v28, v8
	v_lshlrev_b32_e32 v1, 1, v1
	ds_write_b16 v1, v12
	s_or_b64 exec, exec, s[14:15]
	s_and_saveexec_b64 s[12:13], s[10:11]
	s_cbranch_execnz .LBB762_182
.LBB762_198:
	s_or_b64 exec, exec, s[12:13]
	s_and_saveexec_b64 s[10:11], s[8:9]
	s_cbranch_execz .LBB762_183
.LBB762_199:
	v_sub_u32_e32 v1, v24, v8
	v_lshlrev_b32_e32 v1, 1, v1
	ds_write_b16 v1, v13
	s_or_b64 exec, exec, s[10:11]
	s_and_saveexec_b64 s[8:9], s[6:7]
	s_cbranch_execnz .LBB762_184
.LBB762_200:
	s_or_b64 exec, exec, s[8:9]
	s_and_saveexec_b64 s[6:7], s[4:5]
	s_cbranch_execz .LBB762_202
.LBB762_201:
	v_sub_u32_e32 v1, v20, v8
	v_lshlrev_b32_e32 v1, 1, v1
	ds_write_b16 v1, v14
.LBB762_202:
	s_or_b64 exec, exec, s[6:7]
	s_and_b64 s[42:43], s[2:3], exec
                                        ; implicit-def: $vgpr1
                                        ; implicit-def: $vgpr2
	s_andn2_saveexec_b64 s[2:3], s[40:41]
	s_cbranch_execnz .LBB762_186
.LBB762_203:
	s_or_b64 exec, exec, s[2:3]
	s_and_b64 exec, exec, s[42:43]
	s_cbranch_execz .LBB762_205
.LBB762_204:
	v_sub_u32_e32 v1, v18, v8
	v_lshlrev_b32_e32 v1, 1, v1
	ds_write_b16_d16_hi v1, v14
.LBB762_205:
	s_or_b64 exec, exec, s[34:35]
	v_cmp_lt_u32_e32 vcc, v0, v6
	s_waitcnt lgkmcnt(0)
	s_barrier
	s_and_saveexec_b64 s[4:5], vcc
	s_cbranch_execz .LBB762_220
; %bb.206:
	v_xad_u32 v1, v0, -1, v6
	s_movk_i32 s2, 0x1700
	v_cmp_gt_u32_e64 s[6:7], s2, v1
	s_movk_i32 s2, 0x16ff
	v_cmp_lt_u32_e32 vcc, s2, v1
	v_mov_b32_e32 v2, v0
	s_and_saveexec_b64 s[8:9], vcc
	s_cbranch_execz .LBB762_217
; %bb.207:
	v_sub_u32_e32 v2, v0, v6
	v_or_b32_e32 v2, 0xff, v2
	v_cmp_ge_u32_e32 vcc, v2, v0
	s_mov_b64 s[2:3], -1
	v_mov_b32_e32 v2, v0
	s_and_saveexec_b64 s[10:11], vcc
	s_cbranch_execz .LBB762_216
; %bb.208:
	v_lshrrev_b32_e32 v14, 8, v1
	v_or_b32_e32 v3, 0x300, v0
	v_or_b32_e32 v2, 0x200, v0
	v_add_u32_e32 v4, -3, v14
	v_or_b32_e32 v1, 0x100, v0
	v_lshrrev_b32_e32 v5, 2, v4
	v_pk_mov_b32 v[12:13], v[2:3], v[2:3] op_sel:[0,1]
	v_add_u32_e32 v50, 1, v5
	v_cmp_lt_u32_e32 vcc, 11, v4
	v_mov_b32_e32 v53, 0
	v_lshlrev_b32_e32 v49, 1, v0
	v_pk_mov_b32 v[10:11], v[0:1], v[0:1] op_sel:[0,1]
	s_and_saveexec_b64 s[12:13], vcc
	s_cbranch_execz .LBB762_212
; %bb.209:
	v_pk_mov_b32 v[12:13], v[2:3], v[2:3] op_sel:[0,1]
	v_and_b32_e32 v51, 0x7ffffffc, v50
	s_mov_b32 s16, 0
	s_mov_b64 s[14:15], 0
	v_mov_b32_e32 v5, 0
	v_mov_b32_e32 v52, v49
	v_pk_mov_b32 v[10:11], v[0:1], v[0:1] op_sel:[0,1]
.LBB762_210:                            ; =>This Inner Loop Header: Depth=1
	v_mov_b32_e32 v4, v10
	v_lshlrev_b64 v[86:87], 1, v[4:5]
	v_add_u32_e32 v72, 0x400, v11
	v_mov_b32_e32 v73, v5
	v_add_co_u32_e64 v86, s[2:3], v7, v86
	v_lshlrev_b64 v[72:73], 1, v[72:73]
	v_addc_co_u32_e64 v87, s[2:3], v48, v87, s[2:3]
	v_add_u32_e32 v70, 0x400, v12
	v_mov_b32_e32 v71, v5
	v_add_co_u32_e64 v72, s[2:3], v7, v72
	v_lshlrev_b64 v[70:71], 1, v[70:71]
	v_addc_co_u32_e64 v73, s[2:3], v48, v73, s[2:3]
	v_add_u32_e32 v2, 0x400, v13
	v_mov_b32_e32 v3, v5
	v_add_co_u32_e64 v70, s[2:3], v7, v70
	v_add_u32_e32 v51, -4, v51
	v_mov_b32_e32 v4, v11
	v_lshlrev_b64 v[2:3], 1, v[2:3]
	v_addc_co_u32_e64 v71, s[2:3], v48, v71, s[2:3]
	v_add_u32_e32 v78, 0x800, v11
	v_mov_b32_e32 v79, v5
	s_add_i32 s16, s16, 16
	v_cmp_eq_u32_e32 vcc, 0, v51
	v_lshlrev_b64 v[88:89], 1, v[4:5]
	v_add_co_u32_e64 v2, s[2:3], v7, v2
	v_lshlrev_b64 v[78:79], 1, v[78:79]
	v_mov_b32_e32 v4, v12
	v_addc_co_u32_e64 v3, s[2:3], v48, v3, s[2:3]
	s_or_b64 s[14:15], vcc, s[14:15]
	v_add_co_u32_e32 v88, vcc, v7, v88
	v_add_u32_e32 v76, 0x800, v12
	v_mov_b32_e32 v77, v5
	v_add_co_u32_e64 v78, s[2:3], v7, v78
	v_addc_co_u32_e32 v89, vcc, v48, v89, vcc
	v_lshlrev_b64 v[90:91], 1, v[4:5]
	v_lshlrev_b64 v[76:77], 1, v[76:77]
	v_addc_co_u32_e64 v79, s[2:3], v48, v79, s[2:3]
	v_mov_b32_e32 v4, v13
	v_add_co_u32_e32 v90, vcc, v7, v90
	ds_read_u16 v1, v52
	ds_read_u16 v69, v52 offset:512
	ds_read_u16 v94, v52 offset:1024
	;; [unrolled: 1-line block ×7, first 2 shown]
	v_add_u32_e32 v74, 0x800, v13
	v_mov_b32_e32 v75, v5
	v_add_co_u32_e64 v76, s[2:3], v7, v76
	v_addc_co_u32_e32 v91, vcc, v48, v91, vcc
	v_lshlrev_b64 v[92:93], 1, v[4:5]
	v_lshlrev_b64 v[74:75], 1, v[74:75]
	v_addc_co_u32_e64 v77, s[2:3], v48, v77, s[2:3]
	v_add_u32_e32 v4, 0x400, v10
	v_add_co_u32_e32 v92, vcc, v7, v92
	v_add_u32_e32 v84, 0xc00, v11
	v_mov_b32_e32 v85, v5
	ds_read_u16 v100, v52 offset:4096
	ds_read_u16 v101, v52 offset:4608
	;; [unrolled: 1-line block ×8, first 2 shown]
	v_add_co_u32_e64 v74, s[2:3], v7, v74
	v_addc_co_u32_e32 v93, vcc, v48, v93, vcc
	s_waitcnt lgkmcnt(14)
	global_store_short v[86:87], v1, off
	global_store_short v[88:89], v69, off
	s_waitcnt lgkmcnt(13)
	global_store_short v[90:91], v94, off
	v_lshlrev_b64 v[86:87], 1, v[4:5]
	v_lshlrev_b64 v[84:85], 1, v[84:85]
	v_addc_co_u32_e64 v75, s[2:3], v48, v75, s[2:3]
	v_add_u32_e32 v4, 0x800, v10
	v_add_co_u32_e32 v86, vcc, v7, v86
	v_add_u32_e32 v82, 0xc00, v12
	v_mov_b32_e32 v83, v5
	v_add_co_u32_e64 v84, s[2:3], v7, v84
	v_addc_co_u32_e32 v87, vcc, v48, v87, vcc
	v_lshlrev_b64 v[88:89], 1, v[4:5]
	v_lshlrev_b64 v[82:83], 1, v[82:83]
	v_addc_co_u32_e64 v85, s[2:3], v48, v85, s[2:3]
	s_waitcnt lgkmcnt(12)
	global_store_short v[92:93], v95, off
	v_add_u32_e32 v4, 0xc00, v10
	s_waitcnt lgkmcnt(11)
	global_store_short v[86:87], v96, off
	s_waitcnt lgkmcnt(10)
	global_store_short v[72:73], v97, off
	;; [unrolled: 2-line block ×4, first 2 shown]
	v_add_co_u32_e32 v2, vcc, v7, v88
	v_add_u32_e32 v80, 0xc00, v13
	v_mov_b32_e32 v81, v5
	v_add_co_u32_e64 v82, s[2:3], v7, v82
	v_addc_co_u32_e32 v3, vcc, v48, v89, vcc
	v_lshlrev_b64 v[70:71], 1, v[4:5]
	v_lshlrev_b64 v[80:81], 1, v[80:81]
	v_addc_co_u32_e64 v83, s[2:3], v48, v83, s[2:3]
	s_waitcnt lgkmcnt(7)
	global_store_short v[2:3], v100, off
	s_waitcnt lgkmcnt(6)
	global_store_short v[78:79], v101, off
	;; [unrolled: 2-line block ×4, first 2 shown]
	v_add_co_u32_e32 v2, vcc, v7, v70
	v_add_u32_e32 v52, 0x2000, v52
	v_add_u32_e32 v11, 0x1000, v11
	v_mov_b32_e32 v53, s16
	v_add_co_u32_e64 v80, s[2:3], v7, v80
	v_add_u32_e32 v12, 0x1000, v12
	v_add_u32_e32 v13, 0x1000, v13
	;; [unrolled: 1-line block ×3, first 2 shown]
	v_addc_co_u32_e32 v3, vcc, v48, v71, vcc
	v_addc_co_u32_e64 v81, s[2:3], v48, v81, s[2:3]
	s_waitcnt lgkmcnt(3)
	global_store_short v[2:3], v104, off
	s_waitcnt lgkmcnt(2)
	global_store_short v[84:85], v105, off
	;; [unrolled: 2-line block ×4, first 2 shown]
	s_andn2_b64 exec, exec, s[14:15]
	s_cbranch_execnz .LBB762_210
; %bb.211:
	s_or_b64 exec, exec, s[14:15]
.LBB762_212:
	s_or_b64 exec, exec, s[12:13]
	v_and_b32_e32 v1, 3, v50
	v_cmp_ne_u32_e32 vcc, 0, v1
	s_and_saveexec_b64 s[12:13], vcc
	s_cbranch_execz .LBB762_215
; %bb.213:
	v_lshl_or_b32 v4, v53, 9, v49
	s_mov_b64 s[14:15], 0
	v_mov_b32_e32 v3, 0
.LBB762_214:                            ; =>This Inner Loop Header: Depth=1
	v_mov_b32_e32 v2, v10
	v_add_u32_e32 v1, -1, v1
	v_lshlrev_b64 v[50:51], 1, v[2:3]
	v_mov_b32_e32 v2, v11
	v_cmp_eq_u32_e32 vcc, 0, v1
	v_lshlrev_b64 v[52:53], 1, v[2:3]
	ds_read_u16 v5, v4
	ds_read_u16 v49, v4 offset:512
	ds_read_u16 v69, v4 offset:1024
	;; [unrolled: 1-line block ×3, first 2 shown]
	v_mov_b32_e32 v2, v12
	s_or_b64 s[14:15], vcc, s[14:15]
	v_add_co_u32_e32 v52, vcc, v7, v52
	v_addc_co_u32_e32 v53, vcc, v48, v53, vcc
	v_lshlrev_b64 v[70:71], 1, v[2:3]
	v_mov_b32_e32 v2, v13
	v_add_co_u32_e32 v70, vcc, v7, v70
	v_add_co_u32_e64 v50, s[2:3], v7, v50
	v_addc_co_u32_e32 v71, vcc, v48, v71, vcc
	v_lshlrev_b64 v[72:73], 1, v[2:3]
	v_add_u32_e32 v10, 0x400, v10
	v_add_u32_e32 v4, 0x800, v4
	;; [unrolled: 1-line block ×3, first 2 shown]
	v_addc_co_u32_e64 v51, s[2:3], v48, v51, s[2:3]
	v_add_u32_e32 v12, 0x400, v12
	v_add_u32_e32 v13, 0x400, v13
	v_add_co_u32_e32 v72, vcc, v7, v72
	v_addc_co_u32_e32 v73, vcc, v48, v73, vcc
	s_waitcnt lgkmcnt(3)
	global_store_short v[50:51], v5, off
	s_waitcnt lgkmcnt(2)
	global_store_short v[52:53], v49, off
	s_waitcnt lgkmcnt(1)
	global_store_short v[70:71], v69, off
	s_waitcnt lgkmcnt(0)
	global_store_short v[72:73], v74, off
	s_andn2_b64 exec, exec, s[14:15]
	s_cbranch_execnz .LBB762_214
.LBB762_215:
	s_or_b64 exec, exec, s[12:13]
	v_add_u32_e32 v1, 1, v14
	v_and_b32_e32 v3, 0x1fffffc, v1
	v_cmp_ne_u32_e32 vcc, v1, v3
	v_lshl_or_b32 v2, v3, 8, v0
	s_orn2_b64 s[2:3], vcc, exec
.LBB762_216:
	s_or_b64 exec, exec, s[10:11]
	s_andn2_b64 s[6:7], s[6:7], exec
	s_and_b64 s[2:3], s[2:3], exec
	s_or_b64 s[6:7], s[6:7], s[2:3]
.LBB762_217:
	s_or_b64 exec, exec, s[8:9]
	s_and_b64 exec, exec, s[6:7]
	s_cbranch_execz .LBB762_220
; %bb.218:
	v_lshlrev_b32_e32 v1, 1, v2
	s_mov_b64 s[2:3], 0
	v_mov_b32_e32 v3, 0
.LBB762_219:                            ; =>This Inner Loop Header: Depth=1
	v_lshlrev_b64 v[4:5], 1, v[2:3]
	ds_read_u16 v10, v1
	v_add_co_u32_e32 v4, vcc, v7, v4
	v_add_u32_e32 v2, 0x100, v2
	v_addc_co_u32_e32 v5, vcc, v48, v5, vcc
	v_cmp_ge_u32_e32 vcc, v2, v6
	v_add_u32_e32 v1, 0x200, v1
	s_or_b64 s[2:3], vcc, s[2:3]
	s_waitcnt lgkmcnt(0)
	global_store_short v[4:5], v10, off
	s_andn2_b64 exec, exec, s[2:3]
	s_cbranch_execnz .LBB762_219
.LBB762_220:
	s_or_b64 exec, exec, s[4:5]
.LBB762_221:
	s_cmpk_lg_i32 s33, 0xf00
	s_cselect_b64 s[2:3], -1, 0
	v_cndmask_b32_e64 v1, 0, 1, s[38:39]
	s_and_b64 s[2:3], s[2:3], s[36:37]
	v_sub_u32_e32 v3, v6, v1
	v_cndmask_b32_e64 v2, 0, 1, s[2:3]
	s_and_b64 s[0:1], s[0:1], s[38:39]
	v_add_u32_e32 v7, v3, v2
	v_cndmask_b32_e64 v3, v68, 0, s[0:1]
	s_mul_hi_u32 s0, s33, 0x88888889
	s_lshr_b32 s0, s0, 3
	v_mad_i32_i24 v4, v0, -15, s33
	v_cmp_eq_u32_e32 vcc, s0, v0
	v_cmp_ne_u32_e64 s[0:1], 0, v4
	v_cndmask_b32_e64 v5, 1, v3, s[0:1]
	v_cmp_ne_u32_e64 s[0:1], 1, v4
	v_cndmask_b32_e64 v10, 1, v66, s[0:1]
	;; [unrolled: 2-line block ×15, first 2 shown]
	s_and_b64 vcc, vcc, s[36:37]
	v_cndmask_b32_e32 v15, v15, v4, vcc
	v_cndmask_b32_e32 v50, v59, v50, vcc
	;; [unrolled: 1-line block ×3, first 2 shown]
	v_lshlrev_b64 v[4:5], 2, v[16:17]
	v_cndmask_b32_e32 v54, v54, v69, vcc
	v_cndmask_b32_e32 v55, v55, v68, vcc
	;; [unrolled: 1-line block ×12, first 2 shown]
	v_mov_b32_e32 v3, s53
	v_add_co_u32_e32 v10, vcc, s52, v4
	v_addc_co_u32_e32 v3, vcc, v3, v5, vcc
	v_lshlrev_b64 v[4:5], 2, v[8:9]
	v_add_co_u32_e32 v9, vcc, v10, v4
	v_addc_co_u32_e32 v10, vcc, v3, v5, vcc
	v_lshlrev_b32_e32 v3, 2, v1
	v_add_co_u32_e32 v3, vcc, v3, v9
	v_addc_co_u32_e32 v4, vcc, 0, v10, vcc
	v_add_co_u32_e32 v11, vcc, -4, v3
	v_addc_co_u32_e32 v12, vcc, -1, v4, vcc
	v_cmp_eq_u32_e32 vcc, 0, v59
	v_cndmask_b32_e64 v4, 1, 2, vcc
	v_cmp_eq_u32_e32 vcc, 0, v58
	v_cndmask_b32_e64 v5, 1, 2, vcc
	v_cmp_eq_u32_e32 vcc, 0, v57
	v_and_b32_e32 v4, v5, v4
	v_cndmask_b32_e64 v5, 1, 2, vcc
	v_cmp_eq_u32_e32 vcc, 0, v56
	v_and_b32_e32 v4, v4, v5
	;; [unrolled: 3-line block ×13, first 2 shown]
	v_cndmask_b32_e64 v5, 1, 2, vcc
	s_movk_i32 s30, 0x100
	v_and_b32_e32 v4, v4, v5
	v_cmp_gt_u32_e32 vcc, s30, v7
	v_add_u32_e32 v3, v8, v1
	v_cmp_ne_u32_e64 s[28:29], 0, v59
	v_cmp_ne_u32_e64 s[26:27], 0, v58
	;; [unrolled: 1-line block ×15, first 2 shown]
	s_mov_b64 s[34:35], -1
	v_cmp_gt_i16_e64 s[30:31], 2, v4
	s_barrier
	s_cbranch_vccz .LBB762_258
; %bb.222:
	s_and_saveexec_b64 s[34:35], s[30:31]
	s_cbranch_execz .LBB762_257
; %bb.223:
	v_cmp_ne_u16_e32 vcc, 1, v4
	s_mov_b64 s[38:39], 0
	s_and_saveexec_b64 s[30:31], vcc
	s_xor_b64 s[30:31], exec, s[30:31]
	s_cbranch_execz .LBB762_238
; %bb.224:
	s_and_saveexec_b64 s[38:39], s[28:29]
	s_cbranch_execz .LBB762_240
; %bb.225:
	v_sub_u32_e32 v14, v46, v3
	v_mov_b32_e32 v15, 0
	v_lshlrev_b64 v[14:15], 2, v[14:15]
	v_add_co_u32_e32 v14, vcc, v11, v14
	v_addc_co_u32_e32 v15, vcc, v12, v15, vcc
	global_store_dword v[14:15], v47, off
	s_or_b64 exec, exec, s[38:39]
	s_and_saveexec_b64 s[38:39], s[26:27]
	s_cbranch_execnz .LBB762_241
.LBB762_226:
	s_or_b64 exec, exec, s[38:39]
	s_and_saveexec_b64 s[38:39], s[24:25]
	s_cbranch_execz .LBB762_242
.LBB762_227:
	v_sub_u32_e32 v14, v42, v3
	v_mov_b32_e32 v15, 0
	v_lshlrev_b64 v[14:15], 2, v[14:15]
	v_add_co_u32_e32 v14, vcc, v11, v14
	v_addc_co_u32_e32 v15, vcc, v12, v15, vcc
	global_store_dword v[14:15], v43, off
	s_or_b64 exec, exec, s[38:39]
	s_and_saveexec_b64 s[38:39], s[22:23]
	s_cbranch_execnz .LBB762_243
.LBB762_228:
	s_or_b64 exec, exec, s[38:39]
	s_and_saveexec_b64 s[38:39], s[20:21]
	s_cbranch_execz .LBB762_244
.LBB762_229:
	v_sub_u32_e32 v14, v38, v3
	v_mov_b32_e32 v15, 0
	v_lshlrev_b64 v[14:15], 2, v[14:15]
	v_add_co_u32_e32 v14, vcc, v11, v14
	v_addc_co_u32_e32 v15, vcc, v12, v15, vcc
	global_store_dword v[14:15], v39, off
	s_or_b64 exec, exec, s[38:39]
	s_and_saveexec_b64 s[38:39], s[18:19]
	s_cbranch_execnz .LBB762_245
.LBB762_230:
	s_or_b64 exec, exec, s[38:39]
	s_and_saveexec_b64 s[38:39], s[16:17]
	s_cbranch_execz .LBB762_246
.LBB762_231:
	v_sub_u32_e32 v14, v34, v3
	v_mov_b32_e32 v15, 0
	v_lshlrev_b64 v[14:15], 2, v[14:15]
	v_add_co_u32_e32 v14, vcc, v11, v14
	v_addc_co_u32_e32 v15, vcc, v12, v15, vcc
	global_store_dword v[14:15], v35, off
	s_or_b64 exec, exec, s[38:39]
	s_and_saveexec_b64 s[38:39], s[14:15]
	s_cbranch_execnz .LBB762_247
.LBB762_232:
	s_or_b64 exec, exec, s[38:39]
	s_and_saveexec_b64 s[38:39], s[12:13]
	s_cbranch_execz .LBB762_248
.LBB762_233:
	v_sub_u32_e32 v14, v30, v3
	v_mov_b32_e32 v15, 0
	v_lshlrev_b64 v[14:15], 2, v[14:15]
	v_add_co_u32_e32 v14, vcc, v11, v14
	v_addc_co_u32_e32 v15, vcc, v12, v15, vcc
	global_store_dword v[14:15], v31, off
	s_or_b64 exec, exec, s[38:39]
	s_and_saveexec_b64 s[38:39], s[10:11]
	s_cbranch_execnz .LBB762_249
.LBB762_234:
	s_or_b64 exec, exec, s[38:39]
	s_and_saveexec_b64 s[38:39], s[8:9]
	s_cbranch_execz .LBB762_250
.LBB762_235:
	v_sub_u32_e32 v14, v26, v3
	v_mov_b32_e32 v15, 0
	v_lshlrev_b64 v[14:15], 2, v[14:15]
	v_add_co_u32_e32 v14, vcc, v11, v14
	v_addc_co_u32_e32 v15, vcc, v12, v15, vcc
	global_store_dword v[14:15], v27, off
	s_or_b64 exec, exec, s[38:39]
	s_and_saveexec_b64 s[38:39], s[6:7]
	s_cbranch_execnz .LBB762_251
.LBB762_236:
	s_or_b64 exec, exec, s[38:39]
	s_and_saveexec_b64 s[38:39], s[4:5]
	s_cbranch_execz .LBB762_252
.LBB762_237:
	v_sub_u32_e32 v14, v22, v3
	v_mov_b32_e32 v15, 0
	v_lshlrev_b64 v[14:15], 2, v[14:15]
	v_add_co_u32_e32 v14, vcc, v11, v14
	v_addc_co_u32_e32 v15, vcc, v12, v15, vcc
	global_store_dword v[14:15], v23, off
	s_or_b64 exec, exec, s[38:39]
	s_and_saveexec_b64 s[38:39], s[2:3]
	s_cbranch_execnz .LBB762_253
	s_branch .LBB762_254
.LBB762_238:
	s_andn2_saveexec_b64 s[30:31], s[30:31]
	s_cbranch_execz .LBB762_255
.LBB762_239:
	v_sub_u32_e32 v14, v46, v3
	v_mov_b32_e32 v15, 0
	v_lshlrev_b64 v[48:49], 2, v[14:15]
	v_add_co_u32_e32 v48, vcc, v11, v48
	v_addc_co_u32_e32 v49, vcc, v12, v49, vcc
	v_sub_u32_e32 v14, v44, v3
	global_store_dword v[48:49], v47, off
	v_lshlrev_b64 v[48:49], 2, v[14:15]
	v_add_co_u32_e32 v48, vcc, v11, v48
	v_addc_co_u32_e32 v49, vcc, v12, v49, vcc
	v_sub_u32_e32 v14, v42, v3
	global_store_dword v[48:49], v45, off
	;; [unrolled: 5-line block ×12, first 2 shown]
	v_lshlrev_b64 v[48:49], 2, v[14:15]
	v_add_co_u32_e32 v48, vcc, v11, v48
	v_sub_u32_e32 v14, v20, v3
	v_addc_co_u32_e32 v49, vcc, v12, v49, vcc
	v_lshlrev_b64 v[14:15], 2, v[14:15]
	v_add_co_u32_e32 v14, vcc, v11, v14
	v_addc_co_u32_e32 v15, vcc, v12, v15, vcc
	s_or_b64 s[38:39], s[38:39], exec
	global_store_dword v[48:49], v23, off
	global_store_dword v[14:15], v21, off
	s_or_b64 exec, exec, s[30:31]
	s_and_b64 exec, exec, s[38:39]
	s_cbranch_execnz .LBB762_256
	s_branch .LBB762_257
.LBB762_240:
	s_or_b64 exec, exec, s[38:39]
	s_and_saveexec_b64 s[38:39], s[26:27]
	s_cbranch_execz .LBB762_226
.LBB762_241:
	v_sub_u32_e32 v14, v44, v3
	v_mov_b32_e32 v15, 0
	v_lshlrev_b64 v[14:15], 2, v[14:15]
	v_add_co_u32_e32 v14, vcc, v11, v14
	v_addc_co_u32_e32 v15, vcc, v12, v15, vcc
	global_store_dword v[14:15], v45, off
	s_or_b64 exec, exec, s[38:39]
	s_and_saveexec_b64 s[38:39], s[24:25]
	s_cbranch_execnz .LBB762_227
.LBB762_242:
	s_or_b64 exec, exec, s[38:39]
	s_and_saveexec_b64 s[38:39], s[22:23]
	s_cbranch_execz .LBB762_228
.LBB762_243:
	v_sub_u32_e32 v14, v40, v3
	v_mov_b32_e32 v15, 0
	v_lshlrev_b64 v[14:15], 2, v[14:15]
	v_add_co_u32_e32 v14, vcc, v11, v14
	v_addc_co_u32_e32 v15, vcc, v12, v15, vcc
	global_store_dword v[14:15], v41, off
	s_or_b64 exec, exec, s[38:39]
	s_and_saveexec_b64 s[38:39], s[20:21]
	s_cbranch_execnz .LBB762_229
.LBB762_244:
	s_or_b64 exec, exec, s[38:39]
	s_and_saveexec_b64 s[38:39], s[18:19]
	s_cbranch_execz .LBB762_230
.LBB762_245:
	v_sub_u32_e32 v14, v36, v3
	v_mov_b32_e32 v15, 0
	v_lshlrev_b64 v[14:15], 2, v[14:15]
	v_add_co_u32_e32 v14, vcc, v11, v14
	v_addc_co_u32_e32 v15, vcc, v12, v15, vcc
	global_store_dword v[14:15], v37, off
	s_or_b64 exec, exec, s[38:39]
	s_and_saveexec_b64 s[38:39], s[16:17]
	s_cbranch_execnz .LBB762_231
.LBB762_246:
	s_or_b64 exec, exec, s[38:39]
	s_and_saveexec_b64 s[38:39], s[14:15]
	s_cbranch_execz .LBB762_232
.LBB762_247:
	v_sub_u32_e32 v14, v32, v3
	v_mov_b32_e32 v15, 0
	v_lshlrev_b64 v[14:15], 2, v[14:15]
	v_add_co_u32_e32 v14, vcc, v11, v14
	v_addc_co_u32_e32 v15, vcc, v12, v15, vcc
	global_store_dword v[14:15], v33, off
	s_or_b64 exec, exec, s[38:39]
	s_and_saveexec_b64 s[38:39], s[12:13]
	s_cbranch_execnz .LBB762_233
.LBB762_248:
	s_or_b64 exec, exec, s[38:39]
	s_and_saveexec_b64 s[38:39], s[10:11]
	s_cbranch_execz .LBB762_234
.LBB762_249:
	v_sub_u32_e32 v14, v28, v3
	v_mov_b32_e32 v15, 0
	v_lshlrev_b64 v[14:15], 2, v[14:15]
	v_add_co_u32_e32 v14, vcc, v11, v14
	v_addc_co_u32_e32 v15, vcc, v12, v15, vcc
	global_store_dword v[14:15], v29, off
	s_or_b64 exec, exec, s[38:39]
	s_and_saveexec_b64 s[38:39], s[8:9]
	s_cbranch_execnz .LBB762_235
.LBB762_250:
	s_or_b64 exec, exec, s[38:39]
	s_and_saveexec_b64 s[38:39], s[6:7]
	s_cbranch_execz .LBB762_236
.LBB762_251:
	v_sub_u32_e32 v14, v24, v3
	v_mov_b32_e32 v15, 0
	v_lshlrev_b64 v[14:15], 2, v[14:15]
	v_add_co_u32_e32 v14, vcc, v11, v14
	v_addc_co_u32_e32 v15, vcc, v12, v15, vcc
	global_store_dword v[14:15], v25, off
	s_or_b64 exec, exec, s[38:39]
	s_and_saveexec_b64 s[38:39], s[4:5]
	s_cbranch_execnz .LBB762_237
.LBB762_252:
	s_or_b64 exec, exec, s[38:39]
	s_and_saveexec_b64 s[38:39], s[2:3]
	s_cbranch_execz .LBB762_254
.LBB762_253:
	v_sub_u32_e32 v14, v20, v3
	v_mov_b32_e32 v15, 0
	v_lshlrev_b64 v[14:15], 2, v[14:15]
	v_add_co_u32_e32 v14, vcc, v11, v14
	v_addc_co_u32_e32 v15, vcc, v12, v15, vcc
	global_store_dword v[14:15], v21, off
.LBB762_254:
	s_or_b64 exec, exec, s[38:39]
	s_and_b64 s[38:39], s[0:1], exec
	s_andn2_saveexec_b64 s[30:31], s[30:31]
	s_cbranch_execnz .LBB762_239
.LBB762_255:
	s_or_b64 exec, exec, s[30:31]
	s_and_b64 exec, exec, s[38:39]
	s_cbranch_execz .LBB762_257
.LBB762_256:
	v_sub_u32_e32 v14, v18, v3
	v_mov_b32_e32 v15, 0
	v_lshlrev_b64 v[14:15], 2, v[14:15]
	v_add_co_u32_e32 v14, vcc, v11, v14
	v_addc_co_u32_e32 v15, vcc, v12, v15, vcc
	global_store_dword v[14:15], v19, off
.LBB762_257:
	s_or_b64 exec, exec, s[34:35]
	s_mov_b64 s[34:35], 0
.LBB762_258:
	s_and_b64 vcc, exec, s[34:35]
	s_cbranch_vccz .LBB762_310
; %bb.259:
	v_cmp_gt_i16_e32 vcc, 2, v4
	s_and_saveexec_b64 s[30:31], vcc
	s_cbranch_execz .LBB762_294
; %bb.260:
	v_cmp_ne_u16_e32 vcc, 1, v4
	s_mov_b64 s[38:39], 0
	s_and_saveexec_b64 s[34:35], vcc
	s_xor_b64 s[34:35], exec, s[34:35]
	s_cbranch_execz .LBB762_275
; %bb.261:
	s_and_saveexec_b64 s[38:39], s[28:29]
	s_cbranch_execz .LBB762_277
; %bb.262:
	v_sub_u32_e32 v4, v46, v3
	v_lshlrev_b32_e32 v4, 2, v4
	ds_write_b32 v4, v47
	s_or_b64 exec, exec, s[38:39]
	s_and_saveexec_b64 s[28:29], s[26:27]
	s_cbranch_execnz .LBB762_278
.LBB762_263:
	s_or_b64 exec, exec, s[28:29]
	s_and_saveexec_b64 s[26:27], s[24:25]
	s_cbranch_execz .LBB762_279
.LBB762_264:
	v_sub_u32_e32 v4, v42, v3
	v_lshlrev_b32_e32 v4, 2, v4
	ds_write_b32 v4, v43
	s_or_b64 exec, exec, s[26:27]
	s_and_saveexec_b64 s[24:25], s[22:23]
	s_cbranch_execnz .LBB762_280
.LBB762_265:
	s_or_b64 exec, exec, s[24:25]
	s_and_saveexec_b64 s[22:23], s[20:21]
	s_cbranch_execz .LBB762_281
.LBB762_266:
	v_sub_u32_e32 v4, v38, v3
	v_lshlrev_b32_e32 v4, 2, v4
	ds_write_b32 v4, v39
	s_or_b64 exec, exec, s[22:23]
	s_and_saveexec_b64 s[20:21], s[18:19]
	s_cbranch_execnz .LBB762_282
.LBB762_267:
	s_or_b64 exec, exec, s[20:21]
	s_and_saveexec_b64 s[18:19], s[16:17]
	s_cbranch_execz .LBB762_283
.LBB762_268:
	v_sub_u32_e32 v4, v34, v3
	v_lshlrev_b32_e32 v4, 2, v4
	ds_write_b32 v4, v35
	s_or_b64 exec, exec, s[18:19]
	s_and_saveexec_b64 s[16:17], s[14:15]
	s_cbranch_execnz .LBB762_284
.LBB762_269:
	s_or_b64 exec, exec, s[16:17]
	s_and_saveexec_b64 s[14:15], s[12:13]
	s_cbranch_execz .LBB762_285
.LBB762_270:
	v_sub_u32_e32 v4, v30, v3
	v_lshlrev_b32_e32 v4, 2, v4
	ds_write_b32 v4, v31
	s_or_b64 exec, exec, s[14:15]
	s_and_saveexec_b64 s[12:13], s[10:11]
	s_cbranch_execnz .LBB762_286
.LBB762_271:
	s_or_b64 exec, exec, s[12:13]
	s_and_saveexec_b64 s[10:11], s[8:9]
	s_cbranch_execz .LBB762_287
.LBB762_272:
	v_sub_u32_e32 v4, v26, v3
	v_lshlrev_b32_e32 v4, 2, v4
	ds_write_b32 v4, v27
	s_or_b64 exec, exec, s[10:11]
	s_and_saveexec_b64 s[8:9], s[6:7]
	s_cbranch_execnz .LBB762_288
.LBB762_273:
	s_or_b64 exec, exec, s[8:9]
	s_and_saveexec_b64 s[6:7], s[4:5]
	s_cbranch_execz .LBB762_289
.LBB762_274:
	v_sub_u32_e32 v4, v22, v3
	v_lshlrev_b32_e32 v4, 2, v4
	ds_write_b32 v4, v23
	s_or_b64 exec, exec, s[6:7]
	s_and_saveexec_b64 s[4:5], s[2:3]
	s_cbranch_execnz .LBB762_290
	s_branch .LBB762_291
.LBB762_275:
	s_andn2_saveexec_b64 s[0:1], s[34:35]
	s_cbranch_execz .LBB762_292
.LBB762_276:
	v_sub_u32_e32 v4, v46, v3
	v_lshlrev_b32_e32 v4, 2, v4
	ds_write_b32 v4, v47
	v_sub_u32_e32 v4, v44, v3
	v_lshlrev_b32_e32 v4, 2, v4
	ds_write_b32 v4, v45
	;; [unrolled: 3-line block ×13, first 2 shown]
	v_sub_u32_e32 v4, v20, v3
	v_lshlrev_b32_e32 v4, 2, v4
	s_or_b64 s[38:39], s[38:39], exec
	ds_write_b32 v4, v21
	s_or_b64 exec, exec, s[0:1]
	s_and_b64 exec, exec, s[38:39]
	s_cbranch_execnz .LBB762_293
	s_branch .LBB762_294
.LBB762_277:
	s_or_b64 exec, exec, s[38:39]
	s_and_saveexec_b64 s[28:29], s[26:27]
	s_cbranch_execz .LBB762_263
.LBB762_278:
	v_sub_u32_e32 v4, v44, v3
	v_lshlrev_b32_e32 v4, 2, v4
	ds_write_b32 v4, v45
	s_or_b64 exec, exec, s[28:29]
	s_and_saveexec_b64 s[26:27], s[24:25]
	s_cbranch_execnz .LBB762_264
.LBB762_279:
	s_or_b64 exec, exec, s[26:27]
	s_and_saveexec_b64 s[24:25], s[22:23]
	s_cbranch_execz .LBB762_265
.LBB762_280:
	v_sub_u32_e32 v4, v40, v3
	v_lshlrev_b32_e32 v4, 2, v4
	ds_write_b32 v4, v41
	s_or_b64 exec, exec, s[24:25]
	s_and_saveexec_b64 s[22:23], s[20:21]
	s_cbranch_execnz .LBB762_266
.LBB762_281:
	s_or_b64 exec, exec, s[22:23]
	s_and_saveexec_b64 s[20:21], s[18:19]
	s_cbranch_execz .LBB762_267
.LBB762_282:
	v_sub_u32_e32 v4, v36, v3
	v_lshlrev_b32_e32 v4, 2, v4
	ds_write_b32 v4, v37
	s_or_b64 exec, exec, s[20:21]
	s_and_saveexec_b64 s[18:19], s[16:17]
	s_cbranch_execnz .LBB762_268
.LBB762_283:
	s_or_b64 exec, exec, s[18:19]
	s_and_saveexec_b64 s[16:17], s[14:15]
	s_cbranch_execz .LBB762_269
.LBB762_284:
	v_sub_u32_e32 v4, v32, v3
	v_lshlrev_b32_e32 v4, 2, v4
	ds_write_b32 v4, v33
	s_or_b64 exec, exec, s[16:17]
	s_and_saveexec_b64 s[14:15], s[12:13]
	s_cbranch_execnz .LBB762_270
.LBB762_285:
	s_or_b64 exec, exec, s[14:15]
	s_and_saveexec_b64 s[12:13], s[10:11]
	s_cbranch_execz .LBB762_271
.LBB762_286:
	v_sub_u32_e32 v4, v28, v3
	v_lshlrev_b32_e32 v4, 2, v4
	ds_write_b32 v4, v29
	s_or_b64 exec, exec, s[12:13]
	s_and_saveexec_b64 s[10:11], s[8:9]
	s_cbranch_execnz .LBB762_272
.LBB762_287:
	s_or_b64 exec, exec, s[10:11]
	s_and_saveexec_b64 s[8:9], s[6:7]
	s_cbranch_execz .LBB762_273
.LBB762_288:
	v_sub_u32_e32 v4, v24, v3
	v_lshlrev_b32_e32 v4, 2, v4
	ds_write_b32 v4, v25
	s_or_b64 exec, exec, s[8:9]
	s_and_saveexec_b64 s[6:7], s[4:5]
	s_cbranch_execnz .LBB762_274
.LBB762_289:
	s_or_b64 exec, exec, s[6:7]
	s_and_saveexec_b64 s[4:5], s[2:3]
	s_cbranch_execz .LBB762_291
.LBB762_290:
	v_sub_u32_e32 v4, v20, v3
	v_lshlrev_b32_e32 v4, 2, v4
	ds_write_b32 v4, v21
.LBB762_291:
	s_or_b64 exec, exec, s[4:5]
	s_and_b64 s[38:39], s[0:1], exec
                                        ; implicit-def: $vgpr46_vgpr47
                                        ; implicit-def: $vgpr44_vgpr45
                                        ; implicit-def: $vgpr42_vgpr43
                                        ; implicit-def: $vgpr40_vgpr41
                                        ; implicit-def: $vgpr38_vgpr39
                                        ; implicit-def: $vgpr36_vgpr37
                                        ; implicit-def: $vgpr34_vgpr35
                                        ; implicit-def: $vgpr32_vgpr33
                                        ; implicit-def: $vgpr30_vgpr31
                                        ; implicit-def: $vgpr28_vgpr29
                                        ; implicit-def: $vgpr26_vgpr27
                                        ; implicit-def: $vgpr24_vgpr25
                                        ; implicit-def: $vgpr22_vgpr23
                                        ; implicit-def: $vgpr20_vgpr21
	s_andn2_saveexec_b64 s[0:1], s[34:35]
	s_cbranch_execnz .LBB762_276
.LBB762_292:
	s_or_b64 exec, exec, s[0:1]
	s_and_b64 exec, exec, s[38:39]
	s_cbranch_execz .LBB762_294
.LBB762_293:
	v_sub_u32_e32 v3, v18, v3
	v_lshlrev_b32_e32 v3, 2, v3
	ds_write_b32 v3, v19
.LBB762_294:
	s_or_b64 exec, exec, s[30:31]
	v_cmp_lt_u32_e32 vcc, v0, v7
	s_waitcnt lgkmcnt(0)
	s_barrier
	s_and_saveexec_b64 s[2:3], vcc
	s_cbranch_execz .LBB762_309
; %bb.295:
	v_add_u32_e32 v4, v6, v2
	v_xad_u32 v2, v0, -1, v4
	v_sub_u32_e32 v3, v2, v1
	s_movk_i32 s0, 0x1900
	v_cmp_gt_u32_e64 s[4:5], s0, v3
	s_movk_i32 s0, 0x18ff
	v_cmp_lt_u32_e32 vcc, s0, v3
	v_mov_b32_e32 v2, v0
	s_and_saveexec_b64 s[6:7], vcc
	s_cbranch_execz .LBB762_306
; %bb.296:
	v_sub_u32_e32 v2, v0, v4
	v_add_u32_e32 v1, v2, v1
	v_or_b32_e32 v1, 0xff, v1
	v_cmp_ge_u32_e32 vcc, v1, v0
	s_mov_b64 s[0:1], -1
	v_mov_b32_e32 v2, v0
	s_and_saveexec_b64 s[8:9], vcc
	s_cbranch_execz .LBB762_305
; %bb.297:
	v_lshrrev_b32_e32 v13, 8, v3
	v_add_u32_e32 v2, -1, v13
	v_or_b32_e32 v1, 0x100, v0
	v_lshrrev_b32_e32 v3, 1, v2
	v_add_u32_e32 v15, 1, v3
	v_cmp_lt_u32_e32 vcc, 13, v2
	v_mov_b32_e32 v20, 0
	v_lshlrev_b32_e32 v14, 2, v0
	v_pk_mov_b32 v[2:3], v[0:1], v[0:1] op_sel:[0,1]
	s_and_saveexec_b64 s[10:11], vcc
	s_cbranch_execz .LBB762_301
; %bb.298:
	v_and_b32_e32 v18, -8, v15
	s_mov_b32 s14, 0
	s_mov_b64 s[12:13], 0
	v_mov_b32_e32 v5, 0
	v_mov_b32_e32 v19, v14
	v_pk_mov_b32 v[2:3], v[0:1], v[0:1] op_sel:[0,1]
.LBB762_299:                            ; =>This Inner Loop Header: Depth=1
	v_mov_b32_e32 v4, v2
	v_add_u32_e32 v18, -8, v18
	v_lshlrev_b64 v[50:51], 2, v[4:5]
	v_mov_b32_e32 v4, v3
	ds_read2st64_b32 v[22:23], v19 offset1:4
	s_add_i32 s14, s14, 16
	v_cmp_eq_u32_e32 vcc, 0, v18
	v_lshlrev_b64 v[54:55], 2, v[4:5]
	v_add_u32_e32 v4, 0x200, v2
	s_or_b64 s[12:13], vcc, s[12:13]
	v_add_co_u32_e32 v54, vcc, v11, v54
	v_add_u32_e32 v20, 0x200, v3
	v_mov_b32_e32 v21, v5
	ds_read2st64_b32 v[24:25], v19 offset0:8 offset1:12
	ds_read2st64_b32 v[28:29], v19 offset0:16 offset1:20
	v_add_co_u32_e64 v50, s[0:1], v11, v50
	v_addc_co_u32_e32 v55, vcc, v12, v55, vcc
	v_lshlrev_b64 v[56:57], 2, v[4:5]
	v_lshlrev_b64 v[52:53], 2, v[20:21]
	v_addc_co_u32_e64 v51, s[0:1], v12, v51, s[0:1]
	v_add_u32_e32 v4, 0x400, v2
	v_add_co_u32_e32 v56, vcc, v11, v56
	v_add_u32_e32 v26, 0x400, v3
	v_mov_b32_e32 v27, v5
	ds_read2st64_b32 v[32:33], v19 offset0:24 offset1:28
	v_add_co_u32_e64 v52, s[0:1], v11, v52
	v_addc_co_u32_e32 v57, vcc, v12, v57, vcc
	v_lshlrev_b64 v[58:59], 2, v[4:5]
	ds_read2st64_b32 v[36:37], v19 offset0:32 offset1:36
	ds_read2st64_b32 v[40:41], v19 offset0:40 offset1:44
	;; [unrolled: 1-line block ×4, first 2 shown]
	v_lshlrev_b64 v[26:27], 2, v[26:27]
	v_addc_co_u32_e64 v53, s[0:1], v12, v53, s[0:1]
	v_add_u32_e32 v4, 0x600, v2
	s_waitcnt lgkmcnt(7)
	global_store_dword v[50:51], v22, off
	global_store_dword v[54:55], v23, off
	s_waitcnt lgkmcnt(6)
	global_store_dword v[56:57], v24, off
	global_store_dword v[52:53], v25, off
	v_add_co_u32_e32 v22, vcc, v11, v58
	v_add_u32_e32 v30, 0x600, v3
	v_mov_b32_e32 v31, v5
	v_add_co_u32_e64 v26, s[0:1], v11, v26
	v_addc_co_u32_e32 v23, vcc, v12, v59, vcc
	v_lshlrev_b64 v[24:25], 2, v[4:5]
	v_lshlrev_b64 v[30:31], 2, v[30:31]
	v_addc_co_u32_e64 v27, s[0:1], v12, v27, s[0:1]
	v_add_u32_e32 v4, 0x800, v2
	s_waitcnt lgkmcnt(5)
	global_store_dword v[22:23], v28, off
	global_store_dword v[26:27], v29, off
	v_add_co_u32_e32 v22, vcc, v11, v24
	v_add_u32_e32 v34, 0x800, v3
	v_mov_b32_e32 v35, v5
	v_add_co_u32_e64 v30, s[0:1], v11, v30
	v_addc_co_u32_e32 v23, vcc, v12, v25, vcc
	v_lshlrev_b64 v[24:25], 2, v[4:5]
	v_lshlrev_b64 v[34:35], 2, v[34:35]
	v_addc_co_u32_e64 v31, s[0:1], v12, v31, s[0:1]
	v_add_u32_e32 v4, 0xa00, v2
	;; [unrolled: 12-line block ×4, first 2 shown]
	s_waitcnt lgkmcnt(2)
	global_store_dword v[22:23], v40, off
	global_store_dword v[38:39], v41, off
	v_add_co_u32_e32 v22, vcc, v11, v24
	v_add_u32_e32 v46, 0xe00, v3
	v_mov_b32_e32 v47, v5
	v_add_co_u32_e64 v42, s[0:1], v11, v42
	v_addc_co_u32_e32 v23, vcc, v12, v25, vcc
	v_lshlrev_b64 v[24:25], 2, v[4:5]
	v_lshlrev_b64 v[46:47], 2, v[46:47]
	v_addc_co_u32_e64 v43, s[0:1], v12, v43, s[0:1]
	s_waitcnt lgkmcnt(1)
	global_store_dword v[22:23], v44, off
	global_store_dword v[42:43], v45, off
	v_add_co_u32_e32 v22, vcc, v11, v24
	v_add_u32_e32 v19, 0x4000, v19
	v_add_u32_e32 v3, 0x1000, v3
	v_mov_b32_e32 v20, s14
	v_add_co_u32_e64 v46, s[0:1], v11, v46
	v_add_u32_e32 v2, 0x1000, v2
	v_addc_co_u32_e32 v23, vcc, v12, v25, vcc
	v_addc_co_u32_e64 v47, s[0:1], v12, v47, s[0:1]
	s_waitcnt lgkmcnt(0)
	global_store_dword v[22:23], v48, off
	global_store_dword v[46:47], v49, off
	s_andn2_b64 exec, exec, s[12:13]
	s_cbranch_execnz .LBB762_299
; %bb.300:
	s_or_b64 exec, exec, s[12:13]
.LBB762_301:
	s_or_b64 exec, exec, s[10:11]
	v_and_b32_e32 v1, 7, v15
	v_cmp_ne_u32_e32 vcc, 0, v1
	s_and_saveexec_b64 s[10:11], vcc
	s_cbranch_execz .LBB762_304
; %bb.302:
	v_lshl_or_b32 v14, v20, 10, v14
	s_mov_b64 s[12:13], 0
	v_mov_b32_e32 v5, 0
.LBB762_303:                            ; =>This Inner Loop Header: Depth=1
	ds_read2st64_b32 v[18:19], v14 offset1:4
	v_mov_b32_e32 v4, v2
	v_add_u32_e32 v1, -1, v1
	v_lshlrev_b64 v[20:21], 2, v[4:5]
	v_mov_b32_e32 v4, v3
	v_cmp_eq_u32_e32 vcc, 0, v1
	v_add_co_u32_e64 v20, s[0:1], v11, v20
	v_lshlrev_b64 v[22:23], 2, v[4:5]
	v_add_u32_e32 v2, 0x200, v2
	v_add_u32_e32 v14, 0x800, v14
	;; [unrolled: 1-line block ×3, first 2 shown]
	v_addc_co_u32_e64 v21, s[0:1], v12, v21, s[0:1]
	s_or_b64 s[12:13], vcc, s[12:13]
	v_add_co_u32_e32 v22, vcc, v11, v22
	v_addc_co_u32_e32 v23, vcc, v12, v23, vcc
	s_waitcnt lgkmcnt(0)
	global_store_dword v[20:21], v18, off
	global_store_dword v[22:23], v19, off
	s_andn2_b64 exec, exec, s[12:13]
	s_cbranch_execnz .LBB762_303
.LBB762_304:
	s_or_b64 exec, exec, s[10:11]
	v_add_u32_e32 v1, 1, v13
	v_and_b32_e32 v3, 0x1fffffe, v1
	v_cmp_ne_u32_e32 vcc, v1, v3
	v_lshl_or_b32 v2, v3, 8, v0
	s_orn2_b64 s[0:1], vcc, exec
.LBB762_305:
	s_or_b64 exec, exec, s[8:9]
	s_andn2_b64 s[4:5], s[4:5], exec
	s_and_b64 s[0:1], s[0:1], exec
	s_or_b64 s[4:5], s[4:5], s[0:1]
.LBB762_306:
	s_or_b64 exec, exec, s[6:7]
	s_and_b64 exec, exec, s[4:5]
	s_cbranch_execz .LBB762_309
; %bb.307:
	v_lshlrev_b32_e32 v1, 2, v2
	s_mov_b64 s[0:1], 0
	v_mov_b32_e32 v3, 0
.LBB762_308:                            ; =>This Inner Loop Header: Depth=1
	v_lshlrev_b64 v[4:5], 2, v[2:3]
	ds_read_b32 v13, v1
	v_add_co_u32_e32 v4, vcc, v11, v4
	v_add_u32_e32 v2, 0x100, v2
	v_addc_co_u32_e32 v5, vcc, v12, v5, vcc
	v_cmp_ge_u32_e32 vcc, v2, v7
	v_add_u32_e32 v1, 0x400, v1
	s_or_b64 s[0:1], vcc, s[0:1]
	s_waitcnt lgkmcnt(0)
	global_store_dword v[4:5], v13, off
	s_andn2_b64 exec, exec, s[0:1]
	s_cbranch_execnz .LBB762_308
.LBB762_309:
	s_or_b64 exec, exec, s[2:3]
.LBB762_310:
	s_movk_i32 s0, 0xff
	v_cmp_eq_u32_e32 vcc, s0, v0
	s_and_b64 s[0:1], vcc, s[36:37]
	s_and_saveexec_b64 s[2:3], s[0:1]
	s_cbranch_execz .LBB762_313
; %bb.311:
	v_add_co_u32_e32 v0, vcc, v6, v8
	v_addc_co_u32_e64 v1, s[0:1], 0, 0, vcc
	v_add_co_u32_e32 v0, vcc, v0, v16
	v_mov_b32_e32 v7, 0
	v_addc_co_u32_e32 v1, vcc, v1, v17, vcc
	s_cmpk_lg_i32 s33, 0xf00
	global_store_dwordx2 v7, v[0:1], s[54:55]
	s_cbranch_scc1 .LBB762_313
; %bb.312:
	v_lshlrev_b64 v[0:1], 2, v[6:7]
	v_add_co_u32_e32 v0, vcc, v9, v0
	v_addc_co_u32_e32 v1, vcc, v10, v1, vcc
	global_store_dword v[0:1], v67, off offset:-4
.LBB762_313:
	s_endpgm
	.section	.rodata,"a",@progbits
	.p2align	6, 0x0
	.amdhsa_kernel _ZN7rocprim17ROCPRIM_400000_NS6detail17trampoline_kernelINS0_14default_configENS1_29reduce_by_key_config_selectorItjN6thrust23THRUST_200600_302600_NS4plusIjEEEEZZNS1_33reduce_by_key_impl_wrapped_configILNS1_25lookback_scan_determinismE0ES3_S9_NS6_6detail15normal_iteratorINS6_10device_ptrItEEEENSD_INSE_IjEEEESG_SI_PmS8_NS6_8equal_toItEEEE10hipError_tPvRmT2_T3_mT4_T5_T6_T7_T8_P12ihipStream_tbENKUlT_T0_E_clISt17integral_constantIbLb0EES12_IbLb1EEEEDaSY_SZ_EUlSY_E_NS1_11comp_targetILNS1_3genE4ELNS1_11target_archE910ELNS1_3gpuE8ELNS1_3repE0EEENS1_30default_config_static_selectorELNS0_4arch9wavefront6targetE1EEEvT1_
		.amdhsa_group_segment_fixed_size 15360
		.amdhsa_private_segment_fixed_size 0
		.amdhsa_kernarg_size 120
		.amdhsa_user_sgpr_count 6
		.amdhsa_user_sgpr_private_segment_buffer 1
		.amdhsa_user_sgpr_dispatch_ptr 0
		.amdhsa_user_sgpr_queue_ptr 0
		.amdhsa_user_sgpr_kernarg_segment_ptr 1
		.amdhsa_user_sgpr_dispatch_id 0
		.amdhsa_user_sgpr_flat_scratch_init 0
		.amdhsa_user_sgpr_kernarg_preload_length 0
		.amdhsa_user_sgpr_kernarg_preload_offset 0
		.amdhsa_user_sgpr_private_segment_size 0
		.amdhsa_uses_dynamic_stack 0
		.amdhsa_system_sgpr_private_segment_wavefront_offset 0
		.amdhsa_system_sgpr_workgroup_id_x 1
		.amdhsa_system_sgpr_workgroup_id_y 0
		.amdhsa_system_sgpr_workgroup_id_z 0
		.amdhsa_system_sgpr_workgroup_info 0
		.amdhsa_system_vgpr_workitem_id 0
		.amdhsa_next_free_vgpr 108
		.amdhsa_next_free_sgpr 66
		.amdhsa_accum_offset 108
		.amdhsa_reserve_vcc 1
		.amdhsa_reserve_flat_scratch 0
		.amdhsa_float_round_mode_32 0
		.amdhsa_float_round_mode_16_64 0
		.amdhsa_float_denorm_mode_32 3
		.amdhsa_float_denorm_mode_16_64 3
		.amdhsa_dx10_clamp 1
		.amdhsa_ieee_mode 1
		.amdhsa_fp16_overflow 0
		.amdhsa_tg_split 0
		.amdhsa_exception_fp_ieee_invalid_op 0
		.amdhsa_exception_fp_denorm_src 0
		.amdhsa_exception_fp_ieee_div_zero 0
		.amdhsa_exception_fp_ieee_overflow 0
		.amdhsa_exception_fp_ieee_underflow 0
		.amdhsa_exception_fp_ieee_inexact 0
		.amdhsa_exception_int_div_zero 0
	.end_amdhsa_kernel
	.section	.text._ZN7rocprim17ROCPRIM_400000_NS6detail17trampoline_kernelINS0_14default_configENS1_29reduce_by_key_config_selectorItjN6thrust23THRUST_200600_302600_NS4plusIjEEEEZZNS1_33reduce_by_key_impl_wrapped_configILNS1_25lookback_scan_determinismE0ES3_S9_NS6_6detail15normal_iteratorINS6_10device_ptrItEEEENSD_INSE_IjEEEESG_SI_PmS8_NS6_8equal_toItEEEE10hipError_tPvRmT2_T3_mT4_T5_T6_T7_T8_P12ihipStream_tbENKUlT_T0_E_clISt17integral_constantIbLb0EES12_IbLb1EEEEDaSY_SZ_EUlSY_E_NS1_11comp_targetILNS1_3genE4ELNS1_11target_archE910ELNS1_3gpuE8ELNS1_3repE0EEENS1_30default_config_static_selectorELNS0_4arch9wavefront6targetE1EEEvT1_,"axG",@progbits,_ZN7rocprim17ROCPRIM_400000_NS6detail17trampoline_kernelINS0_14default_configENS1_29reduce_by_key_config_selectorItjN6thrust23THRUST_200600_302600_NS4plusIjEEEEZZNS1_33reduce_by_key_impl_wrapped_configILNS1_25lookback_scan_determinismE0ES3_S9_NS6_6detail15normal_iteratorINS6_10device_ptrItEEEENSD_INSE_IjEEEESG_SI_PmS8_NS6_8equal_toItEEEE10hipError_tPvRmT2_T3_mT4_T5_T6_T7_T8_P12ihipStream_tbENKUlT_T0_E_clISt17integral_constantIbLb0EES12_IbLb1EEEEDaSY_SZ_EUlSY_E_NS1_11comp_targetILNS1_3genE4ELNS1_11target_archE910ELNS1_3gpuE8ELNS1_3repE0EEENS1_30default_config_static_selectorELNS0_4arch9wavefront6targetE1EEEvT1_,comdat
.Lfunc_end762:
	.size	_ZN7rocprim17ROCPRIM_400000_NS6detail17trampoline_kernelINS0_14default_configENS1_29reduce_by_key_config_selectorItjN6thrust23THRUST_200600_302600_NS4plusIjEEEEZZNS1_33reduce_by_key_impl_wrapped_configILNS1_25lookback_scan_determinismE0ES3_S9_NS6_6detail15normal_iteratorINS6_10device_ptrItEEEENSD_INSE_IjEEEESG_SI_PmS8_NS6_8equal_toItEEEE10hipError_tPvRmT2_T3_mT4_T5_T6_T7_T8_P12ihipStream_tbENKUlT_T0_E_clISt17integral_constantIbLb0EES12_IbLb1EEEEDaSY_SZ_EUlSY_E_NS1_11comp_targetILNS1_3genE4ELNS1_11target_archE910ELNS1_3gpuE8ELNS1_3repE0EEENS1_30default_config_static_selectorELNS0_4arch9wavefront6targetE1EEEvT1_, .Lfunc_end762-_ZN7rocprim17ROCPRIM_400000_NS6detail17trampoline_kernelINS0_14default_configENS1_29reduce_by_key_config_selectorItjN6thrust23THRUST_200600_302600_NS4plusIjEEEEZZNS1_33reduce_by_key_impl_wrapped_configILNS1_25lookback_scan_determinismE0ES3_S9_NS6_6detail15normal_iteratorINS6_10device_ptrItEEEENSD_INSE_IjEEEESG_SI_PmS8_NS6_8equal_toItEEEE10hipError_tPvRmT2_T3_mT4_T5_T6_T7_T8_P12ihipStream_tbENKUlT_T0_E_clISt17integral_constantIbLb0EES12_IbLb1EEEEDaSY_SZ_EUlSY_E_NS1_11comp_targetILNS1_3genE4ELNS1_11target_archE910ELNS1_3gpuE8ELNS1_3repE0EEENS1_30default_config_static_selectorELNS0_4arch9wavefront6targetE1EEEvT1_
                                        ; -- End function
	.section	.AMDGPU.csdata,"",@progbits
; Kernel info:
; codeLenInByte = 17684
; NumSgprs: 70
; NumVgprs: 108
; NumAgprs: 0
; TotalNumVgprs: 108
; ScratchSize: 0
; MemoryBound: 0
; FloatMode: 240
; IeeeMode: 1
; LDSByteSize: 15360 bytes/workgroup (compile time only)
; SGPRBlocks: 8
; VGPRBlocks: 13
; NumSGPRsForWavesPerEU: 70
; NumVGPRsForWavesPerEU: 108
; AccumOffset: 108
; Occupancy: 4
; WaveLimiterHint : 1
; COMPUTE_PGM_RSRC2:SCRATCH_EN: 0
; COMPUTE_PGM_RSRC2:USER_SGPR: 6
; COMPUTE_PGM_RSRC2:TRAP_HANDLER: 0
; COMPUTE_PGM_RSRC2:TGID_X_EN: 1
; COMPUTE_PGM_RSRC2:TGID_Y_EN: 0
; COMPUTE_PGM_RSRC2:TGID_Z_EN: 0
; COMPUTE_PGM_RSRC2:TIDIG_COMP_CNT: 0
; COMPUTE_PGM_RSRC3_GFX90A:ACCUM_OFFSET: 26
; COMPUTE_PGM_RSRC3_GFX90A:TG_SPLIT: 0
	.section	.text._ZN7rocprim17ROCPRIM_400000_NS6detail17trampoline_kernelINS0_14default_configENS1_29reduce_by_key_config_selectorItjN6thrust23THRUST_200600_302600_NS4plusIjEEEEZZNS1_33reduce_by_key_impl_wrapped_configILNS1_25lookback_scan_determinismE0ES3_S9_NS6_6detail15normal_iteratorINS6_10device_ptrItEEEENSD_INSE_IjEEEESG_SI_PmS8_NS6_8equal_toItEEEE10hipError_tPvRmT2_T3_mT4_T5_T6_T7_T8_P12ihipStream_tbENKUlT_T0_E_clISt17integral_constantIbLb0EES12_IbLb1EEEEDaSY_SZ_EUlSY_E_NS1_11comp_targetILNS1_3genE3ELNS1_11target_archE908ELNS1_3gpuE7ELNS1_3repE0EEENS1_30default_config_static_selectorELNS0_4arch9wavefront6targetE1EEEvT1_,"axG",@progbits,_ZN7rocprim17ROCPRIM_400000_NS6detail17trampoline_kernelINS0_14default_configENS1_29reduce_by_key_config_selectorItjN6thrust23THRUST_200600_302600_NS4plusIjEEEEZZNS1_33reduce_by_key_impl_wrapped_configILNS1_25lookback_scan_determinismE0ES3_S9_NS6_6detail15normal_iteratorINS6_10device_ptrItEEEENSD_INSE_IjEEEESG_SI_PmS8_NS6_8equal_toItEEEE10hipError_tPvRmT2_T3_mT4_T5_T6_T7_T8_P12ihipStream_tbENKUlT_T0_E_clISt17integral_constantIbLb0EES12_IbLb1EEEEDaSY_SZ_EUlSY_E_NS1_11comp_targetILNS1_3genE3ELNS1_11target_archE908ELNS1_3gpuE7ELNS1_3repE0EEENS1_30default_config_static_selectorELNS0_4arch9wavefront6targetE1EEEvT1_,comdat
	.protected	_ZN7rocprim17ROCPRIM_400000_NS6detail17trampoline_kernelINS0_14default_configENS1_29reduce_by_key_config_selectorItjN6thrust23THRUST_200600_302600_NS4plusIjEEEEZZNS1_33reduce_by_key_impl_wrapped_configILNS1_25lookback_scan_determinismE0ES3_S9_NS6_6detail15normal_iteratorINS6_10device_ptrItEEEENSD_INSE_IjEEEESG_SI_PmS8_NS6_8equal_toItEEEE10hipError_tPvRmT2_T3_mT4_T5_T6_T7_T8_P12ihipStream_tbENKUlT_T0_E_clISt17integral_constantIbLb0EES12_IbLb1EEEEDaSY_SZ_EUlSY_E_NS1_11comp_targetILNS1_3genE3ELNS1_11target_archE908ELNS1_3gpuE7ELNS1_3repE0EEENS1_30default_config_static_selectorELNS0_4arch9wavefront6targetE1EEEvT1_ ; -- Begin function _ZN7rocprim17ROCPRIM_400000_NS6detail17trampoline_kernelINS0_14default_configENS1_29reduce_by_key_config_selectorItjN6thrust23THRUST_200600_302600_NS4plusIjEEEEZZNS1_33reduce_by_key_impl_wrapped_configILNS1_25lookback_scan_determinismE0ES3_S9_NS6_6detail15normal_iteratorINS6_10device_ptrItEEEENSD_INSE_IjEEEESG_SI_PmS8_NS6_8equal_toItEEEE10hipError_tPvRmT2_T3_mT4_T5_T6_T7_T8_P12ihipStream_tbENKUlT_T0_E_clISt17integral_constantIbLb0EES12_IbLb1EEEEDaSY_SZ_EUlSY_E_NS1_11comp_targetILNS1_3genE3ELNS1_11target_archE908ELNS1_3gpuE7ELNS1_3repE0EEENS1_30default_config_static_selectorELNS0_4arch9wavefront6targetE1EEEvT1_
	.globl	_ZN7rocprim17ROCPRIM_400000_NS6detail17trampoline_kernelINS0_14default_configENS1_29reduce_by_key_config_selectorItjN6thrust23THRUST_200600_302600_NS4plusIjEEEEZZNS1_33reduce_by_key_impl_wrapped_configILNS1_25lookback_scan_determinismE0ES3_S9_NS6_6detail15normal_iteratorINS6_10device_ptrItEEEENSD_INSE_IjEEEESG_SI_PmS8_NS6_8equal_toItEEEE10hipError_tPvRmT2_T3_mT4_T5_T6_T7_T8_P12ihipStream_tbENKUlT_T0_E_clISt17integral_constantIbLb0EES12_IbLb1EEEEDaSY_SZ_EUlSY_E_NS1_11comp_targetILNS1_3genE3ELNS1_11target_archE908ELNS1_3gpuE7ELNS1_3repE0EEENS1_30default_config_static_selectorELNS0_4arch9wavefront6targetE1EEEvT1_
	.p2align	8
	.type	_ZN7rocprim17ROCPRIM_400000_NS6detail17trampoline_kernelINS0_14default_configENS1_29reduce_by_key_config_selectorItjN6thrust23THRUST_200600_302600_NS4plusIjEEEEZZNS1_33reduce_by_key_impl_wrapped_configILNS1_25lookback_scan_determinismE0ES3_S9_NS6_6detail15normal_iteratorINS6_10device_ptrItEEEENSD_INSE_IjEEEESG_SI_PmS8_NS6_8equal_toItEEEE10hipError_tPvRmT2_T3_mT4_T5_T6_T7_T8_P12ihipStream_tbENKUlT_T0_E_clISt17integral_constantIbLb0EES12_IbLb1EEEEDaSY_SZ_EUlSY_E_NS1_11comp_targetILNS1_3genE3ELNS1_11target_archE908ELNS1_3gpuE7ELNS1_3repE0EEENS1_30default_config_static_selectorELNS0_4arch9wavefront6targetE1EEEvT1_,@function
_ZN7rocprim17ROCPRIM_400000_NS6detail17trampoline_kernelINS0_14default_configENS1_29reduce_by_key_config_selectorItjN6thrust23THRUST_200600_302600_NS4plusIjEEEEZZNS1_33reduce_by_key_impl_wrapped_configILNS1_25lookback_scan_determinismE0ES3_S9_NS6_6detail15normal_iteratorINS6_10device_ptrItEEEENSD_INSE_IjEEEESG_SI_PmS8_NS6_8equal_toItEEEE10hipError_tPvRmT2_T3_mT4_T5_T6_T7_T8_P12ihipStream_tbENKUlT_T0_E_clISt17integral_constantIbLb0EES12_IbLb1EEEEDaSY_SZ_EUlSY_E_NS1_11comp_targetILNS1_3genE3ELNS1_11target_archE908ELNS1_3gpuE7ELNS1_3repE0EEENS1_30default_config_static_selectorELNS0_4arch9wavefront6targetE1EEEvT1_: ; @_ZN7rocprim17ROCPRIM_400000_NS6detail17trampoline_kernelINS0_14default_configENS1_29reduce_by_key_config_selectorItjN6thrust23THRUST_200600_302600_NS4plusIjEEEEZZNS1_33reduce_by_key_impl_wrapped_configILNS1_25lookback_scan_determinismE0ES3_S9_NS6_6detail15normal_iteratorINS6_10device_ptrItEEEENSD_INSE_IjEEEESG_SI_PmS8_NS6_8equal_toItEEEE10hipError_tPvRmT2_T3_mT4_T5_T6_T7_T8_P12ihipStream_tbENKUlT_T0_E_clISt17integral_constantIbLb0EES12_IbLb1EEEEDaSY_SZ_EUlSY_E_NS1_11comp_targetILNS1_3genE3ELNS1_11target_archE908ELNS1_3gpuE7ELNS1_3repE0EEENS1_30default_config_static_selectorELNS0_4arch9wavefront6targetE1EEEvT1_
; %bb.0:
	.section	.rodata,"a",@progbits
	.p2align	6, 0x0
	.amdhsa_kernel _ZN7rocprim17ROCPRIM_400000_NS6detail17trampoline_kernelINS0_14default_configENS1_29reduce_by_key_config_selectorItjN6thrust23THRUST_200600_302600_NS4plusIjEEEEZZNS1_33reduce_by_key_impl_wrapped_configILNS1_25lookback_scan_determinismE0ES3_S9_NS6_6detail15normal_iteratorINS6_10device_ptrItEEEENSD_INSE_IjEEEESG_SI_PmS8_NS6_8equal_toItEEEE10hipError_tPvRmT2_T3_mT4_T5_T6_T7_T8_P12ihipStream_tbENKUlT_T0_E_clISt17integral_constantIbLb0EES12_IbLb1EEEEDaSY_SZ_EUlSY_E_NS1_11comp_targetILNS1_3genE3ELNS1_11target_archE908ELNS1_3gpuE7ELNS1_3repE0EEENS1_30default_config_static_selectorELNS0_4arch9wavefront6targetE1EEEvT1_
		.amdhsa_group_segment_fixed_size 0
		.amdhsa_private_segment_fixed_size 0
		.amdhsa_kernarg_size 120
		.amdhsa_user_sgpr_count 6
		.amdhsa_user_sgpr_private_segment_buffer 1
		.amdhsa_user_sgpr_dispatch_ptr 0
		.amdhsa_user_sgpr_queue_ptr 0
		.amdhsa_user_sgpr_kernarg_segment_ptr 1
		.amdhsa_user_sgpr_dispatch_id 0
		.amdhsa_user_sgpr_flat_scratch_init 0
		.amdhsa_user_sgpr_kernarg_preload_length 0
		.amdhsa_user_sgpr_kernarg_preload_offset 0
		.amdhsa_user_sgpr_private_segment_size 0
		.amdhsa_uses_dynamic_stack 0
		.amdhsa_system_sgpr_private_segment_wavefront_offset 0
		.amdhsa_system_sgpr_workgroup_id_x 1
		.amdhsa_system_sgpr_workgroup_id_y 0
		.amdhsa_system_sgpr_workgroup_id_z 0
		.amdhsa_system_sgpr_workgroup_info 0
		.amdhsa_system_vgpr_workitem_id 0
		.amdhsa_next_free_vgpr 1
		.amdhsa_next_free_sgpr 0
		.amdhsa_accum_offset 4
		.amdhsa_reserve_vcc 0
		.amdhsa_reserve_flat_scratch 0
		.amdhsa_float_round_mode_32 0
		.amdhsa_float_round_mode_16_64 0
		.amdhsa_float_denorm_mode_32 3
		.amdhsa_float_denorm_mode_16_64 3
		.amdhsa_dx10_clamp 1
		.amdhsa_ieee_mode 1
		.amdhsa_fp16_overflow 0
		.amdhsa_tg_split 0
		.amdhsa_exception_fp_ieee_invalid_op 0
		.amdhsa_exception_fp_denorm_src 0
		.amdhsa_exception_fp_ieee_div_zero 0
		.amdhsa_exception_fp_ieee_overflow 0
		.amdhsa_exception_fp_ieee_underflow 0
		.amdhsa_exception_fp_ieee_inexact 0
		.amdhsa_exception_int_div_zero 0
	.end_amdhsa_kernel
	.section	.text._ZN7rocprim17ROCPRIM_400000_NS6detail17trampoline_kernelINS0_14default_configENS1_29reduce_by_key_config_selectorItjN6thrust23THRUST_200600_302600_NS4plusIjEEEEZZNS1_33reduce_by_key_impl_wrapped_configILNS1_25lookback_scan_determinismE0ES3_S9_NS6_6detail15normal_iteratorINS6_10device_ptrItEEEENSD_INSE_IjEEEESG_SI_PmS8_NS6_8equal_toItEEEE10hipError_tPvRmT2_T3_mT4_T5_T6_T7_T8_P12ihipStream_tbENKUlT_T0_E_clISt17integral_constantIbLb0EES12_IbLb1EEEEDaSY_SZ_EUlSY_E_NS1_11comp_targetILNS1_3genE3ELNS1_11target_archE908ELNS1_3gpuE7ELNS1_3repE0EEENS1_30default_config_static_selectorELNS0_4arch9wavefront6targetE1EEEvT1_,"axG",@progbits,_ZN7rocprim17ROCPRIM_400000_NS6detail17trampoline_kernelINS0_14default_configENS1_29reduce_by_key_config_selectorItjN6thrust23THRUST_200600_302600_NS4plusIjEEEEZZNS1_33reduce_by_key_impl_wrapped_configILNS1_25lookback_scan_determinismE0ES3_S9_NS6_6detail15normal_iteratorINS6_10device_ptrItEEEENSD_INSE_IjEEEESG_SI_PmS8_NS6_8equal_toItEEEE10hipError_tPvRmT2_T3_mT4_T5_T6_T7_T8_P12ihipStream_tbENKUlT_T0_E_clISt17integral_constantIbLb0EES12_IbLb1EEEEDaSY_SZ_EUlSY_E_NS1_11comp_targetILNS1_3genE3ELNS1_11target_archE908ELNS1_3gpuE7ELNS1_3repE0EEENS1_30default_config_static_selectorELNS0_4arch9wavefront6targetE1EEEvT1_,comdat
.Lfunc_end763:
	.size	_ZN7rocprim17ROCPRIM_400000_NS6detail17trampoline_kernelINS0_14default_configENS1_29reduce_by_key_config_selectorItjN6thrust23THRUST_200600_302600_NS4plusIjEEEEZZNS1_33reduce_by_key_impl_wrapped_configILNS1_25lookback_scan_determinismE0ES3_S9_NS6_6detail15normal_iteratorINS6_10device_ptrItEEEENSD_INSE_IjEEEESG_SI_PmS8_NS6_8equal_toItEEEE10hipError_tPvRmT2_T3_mT4_T5_T6_T7_T8_P12ihipStream_tbENKUlT_T0_E_clISt17integral_constantIbLb0EES12_IbLb1EEEEDaSY_SZ_EUlSY_E_NS1_11comp_targetILNS1_3genE3ELNS1_11target_archE908ELNS1_3gpuE7ELNS1_3repE0EEENS1_30default_config_static_selectorELNS0_4arch9wavefront6targetE1EEEvT1_, .Lfunc_end763-_ZN7rocprim17ROCPRIM_400000_NS6detail17trampoline_kernelINS0_14default_configENS1_29reduce_by_key_config_selectorItjN6thrust23THRUST_200600_302600_NS4plusIjEEEEZZNS1_33reduce_by_key_impl_wrapped_configILNS1_25lookback_scan_determinismE0ES3_S9_NS6_6detail15normal_iteratorINS6_10device_ptrItEEEENSD_INSE_IjEEEESG_SI_PmS8_NS6_8equal_toItEEEE10hipError_tPvRmT2_T3_mT4_T5_T6_T7_T8_P12ihipStream_tbENKUlT_T0_E_clISt17integral_constantIbLb0EES12_IbLb1EEEEDaSY_SZ_EUlSY_E_NS1_11comp_targetILNS1_3genE3ELNS1_11target_archE908ELNS1_3gpuE7ELNS1_3repE0EEENS1_30default_config_static_selectorELNS0_4arch9wavefront6targetE1EEEvT1_
                                        ; -- End function
	.section	.AMDGPU.csdata,"",@progbits
; Kernel info:
; codeLenInByte = 0
; NumSgprs: 4
; NumVgprs: 0
; NumAgprs: 0
; TotalNumVgprs: 0
; ScratchSize: 0
; MemoryBound: 0
; FloatMode: 240
; IeeeMode: 1
; LDSByteSize: 0 bytes/workgroup (compile time only)
; SGPRBlocks: 0
; VGPRBlocks: 0
; NumSGPRsForWavesPerEU: 4
; NumVGPRsForWavesPerEU: 1
; AccumOffset: 4
; Occupancy: 8
; WaveLimiterHint : 0
; COMPUTE_PGM_RSRC2:SCRATCH_EN: 0
; COMPUTE_PGM_RSRC2:USER_SGPR: 6
; COMPUTE_PGM_RSRC2:TRAP_HANDLER: 0
; COMPUTE_PGM_RSRC2:TGID_X_EN: 1
; COMPUTE_PGM_RSRC2:TGID_Y_EN: 0
; COMPUTE_PGM_RSRC2:TGID_Z_EN: 0
; COMPUTE_PGM_RSRC2:TIDIG_COMP_CNT: 0
; COMPUTE_PGM_RSRC3_GFX90A:ACCUM_OFFSET: 0
; COMPUTE_PGM_RSRC3_GFX90A:TG_SPLIT: 0
	.section	.text._ZN7rocprim17ROCPRIM_400000_NS6detail17trampoline_kernelINS0_14default_configENS1_29reduce_by_key_config_selectorItjN6thrust23THRUST_200600_302600_NS4plusIjEEEEZZNS1_33reduce_by_key_impl_wrapped_configILNS1_25lookback_scan_determinismE0ES3_S9_NS6_6detail15normal_iteratorINS6_10device_ptrItEEEENSD_INSE_IjEEEESG_SI_PmS8_NS6_8equal_toItEEEE10hipError_tPvRmT2_T3_mT4_T5_T6_T7_T8_P12ihipStream_tbENKUlT_T0_E_clISt17integral_constantIbLb0EES12_IbLb1EEEEDaSY_SZ_EUlSY_E_NS1_11comp_targetILNS1_3genE2ELNS1_11target_archE906ELNS1_3gpuE6ELNS1_3repE0EEENS1_30default_config_static_selectorELNS0_4arch9wavefront6targetE1EEEvT1_,"axG",@progbits,_ZN7rocprim17ROCPRIM_400000_NS6detail17trampoline_kernelINS0_14default_configENS1_29reduce_by_key_config_selectorItjN6thrust23THRUST_200600_302600_NS4plusIjEEEEZZNS1_33reduce_by_key_impl_wrapped_configILNS1_25lookback_scan_determinismE0ES3_S9_NS6_6detail15normal_iteratorINS6_10device_ptrItEEEENSD_INSE_IjEEEESG_SI_PmS8_NS6_8equal_toItEEEE10hipError_tPvRmT2_T3_mT4_T5_T6_T7_T8_P12ihipStream_tbENKUlT_T0_E_clISt17integral_constantIbLb0EES12_IbLb1EEEEDaSY_SZ_EUlSY_E_NS1_11comp_targetILNS1_3genE2ELNS1_11target_archE906ELNS1_3gpuE6ELNS1_3repE0EEENS1_30default_config_static_selectorELNS0_4arch9wavefront6targetE1EEEvT1_,comdat
	.protected	_ZN7rocprim17ROCPRIM_400000_NS6detail17trampoline_kernelINS0_14default_configENS1_29reduce_by_key_config_selectorItjN6thrust23THRUST_200600_302600_NS4plusIjEEEEZZNS1_33reduce_by_key_impl_wrapped_configILNS1_25lookback_scan_determinismE0ES3_S9_NS6_6detail15normal_iteratorINS6_10device_ptrItEEEENSD_INSE_IjEEEESG_SI_PmS8_NS6_8equal_toItEEEE10hipError_tPvRmT2_T3_mT4_T5_T6_T7_T8_P12ihipStream_tbENKUlT_T0_E_clISt17integral_constantIbLb0EES12_IbLb1EEEEDaSY_SZ_EUlSY_E_NS1_11comp_targetILNS1_3genE2ELNS1_11target_archE906ELNS1_3gpuE6ELNS1_3repE0EEENS1_30default_config_static_selectorELNS0_4arch9wavefront6targetE1EEEvT1_ ; -- Begin function _ZN7rocprim17ROCPRIM_400000_NS6detail17trampoline_kernelINS0_14default_configENS1_29reduce_by_key_config_selectorItjN6thrust23THRUST_200600_302600_NS4plusIjEEEEZZNS1_33reduce_by_key_impl_wrapped_configILNS1_25lookback_scan_determinismE0ES3_S9_NS6_6detail15normal_iteratorINS6_10device_ptrItEEEENSD_INSE_IjEEEESG_SI_PmS8_NS6_8equal_toItEEEE10hipError_tPvRmT2_T3_mT4_T5_T6_T7_T8_P12ihipStream_tbENKUlT_T0_E_clISt17integral_constantIbLb0EES12_IbLb1EEEEDaSY_SZ_EUlSY_E_NS1_11comp_targetILNS1_3genE2ELNS1_11target_archE906ELNS1_3gpuE6ELNS1_3repE0EEENS1_30default_config_static_selectorELNS0_4arch9wavefront6targetE1EEEvT1_
	.globl	_ZN7rocprim17ROCPRIM_400000_NS6detail17trampoline_kernelINS0_14default_configENS1_29reduce_by_key_config_selectorItjN6thrust23THRUST_200600_302600_NS4plusIjEEEEZZNS1_33reduce_by_key_impl_wrapped_configILNS1_25lookback_scan_determinismE0ES3_S9_NS6_6detail15normal_iteratorINS6_10device_ptrItEEEENSD_INSE_IjEEEESG_SI_PmS8_NS6_8equal_toItEEEE10hipError_tPvRmT2_T3_mT4_T5_T6_T7_T8_P12ihipStream_tbENKUlT_T0_E_clISt17integral_constantIbLb0EES12_IbLb1EEEEDaSY_SZ_EUlSY_E_NS1_11comp_targetILNS1_3genE2ELNS1_11target_archE906ELNS1_3gpuE6ELNS1_3repE0EEENS1_30default_config_static_selectorELNS0_4arch9wavefront6targetE1EEEvT1_
	.p2align	8
	.type	_ZN7rocprim17ROCPRIM_400000_NS6detail17trampoline_kernelINS0_14default_configENS1_29reduce_by_key_config_selectorItjN6thrust23THRUST_200600_302600_NS4plusIjEEEEZZNS1_33reduce_by_key_impl_wrapped_configILNS1_25lookback_scan_determinismE0ES3_S9_NS6_6detail15normal_iteratorINS6_10device_ptrItEEEENSD_INSE_IjEEEESG_SI_PmS8_NS6_8equal_toItEEEE10hipError_tPvRmT2_T3_mT4_T5_T6_T7_T8_P12ihipStream_tbENKUlT_T0_E_clISt17integral_constantIbLb0EES12_IbLb1EEEEDaSY_SZ_EUlSY_E_NS1_11comp_targetILNS1_3genE2ELNS1_11target_archE906ELNS1_3gpuE6ELNS1_3repE0EEENS1_30default_config_static_selectorELNS0_4arch9wavefront6targetE1EEEvT1_,@function
_ZN7rocprim17ROCPRIM_400000_NS6detail17trampoline_kernelINS0_14default_configENS1_29reduce_by_key_config_selectorItjN6thrust23THRUST_200600_302600_NS4plusIjEEEEZZNS1_33reduce_by_key_impl_wrapped_configILNS1_25lookback_scan_determinismE0ES3_S9_NS6_6detail15normal_iteratorINS6_10device_ptrItEEEENSD_INSE_IjEEEESG_SI_PmS8_NS6_8equal_toItEEEE10hipError_tPvRmT2_T3_mT4_T5_T6_T7_T8_P12ihipStream_tbENKUlT_T0_E_clISt17integral_constantIbLb0EES12_IbLb1EEEEDaSY_SZ_EUlSY_E_NS1_11comp_targetILNS1_3genE2ELNS1_11target_archE906ELNS1_3gpuE6ELNS1_3repE0EEENS1_30default_config_static_selectorELNS0_4arch9wavefront6targetE1EEEvT1_: ; @_ZN7rocprim17ROCPRIM_400000_NS6detail17trampoline_kernelINS0_14default_configENS1_29reduce_by_key_config_selectorItjN6thrust23THRUST_200600_302600_NS4plusIjEEEEZZNS1_33reduce_by_key_impl_wrapped_configILNS1_25lookback_scan_determinismE0ES3_S9_NS6_6detail15normal_iteratorINS6_10device_ptrItEEEENSD_INSE_IjEEEESG_SI_PmS8_NS6_8equal_toItEEEE10hipError_tPvRmT2_T3_mT4_T5_T6_T7_T8_P12ihipStream_tbENKUlT_T0_E_clISt17integral_constantIbLb0EES12_IbLb1EEEEDaSY_SZ_EUlSY_E_NS1_11comp_targetILNS1_3genE2ELNS1_11target_archE906ELNS1_3gpuE6ELNS1_3repE0EEENS1_30default_config_static_selectorELNS0_4arch9wavefront6targetE1EEEvT1_
; %bb.0:
	.section	.rodata,"a",@progbits
	.p2align	6, 0x0
	.amdhsa_kernel _ZN7rocprim17ROCPRIM_400000_NS6detail17trampoline_kernelINS0_14default_configENS1_29reduce_by_key_config_selectorItjN6thrust23THRUST_200600_302600_NS4plusIjEEEEZZNS1_33reduce_by_key_impl_wrapped_configILNS1_25lookback_scan_determinismE0ES3_S9_NS6_6detail15normal_iteratorINS6_10device_ptrItEEEENSD_INSE_IjEEEESG_SI_PmS8_NS6_8equal_toItEEEE10hipError_tPvRmT2_T3_mT4_T5_T6_T7_T8_P12ihipStream_tbENKUlT_T0_E_clISt17integral_constantIbLb0EES12_IbLb1EEEEDaSY_SZ_EUlSY_E_NS1_11comp_targetILNS1_3genE2ELNS1_11target_archE906ELNS1_3gpuE6ELNS1_3repE0EEENS1_30default_config_static_selectorELNS0_4arch9wavefront6targetE1EEEvT1_
		.amdhsa_group_segment_fixed_size 0
		.amdhsa_private_segment_fixed_size 0
		.amdhsa_kernarg_size 120
		.amdhsa_user_sgpr_count 6
		.amdhsa_user_sgpr_private_segment_buffer 1
		.amdhsa_user_sgpr_dispatch_ptr 0
		.amdhsa_user_sgpr_queue_ptr 0
		.amdhsa_user_sgpr_kernarg_segment_ptr 1
		.amdhsa_user_sgpr_dispatch_id 0
		.amdhsa_user_sgpr_flat_scratch_init 0
		.amdhsa_user_sgpr_kernarg_preload_length 0
		.amdhsa_user_sgpr_kernarg_preload_offset 0
		.amdhsa_user_sgpr_private_segment_size 0
		.amdhsa_uses_dynamic_stack 0
		.amdhsa_system_sgpr_private_segment_wavefront_offset 0
		.amdhsa_system_sgpr_workgroup_id_x 1
		.amdhsa_system_sgpr_workgroup_id_y 0
		.amdhsa_system_sgpr_workgroup_id_z 0
		.amdhsa_system_sgpr_workgroup_info 0
		.amdhsa_system_vgpr_workitem_id 0
		.amdhsa_next_free_vgpr 1
		.amdhsa_next_free_sgpr 0
		.amdhsa_accum_offset 4
		.amdhsa_reserve_vcc 0
		.amdhsa_reserve_flat_scratch 0
		.amdhsa_float_round_mode_32 0
		.amdhsa_float_round_mode_16_64 0
		.amdhsa_float_denorm_mode_32 3
		.amdhsa_float_denorm_mode_16_64 3
		.amdhsa_dx10_clamp 1
		.amdhsa_ieee_mode 1
		.amdhsa_fp16_overflow 0
		.amdhsa_tg_split 0
		.amdhsa_exception_fp_ieee_invalid_op 0
		.amdhsa_exception_fp_denorm_src 0
		.amdhsa_exception_fp_ieee_div_zero 0
		.amdhsa_exception_fp_ieee_overflow 0
		.amdhsa_exception_fp_ieee_underflow 0
		.amdhsa_exception_fp_ieee_inexact 0
		.amdhsa_exception_int_div_zero 0
	.end_amdhsa_kernel
	.section	.text._ZN7rocprim17ROCPRIM_400000_NS6detail17trampoline_kernelINS0_14default_configENS1_29reduce_by_key_config_selectorItjN6thrust23THRUST_200600_302600_NS4plusIjEEEEZZNS1_33reduce_by_key_impl_wrapped_configILNS1_25lookback_scan_determinismE0ES3_S9_NS6_6detail15normal_iteratorINS6_10device_ptrItEEEENSD_INSE_IjEEEESG_SI_PmS8_NS6_8equal_toItEEEE10hipError_tPvRmT2_T3_mT4_T5_T6_T7_T8_P12ihipStream_tbENKUlT_T0_E_clISt17integral_constantIbLb0EES12_IbLb1EEEEDaSY_SZ_EUlSY_E_NS1_11comp_targetILNS1_3genE2ELNS1_11target_archE906ELNS1_3gpuE6ELNS1_3repE0EEENS1_30default_config_static_selectorELNS0_4arch9wavefront6targetE1EEEvT1_,"axG",@progbits,_ZN7rocprim17ROCPRIM_400000_NS6detail17trampoline_kernelINS0_14default_configENS1_29reduce_by_key_config_selectorItjN6thrust23THRUST_200600_302600_NS4plusIjEEEEZZNS1_33reduce_by_key_impl_wrapped_configILNS1_25lookback_scan_determinismE0ES3_S9_NS6_6detail15normal_iteratorINS6_10device_ptrItEEEENSD_INSE_IjEEEESG_SI_PmS8_NS6_8equal_toItEEEE10hipError_tPvRmT2_T3_mT4_T5_T6_T7_T8_P12ihipStream_tbENKUlT_T0_E_clISt17integral_constantIbLb0EES12_IbLb1EEEEDaSY_SZ_EUlSY_E_NS1_11comp_targetILNS1_3genE2ELNS1_11target_archE906ELNS1_3gpuE6ELNS1_3repE0EEENS1_30default_config_static_selectorELNS0_4arch9wavefront6targetE1EEEvT1_,comdat
.Lfunc_end764:
	.size	_ZN7rocprim17ROCPRIM_400000_NS6detail17trampoline_kernelINS0_14default_configENS1_29reduce_by_key_config_selectorItjN6thrust23THRUST_200600_302600_NS4plusIjEEEEZZNS1_33reduce_by_key_impl_wrapped_configILNS1_25lookback_scan_determinismE0ES3_S9_NS6_6detail15normal_iteratorINS6_10device_ptrItEEEENSD_INSE_IjEEEESG_SI_PmS8_NS6_8equal_toItEEEE10hipError_tPvRmT2_T3_mT4_T5_T6_T7_T8_P12ihipStream_tbENKUlT_T0_E_clISt17integral_constantIbLb0EES12_IbLb1EEEEDaSY_SZ_EUlSY_E_NS1_11comp_targetILNS1_3genE2ELNS1_11target_archE906ELNS1_3gpuE6ELNS1_3repE0EEENS1_30default_config_static_selectorELNS0_4arch9wavefront6targetE1EEEvT1_, .Lfunc_end764-_ZN7rocprim17ROCPRIM_400000_NS6detail17trampoline_kernelINS0_14default_configENS1_29reduce_by_key_config_selectorItjN6thrust23THRUST_200600_302600_NS4plusIjEEEEZZNS1_33reduce_by_key_impl_wrapped_configILNS1_25lookback_scan_determinismE0ES3_S9_NS6_6detail15normal_iteratorINS6_10device_ptrItEEEENSD_INSE_IjEEEESG_SI_PmS8_NS6_8equal_toItEEEE10hipError_tPvRmT2_T3_mT4_T5_T6_T7_T8_P12ihipStream_tbENKUlT_T0_E_clISt17integral_constantIbLb0EES12_IbLb1EEEEDaSY_SZ_EUlSY_E_NS1_11comp_targetILNS1_3genE2ELNS1_11target_archE906ELNS1_3gpuE6ELNS1_3repE0EEENS1_30default_config_static_selectorELNS0_4arch9wavefront6targetE1EEEvT1_
                                        ; -- End function
	.section	.AMDGPU.csdata,"",@progbits
; Kernel info:
; codeLenInByte = 0
; NumSgprs: 4
; NumVgprs: 0
; NumAgprs: 0
; TotalNumVgprs: 0
; ScratchSize: 0
; MemoryBound: 0
; FloatMode: 240
; IeeeMode: 1
; LDSByteSize: 0 bytes/workgroup (compile time only)
; SGPRBlocks: 0
; VGPRBlocks: 0
; NumSGPRsForWavesPerEU: 4
; NumVGPRsForWavesPerEU: 1
; AccumOffset: 4
; Occupancy: 8
; WaveLimiterHint : 0
; COMPUTE_PGM_RSRC2:SCRATCH_EN: 0
; COMPUTE_PGM_RSRC2:USER_SGPR: 6
; COMPUTE_PGM_RSRC2:TRAP_HANDLER: 0
; COMPUTE_PGM_RSRC2:TGID_X_EN: 1
; COMPUTE_PGM_RSRC2:TGID_Y_EN: 0
; COMPUTE_PGM_RSRC2:TGID_Z_EN: 0
; COMPUTE_PGM_RSRC2:TIDIG_COMP_CNT: 0
; COMPUTE_PGM_RSRC3_GFX90A:ACCUM_OFFSET: 0
; COMPUTE_PGM_RSRC3_GFX90A:TG_SPLIT: 0
	.section	.text._ZN7rocprim17ROCPRIM_400000_NS6detail17trampoline_kernelINS0_14default_configENS1_29reduce_by_key_config_selectorItjN6thrust23THRUST_200600_302600_NS4plusIjEEEEZZNS1_33reduce_by_key_impl_wrapped_configILNS1_25lookback_scan_determinismE0ES3_S9_NS6_6detail15normal_iteratorINS6_10device_ptrItEEEENSD_INSE_IjEEEESG_SI_PmS8_NS6_8equal_toItEEEE10hipError_tPvRmT2_T3_mT4_T5_T6_T7_T8_P12ihipStream_tbENKUlT_T0_E_clISt17integral_constantIbLb0EES12_IbLb1EEEEDaSY_SZ_EUlSY_E_NS1_11comp_targetILNS1_3genE10ELNS1_11target_archE1201ELNS1_3gpuE5ELNS1_3repE0EEENS1_30default_config_static_selectorELNS0_4arch9wavefront6targetE1EEEvT1_,"axG",@progbits,_ZN7rocprim17ROCPRIM_400000_NS6detail17trampoline_kernelINS0_14default_configENS1_29reduce_by_key_config_selectorItjN6thrust23THRUST_200600_302600_NS4plusIjEEEEZZNS1_33reduce_by_key_impl_wrapped_configILNS1_25lookback_scan_determinismE0ES3_S9_NS6_6detail15normal_iteratorINS6_10device_ptrItEEEENSD_INSE_IjEEEESG_SI_PmS8_NS6_8equal_toItEEEE10hipError_tPvRmT2_T3_mT4_T5_T6_T7_T8_P12ihipStream_tbENKUlT_T0_E_clISt17integral_constantIbLb0EES12_IbLb1EEEEDaSY_SZ_EUlSY_E_NS1_11comp_targetILNS1_3genE10ELNS1_11target_archE1201ELNS1_3gpuE5ELNS1_3repE0EEENS1_30default_config_static_selectorELNS0_4arch9wavefront6targetE1EEEvT1_,comdat
	.protected	_ZN7rocprim17ROCPRIM_400000_NS6detail17trampoline_kernelINS0_14default_configENS1_29reduce_by_key_config_selectorItjN6thrust23THRUST_200600_302600_NS4plusIjEEEEZZNS1_33reduce_by_key_impl_wrapped_configILNS1_25lookback_scan_determinismE0ES3_S9_NS6_6detail15normal_iteratorINS6_10device_ptrItEEEENSD_INSE_IjEEEESG_SI_PmS8_NS6_8equal_toItEEEE10hipError_tPvRmT2_T3_mT4_T5_T6_T7_T8_P12ihipStream_tbENKUlT_T0_E_clISt17integral_constantIbLb0EES12_IbLb1EEEEDaSY_SZ_EUlSY_E_NS1_11comp_targetILNS1_3genE10ELNS1_11target_archE1201ELNS1_3gpuE5ELNS1_3repE0EEENS1_30default_config_static_selectorELNS0_4arch9wavefront6targetE1EEEvT1_ ; -- Begin function _ZN7rocprim17ROCPRIM_400000_NS6detail17trampoline_kernelINS0_14default_configENS1_29reduce_by_key_config_selectorItjN6thrust23THRUST_200600_302600_NS4plusIjEEEEZZNS1_33reduce_by_key_impl_wrapped_configILNS1_25lookback_scan_determinismE0ES3_S9_NS6_6detail15normal_iteratorINS6_10device_ptrItEEEENSD_INSE_IjEEEESG_SI_PmS8_NS6_8equal_toItEEEE10hipError_tPvRmT2_T3_mT4_T5_T6_T7_T8_P12ihipStream_tbENKUlT_T0_E_clISt17integral_constantIbLb0EES12_IbLb1EEEEDaSY_SZ_EUlSY_E_NS1_11comp_targetILNS1_3genE10ELNS1_11target_archE1201ELNS1_3gpuE5ELNS1_3repE0EEENS1_30default_config_static_selectorELNS0_4arch9wavefront6targetE1EEEvT1_
	.globl	_ZN7rocprim17ROCPRIM_400000_NS6detail17trampoline_kernelINS0_14default_configENS1_29reduce_by_key_config_selectorItjN6thrust23THRUST_200600_302600_NS4plusIjEEEEZZNS1_33reduce_by_key_impl_wrapped_configILNS1_25lookback_scan_determinismE0ES3_S9_NS6_6detail15normal_iteratorINS6_10device_ptrItEEEENSD_INSE_IjEEEESG_SI_PmS8_NS6_8equal_toItEEEE10hipError_tPvRmT2_T3_mT4_T5_T6_T7_T8_P12ihipStream_tbENKUlT_T0_E_clISt17integral_constantIbLb0EES12_IbLb1EEEEDaSY_SZ_EUlSY_E_NS1_11comp_targetILNS1_3genE10ELNS1_11target_archE1201ELNS1_3gpuE5ELNS1_3repE0EEENS1_30default_config_static_selectorELNS0_4arch9wavefront6targetE1EEEvT1_
	.p2align	8
	.type	_ZN7rocprim17ROCPRIM_400000_NS6detail17trampoline_kernelINS0_14default_configENS1_29reduce_by_key_config_selectorItjN6thrust23THRUST_200600_302600_NS4plusIjEEEEZZNS1_33reduce_by_key_impl_wrapped_configILNS1_25lookback_scan_determinismE0ES3_S9_NS6_6detail15normal_iteratorINS6_10device_ptrItEEEENSD_INSE_IjEEEESG_SI_PmS8_NS6_8equal_toItEEEE10hipError_tPvRmT2_T3_mT4_T5_T6_T7_T8_P12ihipStream_tbENKUlT_T0_E_clISt17integral_constantIbLb0EES12_IbLb1EEEEDaSY_SZ_EUlSY_E_NS1_11comp_targetILNS1_3genE10ELNS1_11target_archE1201ELNS1_3gpuE5ELNS1_3repE0EEENS1_30default_config_static_selectorELNS0_4arch9wavefront6targetE1EEEvT1_,@function
_ZN7rocprim17ROCPRIM_400000_NS6detail17trampoline_kernelINS0_14default_configENS1_29reduce_by_key_config_selectorItjN6thrust23THRUST_200600_302600_NS4plusIjEEEEZZNS1_33reduce_by_key_impl_wrapped_configILNS1_25lookback_scan_determinismE0ES3_S9_NS6_6detail15normal_iteratorINS6_10device_ptrItEEEENSD_INSE_IjEEEESG_SI_PmS8_NS6_8equal_toItEEEE10hipError_tPvRmT2_T3_mT4_T5_T6_T7_T8_P12ihipStream_tbENKUlT_T0_E_clISt17integral_constantIbLb0EES12_IbLb1EEEEDaSY_SZ_EUlSY_E_NS1_11comp_targetILNS1_3genE10ELNS1_11target_archE1201ELNS1_3gpuE5ELNS1_3repE0EEENS1_30default_config_static_selectorELNS0_4arch9wavefront6targetE1EEEvT1_: ; @_ZN7rocprim17ROCPRIM_400000_NS6detail17trampoline_kernelINS0_14default_configENS1_29reduce_by_key_config_selectorItjN6thrust23THRUST_200600_302600_NS4plusIjEEEEZZNS1_33reduce_by_key_impl_wrapped_configILNS1_25lookback_scan_determinismE0ES3_S9_NS6_6detail15normal_iteratorINS6_10device_ptrItEEEENSD_INSE_IjEEEESG_SI_PmS8_NS6_8equal_toItEEEE10hipError_tPvRmT2_T3_mT4_T5_T6_T7_T8_P12ihipStream_tbENKUlT_T0_E_clISt17integral_constantIbLb0EES12_IbLb1EEEEDaSY_SZ_EUlSY_E_NS1_11comp_targetILNS1_3genE10ELNS1_11target_archE1201ELNS1_3gpuE5ELNS1_3repE0EEENS1_30default_config_static_selectorELNS0_4arch9wavefront6targetE1EEEvT1_
; %bb.0:
	.section	.rodata,"a",@progbits
	.p2align	6, 0x0
	.amdhsa_kernel _ZN7rocprim17ROCPRIM_400000_NS6detail17trampoline_kernelINS0_14default_configENS1_29reduce_by_key_config_selectorItjN6thrust23THRUST_200600_302600_NS4plusIjEEEEZZNS1_33reduce_by_key_impl_wrapped_configILNS1_25lookback_scan_determinismE0ES3_S9_NS6_6detail15normal_iteratorINS6_10device_ptrItEEEENSD_INSE_IjEEEESG_SI_PmS8_NS6_8equal_toItEEEE10hipError_tPvRmT2_T3_mT4_T5_T6_T7_T8_P12ihipStream_tbENKUlT_T0_E_clISt17integral_constantIbLb0EES12_IbLb1EEEEDaSY_SZ_EUlSY_E_NS1_11comp_targetILNS1_3genE10ELNS1_11target_archE1201ELNS1_3gpuE5ELNS1_3repE0EEENS1_30default_config_static_selectorELNS0_4arch9wavefront6targetE1EEEvT1_
		.amdhsa_group_segment_fixed_size 0
		.amdhsa_private_segment_fixed_size 0
		.amdhsa_kernarg_size 120
		.amdhsa_user_sgpr_count 6
		.amdhsa_user_sgpr_private_segment_buffer 1
		.amdhsa_user_sgpr_dispatch_ptr 0
		.amdhsa_user_sgpr_queue_ptr 0
		.amdhsa_user_sgpr_kernarg_segment_ptr 1
		.amdhsa_user_sgpr_dispatch_id 0
		.amdhsa_user_sgpr_flat_scratch_init 0
		.amdhsa_user_sgpr_kernarg_preload_length 0
		.amdhsa_user_sgpr_kernarg_preload_offset 0
		.amdhsa_user_sgpr_private_segment_size 0
		.amdhsa_uses_dynamic_stack 0
		.amdhsa_system_sgpr_private_segment_wavefront_offset 0
		.amdhsa_system_sgpr_workgroup_id_x 1
		.amdhsa_system_sgpr_workgroup_id_y 0
		.amdhsa_system_sgpr_workgroup_id_z 0
		.amdhsa_system_sgpr_workgroup_info 0
		.amdhsa_system_vgpr_workitem_id 0
		.amdhsa_next_free_vgpr 1
		.amdhsa_next_free_sgpr 0
		.amdhsa_accum_offset 4
		.amdhsa_reserve_vcc 0
		.amdhsa_reserve_flat_scratch 0
		.amdhsa_float_round_mode_32 0
		.amdhsa_float_round_mode_16_64 0
		.amdhsa_float_denorm_mode_32 3
		.amdhsa_float_denorm_mode_16_64 3
		.amdhsa_dx10_clamp 1
		.amdhsa_ieee_mode 1
		.amdhsa_fp16_overflow 0
		.amdhsa_tg_split 0
		.amdhsa_exception_fp_ieee_invalid_op 0
		.amdhsa_exception_fp_denorm_src 0
		.amdhsa_exception_fp_ieee_div_zero 0
		.amdhsa_exception_fp_ieee_overflow 0
		.amdhsa_exception_fp_ieee_underflow 0
		.amdhsa_exception_fp_ieee_inexact 0
		.amdhsa_exception_int_div_zero 0
	.end_amdhsa_kernel
	.section	.text._ZN7rocprim17ROCPRIM_400000_NS6detail17trampoline_kernelINS0_14default_configENS1_29reduce_by_key_config_selectorItjN6thrust23THRUST_200600_302600_NS4plusIjEEEEZZNS1_33reduce_by_key_impl_wrapped_configILNS1_25lookback_scan_determinismE0ES3_S9_NS6_6detail15normal_iteratorINS6_10device_ptrItEEEENSD_INSE_IjEEEESG_SI_PmS8_NS6_8equal_toItEEEE10hipError_tPvRmT2_T3_mT4_T5_T6_T7_T8_P12ihipStream_tbENKUlT_T0_E_clISt17integral_constantIbLb0EES12_IbLb1EEEEDaSY_SZ_EUlSY_E_NS1_11comp_targetILNS1_3genE10ELNS1_11target_archE1201ELNS1_3gpuE5ELNS1_3repE0EEENS1_30default_config_static_selectorELNS0_4arch9wavefront6targetE1EEEvT1_,"axG",@progbits,_ZN7rocprim17ROCPRIM_400000_NS6detail17trampoline_kernelINS0_14default_configENS1_29reduce_by_key_config_selectorItjN6thrust23THRUST_200600_302600_NS4plusIjEEEEZZNS1_33reduce_by_key_impl_wrapped_configILNS1_25lookback_scan_determinismE0ES3_S9_NS6_6detail15normal_iteratorINS6_10device_ptrItEEEENSD_INSE_IjEEEESG_SI_PmS8_NS6_8equal_toItEEEE10hipError_tPvRmT2_T3_mT4_T5_T6_T7_T8_P12ihipStream_tbENKUlT_T0_E_clISt17integral_constantIbLb0EES12_IbLb1EEEEDaSY_SZ_EUlSY_E_NS1_11comp_targetILNS1_3genE10ELNS1_11target_archE1201ELNS1_3gpuE5ELNS1_3repE0EEENS1_30default_config_static_selectorELNS0_4arch9wavefront6targetE1EEEvT1_,comdat
.Lfunc_end765:
	.size	_ZN7rocprim17ROCPRIM_400000_NS6detail17trampoline_kernelINS0_14default_configENS1_29reduce_by_key_config_selectorItjN6thrust23THRUST_200600_302600_NS4plusIjEEEEZZNS1_33reduce_by_key_impl_wrapped_configILNS1_25lookback_scan_determinismE0ES3_S9_NS6_6detail15normal_iteratorINS6_10device_ptrItEEEENSD_INSE_IjEEEESG_SI_PmS8_NS6_8equal_toItEEEE10hipError_tPvRmT2_T3_mT4_T5_T6_T7_T8_P12ihipStream_tbENKUlT_T0_E_clISt17integral_constantIbLb0EES12_IbLb1EEEEDaSY_SZ_EUlSY_E_NS1_11comp_targetILNS1_3genE10ELNS1_11target_archE1201ELNS1_3gpuE5ELNS1_3repE0EEENS1_30default_config_static_selectorELNS0_4arch9wavefront6targetE1EEEvT1_, .Lfunc_end765-_ZN7rocprim17ROCPRIM_400000_NS6detail17trampoline_kernelINS0_14default_configENS1_29reduce_by_key_config_selectorItjN6thrust23THRUST_200600_302600_NS4plusIjEEEEZZNS1_33reduce_by_key_impl_wrapped_configILNS1_25lookback_scan_determinismE0ES3_S9_NS6_6detail15normal_iteratorINS6_10device_ptrItEEEENSD_INSE_IjEEEESG_SI_PmS8_NS6_8equal_toItEEEE10hipError_tPvRmT2_T3_mT4_T5_T6_T7_T8_P12ihipStream_tbENKUlT_T0_E_clISt17integral_constantIbLb0EES12_IbLb1EEEEDaSY_SZ_EUlSY_E_NS1_11comp_targetILNS1_3genE10ELNS1_11target_archE1201ELNS1_3gpuE5ELNS1_3repE0EEENS1_30default_config_static_selectorELNS0_4arch9wavefront6targetE1EEEvT1_
                                        ; -- End function
	.section	.AMDGPU.csdata,"",@progbits
; Kernel info:
; codeLenInByte = 0
; NumSgprs: 4
; NumVgprs: 0
; NumAgprs: 0
; TotalNumVgprs: 0
; ScratchSize: 0
; MemoryBound: 0
; FloatMode: 240
; IeeeMode: 1
; LDSByteSize: 0 bytes/workgroup (compile time only)
; SGPRBlocks: 0
; VGPRBlocks: 0
; NumSGPRsForWavesPerEU: 4
; NumVGPRsForWavesPerEU: 1
; AccumOffset: 4
; Occupancy: 8
; WaveLimiterHint : 0
; COMPUTE_PGM_RSRC2:SCRATCH_EN: 0
; COMPUTE_PGM_RSRC2:USER_SGPR: 6
; COMPUTE_PGM_RSRC2:TRAP_HANDLER: 0
; COMPUTE_PGM_RSRC2:TGID_X_EN: 1
; COMPUTE_PGM_RSRC2:TGID_Y_EN: 0
; COMPUTE_PGM_RSRC2:TGID_Z_EN: 0
; COMPUTE_PGM_RSRC2:TIDIG_COMP_CNT: 0
; COMPUTE_PGM_RSRC3_GFX90A:ACCUM_OFFSET: 0
; COMPUTE_PGM_RSRC3_GFX90A:TG_SPLIT: 0
	.section	.text._ZN7rocprim17ROCPRIM_400000_NS6detail17trampoline_kernelINS0_14default_configENS1_29reduce_by_key_config_selectorItjN6thrust23THRUST_200600_302600_NS4plusIjEEEEZZNS1_33reduce_by_key_impl_wrapped_configILNS1_25lookback_scan_determinismE0ES3_S9_NS6_6detail15normal_iteratorINS6_10device_ptrItEEEENSD_INSE_IjEEEESG_SI_PmS8_NS6_8equal_toItEEEE10hipError_tPvRmT2_T3_mT4_T5_T6_T7_T8_P12ihipStream_tbENKUlT_T0_E_clISt17integral_constantIbLb0EES12_IbLb1EEEEDaSY_SZ_EUlSY_E_NS1_11comp_targetILNS1_3genE10ELNS1_11target_archE1200ELNS1_3gpuE4ELNS1_3repE0EEENS1_30default_config_static_selectorELNS0_4arch9wavefront6targetE1EEEvT1_,"axG",@progbits,_ZN7rocprim17ROCPRIM_400000_NS6detail17trampoline_kernelINS0_14default_configENS1_29reduce_by_key_config_selectorItjN6thrust23THRUST_200600_302600_NS4plusIjEEEEZZNS1_33reduce_by_key_impl_wrapped_configILNS1_25lookback_scan_determinismE0ES3_S9_NS6_6detail15normal_iteratorINS6_10device_ptrItEEEENSD_INSE_IjEEEESG_SI_PmS8_NS6_8equal_toItEEEE10hipError_tPvRmT2_T3_mT4_T5_T6_T7_T8_P12ihipStream_tbENKUlT_T0_E_clISt17integral_constantIbLb0EES12_IbLb1EEEEDaSY_SZ_EUlSY_E_NS1_11comp_targetILNS1_3genE10ELNS1_11target_archE1200ELNS1_3gpuE4ELNS1_3repE0EEENS1_30default_config_static_selectorELNS0_4arch9wavefront6targetE1EEEvT1_,comdat
	.protected	_ZN7rocprim17ROCPRIM_400000_NS6detail17trampoline_kernelINS0_14default_configENS1_29reduce_by_key_config_selectorItjN6thrust23THRUST_200600_302600_NS4plusIjEEEEZZNS1_33reduce_by_key_impl_wrapped_configILNS1_25lookback_scan_determinismE0ES3_S9_NS6_6detail15normal_iteratorINS6_10device_ptrItEEEENSD_INSE_IjEEEESG_SI_PmS8_NS6_8equal_toItEEEE10hipError_tPvRmT2_T3_mT4_T5_T6_T7_T8_P12ihipStream_tbENKUlT_T0_E_clISt17integral_constantIbLb0EES12_IbLb1EEEEDaSY_SZ_EUlSY_E_NS1_11comp_targetILNS1_3genE10ELNS1_11target_archE1200ELNS1_3gpuE4ELNS1_3repE0EEENS1_30default_config_static_selectorELNS0_4arch9wavefront6targetE1EEEvT1_ ; -- Begin function _ZN7rocprim17ROCPRIM_400000_NS6detail17trampoline_kernelINS0_14default_configENS1_29reduce_by_key_config_selectorItjN6thrust23THRUST_200600_302600_NS4plusIjEEEEZZNS1_33reduce_by_key_impl_wrapped_configILNS1_25lookback_scan_determinismE0ES3_S9_NS6_6detail15normal_iteratorINS6_10device_ptrItEEEENSD_INSE_IjEEEESG_SI_PmS8_NS6_8equal_toItEEEE10hipError_tPvRmT2_T3_mT4_T5_T6_T7_T8_P12ihipStream_tbENKUlT_T0_E_clISt17integral_constantIbLb0EES12_IbLb1EEEEDaSY_SZ_EUlSY_E_NS1_11comp_targetILNS1_3genE10ELNS1_11target_archE1200ELNS1_3gpuE4ELNS1_3repE0EEENS1_30default_config_static_selectorELNS0_4arch9wavefront6targetE1EEEvT1_
	.globl	_ZN7rocprim17ROCPRIM_400000_NS6detail17trampoline_kernelINS0_14default_configENS1_29reduce_by_key_config_selectorItjN6thrust23THRUST_200600_302600_NS4plusIjEEEEZZNS1_33reduce_by_key_impl_wrapped_configILNS1_25lookback_scan_determinismE0ES3_S9_NS6_6detail15normal_iteratorINS6_10device_ptrItEEEENSD_INSE_IjEEEESG_SI_PmS8_NS6_8equal_toItEEEE10hipError_tPvRmT2_T3_mT4_T5_T6_T7_T8_P12ihipStream_tbENKUlT_T0_E_clISt17integral_constantIbLb0EES12_IbLb1EEEEDaSY_SZ_EUlSY_E_NS1_11comp_targetILNS1_3genE10ELNS1_11target_archE1200ELNS1_3gpuE4ELNS1_3repE0EEENS1_30default_config_static_selectorELNS0_4arch9wavefront6targetE1EEEvT1_
	.p2align	8
	.type	_ZN7rocprim17ROCPRIM_400000_NS6detail17trampoline_kernelINS0_14default_configENS1_29reduce_by_key_config_selectorItjN6thrust23THRUST_200600_302600_NS4plusIjEEEEZZNS1_33reduce_by_key_impl_wrapped_configILNS1_25lookback_scan_determinismE0ES3_S9_NS6_6detail15normal_iteratorINS6_10device_ptrItEEEENSD_INSE_IjEEEESG_SI_PmS8_NS6_8equal_toItEEEE10hipError_tPvRmT2_T3_mT4_T5_T6_T7_T8_P12ihipStream_tbENKUlT_T0_E_clISt17integral_constantIbLb0EES12_IbLb1EEEEDaSY_SZ_EUlSY_E_NS1_11comp_targetILNS1_3genE10ELNS1_11target_archE1200ELNS1_3gpuE4ELNS1_3repE0EEENS1_30default_config_static_selectorELNS0_4arch9wavefront6targetE1EEEvT1_,@function
_ZN7rocprim17ROCPRIM_400000_NS6detail17trampoline_kernelINS0_14default_configENS1_29reduce_by_key_config_selectorItjN6thrust23THRUST_200600_302600_NS4plusIjEEEEZZNS1_33reduce_by_key_impl_wrapped_configILNS1_25lookback_scan_determinismE0ES3_S9_NS6_6detail15normal_iteratorINS6_10device_ptrItEEEENSD_INSE_IjEEEESG_SI_PmS8_NS6_8equal_toItEEEE10hipError_tPvRmT2_T3_mT4_T5_T6_T7_T8_P12ihipStream_tbENKUlT_T0_E_clISt17integral_constantIbLb0EES12_IbLb1EEEEDaSY_SZ_EUlSY_E_NS1_11comp_targetILNS1_3genE10ELNS1_11target_archE1200ELNS1_3gpuE4ELNS1_3repE0EEENS1_30default_config_static_selectorELNS0_4arch9wavefront6targetE1EEEvT1_: ; @_ZN7rocprim17ROCPRIM_400000_NS6detail17trampoline_kernelINS0_14default_configENS1_29reduce_by_key_config_selectorItjN6thrust23THRUST_200600_302600_NS4plusIjEEEEZZNS1_33reduce_by_key_impl_wrapped_configILNS1_25lookback_scan_determinismE0ES3_S9_NS6_6detail15normal_iteratorINS6_10device_ptrItEEEENSD_INSE_IjEEEESG_SI_PmS8_NS6_8equal_toItEEEE10hipError_tPvRmT2_T3_mT4_T5_T6_T7_T8_P12ihipStream_tbENKUlT_T0_E_clISt17integral_constantIbLb0EES12_IbLb1EEEEDaSY_SZ_EUlSY_E_NS1_11comp_targetILNS1_3genE10ELNS1_11target_archE1200ELNS1_3gpuE4ELNS1_3repE0EEENS1_30default_config_static_selectorELNS0_4arch9wavefront6targetE1EEEvT1_
; %bb.0:
	.section	.rodata,"a",@progbits
	.p2align	6, 0x0
	.amdhsa_kernel _ZN7rocprim17ROCPRIM_400000_NS6detail17trampoline_kernelINS0_14default_configENS1_29reduce_by_key_config_selectorItjN6thrust23THRUST_200600_302600_NS4plusIjEEEEZZNS1_33reduce_by_key_impl_wrapped_configILNS1_25lookback_scan_determinismE0ES3_S9_NS6_6detail15normal_iteratorINS6_10device_ptrItEEEENSD_INSE_IjEEEESG_SI_PmS8_NS6_8equal_toItEEEE10hipError_tPvRmT2_T3_mT4_T5_T6_T7_T8_P12ihipStream_tbENKUlT_T0_E_clISt17integral_constantIbLb0EES12_IbLb1EEEEDaSY_SZ_EUlSY_E_NS1_11comp_targetILNS1_3genE10ELNS1_11target_archE1200ELNS1_3gpuE4ELNS1_3repE0EEENS1_30default_config_static_selectorELNS0_4arch9wavefront6targetE1EEEvT1_
		.amdhsa_group_segment_fixed_size 0
		.amdhsa_private_segment_fixed_size 0
		.amdhsa_kernarg_size 120
		.amdhsa_user_sgpr_count 6
		.amdhsa_user_sgpr_private_segment_buffer 1
		.amdhsa_user_sgpr_dispatch_ptr 0
		.amdhsa_user_sgpr_queue_ptr 0
		.amdhsa_user_sgpr_kernarg_segment_ptr 1
		.amdhsa_user_sgpr_dispatch_id 0
		.amdhsa_user_sgpr_flat_scratch_init 0
		.amdhsa_user_sgpr_kernarg_preload_length 0
		.amdhsa_user_sgpr_kernarg_preload_offset 0
		.amdhsa_user_sgpr_private_segment_size 0
		.amdhsa_uses_dynamic_stack 0
		.amdhsa_system_sgpr_private_segment_wavefront_offset 0
		.amdhsa_system_sgpr_workgroup_id_x 1
		.amdhsa_system_sgpr_workgroup_id_y 0
		.amdhsa_system_sgpr_workgroup_id_z 0
		.amdhsa_system_sgpr_workgroup_info 0
		.amdhsa_system_vgpr_workitem_id 0
		.amdhsa_next_free_vgpr 1
		.amdhsa_next_free_sgpr 0
		.amdhsa_accum_offset 4
		.amdhsa_reserve_vcc 0
		.amdhsa_reserve_flat_scratch 0
		.amdhsa_float_round_mode_32 0
		.amdhsa_float_round_mode_16_64 0
		.amdhsa_float_denorm_mode_32 3
		.amdhsa_float_denorm_mode_16_64 3
		.amdhsa_dx10_clamp 1
		.amdhsa_ieee_mode 1
		.amdhsa_fp16_overflow 0
		.amdhsa_tg_split 0
		.amdhsa_exception_fp_ieee_invalid_op 0
		.amdhsa_exception_fp_denorm_src 0
		.amdhsa_exception_fp_ieee_div_zero 0
		.amdhsa_exception_fp_ieee_overflow 0
		.amdhsa_exception_fp_ieee_underflow 0
		.amdhsa_exception_fp_ieee_inexact 0
		.amdhsa_exception_int_div_zero 0
	.end_amdhsa_kernel
	.section	.text._ZN7rocprim17ROCPRIM_400000_NS6detail17trampoline_kernelINS0_14default_configENS1_29reduce_by_key_config_selectorItjN6thrust23THRUST_200600_302600_NS4plusIjEEEEZZNS1_33reduce_by_key_impl_wrapped_configILNS1_25lookback_scan_determinismE0ES3_S9_NS6_6detail15normal_iteratorINS6_10device_ptrItEEEENSD_INSE_IjEEEESG_SI_PmS8_NS6_8equal_toItEEEE10hipError_tPvRmT2_T3_mT4_T5_T6_T7_T8_P12ihipStream_tbENKUlT_T0_E_clISt17integral_constantIbLb0EES12_IbLb1EEEEDaSY_SZ_EUlSY_E_NS1_11comp_targetILNS1_3genE10ELNS1_11target_archE1200ELNS1_3gpuE4ELNS1_3repE0EEENS1_30default_config_static_selectorELNS0_4arch9wavefront6targetE1EEEvT1_,"axG",@progbits,_ZN7rocprim17ROCPRIM_400000_NS6detail17trampoline_kernelINS0_14default_configENS1_29reduce_by_key_config_selectorItjN6thrust23THRUST_200600_302600_NS4plusIjEEEEZZNS1_33reduce_by_key_impl_wrapped_configILNS1_25lookback_scan_determinismE0ES3_S9_NS6_6detail15normal_iteratorINS6_10device_ptrItEEEENSD_INSE_IjEEEESG_SI_PmS8_NS6_8equal_toItEEEE10hipError_tPvRmT2_T3_mT4_T5_T6_T7_T8_P12ihipStream_tbENKUlT_T0_E_clISt17integral_constantIbLb0EES12_IbLb1EEEEDaSY_SZ_EUlSY_E_NS1_11comp_targetILNS1_3genE10ELNS1_11target_archE1200ELNS1_3gpuE4ELNS1_3repE0EEENS1_30default_config_static_selectorELNS0_4arch9wavefront6targetE1EEEvT1_,comdat
.Lfunc_end766:
	.size	_ZN7rocprim17ROCPRIM_400000_NS6detail17trampoline_kernelINS0_14default_configENS1_29reduce_by_key_config_selectorItjN6thrust23THRUST_200600_302600_NS4plusIjEEEEZZNS1_33reduce_by_key_impl_wrapped_configILNS1_25lookback_scan_determinismE0ES3_S9_NS6_6detail15normal_iteratorINS6_10device_ptrItEEEENSD_INSE_IjEEEESG_SI_PmS8_NS6_8equal_toItEEEE10hipError_tPvRmT2_T3_mT4_T5_T6_T7_T8_P12ihipStream_tbENKUlT_T0_E_clISt17integral_constantIbLb0EES12_IbLb1EEEEDaSY_SZ_EUlSY_E_NS1_11comp_targetILNS1_3genE10ELNS1_11target_archE1200ELNS1_3gpuE4ELNS1_3repE0EEENS1_30default_config_static_selectorELNS0_4arch9wavefront6targetE1EEEvT1_, .Lfunc_end766-_ZN7rocprim17ROCPRIM_400000_NS6detail17trampoline_kernelINS0_14default_configENS1_29reduce_by_key_config_selectorItjN6thrust23THRUST_200600_302600_NS4plusIjEEEEZZNS1_33reduce_by_key_impl_wrapped_configILNS1_25lookback_scan_determinismE0ES3_S9_NS6_6detail15normal_iteratorINS6_10device_ptrItEEEENSD_INSE_IjEEEESG_SI_PmS8_NS6_8equal_toItEEEE10hipError_tPvRmT2_T3_mT4_T5_T6_T7_T8_P12ihipStream_tbENKUlT_T0_E_clISt17integral_constantIbLb0EES12_IbLb1EEEEDaSY_SZ_EUlSY_E_NS1_11comp_targetILNS1_3genE10ELNS1_11target_archE1200ELNS1_3gpuE4ELNS1_3repE0EEENS1_30default_config_static_selectorELNS0_4arch9wavefront6targetE1EEEvT1_
                                        ; -- End function
	.section	.AMDGPU.csdata,"",@progbits
; Kernel info:
; codeLenInByte = 0
; NumSgprs: 4
; NumVgprs: 0
; NumAgprs: 0
; TotalNumVgprs: 0
; ScratchSize: 0
; MemoryBound: 0
; FloatMode: 240
; IeeeMode: 1
; LDSByteSize: 0 bytes/workgroup (compile time only)
; SGPRBlocks: 0
; VGPRBlocks: 0
; NumSGPRsForWavesPerEU: 4
; NumVGPRsForWavesPerEU: 1
; AccumOffset: 4
; Occupancy: 8
; WaveLimiterHint : 0
; COMPUTE_PGM_RSRC2:SCRATCH_EN: 0
; COMPUTE_PGM_RSRC2:USER_SGPR: 6
; COMPUTE_PGM_RSRC2:TRAP_HANDLER: 0
; COMPUTE_PGM_RSRC2:TGID_X_EN: 1
; COMPUTE_PGM_RSRC2:TGID_Y_EN: 0
; COMPUTE_PGM_RSRC2:TGID_Z_EN: 0
; COMPUTE_PGM_RSRC2:TIDIG_COMP_CNT: 0
; COMPUTE_PGM_RSRC3_GFX90A:ACCUM_OFFSET: 0
; COMPUTE_PGM_RSRC3_GFX90A:TG_SPLIT: 0
	.section	.text._ZN7rocprim17ROCPRIM_400000_NS6detail17trampoline_kernelINS0_14default_configENS1_29reduce_by_key_config_selectorItjN6thrust23THRUST_200600_302600_NS4plusIjEEEEZZNS1_33reduce_by_key_impl_wrapped_configILNS1_25lookback_scan_determinismE0ES3_S9_NS6_6detail15normal_iteratorINS6_10device_ptrItEEEENSD_INSE_IjEEEESG_SI_PmS8_NS6_8equal_toItEEEE10hipError_tPvRmT2_T3_mT4_T5_T6_T7_T8_P12ihipStream_tbENKUlT_T0_E_clISt17integral_constantIbLb0EES12_IbLb1EEEEDaSY_SZ_EUlSY_E_NS1_11comp_targetILNS1_3genE9ELNS1_11target_archE1100ELNS1_3gpuE3ELNS1_3repE0EEENS1_30default_config_static_selectorELNS0_4arch9wavefront6targetE1EEEvT1_,"axG",@progbits,_ZN7rocprim17ROCPRIM_400000_NS6detail17trampoline_kernelINS0_14default_configENS1_29reduce_by_key_config_selectorItjN6thrust23THRUST_200600_302600_NS4plusIjEEEEZZNS1_33reduce_by_key_impl_wrapped_configILNS1_25lookback_scan_determinismE0ES3_S9_NS6_6detail15normal_iteratorINS6_10device_ptrItEEEENSD_INSE_IjEEEESG_SI_PmS8_NS6_8equal_toItEEEE10hipError_tPvRmT2_T3_mT4_T5_T6_T7_T8_P12ihipStream_tbENKUlT_T0_E_clISt17integral_constantIbLb0EES12_IbLb1EEEEDaSY_SZ_EUlSY_E_NS1_11comp_targetILNS1_3genE9ELNS1_11target_archE1100ELNS1_3gpuE3ELNS1_3repE0EEENS1_30default_config_static_selectorELNS0_4arch9wavefront6targetE1EEEvT1_,comdat
	.protected	_ZN7rocprim17ROCPRIM_400000_NS6detail17trampoline_kernelINS0_14default_configENS1_29reduce_by_key_config_selectorItjN6thrust23THRUST_200600_302600_NS4plusIjEEEEZZNS1_33reduce_by_key_impl_wrapped_configILNS1_25lookback_scan_determinismE0ES3_S9_NS6_6detail15normal_iteratorINS6_10device_ptrItEEEENSD_INSE_IjEEEESG_SI_PmS8_NS6_8equal_toItEEEE10hipError_tPvRmT2_T3_mT4_T5_T6_T7_T8_P12ihipStream_tbENKUlT_T0_E_clISt17integral_constantIbLb0EES12_IbLb1EEEEDaSY_SZ_EUlSY_E_NS1_11comp_targetILNS1_3genE9ELNS1_11target_archE1100ELNS1_3gpuE3ELNS1_3repE0EEENS1_30default_config_static_selectorELNS0_4arch9wavefront6targetE1EEEvT1_ ; -- Begin function _ZN7rocprim17ROCPRIM_400000_NS6detail17trampoline_kernelINS0_14default_configENS1_29reduce_by_key_config_selectorItjN6thrust23THRUST_200600_302600_NS4plusIjEEEEZZNS1_33reduce_by_key_impl_wrapped_configILNS1_25lookback_scan_determinismE0ES3_S9_NS6_6detail15normal_iteratorINS6_10device_ptrItEEEENSD_INSE_IjEEEESG_SI_PmS8_NS6_8equal_toItEEEE10hipError_tPvRmT2_T3_mT4_T5_T6_T7_T8_P12ihipStream_tbENKUlT_T0_E_clISt17integral_constantIbLb0EES12_IbLb1EEEEDaSY_SZ_EUlSY_E_NS1_11comp_targetILNS1_3genE9ELNS1_11target_archE1100ELNS1_3gpuE3ELNS1_3repE0EEENS1_30default_config_static_selectorELNS0_4arch9wavefront6targetE1EEEvT1_
	.globl	_ZN7rocprim17ROCPRIM_400000_NS6detail17trampoline_kernelINS0_14default_configENS1_29reduce_by_key_config_selectorItjN6thrust23THRUST_200600_302600_NS4plusIjEEEEZZNS1_33reduce_by_key_impl_wrapped_configILNS1_25lookback_scan_determinismE0ES3_S9_NS6_6detail15normal_iteratorINS6_10device_ptrItEEEENSD_INSE_IjEEEESG_SI_PmS8_NS6_8equal_toItEEEE10hipError_tPvRmT2_T3_mT4_T5_T6_T7_T8_P12ihipStream_tbENKUlT_T0_E_clISt17integral_constantIbLb0EES12_IbLb1EEEEDaSY_SZ_EUlSY_E_NS1_11comp_targetILNS1_3genE9ELNS1_11target_archE1100ELNS1_3gpuE3ELNS1_3repE0EEENS1_30default_config_static_selectorELNS0_4arch9wavefront6targetE1EEEvT1_
	.p2align	8
	.type	_ZN7rocprim17ROCPRIM_400000_NS6detail17trampoline_kernelINS0_14default_configENS1_29reduce_by_key_config_selectorItjN6thrust23THRUST_200600_302600_NS4plusIjEEEEZZNS1_33reduce_by_key_impl_wrapped_configILNS1_25lookback_scan_determinismE0ES3_S9_NS6_6detail15normal_iteratorINS6_10device_ptrItEEEENSD_INSE_IjEEEESG_SI_PmS8_NS6_8equal_toItEEEE10hipError_tPvRmT2_T3_mT4_T5_T6_T7_T8_P12ihipStream_tbENKUlT_T0_E_clISt17integral_constantIbLb0EES12_IbLb1EEEEDaSY_SZ_EUlSY_E_NS1_11comp_targetILNS1_3genE9ELNS1_11target_archE1100ELNS1_3gpuE3ELNS1_3repE0EEENS1_30default_config_static_selectorELNS0_4arch9wavefront6targetE1EEEvT1_,@function
_ZN7rocprim17ROCPRIM_400000_NS6detail17trampoline_kernelINS0_14default_configENS1_29reduce_by_key_config_selectorItjN6thrust23THRUST_200600_302600_NS4plusIjEEEEZZNS1_33reduce_by_key_impl_wrapped_configILNS1_25lookback_scan_determinismE0ES3_S9_NS6_6detail15normal_iteratorINS6_10device_ptrItEEEENSD_INSE_IjEEEESG_SI_PmS8_NS6_8equal_toItEEEE10hipError_tPvRmT2_T3_mT4_T5_T6_T7_T8_P12ihipStream_tbENKUlT_T0_E_clISt17integral_constantIbLb0EES12_IbLb1EEEEDaSY_SZ_EUlSY_E_NS1_11comp_targetILNS1_3genE9ELNS1_11target_archE1100ELNS1_3gpuE3ELNS1_3repE0EEENS1_30default_config_static_selectorELNS0_4arch9wavefront6targetE1EEEvT1_: ; @_ZN7rocprim17ROCPRIM_400000_NS6detail17trampoline_kernelINS0_14default_configENS1_29reduce_by_key_config_selectorItjN6thrust23THRUST_200600_302600_NS4plusIjEEEEZZNS1_33reduce_by_key_impl_wrapped_configILNS1_25lookback_scan_determinismE0ES3_S9_NS6_6detail15normal_iteratorINS6_10device_ptrItEEEENSD_INSE_IjEEEESG_SI_PmS8_NS6_8equal_toItEEEE10hipError_tPvRmT2_T3_mT4_T5_T6_T7_T8_P12ihipStream_tbENKUlT_T0_E_clISt17integral_constantIbLb0EES12_IbLb1EEEEDaSY_SZ_EUlSY_E_NS1_11comp_targetILNS1_3genE9ELNS1_11target_archE1100ELNS1_3gpuE3ELNS1_3repE0EEENS1_30default_config_static_selectorELNS0_4arch9wavefront6targetE1EEEvT1_
; %bb.0:
	.section	.rodata,"a",@progbits
	.p2align	6, 0x0
	.amdhsa_kernel _ZN7rocprim17ROCPRIM_400000_NS6detail17trampoline_kernelINS0_14default_configENS1_29reduce_by_key_config_selectorItjN6thrust23THRUST_200600_302600_NS4plusIjEEEEZZNS1_33reduce_by_key_impl_wrapped_configILNS1_25lookback_scan_determinismE0ES3_S9_NS6_6detail15normal_iteratorINS6_10device_ptrItEEEENSD_INSE_IjEEEESG_SI_PmS8_NS6_8equal_toItEEEE10hipError_tPvRmT2_T3_mT4_T5_T6_T7_T8_P12ihipStream_tbENKUlT_T0_E_clISt17integral_constantIbLb0EES12_IbLb1EEEEDaSY_SZ_EUlSY_E_NS1_11comp_targetILNS1_3genE9ELNS1_11target_archE1100ELNS1_3gpuE3ELNS1_3repE0EEENS1_30default_config_static_selectorELNS0_4arch9wavefront6targetE1EEEvT1_
		.amdhsa_group_segment_fixed_size 0
		.amdhsa_private_segment_fixed_size 0
		.amdhsa_kernarg_size 120
		.amdhsa_user_sgpr_count 6
		.amdhsa_user_sgpr_private_segment_buffer 1
		.amdhsa_user_sgpr_dispatch_ptr 0
		.amdhsa_user_sgpr_queue_ptr 0
		.amdhsa_user_sgpr_kernarg_segment_ptr 1
		.amdhsa_user_sgpr_dispatch_id 0
		.amdhsa_user_sgpr_flat_scratch_init 0
		.amdhsa_user_sgpr_kernarg_preload_length 0
		.amdhsa_user_sgpr_kernarg_preload_offset 0
		.amdhsa_user_sgpr_private_segment_size 0
		.amdhsa_uses_dynamic_stack 0
		.amdhsa_system_sgpr_private_segment_wavefront_offset 0
		.amdhsa_system_sgpr_workgroup_id_x 1
		.amdhsa_system_sgpr_workgroup_id_y 0
		.amdhsa_system_sgpr_workgroup_id_z 0
		.amdhsa_system_sgpr_workgroup_info 0
		.amdhsa_system_vgpr_workitem_id 0
		.amdhsa_next_free_vgpr 1
		.amdhsa_next_free_sgpr 0
		.amdhsa_accum_offset 4
		.amdhsa_reserve_vcc 0
		.amdhsa_reserve_flat_scratch 0
		.amdhsa_float_round_mode_32 0
		.amdhsa_float_round_mode_16_64 0
		.amdhsa_float_denorm_mode_32 3
		.amdhsa_float_denorm_mode_16_64 3
		.amdhsa_dx10_clamp 1
		.amdhsa_ieee_mode 1
		.amdhsa_fp16_overflow 0
		.amdhsa_tg_split 0
		.amdhsa_exception_fp_ieee_invalid_op 0
		.amdhsa_exception_fp_denorm_src 0
		.amdhsa_exception_fp_ieee_div_zero 0
		.amdhsa_exception_fp_ieee_overflow 0
		.amdhsa_exception_fp_ieee_underflow 0
		.amdhsa_exception_fp_ieee_inexact 0
		.amdhsa_exception_int_div_zero 0
	.end_amdhsa_kernel
	.section	.text._ZN7rocprim17ROCPRIM_400000_NS6detail17trampoline_kernelINS0_14default_configENS1_29reduce_by_key_config_selectorItjN6thrust23THRUST_200600_302600_NS4plusIjEEEEZZNS1_33reduce_by_key_impl_wrapped_configILNS1_25lookback_scan_determinismE0ES3_S9_NS6_6detail15normal_iteratorINS6_10device_ptrItEEEENSD_INSE_IjEEEESG_SI_PmS8_NS6_8equal_toItEEEE10hipError_tPvRmT2_T3_mT4_T5_T6_T7_T8_P12ihipStream_tbENKUlT_T0_E_clISt17integral_constantIbLb0EES12_IbLb1EEEEDaSY_SZ_EUlSY_E_NS1_11comp_targetILNS1_3genE9ELNS1_11target_archE1100ELNS1_3gpuE3ELNS1_3repE0EEENS1_30default_config_static_selectorELNS0_4arch9wavefront6targetE1EEEvT1_,"axG",@progbits,_ZN7rocprim17ROCPRIM_400000_NS6detail17trampoline_kernelINS0_14default_configENS1_29reduce_by_key_config_selectorItjN6thrust23THRUST_200600_302600_NS4plusIjEEEEZZNS1_33reduce_by_key_impl_wrapped_configILNS1_25lookback_scan_determinismE0ES3_S9_NS6_6detail15normal_iteratorINS6_10device_ptrItEEEENSD_INSE_IjEEEESG_SI_PmS8_NS6_8equal_toItEEEE10hipError_tPvRmT2_T3_mT4_T5_T6_T7_T8_P12ihipStream_tbENKUlT_T0_E_clISt17integral_constantIbLb0EES12_IbLb1EEEEDaSY_SZ_EUlSY_E_NS1_11comp_targetILNS1_3genE9ELNS1_11target_archE1100ELNS1_3gpuE3ELNS1_3repE0EEENS1_30default_config_static_selectorELNS0_4arch9wavefront6targetE1EEEvT1_,comdat
.Lfunc_end767:
	.size	_ZN7rocprim17ROCPRIM_400000_NS6detail17trampoline_kernelINS0_14default_configENS1_29reduce_by_key_config_selectorItjN6thrust23THRUST_200600_302600_NS4plusIjEEEEZZNS1_33reduce_by_key_impl_wrapped_configILNS1_25lookback_scan_determinismE0ES3_S9_NS6_6detail15normal_iteratorINS6_10device_ptrItEEEENSD_INSE_IjEEEESG_SI_PmS8_NS6_8equal_toItEEEE10hipError_tPvRmT2_T3_mT4_T5_T6_T7_T8_P12ihipStream_tbENKUlT_T0_E_clISt17integral_constantIbLb0EES12_IbLb1EEEEDaSY_SZ_EUlSY_E_NS1_11comp_targetILNS1_3genE9ELNS1_11target_archE1100ELNS1_3gpuE3ELNS1_3repE0EEENS1_30default_config_static_selectorELNS0_4arch9wavefront6targetE1EEEvT1_, .Lfunc_end767-_ZN7rocprim17ROCPRIM_400000_NS6detail17trampoline_kernelINS0_14default_configENS1_29reduce_by_key_config_selectorItjN6thrust23THRUST_200600_302600_NS4plusIjEEEEZZNS1_33reduce_by_key_impl_wrapped_configILNS1_25lookback_scan_determinismE0ES3_S9_NS6_6detail15normal_iteratorINS6_10device_ptrItEEEENSD_INSE_IjEEEESG_SI_PmS8_NS6_8equal_toItEEEE10hipError_tPvRmT2_T3_mT4_T5_T6_T7_T8_P12ihipStream_tbENKUlT_T0_E_clISt17integral_constantIbLb0EES12_IbLb1EEEEDaSY_SZ_EUlSY_E_NS1_11comp_targetILNS1_3genE9ELNS1_11target_archE1100ELNS1_3gpuE3ELNS1_3repE0EEENS1_30default_config_static_selectorELNS0_4arch9wavefront6targetE1EEEvT1_
                                        ; -- End function
	.section	.AMDGPU.csdata,"",@progbits
; Kernel info:
; codeLenInByte = 0
; NumSgprs: 4
; NumVgprs: 0
; NumAgprs: 0
; TotalNumVgprs: 0
; ScratchSize: 0
; MemoryBound: 0
; FloatMode: 240
; IeeeMode: 1
; LDSByteSize: 0 bytes/workgroup (compile time only)
; SGPRBlocks: 0
; VGPRBlocks: 0
; NumSGPRsForWavesPerEU: 4
; NumVGPRsForWavesPerEU: 1
; AccumOffset: 4
; Occupancy: 8
; WaveLimiterHint : 0
; COMPUTE_PGM_RSRC2:SCRATCH_EN: 0
; COMPUTE_PGM_RSRC2:USER_SGPR: 6
; COMPUTE_PGM_RSRC2:TRAP_HANDLER: 0
; COMPUTE_PGM_RSRC2:TGID_X_EN: 1
; COMPUTE_PGM_RSRC2:TGID_Y_EN: 0
; COMPUTE_PGM_RSRC2:TGID_Z_EN: 0
; COMPUTE_PGM_RSRC2:TIDIG_COMP_CNT: 0
; COMPUTE_PGM_RSRC3_GFX90A:ACCUM_OFFSET: 0
; COMPUTE_PGM_RSRC3_GFX90A:TG_SPLIT: 0
	.section	.text._ZN7rocprim17ROCPRIM_400000_NS6detail17trampoline_kernelINS0_14default_configENS1_29reduce_by_key_config_selectorItjN6thrust23THRUST_200600_302600_NS4plusIjEEEEZZNS1_33reduce_by_key_impl_wrapped_configILNS1_25lookback_scan_determinismE0ES3_S9_NS6_6detail15normal_iteratorINS6_10device_ptrItEEEENSD_INSE_IjEEEESG_SI_PmS8_NS6_8equal_toItEEEE10hipError_tPvRmT2_T3_mT4_T5_T6_T7_T8_P12ihipStream_tbENKUlT_T0_E_clISt17integral_constantIbLb0EES12_IbLb1EEEEDaSY_SZ_EUlSY_E_NS1_11comp_targetILNS1_3genE8ELNS1_11target_archE1030ELNS1_3gpuE2ELNS1_3repE0EEENS1_30default_config_static_selectorELNS0_4arch9wavefront6targetE1EEEvT1_,"axG",@progbits,_ZN7rocprim17ROCPRIM_400000_NS6detail17trampoline_kernelINS0_14default_configENS1_29reduce_by_key_config_selectorItjN6thrust23THRUST_200600_302600_NS4plusIjEEEEZZNS1_33reduce_by_key_impl_wrapped_configILNS1_25lookback_scan_determinismE0ES3_S9_NS6_6detail15normal_iteratorINS6_10device_ptrItEEEENSD_INSE_IjEEEESG_SI_PmS8_NS6_8equal_toItEEEE10hipError_tPvRmT2_T3_mT4_T5_T6_T7_T8_P12ihipStream_tbENKUlT_T0_E_clISt17integral_constantIbLb0EES12_IbLb1EEEEDaSY_SZ_EUlSY_E_NS1_11comp_targetILNS1_3genE8ELNS1_11target_archE1030ELNS1_3gpuE2ELNS1_3repE0EEENS1_30default_config_static_selectorELNS0_4arch9wavefront6targetE1EEEvT1_,comdat
	.protected	_ZN7rocprim17ROCPRIM_400000_NS6detail17trampoline_kernelINS0_14default_configENS1_29reduce_by_key_config_selectorItjN6thrust23THRUST_200600_302600_NS4plusIjEEEEZZNS1_33reduce_by_key_impl_wrapped_configILNS1_25lookback_scan_determinismE0ES3_S9_NS6_6detail15normal_iteratorINS6_10device_ptrItEEEENSD_INSE_IjEEEESG_SI_PmS8_NS6_8equal_toItEEEE10hipError_tPvRmT2_T3_mT4_T5_T6_T7_T8_P12ihipStream_tbENKUlT_T0_E_clISt17integral_constantIbLb0EES12_IbLb1EEEEDaSY_SZ_EUlSY_E_NS1_11comp_targetILNS1_3genE8ELNS1_11target_archE1030ELNS1_3gpuE2ELNS1_3repE0EEENS1_30default_config_static_selectorELNS0_4arch9wavefront6targetE1EEEvT1_ ; -- Begin function _ZN7rocprim17ROCPRIM_400000_NS6detail17trampoline_kernelINS0_14default_configENS1_29reduce_by_key_config_selectorItjN6thrust23THRUST_200600_302600_NS4plusIjEEEEZZNS1_33reduce_by_key_impl_wrapped_configILNS1_25lookback_scan_determinismE0ES3_S9_NS6_6detail15normal_iteratorINS6_10device_ptrItEEEENSD_INSE_IjEEEESG_SI_PmS8_NS6_8equal_toItEEEE10hipError_tPvRmT2_T3_mT4_T5_T6_T7_T8_P12ihipStream_tbENKUlT_T0_E_clISt17integral_constantIbLb0EES12_IbLb1EEEEDaSY_SZ_EUlSY_E_NS1_11comp_targetILNS1_3genE8ELNS1_11target_archE1030ELNS1_3gpuE2ELNS1_3repE0EEENS1_30default_config_static_selectorELNS0_4arch9wavefront6targetE1EEEvT1_
	.globl	_ZN7rocprim17ROCPRIM_400000_NS6detail17trampoline_kernelINS0_14default_configENS1_29reduce_by_key_config_selectorItjN6thrust23THRUST_200600_302600_NS4plusIjEEEEZZNS1_33reduce_by_key_impl_wrapped_configILNS1_25lookback_scan_determinismE0ES3_S9_NS6_6detail15normal_iteratorINS6_10device_ptrItEEEENSD_INSE_IjEEEESG_SI_PmS8_NS6_8equal_toItEEEE10hipError_tPvRmT2_T3_mT4_T5_T6_T7_T8_P12ihipStream_tbENKUlT_T0_E_clISt17integral_constantIbLb0EES12_IbLb1EEEEDaSY_SZ_EUlSY_E_NS1_11comp_targetILNS1_3genE8ELNS1_11target_archE1030ELNS1_3gpuE2ELNS1_3repE0EEENS1_30default_config_static_selectorELNS0_4arch9wavefront6targetE1EEEvT1_
	.p2align	8
	.type	_ZN7rocprim17ROCPRIM_400000_NS6detail17trampoline_kernelINS0_14default_configENS1_29reduce_by_key_config_selectorItjN6thrust23THRUST_200600_302600_NS4plusIjEEEEZZNS1_33reduce_by_key_impl_wrapped_configILNS1_25lookback_scan_determinismE0ES3_S9_NS6_6detail15normal_iteratorINS6_10device_ptrItEEEENSD_INSE_IjEEEESG_SI_PmS8_NS6_8equal_toItEEEE10hipError_tPvRmT2_T3_mT4_T5_T6_T7_T8_P12ihipStream_tbENKUlT_T0_E_clISt17integral_constantIbLb0EES12_IbLb1EEEEDaSY_SZ_EUlSY_E_NS1_11comp_targetILNS1_3genE8ELNS1_11target_archE1030ELNS1_3gpuE2ELNS1_3repE0EEENS1_30default_config_static_selectorELNS0_4arch9wavefront6targetE1EEEvT1_,@function
_ZN7rocprim17ROCPRIM_400000_NS6detail17trampoline_kernelINS0_14default_configENS1_29reduce_by_key_config_selectorItjN6thrust23THRUST_200600_302600_NS4plusIjEEEEZZNS1_33reduce_by_key_impl_wrapped_configILNS1_25lookback_scan_determinismE0ES3_S9_NS6_6detail15normal_iteratorINS6_10device_ptrItEEEENSD_INSE_IjEEEESG_SI_PmS8_NS6_8equal_toItEEEE10hipError_tPvRmT2_T3_mT4_T5_T6_T7_T8_P12ihipStream_tbENKUlT_T0_E_clISt17integral_constantIbLb0EES12_IbLb1EEEEDaSY_SZ_EUlSY_E_NS1_11comp_targetILNS1_3genE8ELNS1_11target_archE1030ELNS1_3gpuE2ELNS1_3repE0EEENS1_30default_config_static_selectorELNS0_4arch9wavefront6targetE1EEEvT1_: ; @_ZN7rocprim17ROCPRIM_400000_NS6detail17trampoline_kernelINS0_14default_configENS1_29reduce_by_key_config_selectorItjN6thrust23THRUST_200600_302600_NS4plusIjEEEEZZNS1_33reduce_by_key_impl_wrapped_configILNS1_25lookback_scan_determinismE0ES3_S9_NS6_6detail15normal_iteratorINS6_10device_ptrItEEEENSD_INSE_IjEEEESG_SI_PmS8_NS6_8equal_toItEEEE10hipError_tPvRmT2_T3_mT4_T5_T6_T7_T8_P12ihipStream_tbENKUlT_T0_E_clISt17integral_constantIbLb0EES12_IbLb1EEEEDaSY_SZ_EUlSY_E_NS1_11comp_targetILNS1_3genE8ELNS1_11target_archE1030ELNS1_3gpuE2ELNS1_3repE0EEENS1_30default_config_static_selectorELNS0_4arch9wavefront6targetE1EEEvT1_
; %bb.0:
	.section	.rodata,"a",@progbits
	.p2align	6, 0x0
	.amdhsa_kernel _ZN7rocprim17ROCPRIM_400000_NS6detail17trampoline_kernelINS0_14default_configENS1_29reduce_by_key_config_selectorItjN6thrust23THRUST_200600_302600_NS4plusIjEEEEZZNS1_33reduce_by_key_impl_wrapped_configILNS1_25lookback_scan_determinismE0ES3_S9_NS6_6detail15normal_iteratorINS6_10device_ptrItEEEENSD_INSE_IjEEEESG_SI_PmS8_NS6_8equal_toItEEEE10hipError_tPvRmT2_T3_mT4_T5_T6_T7_T8_P12ihipStream_tbENKUlT_T0_E_clISt17integral_constantIbLb0EES12_IbLb1EEEEDaSY_SZ_EUlSY_E_NS1_11comp_targetILNS1_3genE8ELNS1_11target_archE1030ELNS1_3gpuE2ELNS1_3repE0EEENS1_30default_config_static_selectorELNS0_4arch9wavefront6targetE1EEEvT1_
		.amdhsa_group_segment_fixed_size 0
		.amdhsa_private_segment_fixed_size 0
		.amdhsa_kernarg_size 120
		.amdhsa_user_sgpr_count 6
		.amdhsa_user_sgpr_private_segment_buffer 1
		.amdhsa_user_sgpr_dispatch_ptr 0
		.amdhsa_user_sgpr_queue_ptr 0
		.amdhsa_user_sgpr_kernarg_segment_ptr 1
		.amdhsa_user_sgpr_dispatch_id 0
		.amdhsa_user_sgpr_flat_scratch_init 0
		.amdhsa_user_sgpr_kernarg_preload_length 0
		.amdhsa_user_sgpr_kernarg_preload_offset 0
		.amdhsa_user_sgpr_private_segment_size 0
		.amdhsa_uses_dynamic_stack 0
		.amdhsa_system_sgpr_private_segment_wavefront_offset 0
		.amdhsa_system_sgpr_workgroup_id_x 1
		.amdhsa_system_sgpr_workgroup_id_y 0
		.amdhsa_system_sgpr_workgroup_id_z 0
		.amdhsa_system_sgpr_workgroup_info 0
		.amdhsa_system_vgpr_workitem_id 0
		.amdhsa_next_free_vgpr 1
		.amdhsa_next_free_sgpr 0
		.amdhsa_accum_offset 4
		.amdhsa_reserve_vcc 0
		.amdhsa_reserve_flat_scratch 0
		.amdhsa_float_round_mode_32 0
		.amdhsa_float_round_mode_16_64 0
		.amdhsa_float_denorm_mode_32 3
		.amdhsa_float_denorm_mode_16_64 3
		.amdhsa_dx10_clamp 1
		.amdhsa_ieee_mode 1
		.amdhsa_fp16_overflow 0
		.amdhsa_tg_split 0
		.amdhsa_exception_fp_ieee_invalid_op 0
		.amdhsa_exception_fp_denorm_src 0
		.amdhsa_exception_fp_ieee_div_zero 0
		.amdhsa_exception_fp_ieee_overflow 0
		.amdhsa_exception_fp_ieee_underflow 0
		.amdhsa_exception_fp_ieee_inexact 0
		.amdhsa_exception_int_div_zero 0
	.end_amdhsa_kernel
	.section	.text._ZN7rocprim17ROCPRIM_400000_NS6detail17trampoline_kernelINS0_14default_configENS1_29reduce_by_key_config_selectorItjN6thrust23THRUST_200600_302600_NS4plusIjEEEEZZNS1_33reduce_by_key_impl_wrapped_configILNS1_25lookback_scan_determinismE0ES3_S9_NS6_6detail15normal_iteratorINS6_10device_ptrItEEEENSD_INSE_IjEEEESG_SI_PmS8_NS6_8equal_toItEEEE10hipError_tPvRmT2_T3_mT4_T5_T6_T7_T8_P12ihipStream_tbENKUlT_T0_E_clISt17integral_constantIbLb0EES12_IbLb1EEEEDaSY_SZ_EUlSY_E_NS1_11comp_targetILNS1_3genE8ELNS1_11target_archE1030ELNS1_3gpuE2ELNS1_3repE0EEENS1_30default_config_static_selectorELNS0_4arch9wavefront6targetE1EEEvT1_,"axG",@progbits,_ZN7rocprim17ROCPRIM_400000_NS6detail17trampoline_kernelINS0_14default_configENS1_29reduce_by_key_config_selectorItjN6thrust23THRUST_200600_302600_NS4plusIjEEEEZZNS1_33reduce_by_key_impl_wrapped_configILNS1_25lookback_scan_determinismE0ES3_S9_NS6_6detail15normal_iteratorINS6_10device_ptrItEEEENSD_INSE_IjEEEESG_SI_PmS8_NS6_8equal_toItEEEE10hipError_tPvRmT2_T3_mT4_T5_T6_T7_T8_P12ihipStream_tbENKUlT_T0_E_clISt17integral_constantIbLb0EES12_IbLb1EEEEDaSY_SZ_EUlSY_E_NS1_11comp_targetILNS1_3genE8ELNS1_11target_archE1030ELNS1_3gpuE2ELNS1_3repE0EEENS1_30default_config_static_selectorELNS0_4arch9wavefront6targetE1EEEvT1_,comdat
.Lfunc_end768:
	.size	_ZN7rocprim17ROCPRIM_400000_NS6detail17trampoline_kernelINS0_14default_configENS1_29reduce_by_key_config_selectorItjN6thrust23THRUST_200600_302600_NS4plusIjEEEEZZNS1_33reduce_by_key_impl_wrapped_configILNS1_25lookback_scan_determinismE0ES3_S9_NS6_6detail15normal_iteratorINS6_10device_ptrItEEEENSD_INSE_IjEEEESG_SI_PmS8_NS6_8equal_toItEEEE10hipError_tPvRmT2_T3_mT4_T5_T6_T7_T8_P12ihipStream_tbENKUlT_T0_E_clISt17integral_constantIbLb0EES12_IbLb1EEEEDaSY_SZ_EUlSY_E_NS1_11comp_targetILNS1_3genE8ELNS1_11target_archE1030ELNS1_3gpuE2ELNS1_3repE0EEENS1_30default_config_static_selectorELNS0_4arch9wavefront6targetE1EEEvT1_, .Lfunc_end768-_ZN7rocprim17ROCPRIM_400000_NS6detail17trampoline_kernelINS0_14default_configENS1_29reduce_by_key_config_selectorItjN6thrust23THRUST_200600_302600_NS4plusIjEEEEZZNS1_33reduce_by_key_impl_wrapped_configILNS1_25lookback_scan_determinismE0ES3_S9_NS6_6detail15normal_iteratorINS6_10device_ptrItEEEENSD_INSE_IjEEEESG_SI_PmS8_NS6_8equal_toItEEEE10hipError_tPvRmT2_T3_mT4_T5_T6_T7_T8_P12ihipStream_tbENKUlT_T0_E_clISt17integral_constantIbLb0EES12_IbLb1EEEEDaSY_SZ_EUlSY_E_NS1_11comp_targetILNS1_3genE8ELNS1_11target_archE1030ELNS1_3gpuE2ELNS1_3repE0EEENS1_30default_config_static_selectorELNS0_4arch9wavefront6targetE1EEEvT1_
                                        ; -- End function
	.section	.AMDGPU.csdata,"",@progbits
; Kernel info:
; codeLenInByte = 0
; NumSgprs: 4
; NumVgprs: 0
; NumAgprs: 0
; TotalNumVgprs: 0
; ScratchSize: 0
; MemoryBound: 0
; FloatMode: 240
; IeeeMode: 1
; LDSByteSize: 0 bytes/workgroup (compile time only)
; SGPRBlocks: 0
; VGPRBlocks: 0
; NumSGPRsForWavesPerEU: 4
; NumVGPRsForWavesPerEU: 1
; AccumOffset: 4
; Occupancy: 8
; WaveLimiterHint : 0
; COMPUTE_PGM_RSRC2:SCRATCH_EN: 0
; COMPUTE_PGM_RSRC2:USER_SGPR: 6
; COMPUTE_PGM_RSRC2:TRAP_HANDLER: 0
; COMPUTE_PGM_RSRC2:TGID_X_EN: 1
; COMPUTE_PGM_RSRC2:TGID_Y_EN: 0
; COMPUTE_PGM_RSRC2:TGID_Z_EN: 0
; COMPUTE_PGM_RSRC2:TIDIG_COMP_CNT: 0
; COMPUTE_PGM_RSRC3_GFX90A:ACCUM_OFFSET: 0
; COMPUTE_PGM_RSRC3_GFX90A:TG_SPLIT: 0
	.section	.text._ZN7rocprim17ROCPRIM_400000_NS6detail17trampoline_kernelINS0_14default_configENS1_29reduce_by_key_config_selectorIxjN6thrust23THRUST_200600_302600_NS4plusIjEEEEZZNS1_33reduce_by_key_impl_wrapped_configILNS1_25lookback_scan_determinismE0ES3_S9_NS6_6detail15normal_iteratorINS6_10device_ptrIxEEEENSD_INSE_IjEEEESG_SI_PmS8_NS6_8equal_toIxEEEE10hipError_tPvRmT2_T3_mT4_T5_T6_T7_T8_P12ihipStream_tbENKUlT_T0_E_clISt17integral_constantIbLb0EES13_EEDaSY_SZ_EUlSY_E_NS1_11comp_targetILNS1_3genE0ELNS1_11target_archE4294967295ELNS1_3gpuE0ELNS1_3repE0EEENS1_30default_config_static_selectorELNS0_4arch9wavefront6targetE1EEEvT1_,"axG",@progbits,_ZN7rocprim17ROCPRIM_400000_NS6detail17trampoline_kernelINS0_14default_configENS1_29reduce_by_key_config_selectorIxjN6thrust23THRUST_200600_302600_NS4plusIjEEEEZZNS1_33reduce_by_key_impl_wrapped_configILNS1_25lookback_scan_determinismE0ES3_S9_NS6_6detail15normal_iteratorINS6_10device_ptrIxEEEENSD_INSE_IjEEEESG_SI_PmS8_NS6_8equal_toIxEEEE10hipError_tPvRmT2_T3_mT4_T5_T6_T7_T8_P12ihipStream_tbENKUlT_T0_E_clISt17integral_constantIbLb0EES13_EEDaSY_SZ_EUlSY_E_NS1_11comp_targetILNS1_3genE0ELNS1_11target_archE4294967295ELNS1_3gpuE0ELNS1_3repE0EEENS1_30default_config_static_selectorELNS0_4arch9wavefront6targetE1EEEvT1_,comdat
	.protected	_ZN7rocprim17ROCPRIM_400000_NS6detail17trampoline_kernelINS0_14default_configENS1_29reduce_by_key_config_selectorIxjN6thrust23THRUST_200600_302600_NS4plusIjEEEEZZNS1_33reduce_by_key_impl_wrapped_configILNS1_25lookback_scan_determinismE0ES3_S9_NS6_6detail15normal_iteratorINS6_10device_ptrIxEEEENSD_INSE_IjEEEESG_SI_PmS8_NS6_8equal_toIxEEEE10hipError_tPvRmT2_T3_mT4_T5_T6_T7_T8_P12ihipStream_tbENKUlT_T0_E_clISt17integral_constantIbLb0EES13_EEDaSY_SZ_EUlSY_E_NS1_11comp_targetILNS1_3genE0ELNS1_11target_archE4294967295ELNS1_3gpuE0ELNS1_3repE0EEENS1_30default_config_static_selectorELNS0_4arch9wavefront6targetE1EEEvT1_ ; -- Begin function _ZN7rocprim17ROCPRIM_400000_NS6detail17trampoline_kernelINS0_14default_configENS1_29reduce_by_key_config_selectorIxjN6thrust23THRUST_200600_302600_NS4plusIjEEEEZZNS1_33reduce_by_key_impl_wrapped_configILNS1_25lookback_scan_determinismE0ES3_S9_NS6_6detail15normal_iteratorINS6_10device_ptrIxEEEENSD_INSE_IjEEEESG_SI_PmS8_NS6_8equal_toIxEEEE10hipError_tPvRmT2_T3_mT4_T5_T6_T7_T8_P12ihipStream_tbENKUlT_T0_E_clISt17integral_constantIbLb0EES13_EEDaSY_SZ_EUlSY_E_NS1_11comp_targetILNS1_3genE0ELNS1_11target_archE4294967295ELNS1_3gpuE0ELNS1_3repE0EEENS1_30default_config_static_selectorELNS0_4arch9wavefront6targetE1EEEvT1_
	.globl	_ZN7rocprim17ROCPRIM_400000_NS6detail17trampoline_kernelINS0_14default_configENS1_29reduce_by_key_config_selectorIxjN6thrust23THRUST_200600_302600_NS4plusIjEEEEZZNS1_33reduce_by_key_impl_wrapped_configILNS1_25lookback_scan_determinismE0ES3_S9_NS6_6detail15normal_iteratorINS6_10device_ptrIxEEEENSD_INSE_IjEEEESG_SI_PmS8_NS6_8equal_toIxEEEE10hipError_tPvRmT2_T3_mT4_T5_T6_T7_T8_P12ihipStream_tbENKUlT_T0_E_clISt17integral_constantIbLb0EES13_EEDaSY_SZ_EUlSY_E_NS1_11comp_targetILNS1_3genE0ELNS1_11target_archE4294967295ELNS1_3gpuE0ELNS1_3repE0EEENS1_30default_config_static_selectorELNS0_4arch9wavefront6targetE1EEEvT1_
	.p2align	8
	.type	_ZN7rocprim17ROCPRIM_400000_NS6detail17trampoline_kernelINS0_14default_configENS1_29reduce_by_key_config_selectorIxjN6thrust23THRUST_200600_302600_NS4plusIjEEEEZZNS1_33reduce_by_key_impl_wrapped_configILNS1_25lookback_scan_determinismE0ES3_S9_NS6_6detail15normal_iteratorINS6_10device_ptrIxEEEENSD_INSE_IjEEEESG_SI_PmS8_NS6_8equal_toIxEEEE10hipError_tPvRmT2_T3_mT4_T5_T6_T7_T8_P12ihipStream_tbENKUlT_T0_E_clISt17integral_constantIbLb0EES13_EEDaSY_SZ_EUlSY_E_NS1_11comp_targetILNS1_3genE0ELNS1_11target_archE4294967295ELNS1_3gpuE0ELNS1_3repE0EEENS1_30default_config_static_selectorELNS0_4arch9wavefront6targetE1EEEvT1_,@function
_ZN7rocprim17ROCPRIM_400000_NS6detail17trampoline_kernelINS0_14default_configENS1_29reduce_by_key_config_selectorIxjN6thrust23THRUST_200600_302600_NS4plusIjEEEEZZNS1_33reduce_by_key_impl_wrapped_configILNS1_25lookback_scan_determinismE0ES3_S9_NS6_6detail15normal_iteratorINS6_10device_ptrIxEEEENSD_INSE_IjEEEESG_SI_PmS8_NS6_8equal_toIxEEEE10hipError_tPvRmT2_T3_mT4_T5_T6_T7_T8_P12ihipStream_tbENKUlT_T0_E_clISt17integral_constantIbLb0EES13_EEDaSY_SZ_EUlSY_E_NS1_11comp_targetILNS1_3genE0ELNS1_11target_archE4294967295ELNS1_3gpuE0ELNS1_3repE0EEENS1_30default_config_static_selectorELNS0_4arch9wavefront6targetE1EEEvT1_: ; @_ZN7rocprim17ROCPRIM_400000_NS6detail17trampoline_kernelINS0_14default_configENS1_29reduce_by_key_config_selectorIxjN6thrust23THRUST_200600_302600_NS4plusIjEEEEZZNS1_33reduce_by_key_impl_wrapped_configILNS1_25lookback_scan_determinismE0ES3_S9_NS6_6detail15normal_iteratorINS6_10device_ptrIxEEEENSD_INSE_IjEEEESG_SI_PmS8_NS6_8equal_toIxEEEE10hipError_tPvRmT2_T3_mT4_T5_T6_T7_T8_P12ihipStream_tbENKUlT_T0_E_clISt17integral_constantIbLb0EES13_EEDaSY_SZ_EUlSY_E_NS1_11comp_targetILNS1_3genE0ELNS1_11target_archE4294967295ELNS1_3gpuE0ELNS1_3repE0EEENS1_30default_config_static_selectorELNS0_4arch9wavefront6targetE1EEEvT1_
; %bb.0:
	.section	.rodata,"a",@progbits
	.p2align	6, 0x0
	.amdhsa_kernel _ZN7rocprim17ROCPRIM_400000_NS6detail17trampoline_kernelINS0_14default_configENS1_29reduce_by_key_config_selectorIxjN6thrust23THRUST_200600_302600_NS4plusIjEEEEZZNS1_33reduce_by_key_impl_wrapped_configILNS1_25lookback_scan_determinismE0ES3_S9_NS6_6detail15normal_iteratorINS6_10device_ptrIxEEEENSD_INSE_IjEEEESG_SI_PmS8_NS6_8equal_toIxEEEE10hipError_tPvRmT2_T3_mT4_T5_T6_T7_T8_P12ihipStream_tbENKUlT_T0_E_clISt17integral_constantIbLb0EES13_EEDaSY_SZ_EUlSY_E_NS1_11comp_targetILNS1_3genE0ELNS1_11target_archE4294967295ELNS1_3gpuE0ELNS1_3repE0EEENS1_30default_config_static_selectorELNS0_4arch9wavefront6targetE1EEEvT1_
		.amdhsa_group_segment_fixed_size 0
		.amdhsa_private_segment_fixed_size 0
		.amdhsa_kernarg_size 120
		.amdhsa_user_sgpr_count 6
		.amdhsa_user_sgpr_private_segment_buffer 1
		.amdhsa_user_sgpr_dispatch_ptr 0
		.amdhsa_user_sgpr_queue_ptr 0
		.amdhsa_user_sgpr_kernarg_segment_ptr 1
		.amdhsa_user_sgpr_dispatch_id 0
		.amdhsa_user_sgpr_flat_scratch_init 0
		.amdhsa_user_sgpr_kernarg_preload_length 0
		.amdhsa_user_sgpr_kernarg_preload_offset 0
		.amdhsa_user_sgpr_private_segment_size 0
		.amdhsa_uses_dynamic_stack 0
		.amdhsa_system_sgpr_private_segment_wavefront_offset 0
		.amdhsa_system_sgpr_workgroup_id_x 1
		.amdhsa_system_sgpr_workgroup_id_y 0
		.amdhsa_system_sgpr_workgroup_id_z 0
		.amdhsa_system_sgpr_workgroup_info 0
		.amdhsa_system_vgpr_workitem_id 0
		.amdhsa_next_free_vgpr 1
		.amdhsa_next_free_sgpr 0
		.amdhsa_accum_offset 4
		.amdhsa_reserve_vcc 0
		.amdhsa_reserve_flat_scratch 0
		.amdhsa_float_round_mode_32 0
		.amdhsa_float_round_mode_16_64 0
		.amdhsa_float_denorm_mode_32 3
		.amdhsa_float_denorm_mode_16_64 3
		.amdhsa_dx10_clamp 1
		.amdhsa_ieee_mode 1
		.amdhsa_fp16_overflow 0
		.amdhsa_tg_split 0
		.amdhsa_exception_fp_ieee_invalid_op 0
		.amdhsa_exception_fp_denorm_src 0
		.amdhsa_exception_fp_ieee_div_zero 0
		.amdhsa_exception_fp_ieee_overflow 0
		.amdhsa_exception_fp_ieee_underflow 0
		.amdhsa_exception_fp_ieee_inexact 0
		.amdhsa_exception_int_div_zero 0
	.end_amdhsa_kernel
	.section	.text._ZN7rocprim17ROCPRIM_400000_NS6detail17trampoline_kernelINS0_14default_configENS1_29reduce_by_key_config_selectorIxjN6thrust23THRUST_200600_302600_NS4plusIjEEEEZZNS1_33reduce_by_key_impl_wrapped_configILNS1_25lookback_scan_determinismE0ES3_S9_NS6_6detail15normal_iteratorINS6_10device_ptrIxEEEENSD_INSE_IjEEEESG_SI_PmS8_NS6_8equal_toIxEEEE10hipError_tPvRmT2_T3_mT4_T5_T6_T7_T8_P12ihipStream_tbENKUlT_T0_E_clISt17integral_constantIbLb0EES13_EEDaSY_SZ_EUlSY_E_NS1_11comp_targetILNS1_3genE0ELNS1_11target_archE4294967295ELNS1_3gpuE0ELNS1_3repE0EEENS1_30default_config_static_selectorELNS0_4arch9wavefront6targetE1EEEvT1_,"axG",@progbits,_ZN7rocprim17ROCPRIM_400000_NS6detail17trampoline_kernelINS0_14default_configENS1_29reduce_by_key_config_selectorIxjN6thrust23THRUST_200600_302600_NS4plusIjEEEEZZNS1_33reduce_by_key_impl_wrapped_configILNS1_25lookback_scan_determinismE0ES3_S9_NS6_6detail15normal_iteratorINS6_10device_ptrIxEEEENSD_INSE_IjEEEESG_SI_PmS8_NS6_8equal_toIxEEEE10hipError_tPvRmT2_T3_mT4_T5_T6_T7_T8_P12ihipStream_tbENKUlT_T0_E_clISt17integral_constantIbLb0EES13_EEDaSY_SZ_EUlSY_E_NS1_11comp_targetILNS1_3genE0ELNS1_11target_archE4294967295ELNS1_3gpuE0ELNS1_3repE0EEENS1_30default_config_static_selectorELNS0_4arch9wavefront6targetE1EEEvT1_,comdat
.Lfunc_end769:
	.size	_ZN7rocprim17ROCPRIM_400000_NS6detail17trampoline_kernelINS0_14default_configENS1_29reduce_by_key_config_selectorIxjN6thrust23THRUST_200600_302600_NS4plusIjEEEEZZNS1_33reduce_by_key_impl_wrapped_configILNS1_25lookback_scan_determinismE0ES3_S9_NS6_6detail15normal_iteratorINS6_10device_ptrIxEEEENSD_INSE_IjEEEESG_SI_PmS8_NS6_8equal_toIxEEEE10hipError_tPvRmT2_T3_mT4_T5_T6_T7_T8_P12ihipStream_tbENKUlT_T0_E_clISt17integral_constantIbLb0EES13_EEDaSY_SZ_EUlSY_E_NS1_11comp_targetILNS1_3genE0ELNS1_11target_archE4294967295ELNS1_3gpuE0ELNS1_3repE0EEENS1_30default_config_static_selectorELNS0_4arch9wavefront6targetE1EEEvT1_, .Lfunc_end769-_ZN7rocprim17ROCPRIM_400000_NS6detail17trampoline_kernelINS0_14default_configENS1_29reduce_by_key_config_selectorIxjN6thrust23THRUST_200600_302600_NS4plusIjEEEEZZNS1_33reduce_by_key_impl_wrapped_configILNS1_25lookback_scan_determinismE0ES3_S9_NS6_6detail15normal_iteratorINS6_10device_ptrIxEEEENSD_INSE_IjEEEESG_SI_PmS8_NS6_8equal_toIxEEEE10hipError_tPvRmT2_T3_mT4_T5_T6_T7_T8_P12ihipStream_tbENKUlT_T0_E_clISt17integral_constantIbLb0EES13_EEDaSY_SZ_EUlSY_E_NS1_11comp_targetILNS1_3genE0ELNS1_11target_archE4294967295ELNS1_3gpuE0ELNS1_3repE0EEENS1_30default_config_static_selectorELNS0_4arch9wavefront6targetE1EEEvT1_
                                        ; -- End function
	.section	.AMDGPU.csdata,"",@progbits
; Kernel info:
; codeLenInByte = 0
; NumSgprs: 4
; NumVgprs: 0
; NumAgprs: 0
; TotalNumVgprs: 0
; ScratchSize: 0
; MemoryBound: 0
; FloatMode: 240
; IeeeMode: 1
; LDSByteSize: 0 bytes/workgroup (compile time only)
; SGPRBlocks: 0
; VGPRBlocks: 0
; NumSGPRsForWavesPerEU: 4
; NumVGPRsForWavesPerEU: 1
; AccumOffset: 4
; Occupancy: 8
; WaveLimiterHint : 0
; COMPUTE_PGM_RSRC2:SCRATCH_EN: 0
; COMPUTE_PGM_RSRC2:USER_SGPR: 6
; COMPUTE_PGM_RSRC2:TRAP_HANDLER: 0
; COMPUTE_PGM_RSRC2:TGID_X_EN: 1
; COMPUTE_PGM_RSRC2:TGID_Y_EN: 0
; COMPUTE_PGM_RSRC2:TGID_Z_EN: 0
; COMPUTE_PGM_RSRC2:TIDIG_COMP_CNT: 0
; COMPUTE_PGM_RSRC3_GFX90A:ACCUM_OFFSET: 0
; COMPUTE_PGM_RSRC3_GFX90A:TG_SPLIT: 0
	.section	.text._ZN7rocprim17ROCPRIM_400000_NS6detail17trampoline_kernelINS0_14default_configENS1_29reduce_by_key_config_selectorIxjN6thrust23THRUST_200600_302600_NS4plusIjEEEEZZNS1_33reduce_by_key_impl_wrapped_configILNS1_25lookback_scan_determinismE0ES3_S9_NS6_6detail15normal_iteratorINS6_10device_ptrIxEEEENSD_INSE_IjEEEESG_SI_PmS8_NS6_8equal_toIxEEEE10hipError_tPvRmT2_T3_mT4_T5_T6_T7_T8_P12ihipStream_tbENKUlT_T0_E_clISt17integral_constantIbLb0EES13_EEDaSY_SZ_EUlSY_E_NS1_11comp_targetILNS1_3genE5ELNS1_11target_archE942ELNS1_3gpuE9ELNS1_3repE0EEENS1_30default_config_static_selectorELNS0_4arch9wavefront6targetE1EEEvT1_,"axG",@progbits,_ZN7rocprim17ROCPRIM_400000_NS6detail17trampoline_kernelINS0_14default_configENS1_29reduce_by_key_config_selectorIxjN6thrust23THRUST_200600_302600_NS4plusIjEEEEZZNS1_33reduce_by_key_impl_wrapped_configILNS1_25lookback_scan_determinismE0ES3_S9_NS6_6detail15normal_iteratorINS6_10device_ptrIxEEEENSD_INSE_IjEEEESG_SI_PmS8_NS6_8equal_toIxEEEE10hipError_tPvRmT2_T3_mT4_T5_T6_T7_T8_P12ihipStream_tbENKUlT_T0_E_clISt17integral_constantIbLb0EES13_EEDaSY_SZ_EUlSY_E_NS1_11comp_targetILNS1_3genE5ELNS1_11target_archE942ELNS1_3gpuE9ELNS1_3repE0EEENS1_30default_config_static_selectorELNS0_4arch9wavefront6targetE1EEEvT1_,comdat
	.protected	_ZN7rocprim17ROCPRIM_400000_NS6detail17trampoline_kernelINS0_14default_configENS1_29reduce_by_key_config_selectorIxjN6thrust23THRUST_200600_302600_NS4plusIjEEEEZZNS1_33reduce_by_key_impl_wrapped_configILNS1_25lookback_scan_determinismE0ES3_S9_NS6_6detail15normal_iteratorINS6_10device_ptrIxEEEENSD_INSE_IjEEEESG_SI_PmS8_NS6_8equal_toIxEEEE10hipError_tPvRmT2_T3_mT4_T5_T6_T7_T8_P12ihipStream_tbENKUlT_T0_E_clISt17integral_constantIbLb0EES13_EEDaSY_SZ_EUlSY_E_NS1_11comp_targetILNS1_3genE5ELNS1_11target_archE942ELNS1_3gpuE9ELNS1_3repE0EEENS1_30default_config_static_selectorELNS0_4arch9wavefront6targetE1EEEvT1_ ; -- Begin function _ZN7rocprim17ROCPRIM_400000_NS6detail17trampoline_kernelINS0_14default_configENS1_29reduce_by_key_config_selectorIxjN6thrust23THRUST_200600_302600_NS4plusIjEEEEZZNS1_33reduce_by_key_impl_wrapped_configILNS1_25lookback_scan_determinismE0ES3_S9_NS6_6detail15normal_iteratorINS6_10device_ptrIxEEEENSD_INSE_IjEEEESG_SI_PmS8_NS6_8equal_toIxEEEE10hipError_tPvRmT2_T3_mT4_T5_T6_T7_T8_P12ihipStream_tbENKUlT_T0_E_clISt17integral_constantIbLb0EES13_EEDaSY_SZ_EUlSY_E_NS1_11comp_targetILNS1_3genE5ELNS1_11target_archE942ELNS1_3gpuE9ELNS1_3repE0EEENS1_30default_config_static_selectorELNS0_4arch9wavefront6targetE1EEEvT1_
	.globl	_ZN7rocprim17ROCPRIM_400000_NS6detail17trampoline_kernelINS0_14default_configENS1_29reduce_by_key_config_selectorIxjN6thrust23THRUST_200600_302600_NS4plusIjEEEEZZNS1_33reduce_by_key_impl_wrapped_configILNS1_25lookback_scan_determinismE0ES3_S9_NS6_6detail15normal_iteratorINS6_10device_ptrIxEEEENSD_INSE_IjEEEESG_SI_PmS8_NS6_8equal_toIxEEEE10hipError_tPvRmT2_T3_mT4_T5_T6_T7_T8_P12ihipStream_tbENKUlT_T0_E_clISt17integral_constantIbLb0EES13_EEDaSY_SZ_EUlSY_E_NS1_11comp_targetILNS1_3genE5ELNS1_11target_archE942ELNS1_3gpuE9ELNS1_3repE0EEENS1_30default_config_static_selectorELNS0_4arch9wavefront6targetE1EEEvT1_
	.p2align	8
	.type	_ZN7rocprim17ROCPRIM_400000_NS6detail17trampoline_kernelINS0_14default_configENS1_29reduce_by_key_config_selectorIxjN6thrust23THRUST_200600_302600_NS4plusIjEEEEZZNS1_33reduce_by_key_impl_wrapped_configILNS1_25lookback_scan_determinismE0ES3_S9_NS6_6detail15normal_iteratorINS6_10device_ptrIxEEEENSD_INSE_IjEEEESG_SI_PmS8_NS6_8equal_toIxEEEE10hipError_tPvRmT2_T3_mT4_T5_T6_T7_T8_P12ihipStream_tbENKUlT_T0_E_clISt17integral_constantIbLb0EES13_EEDaSY_SZ_EUlSY_E_NS1_11comp_targetILNS1_3genE5ELNS1_11target_archE942ELNS1_3gpuE9ELNS1_3repE0EEENS1_30default_config_static_selectorELNS0_4arch9wavefront6targetE1EEEvT1_,@function
_ZN7rocprim17ROCPRIM_400000_NS6detail17trampoline_kernelINS0_14default_configENS1_29reduce_by_key_config_selectorIxjN6thrust23THRUST_200600_302600_NS4plusIjEEEEZZNS1_33reduce_by_key_impl_wrapped_configILNS1_25lookback_scan_determinismE0ES3_S9_NS6_6detail15normal_iteratorINS6_10device_ptrIxEEEENSD_INSE_IjEEEESG_SI_PmS8_NS6_8equal_toIxEEEE10hipError_tPvRmT2_T3_mT4_T5_T6_T7_T8_P12ihipStream_tbENKUlT_T0_E_clISt17integral_constantIbLb0EES13_EEDaSY_SZ_EUlSY_E_NS1_11comp_targetILNS1_3genE5ELNS1_11target_archE942ELNS1_3gpuE9ELNS1_3repE0EEENS1_30default_config_static_selectorELNS0_4arch9wavefront6targetE1EEEvT1_: ; @_ZN7rocprim17ROCPRIM_400000_NS6detail17trampoline_kernelINS0_14default_configENS1_29reduce_by_key_config_selectorIxjN6thrust23THRUST_200600_302600_NS4plusIjEEEEZZNS1_33reduce_by_key_impl_wrapped_configILNS1_25lookback_scan_determinismE0ES3_S9_NS6_6detail15normal_iteratorINS6_10device_ptrIxEEEENSD_INSE_IjEEEESG_SI_PmS8_NS6_8equal_toIxEEEE10hipError_tPvRmT2_T3_mT4_T5_T6_T7_T8_P12ihipStream_tbENKUlT_T0_E_clISt17integral_constantIbLb0EES13_EEDaSY_SZ_EUlSY_E_NS1_11comp_targetILNS1_3genE5ELNS1_11target_archE942ELNS1_3gpuE9ELNS1_3repE0EEENS1_30default_config_static_selectorELNS0_4arch9wavefront6targetE1EEEvT1_
; %bb.0:
	.section	.rodata,"a",@progbits
	.p2align	6, 0x0
	.amdhsa_kernel _ZN7rocprim17ROCPRIM_400000_NS6detail17trampoline_kernelINS0_14default_configENS1_29reduce_by_key_config_selectorIxjN6thrust23THRUST_200600_302600_NS4plusIjEEEEZZNS1_33reduce_by_key_impl_wrapped_configILNS1_25lookback_scan_determinismE0ES3_S9_NS6_6detail15normal_iteratorINS6_10device_ptrIxEEEENSD_INSE_IjEEEESG_SI_PmS8_NS6_8equal_toIxEEEE10hipError_tPvRmT2_T3_mT4_T5_T6_T7_T8_P12ihipStream_tbENKUlT_T0_E_clISt17integral_constantIbLb0EES13_EEDaSY_SZ_EUlSY_E_NS1_11comp_targetILNS1_3genE5ELNS1_11target_archE942ELNS1_3gpuE9ELNS1_3repE0EEENS1_30default_config_static_selectorELNS0_4arch9wavefront6targetE1EEEvT1_
		.amdhsa_group_segment_fixed_size 0
		.amdhsa_private_segment_fixed_size 0
		.amdhsa_kernarg_size 120
		.amdhsa_user_sgpr_count 6
		.amdhsa_user_sgpr_private_segment_buffer 1
		.amdhsa_user_sgpr_dispatch_ptr 0
		.amdhsa_user_sgpr_queue_ptr 0
		.amdhsa_user_sgpr_kernarg_segment_ptr 1
		.amdhsa_user_sgpr_dispatch_id 0
		.amdhsa_user_sgpr_flat_scratch_init 0
		.amdhsa_user_sgpr_kernarg_preload_length 0
		.amdhsa_user_sgpr_kernarg_preload_offset 0
		.amdhsa_user_sgpr_private_segment_size 0
		.amdhsa_uses_dynamic_stack 0
		.amdhsa_system_sgpr_private_segment_wavefront_offset 0
		.amdhsa_system_sgpr_workgroup_id_x 1
		.amdhsa_system_sgpr_workgroup_id_y 0
		.amdhsa_system_sgpr_workgroup_id_z 0
		.amdhsa_system_sgpr_workgroup_info 0
		.amdhsa_system_vgpr_workitem_id 0
		.amdhsa_next_free_vgpr 1
		.amdhsa_next_free_sgpr 0
		.amdhsa_accum_offset 4
		.amdhsa_reserve_vcc 0
		.amdhsa_reserve_flat_scratch 0
		.amdhsa_float_round_mode_32 0
		.amdhsa_float_round_mode_16_64 0
		.amdhsa_float_denorm_mode_32 3
		.amdhsa_float_denorm_mode_16_64 3
		.amdhsa_dx10_clamp 1
		.amdhsa_ieee_mode 1
		.amdhsa_fp16_overflow 0
		.amdhsa_tg_split 0
		.amdhsa_exception_fp_ieee_invalid_op 0
		.amdhsa_exception_fp_denorm_src 0
		.amdhsa_exception_fp_ieee_div_zero 0
		.amdhsa_exception_fp_ieee_overflow 0
		.amdhsa_exception_fp_ieee_underflow 0
		.amdhsa_exception_fp_ieee_inexact 0
		.amdhsa_exception_int_div_zero 0
	.end_amdhsa_kernel
	.section	.text._ZN7rocprim17ROCPRIM_400000_NS6detail17trampoline_kernelINS0_14default_configENS1_29reduce_by_key_config_selectorIxjN6thrust23THRUST_200600_302600_NS4plusIjEEEEZZNS1_33reduce_by_key_impl_wrapped_configILNS1_25lookback_scan_determinismE0ES3_S9_NS6_6detail15normal_iteratorINS6_10device_ptrIxEEEENSD_INSE_IjEEEESG_SI_PmS8_NS6_8equal_toIxEEEE10hipError_tPvRmT2_T3_mT4_T5_T6_T7_T8_P12ihipStream_tbENKUlT_T0_E_clISt17integral_constantIbLb0EES13_EEDaSY_SZ_EUlSY_E_NS1_11comp_targetILNS1_3genE5ELNS1_11target_archE942ELNS1_3gpuE9ELNS1_3repE0EEENS1_30default_config_static_selectorELNS0_4arch9wavefront6targetE1EEEvT1_,"axG",@progbits,_ZN7rocprim17ROCPRIM_400000_NS6detail17trampoline_kernelINS0_14default_configENS1_29reduce_by_key_config_selectorIxjN6thrust23THRUST_200600_302600_NS4plusIjEEEEZZNS1_33reduce_by_key_impl_wrapped_configILNS1_25lookback_scan_determinismE0ES3_S9_NS6_6detail15normal_iteratorINS6_10device_ptrIxEEEENSD_INSE_IjEEEESG_SI_PmS8_NS6_8equal_toIxEEEE10hipError_tPvRmT2_T3_mT4_T5_T6_T7_T8_P12ihipStream_tbENKUlT_T0_E_clISt17integral_constantIbLb0EES13_EEDaSY_SZ_EUlSY_E_NS1_11comp_targetILNS1_3genE5ELNS1_11target_archE942ELNS1_3gpuE9ELNS1_3repE0EEENS1_30default_config_static_selectorELNS0_4arch9wavefront6targetE1EEEvT1_,comdat
.Lfunc_end770:
	.size	_ZN7rocprim17ROCPRIM_400000_NS6detail17trampoline_kernelINS0_14default_configENS1_29reduce_by_key_config_selectorIxjN6thrust23THRUST_200600_302600_NS4plusIjEEEEZZNS1_33reduce_by_key_impl_wrapped_configILNS1_25lookback_scan_determinismE0ES3_S9_NS6_6detail15normal_iteratorINS6_10device_ptrIxEEEENSD_INSE_IjEEEESG_SI_PmS8_NS6_8equal_toIxEEEE10hipError_tPvRmT2_T3_mT4_T5_T6_T7_T8_P12ihipStream_tbENKUlT_T0_E_clISt17integral_constantIbLb0EES13_EEDaSY_SZ_EUlSY_E_NS1_11comp_targetILNS1_3genE5ELNS1_11target_archE942ELNS1_3gpuE9ELNS1_3repE0EEENS1_30default_config_static_selectorELNS0_4arch9wavefront6targetE1EEEvT1_, .Lfunc_end770-_ZN7rocprim17ROCPRIM_400000_NS6detail17trampoline_kernelINS0_14default_configENS1_29reduce_by_key_config_selectorIxjN6thrust23THRUST_200600_302600_NS4plusIjEEEEZZNS1_33reduce_by_key_impl_wrapped_configILNS1_25lookback_scan_determinismE0ES3_S9_NS6_6detail15normal_iteratorINS6_10device_ptrIxEEEENSD_INSE_IjEEEESG_SI_PmS8_NS6_8equal_toIxEEEE10hipError_tPvRmT2_T3_mT4_T5_T6_T7_T8_P12ihipStream_tbENKUlT_T0_E_clISt17integral_constantIbLb0EES13_EEDaSY_SZ_EUlSY_E_NS1_11comp_targetILNS1_3genE5ELNS1_11target_archE942ELNS1_3gpuE9ELNS1_3repE0EEENS1_30default_config_static_selectorELNS0_4arch9wavefront6targetE1EEEvT1_
                                        ; -- End function
	.section	.AMDGPU.csdata,"",@progbits
; Kernel info:
; codeLenInByte = 0
; NumSgprs: 4
; NumVgprs: 0
; NumAgprs: 0
; TotalNumVgprs: 0
; ScratchSize: 0
; MemoryBound: 0
; FloatMode: 240
; IeeeMode: 1
; LDSByteSize: 0 bytes/workgroup (compile time only)
; SGPRBlocks: 0
; VGPRBlocks: 0
; NumSGPRsForWavesPerEU: 4
; NumVGPRsForWavesPerEU: 1
; AccumOffset: 4
; Occupancy: 8
; WaveLimiterHint : 0
; COMPUTE_PGM_RSRC2:SCRATCH_EN: 0
; COMPUTE_PGM_RSRC2:USER_SGPR: 6
; COMPUTE_PGM_RSRC2:TRAP_HANDLER: 0
; COMPUTE_PGM_RSRC2:TGID_X_EN: 1
; COMPUTE_PGM_RSRC2:TGID_Y_EN: 0
; COMPUTE_PGM_RSRC2:TGID_Z_EN: 0
; COMPUTE_PGM_RSRC2:TIDIG_COMP_CNT: 0
; COMPUTE_PGM_RSRC3_GFX90A:ACCUM_OFFSET: 0
; COMPUTE_PGM_RSRC3_GFX90A:TG_SPLIT: 0
	.section	.text._ZN7rocprim17ROCPRIM_400000_NS6detail17trampoline_kernelINS0_14default_configENS1_29reduce_by_key_config_selectorIxjN6thrust23THRUST_200600_302600_NS4plusIjEEEEZZNS1_33reduce_by_key_impl_wrapped_configILNS1_25lookback_scan_determinismE0ES3_S9_NS6_6detail15normal_iteratorINS6_10device_ptrIxEEEENSD_INSE_IjEEEESG_SI_PmS8_NS6_8equal_toIxEEEE10hipError_tPvRmT2_T3_mT4_T5_T6_T7_T8_P12ihipStream_tbENKUlT_T0_E_clISt17integral_constantIbLb0EES13_EEDaSY_SZ_EUlSY_E_NS1_11comp_targetILNS1_3genE4ELNS1_11target_archE910ELNS1_3gpuE8ELNS1_3repE0EEENS1_30default_config_static_selectorELNS0_4arch9wavefront6targetE1EEEvT1_,"axG",@progbits,_ZN7rocprim17ROCPRIM_400000_NS6detail17trampoline_kernelINS0_14default_configENS1_29reduce_by_key_config_selectorIxjN6thrust23THRUST_200600_302600_NS4plusIjEEEEZZNS1_33reduce_by_key_impl_wrapped_configILNS1_25lookback_scan_determinismE0ES3_S9_NS6_6detail15normal_iteratorINS6_10device_ptrIxEEEENSD_INSE_IjEEEESG_SI_PmS8_NS6_8equal_toIxEEEE10hipError_tPvRmT2_T3_mT4_T5_T6_T7_T8_P12ihipStream_tbENKUlT_T0_E_clISt17integral_constantIbLb0EES13_EEDaSY_SZ_EUlSY_E_NS1_11comp_targetILNS1_3genE4ELNS1_11target_archE910ELNS1_3gpuE8ELNS1_3repE0EEENS1_30default_config_static_selectorELNS0_4arch9wavefront6targetE1EEEvT1_,comdat
	.protected	_ZN7rocprim17ROCPRIM_400000_NS6detail17trampoline_kernelINS0_14default_configENS1_29reduce_by_key_config_selectorIxjN6thrust23THRUST_200600_302600_NS4plusIjEEEEZZNS1_33reduce_by_key_impl_wrapped_configILNS1_25lookback_scan_determinismE0ES3_S9_NS6_6detail15normal_iteratorINS6_10device_ptrIxEEEENSD_INSE_IjEEEESG_SI_PmS8_NS6_8equal_toIxEEEE10hipError_tPvRmT2_T3_mT4_T5_T6_T7_T8_P12ihipStream_tbENKUlT_T0_E_clISt17integral_constantIbLb0EES13_EEDaSY_SZ_EUlSY_E_NS1_11comp_targetILNS1_3genE4ELNS1_11target_archE910ELNS1_3gpuE8ELNS1_3repE0EEENS1_30default_config_static_selectorELNS0_4arch9wavefront6targetE1EEEvT1_ ; -- Begin function _ZN7rocprim17ROCPRIM_400000_NS6detail17trampoline_kernelINS0_14default_configENS1_29reduce_by_key_config_selectorIxjN6thrust23THRUST_200600_302600_NS4plusIjEEEEZZNS1_33reduce_by_key_impl_wrapped_configILNS1_25lookback_scan_determinismE0ES3_S9_NS6_6detail15normal_iteratorINS6_10device_ptrIxEEEENSD_INSE_IjEEEESG_SI_PmS8_NS6_8equal_toIxEEEE10hipError_tPvRmT2_T3_mT4_T5_T6_T7_T8_P12ihipStream_tbENKUlT_T0_E_clISt17integral_constantIbLb0EES13_EEDaSY_SZ_EUlSY_E_NS1_11comp_targetILNS1_3genE4ELNS1_11target_archE910ELNS1_3gpuE8ELNS1_3repE0EEENS1_30default_config_static_selectorELNS0_4arch9wavefront6targetE1EEEvT1_
	.globl	_ZN7rocprim17ROCPRIM_400000_NS6detail17trampoline_kernelINS0_14default_configENS1_29reduce_by_key_config_selectorIxjN6thrust23THRUST_200600_302600_NS4plusIjEEEEZZNS1_33reduce_by_key_impl_wrapped_configILNS1_25lookback_scan_determinismE0ES3_S9_NS6_6detail15normal_iteratorINS6_10device_ptrIxEEEENSD_INSE_IjEEEESG_SI_PmS8_NS6_8equal_toIxEEEE10hipError_tPvRmT2_T3_mT4_T5_T6_T7_T8_P12ihipStream_tbENKUlT_T0_E_clISt17integral_constantIbLb0EES13_EEDaSY_SZ_EUlSY_E_NS1_11comp_targetILNS1_3genE4ELNS1_11target_archE910ELNS1_3gpuE8ELNS1_3repE0EEENS1_30default_config_static_selectorELNS0_4arch9wavefront6targetE1EEEvT1_
	.p2align	8
	.type	_ZN7rocprim17ROCPRIM_400000_NS6detail17trampoline_kernelINS0_14default_configENS1_29reduce_by_key_config_selectorIxjN6thrust23THRUST_200600_302600_NS4plusIjEEEEZZNS1_33reduce_by_key_impl_wrapped_configILNS1_25lookback_scan_determinismE0ES3_S9_NS6_6detail15normal_iteratorINS6_10device_ptrIxEEEENSD_INSE_IjEEEESG_SI_PmS8_NS6_8equal_toIxEEEE10hipError_tPvRmT2_T3_mT4_T5_T6_T7_T8_P12ihipStream_tbENKUlT_T0_E_clISt17integral_constantIbLb0EES13_EEDaSY_SZ_EUlSY_E_NS1_11comp_targetILNS1_3genE4ELNS1_11target_archE910ELNS1_3gpuE8ELNS1_3repE0EEENS1_30default_config_static_selectorELNS0_4arch9wavefront6targetE1EEEvT1_,@function
_ZN7rocprim17ROCPRIM_400000_NS6detail17trampoline_kernelINS0_14default_configENS1_29reduce_by_key_config_selectorIxjN6thrust23THRUST_200600_302600_NS4plusIjEEEEZZNS1_33reduce_by_key_impl_wrapped_configILNS1_25lookback_scan_determinismE0ES3_S9_NS6_6detail15normal_iteratorINS6_10device_ptrIxEEEENSD_INSE_IjEEEESG_SI_PmS8_NS6_8equal_toIxEEEE10hipError_tPvRmT2_T3_mT4_T5_T6_T7_T8_P12ihipStream_tbENKUlT_T0_E_clISt17integral_constantIbLb0EES13_EEDaSY_SZ_EUlSY_E_NS1_11comp_targetILNS1_3genE4ELNS1_11target_archE910ELNS1_3gpuE8ELNS1_3repE0EEENS1_30default_config_static_selectorELNS0_4arch9wavefront6targetE1EEEvT1_: ; @_ZN7rocprim17ROCPRIM_400000_NS6detail17trampoline_kernelINS0_14default_configENS1_29reduce_by_key_config_selectorIxjN6thrust23THRUST_200600_302600_NS4plusIjEEEEZZNS1_33reduce_by_key_impl_wrapped_configILNS1_25lookback_scan_determinismE0ES3_S9_NS6_6detail15normal_iteratorINS6_10device_ptrIxEEEENSD_INSE_IjEEEESG_SI_PmS8_NS6_8equal_toIxEEEE10hipError_tPvRmT2_T3_mT4_T5_T6_T7_T8_P12ihipStream_tbENKUlT_T0_E_clISt17integral_constantIbLb0EES13_EEDaSY_SZ_EUlSY_E_NS1_11comp_targetILNS1_3genE4ELNS1_11target_archE910ELNS1_3gpuE8ELNS1_3repE0EEENS1_30default_config_static_selectorELNS0_4arch9wavefront6targetE1EEEvT1_
; %bb.0:
	s_load_dwordx8 s[36:43], s[4:5], 0x0
	s_load_dwordx4 s[52:55], s[4:5], 0x20
	s_load_dwordx8 s[44:51], s[4:5], 0x38
	s_load_dwordx2 s[60:61], s[4:5], 0x68
	s_load_dwordx4 s[56:59], s[4:5], 0x58
	s_waitcnt lgkmcnt(0)
	s_lshl_b64 s[0:1], s[38:39], 3
	s_add_u32 s4, s36, s0
	s_addc_u32 s5, s37, s1
	s_lshl_b64 s[0:1], s[38:39], 2
	s_add_u32 s8, s40, s0
	s_addc_u32 s9, s41, s1
	s_mul_i32 s0, s48, s47
	s_mul_hi_u32 s1, s48, s46
	s_add_i32 s0, s1, s0
	s_mul_i32 s1, s49, s46
	s_add_i32 s10, s0, s1
	s_mul_i32 s0, s6, 0xf00
	s_mov_b32 s1, 0
	s_lshl_b64 s[2:3], s[0:1], 3
	s_add_u32 s7, s4, s2
	s_addc_u32 s62, s5, s3
	s_lshl_b64 s[0:1], s[0:1], 2
	s_mul_i32 s11, s48, s46
	s_add_u32 s48, s8, s0
	s_addc_u32 s49, s9, s1
	s_add_u32 s38, s11, s6
	s_addc_u32 s39, s10, 0
	s_add_u32 s2, s50, -1
	s_addc_u32 s3, s51, -1
	s_cmp_eq_u64 s[38:39], s[2:3]
	s_cselect_b64 s[34:35], -1, 0
	s_cmp_lg_u64 s[38:39], s[2:3]
	s_mov_b64 s[0:1], -1
	s_cselect_b64 s[40:41], -1, 0
	s_mul_i32 s33, s2, 0xfffff100
	s_and_b64 vcc, exec, s[34:35]
	v_mad_u32_u24 v50, v0, 15, 1
	v_mad_u32_u24 v52, v0, 15, 2
	;; [unrolled: 1-line block ×14, first 2 shown]
	s_cbranch_vccnz .LBB771_2
; %bb.1:
	v_lshlrev_b32_e32 v1, 3, v0
	v_mov_b32_e32 v3, s62
	v_add_co_u32_e32 v2, vcc, s7, v1
	v_addc_co_u32_e32 v3, vcc, 0, v3, vcc
	v_add_co_u32_e32 v4, vcc, 0x1000, v2
	v_addc_co_u32_e32 v5, vcc, 0, v3, vcc
	flat_load_dwordx2 v[6:7], v[2:3]
	flat_load_dwordx2 v[8:9], v[2:3] offset:2048
	flat_load_dwordx2 v[10:11], v[4:5]
	flat_load_dwordx2 v[12:13], v[4:5] offset:2048
	v_add_co_u32_e32 v4, vcc, 0x2000, v2
	v_addc_co_u32_e32 v5, vcc, 0, v3, vcc
	v_add_co_u32_e32 v14, vcc, 0x3000, v2
	v_addc_co_u32_e32 v15, vcc, 0, v3, vcc
	flat_load_dwordx2 v[16:17], v[4:5]
	flat_load_dwordx2 v[18:19], v[4:5] offset:2048
	flat_load_dwordx2 v[20:21], v[14:15]
	flat_load_dwordx2 v[22:23], v[14:15] offset:2048
	v_add_co_u32_e32 v4, vcc, 0x4000, v2
	v_addc_co_u32_e32 v5, vcc, 0, v3, vcc
	v_add_co_u32_e32 v14, vcc, 0x5000, v2
	v_addc_co_u32_e32 v15, vcc, 0, v3, vcc
	flat_load_dwordx2 v[24:25], v[4:5]
	flat_load_dwordx2 v[26:27], v[4:5] offset:2048
	flat_load_dwordx2 v[28:29], v[14:15]
	flat_load_dwordx2 v[30:31], v[14:15] offset:2048
	v_add_co_u32_e32 v4, vcc, 0x6000, v2
	v_addc_co_u32_e32 v5, vcc, 0, v3, vcc
	v_add_co_u32_e32 v2, vcc, 0x7000, v2
	v_addc_co_u32_e32 v3, vcc, 0, v3, vcc
	flat_load_dwordx2 v[14:15], v[4:5]
	flat_load_dwordx2 v[32:33], v[4:5] offset:2048
	flat_load_dwordx2 v[34:35], v[2:3]
	v_lshlrev_b32_e32 v2, 2, v0
	v_mov_b32_e32 v3, s49
	v_add_co_u32_e32 v36, vcc, s48, v2
	s_movk_i32 s0, 0x1000
	v_addc_co_u32_e32 v37, vcc, 0, v3, vcc
	s_movk_i32 s3, 0x70
	s_movk_i32 s1, 0x2000
	v_mad_u32_u24 v38, v0, s3, v1
	s_movk_i32 s2, 0x3000
	s_waitcnt vmcnt(0) lgkmcnt(0)
	ds_write2st64_b64 v1, v[6:7], v[8:9] offset1:4
	ds_write2st64_b64 v1, v[10:11], v[12:13] offset0:8 offset1:12
	ds_write2st64_b64 v1, v[16:17], v[18:19] offset0:16 offset1:20
	;; [unrolled: 1-line block ×6, first 2 shown]
	ds_write_b64 v1, v[34:35] offset:28672
	v_add_co_u32_e32 v30, vcc, s0, v36
	v_addc_co_u32_e32 v31, vcc, 0, v37, vcc
	s_waitcnt lgkmcnt(0)
	s_barrier
	ds_read2_b64 v[26:29], v38 offset1:1
	ds_read2_b64 v[22:25], v38 offset0:2 offset1:3
	ds_read2_b64 v[18:21], v38 offset0:4 offset1:5
	;; [unrolled: 1-line block ×6, first 2 shown]
	ds_read_b64 v[46:47], v38 offset:112
	s_waitcnt lgkmcnt(0)
	s_barrier
	flat_load_dword v44, v[36:37]
	flat_load_dword v45, v[36:37] offset:1024
	flat_load_dword v49, v[36:37] offset:2048
	;; [unrolled: 1-line block ×3, first 2 shown]
	flat_load_dword v53, v[30:31]
	flat_load_dword v55, v[30:31] offset:1024
	flat_load_dword v57, v[30:31] offset:2048
	;; [unrolled: 1-line block ×3, first 2 shown]
	v_add_co_u32_e32 v30, vcc, s1, v36
	v_addc_co_u32_e32 v31, vcc, 0, v37, vcc
	v_add_co_u32_e32 v32, vcc, s2, v36
	v_addc_co_u32_e32 v33, vcc, 0, v37, vcc
	flat_load_dword v61, v[30:31]
	flat_load_dword v63, v[30:31] offset:1024
	flat_load_dword v65, v[30:31] offset:2048
	;; [unrolled: 1-line block ×3, first 2 shown]
	flat_load_dword v69, v[32:33]
	flat_load_dword v71, v[32:33] offset:1024
	flat_load_dword v73, v[32:33] offset:2048
	s_movk_i32 s0, 0xff8c
	v_mul_u32_u24_e32 v1, 15, v0
	v_mad_i32_i24 v75, v0, s0, v38
	v_mov_b32_e32 v30, v26
	v_mov_b32_e32 v31, v27
	;; [unrolled: 1-line block ×14, first 2 shown]
	s_mov_b64 s[0:1], 0
	s_waitcnt vmcnt(0) lgkmcnt(0)
	ds_write2st64_b32 v75, v44, v45 offset1:4
	ds_write2st64_b32 v75, v49, v51 offset0:8 offset1:12
	ds_write2st64_b32 v75, v53, v55 offset0:16 offset1:20
	ds_write2st64_b32 v75, v57, v59 offset0:24 offset1:28
	ds_write2st64_b32 v75, v61, v63 offset0:32 offset1:36
	ds_write2st64_b32 v75, v65, v67 offset0:40 offset1:44
	ds_write2st64_b32 v75, v69, v71 offset0:48 offset1:52
	ds_write_b32 v75, v73 offset:14336
	s_waitcnt lgkmcnt(0)
	s_barrier
	s_branch .LBB771_3
.LBB771_2:
                                        ; implicit-def: $vgpr46_vgpr47
                                        ; implicit-def: $vgpr2_vgpr3
                                        ; implicit-def: $vgpr6_vgpr7
                                        ; implicit-def: $vgpr10_vgpr11
                                        ; implicit-def: $vgpr14_vgpr15
                                        ; implicit-def: $vgpr18_vgpr19
                                        ; implicit-def: $vgpr22_vgpr23
                                        ; implicit-def: $vgpr26_vgpr27
                                        ; implicit-def: $vgpr1
                                        ; implicit-def: $vgpr38_vgpr39_vgpr40_vgpr41
                                        ; implicit-def: $vgpr34_vgpr35_vgpr36_vgpr37
                                        ; implicit-def: $vgpr30_vgpr31_vgpr32_vgpr33
                                        ; implicit-def: $vgpr42_vgpr43_vgpr44_vgpr45
.LBB771_3:
	s_add_i32 s33, s33, s56
	s_andn2_b64 vcc, exec, s[0:1]
	v_mov_b32_e32 v75, v48
	v_mov_b32_e32 v76, v74
	;; [unrolled: 1-line block ×14, first 2 shown]
	s_cbranch_vccnz .LBB771_65
; %bb.4:
	v_cmp_gt_u32_e32 vcc, s33, v0
                                        ; implicit-def: $vgpr2_vgpr3
	s_and_saveexec_b64 s[2:3], vcc
	s_cbranch_execz .LBB771_6
; %bb.5:
	v_lshlrev_b32_e32 v1, 3, v0
	v_mov_b32_e32 v3, s62
	v_add_co_u32_e64 v2, s[0:1], s7, v1
	v_addc_co_u32_e64 v3, s[0:1], 0, v3, s[0:1]
	flat_load_dwordx2 v[2:3], v[2:3]
.LBB771_6:
	s_or_b64 exec, exec, s[2:3]
	v_or_b32_e32 v1, 0x100, v0
	v_cmp_gt_u32_e64 s[0:1], s33, v1
                                        ; implicit-def: $vgpr4_vgpr5
	s_and_saveexec_b64 s[4:5], s[0:1]
	s_cbranch_execz .LBB771_8
; %bb.7:
	v_lshlrev_b32_e32 v1, 3, v0
	v_mov_b32_e32 v5, s62
	v_add_co_u32_e64 v4, s[2:3], s7, v1
	v_addc_co_u32_e64 v5, s[2:3], 0, v5, s[2:3]
	flat_load_dwordx2 v[4:5], v[4:5] offset:2048
.LBB771_8:
	s_or_b64 exec, exec, s[4:5]
	v_or_b32_e32 v1, 0x200, v0
	v_cmp_gt_u32_e64 s[2:3], s33, v1
                                        ; implicit-def: $vgpr6_vgpr7
	s_and_saveexec_b64 s[8:9], s[2:3]
	s_cbranch_execz .LBB771_10
; %bb.9:
	v_lshlrev_b32_e32 v1, 3, v1
	v_mov_b32_e32 v7, s62
	v_add_co_u32_e64 v6, s[4:5], s7, v1
	v_addc_co_u32_e64 v7, s[4:5], 0, v7, s[4:5]
	flat_load_dwordx2 v[6:7], v[6:7]
.LBB771_10:
	s_or_b64 exec, exec, s[8:9]
	v_or_b32_e32 v1, 0x300, v0
	v_cmp_gt_u32_e64 s[4:5], s33, v1
                                        ; implicit-def: $vgpr8_vgpr9
	s_and_saveexec_b64 s[10:11], s[4:5]
	s_cbranch_execz .LBB771_12
; %bb.11:
	v_lshlrev_b32_e32 v1, 3, v1
	v_mov_b32_e32 v9, s62
	v_add_co_u32_e64 v8, s[8:9], s7, v1
	v_addc_co_u32_e64 v9, s[8:9], 0, v9, s[8:9]
	flat_load_dwordx2 v[8:9], v[8:9]
.LBB771_12:
	s_or_b64 exec, exec, s[10:11]
	v_or_b32_e32 v1, 0x400, v0
	v_cmp_gt_u32_e64 s[28:29], s33, v1
                                        ; implicit-def: $vgpr10_vgpr11
	s_and_saveexec_b64 s[10:11], s[28:29]
	s_cbranch_execz .LBB771_14
; %bb.13:
	v_lshlrev_b32_e32 v10, 3, v1
	v_mov_b32_e32 v11, s62
	v_add_co_u32_e64 v10, s[8:9], s7, v10
	v_addc_co_u32_e64 v11, s[8:9], 0, v11, s[8:9]
	flat_load_dwordx2 v[10:11], v[10:11]
.LBB771_14:
	s_or_b64 exec, exec, s[10:11]
	v_or_b32_e32 v33, 0x500, v0
	v_cmp_gt_u32_e64 s[8:9], s33, v33
                                        ; implicit-def: $vgpr12_vgpr13
	s_and_saveexec_b64 s[12:13], s[8:9]
	s_cbranch_execz .LBB771_16
; %bb.15:
	v_lshlrev_b32_e32 v12, 3, v33
	v_mov_b32_e32 v13, s62
	v_add_co_u32_e64 v12, s[10:11], s7, v12
	v_addc_co_u32_e64 v13, s[10:11], 0, v13, s[10:11]
	flat_load_dwordx2 v[12:13], v[12:13]
.LBB771_16:
	s_or_b64 exec, exec, s[12:13]
	v_or_b32_e32 v34, 0x600, v0
	v_cmp_gt_u32_e64 s[10:11], s33, v34
                                        ; implicit-def: $vgpr14_vgpr15
	s_and_saveexec_b64 s[14:15], s[10:11]
	s_cbranch_execz .LBB771_18
; %bb.17:
	v_lshlrev_b32_e32 v14, 3, v34
	v_mov_b32_e32 v15, s62
	v_add_co_u32_e64 v14, s[12:13], s7, v14
	v_addc_co_u32_e64 v15, s[12:13], 0, v15, s[12:13]
	flat_load_dwordx2 v[14:15], v[14:15]
.LBB771_18:
	s_or_b64 exec, exec, s[14:15]
	v_or_b32_e32 v35, 0x700, v0
	v_cmp_gt_u32_e64 s[12:13], s33, v35
                                        ; implicit-def: $vgpr16_vgpr17
	s_and_saveexec_b64 s[16:17], s[12:13]
	s_cbranch_execz .LBB771_20
; %bb.19:
	v_lshlrev_b32_e32 v16, 3, v35
	v_mov_b32_e32 v17, s62
	v_add_co_u32_e64 v16, s[14:15], s7, v16
	v_addc_co_u32_e64 v17, s[14:15], 0, v17, s[14:15]
	flat_load_dwordx2 v[16:17], v[16:17]
.LBB771_20:
	s_or_b64 exec, exec, s[16:17]
	v_or_b32_e32 v36, 0x800, v0
	v_cmp_gt_u32_e64 s[14:15], s33, v36
                                        ; implicit-def: $vgpr18_vgpr19
	s_and_saveexec_b64 s[18:19], s[14:15]
	s_cbranch_execz .LBB771_22
; %bb.21:
	v_lshlrev_b32_e32 v18, 3, v36
	v_mov_b32_e32 v19, s62
	v_add_co_u32_e64 v18, s[16:17], s7, v18
	v_addc_co_u32_e64 v19, s[16:17], 0, v19, s[16:17]
	flat_load_dwordx2 v[18:19], v[18:19]
.LBB771_22:
	s_or_b64 exec, exec, s[18:19]
	v_or_b32_e32 v37, 0x900, v0
	v_cmp_gt_u32_e64 s[16:17], s33, v37
                                        ; implicit-def: $vgpr20_vgpr21
	s_and_saveexec_b64 s[20:21], s[16:17]
	s_cbranch_execz .LBB771_24
; %bb.23:
	v_lshlrev_b32_e32 v20, 3, v37
	v_mov_b32_e32 v21, s62
	v_add_co_u32_e64 v20, s[18:19], s7, v20
	v_addc_co_u32_e64 v21, s[18:19], 0, v21, s[18:19]
	flat_load_dwordx2 v[20:21], v[20:21]
.LBB771_24:
	s_or_b64 exec, exec, s[20:21]
	v_or_b32_e32 v38, 0xa00, v0
	v_cmp_gt_u32_e64 s[18:19], s33, v38
                                        ; implicit-def: $vgpr22_vgpr23
	s_and_saveexec_b64 s[22:23], s[18:19]
	s_cbranch_execz .LBB771_26
; %bb.25:
	v_lshlrev_b32_e32 v22, 3, v38
	v_mov_b32_e32 v23, s62
	v_add_co_u32_e64 v22, s[20:21], s7, v22
	v_addc_co_u32_e64 v23, s[20:21], 0, v23, s[20:21]
	flat_load_dwordx2 v[22:23], v[22:23]
.LBB771_26:
	s_or_b64 exec, exec, s[22:23]
	v_or_b32_e32 v40, 0xb00, v0
	v_cmp_gt_u32_e64 s[20:21], s33, v40
                                        ; implicit-def: $vgpr24_vgpr25
	s_and_saveexec_b64 s[24:25], s[20:21]
	s_cbranch_execz .LBB771_28
; %bb.27:
	v_lshlrev_b32_e32 v24, 3, v40
	v_mov_b32_e32 v25, s62
	v_add_co_u32_e64 v24, s[22:23], s7, v24
	v_addc_co_u32_e64 v25, s[22:23], 0, v25, s[22:23]
	flat_load_dwordx2 v[24:25], v[24:25]
.LBB771_28:
	s_or_b64 exec, exec, s[24:25]
	v_or_b32_e32 v41, 0xc00, v0
	v_cmp_gt_u32_e64 s[22:23], s33, v41
                                        ; implicit-def: $vgpr26_vgpr27
	s_and_saveexec_b64 s[26:27], s[22:23]
	s_cbranch_execz .LBB771_30
; %bb.29:
	v_lshlrev_b32_e32 v26, 3, v41
	v_mov_b32_e32 v27, s62
	v_add_co_u32_e64 v26, s[24:25], s7, v26
	v_addc_co_u32_e64 v27, s[24:25], 0, v27, s[24:25]
	flat_load_dwordx2 v[26:27], v[26:27]
.LBB771_30:
	s_or_b64 exec, exec, s[26:27]
	v_or_b32_e32 v42, 0xd00, v0
	v_cmp_gt_u32_e64 s[24:25], s33, v42
                                        ; implicit-def: $vgpr28_vgpr29
	s_and_saveexec_b64 s[30:31], s[24:25]
	s_cbranch_execz .LBB771_32
; %bb.31:
	v_lshlrev_b32_e32 v28, 3, v42
	v_mov_b32_e32 v29, s62
	v_add_co_u32_e64 v28, s[26:27], s7, v28
	v_addc_co_u32_e64 v29, s[26:27], 0, v29, s[26:27]
	flat_load_dwordx2 v[28:29], v[28:29]
.LBB771_32:
	s_or_b64 exec, exec, s[30:31]
	v_or_b32_e32 v43, 0xe00, v0
	v_cmp_gt_u32_e64 s[26:27], s33, v43
                                        ; implicit-def: $vgpr30_vgpr31
	s_and_saveexec_b64 s[36:37], s[26:27]
	s_cbranch_execz .LBB771_34
; %bb.33:
	v_lshlrev_b32_e32 v30, 3, v43
	v_mov_b32_e32 v31, s62
	v_add_co_u32_e64 v30, s[30:31], s7, v30
	v_addc_co_u32_e64 v31, s[30:31], 0, v31, s[30:31]
	flat_load_dwordx2 v[30:31], v[30:31]
.LBB771_34:
	s_or_b64 exec, exec, s[36:37]
	v_lshlrev_b32_e32 v32, 3, v0
	s_movk_i32 s30, 0x70
	s_waitcnt vmcnt(0) lgkmcnt(0)
	ds_write2st64_b64 v32, v[2:3], v[4:5] offset1:4
	ds_write2st64_b64 v32, v[6:7], v[8:9] offset0:8 offset1:12
	ds_write2st64_b64 v32, v[10:11], v[12:13] offset0:16 offset1:20
	;; [unrolled: 1-line block ×6, first 2 shown]
	ds_write_b64 v32, v[30:31] offset:28672
	v_mad_u32_u24 v30, v0, s30, v32
	s_waitcnt lgkmcnt(0)
	s_barrier
	ds_read2_b64 v[26:29], v30 offset1:1
	ds_read2_b64 v[22:25], v30 offset0:2 offset1:3
	ds_read2_b64 v[18:21], v30 offset0:4 offset1:5
	;; [unrolled: 1-line block ×6, first 2 shown]
	ds_read_b64 v[46:47], v30 offset:112
	s_waitcnt lgkmcnt(0)
	s_barrier
	s_waitcnt lgkmcnt(0)
                                        ; implicit-def: $vgpr31
	s_and_saveexec_b64 s[30:31], vcc
	s_cbranch_execz .LBB771_48
; %bb.35:
	v_lshlrev_b32_e32 v31, 2, v0
	v_mov_b32_e32 v32, s49
	v_add_co_u32_e32 v44, vcc, s48, v31
	v_addc_co_u32_e32 v45, vcc, 0, v32, vcc
	flat_load_dword v31, v[44:45]
	s_or_b64 exec, exec, s[30:31]
                                        ; implicit-def: $vgpr32
	s_and_saveexec_b64 s[30:31], s[0:1]
	s_cbranch_execnz .LBB771_49
.LBB771_36:
	s_or_b64 exec, exec, s[30:31]
                                        ; implicit-def: $vgpr39
	s_and_saveexec_b64 s[0:1], s[2:3]
	s_cbranch_execz .LBB771_50
.LBB771_37:
	v_lshlrev_b32_e32 v39, 2, v0
	v_mov_b32_e32 v45, s49
	v_add_co_u32_e32 v44, vcc, s48, v39
	v_addc_co_u32_e32 v45, vcc, 0, v45, vcc
	flat_load_dword v39, v[44:45] offset:2048
	s_or_b64 exec, exec, s[0:1]
                                        ; implicit-def: $vgpr44
	s_and_saveexec_b64 s[0:1], s[4:5]
	s_cbranch_execnz .LBB771_51
.LBB771_38:
	s_or_b64 exec, exec, s[0:1]
                                        ; implicit-def: $vgpr45
	s_and_saveexec_b64 s[0:1], s[28:29]
	s_cbranch_execz .LBB771_52
.LBB771_39:
	v_lshlrev_b32_e32 v1, 2, v1
	v_mov_b32_e32 v45, s49
	v_add_co_u32_e32 v76, vcc, s48, v1
	v_addc_co_u32_e32 v77, vcc, 0, v45, vcc
	flat_load_dword v45, v[76:77]
	s_or_b64 exec, exec, s[0:1]
                                        ; implicit-def: $vgpr49
	s_and_saveexec_b64 s[0:1], s[8:9]
	s_cbranch_execnz .LBB771_53
.LBB771_40:
	s_or_b64 exec, exec, s[0:1]
                                        ; implicit-def: $vgpr33
	s_and_saveexec_b64 s[0:1], s[10:11]
	s_cbranch_execz .LBB771_54
.LBB771_41:
	v_lshlrev_b32_e32 v1, 2, v34
	v_mov_b32_e32 v33, s49
	v_add_co_u32_e32 v76, vcc, s48, v1
	v_addc_co_u32_e32 v77, vcc, 0, v33, vcc
	flat_load_dword v33, v[76:77]
	s_or_b64 exec, exec, s[0:1]
                                        ; implicit-def: $vgpr34
	s_and_saveexec_b64 s[0:1], s[12:13]
	s_cbranch_execnz .LBB771_55
.LBB771_42:
	s_or_b64 exec, exec, s[0:1]
                                        ; implicit-def: $vgpr35
	s_and_saveexec_b64 s[0:1], s[14:15]
	s_cbranch_execz .LBB771_56
.LBB771_43:
	v_lshlrev_b32_e32 v1, 2, v36
	v_mov_b32_e32 v35, s49
	v_add_co_u32_e32 v76, vcc, s48, v1
	v_addc_co_u32_e32 v77, vcc, 0, v35, vcc
	flat_load_dword v35, v[76:77]
	s_or_b64 exec, exec, s[0:1]
                                        ; implicit-def: $vgpr36
	s_and_saveexec_b64 s[0:1], s[16:17]
	s_cbranch_execnz .LBB771_57
.LBB771_44:
	s_or_b64 exec, exec, s[0:1]
                                        ; implicit-def: $vgpr37
	s_and_saveexec_b64 s[0:1], s[18:19]
	s_cbranch_execz .LBB771_58
.LBB771_45:
	v_lshlrev_b32_e32 v1, 2, v38
	v_mov_b32_e32 v37, s49
	v_add_co_u32_e32 v76, vcc, s48, v1
	v_addc_co_u32_e32 v77, vcc, 0, v37, vcc
	flat_load_dword v37, v[76:77]
	s_or_b64 exec, exec, s[0:1]
                                        ; implicit-def: $vgpr38
	s_and_saveexec_b64 s[0:1], s[20:21]
	s_cbranch_execnz .LBB771_59
.LBB771_46:
	s_or_b64 exec, exec, s[0:1]
                                        ; implicit-def: $vgpr40
	s_and_saveexec_b64 s[0:1], s[22:23]
	s_cbranch_execz .LBB771_60
.LBB771_47:
	v_lshlrev_b32_e32 v1, 2, v41
	v_mov_b32_e32 v41, s49
	v_add_co_u32_e32 v40, vcc, s48, v1
	v_addc_co_u32_e32 v41, vcc, 0, v41, vcc
	flat_load_dword v40, v[40:41]
	s_or_b64 exec, exec, s[0:1]
                                        ; implicit-def: $vgpr41
	s_and_saveexec_b64 s[0:1], s[24:25]
	s_cbranch_execz .LBB771_62
	s_branch .LBB771_61
.LBB771_48:
	s_or_b64 exec, exec, s[30:31]
                                        ; implicit-def: $vgpr32
	s_and_saveexec_b64 s[30:31], s[0:1]
	s_cbranch_execz .LBB771_36
.LBB771_49:
	v_lshlrev_b32_e32 v32, 2, v0
	v_mov_b32_e32 v39, s49
	v_add_co_u32_e32 v44, vcc, s48, v32
	v_addc_co_u32_e32 v45, vcc, 0, v39, vcc
	flat_load_dword v32, v[44:45] offset:1024
	s_or_b64 exec, exec, s[30:31]
                                        ; implicit-def: $vgpr39
	s_and_saveexec_b64 s[0:1], s[2:3]
	s_cbranch_execnz .LBB771_37
.LBB771_50:
	s_or_b64 exec, exec, s[0:1]
                                        ; implicit-def: $vgpr44
	s_and_saveexec_b64 s[0:1], s[4:5]
	s_cbranch_execz .LBB771_38
.LBB771_51:
	v_lshlrev_b32_e32 v44, 2, v0
	v_mov_b32_e32 v45, s49
	v_add_co_u32_e32 v44, vcc, s48, v44
	v_addc_co_u32_e32 v45, vcc, 0, v45, vcc
	flat_load_dword v44, v[44:45] offset:3072
	s_or_b64 exec, exec, s[0:1]
                                        ; implicit-def: $vgpr45
	s_and_saveexec_b64 s[0:1], s[28:29]
	s_cbranch_execnz .LBB771_39
.LBB771_52:
	s_or_b64 exec, exec, s[0:1]
                                        ; implicit-def: $vgpr49
	s_and_saveexec_b64 s[0:1], s[8:9]
	s_cbranch_execz .LBB771_40
.LBB771_53:
	v_lshlrev_b32_e32 v1, 2, v33
	v_mov_b32_e32 v33, s49
	v_add_co_u32_e32 v76, vcc, s48, v1
	v_addc_co_u32_e32 v77, vcc, 0, v33, vcc
	flat_load_dword v49, v[76:77]
	s_or_b64 exec, exec, s[0:1]
                                        ; implicit-def: $vgpr33
	s_and_saveexec_b64 s[0:1], s[10:11]
	s_cbranch_execnz .LBB771_41
.LBB771_54:
	s_or_b64 exec, exec, s[0:1]
                                        ; implicit-def: $vgpr34
	s_and_saveexec_b64 s[0:1], s[12:13]
	s_cbranch_execz .LBB771_42
.LBB771_55:
	v_lshlrev_b32_e32 v1, 2, v35
	v_mov_b32_e32 v35, s49
	v_add_co_u32_e32 v34, vcc, s48, v1
	v_addc_co_u32_e32 v35, vcc, 0, v35, vcc
	flat_load_dword v34, v[34:35]
	s_or_b64 exec, exec, s[0:1]
                                        ; implicit-def: $vgpr35
	s_and_saveexec_b64 s[0:1], s[14:15]
	s_cbranch_execnz .LBB771_43
.LBB771_56:
	s_or_b64 exec, exec, s[0:1]
                                        ; implicit-def: $vgpr36
	s_and_saveexec_b64 s[0:1], s[16:17]
	s_cbranch_execz .LBB771_44
.LBB771_57:
	v_lshlrev_b32_e32 v1, 2, v37
	v_mov_b32_e32 v37, s49
	v_add_co_u32_e32 v36, vcc, s48, v1
	v_addc_co_u32_e32 v37, vcc, 0, v37, vcc
	flat_load_dword v36, v[36:37]
	s_or_b64 exec, exec, s[0:1]
                                        ; implicit-def: $vgpr37
	s_and_saveexec_b64 s[0:1], s[18:19]
	s_cbranch_execnz .LBB771_45
.LBB771_58:
	s_or_b64 exec, exec, s[0:1]
                                        ; implicit-def: $vgpr38
	s_and_saveexec_b64 s[0:1], s[20:21]
	s_cbranch_execz .LBB771_46
.LBB771_59:
	v_lshlrev_b32_e32 v1, 2, v40
	v_mov_b32_e32 v38, s49
	v_add_co_u32_e32 v76, vcc, s48, v1
	v_addc_co_u32_e32 v77, vcc, 0, v38, vcc
	flat_load_dword v38, v[76:77]
	s_or_b64 exec, exec, s[0:1]
                                        ; implicit-def: $vgpr40
	s_and_saveexec_b64 s[0:1], s[22:23]
	s_cbranch_execnz .LBB771_47
.LBB771_60:
	s_or_b64 exec, exec, s[0:1]
                                        ; implicit-def: $vgpr41
	s_and_saveexec_b64 s[0:1], s[24:25]
	s_cbranch_execz .LBB771_62
.LBB771_61:
	v_lshlrev_b32_e32 v1, 2, v42
	v_mov_b32_e32 v41, s49
	v_add_co_u32_e32 v76, vcc, s48, v1
	v_addc_co_u32_e32 v77, vcc, 0, v41, vcc
	flat_load_dword v41, v[76:77]
.LBB771_62:
	s_or_b64 exec, exec, s[0:1]
	v_mul_u32_u24_e32 v1, 15, v0
                                        ; implicit-def: $vgpr42
	s_and_saveexec_b64 s[0:1], s[26:27]
	s_cbranch_execz .LBB771_64
; %bb.63:
	v_lshlrev_b32_e32 v42, 2, v43
	v_mov_b32_e32 v43, s49
	v_add_co_u32_e32 v42, vcc, s48, v42
	v_addc_co_u32_e32 v43, vcc, 0, v43, vcc
	flat_load_dword v42, v[42:43]
.LBB771_64:
	s_or_b64 exec, exec, s[0:1]
	s_movk_i32 s0, 0xff8c
	v_mad_i32_i24 v30, v0, s0, v30
	v_add_u32_e32 v53, 1, v1
	v_add_u32_e32 v51, 2, v1
	;; [unrolled: 1-line block ×14, first 2 shown]
	s_waitcnt vmcnt(0) lgkmcnt(0)
	ds_write2st64_b32 v30, v31, v32 offset1:4
	ds_write2st64_b32 v30, v39, v44 offset0:8 offset1:12
	ds_write2st64_b32 v30, v45, v49 offset0:16 offset1:20
	;; [unrolled: 1-line block ×6, first 2 shown]
	ds_write_b32 v30, v42 offset:14336
	v_mov_b32_e32 v30, v26
	v_mov_b32_e32 v31, v27
	;; [unrolled: 1-line block ×14, first 2 shown]
	s_waitcnt lgkmcnt(0)
	s_barrier
.LBB771_65:
	v_lshlrev_b32_e32 v1, 2, v1
	v_lshlrev_b32_e32 v44, 2, v53
	;; [unrolled: 1-line block ×8, first 2 shown]
	ds_read_b32 v98, v1
	ds_read_b32 v97, v44
	ds_read_b32 v95, v45
	ds_read_b32 v93, v49
	ds_read_b32 v91, v51
	ds_read_b32 v89, v53
	ds_read_b32 v88, v55
	ds_read_b32 v87, v57
	v_lshlrev_b32_e32 v1, 2, v59
	v_lshlrev_b32_e32 v44, 2, v67
	;; [unrolled: 1-line block ×7, first 2 shown]
	ds_read_b32 v96, v1
	ds_read_b32 v94, v44
	;; [unrolled: 1-line block ×7, first 2 shown]
	s_cmp_eq_u64 s[38:39], 0
	s_cselect_b64 s[36:37], -1, 0
	s_cmp_lg_u64 s[38:39], 0
	s_mov_b64 s[48:49], 0
	s_cselect_b64 s[30:31], -1, 0
	s_and_b64 vcc, exec, s[40:41]
	s_waitcnt lgkmcnt(0)
	s_barrier
	s_cbranch_vccz .LBB771_71
; %bb.66:
	s_and_b64 vcc, exec, s[30:31]
	s_cbranch_vccz .LBB771_132
; %bb.67:
	v_mov_b32_e32 v1, s62
	v_add_co_u32_e64 v44, vcc, -8, s7
	v_addc_co_u32_e32 v45, vcc, -1, v1, vcc
	flat_load_dwordx2 v[44:45], v[44:45]
	v_lshlrev_b32_e32 v1, 3, v0
	v_cmp_ne_u64_e32 vcc, v[4:5], v[46:47]
	v_cmp_ne_u64_e64 s[0:1], v[2:3], v[4:5]
	v_cmp_ne_u64_e64 s[2:3], v[8:9], v[2:3]
	;; [unrolled: 1-line block ×13, first 2 shown]
	v_cmp_ne_u32_e64 s[28:29], 0, v0
	ds_write_b64 v1, v[46:47]
	s_waitcnt lgkmcnt(0)
	s_barrier
	s_and_saveexec_b64 s[40:41], s[28:29]
	s_cbranch_execz .LBB771_69
; %bb.68:
	v_add_u32_e32 v1, -8, v1
	s_waitcnt vmcnt(0)
	ds_read_b64 v[44:45], v1
.LBB771_69:
	s_or_b64 exec, exec, s[40:41]
	v_cndmask_b32_e64 v1, 0, 1, vcc
	v_cndmask_b32_e64 v75, 0, 1, s[0:1]
	v_cndmask_b32_e64 v73, 0, 1, s[2:3]
	;; [unrolled: 1-line block ×13, first 2 shown]
	s_waitcnt vmcnt(0) lgkmcnt(0)
	v_cmp_ne_u64_e64 s[0:1], v[44:45], v[26:27]
	s_mov_b64 s[48:49], -1
.LBB771_70:
                                        ; implicit-def: $sgpr4
	s_branch .LBB771_72
.LBB771_71:
                                        ; implicit-def: $sgpr0_sgpr1
                                        ; implicit-def: $vgpr1
                                        ; implicit-def: $vgpr75
                                        ; implicit-def: $vgpr73
                                        ; implicit-def: $vgpr71
                                        ; implicit-def: $vgpr69
                                        ; implicit-def: $vgpr76
                                        ; implicit-def: $vgpr77
                                        ; implicit-def: $vgpr78
                                        ; implicit-def: $vgpr79
                                        ; implicit-def: $vgpr80
                                        ; implicit-def: $vgpr81
                                        ; implicit-def: $vgpr82
                                        ; implicit-def: $vgpr83
                                        ; implicit-def: $vgpr84
                                        ; implicit-def: $sgpr4
	s_cbranch_execnz .LBB771_136
.LBB771_72:
	v_mov_b32_e32 v70, s4
	s_and_saveexec_b64 s[2:3], s[48:49]
.LBB771_73:
	v_cndmask_b32_e64 v70, 0, 1, s[0:1]
.LBB771_74:
	s_or_b64 exec, exec, s[2:3]
	s_cmp_eq_u64 s[46:47], 0
	v_add3_u32 v30, v84, v70, v83
	s_cselect_b64 s[38:39], -1, 0
	s_cmp_lg_u32 s6, 0
	v_cmp_eq_u32_e64 s[24:25], 0, v84
	v_cmp_eq_u32_e64 s[22:23], 0, v83
	;; [unrolled: 1-line block ×3, first 2 shown]
	v_add3_u32 v101, v30, v82, v81
	v_cmp_eq_u32_e64 s[18:19], 0, v81
	v_cmp_eq_u32_e64 s[16:17], 0, v80
	;; [unrolled: 1-line block ×10, first 2 shown]
	v_cmp_eq_u32_e32 vcc, 0, v1
	v_mbcnt_lo_u32_b32 v100, -1, 0
	v_lshrrev_b32_e32 v72, 6, v0
	v_or_b32_e32 v74, 63, v0
	s_cbranch_scc0 .LBB771_101
; %bb.75:
	v_cndmask_b32_e64 v30, 0, v98, s[24:25]
	v_add_u32_e32 v30, v30, v97
	v_cndmask_b32_e64 v30, 0, v30, s[22:23]
	v_add_u32_e32 v30, v30, v95
	;; [unrolled: 2-line block ×11, first 2 shown]
	v_cndmask_b32_e64 v30, 0, v30, s[2:3]
	v_add3_u32 v31, v101, v80, v79
	v_add_u32_e32 v30, v30, v86
	v_add3_u32 v31, v31, v78, v77
	v_cndmask_b32_e64 v30, 0, v30, s[0:1]
	v_add3_u32 v31, v31, v76, v69
	v_add_u32_e32 v30, v30, v85
	v_add3_u32 v31, v31, v71, v73
	v_cndmask_b32_e32 v30, 0, v30, vcc
	v_add3_u32 v31, v31, v75, v1
	v_add_u32_e32 v30, v30, v99
	v_mbcnt_hi_u32_b32 v39, -1, v100
	v_and_b32_e32 v32, 15, v39
	v_mov_b32_dpp v34, v30 row_shr:1 row_mask:0xf bank_mask:0xf
	v_cmp_eq_u32_e32 vcc, 0, v31
	v_mov_b32_dpp v33, v31 row_shr:1 row_mask:0xf bank_mask:0xf
	v_cndmask_b32_e32 v34, 0, v34, vcc
	v_cmp_eq_u32_e32 vcc, 0, v32
	v_cndmask_b32_e64 v33, v33, 0, vcc
	v_add_u32_e32 v31, v33, v31
	v_cndmask_b32_e64 v33, v34, 0, vcc
	v_add_u32_e32 v30, v33, v30
	v_cmp_eq_u32_e32 vcc, 0, v31
	v_mov_b32_dpp v33, v31 row_shr:2 row_mask:0xf bank_mask:0xf
	v_cmp_lt_u32_e64 s[26:27], 1, v32
	v_mov_b32_dpp v34, v30 row_shr:2 row_mask:0xf bank_mask:0xf
	v_cndmask_b32_e64 v33, 0, v33, s[26:27]
	s_and_b64 vcc, s[26:27], vcc
	v_cndmask_b32_e32 v34, 0, v34, vcc
	v_add_u32_e32 v31, v31, v33
	v_add_u32_e32 v30, v34, v30
	v_cmp_eq_u32_e32 vcc, 0, v31
	v_mov_b32_dpp v33, v31 row_shr:4 row_mask:0xf bank_mask:0xf
	v_cmp_lt_u32_e64 s[26:27], 3, v32
	v_mov_b32_dpp v34, v30 row_shr:4 row_mask:0xf bank_mask:0xf
	v_cndmask_b32_e64 v33, 0, v33, s[26:27]
	s_and_b64 vcc, s[26:27], vcc
	v_cndmask_b32_e32 v34, 0, v34, vcc
	v_add_u32_e32 v31, v33, v31
	v_add_u32_e32 v30, v30, v34
	v_cmp_eq_u32_e32 vcc, 0, v31
	v_cmp_lt_u32_e64 s[26:27], 7, v32
	v_mov_b32_dpp v33, v31 row_shr:8 row_mask:0xf bank_mask:0xf
	v_mov_b32_dpp v34, v30 row_shr:8 row_mask:0xf bank_mask:0xf
	s_and_b64 vcc, s[26:27], vcc
	v_cndmask_b32_e64 v32, 0, v33, s[26:27]
	v_cndmask_b32_e32 v33, 0, v34, vcc
	v_add_u32_e32 v30, v33, v30
	v_add_u32_e32 v31, v32, v31
	v_bfe_i32 v34, v39, 4, 1
	v_mov_b32_dpp v33, v30 row_bcast:15 row_mask:0xf bank_mask:0xf
	v_mov_b32_dpp v32, v31 row_bcast:15 row_mask:0xf bank_mask:0xf
	v_cmp_eq_u32_e32 vcc, 0, v31
	v_cndmask_b32_e32 v33, 0, v33, vcc
	v_and_b32_e32 v32, v34, v32
	v_add_u32_e32 v31, v32, v31
	v_and_b32_e32 v32, v34, v33
	v_add_u32_e32 v32, v32, v30
	v_mov_b32_dpp v30, v31 row_bcast:31 row_mask:0xf bank_mask:0xf
	v_cmp_eq_u32_e32 vcc, 0, v31
	v_cmp_lt_u32_e64 s[26:27], 31, v39
	v_mov_b32_dpp v33, v32 row_bcast:31 row_mask:0xf bank_mask:0xf
	v_cndmask_b32_e64 v30, 0, v30, s[26:27]
	s_and_b64 vcc, s[26:27], vcc
	v_add_u32_e32 v30, v30, v31
	v_cndmask_b32_e32 v31, 0, v33, vcc
	v_add_u32_e32 v31, v31, v32
	v_cmp_eq_u32_e32 vcc, v74, v0
	v_lshlrev_b32_e32 v32, 3, v72
	s_and_saveexec_b64 s[26:27], vcc
	s_cbranch_execz .LBB771_77
; %bb.76:
	ds_write_b64 v32, v[30:31] offset:4112
.LBB771_77:
	s_or_b64 exec, exec, s[26:27]
	v_cmp_gt_u32_e32 vcc, 4, v0
	s_waitcnt lgkmcnt(0)
	s_barrier
	s_and_saveexec_b64 s[30:31], vcc
	s_cbranch_execz .LBB771_79
; %bb.78:
	v_lshlrev_b32_e32 v33, 3, v0
	ds_read_b64 v[34:35], v33 offset:4112
	v_and_b32_e32 v36, 3, v39
	v_cmp_lt_u32_e64 s[26:27], 1, v36
	s_waitcnt lgkmcnt(0)
	v_mov_b32_dpp v38, v35 row_shr:1 row_mask:0xf bank_mask:0xf
	v_cmp_eq_u32_e32 vcc, 0, v34
	v_mov_b32_dpp v37, v34 row_shr:1 row_mask:0xf bank_mask:0xf
	v_cndmask_b32_e32 v38, 0, v38, vcc
	v_cmp_eq_u32_e32 vcc, 0, v36
	v_cndmask_b32_e64 v37, v37, 0, vcc
	v_add_u32_e32 v34, v37, v34
	v_cndmask_b32_e64 v37, v38, 0, vcc
	v_add_u32_e32 v35, v37, v35
	v_cmp_eq_u32_e32 vcc, 0, v34
	v_mov_b32_dpp v37, v34 row_shr:2 row_mask:0xf bank_mask:0xf
	v_mov_b32_dpp v38, v35 row_shr:2 row_mask:0xf bank_mask:0xf
	v_cndmask_b32_e64 v36, 0, v37, s[26:27]
	s_and_b64 vcc, s[26:27], vcc
	v_add_u32_e32 v34, v36, v34
	v_cndmask_b32_e32 v36, 0, v38, vcc
	v_add_u32_e32 v35, v36, v35
	ds_write_b64 v33, v[34:35] offset:4112
.LBB771_79:
	s_or_b64 exec, exec, s[30:31]
	v_cmp_gt_u32_e32 vcc, 64, v0
	v_cmp_lt_u32_e64 s[26:27], 63, v0
	v_mov_b32_e32 v36, 0
	v_mov_b32_e32 v37, 0
	s_waitcnt lgkmcnt(0)
	s_barrier
	s_and_saveexec_b64 s[30:31], s[26:27]
	s_cbranch_execz .LBB771_81
; %bb.80:
	ds_read_b64 v[36:37], v32 offset:4104
	v_cmp_eq_u32_e64 s[26:27], 0, v30
	s_waitcnt lgkmcnt(0)
	v_add_u32_e32 v32, v36, v30
	v_cndmask_b32_e64 v30, 0, v37, s[26:27]
	v_add_u32_e32 v31, v30, v31
	v_mov_b32_e32 v30, v32
.LBB771_81:
	s_or_b64 exec, exec, s[30:31]
	v_add_u32_e32 v32, -1, v39
	v_and_b32_e32 v33, 64, v39
	v_cmp_lt_i32_e64 s[26:27], v32, v33
	v_cndmask_b32_e64 v32, v32, v39, s[26:27]
	v_lshlrev_b32_e32 v32, 2, v32
	ds_bpermute_b32 v44, v32, v30
	ds_bpermute_b32 v45, v32, v31
	v_cmp_eq_u32_e64 s[26:27], 0, v39
	s_and_saveexec_b64 s[40:41], vcc
	s_cbranch_execz .LBB771_100
; %bb.82:
	v_mov_b32_e32 v35, 0
	ds_read_b64 v[30:31], v35 offset:4136
	s_waitcnt lgkmcnt(0)
	v_readfirstlane_b32 s7, v30
	v_readfirstlane_b32 s48, v31
	s_and_saveexec_b64 s[30:31], s[26:27]
	s_cbranch_execz .LBB771_84
; %bb.83:
	s_add_i32 s46, s6, 64
	s_mov_b32 s47, 0
	s_lshl_b64 s[50:51], s[46:47], 4
	s_add_u32 s50, s44, s50
	s_addc_u32 s51, s45, s51
	s_and_b32 s57, s48, 0xff000000
	s_mov_b32 s56, s47
	s_and_b32 s63, s48, 0xff0000
	s_mov_b32 s62, s47
	s_or_b64 s[56:57], s[62:63], s[56:57]
	s_and_b32 s63, s48, 0xff00
	s_or_b64 s[56:57], s[56:57], s[62:63]
	s_and_b32 s63, s48, 0xff
	s_or_b64 s[46:47], s[56:57], s[62:63]
	v_mov_b32_e32 v32, s7
	v_mov_b32_e32 v33, s47
	;; [unrolled: 1-line block ×3, first 2 shown]
	v_pk_mov_b32 v[30:31], s[50:51], s[50:51] op_sel:[0,1]
	;;#ASMSTART
	global_store_dwordx4 v[30:31], v[32:35] off	
s_waitcnt vmcnt(0)
	;;#ASMEND
.LBB771_84:
	s_or_b64 exec, exec, s[30:31]
	v_xad_u32 v38, v39, -1, s6
	v_add_u32_e32 v34, 64, v38
	v_lshlrev_b64 v[30:31], 4, v[34:35]
	v_mov_b32_e32 v32, s45
	v_add_co_u32_e32 v40, vcc, s44, v30
	v_addc_co_u32_e32 v41, vcc, v32, v31, vcc
	;;#ASMSTART
	global_load_dwordx4 v[30:33], v[40:41] off glc	
s_waitcnt vmcnt(0)
	;;#ASMEND
	v_and_b32_e32 v33, 0xff, v31
	v_and_b32_e32 v34, 0xff00, v31
	;; [unrolled: 1-line block ×3, first 2 shown]
	v_or3_b32 v33, 0, v33, v34
	v_or3_b32 v30, v30, 0, 0
	v_and_b32_e32 v31, 0xff000000, v31
	v_or3_b32 v31, v33, v42, v31
	v_or3_b32 v30, v30, 0, 0
	v_cmp_eq_u16_sdwa s[46:47], v32, v35 src0_sel:BYTE_0 src1_sel:DWORD
	s_and_saveexec_b64 s[30:31], s[46:47]
	s_cbranch_execz .LBB771_88
; %bb.85:
	s_mov_b64 s[46:47], 0
	v_mov_b32_e32 v34, 0
.LBB771_86:                             ; =>This Inner Loop Header: Depth=1
	;;#ASMSTART
	global_load_dwordx4 v[30:33], v[40:41] off glc	
s_waitcnt vmcnt(0)
	;;#ASMEND
	v_cmp_ne_u16_sdwa s[50:51], v32, v34 src0_sel:BYTE_0 src1_sel:DWORD
	s_or_b64 s[46:47], s[50:51], s[46:47]
	s_andn2_b64 exec, exec, s[46:47]
	s_cbranch_execnz .LBB771_86
; %bb.87:
	s_or_b64 exec, exec, s[46:47]
.LBB771_88:
	s_or_b64 exec, exec, s[30:31]
	v_mov_b32_e32 v48, 2
	v_cmp_eq_u16_sdwa s[30:31], v32, v48 src0_sel:BYTE_0 src1_sel:DWORD
	v_lshlrev_b64 v[40:41], v39, -1
	v_and_b32_e32 v33, s31, v41
	v_and_b32_e32 v49, 63, v39
	v_or_b32_e32 v33, 0x80000000, v33
	v_cmp_ne_u32_e32 vcc, 63, v49
	v_and_b32_e32 v34, s30, v40
	v_ffbl_b32_e32 v33, v33
	v_addc_co_u32_e32 v35, vcc, 0, v39, vcc
	v_add_u32_e32 v33, 32, v33
	v_ffbl_b32_e32 v34, v34
	v_lshlrev_b32_e32 v50, 2, v35
	v_min_u32_e32 v33, v34, v33
	ds_bpermute_b32 v34, v50, v31
	v_cmp_eq_u32_e32 vcc, 0, v30
	v_cmp_lt_u32_e64 s[30:31], v49, v33
	ds_bpermute_b32 v35, v50, v30
	s_and_b64 vcc, s[30:31], vcc
	s_waitcnt lgkmcnt(1)
	v_cndmask_b32_e32 v34, 0, v34, vcc
	v_cmp_gt_u32_e32 vcc, 62, v49
	v_add_u32_e32 v31, v34, v31
	v_cndmask_b32_e64 v34, 0, 1, vcc
	v_lshlrev_b32_e32 v34, 1, v34
	v_add_lshl_u32 v51, v34, v39, 2
	s_waitcnt lgkmcnt(0)
	v_cndmask_b32_e64 v35, 0, v35, s[30:31]
	ds_bpermute_b32 v34, v51, v31
	v_add_u32_e32 v30, v35, v30
	ds_bpermute_b32 v35, v51, v30
	v_add_u32_e32 v52, 2, v49
	v_cmp_eq_u32_e32 vcc, 0, v30
	s_waitcnt lgkmcnt(1)
	v_cndmask_b32_e32 v34, 0, v34, vcc
	v_cmp_gt_u32_e32 vcc, v52, v33
	v_cndmask_b32_e64 v34, v34, 0, vcc
	v_add_u32_e32 v31, v34, v31
	s_waitcnt lgkmcnt(0)
	v_cndmask_b32_e64 v34, v35, 0, vcc
	v_cmp_gt_u32_e32 vcc, 60, v49
	v_cndmask_b32_e64 v35, 0, 1, vcc
	v_lshlrev_b32_e32 v35, 2, v35
	v_add_lshl_u32 v53, v35, v39, 2
	ds_bpermute_b32 v35, v53, v31
	v_add_u32_e32 v30, v30, v34
	ds_bpermute_b32 v34, v53, v30
	v_add_u32_e32 v54, 4, v49
	v_cmp_eq_u32_e32 vcc, 0, v30
	s_waitcnt lgkmcnt(1)
	v_cndmask_b32_e32 v35, 0, v35, vcc
	v_cmp_gt_u32_e32 vcc, v54, v33
	v_cndmask_b32_e64 v35, v35, 0, vcc
	s_waitcnt lgkmcnt(0)
	v_cndmask_b32_e64 v34, v34, 0, vcc
	v_cmp_gt_u32_e32 vcc, 56, v49
	v_add_u32_e32 v31, v31, v35
	v_cndmask_b32_e64 v35, 0, 1, vcc
	v_lshlrev_b32_e32 v35, 3, v35
	v_add_lshl_u32 v55, v35, v39, 2
	ds_bpermute_b32 v35, v55, v31
	v_add_u32_e32 v30, v30, v34
	ds_bpermute_b32 v34, v55, v30
	v_add_u32_e32 v56, 8, v49
	v_cmp_eq_u32_e32 vcc, 0, v30
	s_waitcnt lgkmcnt(1)
	v_cndmask_b32_e32 v35, 0, v35, vcc
	v_cmp_gt_u32_e32 vcc, v56, v33
	v_cndmask_b32_e64 v35, v35, 0, vcc
	s_waitcnt lgkmcnt(0)
	v_cndmask_b32_e64 v34, v34, 0, vcc
	v_cmp_gt_u32_e32 vcc, 48, v49
	v_add_u32_e32 v31, v31, v35
	;; [unrolled: 16-line block ×3, first 2 shown]
	v_cndmask_b32_e64 v35, 0, 1, vcc
	v_lshlrev_b32_e32 v35, 5, v35
	v_add_lshl_u32 v59, v35, v39, 2
	ds_bpermute_b32 v35, v59, v31
	v_add_u32_e32 v30, v30, v34
	ds_bpermute_b32 v34, v59, v30
	v_add_u32_e32 v60, 32, v49
	v_cmp_eq_u32_e32 vcc, 0, v30
	s_waitcnt lgkmcnt(1)
	v_cndmask_b32_e32 v35, 0, v35, vcc
	v_cmp_gt_u32_e32 vcc, v60, v33
	v_cndmask_b32_e64 v33, v35, 0, vcc
	v_add_u32_e32 v31, v33, v31
	s_waitcnt lgkmcnt(0)
	v_cndmask_b32_e64 v33, v34, 0, vcc
	v_add_u32_e32 v30, v33, v30
	v_mov_b32_e32 v39, 0
	s_branch .LBB771_90
.LBB771_89:                             ;   in Loop: Header=BB771_90 Depth=1
	s_or_b64 exec, exec, s[30:31]
	v_cmp_eq_u16_sdwa s[30:31], v32, v48 src0_sel:BYTE_0 src1_sel:DWORD
	v_and_b32_e32 v33, s31, v41
	v_or_b32_e32 v33, 0x80000000, v33
	v_and_b32_e32 v42, s30, v40
	v_ffbl_b32_e32 v33, v33
	v_add_u32_e32 v33, 32, v33
	v_ffbl_b32_e32 v42, v42
	v_min_u32_e32 v33, v42, v33
	ds_bpermute_b32 v42, v50, v31
	v_cmp_eq_u32_e32 vcc, 0, v30
	v_cmp_lt_u32_e64 s[30:31], v49, v33
	ds_bpermute_b32 v43, v50, v30
	s_and_b64 vcc, s[30:31], vcc
	s_waitcnt lgkmcnt(1)
	v_cndmask_b32_e32 v42, 0, v42, vcc
	v_add_u32_e32 v31, v42, v31
	ds_bpermute_b32 v42, v51, v31
	s_waitcnt lgkmcnt(1)
	v_cndmask_b32_e64 v43, 0, v43, s[30:31]
	v_add_u32_e32 v30, v43, v30
	v_cmp_eq_u32_e32 vcc, 0, v30
	ds_bpermute_b32 v43, v51, v30
	s_waitcnt lgkmcnt(1)
	v_cndmask_b32_e32 v42, 0, v42, vcc
	v_cmp_gt_u32_e32 vcc, v52, v33
	v_cndmask_b32_e64 v42, v42, 0, vcc
	v_add_u32_e32 v31, v42, v31
	ds_bpermute_b32 v42, v53, v31
	s_waitcnt lgkmcnt(1)
	v_cndmask_b32_e64 v43, v43, 0, vcc
	v_add_u32_e32 v30, v30, v43
	v_cmp_eq_u32_e32 vcc, 0, v30
	ds_bpermute_b32 v43, v53, v30
	s_waitcnt lgkmcnt(1)
	v_cndmask_b32_e32 v42, 0, v42, vcc
	v_cmp_gt_u32_e32 vcc, v54, v33
	v_cndmask_b32_e64 v42, v42, 0, vcc
	v_add_u32_e32 v31, v31, v42
	ds_bpermute_b32 v42, v55, v31
	s_waitcnt lgkmcnt(1)
	v_cndmask_b32_e64 v43, v43, 0, vcc
	v_add_u32_e32 v30, v30, v43
	ds_bpermute_b32 v43, v55, v30
	v_cmp_eq_u32_e32 vcc, 0, v30
	s_waitcnt lgkmcnt(1)
	v_cndmask_b32_e32 v42, 0, v42, vcc
	v_cmp_gt_u32_e32 vcc, v56, v33
	v_cndmask_b32_e64 v42, v42, 0, vcc
	v_add_u32_e32 v31, v31, v42
	ds_bpermute_b32 v42, v57, v31
	s_waitcnt lgkmcnt(1)
	v_cndmask_b32_e64 v43, v43, 0, vcc
	v_add_u32_e32 v30, v30, v43
	ds_bpermute_b32 v43, v57, v30
	v_cmp_eq_u32_e32 vcc, 0, v30
	;; [unrolled: 11-line block ×3, first 2 shown]
	s_waitcnt lgkmcnt(1)
	v_cndmask_b32_e32 v42, 0, v42, vcc
	v_cmp_gt_u32_e32 vcc, v60, v33
	v_cndmask_b32_e64 v33, v42, 0, vcc
	v_add_u32_e32 v31, v33, v31
	s_waitcnt lgkmcnt(0)
	v_cndmask_b32_e64 v33, v43, 0, vcc
	v_cmp_eq_u32_e32 vcc, 0, v34
	v_cndmask_b32_e32 v31, 0, v31, vcc
	v_subrev_u32_e32 v38, 64, v38
	v_add3_u32 v30, v30, v34, v33
	v_add_u32_e32 v31, v31, v35
.LBB771_90:                             ; =>This Loop Header: Depth=1
                                        ;     Child Loop BB771_93 Depth 2
	v_cmp_ne_u16_sdwa s[30:31], v32, v48 src0_sel:BYTE_0 src1_sel:DWORD
	v_mov_b32_e32 v35, v31
	v_cndmask_b32_e64 v31, 0, 1, s[30:31]
	;;#ASMSTART
	;;#ASMEND
	v_cmp_ne_u32_e32 vcc, 0, v31
	s_cmp_lg_u64 vcc, exec
	v_mov_b32_e32 v34, v30
	s_cbranch_scc1 .LBB771_95
; %bb.91:                               ;   in Loop: Header=BB771_90 Depth=1
	v_lshlrev_b64 v[30:31], 4, v[38:39]
	v_mov_b32_e32 v32, s45
	v_add_co_u32_e32 v42, vcc, s44, v30
	v_addc_co_u32_e32 v43, vcc, v32, v31, vcc
	;;#ASMSTART
	global_load_dwordx4 v[30:33], v[42:43] off glc	
s_waitcnt vmcnt(0)
	;;#ASMEND
	v_and_b32_e32 v33, 0xff, v31
	v_and_b32_e32 v61, 0xff00, v31
	;; [unrolled: 1-line block ×3, first 2 shown]
	v_or3_b32 v33, 0, v33, v61
	v_or3_b32 v30, v30, 0, 0
	v_and_b32_e32 v31, 0xff000000, v31
	v_or3_b32 v31, v33, v62, v31
	v_or3_b32 v30, v30, 0, 0
	v_cmp_eq_u16_sdwa s[46:47], v32, v39 src0_sel:BYTE_0 src1_sel:DWORD
	s_and_saveexec_b64 s[30:31], s[46:47]
	s_cbranch_execz .LBB771_89
; %bb.92:                               ;   in Loop: Header=BB771_90 Depth=1
	s_mov_b64 s[46:47], 0
.LBB771_93:                             ;   Parent Loop BB771_90 Depth=1
                                        ; =>  This Inner Loop Header: Depth=2
	;;#ASMSTART
	global_load_dwordx4 v[30:33], v[42:43] off glc	
s_waitcnt vmcnt(0)
	;;#ASMEND
	v_cmp_ne_u16_sdwa s[50:51], v32, v39 src0_sel:BYTE_0 src1_sel:DWORD
	s_or_b64 s[46:47], s[50:51], s[46:47]
	s_andn2_b64 exec, exec, s[46:47]
	s_cbranch_execnz .LBB771_93
; %bb.94:                               ;   in Loop: Header=BB771_90 Depth=1
	s_or_b64 exec, exec, s[46:47]
	s_branch .LBB771_89
.LBB771_95:                             ;   in Loop: Header=BB771_90 Depth=1
                                        ; implicit-def: $vgpr31
                                        ; implicit-def: $vgpr30
                                        ; implicit-def: $vgpr32
	s_cbranch_execz .LBB771_90
; %bb.96:
	s_and_saveexec_b64 s[30:31], s[26:27]
	s_cbranch_execz .LBB771_98
; %bb.97:
	s_cmp_eq_u32 s7, 0
	s_cselect_b64 vcc, -1, 0
	s_mov_b32 s47, 0
	v_cndmask_b32_e32 v30, 0, v35, vcc
	s_add_i32 s46, s6, 64
	v_add_u32_e32 v30, s48, v30
	s_lshl_b64 s[46:47], s[46:47], 4
	s_add_u32 s46, s44, s46
	v_and_b32_e32 v31, 0xff000000, v30
	v_and_b32_e32 v32, 0xff0000, v30
	s_addc_u32 s47, s45, s47
	v_or_b32_e32 v31, v32, v31
	v_and_b32_e32 v32, 0xff00, v30
	v_and_b32_e32 v30, 0xff, v30
	v_add_u32_e32 v38, s7, v34
	v_mov_b32_e32 v41, 0
	v_or3_b32 v39, v31, v32, v30
	v_mov_b32_e32 v40, 2
	v_pk_mov_b32 v[30:31], s[46:47], s[46:47] op_sel:[0,1]
	;;#ASMSTART
	global_store_dwordx4 v[30:31], v[38:41] off	
s_waitcnt vmcnt(0)
	;;#ASMEND
	v_mov_b32_e32 v32, s7
	v_mov_b32_e32 v33, s48
	ds_write_b128 v41, v[32:35] offset:4096
.LBB771_98:
	s_or_b64 exec, exec, s[30:31]
	v_cmp_eq_u32_e32 vcc, 0, v0
	s_and_b64 exec, exec, vcc
	s_cbranch_execz .LBB771_100
; %bb.99:
	v_mov_b32_e32 v30, 0
	ds_write_b64 v30, v[34:35] offset:4136
.LBB771_100:
	s_or_b64 exec, exec, s[40:41]
	v_mov_b32_e32 v32, 0
	s_waitcnt lgkmcnt(0)
	s_barrier
	ds_read_b64 v[30:31], v32 offset:4136
	v_cndmask_b32_e64 v34, v44, v36, s[26:27]
	v_cmp_eq_u32_e32 vcc, 0, v34
	v_cndmask_b32_e64 v33, v45, v37, s[26:27]
	s_waitcnt lgkmcnt(0)
	v_cndmask_b32_e32 v35, 0, v31, vcc
	v_add_u32_e32 v33, v35, v33
	v_cmp_eq_u32_e32 vcc, 0, v0
	v_cndmask_b32_e32 v67, v33, v31, vcc
	v_cndmask_b32_e64 v31, v34, 0, vcc
	v_cmp_eq_u32_e32 vcc, 0, v70
	v_add_u32_e32 v66, v30, v31
	v_cndmask_b32_e32 v30, 0, v67, vcc
	v_add_u32_e32 v65, v30, v98
	v_cndmask_b32_e64 v30, 0, v65, s[24:25]
	v_add_u32_e32 v63, v30, v97
	v_cndmask_b32_e64 v30, 0, v63, s[22:23]
	;; [unrolled: 2-line block ×8, first 2 shown]
	v_add_u32_e32 v64, v66, v70
	v_add_u32_e32 v49, v30, v96
	v_add_u32_e32 v62, v64, v84
	v_cndmask_b32_e64 v30, 0, v49, s[8:9]
	v_add_u32_e32 v60, v62, v83
	v_add_u32_e32 v45, v30, v94
	v_add_u32_e32 v58, v60, v82
	v_cndmask_b32_e64 v30, 0, v45, s[28:29]
	;; [unrolled: 4-line block ×3, first 2 shown]
	v_add_u32_e32 v52, v54, v79
	v_add_u32_e32 v41, v30, v90
	s_barrier
	ds_read_b128 v[30:33], v32 offset:4096
	v_add_u32_e32 v50, v52, v78
	v_add_u32_e32 v48, v50, v77
	v_add_u32_e32 v44, v48, v76
	v_add_u32_e32 v42, v44, v69
	v_cndmask_b32_e64 v34, 0, v41, s[2:3]
	v_add_u32_e32 v40, v42, v71
	v_add_u32_e32 v39, v34, v86
	s_waitcnt lgkmcnt(0)
	v_cmp_eq_u32_e32 vcc, 0, v30
	v_add_u32_e32 v38, v40, v73
	v_cndmask_b32_e64 v34, 0, v39, s[0:1]
	v_cndmask_b32_e32 v33, 0, v33, vcc
	v_add_u32_e32 v36, v38, v75
	v_add_u32_e32 v37, v34, v85
	;; [unrolled: 1-line block ×3, first 2 shown]
	s_branch .LBB771_113
.LBB771_101:
                                        ; implicit-def: $vgpr30
                                        ; implicit-def: $vgpr68
                                        ; implicit-def: $vgpr66_vgpr67
                                        ; implicit-def: $vgpr64_vgpr65
                                        ; implicit-def: $vgpr62_vgpr63
                                        ; implicit-def: $vgpr60_vgpr61
                                        ; implicit-def: $vgpr58_vgpr59
                                        ; implicit-def: $vgpr56_vgpr57
                                        ; implicit-def: $vgpr54_vgpr55
                                        ; implicit-def: $vgpr52_vgpr53
                                        ; implicit-def: $vgpr50_vgpr51
                                        ; implicit-def: $vgpr48_vgpr49
                                        ; implicit-def: $vgpr44_vgpr45
                                        ; implicit-def: $vgpr42_vgpr43
                                        ; implicit-def: $vgpr40_vgpr41
                                        ; implicit-def: $vgpr38_vgpr39
                                        ; implicit-def: $vgpr36_vgpr37
	s_cbranch_execz .LBB771_113
; %bb.102:
	s_and_b64 s[0:1], s[38:39], exec
	s_cselect_b32 s1, 0, s61
	s_cselect_b32 s0, 0, s60
	s_cmp_eq_u64 s[0:1], 0
	v_mov_b32_e32 v34, v98
	s_cbranch_scc1 .LBB771_104
; %bb.103:
	v_mov_b32_e32 v30, 0
	global_load_dword v34, v30, s[0:1]
.LBB771_104:
	v_cmp_eq_u32_e64 s[0:1], 0, v84
	v_cndmask_b32_e64 v30, 0, v98, s[0:1]
	v_add_u32_e32 v30, v30, v97
	v_cmp_eq_u32_e64 s[2:3], 0, v83
	v_cndmask_b32_e64 v30, 0, v30, s[2:3]
	v_add_u32_e32 v30, v30, v95
	;; [unrolled: 3-line block ×11, first 2 shown]
	v_cmp_eq_u32_e64 s[22:23], 0, v73
	v_cndmask_b32_e64 v30, 0, v30, s[22:23]
	v_add3_u32 v31, v101, v80, v79
	v_add_u32_e32 v30, v30, v86
	v_cmp_eq_u32_e32 vcc, 0, v75
	v_add3_u32 v31, v31, v78, v77
	v_cndmask_b32_e32 v30, 0, v30, vcc
	v_add3_u32 v31, v31, v76, v69
	v_add_u32_e32 v30, v30, v85
	v_cmp_eq_u32_e64 s[24:25], 0, v1
	v_add3_u32 v31, v31, v71, v73
	v_cndmask_b32_e64 v30, 0, v30, s[24:25]
	v_add3_u32 v31, v31, v75, v1
	v_add_u32_e32 v30, v30, v99
	v_mbcnt_hi_u32_b32 v35, -1, v100
	v_and_b32_e32 v32, 15, v35
	v_mov_b32_dpp v36, v30 row_shr:1 row_mask:0xf bank_mask:0xf
	v_cmp_eq_u32_e64 s[24:25], 0, v31
	v_mov_b32_dpp v33, v31 row_shr:1 row_mask:0xf bank_mask:0xf
	v_cndmask_b32_e64 v36, 0, v36, s[24:25]
	v_cmp_eq_u32_e64 s[24:25], 0, v32
	v_cndmask_b32_e64 v33, v33, 0, s[24:25]
	v_add_u32_e32 v31, v33, v31
	v_cndmask_b32_e64 v33, v36, 0, s[24:25]
	v_add_u32_e32 v30, v33, v30
	v_cmp_eq_u32_e64 s[24:25], 0, v31
	v_mov_b32_dpp v33, v31 row_shr:2 row_mask:0xf bank_mask:0xf
	v_cmp_lt_u32_e64 s[26:27], 1, v32
	v_mov_b32_dpp v36, v30 row_shr:2 row_mask:0xf bank_mask:0xf
	v_cndmask_b32_e64 v33, 0, v33, s[26:27]
	s_and_b64 s[24:25], s[26:27], s[24:25]
	v_cndmask_b32_e64 v36, 0, v36, s[24:25]
	v_add_u32_e32 v31, v31, v33
	v_add_u32_e32 v30, v36, v30
	v_cmp_eq_u32_e64 s[24:25], 0, v31
	v_mov_b32_dpp v33, v31 row_shr:4 row_mask:0xf bank_mask:0xf
	v_cmp_lt_u32_e64 s[26:27], 3, v32
	v_mov_b32_dpp v36, v30 row_shr:4 row_mask:0xf bank_mask:0xf
	v_cndmask_b32_e64 v33, 0, v33, s[26:27]
	s_and_b64 s[24:25], s[26:27], s[24:25]
	v_cndmask_b32_e64 v36, 0, v36, s[24:25]
	v_add_u32_e32 v31, v33, v31
	v_add_u32_e32 v30, v30, v36
	v_cmp_eq_u32_e64 s[24:25], 0, v31
	v_cmp_lt_u32_e64 s[26:27], 7, v32
	v_mov_b32_dpp v33, v31 row_shr:8 row_mask:0xf bank_mask:0xf
	v_mov_b32_dpp v36, v30 row_shr:8 row_mask:0xf bank_mask:0xf
	s_and_b64 s[24:25], s[26:27], s[24:25]
	v_cndmask_b32_e64 v32, 0, v33, s[26:27]
	v_cndmask_b32_e64 v33, 0, v36, s[24:25]
	v_add_u32_e32 v30, v33, v30
	v_add_u32_e32 v31, v32, v31
	v_bfe_i32 v36, v35, 4, 1
	v_mov_b32_dpp v33, v30 row_bcast:15 row_mask:0xf bank_mask:0xf
	v_mov_b32_dpp v32, v31 row_bcast:15 row_mask:0xf bank_mask:0xf
	v_cmp_eq_u32_e64 s[24:25], 0, v31
	v_cndmask_b32_e64 v33, 0, v33, s[24:25]
	v_and_b32_e32 v32, v36, v32
	v_add_u32_e32 v31, v32, v31
	v_and_b32_e32 v32, v36, v33
	v_add_u32_e32 v32, v32, v30
	v_mov_b32_dpp v30, v31 row_bcast:31 row_mask:0xf bank_mask:0xf
	v_cmp_eq_u32_e64 s[24:25], 0, v31
	v_cmp_lt_u32_e64 s[26:27], 31, v35
	v_mov_b32_dpp v33, v32 row_bcast:31 row_mask:0xf bank_mask:0xf
	v_cndmask_b32_e64 v30, 0, v30, s[26:27]
	s_and_b64 s[24:25], s[26:27], s[24:25]
	v_add_u32_e32 v30, v30, v31
	v_cndmask_b32_e64 v31, 0, v33, s[24:25]
	v_add_u32_e32 v31, v31, v32
	v_cmp_eq_u32_e64 s[24:25], v74, v0
	v_lshlrev_b32_e32 v33, 3, v72
	s_and_saveexec_b64 s[26:27], s[24:25]
	s_cbranch_execz .LBB771_106
; %bb.105:
	ds_write_b64 v33, v[30:31] offset:4112
.LBB771_106:
	s_or_b64 exec, exec, s[26:27]
	v_cmp_gt_u32_e64 s[24:25], 4, v0
	s_waitcnt lgkmcnt(0)
	s_barrier
	s_and_saveexec_b64 s[28:29], s[24:25]
	s_cbranch_execz .LBB771_108
; %bb.107:
	v_lshlrev_b32_e32 v32, 3, v0
	ds_read_b64 v[36:37], v32 offset:4112
	v_and_b32_e32 v38, 3, v35
	v_cmp_lt_u32_e64 s[26:27], 1, v38
	s_waitcnt lgkmcnt(0)
	v_mov_b32_dpp v40, v37 row_shr:1 row_mask:0xf bank_mask:0xf
	v_cmp_eq_u32_e64 s[24:25], 0, v36
	v_mov_b32_dpp v39, v36 row_shr:1 row_mask:0xf bank_mask:0xf
	v_cndmask_b32_e64 v40, 0, v40, s[24:25]
	v_cmp_eq_u32_e64 s[24:25], 0, v38
	v_cndmask_b32_e64 v39, v39, 0, s[24:25]
	v_add_u32_e32 v36, v39, v36
	v_cndmask_b32_e64 v39, v40, 0, s[24:25]
	v_add_u32_e32 v37, v39, v37
	v_cmp_eq_u32_e64 s[24:25], 0, v36
	v_mov_b32_dpp v39, v36 row_shr:2 row_mask:0xf bank_mask:0xf
	v_mov_b32_dpp v40, v37 row_shr:2 row_mask:0xf bank_mask:0xf
	v_cndmask_b32_e64 v38, 0, v39, s[26:27]
	s_and_b64 s[24:25], s[26:27], s[24:25]
	v_add_u32_e32 v36, v38, v36
	v_cndmask_b32_e64 v38, 0, v40, s[24:25]
	v_add_u32_e32 v37, v38, v37
	ds_write_b64 v32, v[36:37] offset:4112
.LBB771_108:
	s_or_b64 exec, exec, s[28:29]
	v_cmp_lt_u32_e64 s[24:25], 63, v0
	v_mov_b32_e32 v36, 0
	v_mov_b32_e32 v32, 0
	s_waitcnt vmcnt(0)
	v_mov_b32_e32 v37, v34
	s_waitcnt lgkmcnt(0)
	s_barrier
	s_and_saveexec_b64 s[26:27], s[24:25]
	s_cbranch_execz .LBB771_110
; %bb.109:
	ds_read_b64 v[32:33], v33 offset:4104
	s_waitcnt lgkmcnt(0)
	v_cmp_eq_u32_e64 s[24:25], 0, v32
	v_cndmask_b32_e64 v37, 0, v34, s[24:25]
	v_add_u32_e32 v37, v37, v33
.LBB771_110:
	s_or_b64 exec, exec, s[26:27]
	v_cmp_eq_u32_e64 s[24:25], 0, v30
	v_add_u32_e32 v33, v32, v30
	v_cndmask_b32_e64 v30, 0, v37, s[24:25]
	v_add_u32_e32 v30, v30, v31
	v_add_u32_e32 v31, -1, v35
	v_and_b32_e32 v38, 64, v35
	v_cmp_lt_i32_e64 s[24:25], v31, v38
	v_cndmask_b32_e64 v31, v31, v35, s[24:25]
	v_lshlrev_b32_e32 v31, 2, v31
	ds_bpermute_b32 v33, v31, v33
	ds_bpermute_b32 v30, v31, v30
	v_cmp_eq_u32_e64 s[24:25], 0, v35
	v_cmp_eq_u32_e64 s[26:27], 0, v70
	s_waitcnt lgkmcnt(1)
	v_cndmask_b32_e64 v31, v33, v32, s[24:25]
	s_waitcnt lgkmcnt(0)
	v_cndmask_b32_e64 v30, v30, v37, s[24:25]
	v_cmp_eq_u32_e64 s[24:25], 0, v0
	v_cndmask_b32_e64 v67, v30, v34, s[24:25]
	v_cndmask_b32_e64 v30, 0, v67, s[26:27]
	v_add_u32_e32 v65, v30, v98
	v_cndmask_b32_e64 v30, 0, v65, s[0:1]
	v_add_u32_e32 v63, v30, v97
	;; [unrolled: 2-line block ×8, first 2 shown]
	v_cndmask_b32_e64 v66, v31, 0, s[24:25]
	v_cndmask_b32_e64 v30, 0, v51, s[14:15]
	v_add_u32_e32 v64, v66, v70
	v_add_u32_e32 v49, v30, v96
	v_add_u32_e32 v62, v64, v84
	v_cndmask_b32_e64 v30, 0, v49, s[16:17]
	v_add_u32_e32 v60, v62, v83
	v_add_u32_e32 v45, v30, v94
	v_add_u32_e32 v58, v60, v82
	;; [unrolled: 4-line block ×3, first 2 shown]
	v_cndmask_b32_e64 v30, 0, v43, s[20:21]
	v_add_u32_e32 v52, v54, v79
	v_add_u32_e32 v41, v30, v90
	ds_read_b64 v[30:31], v36 offset:4136
	v_add_u32_e32 v50, v52, v78
	v_add_u32_e32 v48, v50, v77
	v_add_u32_e32 v44, v48, v76
	v_cndmask_b32_e64 v32, 0, v41, s[22:23]
	v_add_u32_e32 v42, v44, v69
	v_add_u32_e32 v39, v32, v86
	;; [unrolled: 1-line block ×3, first 2 shown]
	v_cndmask_b32_e32 v32, 0, v39, vcc
	s_waitcnt lgkmcnt(0)
	v_cmp_eq_u32_e32 vcc, 0, v30
	v_add_u32_e32 v38, v40, v73
	v_add_u32_e32 v37, v32, v85
	v_cndmask_b32_e32 v32, 0, v34, vcc
	v_add_u32_e32 v36, v38, v75
	v_add_u32_e32 v68, v32, v31
	s_and_saveexec_b64 s[0:1], s[24:25]
	s_cbranch_execz .LBB771_112
; %bb.111:
	s_add_u32 s2, s44, 0x400
	v_and_b32_e32 v31, 0xff000000, v68
	v_and_b32_e32 v32, 0xff0000, v68
	s_addc_u32 s3, s45, 0
	v_or_b32_e32 v31, v32, v31
	v_and_b32_e32 v32, 0xff00, v68
	v_and_b32_e32 v34, 0xff, v68
	v_mov_b32_e32 v33, 0
	v_or3_b32 v31, v31, v32, v34
	v_mov_b32_e32 v32, 2
	v_pk_mov_b32 v[34:35], s[2:3], s[2:3] op_sel:[0,1]
	;;#ASMSTART
	global_store_dwordx4 v[34:35], v[30:33] off	
s_waitcnt vmcnt(0)
	;;#ASMEND
.LBB771_112:
	s_or_b64 exec, exec, s[0:1]
	v_mov_b32_e32 v32, 0
.LBB771_113:
	s_and_b64 s[0:1], s[38:39], exec
	s_cselect_b32 s1, 0, s59
	s_cselect_b32 s0, 0, s58
	s_cmp_eq_u64 s[0:1], 0
	v_pk_mov_b32 v[34:35], 0, 0
	s_barrier
	s_cbranch_scc1 .LBB771_115
; %bb.114:
	v_mov_b32_e32 v31, 0
	global_load_dwordx2 v[34:35], v31, s[0:1]
.LBB771_115:
	s_waitcnt vmcnt(0)
	v_lshlrev_b64 v[86:87], 3, v[34:35]
	v_mov_b32_e32 v31, s43
	v_add_co_u32_e32 v72, vcc, s42, v86
	v_mov_b32_e32 v33, 0
	v_addc_co_u32_e32 v74, vcc, v31, v87, vcc
	v_lshlrev_b64 v[86:87], 3, v[32:33]
	v_add_co_u32_e32 v31, vcc, v72, v86
	v_addc_co_u32_e32 v72, vcc, v74, v87, vcc
	v_cmp_eq_u32_e32 vcc, 0, v70
	v_cndmask_b32_e64 v74, 1, 2, vcc
	v_cmp_eq_u32_e32 vcc, 0, v84
	v_cndmask_b32_e64 v85, 1, 2, vcc
	v_cmp_eq_u32_e32 vcc, 0, v83
	v_and_b32_e32 v74, v85, v74
	v_cndmask_b32_e64 v85, 1, 2, vcc
	v_cmp_eq_u32_e32 vcc, 0, v82
	v_and_b32_e32 v74, v74, v85
	;; [unrolled: 3-line block ×13, first 2 shown]
	v_cndmask_b32_e64 v85, 1, 2, vcc
	s_movk_i32 s30, 0x100
	v_and_b32_e32 v74, v74, v85
	v_cmp_gt_u32_e32 vcc, s30, v30
	v_cmp_ne_u32_e64 s[28:29], 0, v70
	v_cmp_ne_u32_e64 s[26:27], 0, v84
	;; [unrolled: 1-line block ×15, first 2 shown]
	s_mov_b64 s[38:39], -1
	v_cmp_gt_i16_e64 s[30:31], 2, v74
	s_cbranch_vccz .LBB771_164
; %bb.116:
	s_and_saveexec_b64 s[38:39], s[30:31]
	s_cbranch_execz .LBB771_163
; %bb.117:
	v_cmp_ne_u16_e32 vcc, 1, v74
	s_mov_b64 s[40:41], 0
	s_and_saveexec_b64 s[30:31], vcc
	s_xor_b64 s[30:31], exec, s[30:31]
	s_cbranch_execz .LBB771_141
; %bb.118:
	s_and_saveexec_b64 s[40:41], s[28:29]
	s_cbranch_execz .LBB771_146
; %bb.119:
	v_sub_u32_e32 v86, v66, v32
	v_mov_b32_e32 v87, 0
	v_lshlrev_b64 v[86:87], 3, v[86:87]
	v_add_co_u32_e32 v86, vcc, v31, v86
	v_addc_co_u32_e32 v87, vcc, v72, v87, vcc
	global_store_dwordx2 v[86:87], v[26:27], off
	s_or_b64 exec, exec, s[40:41]
	s_and_saveexec_b64 s[40:41], s[26:27]
	s_cbranch_execnz .LBB771_147
.LBB771_120:
	s_or_b64 exec, exec, s[40:41]
	s_and_saveexec_b64 s[40:41], s[24:25]
	s_cbranch_execz .LBB771_148
.LBB771_121:
	v_sub_u32_e32 v86, v62, v32
	v_mov_b32_e32 v87, 0
	v_lshlrev_b64 v[86:87], 3, v[86:87]
	v_add_co_u32_e32 v86, vcc, v31, v86
	v_addc_co_u32_e32 v87, vcc, v72, v87, vcc
	global_store_dwordx2 v[86:87], v[22:23], off
	s_or_b64 exec, exec, s[40:41]
	s_and_saveexec_b64 s[40:41], s[22:23]
	s_cbranch_execnz .LBB771_149
.LBB771_122:
	s_or_b64 exec, exec, s[40:41]
	s_and_saveexec_b64 s[40:41], s[20:21]
	s_cbranch_execz .LBB771_150
.LBB771_123:
	v_sub_u32_e32 v86, v58, v32
	v_mov_b32_e32 v87, 0
	v_lshlrev_b64 v[86:87], 3, v[86:87]
	v_add_co_u32_e32 v86, vcc, v31, v86
	v_addc_co_u32_e32 v87, vcc, v72, v87, vcc
	global_store_dwordx2 v[86:87], v[18:19], off
	s_or_b64 exec, exec, s[40:41]
	s_and_saveexec_b64 s[40:41], s[18:19]
	s_cbranch_execnz .LBB771_151
.LBB771_124:
	s_or_b64 exec, exec, s[40:41]
	s_and_saveexec_b64 s[40:41], s[16:17]
	s_cbranch_execz .LBB771_152
.LBB771_125:
	v_sub_u32_e32 v86, v54, v32
	v_mov_b32_e32 v87, 0
	v_lshlrev_b64 v[86:87], 3, v[86:87]
	v_add_co_u32_e32 v86, vcc, v31, v86
	v_addc_co_u32_e32 v87, vcc, v72, v87, vcc
	global_store_dwordx2 v[86:87], v[14:15], off
	s_or_b64 exec, exec, s[40:41]
	s_and_saveexec_b64 s[40:41], s[14:15]
	s_cbranch_execnz .LBB771_153
.LBB771_126:
	s_or_b64 exec, exec, s[40:41]
	s_and_saveexec_b64 s[40:41], s[12:13]
	s_cbranch_execz .LBB771_154
.LBB771_127:
	v_sub_u32_e32 v86, v50, v32
	v_mov_b32_e32 v87, 0
	v_lshlrev_b64 v[86:87], 3, v[86:87]
	v_add_co_u32_e32 v86, vcc, v31, v86
	v_addc_co_u32_e32 v87, vcc, v72, v87, vcc
	global_store_dwordx2 v[86:87], v[10:11], off
	s_or_b64 exec, exec, s[40:41]
	s_and_saveexec_b64 s[40:41], s[10:11]
	s_cbranch_execnz .LBB771_155
.LBB771_128:
	s_or_b64 exec, exec, s[40:41]
	s_and_saveexec_b64 s[40:41], s[8:9]
	s_cbranch_execz .LBB771_156
.LBB771_129:
	v_sub_u32_e32 v86, v44, v32
	v_mov_b32_e32 v87, 0
	v_lshlrev_b64 v[86:87], 3, v[86:87]
	v_add_co_u32_e32 v86, vcc, v31, v86
	v_addc_co_u32_e32 v87, vcc, v72, v87, vcc
	global_store_dwordx2 v[86:87], v[6:7], off
	s_or_b64 exec, exec, s[40:41]
	s_and_saveexec_b64 s[40:41], s[6:7]
	s_cbranch_execnz .LBB771_157
.LBB771_130:
	s_or_b64 exec, exec, s[40:41]
	s_and_saveexec_b64 s[40:41], s[4:5]
	s_cbranch_execz .LBB771_158
.LBB771_131:
	v_sub_u32_e32 v86, v40, v32
	v_mov_b32_e32 v87, 0
	v_lshlrev_b64 v[86:87], 3, v[86:87]
	v_add_co_u32_e32 v86, vcc, v31, v86
	v_addc_co_u32_e32 v87, vcc, v72, v87, vcc
	global_store_dwordx2 v[86:87], v[2:3], off
	s_or_b64 exec, exec, s[40:41]
	s_and_saveexec_b64 s[40:41], s[2:3]
	s_cbranch_execnz .LBB771_159
	s_branch .LBB771_160
.LBB771_132:
                                        ; implicit-def: $sgpr0_sgpr1
                                        ; implicit-def: $vgpr1
                                        ; implicit-def: $vgpr75
                                        ; implicit-def: $vgpr73
                                        ; implicit-def: $vgpr71
                                        ; implicit-def: $vgpr69
                                        ; implicit-def: $vgpr76
                                        ; implicit-def: $vgpr77
                                        ; implicit-def: $vgpr78
                                        ; implicit-def: $vgpr79
                                        ; implicit-def: $vgpr80
                                        ; implicit-def: $vgpr81
                                        ; implicit-def: $vgpr82
                                        ; implicit-def: $vgpr83
                                        ; implicit-def: $vgpr84
	s_cbranch_execz .LBB771_70
; %bb.133:
	v_cmp_ne_u64_e32 vcc, v[28:29], v[30:31]
	v_cndmask_b32_e64 v84, 0, 1, vcc
	v_cmp_ne_u64_e32 vcc, v[28:29], v[32:33]
	v_cndmask_b32_e64 v83, 0, 1, vcc
	;; [unrolled: 2-line block ×13, first 2 shown]
	v_cmp_ne_u64_e32 vcc, v[4:5], v[46:47]
	v_lshlrev_b32_e32 v44, 3, v0
	v_cndmask_b32_e64 v1, 0, 1, vcc
	v_cmp_ne_u32_e32 vcc, 0, v0
	ds_write_b64 v44, v[46:47]
	s_waitcnt lgkmcnt(0)
	s_barrier
	s_waitcnt lgkmcnt(0)
                                        ; implicit-def: $sgpr0_sgpr1
	s_and_saveexec_b64 s[2:3], vcc
	s_xor_b64 s[2:3], exec, s[2:3]
	s_cbranch_execz .LBB771_135
; %bb.134:
	v_add_u32_e32 v30, -8, v44
	ds_read_b64 v[30:31], v30
	s_or_b64 s[48:49], s[48:49], exec
	s_waitcnt lgkmcnt(0)
	v_cmp_ne_u64_e32 vcc, v[30:31], v[26:27]
	s_and_b64 s[0:1], vcc, exec
.LBB771_135:
	s_or_b64 exec, exec, s[2:3]
	s_mov_b32 s4, 1
	s_branch .LBB771_72
.LBB771_136:
	s_mul_hi_u32 s1, s38, 0xfffff100
	s_mul_i32 s0, s39, 0xfffff100
	s_sub_i32 s1, s1, s38
	s_add_i32 s1, s1, s0
	s_mul_i32 s0, s38, 0xfffff100
	s_add_u32 s38, s0, s56
	s_addc_u32 s39, s1, s57
	s_and_b64 vcc, exec, s[30:31]
	v_cmp_ne_u64_e64 s[28:29], v[4:5], v[46:47]
	v_cmp_ne_u64_e64 s[26:27], v[2:3], v[4:5]
	;; [unrolled: 1-line block ×14, first 2 shown]
	v_cmp_ne_u32_e64 s[0:1], 0, v0
	s_cbranch_vccz .LBB771_143
; %bb.137:
	v_mov_b32_e32 v1, s62
	v_add_co_u32_e64 v30, vcc, -8, s7
	v_addc_co_u32_e32 v31, vcc, -1, v1, vcc
	flat_load_dwordx2 v[30:31], v[30:31]
	v_mov_b32_e32 v49, 0
	v_cmp_gt_u64_e32 vcc, s[38:39], v[48:49]
	v_mov_b32_e32 v75, v49
	s_and_b64 s[28:29], vcc, s[28:29]
	v_cmp_gt_u64_e32 vcc, s[38:39], v[74:75]
	v_mov_b32_e32 v73, v49
	s_and_b64 s[26:27], vcc, s[26:27]
	;; [unrolled: 3-line block ×13, first 2 shown]
	v_cmp_gt_u64_e32 vcc, s[38:39], v[50:51]
	v_lshlrev_b32_e32 v1, 3, v0
	v_mul_u32_u24_e32 v32, 15, v0
	s_and_b64 s[2:3], vcc, s[2:3]
	ds_write_b64 v1, v[46:47]
	s_waitcnt lgkmcnt(0)
	s_barrier
	s_and_saveexec_b64 s[40:41], s[0:1]
	s_cbranch_execz .LBB771_139
; %bb.138:
	v_add_u32_e32 v1, -8, v1
	s_waitcnt vmcnt(0)
	ds_read_b64 v[30:31], v1
.LBB771_139:
	s_or_b64 exec, exec, s[40:41]
	v_mov_b32_e32 v33, v49
	v_cmp_gt_u64_e32 vcc, s[38:39], v[32:33]
	s_waitcnt vmcnt(0) lgkmcnt(0)
	v_cmp_ne_u64_e64 s[0:1], v[30:31], v[26:27]
	v_cndmask_b32_e64 v1, 0, 1, s[28:29]
	v_cndmask_b32_e64 v75, 0, 1, s[26:27]
	;; [unrolled: 1-line block ×14, first 2 shown]
	s_and_b64 s[0:1], vcc, s[0:1]
	s_mov_b64 s[48:49], -1
.LBB771_140:
                                        ; implicit-def: $sgpr4
	v_mov_b32_e32 v70, s4
	s_and_saveexec_b64 s[2:3], s[48:49]
	s_cbranch_execnz .LBB771_73
	s_branch .LBB771_74
.LBB771_141:
	s_andn2_saveexec_b64 s[30:31], s[30:31]
	s_cbranch_execz .LBB771_161
.LBB771_142:
	v_sub_u32_e32 v86, v66, v32
	v_mov_b32_e32 v87, 0
	v_lshlrev_b64 v[88:89], 3, v[86:87]
	v_add_co_u32_e32 v88, vcc, v31, v88
	v_addc_co_u32_e32 v89, vcc, v72, v89, vcc
	v_sub_u32_e32 v86, v64, v32
	global_store_dwordx2 v[88:89], v[26:27], off
	v_lshlrev_b64 v[88:89], 3, v[86:87]
	v_add_co_u32_e32 v88, vcc, v31, v88
	v_addc_co_u32_e32 v89, vcc, v72, v89, vcc
	v_sub_u32_e32 v86, v62, v32
	global_store_dwordx2 v[88:89], v[28:29], off
	v_lshlrev_b64 v[88:89], 3, v[86:87]
	v_add_co_u32_e32 v88, vcc, v31, v88
	v_addc_co_u32_e32 v89, vcc, v72, v89, vcc
	v_sub_u32_e32 v86, v60, v32
	global_store_dwordx2 v[88:89], v[22:23], off
	v_lshlrev_b64 v[88:89], 3, v[86:87]
	v_add_co_u32_e32 v88, vcc, v31, v88
	v_addc_co_u32_e32 v89, vcc, v72, v89, vcc
	v_sub_u32_e32 v86, v58, v32
	global_store_dwordx2 v[88:89], v[24:25], off
	v_lshlrev_b64 v[88:89], 3, v[86:87]
	v_add_co_u32_e32 v88, vcc, v31, v88
	v_addc_co_u32_e32 v89, vcc, v72, v89, vcc
	v_sub_u32_e32 v86, v56, v32
	global_store_dwordx2 v[88:89], v[18:19], off
	v_lshlrev_b64 v[88:89], 3, v[86:87]
	v_add_co_u32_e32 v88, vcc, v31, v88
	v_addc_co_u32_e32 v89, vcc, v72, v89, vcc
	v_sub_u32_e32 v86, v54, v32
	global_store_dwordx2 v[88:89], v[20:21], off
	v_lshlrev_b64 v[88:89], 3, v[86:87]
	v_add_co_u32_e32 v88, vcc, v31, v88
	v_addc_co_u32_e32 v89, vcc, v72, v89, vcc
	v_sub_u32_e32 v86, v52, v32
	global_store_dwordx2 v[88:89], v[14:15], off
	v_lshlrev_b64 v[88:89], 3, v[86:87]
	v_add_co_u32_e32 v88, vcc, v31, v88
	v_addc_co_u32_e32 v89, vcc, v72, v89, vcc
	v_sub_u32_e32 v86, v50, v32
	global_store_dwordx2 v[88:89], v[16:17], off
	v_lshlrev_b64 v[88:89], 3, v[86:87]
	v_add_co_u32_e32 v88, vcc, v31, v88
	v_addc_co_u32_e32 v89, vcc, v72, v89, vcc
	v_sub_u32_e32 v86, v48, v32
	global_store_dwordx2 v[88:89], v[10:11], off
	v_lshlrev_b64 v[88:89], 3, v[86:87]
	v_add_co_u32_e32 v88, vcc, v31, v88
	v_addc_co_u32_e32 v89, vcc, v72, v89, vcc
	v_sub_u32_e32 v86, v44, v32
	global_store_dwordx2 v[88:89], v[12:13], off
	v_lshlrev_b64 v[88:89], 3, v[86:87]
	v_add_co_u32_e32 v88, vcc, v31, v88
	v_addc_co_u32_e32 v89, vcc, v72, v89, vcc
	v_sub_u32_e32 v86, v42, v32
	global_store_dwordx2 v[88:89], v[6:7], off
	v_lshlrev_b64 v[88:89], 3, v[86:87]
	v_add_co_u32_e32 v88, vcc, v31, v88
	v_addc_co_u32_e32 v89, vcc, v72, v89, vcc
	v_sub_u32_e32 v86, v40, v32
	global_store_dwordx2 v[88:89], v[8:9], off
	v_lshlrev_b64 v[88:89], 3, v[86:87]
	v_add_co_u32_e32 v88, vcc, v31, v88
	v_sub_u32_e32 v86, v38, v32
	v_addc_co_u32_e32 v89, vcc, v72, v89, vcc
	v_lshlrev_b64 v[86:87], 3, v[86:87]
	v_add_co_u32_e32 v86, vcc, v31, v86
	v_addc_co_u32_e32 v87, vcc, v72, v87, vcc
	s_or_b64 s[40:41], s[40:41], exec
	global_store_dwordx2 v[88:89], v[2:3], off
	global_store_dwordx2 v[86:87], v[4:5], off
	s_or_b64 exec, exec, s[30:31]
	s_and_b64 exec, exec, s[40:41]
	s_cbranch_execnz .LBB771_162
	s_branch .LBB771_163
.LBB771_143:
                                        ; implicit-def: $sgpr0_sgpr1
                                        ; implicit-def: $vgpr1
                                        ; implicit-def: $vgpr75
                                        ; implicit-def: $vgpr73
                                        ; implicit-def: $vgpr71
                                        ; implicit-def: $vgpr69
                                        ; implicit-def: $vgpr76
                                        ; implicit-def: $vgpr77
                                        ; implicit-def: $vgpr78
                                        ; implicit-def: $vgpr79
                                        ; implicit-def: $vgpr80
                                        ; implicit-def: $vgpr81
                                        ; implicit-def: $vgpr82
                                        ; implicit-def: $vgpr83
                                        ; implicit-def: $vgpr84
	s_cbranch_execz .LBB771_140
; %bb.144:
	v_mov_b32_e32 v49, 0
	v_cmp_gt_u64_e32 vcc, s[38:39], v[48:49]
	v_cmp_ne_u64_e64 s[0:1], v[4:5], v[46:47]
	s_and_b64 s[0:1], vcc, s[0:1]
	v_mov_b32_e32 v75, v49
	v_cndmask_b32_e64 v1, 0, 1, s[0:1]
	v_cmp_gt_u64_e32 vcc, s[38:39], v[74:75]
	v_cmp_ne_u64_e64 s[0:1], v[2:3], v[4:5]
	s_and_b64 s[0:1], vcc, s[0:1]
	v_mov_b32_e32 v73, v49
	v_cndmask_b32_e64 v75, 0, 1, s[0:1]
	;; [unrolled: 5-line block ×13, first 2 shown]
	v_cmp_gt_u64_e32 vcc, s[38:39], v[50:51]
	v_cmp_ne_u64_e64 s[0:1], v[26:27], v[28:29]
	s_and_b64 s[0:1], vcc, s[0:1]
	v_lshlrev_b32_e32 v30, 3, v0
	s_mov_b32 s4, 1
	v_cndmask_b32_e64 v84, 0, 1, s[0:1]
	v_cmp_ne_u32_e32 vcc, 0, v0
	ds_write_b64 v30, v[46:47]
	s_waitcnt lgkmcnt(0)
	s_barrier
	s_waitcnt lgkmcnt(0)
                                        ; implicit-def: $sgpr0_sgpr1
	s_and_saveexec_b64 s[2:3], vcc
	s_cbranch_execz .LBB771_183
; %bb.145:
	v_add_u32_e32 v30, -8, v30
	ds_read_b64 v[30:31], v30
	v_mul_u32_u24_e32 v48, 15, v0
	v_cmp_gt_u64_e32 vcc, s[38:39], v[48:49]
	s_or_b64 s[48:49], s[48:49], exec
	s_waitcnt lgkmcnt(0)
	v_cmp_ne_u64_e64 s[0:1], v[30:31], v[26:27]
	s_and_b64 s[0:1], vcc, s[0:1]
	s_and_b64 s[0:1], s[0:1], exec
	s_or_b64 exec, exec, s[2:3]
	v_mov_b32_e32 v70, s4
	s_and_saveexec_b64 s[2:3], s[48:49]
	s_cbranch_execz .LBB771_74
	s_branch .LBB771_73
.LBB771_146:
	s_or_b64 exec, exec, s[40:41]
	s_and_saveexec_b64 s[40:41], s[26:27]
	s_cbranch_execz .LBB771_120
.LBB771_147:
	v_sub_u32_e32 v86, v64, v32
	v_mov_b32_e32 v87, 0
	v_lshlrev_b64 v[86:87], 3, v[86:87]
	v_add_co_u32_e32 v86, vcc, v31, v86
	v_addc_co_u32_e32 v87, vcc, v72, v87, vcc
	global_store_dwordx2 v[86:87], v[28:29], off
	s_or_b64 exec, exec, s[40:41]
	s_and_saveexec_b64 s[40:41], s[24:25]
	s_cbranch_execnz .LBB771_121
.LBB771_148:
	s_or_b64 exec, exec, s[40:41]
	s_and_saveexec_b64 s[40:41], s[22:23]
	s_cbranch_execz .LBB771_122
.LBB771_149:
	v_sub_u32_e32 v86, v60, v32
	v_mov_b32_e32 v87, 0
	v_lshlrev_b64 v[86:87], 3, v[86:87]
	v_add_co_u32_e32 v86, vcc, v31, v86
	v_addc_co_u32_e32 v87, vcc, v72, v87, vcc
	global_store_dwordx2 v[86:87], v[24:25], off
	s_or_b64 exec, exec, s[40:41]
	s_and_saveexec_b64 s[40:41], s[20:21]
	s_cbranch_execnz .LBB771_123
.LBB771_150:
	s_or_b64 exec, exec, s[40:41]
	s_and_saveexec_b64 s[40:41], s[18:19]
	s_cbranch_execz .LBB771_124
.LBB771_151:
	v_sub_u32_e32 v86, v56, v32
	v_mov_b32_e32 v87, 0
	v_lshlrev_b64 v[86:87], 3, v[86:87]
	v_add_co_u32_e32 v86, vcc, v31, v86
	v_addc_co_u32_e32 v87, vcc, v72, v87, vcc
	global_store_dwordx2 v[86:87], v[20:21], off
	s_or_b64 exec, exec, s[40:41]
	s_and_saveexec_b64 s[40:41], s[16:17]
	s_cbranch_execnz .LBB771_125
.LBB771_152:
	s_or_b64 exec, exec, s[40:41]
	s_and_saveexec_b64 s[40:41], s[14:15]
	s_cbranch_execz .LBB771_126
.LBB771_153:
	v_sub_u32_e32 v86, v52, v32
	v_mov_b32_e32 v87, 0
	v_lshlrev_b64 v[86:87], 3, v[86:87]
	v_add_co_u32_e32 v86, vcc, v31, v86
	v_addc_co_u32_e32 v87, vcc, v72, v87, vcc
	global_store_dwordx2 v[86:87], v[16:17], off
	s_or_b64 exec, exec, s[40:41]
	s_and_saveexec_b64 s[40:41], s[12:13]
	s_cbranch_execnz .LBB771_127
.LBB771_154:
	s_or_b64 exec, exec, s[40:41]
	s_and_saveexec_b64 s[40:41], s[10:11]
	s_cbranch_execz .LBB771_128
.LBB771_155:
	v_sub_u32_e32 v86, v48, v32
	v_mov_b32_e32 v87, 0
	v_lshlrev_b64 v[86:87], 3, v[86:87]
	v_add_co_u32_e32 v86, vcc, v31, v86
	v_addc_co_u32_e32 v87, vcc, v72, v87, vcc
	global_store_dwordx2 v[86:87], v[12:13], off
	s_or_b64 exec, exec, s[40:41]
	s_and_saveexec_b64 s[40:41], s[8:9]
	s_cbranch_execnz .LBB771_129
.LBB771_156:
	s_or_b64 exec, exec, s[40:41]
	s_and_saveexec_b64 s[40:41], s[6:7]
	s_cbranch_execz .LBB771_130
.LBB771_157:
	v_sub_u32_e32 v86, v42, v32
	v_mov_b32_e32 v87, 0
	v_lshlrev_b64 v[86:87], 3, v[86:87]
	v_add_co_u32_e32 v86, vcc, v31, v86
	v_addc_co_u32_e32 v87, vcc, v72, v87, vcc
	global_store_dwordx2 v[86:87], v[8:9], off
	s_or_b64 exec, exec, s[40:41]
	s_and_saveexec_b64 s[40:41], s[4:5]
	s_cbranch_execnz .LBB771_131
.LBB771_158:
	s_or_b64 exec, exec, s[40:41]
	s_and_saveexec_b64 s[40:41], s[2:3]
	s_cbranch_execz .LBB771_160
.LBB771_159:
	v_sub_u32_e32 v86, v38, v32
	v_mov_b32_e32 v87, 0
	v_lshlrev_b64 v[86:87], 3, v[86:87]
	v_add_co_u32_e32 v86, vcc, v31, v86
	v_addc_co_u32_e32 v87, vcc, v72, v87, vcc
	global_store_dwordx2 v[86:87], v[4:5], off
.LBB771_160:
	s_or_b64 exec, exec, s[40:41]
	s_and_b64 s[40:41], s[0:1], exec
	s_andn2_saveexec_b64 s[30:31], s[30:31]
	s_cbranch_execnz .LBB771_142
.LBB771_161:
	s_or_b64 exec, exec, s[30:31]
	s_and_b64 exec, exec, s[40:41]
	s_cbranch_execz .LBB771_163
.LBB771_162:
	v_sub_u32_e32 v86, v36, v32
	v_mov_b32_e32 v87, 0
	v_lshlrev_b64 v[86:87], 3, v[86:87]
	v_add_co_u32_e32 v86, vcc, v31, v86
	v_addc_co_u32_e32 v87, vcc, v72, v87, vcc
	global_store_dwordx2 v[86:87], v[46:47], off
.LBB771_163:
	s_or_b64 exec, exec, s[38:39]
	s_mov_b64 s[38:39], 0
.LBB771_164:
	s_and_b64 vcc, exec, s[38:39]
	s_cbranch_vccz .LBB771_205
; %bb.165:
	v_cmp_gt_i16_e32 vcc, 2, v74
	s_and_saveexec_b64 s[30:31], vcc
	s_cbranch_execz .LBB771_201
; %bb.166:
	v_cmp_ne_u16_e32 vcc, 1, v74
	s_mov_b64 s[40:41], 0
	s_and_saveexec_b64 s[38:39], vcc
	s_xor_b64 s[38:39], exec, s[38:39]
	s_cbranch_execz .LBB771_181
; %bb.167:
	s_and_saveexec_b64 s[40:41], s[28:29]
	s_cbranch_execz .LBB771_184
; %bb.168:
	v_sub_u32_e32 v74, v66, v32
	v_lshlrev_b32_e32 v74, 3, v74
	ds_write_b64 v74, v[26:27]
	s_or_b64 exec, exec, s[40:41]
	s_and_saveexec_b64 s[28:29], s[26:27]
	s_cbranch_execnz .LBB771_185
.LBB771_169:
	s_or_b64 exec, exec, s[28:29]
	s_and_saveexec_b64 s[26:27], s[24:25]
	s_cbranch_execz .LBB771_186
.LBB771_170:
	v_sub_u32_e32 v26, v62, v32
	v_lshlrev_b32_e32 v26, 3, v26
	ds_write_b64 v26, v[22:23]
	s_or_b64 exec, exec, s[26:27]
	s_and_saveexec_b64 s[24:25], s[22:23]
	s_cbranch_execnz .LBB771_187
.LBB771_171:
	s_or_b64 exec, exec, s[24:25]
	s_and_saveexec_b64 s[22:23], s[20:21]
	s_cbranch_execz .LBB771_188
.LBB771_172:
	v_sub_u32_e32 v22, v58, v32
	v_lshlrev_b32_e32 v22, 3, v22
	ds_write_b64 v22, v[18:19]
	s_or_b64 exec, exec, s[22:23]
	s_and_saveexec_b64 s[20:21], s[18:19]
	s_cbranch_execnz .LBB771_189
.LBB771_173:
	s_or_b64 exec, exec, s[20:21]
	s_and_saveexec_b64 s[18:19], s[16:17]
	s_cbranch_execz .LBB771_190
.LBB771_174:
	v_sub_u32_e32 v18, v54, v32
	v_lshlrev_b32_e32 v18, 3, v18
	ds_write_b64 v18, v[14:15]
	s_or_b64 exec, exec, s[18:19]
	s_and_saveexec_b64 s[16:17], s[14:15]
	s_cbranch_execnz .LBB771_191
.LBB771_175:
	s_or_b64 exec, exec, s[16:17]
	s_and_saveexec_b64 s[14:15], s[12:13]
	s_cbranch_execz .LBB771_192
.LBB771_176:
	v_sub_u32_e32 v14, v50, v32
	v_lshlrev_b32_e32 v14, 3, v14
	ds_write_b64 v14, v[10:11]
	s_or_b64 exec, exec, s[14:15]
	s_and_saveexec_b64 s[12:13], s[10:11]
	s_cbranch_execnz .LBB771_193
.LBB771_177:
	s_or_b64 exec, exec, s[12:13]
	s_and_saveexec_b64 s[10:11], s[8:9]
	s_cbranch_execz .LBB771_194
.LBB771_178:
	v_sub_u32_e32 v10, v44, v32
	v_lshlrev_b32_e32 v10, 3, v10
	ds_write_b64 v10, v[6:7]
	s_or_b64 exec, exec, s[10:11]
	s_and_saveexec_b64 s[8:9], s[6:7]
	s_cbranch_execnz .LBB771_195
.LBB771_179:
	s_or_b64 exec, exec, s[8:9]
	s_and_saveexec_b64 s[6:7], s[4:5]
	s_cbranch_execz .LBB771_196
.LBB771_180:
	v_sub_u32_e32 v6, v40, v32
	v_lshlrev_b32_e32 v6, 3, v6
	ds_write_b64 v6, v[2:3]
	s_or_b64 exec, exec, s[6:7]
	s_and_saveexec_b64 s[4:5], s[2:3]
	s_cbranch_execnz .LBB771_197
	s_branch .LBB771_198
.LBB771_181:
	s_andn2_saveexec_b64 s[0:1], s[38:39]
	s_cbranch_execz .LBB771_199
.LBB771_182:
	v_sub_u32_e32 v74, v66, v32
	v_lshlrev_b32_e32 v74, 3, v74
	ds_write_b64 v74, v[26:27]
	v_sub_u32_e32 v26, v64, v32
	v_lshlrev_b32_e32 v26, 3, v26
	ds_write_b64 v26, v[28:29]
	;; [unrolled: 3-line block ×13, first 2 shown]
	v_sub_u32_e32 v2, v38, v32
	v_lshlrev_b32_e32 v2, 3, v2
	s_or_b64 s[40:41], s[40:41], exec
	ds_write_b64 v2, v[4:5]
	s_or_b64 exec, exec, s[0:1]
	s_and_b64 exec, exec, s[40:41]
	s_cbranch_execnz .LBB771_200
	s_branch .LBB771_201
.LBB771_183:
	s_or_b64 exec, exec, s[2:3]
	v_mov_b32_e32 v70, s4
	s_and_saveexec_b64 s[2:3], s[48:49]
	s_cbranch_execnz .LBB771_73
	s_branch .LBB771_74
.LBB771_184:
	s_or_b64 exec, exec, s[40:41]
	s_and_saveexec_b64 s[28:29], s[26:27]
	s_cbranch_execz .LBB771_169
.LBB771_185:
	v_sub_u32_e32 v26, v64, v32
	v_lshlrev_b32_e32 v26, 3, v26
	ds_write_b64 v26, v[28:29]
	s_or_b64 exec, exec, s[28:29]
	s_and_saveexec_b64 s[26:27], s[24:25]
	s_cbranch_execnz .LBB771_170
.LBB771_186:
	s_or_b64 exec, exec, s[26:27]
	s_and_saveexec_b64 s[24:25], s[22:23]
	s_cbranch_execz .LBB771_171
.LBB771_187:
	v_sub_u32_e32 v22, v60, v32
	v_lshlrev_b32_e32 v22, 3, v22
	ds_write_b64 v22, v[24:25]
	s_or_b64 exec, exec, s[24:25]
	s_and_saveexec_b64 s[22:23], s[20:21]
	s_cbranch_execnz .LBB771_172
.LBB771_188:
	s_or_b64 exec, exec, s[22:23]
	s_and_saveexec_b64 s[20:21], s[18:19]
	s_cbranch_execz .LBB771_173
.LBB771_189:
	v_sub_u32_e32 v18, v56, v32
	v_lshlrev_b32_e32 v18, 3, v18
	ds_write_b64 v18, v[20:21]
	s_or_b64 exec, exec, s[20:21]
	s_and_saveexec_b64 s[18:19], s[16:17]
	s_cbranch_execnz .LBB771_174
.LBB771_190:
	s_or_b64 exec, exec, s[18:19]
	s_and_saveexec_b64 s[16:17], s[14:15]
	s_cbranch_execz .LBB771_175
.LBB771_191:
	v_sub_u32_e32 v14, v52, v32
	v_lshlrev_b32_e32 v14, 3, v14
	ds_write_b64 v14, v[16:17]
	s_or_b64 exec, exec, s[16:17]
	s_and_saveexec_b64 s[14:15], s[12:13]
	s_cbranch_execnz .LBB771_176
.LBB771_192:
	s_or_b64 exec, exec, s[14:15]
	s_and_saveexec_b64 s[12:13], s[10:11]
	s_cbranch_execz .LBB771_177
.LBB771_193:
	v_sub_u32_e32 v10, v48, v32
	v_lshlrev_b32_e32 v10, 3, v10
	ds_write_b64 v10, v[12:13]
	s_or_b64 exec, exec, s[12:13]
	s_and_saveexec_b64 s[10:11], s[8:9]
	s_cbranch_execnz .LBB771_178
.LBB771_194:
	s_or_b64 exec, exec, s[10:11]
	s_and_saveexec_b64 s[8:9], s[6:7]
	s_cbranch_execz .LBB771_179
.LBB771_195:
	v_sub_u32_e32 v6, v42, v32
	v_lshlrev_b32_e32 v6, 3, v6
	ds_write_b64 v6, v[8:9]
	s_or_b64 exec, exec, s[8:9]
	s_and_saveexec_b64 s[6:7], s[4:5]
	s_cbranch_execnz .LBB771_180
.LBB771_196:
	s_or_b64 exec, exec, s[6:7]
	s_and_saveexec_b64 s[4:5], s[2:3]
	s_cbranch_execz .LBB771_198
.LBB771_197:
	v_sub_u32_e32 v2, v38, v32
	v_lshlrev_b32_e32 v2, 3, v2
	ds_write_b64 v2, v[4:5]
.LBB771_198:
	s_or_b64 exec, exec, s[4:5]
	s_and_b64 s[40:41], s[0:1], exec
                                        ; implicit-def: $vgpr2_vgpr3
                                        ; implicit-def: $vgpr6_vgpr7
                                        ; implicit-def: $vgpr10_vgpr11
                                        ; implicit-def: $vgpr14_vgpr15
                                        ; implicit-def: $vgpr18_vgpr19
                                        ; implicit-def: $vgpr22_vgpr23
                                        ; implicit-def: $vgpr26_vgpr27
	s_andn2_saveexec_b64 s[0:1], s[38:39]
	s_cbranch_execnz .LBB771_182
.LBB771_199:
	s_or_b64 exec, exec, s[0:1]
	s_and_b64 exec, exec, s[40:41]
	s_cbranch_execz .LBB771_201
.LBB771_200:
	v_sub_u32_e32 v2, v36, v32
	v_lshlrev_b32_e32 v2, 3, v2
	ds_write_b64 v2, v[46:47]
.LBB771_201:
	s_or_b64 exec, exec, s[30:31]
	v_cmp_lt_u32_e32 vcc, v0, v30
	s_waitcnt lgkmcnt(0)
	s_barrier
	s_and_saveexec_b64 s[0:1], vcc
	s_cbranch_execz .LBB771_204
; %bb.202:
	v_lshlrev_b32_e32 v4, 3, v0
	s_mov_b64 s[2:3], 0
	v_mov_b32_e32 v3, 0
	v_mov_b32_e32 v2, v0
.LBB771_203:                            ; =>This Inner Loop Header: Depth=1
	v_lshlrev_b64 v[6:7], 3, v[2:3]
	ds_read_b64 v[8:9], v4
	v_add_co_u32_e32 v6, vcc, v31, v6
	v_add_u32_e32 v2, 0x100, v2
	v_addc_co_u32_e32 v7, vcc, v72, v7, vcc
	v_cmp_ge_u32_e32 vcc, v2, v30
	v_add_u32_e32 v4, 0x800, v4
	s_or_b64 s[2:3], vcc, s[2:3]
	s_waitcnt lgkmcnt(0)
	global_store_dwordx2 v[6:7], v[8:9], off
	s_andn2_b64 exec, exec, s[2:3]
	s_cbranch_execnz .LBB771_203
.LBB771_204:
	s_or_b64 exec, exec, s[0:1]
.LBB771_205:
	s_cmpk_lg_i32 s33, 0xf00
	s_cselect_b64 s[0:1], -1, 0
	v_cndmask_b32_e64 v3, 0, 1, s[36:37]
	s_and_b64 s[0:1], s[34:35], s[0:1]
	v_cmp_eq_u32_e32 vcc, 0, v0
	v_sub_u32_e32 v4, v30, v3
	v_cndmask_b32_e64 v2, 0, 1, s[0:1]
	s_and_b64 s[0:1], vcc, s[36:37]
	v_add_u32_e32 v6, v4, v2
	v_cndmask_b32_e64 v4, v70, 0, s[0:1]
	s_mul_hi_u32 s0, s33, 0x88888889
	s_lshr_b32 s0, s0, 3
	v_mad_i32_i24 v5, v0, -15, s33
	v_cmp_eq_u32_e32 vcc, s0, v0
	v_cmp_ne_u32_e64 s[0:1], 0, v5
	v_cndmask_b32_e64 v7, 1, v4, s[0:1]
	v_cmp_ne_u32_e64 s[0:1], 1, v5
	v_cndmask_b32_e64 v8, 1, v84, s[0:1]
	;; [unrolled: 2-line block ×15, first 2 shown]
	s_and_b64 vcc, s[34:35], vcc
	v_cndmask_b32_e32 v21, v1, v5, vcc
	v_cndmask_b32_e32 v25, v4, v7, vcc
	v_lshlrev_b64 v[4:5], 2, v[34:35]
	v_cndmask_b32_e32 v20, v75, v20, vcc
	v_cndmask_b32_e32 v19, v73, v19, vcc
	;; [unrolled: 1-line block ×13, first 2 shown]
	v_mov_b32_e32 v1, s53
	v_add_co_u32_e32 v7, vcc, s52, v4
	v_addc_co_u32_e32 v1, vcc, v1, v5, vcc
	v_lshlrev_b64 v[4:5], 2, v[32:33]
	v_add_co_u32_e32 v7, vcc, v7, v4
	v_addc_co_u32_e32 v8, vcc, v1, v5, vcc
	v_lshlrev_b32_e32 v1, 2, v3
	v_add_co_u32_e32 v1, vcc, v1, v7
	v_addc_co_u32_e32 v4, vcc, 0, v8, vcc
	v_add_co_u32_e32 v9, vcc, -4, v1
	v_addc_co_u32_e32 v10, vcc, -1, v4, vcc
	v_cmp_eq_u32_e32 vcc, 0, v25
	v_cndmask_b32_e64 v4, 1, 2, vcc
	v_cmp_eq_u32_e32 vcc, 0, v24
	v_cndmask_b32_e64 v5, 1, 2, vcc
	v_cmp_eq_u32_e32 vcc, 0, v23
	v_and_b32_e32 v4, v5, v4
	v_cndmask_b32_e64 v5, 1, 2, vcc
	v_cmp_eq_u32_e32 vcc, 0, v22
	v_and_b32_e32 v4, v4, v5
	;; [unrolled: 3-line block ×13, first 2 shown]
	v_cndmask_b32_e64 v5, 1, 2, vcc
	s_movk_i32 s30, 0x100
	v_and_b32_e32 v4, v4, v5
	v_cmp_gt_u32_e32 vcc, s30, v6
	v_add_u32_e32 v1, v32, v3
	v_cmp_ne_u32_e64 s[28:29], 0, v25
	v_cmp_ne_u32_e64 s[26:27], 0, v24
	;; [unrolled: 1-line block ×15, first 2 shown]
	s_mov_b64 s[36:37], -1
	v_cmp_gt_i16_e64 s[30:31], 2, v4
	s_barrier
	s_cbranch_vccz .LBB771_242
; %bb.206:
	s_and_saveexec_b64 s[36:37], s[30:31]
	s_cbranch_execz .LBB771_241
; %bb.207:
	v_cmp_ne_u16_e32 vcc, 1, v4
	s_mov_b64 s[38:39], 0
	s_and_saveexec_b64 s[30:31], vcc
	s_xor_b64 s[30:31], exec, s[30:31]
	s_cbranch_execz .LBB771_222
; %bb.208:
	s_and_saveexec_b64 s[38:39], s[28:29]
	s_cbranch_execz .LBB771_224
; %bb.209:
	v_sub_u32_e32 v12, v66, v1
	v_mov_b32_e32 v13, 0
	v_lshlrev_b64 v[12:13], 2, v[12:13]
	v_add_co_u32_e32 v12, vcc, v9, v12
	v_addc_co_u32_e32 v13, vcc, v10, v13, vcc
	global_store_dword v[12:13], v67, off
	s_or_b64 exec, exec, s[38:39]
	s_and_saveexec_b64 s[38:39], s[26:27]
	s_cbranch_execnz .LBB771_225
.LBB771_210:
	s_or_b64 exec, exec, s[38:39]
	s_and_saveexec_b64 s[38:39], s[24:25]
	s_cbranch_execz .LBB771_226
.LBB771_211:
	v_sub_u32_e32 v12, v62, v1
	v_mov_b32_e32 v13, 0
	v_lshlrev_b64 v[12:13], 2, v[12:13]
	v_add_co_u32_e32 v12, vcc, v9, v12
	v_addc_co_u32_e32 v13, vcc, v10, v13, vcc
	global_store_dword v[12:13], v63, off
	s_or_b64 exec, exec, s[38:39]
	s_and_saveexec_b64 s[38:39], s[22:23]
	s_cbranch_execnz .LBB771_227
.LBB771_212:
	s_or_b64 exec, exec, s[38:39]
	s_and_saveexec_b64 s[38:39], s[20:21]
	s_cbranch_execz .LBB771_228
.LBB771_213:
	v_sub_u32_e32 v12, v58, v1
	v_mov_b32_e32 v13, 0
	v_lshlrev_b64 v[12:13], 2, v[12:13]
	v_add_co_u32_e32 v12, vcc, v9, v12
	v_addc_co_u32_e32 v13, vcc, v10, v13, vcc
	global_store_dword v[12:13], v59, off
	s_or_b64 exec, exec, s[38:39]
	s_and_saveexec_b64 s[38:39], s[18:19]
	s_cbranch_execnz .LBB771_229
.LBB771_214:
	s_or_b64 exec, exec, s[38:39]
	s_and_saveexec_b64 s[38:39], s[16:17]
	s_cbranch_execz .LBB771_230
.LBB771_215:
	v_sub_u32_e32 v12, v54, v1
	v_mov_b32_e32 v13, 0
	v_lshlrev_b64 v[12:13], 2, v[12:13]
	v_add_co_u32_e32 v12, vcc, v9, v12
	v_addc_co_u32_e32 v13, vcc, v10, v13, vcc
	global_store_dword v[12:13], v55, off
	s_or_b64 exec, exec, s[38:39]
	s_and_saveexec_b64 s[38:39], s[14:15]
	s_cbranch_execnz .LBB771_231
.LBB771_216:
	s_or_b64 exec, exec, s[38:39]
	s_and_saveexec_b64 s[38:39], s[12:13]
	s_cbranch_execz .LBB771_232
.LBB771_217:
	v_sub_u32_e32 v12, v50, v1
	v_mov_b32_e32 v13, 0
	v_lshlrev_b64 v[12:13], 2, v[12:13]
	v_add_co_u32_e32 v12, vcc, v9, v12
	v_addc_co_u32_e32 v13, vcc, v10, v13, vcc
	global_store_dword v[12:13], v51, off
	s_or_b64 exec, exec, s[38:39]
	s_and_saveexec_b64 s[38:39], s[10:11]
	s_cbranch_execnz .LBB771_233
.LBB771_218:
	s_or_b64 exec, exec, s[38:39]
	s_and_saveexec_b64 s[38:39], s[8:9]
	s_cbranch_execz .LBB771_234
.LBB771_219:
	v_sub_u32_e32 v12, v44, v1
	v_mov_b32_e32 v13, 0
	v_lshlrev_b64 v[12:13], 2, v[12:13]
	v_add_co_u32_e32 v12, vcc, v9, v12
	v_addc_co_u32_e32 v13, vcc, v10, v13, vcc
	global_store_dword v[12:13], v45, off
	s_or_b64 exec, exec, s[38:39]
	s_and_saveexec_b64 s[38:39], s[6:7]
	s_cbranch_execnz .LBB771_235
.LBB771_220:
	s_or_b64 exec, exec, s[38:39]
	s_and_saveexec_b64 s[38:39], s[4:5]
	s_cbranch_execz .LBB771_236
.LBB771_221:
	v_sub_u32_e32 v12, v40, v1
	v_mov_b32_e32 v13, 0
	v_lshlrev_b64 v[12:13], 2, v[12:13]
	v_add_co_u32_e32 v12, vcc, v9, v12
	v_addc_co_u32_e32 v13, vcc, v10, v13, vcc
	global_store_dword v[12:13], v41, off
	s_or_b64 exec, exec, s[38:39]
	s_and_saveexec_b64 s[38:39], s[2:3]
	s_cbranch_execnz .LBB771_237
	s_branch .LBB771_238
.LBB771_222:
	s_andn2_saveexec_b64 s[30:31], s[30:31]
	s_cbranch_execz .LBB771_239
.LBB771_223:
	v_sub_u32_e32 v12, v66, v1
	v_mov_b32_e32 v13, 0
	v_lshlrev_b64 v[14:15], 2, v[12:13]
	v_add_co_u32_e32 v14, vcc, v9, v14
	v_addc_co_u32_e32 v15, vcc, v10, v15, vcc
	v_sub_u32_e32 v12, v64, v1
	global_store_dword v[14:15], v67, off
	v_lshlrev_b64 v[14:15], 2, v[12:13]
	v_add_co_u32_e32 v14, vcc, v9, v14
	v_addc_co_u32_e32 v15, vcc, v10, v15, vcc
	v_sub_u32_e32 v12, v62, v1
	global_store_dword v[14:15], v65, off
	;; [unrolled: 5-line block ×12, first 2 shown]
	v_lshlrev_b64 v[14:15], 2, v[12:13]
	v_add_co_u32_e32 v14, vcc, v9, v14
	v_sub_u32_e32 v12, v38, v1
	v_addc_co_u32_e32 v15, vcc, v10, v15, vcc
	v_lshlrev_b64 v[12:13], 2, v[12:13]
	v_add_co_u32_e32 v12, vcc, v9, v12
	v_addc_co_u32_e32 v13, vcc, v10, v13, vcc
	s_or_b64 s[38:39], s[38:39], exec
	global_store_dword v[14:15], v41, off
	global_store_dword v[12:13], v39, off
	s_or_b64 exec, exec, s[30:31]
	s_and_b64 exec, exec, s[38:39]
	s_cbranch_execnz .LBB771_240
	s_branch .LBB771_241
.LBB771_224:
	s_or_b64 exec, exec, s[38:39]
	s_and_saveexec_b64 s[38:39], s[26:27]
	s_cbranch_execz .LBB771_210
.LBB771_225:
	v_sub_u32_e32 v12, v64, v1
	v_mov_b32_e32 v13, 0
	v_lshlrev_b64 v[12:13], 2, v[12:13]
	v_add_co_u32_e32 v12, vcc, v9, v12
	v_addc_co_u32_e32 v13, vcc, v10, v13, vcc
	global_store_dword v[12:13], v65, off
	s_or_b64 exec, exec, s[38:39]
	s_and_saveexec_b64 s[38:39], s[24:25]
	s_cbranch_execnz .LBB771_211
.LBB771_226:
	s_or_b64 exec, exec, s[38:39]
	s_and_saveexec_b64 s[38:39], s[22:23]
	s_cbranch_execz .LBB771_212
.LBB771_227:
	v_sub_u32_e32 v12, v60, v1
	v_mov_b32_e32 v13, 0
	v_lshlrev_b64 v[12:13], 2, v[12:13]
	v_add_co_u32_e32 v12, vcc, v9, v12
	v_addc_co_u32_e32 v13, vcc, v10, v13, vcc
	global_store_dword v[12:13], v61, off
	s_or_b64 exec, exec, s[38:39]
	s_and_saveexec_b64 s[38:39], s[20:21]
	s_cbranch_execnz .LBB771_213
.LBB771_228:
	s_or_b64 exec, exec, s[38:39]
	s_and_saveexec_b64 s[38:39], s[18:19]
	s_cbranch_execz .LBB771_214
.LBB771_229:
	v_sub_u32_e32 v12, v56, v1
	v_mov_b32_e32 v13, 0
	v_lshlrev_b64 v[12:13], 2, v[12:13]
	v_add_co_u32_e32 v12, vcc, v9, v12
	v_addc_co_u32_e32 v13, vcc, v10, v13, vcc
	global_store_dword v[12:13], v57, off
	s_or_b64 exec, exec, s[38:39]
	s_and_saveexec_b64 s[38:39], s[16:17]
	s_cbranch_execnz .LBB771_215
.LBB771_230:
	s_or_b64 exec, exec, s[38:39]
	s_and_saveexec_b64 s[38:39], s[14:15]
	s_cbranch_execz .LBB771_216
.LBB771_231:
	v_sub_u32_e32 v12, v52, v1
	v_mov_b32_e32 v13, 0
	v_lshlrev_b64 v[12:13], 2, v[12:13]
	v_add_co_u32_e32 v12, vcc, v9, v12
	v_addc_co_u32_e32 v13, vcc, v10, v13, vcc
	global_store_dword v[12:13], v53, off
	s_or_b64 exec, exec, s[38:39]
	s_and_saveexec_b64 s[38:39], s[12:13]
	s_cbranch_execnz .LBB771_217
.LBB771_232:
	s_or_b64 exec, exec, s[38:39]
	s_and_saveexec_b64 s[38:39], s[10:11]
	s_cbranch_execz .LBB771_218
.LBB771_233:
	v_sub_u32_e32 v12, v48, v1
	v_mov_b32_e32 v13, 0
	v_lshlrev_b64 v[12:13], 2, v[12:13]
	v_add_co_u32_e32 v12, vcc, v9, v12
	v_addc_co_u32_e32 v13, vcc, v10, v13, vcc
	global_store_dword v[12:13], v49, off
	s_or_b64 exec, exec, s[38:39]
	s_and_saveexec_b64 s[38:39], s[8:9]
	s_cbranch_execnz .LBB771_219
.LBB771_234:
	s_or_b64 exec, exec, s[38:39]
	s_and_saveexec_b64 s[38:39], s[6:7]
	s_cbranch_execz .LBB771_220
.LBB771_235:
	v_sub_u32_e32 v12, v42, v1
	v_mov_b32_e32 v13, 0
	v_lshlrev_b64 v[12:13], 2, v[12:13]
	v_add_co_u32_e32 v12, vcc, v9, v12
	v_addc_co_u32_e32 v13, vcc, v10, v13, vcc
	global_store_dword v[12:13], v43, off
	s_or_b64 exec, exec, s[38:39]
	s_and_saveexec_b64 s[38:39], s[4:5]
	s_cbranch_execnz .LBB771_221
.LBB771_236:
	s_or_b64 exec, exec, s[38:39]
	s_and_saveexec_b64 s[38:39], s[2:3]
	s_cbranch_execz .LBB771_238
.LBB771_237:
	v_sub_u32_e32 v12, v38, v1
	v_mov_b32_e32 v13, 0
	v_lshlrev_b64 v[12:13], 2, v[12:13]
	v_add_co_u32_e32 v12, vcc, v9, v12
	v_addc_co_u32_e32 v13, vcc, v10, v13, vcc
	global_store_dword v[12:13], v39, off
.LBB771_238:
	s_or_b64 exec, exec, s[38:39]
	s_and_b64 s[38:39], s[0:1], exec
	s_andn2_saveexec_b64 s[30:31], s[30:31]
	s_cbranch_execnz .LBB771_223
.LBB771_239:
	s_or_b64 exec, exec, s[30:31]
	s_and_b64 exec, exec, s[38:39]
	s_cbranch_execz .LBB771_241
.LBB771_240:
	v_sub_u32_e32 v12, v36, v1
	v_mov_b32_e32 v13, 0
	v_lshlrev_b64 v[12:13], 2, v[12:13]
	v_add_co_u32_e32 v12, vcc, v9, v12
	v_addc_co_u32_e32 v13, vcc, v10, v13, vcc
	global_store_dword v[12:13], v37, off
.LBB771_241:
	s_or_b64 exec, exec, s[36:37]
	s_mov_b64 s[36:37], 0
.LBB771_242:
	s_and_b64 vcc, exec, s[36:37]
	s_cbranch_vccz .LBB771_294
; %bb.243:
	v_cmp_gt_i16_e32 vcc, 2, v4
	s_and_saveexec_b64 s[30:31], vcc
	s_cbranch_execz .LBB771_278
; %bb.244:
	v_cmp_ne_u16_e32 vcc, 1, v4
	s_mov_b64 s[38:39], 0
	s_and_saveexec_b64 s[36:37], vcc
	s_xor_b64 s[36:37], exec, s[36:37]
	s_cbranch_execz .LBB771_259
; %bb.245:
	s_and_saveexec_b64 s[38:39], s[28:29]
	s_cbranch_execz .LBB771_261
; %bb.246:
	v_sub_u32_e32 v4, v66, v1
	v_lshlrev_b32_e32 v4, 2, v4
	ds_write_b32 v4, v67
	s_or_b64 exec, exec, s[38:39]
	s_and_saveexec_b64 s[28:29], s[26:27]
	s_cbranch_execnz .LBB771_262
.LBB771_247:
	s_or_b64 exec, exec, s[28:29]
	s_and_saveexec_b64 s[26:27], s[24:25]
	s_cbranch_execz .LBB771_263
.LBB771_248:
	v_sub_u32_e32 v4, v62, v1
	v_lshlrev_b32_e32 v4, 2, v4
	ds_write_b32 v4, v63
	s_or_b64 exec, exec, s[26:27]
	s_and_saveexec_b64 s[24:25], s[22:23]
	s_cbranch_execnz .LBB771_264
.LBB771_249:
	s_or_b64 exec, exec, s[24:25]
	s_and_saveexec_b64 s[22:23], s[20:21]
	s_cbranch_execz .LBB771_265
.LBB771_250:
	v_sub_u32_e32 v4, v58, v1
	v_lshlrev_b32_e32 v4, 2, v4
	ds_write_b32 v4, v59
	s_or_b64 exec, exec, s[22:23]
	s_and_saveexec_b64 s[20:21], s[18:19]
	s_cbranch_execnz .LBB771_266
.LBB771_251:
	s_or_b64 exec, exec, s[20:21]
	s_and_saveexec_b64 s[18:19], s[16:17]
	s_cbranch_execz .LBB771_267
.LBB771_252:
	v_sub_u32_e32 v4, v54, v1
	v_lshlrev_b32_e32 v4, 2, v4
	ds_write_b32 v4, v55
	s_or_b64 exec, exec, s[18:19]
	s_and_saveexec_b64 s[16:17], s[14:15]
	s_cbranch_execnz .LBB771_268
.LBB771_253:
	s_or_b64 exec, exec, s[16:17]
	s_and_saveexec_b64 s[14:15], s[12:13]
	s_cbranch_execz .LBB771_269
.LBB771_254:
	v_sub_u32_e32 v4, v50, v1
	v_lshlrev_b32_e32 v4, 2, v4
	ds_write_b32 v4, v51
	s_or_b64 exec, exec, s[14:15]
	s_and_saveexec_b64 s[12:13], s[10:11]
	s_cbranch_execnz .LBB771_270
.LBB771_255:
	s_or_b64 exec, exec, s[12:13]
	s_and_saveexec_b64 s[10:11], s[8:9]
	s_cbranch_execz .LBB771_271
.LBB771_256:
	v_sub_u32_e32 v4, v44, v1
	v_lshlrev_b32_e32 v4, 2, v4
	ds_write_b32 v4, v45
	s_or_b64 exec, exec, s[10:11]
	s_and_saveexec_b64 s[8:9], s[6:7]
	s_cbranch_execnz .LBB771_272
.LBB771_257:
	s_or_b64 exec, exec, s[8:9]
	s_and_saveexec_b64 s[6:7], s[4:5]
	s_cbranch_execz .LBB771_273
.LBB771_258:
	v_sub_u32_e32 v4, v40, v1
	v_lshlrev_b32_e32 v4, 2, v4
	ds_write_b32 v4, v41
	s_or_b64 exec, exec, s[6:7]
	s_and_saveexec_b64 s[4:5], s[2:3]
	s_cbranch_execnz .LBB771_274
	s_branch .LBB771_275
.LBB771_259:
	s_andn2_saveexec_b64 s[0:1], s[36:37]
	s_cbranch_execz .LBB771_276
.LBB771_260:
	v_sub_u32_e32 v4, v66, v1
	v_lshlrev_b32_e32 v4, 2, v4
	ds_write_b32 v4, v67
	v_sub_u32_e32 v4, v64, v1
	v_lshlrev_b32_e32 v4, 2, v4
	ds_write_b32 v4, v65
	;; [unrolled: 3-line block ×13, first 2 shown]
	v_sub_u32_e32 v4, v38, v1
	v_lshlrev_b32_e32 v4, 2, v4
	s_or_b64 s[38:39], s[38:39], exec
	ds_write_b32 v4, v39
	s_or_b64 exec, exec, s[0:1]
	s_and_b64 exec, exec, s[38:39]
	s_cbranch_execnz .LBB771_277
	s_branch .LBB771_278
.LBB771_261:
	s_or_b64 exec, exec, s[38:39]
	s_and_saveexec_b64 s[28:29], s[26:27]
	s_cbranch_execz .LBB771_247
.LBB771_262:
	v_sub_u32_e32 v4, v64, v1
	v_lshlrev_b32_e32 v4, 2, v4
	ds_write_b32 v4, v65
	s_or_b64 exec, exec, s[28:29]
	s_and_saveexec_b64 s[26:27], s[24:25]
	s_cbranch_execnz .LBB771_248
.LBB771_263:
	s_or_b64 exec, exec, s[26:27]
	s_and_saveexec_b64 s[24:25], s[22:23]
	s_cbranch_execz .LBB771_249
.LBB771_264:
	v_sub_u32_e32 v4, v60, v1
	v_lshlrev_b32_e32 v4, 2, v4
	ds_write_b32 v4, v61
	s_or_b64 exec, exec, s[24:25]
	s_and_saveexec_b64 s[22:23], s[20:21]
	s_cbranch_execnz .LBB771_250
.LBB771_265:
	s_or_b64 exec, exec, s[22:23]
	s_and_saveexec_b64 s[20:21], s[18:19]
	s_cbranch_execz .LBB771_251
.LBB771_266:
	v_sub_u32_e32 v4, v56, v1
	v_lshlrev_b32_e32 v4, 2, v4
	ds_write_b32 v4, v57
	s_or_b64 exec, exec, s[20:21]
	s_and_saveexec_b64 s[18:19], s[16:17]
	s_cbranch_execnz .LBB771_252
.LBB771_267:
	s_or_b64 exec, exec, s[18:19]
	s_and_saveexec_b64 s[16:17], s[14:15]
	s_cbranch_execz .LBB771_253
.LBB771_268:
	v_sub_u32_e32 v4, v52, v1
	v_lshlrev_b32_e32 v4, 2, v4
	ds_write_b32 v4, v53
	s_or_b64 exec, exec, s[16:17]
	s_and_saveexec_b64 s[14:15], s[12:13]
	s_cbranch_execnz .LBB771_254
.LBB771_269:
	s_or_b64 exec, exec, s[14:15]
	s_and_saveexec_b64 s[12:13], s[10:11]
	s_cbranch_execz .LBB771_255
.LBB771_270:
	v_sub_u32_e32 v4, v48, v1
	v_lshlrev_b32_e32 v4, 2, v4
	ds_write_b32 v4, v49
	s_or_b64 exec, exec, s[12:13]
	s_and_saveexec_b64 s[10:11], s[8:9]
	s_cbranch_execnz .LBB771_256
.LBB771_271:
	s_or_b64 exec, exec, s[10:11]
	s_and_saveexec_b64 s[8:9], s[6:7]
	s_cbranch_execz .LBB771_257
.LBB771_272:
	v_sub_u32_e32 v4, v42, v1
	v_lshlrev_b32_e32 v4, 2, v4
	ds_write_b32 v4, v43
	s_or_b64 exec, exec, s[8:9]
	s_and_saveexec_b64 s[6:7], s[4:5]
	s_cbranch_execnz .LBB771_258
.LBB771_273:
	s_or_b64 exec, exec, s[6:7]
	s_and_saveexec_b64 s[4:5], s[2:3]
	s_cbranch_execz .LBB771_275
.LBB771_274:
	v_sub_u32_e32 v4, v38, v1
	v_lshlrev_b32_e32 v4, 2, v4
	ds_write_b32 v4, v39
.LBB771_275:
	s_or_b64 exec, exec, s[4:5]
	s_and_b64 s[38:39], s[0:1], exec
                                        ; implicit-def: $vgpr66_vgpr67
                                        ; implicit-def: $vgpr64_vgpr65
                                        ; implicit-def: $vgpr62_vgpr63
                                        ; implicit-def: $vgpr60_vgpr61
                                        ; implicit-def: $vgpr58_vgpr59
                                        ; implicit-def: $vgpr56_vgpr57
                                        ; implicit-def: $vgpr54_vgpr55
                                        ; implicit-def: $vgpr52_vgpr53
                                        ; implicit-def: $vgpr50_vgpr51
                                        ; implicit-def: $vgpr48_vgpr49
                                        ; implicit-def: $vgpr44_vgpr45
                                        ; implicit-def: $vgpr42_vgpr43
                                        ; implicit-def: $vgpr40_vgpr41
                                        ; implicit-def: $vgpr38_vgpr39
	s_andn2_saveexec_b64 s[0:1], s[36:37]
	s_cbranch_execnz .LBB771_260
.LBB771_276:
	s_or_b64 exec, exec, s[0:1]
	s_and_b64 exec, exec, s[38:39]
	s_cbranch_execz .LBB771_278
.LBB771_277:
	v_sub_u32_e32 v1, v36, v1
	v_lshlrev_b32_e32 v1, 2, v1
	ds_write_b32 v1, v37
.LBB771_278:
	s_or_b64 exec, exec, s[30:31]
	v_cmp_lt_u32_e32 vcc, v0, v6
	s_waitcnt lgkmcnt(0)
	s_barrier
	s_and_saveexec_b64 s[2:3], vcc
	s_cbranch_execz .LBB771_293
; %bb.279:
	v_add_u32_e32 v4, v30, v2
	v_xad_u32 v1, v0, -1, v4
	v_sub_u32_e32 v1, v1, v3
	s_movk_i32 s0, 0x1900
	v_cmp_gt_u32_e64 s[4:5], s0, v1
	s_movk_i32 s0, 0x18ff
	v_cmp_lt_u32_e32 vcc, s0, v1
	v_mov_b32_e32 v2, v0
	s_and_saveexec_b64 s[6:7], vcc
	s_cbranch_execz .LBB771_290
; %bb.280:
	v_sub_u32_e32 v2, v0, v4
	v_add_u32_e32 v2, v2, v3
	v_or_b32_e32 v2, 0xff, v2
	v_cmp_ge_u32_e32 vcc, v2, v0
	s_mov_b64 s[0:1], -1
	v_mov_b32_e32 v2, v0
	s_and_saveexec_b64 s[8:9], vcc
	s_cbranch_execz .LBB771_289
; %bb.281:
	v_lshrrev_b32_e32 v11, 8, v1
	v_add_u32_e32 v2, -1, v11
	v_or_b32_e32 v1, 0x100, v0
	v_lshrrev_b32_e32 v3, 1, v2
	v_add_u32_e32 v13, 1, v3
	v_cmp_lt_u32_e32 vcc, 13, v2
	v_mov_b32_e32 v16, 0
	v_lshlrev_b32_e32 v12, 2, v0
	v_pk_mov_b32 v[2:3], v[0:1], v[0:1] op_sel:[0,1]
	s_and_saveexec_b64 s[10:11], vcc
	s_cbranch_execz .LBB771_285
; %bb.282:
	v_and_b32_e32 v14, -8, v13
	s_mov_b32 s14, 0
	s_mov_b64 s[12:13], 0
	v_mov_b32_e32 v5, 0
	v_mov_b32_e32 v15, v12
	v_pk_mov_b32 v[2:3], v[0:1], v[0:1] op_sel:[0,1]
.LBB771_283:                            ; =>This Inner Loop Header: Depth=1
	v_mov_b32_e32 v4, v2
	v_add_u32_e32 v14, -8, v14
	v_lshlrev_b64 v[52:53], 2, v[4:5]
	v_mov_b32_e32 v4, v3
	ds_read2st64_b32 v[18:19], v15 offset1:4
	s_add_i32 s14, s14, 16
	v_cmp_eq_u32_e32 vcc, 0, v14
	v_lshlrev_b64 v[56:57], 2, v[4:5]
	v_add_u32_e32 v4, 0x200, v2
	s_or_b64 s[12:13], vcc, s[12:13]
	v_add_co_u32_e32 v56, vcc, v9, v56
	v_add_u32_e32 v16, 0x200, v3
	v_mov_b32_e32 v17, v5
	ds_read2st64_b32 v[20:21], v15 offset0:8 offset1:12
	ds_read2st64_b32 v[24:25], v15 offset0:16 offset1:20
	v_add_co_u32_e64 v52, s[0:1], v9, v52
	v_addc_co_u32_e32 v57, vcc, v10, v57, vcc
	v_lshlrev_b64 v[58:59], 2, v[4:5]
	v_lshlrev_b64 v[54:55], 2, v[16:17]
	v_addc_co_u32_e64 v53, s[0:1], v10, v53, s[0:1]
	v_add_u32_e32 v4, 0x400, v2
	v_add_co_u32_e32 v58, vcc, v9, v58
	v_add_u32_e32 v22, 0x400, v3
	v_mov_b32_e32 v23, v5
	ds_read2st64_b32 v[28:29], v15 offset0:24 offset1:28
	v_add_co_u32_e64 v54, s[0:1], v9, v54
	v_addc_co_u32_e32 v59, vcc, v10, v59, vcc
	v_lshlrev_b64 v[60:61], 2, v[4:5]
	ds_read2st64_b32 v[38:39], v15 offset0:32 offset1:36
	ds_read2st64_b32 v[42:43], v15 offset0:40 offset1:44
	;; [unrolled: 1-line block ×4, first 2 shown]
	v_lshlrev_b64 v[22:23], 2, v[22:23]
	v_addc_co_u32_e64 v55, s[0:1], v10, v55, s[0:1]
	v_add_u32_e32 v4, 0x600, v2
	s_waitcnt lgkmcnt(7)
	global_store_dword v[52:53], v18, off
	global_store_dword v[56:57], v19, off
	s_waitcnt lgkmcnt(6)
	global_store_dword v[58:59], v20, off
	global_store_dword v[54:55], v21, off
	v_add_co_u32_e32 v18, vcc, v9, v60
	v_add_u32_e32 v26, 0x600, v3
	v_mov_b32_e32 v27, v5
	v_add_co_u32_e64 v22, s[0:1], v9, v22
	v_addc_co_u32_e32 v19, vcc, v10, v61, vcc
	v_lshlrev_b64 v[20:21], 2, v[4:5]
	v_lshlrev_b64 v[26:27], 2, v[26:27]
	v_addc_co_u32_e64 v23, s[0:1], v10, v23, s[0:1]
	v_add_u32_e32 v4, 0x800, v2
	s_waitcnt lgkmcnt(5)
	global_store_dword v[18:19], v24, off
	global_store_dword v[22:23], v25, off
	v_add_co_u32_e32 v18, vcc, v9, v20
	v_add_u32_e32 v36, 0x800, v3
	v_mov_b32_e32 v37, v5
	v_add_co_u32_e64 v26, s[0:1], v9, v26
	v_addc_co_u32_e32 v19, vcc, v10, v21, vcc
	v_lshlrev_b64 v[20:21], 2, v[4:5]
	v_lshlrev_b64 v[36:37], 2, v[36:37]
	v_addc_co_u32_e64 v27, s[0:1], v10, v27, s[0:1]
	v_add_u32_e32 v4, 0xa00, v2
	;; [unrolled: 12-line block ×4, first 2 shown]
	s_waitcnt lgkmcnt(2)
	global_store_dword v[18:19], v42, off
	global_store_dword v[40:41], v43, off
	v_add_co_u32_e32 v18, vcc, v9, v20
	v_add_u32_e32 v48, 0xe00, v3
	v_mov_b32_e32 v49, v5
	v_add_co_u32_e64 v44, s[0:1], v9, v44
	v_addc_co_u32_e32 v19, vcc, v10, v21, vcc
	v_lshlrev_b64 v[20:21], 2, v[4:5]
	v_lshlrev_b64 v[48:49], 2, v[48:49]
	v_addc_co_u32_e64 v45, s[0:1], v10, v45, s[0:1]
	s_waitcnt lgkmcnt(1)
	global_store_dword v[18:19], v46, off
	global_store_dword v[44:45], v47, off
	v_add_co_u32_e32 v18, vcc, v9, v20
	v_add_u32_e32 v15, 0x4000, v15
	v_add_u32_e32 v3, 0x1000, v3
	v_mov_b32_e32 v16, s14
	v_add_co_u32_e64 v48, s[0:1], v9, v48
	v_add_u32_e32 v2, 0x1000, v2
	v_addc_co_u32_e32 v19, vcc, v10, v21, vcc
	v_addc_co_u32_e64 v49, s[0:1], v10, v49, s[0:1]
	s_waitcnt lgkmcnt(0)
	global_store_dword v[18:19], v50, off
	global_store_dword v[48:49], v51, off
	s_andn2_b64 exec, exec, s[12:13]
	s_cbranch_execnz .LBB771_283
; %bb.284:
	s_or_b64 exec, exec, s[12:13]
.LBB771_285:
	s_or_b64 exec, exec, s[10:11]
	v_and_b32_e32 v1, 7, v13
	v_cmp_ne_u32_e32 vcc, 0, v1
	s_and_saveexec_b64 s[10:11], vcc
	s_cbranch_execz .LBB771_288
; %bb.286:
	v_lshl_or_b32 v12, v16, 10, v12
	s_mov_b64 s[12:13], 0
	v_mov_b32_e32 v5, 0
.LBB771_287:                            ; =>This Inner Loop Header: Depth=1
	ds_read2st64_b32 v[14:15], v12 offset1:4
	v_mov_b32_e32 v4, v2
	v_add_u32_e32 v1, -1, v1
	v_lshlrev_b64 v[16:17], 2, v[4:5]
	v_mov_b32_e32 v4, v3
	v_cmp_eq_u32_e32 vcc, 0, v1
	v_add_co_u32_e64 v16, s[0:1], v9, v16
	v_lshlrev_b64 v[18:19], 2, v[4:5]
	v_add_u32_e32 v2, 0x200, v2
	v_add_u32_e32 v12, 0x800, v12
	;; [unrolled: 1-line block ×3, first 2 shown]
	v_addc_co_u32_e64 v17, s[0:1], v10, v17, s[0:1]
	s_or_b64 s[12:13], vcc, s[12:13]
	v_add_co_u32_e32 v18, vcc, v9, v18
	v_addc_co_u32_e32 v19, vcc, v10, v19, vcc
	s_waitcnt lgkmcnt(0)
	global_store_dword v[16:17], v14, off
	global_store_dword v[18:19], v15, off
	s_andn2_b64 exec, exec, s[12:13]
	s_cbranch_execnz .LBB771_287
.LBB771_288:
	s_or_b64 exec, exec, s[10:11]
	v_add_u32_e32 v1, 1, v11
	v_and_b32_e32 v3, 0x1fffffe, v1
	v_cmp_ne_u32_e32 vcc, v1, v3
	v_lshl_or_b32 v2, v3, 8, v0
	s_orn2_b64 s[0:1], vcc, exec
.LBB771_289:
	s_or_b64 exec, exec, s[8:9]
	s_andn2_b64 s[4:5], s[4:5], exec
	s_and_b64 s[0:1], s[0:1], exec
	s_or_b64 s[4:5], s[4:5], s[0:1]
.LBB771_290:
	s_or_b64 exec, exec, s[6:7]
	s_and_b64 exec, exec, s[4:5]
	s_cbranch_execz .LBB771_293
; %bb.291:
	v_lshlrev_b32_e32 v1, 2, v2
	s_mov_b64 s[0:1], 0
	v_mov_b32_e32 v3, 0
.LBB771_292:                            ; =>This Inner Loop Header: Depth=1
	v_lshlrev_b64 v[4:5], 2, v[2:3]
	ds_read_b32 v11, v1
	v_add_co_u32_e32 v4, vcc, v9, v4
	v_add_u32_e32 v2, 0x100, v2
	v_addc_co_u32_e32 v5, vcc, v10, v5, vcc
	v_cmp_ge_u32_e32 vcc, v2, v6
	v_add_u32_e32 v1, 0x400, v1
	s_or_b64 s[0:1], vcc, s[0:1]
	s_waitcnt lgkmcnt(0)
	global_store_dword v[4:5], v11, off
	s_andn2_b64 exec, exec, s[0:1]
	s_cbranch_execnz .LBB771_292
.LBB771_293:
	s_or_b64 exec, exec, s[2:3]
.LBB771_294:
	s_movk_i32 s0, 0xff
	v_cmp_eq_u32_e32 vcc, s0, v0
	s_and_b64 s[0:1], vcc, s[34:35]
	s_and_saveexec_b64 s[2:3], s[0:1]
	s_cbranch_execz .LBB771_297
; %bb.295:
	v_add_co_u32_e32 v0, vcc, v30, v32
	v_addc_co_u32_e64 v1, s[0:1], 0, 0, vcc
	v_add_co_u32_e32 v0, vcc, v0, v34
	v_mov_b32_e32 v31, 0
	v_addc_co_u32_e32 v1, vcc, v1, v35, vcc
	s_cmpk_lg_i32 s33, 0xf00
	global_store_dwordx2 v31, v[0:1], s[54:55]
	s_cbranch_scc1 .LBB771_297
; %bb.296:
	v_lshlrev_b64 v[0:1], 2, v[30:31]
	v_add_co_u32_e32 v0, vcc, v7, v0
	v_addc_co_u32_e32 v1, vcc, v8, v1, vcc
	global_store_dword v[0:1], v68, off offset:-4
.LBB771_297:
	s_endpgm
	.section	.rodata,"a",@progbits
	.p2align	6, 0x0
	.amdhsa_kernel _ZN7rocprim17ROCPRIM_400000_NS6detail17trampoline_kernelINS0_14default_configENS1_29reduce_by_key_config_selectorIxjN6thrust23THRUST_200600_302600_NS4plusIjEEEEZZNS1_33reduce_by_key_impl_wrapped_configILNS1_25lookback_scan_determinismE0ES3_S9_NS6_6detail15normal_iteratorINS6_10device_ptrIxEEEENSD_INSE_IjEEEESG_SI_PmS8_NS6_8equal_toIxEEEE10hipError_tPvRmT2_T3_mT4_T5_T6_T7_T8_P12ihipStream_tbENKUlT_T0_E_clISt17integral_constantIbLb0EES13_EEDaSY_SZ_EUlSY_E_NS1_11comp_targetILNS1_3genE4ELNS1_11target_archE910ELNS1_3gpuE8ELNS1_3repE0EEENS1_30default_config_static_selectorELNS0_4arch9wavefront6targetE1EEEvT1_
		.amdhsa_group_segment_fixed_size 30720
		.amdhsa_private_segment_fixed_size 0
		.amdhsa_kernarg_size 120
		.amdhsa_user_sgpr_count 6
		.amdhsa_user_sgpr_private_segment_buffer 1
		.amdhsa_user_sgpr_dispatch_ptr 0
		.amdhsa_user_sgpr_queue_ptr 0
		.amdhsa_user_sgpr_kernarg_segment_ptr 1
		.amdhsa_user_sgpr_dispatch_id 0
		.amdhsa_user_sgpr_flat_scratch_init 0
		.amdhsa_user_sgpr_kernarg_preload_length 0
		.amdhsa_user_sgpr_kernarg_preload_offset 0
		.amdhsa_user_sgpr_private_segment_size 0
		.amdhsa_uses_dynamic_stack 0
		.amdhsa_system_sgpr_private_segment_wavefront_offset 0
		.amdhsa_system_sgpr_workgroup_id_x 1
		.amdhsa_system_sgpr_workgroup_id_y 0
		.amdhsa_system_sgpr_workgroup_id_z 0
		.amdhsa_system_sgpr_workgroup_info 0
		.amdhsa_system_vgpr_workitem_id 0
		.amdhsa_next_free_vgpr 102
		.amdhsa_next_free_sgpr 64
		.amdhsa_accum_offset 104
		.amdhsa_reserve_vcc 1
		.amdhsa_reserve_flat_scratch 0
		.amdhsa_float_round_mode_32 0
		.amdhsa_float_round_mode_16_64 0
		.amdhsa_float_denorm_mode_32 3
		.amdhsa_float_denorm_mode_16_64 3
		.amdhsa_dx10_clamp 1
		.amdhsa_ieee_mode 1
		.amdhsa_fp16_overflow 0
		.amdhsa_tg_split 0
		.amdhsa_exception_fp_ieee_invalid_op 0
		.amdhsa_exception_fp_denorm_src 0
		.amdhsa_exception_fp_ieee_div_zero 0
		.amdhsa_exception_fp_ieee_overflow 0
		.amdhsa_exception_fp_ieee_underflow 0
		.amdhsa_exception_fp_ieee_inexact 0
		.amdhsa_exception_int_div_zero 0
	.end_amdhsa_kernel
	.section	.text._ZN7rocprim17ROCPRIM_400000_NS6detail17trampoline_kernelINS0_14default_configENS1_29reduce_by_key_config_selectorIxjN6thrust23THRUST_200600_302600_NS4plusIjEEEEZZNS1_33reduce_by_key_impl_wrapped_configILNS1_25lookback_scan_determinismE0ES3_S9_NS6_6detail15normal_iteratorINS6_10device_ptrIxEEEENSD_INSE_IjEEEESG_SI_PmS8_NS6_8equal_toIxEEEE10hipError_tPvRmT2_T3_mT4_T5_T6_T7_T8_P12ihipStream_tbENKUlT_T0_E_clISt17integral_constantIbLb0EES13_EEDaSY_SZ_EUlSY_E_NS1_11comp_targetILNS1_3genE4ELNS1_11target_archE910ELNS1_3gpuE8ELNS1_3repE0EEENS1_30default_config_static_selectorELNS0_4arch9wavefront6targetE1EEEvT1_,"axG",@progbits,_ZN7rocprim17ROCPRIM_400000_NS6detail17trampoline_kernelINS0_14default_configENS1_29reduce_by_key_config_selectorIxjN6thrust23THRUST_200600_302600_NS4plusIjEEEEZZNS1_33reduce_by_key_impl_wrapped_configILNS1_25lookback_scan_determinismE0ES3_S9_NS6_6detail15normal_iteratorINS6_10device_ptrIxEEEENSD_INSE_IjEEEESG_SI_PmS8_NS6_8equal_toIxEEEE10hipError_tPvRmT2_T3_mT4_T5_T6_T7_T8_P12ihipStream_tbENKUlT_T0_E_clISt17integral_constantIbLb0EES13_EEDaSY_SZ_EUlSY_E_NS1_11comp_targetILNS1_3genE4ELNS1_11target_archE910ELNS1_3gpuE8ELNS1_3repE0EEENS1_30default_config_static_selectorELNS0_4arch9wavefront6targetE1EEEvT1_,comdat
.Lfunc_end771:
	.size	_ZN7rocprim17ROCPRIM_400000_NS6detail17trampoline_kernelINS0_14default_configENS1_29reduce_by_key_config_selectorIxjN6thrust23THRUST_200600_302600_NS4plusIjEEEEZZNS1_33reduce_by_key_impl_wrapped_configILNS1_25lookback_scan_determinismE0ES3_S9_NS6_6detail15normal_iteratorINS6_10device_ptrIxEEEENSD_INSE_IjEEEESG_SI_PmS8_NS6_8equal_toIxEEEE10hipError_tPvRmT2_T3_mT4_T5_T6_T7_T8_P12ihipStream_tbENKUlT_T0_E_clISt17integral_constantIbLb0EES13_EEDaSY_SZ_EUlSY_E_NS1_11comp_targetILNS1_3genE4ELNS1_11target_archE910ELNS1_3gpuE8ELNS1_3repE0EEENS1_30default_config_static_selectorELNS0_4arch9wavefront6targetE1EEEvT1_, .Lfunc_end771-_ZN7rocprim17ROCPRIM_400000_NS6detail17trampoline_kernelINS0_14default_configENS1_29reduce_by_key_config_selectorIxjN6thrust23THRUST_200600_302600_NS4plusIjEEEEZZNS1_33reduce_by_key_impl_wrapped_configILNS1_25lookback_scan_determinismE0ES3_S9_NS6_6detail15normal_iteratorINS6_10device_ptrIxEEEENSD_INSE_IjEEEESG_SI_PmS8_NS6_8equal_toIxEEEE10hipError_tPvRmT2_T3_mT4_T5_T6_T7_T8_P12ihipStream_tbENKUlT_T0_E_clISt17integral_constantIbLb0EES13_EEDaSY_SZ_EUlSY_E_NS1_11comp_targetILNS1_3genE4ELNS1_11target_archE910ELNS1_3gpuE8ELNS1_3repE0EEENS1_30default_config_static_selectorELNS0_4arch9wavefront6targetE1EEEvT1_
                                        ; -- End function
	.section	.AMDGPU.csdata,"",@progbits
; Kernel info:
; codeLenInByte = 16540
; NumSgprs: 68
; NumVgprs: 102
; NumAgprs: 0
; TotalNumVgprs: 102
; ScratchSize: 0
; MemoryBound: 0
; FloatMode: 240
; IeeeMode: 1
; LDSByteSize: 30720 bytes/workgroup (compile time only)
; SGPRBlocks: 8
; VGPRBlocks: 12
; NumSGPRsForWavesPerEU: 68
; NumVGPRsForWavesPerEU: 102
; AccumOffset: 104
; Occupancy: 2
; WaveLimiterHint : 1
; COMPUTE_PGM_RSRC2:SCRATCH_EN: 0
; COMPUTE_PGM_RSRC2:USER_SGPR: 6
; COMPUTE_PGM_RSRC2:TRAP_HANDLER: 0
; COMPUTE_PGM_RSRC2:TGID_X_EN: 1
; COMPUTE_PGM_RSRC2:TGID_Y_EN: 0
; COMPUTE_PGM_RSRC2:TGID_Z_EN: 0
; COMPUTE_PGM_RSRC2:TIDIG_COMP_CNT: 0
; COMPUTE_PGM_RSRC3_GFX90A:ACCUM_OFFSET: 25
; COMPUTE_PGM_RSRC3_GFX90A:TG_SPLIT: 0
	.section	.text._ZN7rocprim17ROCPRIM_400000_NS6detail17trampoline_kernelINS0_14default_configENS1_29reduce_by_key_config_selectorIxjN6thrust23THRUST_200600_302600_NS4plusIjEEEEZZNS1_33reduce_by_key_impl_wrapped_configILNS1_25lookback_scan_determinismE0ES3_S9_NS6_6detail15normal_iteratorINS6_10device_ptrIxEEEENSD_INSE_IjEEEESG_SI_PmS8_NS6_8equal_toIxEEEE10hipError_tPvRmT2_T3_mT4_T5_T6_T7_T8_P12ihipStream_tbENKUlT_T0_E_clISt17integral_constantIbLb0EES13_EEDaSY_SZ_EUlSY_E_NS1_11comp_targetILNS1_3genE3ELNS1_11target_archE908ELNS1_3gpuE7ELNS1_3repE0EEENS1_30default_config_static_selectorELNS0_4arch9wavefront6targetE1EEEvT1_,"axG",@progbits,_ZN7rocprim17ROCPRIM_400000_NS6detail17trampoline_kernelINS0_14default_configENS1_29reduce_by_key_config_selectorIxjN6thrust23THRUST_200600_302600_NS4plusIjEEEEZZNS1_33reduce_by_key_impl_wrapped_configILNS1_25lookback_scan_determinismE0ES3_S9_NS6_6detail15normal_iteratorINS6_10device_ptrIxEEEENSD_INSE_IjEEEESG_SI_PmS8_NS6_8equal_toIxEEEE10hipError_tPvRmT2_T3_mT4_T5_T6_T7_T8_P12ihipStream_tbENKUlT_T0_E_clISt17integral_constantIbLb0EES13_EEDaSY_SZ_EUlSY_E_NS1_11comp_targetILNS1_3genE3ELNS1_11target_archE908ELNS1_3gpuE7ELNS1_3repE0EEENS1_30default_config_static_selectorELNS0_4arch9wavefront6targetE1EEEvT1_,comdat
	.protected	_ZN7rocprim17ROCPRIM_400000_NS6detail17trampoline_kernelINS0_14default_configENS1_29reduce_by_key_config_selectorIxjN6thrust23THRUST_200600_302600_NS4plusIjEEEEZZNS1_33reduce_by_key_impl_wrapped_configILNS1_25lookback_scan_determinismE0ES3_S9_NS6_6detail15normal_iteratorINS6_10device_ptrIxEEEENSD_INSE_IjEEEESG_SI_PmS8_NS6_8equal_toIxEEEE10hipError_tPvRmT2_T3_mT4_T5_T6_T7_T8_P12ihipStream_tbENKUlT_T0_E_clISt17integral_constantIbLb0EES13_EEDaSY_SZ_EUlSY_E_NS1_11comp_targetILNS1_3genE3ELNS1_11target_archE908ELNS1_3gpuE7ELNS1_3repE0EEENS1_30default_config_static_selectorELNS0_4arch9wavefront6targetE1EEEvT1_ ; -- Begin function _ZN7rocprim17ROCPRIM_400000_NS6detail17trampoline_kernelINS0_14default_configENS1_29reduce_by_key_config_selectorIxjN6thrust23THRUST_200600_302600_NS4plusIjEEEEZZNS1_33reduce_by_key_impl_wrapped_configILNS1_25lookback_scan_determinismE0ES3_S9_NS6_6detail15normal_iteratorINS6_10device_ptrIxEEEENSD_INSE_IjEEEESG_SI_PmS8_NS6_8equal_toIxEEEE10hipError_tPvRmT2_T3_mT4_T5_T6_T7_T8_P12ihipStream_tbENKUlT_T0_E_clISt17integral_constantIbLb0EES13_EEDaSY_SZ_EUlSY_E_NS1_11comp_targetILNS1_3genE3ELNS1_11target_archE908ELNS1_3gpuE7ELNS1_3repE0EEENS1_30default_config_static_selectorELNS0_4arch9wavefront6targetE1EEEvT1_
	.globl	_ZN7rocprim17ROCPRIM_400000_NS6detail17trampoline_kernelINS0_14default_configENS1_29reduce_by_key_config_selectorIxjN6thrust23THRUST_200600_302600_NS4plusIjEEEEZZNS1_33reduce_by_key_impl_wrapped_configILNS1_25lookback_scan_determinismE0ES3_S9_NS6_6detail15normal_iteratorINS6_10device_ptrIxEEEENSD_INSE_IjEEEESG_SI_PmS8_NS6_8equal_toIxEEEE10hipError_tPvRmT2_T3_mT4_T5_T6_T7_T8_P12ihipStream_tbENKUlT_T0_E_clISt17integral_constantIbLb0EES13_EEDaSY_SZ_EUlSY_E_NS1_11comp_targetILNS1_3genE3ELNS1_11target_archE908ELNS1_3gpuE7ELNS1_3repE0EEENS1_30default_config_static_selectorELNS0_4arch9wavefront6targetE1EEEvT1_
	.p2align	8
	.type	_ZN7rocprim17ROCPRIM_400000_NS6detail17trampoline_kernelINS0_14default_configENS1_29reduce_by_key_config_selectorIxjN6thrust23THRUST_200600_302600_NS4plusIjEEEEZZNS1_33reduce_by_key_impl_wrapped_configILNS1_25lookback_scan_determinismE0ES3_S9_NS6_6detail15normal_iteratorINS6_10device_ptrIxEEEENSD_INSE_IjEEEESG_SI_PmS8_NS6_8equal_toIxEEEE10hipError_tPvRmT2_T3_mT4_T5_T6_T7_T8_P12ihipStream_tbENKUlT_T0_E_clISt17integral_constantIbLb0EES13_EEDaSY_SZ_EUlSY_E_NS1_11comp_targetILNS1_3genE3ELNS1_11target_archE908ELNS1_3gpuE7ELNS1_3repE0EEENS1_30default_config_static_selectorELNS0_4arch9wavefront6targetE1EEEvT1_,@function
_ZN7rocprim17ROCPRIM_400000_NS6detail17trampoline_kernelINS0_14default_configENS1_29reduce_by_key_config_selectorIxjN6thrust23THRUST_200600_302600_NS4plusIjEEEEZZNS1_33reduce_by_key_impl_wrapped_configILNS1_25lookback_scan_determinismE0ES3_S9_NS6_6detail15normal_iteratorINS6_10device_ptrIxEEEENSD_INSE_IjEEEESG_SI_PmS8_NS6_8equal_toIxEEEE10hipError_tPvRmT2_T3_mT4_T5_T6_T7_T8_P12ihipStream_tbENKUlT_T0_E_clISt17integral_constantIbLb0EES13_EEDaSY_SZ_EUlSY_E_NS1_11comp_targetILNS1_3genE3ELNS1_11target_archE908ELNS1_3gpuE7ELNS1_3repE0EEENS1_30default_config_static_selectorELNS0_4arch9wavefront6targetE1EEEvT1_: ; @_ZN7rocprim17ROCPRIM_400000_NS6detail17trampoline_kernelINS0_14default_configENS1_29reduce_by_key_config_selectorIxjN6thrust23THRUST_200600_302600_NS4plusIjEEEEZZNS1_33reduce_by_key_impl_wrapped_configILNS1_25lookback_scan_determinismE0ES3_S9_NS6_6detail15normal_iteratorINS6_10device_ptrIxEEEENSD_INSE_IjEEEESG_SI_PmS8_NS6_8equal_toIxEEEE10hipError_tPvRmT2_T3_mT4_T5_T6_T7_T8_P12ihipStream_tbENKUlT_T0_E_clISt17integral_constantIbLb0EES13_EEDaSY_SZ_EUlSY_E_NS1_11comp_targetILNS1_3genE3ELNS1_11target_archE908ELNS1_3gpuE7ELNS1_3repE0EEENS1_30default_config_static_selectorELNS0_4arch9wavefront6targetE1EEEvT1_
; %bb.0:
	.section	.rodata,"a",@progbits
	.p2align	6, 0x0
	.amdhsa_kernel _ZN7rocprim17ROCPRIM_400000_NS6detail17trampoline_kernelINS0_14default_configENS1_29reduce_by_key_config_selectorIxjN6thrust23THRUST_200600_302600_NS4plusIjEEEEZZNS1_33reduce_by_key_impl_wrapped_configILNS1_25lookback_scan_determinismE0ES3_S9_NS6_6detail15normal_iteratorINS6_10device_ptrIxEEEENSD_INSE_IjEEEESG_SI_PmS8_NS6_8equal_toIxEEEE10hipError_tPvRmT2_T3_mT4_T5_T6_T7_T8_P12ihipStream_tbENKUlT_T0_E_clISt17integral_constantIbLb0EES13_EEDaSY_SZ_EUlSY_E_NS1_11comp_targetILNS1_3genE3ELNS1_11target_archE908ELNS1_3gpuE7ELNS1_3repE0EEENS1_30default_config_static_selectorELNS0_4arch9wavefront6targetE1EEEvT1_
		.amdhsa_group_segment_fixed_size 0
		.amdhsa_private_segment_fixed_size 0
		.amdhsa_kernarg_size 120
		.amdhsa_user_sgpr_count 6
		.amdhsa_user_sgpr_private_segment_buffer 1
		.amdhsa_user_sgpr_dispatch_ptr 0
		.amdhsa_user_sgpr_queue_ptr 0
		.amdhsa_user_sgpr_kernarg_segment_ptr 1
		.amdhsa_user_sgpr_dispatch_id 0
		.amdhsa_user_sgpr_flat_scratch_init 0
		.amdhsa_user_sgpr_kernarg_preload_length 0
		.amdhsa_user_sgpr_kernarg_preload_offset 0
		.amdhsa_user_sgpr_private_segment_size 0
		.amdhsa_uses_dynamic_stack 0
		.amdhsa_system_sgpr_private_segment_wavefront_offset 0
		.amdhsa_system_sgpr_workgroup_id_x 1
		.amdhsa_system_sgpr_workgroup_id_y 0
		.amdhsa_system_sgpr_workgroup_id_z 0
		.amdhsa_system_sgpr_workgroup_info 0
		.amdhsa_system_vgpr_workitem_id 0
		.amdhsa_next_free_vgpr 1
		.amdhsa_next_free_sgpr 0
		.amdhsa_accum_offset 4
		.amdhsa_reserve_vcc 0
		.amdhsa_reserve_flat_scratch 0
		.amdhsa_float_round_mode_32 0
		.amdhsa_float_round_mode_16_64 0
		.amdhsa_float_denorm_mode_32 3
		.amdhsa_float_denorm_mode_16_64 3
		.amdhsa_dx10_clamp 1
		.amdhsa_ieee_mode 1
		.amdhsa_fp16_overflow 0
		.amdhsa_tg_split 0
		.amdhsa_exception_fp_ieee_invalid_op 0
		.amdhsa_exception_fp_denorm_src 0
		.amdhsa_exception_fp_ieee_div_zero 0
		.amdhsa_exception_fp_ieee_overflow 0
		.amdhsa_exception_fp_ieee_underflow 0
		.amdhsa_exception_fp_ieee_inexact 0
		.amdhsa_exception_int_div_zero 0
	.end_amdhsa_kernel
	.section	.text._ZN7rocprim17ROCPRIM_400000_NS6detail17trampoline_kernelINS0_14default_configENS1_29reduce_by_key_config_selectorIxjN6thrust23THRUST_200600_302600_NS4plusIjEEEEZZNS1_33reduce_by_key_impl_wrapped_configILNS1_25lookback_scan_determinismE0ES3_S9_NS6_6detail15normal_iteratorINS6_10device_ptrIxEEEENSD_INSE_IjEEEESG_SI_PmS8_NS6_8equal_toIxEEEE10hipError_tPvRmT2_T3_mT4_T5_T6_T7_T8_P12ihipStream_tbENKUlT_T0_E_clISt17integral_constantIbLb0EES13_EEDaSY_SZ_EUlSY_E_NS1_11comp_targetILNS1_3genE3ELNS1_11target_archE908ELNS1_3gpuE7ELNS1_3repE0EEENS1_30default_config_static_selectorELNS0_4arch9wavefront6targetE1EEEvT1_,"axG",@progbits,_ZN7rocprim17ROCPRIM_400000_NS6detail17trampoline_kernelINS0_14default_configENS1_29reduce_by_key_config_selectorIxjN6thrust23THRUST_200600_302600_NS4plusIjEEEEZZNS1_33reduce_by_key_impl_wrapped_configILNS1_25lookback_scan_determinismE0ES3_S9_NS6_6detail15normal_iteratorINS6_10device_ptrIxEEEENSD_INSE_IjEEEESG_SI_PmS8_NS6_8equal_toIxEEEE10hipError_tPvRmT2_T3_mT4_T5_T6_T7_T8_P12ihipStream_tbENKUlT_T0_E_clISt17integral_constantIbLb0EES13_EEDaSY_SZ_EUlSY_E_NS1_11comp_targetILNS1_3genE3ELNS1_11target_archE908ELNS1_3gpuE7ELNS1_3repE0EEENS1_30default_config_static_selectorELNS0_4arch9wavefront6targetE1EEEvT1_,comdat
.Lfunc_end772:
	.size	_ZN7rocprim17ROCPRIM_400000_NS6detail17trampoline_kernelINS0_14default_configENS1_29reduce_by_key_config_selectorIxjN6thrust23THRUST_200600_302600_NS4plusIjEEEEZZNS1_33reduce_by_key_impl_wrapped_configILNS1_25lookback_scan_determinismE0ES3_S9_NS6_6detail15normal_iteratorINS6_10device_ptrIxEEEENSD_INSE_IjEEEESG_SI_PmS8_NS6_8equal_toIxEEEE10hipError_tPvRmT2_T3_mT4_T5_T6_T7_T8_P12ihipStream_tbENKUlT_T0_E_clISt17integral_constantIbLb0EES13_EEDaSY_SZ_EUlSY_E_NS1_11comp_targetILNS1_3genE3ELNS1_11target_archE908ELNS1_3gpuE7ELNS1_3repE0EEENS1_30default_config_static_selectorELNS0_4arch9wavefront6targetE1EEEvT1_, .Lfunc_end772-_ZN7rocprim17ROCPRIM_400000_NS6detail17trampoline_kernelINS0_14default_configENS1_29reduce_by_key_config_selectorIxjN6thrust23THRUST_200600_302600_NS4plusIjEEEEZZNS1_33reduce_by_key_impl_wrapped_configILNS1_25lookback_scan_determinismE0ES3_S9_NS6_6detail15normal_iteratorINS6_10device_ptrIxEEEENSD_INSE_IjEEEESG_SI_PmS8_NS6_8equal_toIxEEEE10hipError_tPvRmT2_T3_mT4_T5_T6_T7_T8_P12ihipStream_tbENKUlT_T0_E_clISt17integral_constantIbLb0EES13_EEDaSY_SZ_EUlSY_E_NS1_11comp_targetILNS1_3genE3ELNS1_11target_archE908ELNS1_3gpuE7ELNS1_3repE0EEENS1_30default_config_static_selectorELNS0_4arch9wavefront6targetE1EEEvT1_
                                        ; -- End function
	.section	.AMDGPU.csdata,"",@progbits
; Kernel info:
; codeLenInByte = 0
; NumSgprs: 4
; NumVgprs: 0
; NumAgprs: 0
; TotalNumVgprs: 0
; ScratchSize: 0
; MemoryBound: 0
; FloatMode: 240
; IeeeMode: 1
; LDSByteSize: 0 bytes/workgroup (compile time only)
; SGPRBlocks: 0
; VGPRBlocks: 0
; NumSGPRsForWavesPerEU: 4
; NumVGPRsForWavesPerEU: 1
; AccumOffset: 4
; Occupancy: 8
; WaveLimiterHint : 0
; COMPUTE_PGM_RSRC2:SCRATCH_EN: 0
; COMPUTE_PGM_RSRC2:USER_SGPR: 6
; COMPUTE_PGM_RSRC2:TRAP_HANDLER: 0
; COMPUTE_PGM_RSRC2:TGID_X_EN: 1
; COMPUTE_PGM_RSRC2:TGID_Y_EN: 0
; COMPUTE_PGM_RSRC2:TGID_Z_EN: 0
; COMPUTE_PGM_RSRC2:TIDIG_COMP_CNT: 0
; COMPUTE_PGM_RSRC3_GFX90A:ACCUM_OFFSET: 0
; COMPUTE_PGM_RSRC3_GFX90A:TG_SPLIT: 0
	.section	.text._ZN7rocprim17ROCPRIM_400000_NS6detail17trampoline_kernelINS0_14default_configENS1_29reduce_by_key_config_selectorIxjN6thrust23THRUST_200600_302600_NS4plusIjEEEEZZNS1_33reduce_by_key_impl_wrapped_configILNS1_25lookback_scan_determinismE0ES3_S9_NS6_6detail15normal_iteratorINS6_10device_ptrIxEEEENSD_INSE_IjEEEESG_SI_PmS8_NS6_8equal_toIxEEEE10hipError_tPvRmT2_T3_mT4_T5_T6_T7_T8_P12ihipStream_tbENKUlT_T0_E_clISt17integral_constantIbLb0EES13_EEDaSY_SZ_EUlSY_E_NS1_11comp_targetILNS1_3genE2ELNS1_11target_archE906ELNS1_3gpuE6ELNS1_3repE0EEENS1_30default_config_static_selectorELNS0_4arch9wavefront6targetE1EEEvT1_,"axG",@progbits,_ZN7rocprim17ROCPRIM_400000_NS6detail17trampoline_kernelINS0_14default_configENS1_29reduce_by_key_config_selectorIxjN6thrust23THRUST_200600_302600_NS4plusIjEEEEZZNS1_33reduce_by_key_impl_wrapped_configILNS1_25lookback_scan_determinismE0ES3_S9_NS6_6detail15normal_iteratorINS6_10device_ptrIxEEEENSD_INSE_IjEEEESG_SI_PmS8_NS6_8equal_toIxEEEE10hipError_tPvRmT2_T3_mT4_T5_T6_T7_T8_P12ihipStream_tbENKUlT_T0_E_clISt17integral_constantIbLb0EES13_EEDaSY_SZ_EUlSY_E_NS1_11comp_targetILNS1_3genE2ELNS1_11target_archE906ELNS1_3gpuE6ELNS1_3repE0EEENS1_30default_config_static_selectorELNS0_4arch9wavefront6targetE1EEEvT1_,comdat
	.protected	_ZN7rocprim17ROCPRIM_400000_NS6detail17trampoline_kernelINS0_14default_configENS1_29reduce_by_key_config_selectorIxjN6thrust23THRUST_200600_302600_NS4plusIjEEEEZZNS1_33reduce_by_key_impl_wrapped_configILNS1_25lookback_scan_determinismE0ES3_S9_NS6_6detail15normal_iteratorINS6_10device_ptrIxEEEENSD_INSE_IjEEEESG_SI_PmS8_NS6_8equal_toIxEEEE10hipError_tPvRmT2_T3_mT4_T5_T6_T7_T8_P12ihipStream_tbENKUlT_T0_E_clISt17integral_constantIbLb0EES13_EEDaSY_SZ_EUlSY_E_NS1_11comp_targetILNS1_3genE2ELNS1_11target_archE906ELNS1_3gpuE6ELNS1_3repE0EEENS1_30default_config_static_selectorELNS0_4arch9wavefront6targetE1EEEvT1_ ; -- Begin function _ZN7rocprim17ROCPRIM_400000_NS6detail17trampoline_kernelINS0_14default_configENS1_29reduce_by_key_config_selectorIxjN6thrust23THRUST_200600_302600_NS4plusIjEEEEZZNS1_33reduce_by_key_impl_wrapped_configILNS1_25lookback_scan_determinismE0ES3_S9_NS6_6detail15normal_iteratorINS6_10device_ptrIxEEEENSD_INSE_IjEEEESG_SI_PmS8_NS6_8equal_toIxEEEE10hipError_tPvRmT2_T3_mT4_T5_T6_T7_T8_P12ihipStream_tbENKUlT_T0_E_clISt17integral_constantIbLb0EES13_EEDaSY_SZ_EUlSY_E_NS1_11comp_targetILNS1_3genE2ELNS1_11target_archE906ELNS1_3gpuE6ELNS1_3repE0EEENS1_30default_config_static_selectorELNS0_4arch9wavefront6targetE1EEEvT1_
	.globl	_ZN7rocprim17ROCPRIM_400000_NS6detail17trampoline_kernelINS0_14default_configENS1_29reduce_by_key_config_selectorIxjN6thrust23THRUST_200600_302600_NS4plusIjEEEEZZNS1_33reduce_by_key_impl_wrapped_configILNS1_25lookback_scan_determinismE0ES3_S9_NS6_6detail15normal_iteratorINS6_10device_ptrIxEEEENSD_INSE_IjEEEESG_SI_PmS8_NS6_8equal_toIxEEEE10hipError_tPvRmT2_T3_mT4_T5_T6_T7_T8_P12ihipStream_tbENKUlT_T0_E_clISt17integral_constantIbLb0EES13_EEDaSY_SZ_EUlSY_E_NS1_11comp_targetILNS1_3genE2ELNS1_11target_archE906ELNS1_3gpuE6ELNS1_3repE0EEENS1_30default_config_static_selectorELNS0_4arch9wavefront6targetE1EEEvT1_
	.p2align	8
	.type	_ZN7rocprim17ROCPRIM_400000_NS6detail17trampoline_kernelINS0_14default_configENS1_29reduce_by_key_config_selectorIxjN6thrust23THRUST_200600_302600_NS4plusIjEEEEZZNS1_33reduce_by_key_impl_wrapped_configILNS1_25lookback_scan_determinismE0ES3_S9_NS6_6detail15normal_iteratorINS6_10device_ptrIxEEEENSD_INSE_IjEEEESG_SI_PmS8_NS6_8equal_toIxEEEE10hipError_tPvRmT2_T3_mT4_T5_T6_T7_T8_P12ihipStream_tbENKUlT_T0_E_clISt17integral_constantIbLb0EES13_EEDaSY_SZ_EUlSY_E_NS1_11comp_targetILNS1_3genE2ELNS1_11target_archE906ELNS1_3gpuE6ELNS1_3repE0EEENS1_30default_config_static_selectorELNS0_4arch9wavefront6targetE1EEEvT1_,@function
_ZN7rocprim17ROCPRIM_400000_NS6detail17trampoline_kernelINS0_14default_configENS1_29reduce_by_key_config_selectorIxjN6thrust23THRUST_200600_302600_NS4plusIjEEEEZZNS1_33reduce_by_key_impl_wrapped_configILNS1_25lookback_scan_determinismE0ES3_S9_NS6_6detail15normal_iteratorINS6_10device_ptrIxEEEENSD_INSE_IjEEEESG_SI_PmS8_NS6_8equal_toIxEEEE10hipError_tPvRmT2_T3_mT4_T5_T6_T7_T8_P12ihipStream_tbENKUlT_T0_E_clISt17integral_constantIbLb0EES13_EEDaSY_SZ_EUlSY_E_NS1_11comp_targetILNS1_3genE2ELNS1_11target_archE906ELNS1_3gpuE6ELNS1_3repE0EEENS1_30default_config_static_selectorELNS0_4arch9wavefront6targetE1EEEvT1_: ; @_ZN7rocprim17ROCPRIM_400000_NS6detail17trampoline_kernelINS0_14default_configENS1_29reduce_by_key_config_selectorIxjN6thrust23THRUST_200600_302600_NS4plusIjEEEEZZNS1_33reduce_by_key_impl_wrapped_configILNS1_25lookback_scan_determinismE0ES3_S9_NS6_6detail15normal_iteratorINS6_10device_ptrIxEEEENSD_INSE_IjEEEESG_SI_PmS8_NS6_8equal_toIxEEEE10hipError_tPvRmT2_T3_mT4_T5_T6_T7_T8_P12ihipStream_tbENKUlT_T0_E_clISt17integral_constantIbLb0EES13_EEDaSY_SZ_EUlSY_E_NS1_11comp_targetILNS1_3genE2ELNS1_11target_archE906ELNS1_3gpuE6ELNS1_3repE0EEENS1_30default_config_static_selectorELNS0_4arch9wavefront6targetE1EEEvT1_
; %bb.0:
	.section	.rodata,"a",@progbits
	.p2align	6, 0x0
	.amdhsa_kernel _ZN7rocprim17ROCPRIM_400000_NS6detail17trampoline_kernelINS0_14default_configENS1_29reduce_by_key_config_selectorIxjN6thrust23THRUST_200600_302600_NS4plusIjEEEEZZNS1_33reduce_by_key_impl_wrapped_configILNS1_25lookback_scan_determinismE0ES3_S9_NS6_6detail15normal_iteratorINS6_10device_ptrIxEEEENSD_INSE_IjEEEESG_SI_PmS8_NS6_8equal_toIxEEEE10hipError_tPvRmT2_T3_mT4_T5_T6_T7_T8_P12ihipStream_tbENKUlT_T0_E_clISt17integral_constantIbLb0EES13_EEDaSY_SZ_EUlSY_E_NS1_11comp_targetILNS1_3genE2ELNS1_11target_archE906ELNS1_3gpuE6ELNS1_3repE0EEENS1_30default_config_static_selectorELNS0_4arch9wavefront6targetE1EEEvT1_
		.amdhsa_group_segment_fixed_size 0
		.amdhsa_private_segment_fixed_size 0
		.amdhsa_kernarg_size 120
		.amdhsa_user_sgpr_count 6
		.amdhsa_user_sgpr_private_segment_buffer 1
		.amdhsa_user_sgpr_dispatch_ptr 0
		.amdhsa_user_sgpr_queue_ptr 0
		.amdhsa_user_sgpr_kernarg_segment_ptr 1
		.amdhsa_user_sgpr_dispatch_id 0
		.amdhsa_user_sgpr_flat_scratch_init 0
		.amdhsa_user_sgpr_kernarg_preload_length 0
		.amdhsa_user_sgpr_kernarg_preload_offset 0
		.amdhsa_user_sgpr_private_segment_size 0
		.amdhsa_uses_dynamic_stack 0
		.amdhsa_system_sgpr_private_segment_wavefront_offset 0
		.amdhsa_system_sgpr_workgroup_id_x 1
		.amdhsa_system_sgpr_workgroup_id_y 0
		.amdhsa_system_sgpr_workgroup_id_z 0
		.amdhsa_system_sgpr_workgroup_info 0
		.amdhsa_system_vgpr_workitem_id 0
		.amdhsa_next_free_vgpr 1
		.amdhsa_next_free_sgpr 0
		.amdhsa_accum_offset 4
		.amdhsa_reserve_vcc 0
		.amdhsa_reserve_flat_scratch 0
		.amdhsa_float_round_mode_32 0
		.amdhsa_float_round_mode_16_64 0
		.amdhsa_float_denorm_mode_32 3
		.amdhsa_float_denorm_mode_16_64 3
		.amdhsa_dx10_clamp 1
		.amdhsa_ieee_mode 1
		.amdhsa_fp16_overflow 0
		.amdhsa_tg_split 0
		.amdhsa_exception_fp_ieee_invalid_op 0
		.amdhsa_exception_fp_denorm_src 0
		.amdhsa_exception_fp_ieee_div_zero 0
		.amdhsa_exception_fp_ieee_overflow 0
		.amdhsa_exception_fp_ieee_underflow 0
		.amdhsa_exception_fp_ieee_inexact 0
		.amdhsa_exception_int_div_zero 0
	.end_amdhsa_kernel
	.section	.text._ZN7rocprim17ROCPRIM_400000_NS6detail17trampoline_kernelINS0_14default_configENS1_29reduce_by_key_config_selectorIxjN6thrust23THRUST_200600_302600_NS4plusIjEEEEZZNS1_33reduce_by_key_impl_wrapped_configILNS1_25lookback_scan_determinismE0ES3_S9_NS6_6detail15normal_iteratorINS6_10device_ptrIxEEEENSD_INSE_IjEEEESG_SI_PmS8_NS6_8equal_toIxEEEE10hipError_tPvRmT2_T3_mT4_T5_T6_T7_T8_P12ihipStream_tbENKUlT_T0_E_clISt17integral_constantIbLb0EES13_EEDaSY_SZ_EUlSY_E_NS1_11comp_targetILNS1_3genE2ELNS1_11target_archE906ELNS1_3gpuE6ELNS1_3repE0EEENS1_30default_config_static_selectorELNS0_4arch9wavefront6targetE1EEEvT1_,"axG",@progbits,_ZN7rocprim17ROCPRIM_400000_NS6detail17trampoline_kernelINS0_14default_configENS1_29reduce_by_key_config_selectorIxjN6thrust23THRUST_200600_302600_NS4plusIjEEEEZZNS1_33reduce_by_key_impl_wrapped_configILNS1_25lookback_scan_determinismE0ES3_S9_NS6_6detail15normal_iteratorINS6_10device_ptrIxEEEENSD_INSE_IjEEEESG_SI_PmS8_NS6_8equal_toIxEEEE10hipError_tPvRmT2_T3_mT4_T5_T6_T7_T8_P12ihipStream_tbENKUlT_T0_E_clISt17integral_constantIbLb0EES13_EEDaSY_SZ_EUlSY_E_NS1_11comp_targetILNS1_3genE2ELNS1_11target_archE906ELNS1_3gpuE6ELNS1_3repE0EEENS1_30default_config_static_selectorELNS0_4arch9wavefront6targetE1EEEvT1_,comdat
.Lfunc_end773:
	.size	_ZN7rocprim17ROCPRIM_400000_NS6detail17trampoline_kernelINS0_14default_configENS1_29reduce_by_key_config_selectorIxjN6thrust23THRUST_200600_302600_NS4plusIjEEEEZZNS1_33reduce_by_key_impl_wrapped_configILNS1_25lookback_scan_determinismE0ES3_S9_NS6_6detail15normal_iteratorINS6_10device_ptrIxEEEENSD_INSE_IjEEEESG_SI_PmS8_NS6_8equal_toIxEEEE10hipError_tPvRmT2_T3_mT4_T5_T6_T7_T8_P12ihipStream_tbENKUlT_T0_E_clISt17integral_constantIbLb0EES13_EEDaSY_SZ_EUlSY_E_NS1_11comp_targetILNS1_3genE2ELNS1_11target_archE906ELNS1_3gpuE6ELNS1_3repE0EEENS1_30default_config_static_selectorELNS0_4arch9wavefront6targetE1EEEvT1_, .Lfunc_end773-_ZN7rocprim17ROCPRIM_400000_NS6detail17trampoline_kernelINS0_14default_configENS1_29reduce_by_key_config_selectorIxjN6thrust23THRUST_200600_302600_NS4plusIjEEEEZZNS1_33reduce_by_key_impl_wrapped_configILNS1_25lookback_scan_determinismE0ES3_S9_NS6_6detail15normal_iteratorINS6_10device_ptrIxEEEENSD_INSE_IjEEEESG_SI_PmS8_NS6_8equal_toIxEEEE10hipError_tPvRmT2_T3_mT4_T5_T6_T7_T8_P12ihipStream_tbENKUlT_T0_E_clISt17integral_constantIbLb0EES13_EEDaSY_SZ_EUlSY_E_NS1_11comp_targetILNS1_3genE2ELNS1_11target_archE906ELNS1_3gpuE6ELNS1_3repE0EEENS1_30default_config_static_selectorELNS0_4arch9wavefront6targetE1EEEvT1_
                                        ; -- End function
	.section	.AMDGPU.csdata,"",@progbits
; Kernel info:
; codeLenInByte = 0
; NumSgprs: 4
; NumVgprs: 0
; NumAgprs: 0
; TotalNumVgprs: 0
; ScratchSize: 0
; MemoryBound: 0
; FloatMode: 240
; IeeeMode: 1
; LDSByteSize: 0 bytes/workgroup (compile time only)
; SGPRBlocks: 0
; VGPRBlocks: 0
; NumSGPRsForWavesPerEU: 4
; NumVGPRsForWavesPerEU: 1
; AccumOffset: 4
; Occupancy: 8
; WaveLimiterHint : 0
; COMPUTE_PGM_RSRC2:SCRATCH_EN: 0
; COMPUTE_PGM_RSRC2:USER_SGPR: 6
; COMPUTE_PGM_RSRC2:TRAP_HANDLER: 0
; COMPUTE_PGM_RSRC2:TGID_X_EN: 1
; COMPUTE_PGM_RSRC2:TGID_Y_EN: 0
; COMPUTE_PGM_RSRC2:TGID_Z_EN: 0
; COMPUTE_PGM_RSRC2:TIDIG_COMP_CNT: 0
; COMPUTE_PGM_RSRC3_GFX90A:ACCUM_OFFSET: 0
; COMPUTE_PGM_RSRC3_GFX90A:TG_SPLIT: 0
	.section	.text._ZN7rocprim17ROCPRIM_400000_NS6detail17trampoline_kernelINS0_14default_configENS1_29reduce_by_key_config_selectorIxjN6thrust23THRUST_200600_302600_NS4plusIjEEEEZZNS1_33reduce_by_key_impl_wrapped_configILNS1_25lookback_scan_determinismE0ES3_S9_NS6_6detail15normal_iteratorINS6_10device_ptrIxEEEENSD_INSE_IjEEEESG_SI_PmS8_NS6_8equal_toIxEEEE10hipError_tPvRmT2_T3_mT4_T5_T6_T7_T8_P12ihipStream_tbENKUlT_T0_E_clISt17integral_constantIbLb0EES13_EEDaSY_SZ_EUlSY_E_NS1_11comp_targetILNS1_3genE10ELNS1_11target_archE1201ELNS1_3gpuE5ELNS1_3repE0EEENS1_30default_config_static_selectorELNS0_4arch9wavefront6targetE1EEEvT1_,"axG",@progbits,_ZN7rocprim17ROCPRIM_400000_NS6detail17trampoline_kernelINS0_14default_configENS1_29reduce_by_key_config_selectorIxjN6thrust23THRUST_200600_302600_NS4plusIjEEEEZZNS1_33reduce_by_key_impl_wrapped_configILNS1_25lookback_scan_determinismE0ES3_S9_NS6_6detail15normal_iteratorINS6_10device_ptrIxEEEENSD_INSE_IjEEEESG_SI_PmS8_NS6_8equal_toIxEEEE10hipError_tPvRmT2_T3_mT4_T5_T6_T7_T8_P12ihipStream_tbENKUlT_T0_E_clISt17integral_constantIbLb0EES13_EEDaSY_SZ_EUlSY_E_NS1_11comp_targetILNS1_3genE10ELNS1_11target_archE1201ELNS1_3gpuE5ELNS1_3repE0EEENS1_30default_config_static_selectorELNS0_4arch9wavefront6targetE1EEEvT1_,comdat
	.protected	_ZN7rocprim17ROCPRIM_400000_NS6detail17trampoline_kernelINS0_14default_configENS1_29reduce_by_key_config_selectorIxjN6thrust23THRUST_200600_302600_NS4plusIjEEEEZZNS1_33reduce_by_key_impl_wrapped_configILNS1_25lookback_scan_determinismE0ES3_S9_NS6_6detail15normal_iteratorINS6_10device_ptrIxEEEENSD_INSE_IjEEEESG_SI_PmS8_NS6_8equal_toIxEEEE10hipError_tPvRmT2_T3_mT4_T5_T6_T7_T8_P12ihipStream_tbENKUlT_T0_E_clISt17integral_constantIbLb0EES13_EEDaSY_SZ_EUlSY_E_NS1_11comp_targetILNS1_3genE10ELNS1_11target_archE1201ELNS1_3gpuE5ELNS1_3repE0EEENS1_30default_config_static_selectorELNS0_4arch9wavefront6targetE1EEEvT1_ ; -- Begin function _ZN7rocprim17ROCPRIM_400000_NS6detail17trampoline_kernelINS0_14default_configENS1_29reduce_by_key_config_selectorIxjN6thrust23THRUST_200600_302600_NS4plusIjEEEEZZNS1_33reduce_by_key_impl_wrapped_configILNS1_25lookback_scan_determinismE0ES3_S9_NS6_6detail15normal_iteratorINS6_10device_ptrIxEEEENSD_INSE_IjEEEESG_SI_PmS8_NS6_8equal_toIxEEEE10hipError_tPvRmT2_T3_mT4_T5_T6_T7_T8_P12ihipStream_tbENKUlT_T0_E_clISt17integral_constantIbLb0EES13_EEDaSY_SZ_EUlSY_E_NS1_11comp_targetILNS1_3genE10ELNS1_11target_archE1201ELNS1_3gpuE5ELNS1_3repE0EEENS1_30default_config_static_selectorELNS0_4arch9wavefront6targetE1EEEvT1_
	.globl	_ZN7rocprim17ROCPRIM_400000_NS6detail17trampoline_kernelINS0_14default_configENS1_29reduce_by_key_config_selectorIxjN6thrust23THRUST_200600_302600_NS4plusIjEEEEZZNS1_33reduce_by_key_impl_wrapped_configILNS1_25lookback_scan_determinismE0ES3_S9_NS6_6detail15normal_iteratorINS6_10device_ptrIxEEEENSD_INSE_IjEEEESG_SI_PmS8_NS6_8equal_toIxEEEE10hipError_tPvRmT2_T3_mT4_T5_T6_T7_T8_P12ihipStream_tbENKUlT_T0_E_clISt17integral_constantIbLb0EES13_EEDaSY_SZ_EUlSY_E_NS1_11comp_targetILNS1_3genE10ELNS1_11target_archE1201ELNS1_3gpuE5ELNS1_3repE0EEENS1_30default_config_static_selectorELNS0_4arch9wavefront6targetE1EEEvT1_
	.p2align	8
	.type	_ZN7rocprim17ROCPRIM_400000_NS6detail17trampoline_kernelINS0_14default_configENS1_29reduce_by_key_config_selectorIxjN6thrust23THRUST_200600_302600_NS4plusIjEEEEZZNS1_33reduce_by_key_impl_wrapped_configILNS1_25lookback_scan_determinismE0ES3_S9_NS6_6detail15normal_iteratorINS6_10device_ptrIxEEEENSD_INSE_IjEEEESG_SI_PmS8_NS6_8equal_toIxEEEE10hipError_tPvRmT2_T3_mT4_T5_T6_T7_T8_P12ihipStream_tbENKUlT_T0_E_clISt17integral_constantIbLb0EES13_EEDaSY_SZ_EUlSY_E_NS1_11comp_targetILNS1_3genE10ELNS1_11target_archE1201ELNS1_3gpuE5ELNS1_3repE0EEENS1_30default_config_static_selectorELNS0_4arch9wavefront6targetE1EEEvT1_,@function
_ZN7rocprim17ROCPRIM_400000_NS6detail17trampoline_kernelINS0_14default_configENS1_29reduce_by_key_config_selectorIxjN6thrust23THRUST_200600_302600_NS4plusIjEEEEZZNS1_33reduce_by_key_impl_wrapped_configILNS1_25lookback_scan_determinismE0ES3_S9_NS6_6detail15normal_iteratorINS6_10device_ptrIxEEEENSD_INSE_IjEEEESG_SI_PmS8_NS6_8equal_toIxEEEE10hipError_tPvRmT2_T3_mT4_T5_T6_T7_T8_P12ihipStream_tbENKUlT_T0_E_clISt17integral_constantIbLb0EES13_EEDaSY_SZ_EUlSY_E_NS1_11comp_targetILNS1_3genE10ELNS1_11target_archE1201ELNS1_3gpuE5ELNS1_3repE0EEENS1_30default_config_static_selectorELNS0_4arch9wavefront6targetE1EEEvT1_: ; @_ZN7rocprim17ROCPRIM_400000_NS6detail17trampoline_kernelINS0_14default_configENS1_29reduce_by_key_config_selectorIxjN6thrust23THRUST_200600_302600_NS4plusIjEEEEZZNS1_33reduce_by_key_impl_wrapped_configILNS1_25lookback_scan_determinismE0ES3_S9_NS6_6detail15normal_iteratorINS6_10device_ptrIxEEEENSD_INSE_IjEEEESG_SI_PmS8_NS6_8equal_toIxEEEE10hipError_tPvRmT2_T3_mT4_T5_T6_T7_T8_P12ihipStream_tbENKUlT_T0_E_clISt17integral_constantIbLb0EES13_EEDaSY_SZ_EUlSY_E_NS1_11comp_targetILNS1_3genE10ELNS1_11target_archE1201ELNS1_3gpuE5ELNS1_3repE0EEENS1_30default_config_static_selectorELNS0_4arch9wavefront6targetE1EEEvT1_
; %bb.0:
	.section	.rodata,"a",@progbits
	.p2align	6, 0x0
	.amdhsa_kernel _ZN7rocprim17ROCPRIM_400000_NS6detail17trampoline_kernelINS0_14default_configENS1_29reduce_by_key_config_selectorIxjN6thrust23THRUST_200600_302600_NS4plusIjEEEEZZNS1_33reduce_by_key_impl_wrapped_configILNS1_25lookback_scan_determinismE0ES3_S9_NS6_6detail15normal_iteratorINS6_10device_ptrIxEEEENSD_INSE_IjEEEESG_SI_PmS8_NS6_8equal_toIxEEEE10hipError_tPvRmT2_T3_mT4_T5_T6_T7_T8_P12ihipStream_tbENKUlT_T0_E_clISt17integral_constantIbLb0EES13_EEDaSY_SZ_EUlSY_E_NS1_11comp_targetILNS1_3genE10ELNS1_11target_archE1201ELNS1_3gpuE5ELNS1_3repE0EEENS1_30default_config_static_selectorELNS0_4arch9wavefront6targetE1EEEvT1_
		.amdhsa_group_segment_fixed_size 0
		.amdhsa_private_segment_fixed_size 0
		.amdhsa_kernarg_size 120
		.amdhsa_user_sgpr_count 6
		.amdhsa_user_sgpr_private_segment_buffer 1
		.amdhsa_user_sgpr_dispatch_ptr 0
		.amdhsa_user_sgpr_queue_ptr 0
		.amdhsa_user_sgpr_kernarg_segment_ptr 1
		.amdhsa_user_sgpr_dispatch_id 0
		.amdhsa_user_sgpr_flat_scratch_init 0
		.amdhsa_user_sgpr_kernarg_preload_length 0
		.amdhsa_user_sgpr_kernarg_preload_offset 0
		.amdhsa_user_sgpr_private_segment_size 0
		.amdhsa_uses_dynamic_stack 0
		.amdhsa_system_sgpr_private_segment_wavefront_offset 0
		.amdhsa_system_sgpr_workgroup_id_x 1
		.amdhsa_system_sgpr_workgroup_id_y 0
		.amdhsa_system_sgpr_workgroup_id_z 0
		.amdhsa_system_sgpr_workgroup_info 0
		.amdhsa_system_vgpr_workitem_id 0
		.amdhsa_next_free_vgpr 1
		.amdhsa_next_free_sgpr 0
		.amdhsa_accum_offset 4
		.amdhsa_reserve_vcc 0
		.amdhsa_reserve_flat_scratch 0
		.amdhsa_float_round_mode_32 0
		.amdhsa_float_round_mode_16_64 0
		.amdhsa_float_denorm_mode_32 3
		.amdhsa_float_denorm_mode_16_64 3
		.amdhsa_dx10_clamp 1
		.amdhsa_ieee_mode 1
		.amdhsa_fp16_overflow 0
		.amdhsa_tg_split 0
		.amdhsa_exception_fp_ieee_invalid_op 0
		.amdhsa_exception_fp_denorm_src 0
		.amdhsa_exception_fp_ieee_div_zero 0
		.amdhsa_exception_fp_ieee_overflow 0
		.amdhsa_exception_fp_ieee_underflow 0
		.amdhsa_exception_fp_ieee_inexact 0
		.amdhsa_exception_int_div_zero 0
	.end_amdhsa_kernel
	.section	.text._ZN7rocprim17ROCPRIM_400000_NS6detail17trampoline_kernelINS0_14default_configENS1_29reduce_by_key_config_selectorIxjN6thrust23THRUST_200600_302600_NS4plusIjEEEEZZNS1_33reduce_by_key_impl_wrapped_configILNS1_25lookback_scan_determinismE0ES3_S9_NS6_6detail15normal_iteratorINS6_10device_ptrIxEEEENSD_INSE_IjEEEESG_SI_PmS8_NS6_8equal_toIxEEEE10hipError_tPvRmT2_T3_mT4_T5_T6_T7_T8_P12ihipStream_tbENKUlT_T0_E_clISt17integral_constantIbLb0EES13_EEDaSY_SZ_EUlSY_E_NS1_11comp_targetILNS1_3genE10ELNS1_11target_archE1201ELNS1_3gpuE5ELNS1_3repE0EEENS1_30default_config_static_selectorELNS0_4arch9wavefront6targetE1EEEvT1_,"axG",@progbits,_ZN7rocprim17ROCPRIM_400000_NS6detail17trampoline_kernelINS0_14default_configENS1_29reduce_by_key_config_selectorIxjN6thrust23THRUST_200600_302600_NS4plusIjEEEEZZNS1_33reduce_by_key_impl_wrapped_configILNS1_25lookback_scan_determinismE0ES3_S9_NS6_6detail15normal_iteratorINS6_10device_ptrIxEEEENSD_INSE_IjEEEESG_SI_PmS8_NS6_8equal_toIxEEEE10hipError_tPvRmT2_T3_mT4_T5_T6_T7_T8_P12ihipStream_tbENKUlT_T0_E_clISt17integral_constantIbLb0EES13_EEDaSY_SZ_EUlSY_E_NS1_11comp_targetILNS1_3genE10ELNS1_11target_archE1201ELNS1_3gpuE5ELNS1_3repE0EEENS1_30default_config_static_selectorELNS0_4arch9wavefront6targetE1EEEvT1_,comdat
.Lfunc_end774:
	.size	_ZN7rocprim17ROCPRIM_400000_NS6detail17trampoline_kernelINS0_14default_configENS1_29reduce_by_key_config_selectorIxjN6thrust23THRUST_200600_302600_NS4plusIjEEEEZZNS1_33reduce_by_key_impl_wrapped_configILNS1_25lookback_scan_determinismE0ES3_S9_NS6_6detail15normal_iteratorINS6_10device_ptrIxEEEENSD_INSE_IjEEEESG_SI_PmS8_NS6_8equal_toIxEEEE10hipError_tPvRmT2_T3_mT4_T5_T6_T7_T8_P12ihipStream_tbENKUlT_T0_E_clISt17integral_constantIbLb0EES13_EEDaSY_SZ_EUlSY_E_NS1_11comp_targetILNS1_3genE10ELNS1_11target_archE1201ELNS1_3gpuE5ELNS1_3repE0EEENS1_30default_config_static_selectorELNS0_4arch9wavefront6targetE1EEEvT1_, .Lfunc_end774-_ZN7rocprim17ROCPRIM_400000_NS6detail17trampoline_kernelINS0_14default_configENS1_29reduce_by_key_config_selectorIxjN6thrust23THRUST_200600_302600_NS4plusIjEEEEZZNS1_33reduce_by_key_impl_wrapped_configILNS1_25lookback_scan_determinismE0ES3_S9_NS6_6detail15normal_iteratorINS6_10device_ptrIxEEEENSD_INSE_IjEEEESG_SI_PmS8_NS6_8equal_toIxEEEE10hipError_tPvRmT2_T3_mT4_T5_T6_T7_T8_P12ihipStream_tbENKUlT_T0_E_clISt17integral_constantIbLb0EES13_EEDaSY_SZ_EUlSY_E_NS1_11comp_targetILNS1_3genE10ELNS1_11target_archE1201ELNS1_3gpuE5ELNS1_3repE0EEENS1_30default_config_static_selectorELNS0_4arch9wavefront6targetE1EEEvT1_
                                        ; -- End function
	.section	.AMDGPU.csdata,"",@progbits
; Kernel info:
; codeLenInByte = 0
; NumSgprs: 4
; NumVgprs: 0
; NumAgprs: 0
; TotalNumVgprs: 0
; ScratchSize: 0
; MemoryBound: 0
; FloatMode: 240
; IeeeMode: 1
; LDSByteSize: 0 bytes/workgroup (compile time only)
; SGPRBlocks: 0
; VGPRBlocks: 0
; NumSGPRsForWavesPerEU: 4
; NumVGPRsForWavesPerEU: 1
; AccumOffset: 4
; Occupancy: 8
; WaveLimiterHint : 0
; COMPUTE_PGM_RSRC2:SCRATCH_EN: 0
; COMPUTE_PGM_RSRC2:USER_SGPR: 6
; COMPUTE_PGM_RSRC2:TRAP_HANDLER: 0
; COMPUTE_PGM_RSRC2:TGID_X_EN: 1
; COMPUTE_PGM_RSRC2:TGID_Y_EN: 0
; COMPUTE_PGM_RSRC2:TGID_Z_EN: 0
; COMPUTE_PGM_RSRC2:TIDIG_COMP_CNT: 0
; COMPUTE_PGM_RSRC3_GFX90A:ACCUM_OFFSET: 0
; COMPUTE_PGM_RSRC3_GFX90A:TG_SPLIT: 0
	.section	.text._ZN7rocprim17ROCPRIM_400000_NS6detail17trampoline_kernelINS0_14default_configENS1_29reduce_by_key_config_selectorIxjN6thrust23THRUST_200600_302600_NS4plusIjEEEEZZNS1_33reduce_by_key_impl_wrapped_configILNS1_25lookback_scan_determinismE0ES3_S9_NS6_6detail15normal_iteratorINS6_10device_ptrIxEEEENSD_INSE_IjEEEESG_SI_PmS8_NS6_8equal_toIxEEEE10hipError_tPvRmT2_T3_mT4_T5_T6_T7_T8_P12ihipStream_tbENKUlT_T0_E_clISt17integral_constantIbLb0EES13_EEDaSY_SZ_EUlSY_E_NS1_11comp_targetILNS1_3genE10ELNS1_11target_archE1200ELNS1_3gpuE4ELNS1_3repE0EEENS1_30default_config_static_selectorELNS0_4arch9wavefront6targetE1EEEvT1_,"axG",@progbits,_ZN7rocprim17ROCPRIM_400000_NS6detail17trampoline_kernelINS0_14default_configENS1_29reduce_by_key_config_selectorIxjN6thrust23THRUST_200600_302600_NS4plusIjEEEEZZNS1_33reduce_by_key_impl_wrapped_configILNS1_25lookback_scan_determinismE0ES3_S9_NS6_6detail15normal_iteratorINS6_10device_ptrIxEEEENSD_INSE_IjEEEESG_SI_PmS8_NS6_8equal_toIxEEEE10hipError_tPvRmT2_T3_mT4_T5_T6_T7_T8_P12ihipStream_tbENKUlT_T0_E_clISt17integral_constantIbLb0EES13_EEDaSY_SZ_EUlSY_E_NS1_11comp_targetILNS1_3genE10ELNS1_11target_archE1200ELNS1_3gpuE4ELNS1_3repE0EEENS1_30default_config_static_selectorELNS0_4arch9wavefront6targetE1EEEvT1_,comdat
	.protected	_ZN7rocprim17ROCPRIM_400000_NS6detail17trampoline_kernelINS0_14default_configENS1_29reduce_by_key_config_selectorIxjN6thrust23THRUST_200600_302600_NS4plusIjEEEEZZNS1_33reduce_by_key_impl_wrapped_configILNS1_25lookback_scan_determinismE0ES3_S9_NS6_6detail15normal_iteratorINS6_10device_ptrIxEEEENSD_INSE_IjEEEESG_SI_PmS8_NS6_8equal_toIxEEEE10hipError_tPvRmT2_T3_mT4_T5_T6_T7_T8_P12ihipStream_tbENKUlT_T0_E_clISt17integral_constantIbLb0EES13_EEDaSY_SZ_EUlSY_E_NS1_11comp_targetILNS1_3genE10ELNS1_11target_archE1200ELNS1_3gpuE4ELNS1_3repE0EEENS1_30default_config_static_selectorELNS0_4arch9wavefront6targetE1EEEvT1_ ; -- Begin function _ZN7rocprim17ROCPRIM_400000_NS6detail17trampoline_kernelINS0_14default_configENS1_29reduce_by_key_config_selectorIxjN6thrust23THRUST_200600_302600_NS4plusIjEEEEZZNS1_33reduce_by_key_impl_wrapped_configILNS1_25lookback_scan_determinismE0ES3_S9_NS6_6detail15normal_iteratorINS6_10device_ptrIxEEEENSD_INSE_IjEEEESG_SI_PmS8_NS6_8equal_toIxEEEE10hipError_tPvRmT2_T3_mT4_T5_T6_T7_T8_P12ihipStream_tbENKUlT_T0_E_clISt17integral_constantIbLb0EES13_EEDaSY_SZ_EUlSY_E_NS1_11comp_targetILNS1_3genE10ELNS1_11target_archE1200ELNS1_3gpuE4ELNS1_3repE0EEENS1_30default_config_static_selectorELNS0_4arch9wavefront6targetE1EEEvT1_
	.globl	_ZN7rocprim17ROCPRIM_400000_NS6detail17trampoline_kernelINS0_14default_configENS1_29reduce_by_key_config_selectorIxjN6thrust23THRUST_200600_302600_NS4plusIjEEEEZZNS1_33reduce_by_key_impl_wrapped_configILNS1_25lookback_scan_determinismE0ES3_S9_NS6_6detail15normal_iteratorINS6_10device_ptrIxEEEENSD_INSE_IjEEEESG_SI_PmS8_NS6_8equal_toIxEEEE10hipError_tPvRmT2_T3_mT4_T5_T6_T7_T8_P12ihipStream_tbENKUlT_T0_E_clISt17integral_constantIbLb0EES13_EEDaSY_SZ_EUlSY_E_NS1_11comp_targetILNS1_3genE10ELNS1_11target_archE1200ELNS1_3gpuE4ELNS1_3repE0EEENS1_30default_config_static_selectorELNS0_4arch9wavefront6targetE1EEEvT1_
	.p2align	8
	.type	_ZN7rocprim17ROCPRIM_400000_NS6detail17trampoline_kernelINS0_14default_configENS1_29reduce_by_key_config_selectorIxjN6thrust23THRUST_200600_302600_NS4plusIjEEEEZZNS1_33reduce_by_key_impl_wrapped_configILNS1_25lookback_scan_determinismE0ES3_S9_NS6_6detail15normal_iteratorINS6_10device_ptrIxEEEENSD_INSE_IjEEEESG_SI_PmS8_NS6_8equal_toIxEEEE10hipError_tPvRmT2_T3_mT4_T5_T6_T7_T8_P12ihipStream_tbENKUlT_T0_E_clISt17integral_constantIbLb0EES13_EEDaSY_SZ_EUlSY_E_NS1_11comp_targetILNS1_3genE10ELNS1_11target_archE1200ELNS1_3gpuE4ELNS1_3repE0EEENS1_30default_config_static_selectorELNS0_4arch9wavefront6targetE1EEEvT1_,@function
_ZN7rocprim17ROCPRIM_400000_NS6detail17trampoline_kernelINS0_14default_configENS1_29reduce_by_key_config_selectorIxjN6thrust23THRUST_200600_302600_NS4plusIjEEEEZZNS1_33reduce_by_key_impl_wrapped_configILNS1_25lookback_scan_determinismE0ES3_S9_NS6_6detail15normal_iteratorINS6_10device_ptrIxEEEENSD_INSE_IjEEEESG_SI_PmS8_NS6_8equal_toIxEEEE10hipError_tPvRmT2_T3_mT4_T5_T6_T7_T8_P12ihipStream_tbENKUlT_T0_E_clISt17integral_constantIbLb0EES13_EEDaSY_SZ_EUlSY_E_NS1_11comp_targetILNS1_3genE10ELNS1_11target_archE1200ELNS1_3gpuE4ELNS1_3repE0EEENS1_30default_config_static_selectorELNS0_4arch9wavefront6targetE1EEEvT1_: ; @_ZN7rocprim17ROCPRIM_400000_NS6detail17trampoline_kernelINS0_14default_configENS1_29reduce_by_key_config_selectorIxjN6thrust23THRUST_200600_302600_NS4plusIjEEEEZZNS1_33reduce_by_key_impl_wrapped_configILNS1_25lookback_scan_determinismE0ES3_S9_NS6_6detail15normal_iteratorINS6_10device_ptrIxEEEENSD_INSE_IjEEEESG_SI_PmS8_NS6_8equal_toIxEEEE10hipError_tPvRmT2_T3_mT4_T5_T6_T7_T8_P12ihipStream_tbENKUlT_T0_E_clISt17integral_constantIbLb0EES13_EEDaSY_SZ_EUlSY_E_NS1_11comp_targetILNS1_3genE10ELNS1_11target_archE1200ELNS1_3gpuE4ELNS1_3repE0EEENS1_30default_config_static_selectorELNS0_4arch9wavefront6targetE1EEEvT1_
; %bb.0:
	.section	.rodata,"a",@progbits
	.p2align	6, 0x0
	.amdhsa_kernel _ZN7rocprim17ROCPRIM_400000_NS6detail17trampoline_kernelINS0_14default_configENS1_29reduce_by_key_config_selectorIxjN6thrust23THRUST_200600_302600_NS4plusIjEEEEZZNS1_33reduce_by_key_impl_wrapped_configILNS1_25lookback_scan_determinismE0ES3_S9_NS6_6detail15normal_iteratorINS6_10device_ptrIxEEEENSD_INSE_IjEEEESG_SI_PmS8_NS6_8equal_toIxEEEE10hipError_tPvRmT2_T3_mT4_T5_T6_T7_T8_P12ihipStream_tbENKUlT_T0_E_clISt17integral_constantIbLb0EES13_EEDaSY_SZ_EUlSY_E_NS1_11comp_targetILNS1_3genE10ELNS1_11target_archE1200ELNS1_3gpuE4ELNS1_3repE0EEENS1_30default_config_static_selectorELNS0_4arch9wavefront6targetE1EEEvT1_
		.amdhsa_group_segment_fixed_size 0
		.amdhsa_private_segment_fixed_size 0
		.amdhsa_kernarg_size 120
		.amdhsa_user_sgpr_count 6
		.amdhsa_user_sgpr_private_segment_buffer 1
		.amdhsa_user_sgpr_dispatch_ptr 0
		.amdhsa_user_sgpr_queue_ptr 0
		.amdhsa_user_sgpr_kernarg_segment_ptr 1
		.amdhsa_user_sgpr_dispatch_id 0
		.amdhsa_user_sgpr_flat_scratch_init 0
		.amdhsa_user_sgpr_kernarg_preload_length 0
		.amdhsa_user_sgpr_kernarg_preload_offset 0
		.amdhsa_user_sgpr_private_segment_size 0
		.amdhsa_uses_dynamic_stack 0
		.amdhsa_system_sgpr_private_segment_wavefront_offset 0
		.amdhsa_system_sgpr_workgroup_id_x 1
		.amdhsa_system_sgpr_workgroup_id_y 0
		.amdhsa_system_sgpr_workgroup_id_z 0
		.amdhsa_system_sgpr_workgroup_info 0
		.amdhsa_system_vgpr_workitem_id 0
		.amdhsa_next_free_vgpr 1
		.amdhsa_next_free_sgpr 0
		.amdhsa_accum_offset 4
		.amdhsa_reserve_vcc 0
		.amdhsa_reserve_flat_scratch 0
		.amdhsa_float_round_mode_32 0
		.amdhsa_float_round_mode_16_64 0
		.amdhsa_float_denorm_mode_32 3
		.amdhsa_float_denorm_mode_16_64 3
		.amdhsa_dx10_clamp 1
		.amdhsa_ieee_mode 1
		.amdhsa_fp16_overflow 0
		.amdhsa_tg_split 0
		.amdhsa_exception_fp_ieee_invalid_op 0
		.amdhsa_exception_fp_denorm_src 0
		.amdhsa_exception_fp_ieee_div_zero 0
		.amdhsa_exception_fp_ieee_overflow 0
		.amdhsa_exception_fp_ieee_underflow 0
		.amdhsa_exception_fp_ieee_inexact 0
		.amdhsa_exception_int_div_zero 0
	.end_amdhsa_kernel
	.section	.text._ZN7rocprim17ROCPRIM_400000_NS6detail17trampoline_kernelINS0_14default_configENS1_29reduce_by_key_config_selectorIxjN6thrust23THRUST_200600_302600_NS4plusIjEEEEZZNS1_33reduce_by_key_impl_wrapped_configILNS1_25lookback_scan_determinismE0ES3_S9_NS6_6detail15normal_iteratorINS6_10device_ptrIxEEEENSD_INSE_IjEEEESG_SI_PmS8_NS6_8equal_toIxEEEE10hipError_tPvRmT2_T3_mT4_T5_T6_T7_T8_P12ihipStream_tbENKUlT_T0_E_clISt17integral_constantIbLb0EES13_EEDaSY_SZ_EUlSY_E_NS1_11comp_targetILNS1_3genE10ELNS1_11target_archE1200ELNS1_3gpuE4ELNS1_3repE0EEENS1_30default_config_static_selectorELNS0_4arch9wavefront6targetE1EEEvT1_,"axG",@progbits,_ZN7rocprim17ROCPRIM_400000_NS6detail17trampoline_kernelINS0_14default_configENS1_29reduce_by_key_config_selectorIxjN6thrust23THRUST_200600_302600_NS4plusIjEEEEZZNS1_33reduce_by_key_impl_wrapped_configILNS1_25lookback_scan_determinismE0ES3_S9_NS6_6detail15normal_iteratorINS6_10device_ptrIxEEEENSD_INSE_IjEEEESG_SI_PmS8_NS6_8equal_toIxEEEE10hipError_tPvRmT2_T3_mT4_T5_T6_T7_T8_P12ihipStream_tbENKUlT_T0_E_clISt17integral_constantIbLb0EES13_EEDaSY_SZ_EUlSY_E_NS1_11comp_targetILNS1_3genE10ELNS1_11target_archE1200ELNS1_3gpuE4ELNS1_3repE0EEENS1_30default_config_static_selectorELNS0_4arch9wavefront6targetE1EEEvT1_,comdat
.Lfunc_end775:
	.size	_ZN7rocprim17ROCPRIM_400000_NS6detail17trampoline_kernelINS0_14default_configENS1_29reduce_by_key_config_selectorIxjN6thrust23THRUST_200600_302600_NS4plusIjEEEEZZNS1_33reduce_by_key_impl_wrapped_configILNS1_25lookback_scan_determinismE0ES3_S9_NS6_6detail15normal_iteratorINS6_10device_ptrIxEEEENSD_INSE_IjEEEESG_SI_PmS8_NS6_8equal_toIxEEEE10hipError_tPvRmT2_T3_mT4_T5_T6_T7_T8_P12ihipStream_tbENKUlT_T0_E_clISt17integral_constantIbLb0EES13_EEDaSY_SZ_EUlSY_E_NS1_11comp_targetILNS1_3genE10ELNS1_11target_archE1200ELNS1_3gpuE4ELNS1_3repE0EEENS1_30default_config_static_selectorELNS0_4arch9wavefront6targetE1EEEvT1_, .Lfunc_end775-_ZN7rocprim17ROCPRIM_400000_NS6detail17trampoline_kernelINS0_14default_configENS1_29reduce_by_key_config_selectorIxjN6thrust23THRUST_200600_302600_NS4plusIjEEEEZZNS1_33reduce_by_key_impl_wrapped_configILNS1_25lookback_scan_determinismE0ES3_S9_NS6_6detail15normal_iteratorINS6_10device_ptrIxEEEENSD_INSE_IjEEEESG_SI_PmS8_NS6_8equal_toIxEEEE10hipError_tPvRmT2_T3_mT4_T5_T6_T7_T8_P12ihipStream_tbENKUlT_T0_E_clISt17integral_constantIbLb0EES13_EEDaSY_SZ_EUlSY_E_NS1_11comp_targetILNS1_3genE10ELNS1_11target_archE1200ELNS1_3gpuE4ELNS1_3repE0EEENS1_30default_config_static_selectorELNS0_4arch9wavefront6targetE1EEEvT1_
                                        ; -- End function
	.section	.AMDGPU.csdata,"",@progbits
; Kernel info:
; codeLenInByte = 0
; NumSgprs: 4
; NumVgprs: 0
; NumAgprs: 0
; TotalNumVgprs: 0
; ScratchSize: 0
; MemoryBound: 0
; FloatMode: 240
; IeeeMode: 1
; LDSByteSize: 0 bytes/workgroup (compile time only)
; SGPRBlocks: 0
; VGPRBlocks: 0
; NumSGPRsForWavesPerEU: 4
; NumVGPRsForWavesPerEU: 1
; AccumOffset: 4
; Occupancy: 8
; WaveLimiterHint : 0
; COMPUTE_PGM_RSRC2:SCRATCH_EN: 0
; COMPUTE_PGM_RSRC2:USER_SGPR: 6
; COMPUTE_PGM_RSRC2:TRAP_HANDLER: 0
; COMPUTE_PGM_RSRC2:TGID_X_EN: 1
; COMPUTE_PGM_RSRC2:TGID_Y_EN: 0
; COMPUTE_PGM_RSRC2:TGID_Z_EN: 0
; COMPUTE_PGM_RSRC2:TIDIG_COMP_CNT: 0
; COMPUTE_PGM_RSRC3_GFX90A:ACCUM_OFFSET: 0
; COMPUTE_PGM_RSRC3_GFX90A:TG_SPLIT: 0
	.section	.text._ZN7rocprim17ROCPRIM_400000_NS6detail17trampoline_kernelINS0_14default_configENS1_29reduce_by_key_config_selectorIxjN6thrust23THRUST_200600_302600_NS4plusIjEEEEZZNS1_33reduce_by_key_impl_wrapped_configILNS1_25lookback_scan_determinismE0ES3_S9_NS6_6detail15normal_iteratorINS6_10device_ptrIxEEEENSD_INSE_IjEEEESG_SI_PmS8_NS6_8equal_toIxEEEE10hipError_tPvRmT2_T3_mT4_T5_T6_T7_T8_P12ihipStream_tbENKUlT_T0_E_clISt17integral_constantIbLb0EES13_EEDaSY_SZ_EUlSY_E_NS1_11comp_targetILNS1_3genE9ELNS1_11target_archE1100ELNS1_3gpuE3ELNS1_3repE0EEENS1_30default_config_static_selectorELNS0_4arch9wavefront6targetE1EEEvT1_,"axG",@progbits,_ZN7rocprim17ROCPRIM_400000_NS6detail17trampoline_kernelINS0_14default_configENS1_29reduce_by_key_config_selectorIxjN6thrust23THRUST_200600_302600_NS4plusIjEEEEZZNS1_33reduce_by_key_impl_wrapped_configILNS1_25lookback_scan_determinismE0ES3_S9_NS6_6detail15normal_iteratorINS6_10device_ptrIxEEEENSD_INSE_IjEEEESG_SI_PmS8_NS6_8equal_toIxEEEE10hipError_tPvRmT2_T3_mT4_T5_T6_T7_T8_P12ihipStream_tbENKUlT_T0_E_clISt17integral_constantIbLb0EES13_EEDaSY_SZ_EUlSY_E_NS1_11comp_targetILNS1_3genE9ELNS1_11target_archE1100ELNS1_3gpuE3ELNS1_3repE0EEENS1_30default_config_static_selectorELNS0_4arch9wavefront6targetE1EEEvT1_,comdat
	.protected	_ZN7rocprim17ROCPRIM_400000_NS6detail17trampoline_kernelINS0_14default_configENS1_29reduce_by_key_config_selectorIxjN6thrust23THRUST_200600_302600_NS4plusIjEEEEZZNS1_33reduce_by_key_impl_wrapped_configILNS1_25lookback_scan_determinismE0ES3_S9_NS6_6detail15normal_iteratorINS6_10device_ptrIxEEEENSD_INSE_IjEEEESG_SI_PmS8_NS6_8equal_toIxEEEE10hipError_tPvRmT2_T3_mT4_T5_T6_T7_T8_P12ihipStream_tbENKUlT_T0_E_clISt17integral_constantIbLb0EES13_EEDaSY_SZ_EUlSY_E_NS1_11comp_targetILNS1_3genE9ELNS1_11target_archE1100ELNS1_3gpuE3ELNS1_3repE0EEENS1_30default_config_static_selectorELNS0_4arch9wavefront6targetE1EEEvT1_ ; -- Begin function _ZN7rocprim17ROCPRIM_400000_NS6detail17trampoline_kernelINS0_14default_configENS1_29reduce_by_key_config_selectorIxjN6thrust23THRUST_200600_302600_NS4plusIjEEEEZZNS1_33reduce_by_key_impl_wrapped_configILNS1_25lookback_scan_determinismE0ES3_S9_NS6_6detail15normal_iteratorINS6_10device_ptrIxEEEENSD_INSE_IjEEEESG_SI_PmS8_NS6_8equal_toIxEEEE10hipError_tPvRmT2_T3_mT4_T5_T6_T7_T8_P12ihipStream_tbENKUlT_T0_E_clISt17integral_constantIbLb0EES13_EEDaSY_SZ_EUlSY_E_NS1_11comp_targetILNS1_3genE9ELNS1_11target_archE1100ELNS1_3gpuE3ELNS1_3repE0EEENS1_30default_config_static_selectorELNS0_4arch9wavefront6targetE1EEEvT1_
	.globl	_ZN7rocprim17ROCPRIM_400000_NS6detail17trampoline_kernelINS0_14default_configENS1_29reduce_by_key_config_selectorIxjN6thrust23THRUST_200600_302600_NS4plusIjEEEEZZNS1_33reduce_by_key_impl_wrapped_configILNS1_25lookback_scan_determinismE0ES3_S9_NS6_6detail15normal_iteratorINS6_10device_ptrIxEEEENSD_INSE_IjEEEESG_SI_PmS8_NS6_8equal_toIxEEEE10hipError_tPvRmT2_T3_mT4_T5_T6_T7_T8_P12ihipStream_tbENKUlT_T0_E_clISt17integral_constantIbLb0EES13_EEDaSY_SZ_EUlSY_E_NS1_11comp_targetILNS1_3genE9ELNS1_11target_archE1100ELNS1_3gpuE3ELNS1_3repE0EEENS1_30default_config_static_selectorELNS0_4arch9wavefront6targetE1EEEvT1_
	.p2align	8
	.type	_ZN7rocprim17ROCPRIM_400000_NS6detail17trampoline_kernelINS0_14default_configENS1_29reduce_by_key_config_selectorIxjN6thrust23THRUST_200600_302600_NS4plusIjEEEEZZNS1_33reduce_by_key_impl_wrapped_configILNS1_25lookback_scan_determinismE0ES3_S9_NS6_6detail15normal_iteratorINS6_10device_ptrIxEEEENSD_INSE_IjEEEESG_SI_PmS8_NS6_8equal_toIxEEEE10hipError_tPvRmT2_T3_mT4_T5_T6_T7_T8_P12ihipStream_tbENKUlT_T0_E_clISt17integral_constantIbLb0EES13_EEDaSY_SZ_EUlSY_E_NS1_11comp_targetILNS1_3genE9ELNS1_11target_archE1100ELNS1_3gpuE3ELNS1_3repE0EEENS1_30default_config_static_selectorELNS0_4arch9wavefront6targetE1EEEvT1_,@function
_ZN7rocprim17ROCPRIM_400000_NS6detail17trampoline_kernelINS0_14default_configENS1_29reduce_by_key_config_selectorIxjN6thrust23THRUST_200600_302600_NS4plusIjEEEEZZNS1_33reduce_by_key_impl_wrapped_configILNS1_25lookback_scan_determinismE0ES3_S9_NS6_6detail15normal_iteratorINS6_10device_ptrIxEEEENSD_INSE_IjEEEESG_SI_PmS8_NS6_8equal_toIxEEEE10hipError_tPvRmT2_T3_mT4_T5_T6_T7_T8_P12ihipStream_tbENKUlT_T0_E_clISt17integral_constantIbLb0EES13_EEDaSY_SZ_EUlSY_E_NS1_11comp_targetILNS1_3genE9ELNS1_11target_archE1100ELNS1_3gpuE3ELNS1_3repE0EEENS1_30default_config_static_selectorELNS0_4arch9wavefront6targetE1EEEvT1_: ; @_ZN7rocprim17ROCPRIM_400000_NS6detail17trampoline_kernelINS0_14default_configENS1_29reduce_by_key_config_selectorIxjN6thrust23THRUST_200600_302600_NS4plusIjEEEEZZNS1_33reduce_by_key_impl_wrapped_configILNS1_25lookback_scan_determinismE0ES3_S9_NS6_6detail15normal_iteratorINS6_10device_ptrIxEEEENSD_INSE_IjEEEESG_SI_PmS8_NS6_8equal_toIxEEEE10hipError_tPvRmT2_T3_mT4_T5_T6_T7_T8_P12ihipStream_tbENKUlT_T0_E_clISt17integral_constantIbLb0EES13_EEDaSY_SZ_EUlSY_E_NS1_11comp_targetILNS1_3genE9ELNS1_11target_archE1100ELNS1_3gpuE3ELNS1_3repE0EEENS1_30default_config_static_selectorELNS0_4arch9wavefront6targetE1EEEvT1_
; %bb.0:
	.section	.rodata,"a",@progbits
	.p2align	6, 0x0
	.amdhsa_kernel _ZN7rocprim17ROCPRIM_400000_NS6detail17trampoline_kernelINS0_14default_configENS1_29reduce_by_key_config_selectorIxjN6thrust23THRUST_200600_302600_NS4plusIjEEEEZZNS1_33reduce_by_key_impl_wrapped_configILNS1_25lookback_scan_determinismE0ES3_S9_NS6_6detail15normal_iteratorINS6_10device_ptrIxEEEENSD_INSE_IjEEEESG_SI_PmS8_NS6_8equal_toIxEEEE10hipError_tPvRmT2_T3_mT4_T5_T6_T7_T8_P12ihipStream_tbENKUlT_T0_E_clISt17integral_constantIbLb0EES13_EEDaSY_SZ_EUlSY_E_NS1_11comp_targetILNS1_3genE9ELNS1_11target_archE1100ELNS1_3gpuE3ELNS1_3repE0EEENS1_30default_config_static_selectorELNS0_4arch9wavefront6targetE1EEEvT1_
		.amdhsa_group_segment_fixed_size 0
		.amdhsa_private_segment_fixed_size 0
		.amdhsa_kernarg_size 120
		.amdhsa_user_sgpr_count 6
		.amdhsa_user_sgpr_private_segment_buffer 1
		.amdhsa_user_sgpr_dispatch_ptr 0
		.amdhsa_user_sgpr_queue_ptr 0
		.amdhsa_user_sgpr_kernarg_segment_ptr 1
		.amdhsa_user_sgpr_dispatch_id 0
		.amdhsa_user_sgpr_flat_scratch_init 0
		.amdhsa_user_sgpr_kernarg_preload_length 0
		.amdhsa_user_sgpr_kernarg_preload_offset 0
		.amdhsa_user_sgpr_private_segment_size 0
		.amdhsa_uses_dynamic_stack 0
		.amdhsa_system_sgpr_private_segment_wavefront_offset 0
		.amdhsa_system_sgpr_workgroup_id_x 1
		.amdhsa_system_sgpr_workgroup_id_y 0
		.amdhsa_system_sgpr_workgroup_id_z 0
		.amdhsa_system_sgpr_workgroup_info 0
		.amdhsa_system_vgpr_workitem_id 0
		.amdhsa_next_free_vgpr 1
		.amdhsa_next_free_sgpr 0
		.amdhsa_accum_offset 4
		.amdhsa_reserve_vcc 0
		.amdhsa_reserve_flat_scratch 0
		.amdhsa_float_round_mode_32 0
		.amdhsa_float_round_mode_16_64 0
		.amdhsa_float_denorm_mode_32 3
		.amdhsa_float_denorm_mode_16_64 3
		.amdhsa_dx10_clamp 1
		.amdhsa_ieee_mode 1
		.amdhsa_fp16_overflow 0
		.amdhsa_tg_split 0
		.amdhsa_exception_fp_ieee_invalid_op 0
		.amdhsa_exception_fp_denorm_src 0
		.amdhsa_exception_fp_ieee_div_zero 0
		.amdhsa_exception_fp_ieee_overflow 0
		.amdhsa_exception_fp_ieee_underflow 0
		.amdhsa_exception_fp_ieee_inexact 0
		.amdhsa_exception_int_div_zero 0
	.end_amdhsa_kernel
	.section	.text._ZN7rocprim17ROCPRIM_400000_NS6detail17trampoline_kernelINS0_14default_configENS1_29reduce_by_key_config_selectorIxjN6thrust23THRUST_200600_302600_NS4plusIjEEEEZZNS1_33reduce_by_key_impl_wrapped_configILNS1_25lookback_scan_determinismE0ES3_S9_NS6_6detail15normal_iteratorINS6_10device_ptrIxEEEENSD_INSE_IjEEEESG_SI_PmS8_NS6_8equal_toIxEEEE10hipError_tPvRmT2_T3_mT4_T5_T6_T7_T8_P12ihipStream_tbENKUlT_T0_E_clISt17integral_constantIbLb0EES13_EEDaSY_SZ_EUlSY_E_NS1_11comp_targetILNS1_3genE9ELNS1_11target_archE1100ELNS1_3gpuE3ELNS1_3repE0EEENS1_30default_config_static_selectorELNS0_4arch9wavefront6targetE1EEEvT1_,"axG",@progbits,_ZN7rocprim17ROCPRIM_400000_NS6detail17trampoline_kernelINS0_14default_configENS1_29reduce_by_key_config_selectorIxjN6thrust23THRUST_200600_302600_NS4plusIjEEEEZZNS1_33reduce_by_key_impl_wrapped_configILNS1_25lookback_scan_determinismE0ES3_S9_NS6_6detail15normal_iteratorINS6_10device_ptrIxEEEENSD_INSE_IjEEEESG_SI_PmS8_NS6_8equal_toIxEEEE10hipError_tPvRmT2_T3_mT4_T5_T6_T7_T8_P12ihipStream_tbENKUlT_T0_E_clISt17integral_constantIbLb0EES13_EEDaSY_SZ_EUlSY_E_NS1_11comp_targetILNS1_3genE9ELNS1_11target_archE1100ELNS1_3gpuE3ELNS1_3repE0EEENS1_30default_config_static_selectorELNS0_4arch9wavefront6targetE1EEEvT1_,comdat
.Lfunc_end776:
	.size	_ZN7rocprim17ROCPRIM_400000_NS6detail17trampoline_kernelINS0_14default_configENS1_29reduce_by_key_config_selectorIxjN6thrust23THRUST_200600_302600_NS4plusIjEEEEZZNS1_33reduce_by_key_impl_wrapped_configILNS1_25lookback_scan_determinismE0ES3_S9_NS6_6detail15normal_iteratorINS6_10device_ptrIxEEEENSD_INSE_IjEEEESG_SI_PmS8_NS6_8equal_toIxEEEE10hipError_tPvRmT2_T3_mT4_T5_T6_T7_T8_P12ihipStream_tbENKUlT_T0_E_clISt17integral_constantIbLb0EES13_EEDaSY_SZ_EUlSY_E_NS1_11comp_targetILNS1_3genE9ELNS1_11target_archE1100ELNS1_3gpuE3ELNS1_3repE0EEENS1_30default_config_static_selectorELNS0_4arch9wavefront6targetE1EEEvT1_, .Lfunc_end776-_ZN7rocprim17ROCPRIM_400000_NS6detail17trampoline_kernelINS0_14default_configENS1_29reduce_by_key_config_selectorIxjN6thrust23THRUST_200600_302600_NS4plusIjEEEEZZNS1_33reduce_by_key_impl_wrapped_configILNS1_25lookback_scan_determinismE0ES3_S9_NS6_6detail15normal_iteratorINS6_10device_ptrIxEEEENSD_INSE_IjEEEESG_SI_PmS8_NS6_8equal_toIxEEEE10hipError_tPvRmT2_T3_mT4_T5_T6_T7_T8_P12ihipStream_tbENKUlT_T0_E_clISt17integral_constantIbLb0EES13_EEDaSY_SZ_EUlSY_E_NS1_11comp_targetILNS1_3genE9ELNS1_11target_archE1100ELNS1_3gpuE3ELNS1_3repE0EEENS1_30default_config_static_selectorELNS0_4arch9wavefront6targetE1EEEvT1_
                                        ; -- End function
	.section	.AMDGPU.csdata,"",@progbits
; Kernel info:
; codeLenInByte = 0
; NumSgprs: 4
; NumVgprs: 0
; NumAgprs: 0
; TotalNumVgprs: 0
; ScratchSize: 0
; MemoryBound: 0
; FloatMode: 240
; IeeeMode: 1
; LDSByteSize: 0 bytes/workgroup (compile time only)
; SGPRBlocks: 0
; VGPRBlocks: 0
; NumSGPRsForWavesPerEU: 4
; NumVGPRsForWavesPerEU: 1
; AccumOffset: 4
; Occupancy: 8
; WaveLimiterHint : 0
; COMPUTE_PGM_RSRC2:SCRATCH_EN: 0
; COMPUTE_PGM_RSRC2:USER_SGPR: 6
; COMPUTE_PGM_RSRC2:TRAP_HANDLER: 0
; COMPUTE_PGM_RSRC2:TGID_X_EN: 1
; COMPUTE_PGM_RSRC2:TGID_Y_EN: 0
; COMPUTE_PGM_RSRC2:TGID_Z_EN: 0
; COMPUTE_PGM_RSRC2:TIDIG_COMP_CNT: 0
; COMPUTE_PGM_RSRC3_GFX90A:ACCUM_OFFSET: 0
; COMPUTE_PGM_RSRC3_GFX90A:TG_SPLIT: 0
	.section	.text._ZN7rocprim17ROCPRIM_400000_NS6detail17trampoline_kernelINS0_14default_configENS1_29reduce_by_key_config_selectorIxjN6thrust23THRUST_200600_302600_NS4plusIjEEEEZZNS1_33reduce_by_key_impl_wrapped_configILNS1_25lookback_scan_determinismE0ES3_S9_NS6_6detail15normal_iteratorINS6_10device_ptrIxEEEENSD_INSE_IjEEEESG_SI_PmS8_NS6_8equal_toIxEEEE10hipError_tPvRmT2_T3_mT4_T5_T6_T7_T8_P12ihipStream_tbENKUlT_T0_E_clISt17integral_constantIbLb0EES13_EEDaSY_SZ_EUlSY_E_NS1_11comp_targetILNS1_3genE8ELNS1_11target_archE1030ELNS1_3gpuE2ELNS1_3repE0EEENS1_30default_config_static_selectorELNS0_4arch9wavefront6targetE1EEEvT1_,"axG",@progbits,_ZN7rocprim17ROCPRIM_400000_NS6detail17trampoline_kernelINS0_14default_configENS1_29reduce_by_key_config_selectorIxjN6thrust23THRUST_200600_302600_NS4plusIjEEEEZZNS1_33reduce_by_key_impl_wrapped_configILNS1_25lookback_scan_determinismE0ES3_S9_NS6_6detail15normal_iteratorINS6_10device_ptrIxEEEENSD_INSE_IjEEEESG_SI_PmS8_NS6_8equal_toIxEEEE10hipError_tPvRmT2_T3_mT4_T5_T6_T7_T8_P12ihipStream_tbENKUlT_T0_E_clISt17integral_constantIbLb0EES13_EEDaSY_SZ_EUlSY_E_NS1_11comp_targetILNS1_3genE8ELNS1_11target_archE1030ELNS1_3gpuE2ELNS1_3repE0EEENS1_30default_config_static_selectorELNS0_4arch9wavefront6targetE1EEEvT1_,comdat
	.protected	_ZN7rocprim17ROCPRIM_400000_NS6detail17trampoline_kernelINS0_14default_configENS1_29reduce_by_key_config_selectorIxjN6thrust23THRUST_200600_302600_NS4plusIjEEEEZZNS1_33reduce_by_key_impl_wrapped_configILNS1_25lookback_scan_determinismE0ES3_S9_NS6_6detail15normal_iteratorINS6_10device_ptrIxEEEENSD_INSE_IjEEEESG_SI_PmS8_NS6_8equal_toIxEEEE10hipError_tPvRmT2_T3_mT4_T5_T6_T7_T8_P12ihipStream_tbENKUlT_T0_E_clISt17integral_constantIbLb0EES13_EEDaSY_SZ_EUlSY_E_NS1_11comp_targetILNS1_3genE8ELNS1_11target_archE1030ELNS1_3gpuE2ELNS1_3repE0EEENS1_30default_config_static_selectorELNS0_4arch9wavefront6targetE1EEEvT1_ ; -- Begin function _ZN7rocprim17ROCPRIM_400000_NS6detail17trampoline_kernelINS0_14default_configENS1_29reduce_by_key_config_selectorIxjN6thrust23THRUST_200600_302600_NS4plusIjEEEEZZNS1_33reduce_by_key_impl_wrapped_configILNS1_25lookback_scan_determinismE0ES3_S9_NS6_6detail15normal_iteratorINS6_10device_ptrIxEEEENSD_INSE_IjEEEESG_SI_PmS8_NS6_8equal_toIxEEEE10hipError_tPvRmT2_T3_mT4_T5_T6_T7_T8_P12ihipStream_tbENKUlT_T0_E_clISt17integral_constantIbLb0EES13_EEDaSY_SZ_EUlSY_E_NS1_11comp_targetILNS1_3genE8ELNS1_11target_archE1030ELNS1_3gpuE2ELNS1_3repE0EEENS1_30default_config_static_selectorELNS0_4arch9wavefront6targetE1EEEvT1_
	.globl	_ZN7rocprim17ROCPRIM_400000_NS6detail17trampoline_kernelINS0_14default_configENS1_29reduce_by_key_config_selectorIxjN6thrust23THRUST_200600_302600_NS4plusIjEEEEZZNS1_33reduce_by_key_impl_wrapped_configILNS1_25lookback_scan_determinismE0ES3_S9_NS6_6detail15normal_iteratorINS6_10device_ptrIxEEEENSD_INSE_IjEEEESG_SI_PmS8_NS6_8equal_toIxEEEE10hipError_tPvRmT2_T3_mT4_T5_T6_T7_T8_P12ihipStream_tbENKUlT_T0_E_clISt17integral_constantIbLb0EES13_EEDaSY_SZ_EUlSY_E_NS1_11comp_targetILNS1_3genE8ELNS1_11target_archE1030ELNS1_3gpuE2ELNS1_3repE0EEENS1_30default_config_static_selectorELNS0_4arch9wavefront6targetE1EEEvT1_
	.p2align	8
	.type	_ZN7rocprim17ROCPRIM_400000_NS6detail17trampoline_kernelINS0_14default_configENS1_29reduce_by_key_config_selectorIxjN6thrust23THRUST_200600_302600_NS4plusIjEEEEZZNS1_33reduce_by_key_impl_wrapped_configILNS1_25lookback_scan_determinismE0ES3_S9_NS6_6detail15normal_iteratorINS6_10device_ptrIxEEEENSD_INSE_IjEEEESG_SI_PmS8_NS6_8equal_toIxEEEE10hipError_tPvRmT2_T3_mT4_T5_T6_T7_T8_P12ihipStream_tbENKUlT_T0_E_clISt17integral_constantIbLb0EES13_EEDaSY_SZ_EUlSY_E_NS1_11comp_targetILNS1_3genE8ELNS1_11target_archE1030ELNS1_3gpuE2ELNS1_3repE0EEENS1_30default_config_static_selectorELNS0_4arch9wavefront6targetE1EEEvT1_,@function
_ZN7rocprim17ROCPRIM_400000_NS6detail17trampoline_kernelINS0_14default_configENS1_29reduce_by_key_config_selectorIxjN6thrust23THRUST_200600_302600_NS4plusIjEEEEZZNS1_33reduce_by_key_impl_wrapped_configILNS1_25lookback_scan_determinismE0ES3_S9_NS6_6detail15normal_iteratorINS6_10device_ptrIxEEEENSD_INSE_IjEEEESG_SI_PmS8_NS6_8equal_toIxEEEE10hipError_tPvRmT2_T3_mT4_T5_T6_T7_T8_P12ihipStream_tbENKUlT_T0_E_clISt17integral_constantIbLb0EES13_EEDaSY_SZ_EUlSY_E_NS1_11comp_targetILNS1_3genE8ELNS1_11target_archE1030ELNS1_3gpuE2ELNS1_3repE0EEENS1_30default_config_static_selectorELNS0_4arch9wavefront6targetE1EEEvT1_: ; @_ZN7rocprim17ROCPRIM_400000_NS6detail17trampoline_kernelINS0_14default_configENS1_29reduce_by_key_config_selectorIxjN6thrust23THRUST_200600_302600_NS4plusIjEEEEZZNS1_33reduce_by_key_impl_wrapped_configILNS1_25lookback_scan_determinismE0ES3_S9_NS6_6detail15normal_iteratorINS6_10device_ptrIxEEEENSD_INSE_IjEEEESG_SI_PmS8_NS6_8equal_toIxEEEE10hipError_tPvRmT2_T3_mT4_T5_T6_T7_T8_P12ihipStream_tbENKUlT_T0_E_clISt17integral_constantIbLb0EES13_EEDaSY_SZ_EUlSY_E_NS1_11comp_targetILNS1_3genE8ELNS1_11target_archE1030ELNS1_3gpuE2ELNS1_3repE0EEENS1_30default_config_static_selectorELNS0_4arch9wavefront6targetE1EEEvT1_
; %bb.0:
	.section	.rodata,"a",@progbits
	.p2align	6, 0x0
	.amdhsa_kernel _ZN7rocprim17ROCPRIM_400000_NS6detail17trampoline_kernelINS0_14default_configENS1_29reduce_by_key_config_selectorIxjN6thrust23THRUST_200600_302600_NS4plusIjEEEEZZNS1_33reduce_by_key_impl_wrapped_configILNS1_25lookback_scan_determinismE0ES3_S9_NS6_6detail15normal_iteratorINS6_10device_ptrIxEEEENSD_INSE_IjEEEESG_SI_PmS8_NS6_8equal_toIxEEEE10hipError_tPvRmT2_T3_mT4_T5_T6_T7_T8_P12ihipStream_tbENKUlT_T0_E_clISt17integral_constantIbLb0EES13_EEDaSY_SZ_EUlSY_E_NS1_11comp_targetILNS1_3genE8ELNS1_11target_archE1030ELNS1_3gpuE2ELNS1_3repE0EEENS1_30default_config_static_selectorELNS0_4arch9wavefront6targetE1EEEvT1_
		.amdhsa_group_segment_fixed_size 0
		.amdhsa_private_segment_fixed_size 0
		.amdhsa_kernarg_size 120
		.amdhsa_user_sgpr_count 6
		.amdhsa_user_sgpr_private_segment_buffer 1
		.amdhsa_user_sgpr_dispatch_ptr 0
		.amdhsa_user_sgpr_queue_ptr 0
		.amdhsa_user_sgpr_kernarg_segment_ptr 1
		.amdhsa_user_sgpr_dispatch_id 0
		.amdhsa_user_sgpr_flat_scratch_init 0
		.amdhsa_user_sgpr_kernarg_preload_length 0
		.amdhsa_user_sgpr_kernarg_preload_offset 0
		.amdhsa_user_sgpr_private_segment_size 0
		.amdhsa_uses_dynamic_stack 0
		.amdhsa_system_sgpr_private_segment_wavefront_offset 0
		.amdhsa_system_sgpr_workgroup_id_x 1
		.amdhsa_system_sgpr_workgroup_id_y 0
		.amdhsa_system_sgpr_workgroup_id_z 0
		.amdhsa_system_sgpr_workgroup_info 0
		.amdhsa_system_vgpr_workitem_id 0
		.amdhsa_next_free_vgpr 1
		.amdhsa_next_free_sgpr 0
		.amdhsa_accum_offset 4
		.amdhsa_reserve_vcc 0
		.amdhsa_reserve_flat_scratch 0
		.amdhsa_float_round_mode_32 0
		.amdhsa_float_round_mode_16_64 0
		.amdhsa_float_denorm_mode_32 3
		.amdhsa_float_denorm_mode_16_64 3
		.amdhsa_dx10_clamp 1
		.amdhsa_ieee_mode 1
		.amdhsa_fp16_overflow 0
		.amdhsa_tg_split 0
		.amdhsa_exception_fp_ieee_invalid_op 0
		.amdhsa_exception_fp_denorm_src 0
		.amdhsa_exception_fp_ieee_div_zero 0
		.amdhsa_exception_fp_ieee_overflow 0
		.amdhsa_exception_fp_ieee_underflow 0
		.amdhsa_exception_fp_ieee_inexact 0
		.amdhsa_exception_int_div_zero 0
	.end_amdhsa_kernel
	.section	.text._ZN7rocprim17ROCPRIM_400000_NS6detail17trampoline_kernelINS0_14default_configENS1_29reduce_by_key_config_selectorIxjN6thrust23THRUST_200600_302600_NS4plusIjEEEEZZNS1_33reduce_by_key_impl_wrapped_configILNS1_25lookback_scan_determinismE0ES3_S9_NS6_6detail15normal_iteratorINS6_10device_ptrIxEEEENSD_INSE_IjEEEESG_SI_PmS8_NS6_8equal_toIxEEEE10hipError_tPvRmT2_T3_mT4_T5_T6_T7_T8_P12ihipStream_tbENKUlT_T0_E_clISt17integral_constantIbLb0EES13_EEDaSY_SZ_EUlSY_E_NS1_11comp_targetILNS1_3genE8ELNS1_11target_archE1030ELNS1_3gpuE2ELNS1_3repE0EEENS1_30default_config_static_selectorELNS0_4arch9wavefront6targetE1EEEvT1_,"axG",@progbits,_ZN7rocprim17ROCPRIM_400000_NS6detail17trampoline_kernelINS0_14default_configENS1_29reduce_by_key_config_selectorIxjN6thrust23THRUST_200600_302600_NS4plusIjEEEEZZNS1_33reduce_by_key_impl_wrapped_configILNS1_25lookback_scan_determinismE0ES3_S9_NS6_6detail15normal_iteratorINS6_10device_ptrIxEEEENSD_INSE_IjEEEESG_SI_PmS8_NS6_8equal_toIxEEEE10hipError_tPvRmT2_T3_mT4_T5_T6_T7_T8_P12ihipStream_tbENKUlT_T0_E_clISt17integral_constantIbLb0EES13_EEDaSY_SZ_EUlSY_E_NS1_11comp_targetILNS1_3genE8ELNS1_11target_archE1030ELNS1_3gpuE2ELNS1_3repE0EEENS1_30default_config_static_selectorELNS0_4arch9wavefront6targetE1EEEvT1_,comdat
.Lfunc_end777:
	.size	_ZN7rocprim17ROCPRIM_400000_NS6detail17trampoline_kernelINS0_14default_configENS1_29reduce_by_key_config_selectorIxjN6thrust23THRUST_200600_302600_NS4plusIjEEEEZZNS1_33reduce_by_key_impl_wrapped_configILNS1_25lookback_scan_determinismE0ES3_S9_NS6_6detail15normal_iteratorINS6_10device_ptrIxEEEENSD_INSE_IjEEEESG_SI_PmS8_NS6_8equal_toIxEEEE10hipError_tPvRmT2_T3_mT4_T5_T6_T7_T8_P12ihipStream_tbENKUlT_T0_E_clISt17integral_constantIbLb0EES13_EEDaSY_SZ_EUlSY_E_NS1_11comp_targetILNS1_3genE8ELNS1_11target_archE1030ELNS1_3gpuE2ELNS1_3repE0EEENS1_30default_config_static_selectorELNS0_4arch9wavefront6targetE1EEEvT1_, .Lfunc_end777-_ZN7rocprim17ROCPRIM_400000_NS6detail17trampoline_kernelINS0_14default_configENS1_29reduce_by_key_config_selectorIxjN6thrust23THRUST_200600_302600_NS4plusIjEEEEZZNS1_33reduce_by_key_impl_wrapped_configILNS1_25lookback_scan_determinismE0ES3_S9_NS6_6detail15normal_iteratorINS6_10device_ptrIxEEEENSD_INSE_IjEEEESG_SI_PmS8_NS6_8equal_toIxEEEE10hipError_tPvRmT2_T3_mT4_T5_T6_T7_T8_P12ihipStream_tbENKUlT_T0_E_clISt17integral_constantIbLb0EES13_EEDaSY_SZ_EUlSY_E_NS1_11comp_targetILNS1_3genE8ELNS1_11target_archE1030ELNS1_3gpuE2ELNS1_3repE0EEENS1_30default_config_static_selectorELNS0_4arch9wavefront6targetE1EEEvT1_
                                        ; -- End function
	.section	.AMDGPU.csdata,"",@progbits
; Kernel info:
; codeLenInByte = 0
; NumSgprs: 4
; NumVgprs: 0
; NumAgprs: 0
; TotalNumVgprs: 0
; ScratchSize: 0
; MemoryBound: 0
; FloatMode: 240
; IeeeMode: 1
; LDSByteSize: 0 bytes/workgroup (compile time only)
; SGPRBlocks: 0
; VGPRBlocks: 0
; NumSGPRsForWavesPerEU: 4
; NumVGPRsForWavesPerEU: 1
; AccumOffset: 4
; Occupancy: 8
; WaveLimiterHint : 0
; COMPUTE_PGM_RSRC2:SCRATCH_EN: 0
; COMPUTE_PGM_RSRC2:USER_SGPR: 6
; COMPUTE_PGM_RSRC2:TRAP_HANDLER: 0
; COMPUTE_PGM_RSRC2:TGID_X_EN: 1
; COMPUTE_PGM_RSRC2:TGID_Y_EN: 0
; COMPUTE_PGM_RSRC2:TGID_Z_EN: 0
; COMPUTE_PGM_RSRC2:TIDIG_COMP_CNT: 0
; COMPUTE_PGM_RSRC3_GFX90A:ACCUM_OFFSET: 0
; COMPUTE_PGM_RSRC3_GFX90A:TG_SPLIT: 0
	.section	.text._ZN7rocprim17ROCPRIM_400000_NS6detail17trampoline_kernelINS0_14default_configENS1_29reduce_by_key_config_selectorIxjN6thrust23THRUST_200600_302600_NS4plusIjEEEEZZNS1_33reduce_by_key_impl_wrapped_configILNS1_25lookback_scan_determinismE0ES3_S9_NS6_6detail15normal_iteratorINS6_10device_ptrIxEEEENSD_INSE_IjEEEESG_SI_PmS8_NS6_8equal_toIxEEEE10hipError_tPvRmT2_T3_mT4_T5_T6_T7_T8_P12ihipStream_tbENKUlT_T0_E_clISt17integral_constantIbLb1EES13_EEDaSY_SZ_EUlSY_E_NS1_11comp_targetILNS1_3genE0ELNS1_11target_archE4294967295ELNS1_3gpuE0ELNS1_3repE0EEENS1_30default_config_static_selectorELNS0_4arch9wavefront6targetE1EEEvT1_,"axG",@progbits,_ZN7rocprim17ROCPRIM_400000_NS6detail17trampoline_kernelINS0_14default_configENS1_29reduce_by_key_config_selectorIxjN6thrust23THRUST_200600_302600_NS4plusIjEEEEZZNS1_33reduce_by_key_impl_wrapped_configILNS1_25lookback_scan_determinismE0ES3_S9_NS6_6detail15normal_iteratorINS6_10device_ptrIxEEEENSD_INSE_IjEEEESG_SI_PmS8_NS6_8equal_toIxEEEE10hipError_tPvRmT2_T3_mT4_T5_T6_T7_T8_P12ihipStream_tbENKUlT_T0_E_clISt17integral_constantIbLb1EES13_EEDaSY_SZ_EUlSY_E_NS1_11comp_targetILNS1_3genE0ELNS1_11target_archE4294967295ELNS1_3gpuE0ELNS1_3repE0EEENS1_30default_config_static_selectorELNS0_4arch9wavefront6targetE1EEEvT1_,comdat
	.protected	_ZN7rocprim17ROCPRIM_400000_NS6detail17trampoline_kernelINS0_14default_configENS1_29reduce_by_key_config_selectorIxjN6thrust23THRUST_200600_302600_NS4plusIjEEEEZZNS1_33reduce_by_key_impl_wrapped_configILNS1_25lookback_scan_determinismE0ES3_S9_NS6_6detail15normal_iteratorINS6_10device_ptrIxEEEENSD_INSE_IjEEEESG_SI_PmS8_NS6_8equal_toIxEEEE10hipError_tPvRmT2_T3_mT4_T5_T6_T7_T8_P12ihipStream_tbENKUlT_T0_E_clISt17integral_constantIbLb1EES13_EEDaSY_SZ_EUlSY_E_NS1_11comp_targetILNS1_3genE0ELNS1_11target_archE4294967295ELNS1_3gpuE0ELNS1_3repE0EEENS1_30default_config_static_selectorELNS0_4arch9wavefront6targetE1EEEvT1_ ; -- Begin function _ZN7rocprim17ROCPRIM_400000_NS6detail17trampoline_kernelINS0_14default_configENS1_29reduce_by_key_config_selectorIxjN6thrust23THRUST_200600_302600_NS4plusIjEEEEZZNS1_33reduce_by_key_impl_wrapped_configILNS1_25lookback_scan_determinismE0ES3_S9_NS6_6detail15normal_iteratorINS6_10device_ptrIxEEEENSD_INSE_IjEEEESG_SI_PmS8_NS6_8equal_toIxEEEE10hipError_tPvRmT2_T3_mT4_T5_T6_T7_T8_P12ihipStream_tbENKUlT_T0_E_clISt17integral_constantIbLb1EES13_EEDaSY_SZ_EUlSY_E_NS1_11comp_targetILNS1_3genE0ELNS1_11target_archE4294967295ELNS1_3gpuE0ELNS1_3repE0EEENS1_30default_config_static_selectorELNS0_4arch9wavefront6targetE1EEEvT1_
	.globl	_ZN7rocprim17ROCPRIM_400000_NS6detail17trampoline_kernelINS0_14default_configENS1_29reduce_by_key_config_selectorIxjN6thrust23THRUST_200600_302600_NS4plusIjEEEEZZNS1_33reduce_by_key_impl_wrapped_configILNS1_25lookback_scan_determinismE0ES3_S9_NS6_6detail15normal_iteratorINS6_10device_ptrIxEEEENSD_INSE_IjEEEESG_SI_PmS8_NS6_8equal_toIxEEEE10hipError_tPvRmT2_T3_mT4_T5_T6_T7_T8_P12ihipStream_tbENKUlT_T0_E_clISt17integral_constantIbLb1EES13_EEDaSY_SZ_EUlSY_E_NS1_11comp_targetILNS1_3genE0ELNS1_11target_archE4294967295ELNS1_3gpuE0ELNS1_3repE0EEENS1_30default_config_static_selectorELNS0_4arch9wavefront6targetE1EEEvT1_
	.p2align	8
	.type	_ZN7rocprim17ROCPRIM_400000_NS6detail17trampoline_kernelINS0_14default_configENS1_29reduce_by_key_config_selectorIxjN6thrust23THRUST_200600_302600_NS4plusIjEEEEZZNS1_33reduce_by_key_impl_wrapped_configILNS1_25lookback_scan_determinismE0ES3_S9_NS6_6detail15normal_iteratorINS6_10device_ptrIxEEEENSD_INSE_IjEEEESG_SI_PmS8_NS6_8equal_toIxEEEE10hipError_tPvRmT2_T3_mT4_T5_T6_T7_T8_P12ihipStream_tbENKUlT_T0_E_clISt17integral_constantIbLb1EES13_EEDaSY_SZ_EUlSY_E_NS1_11comp_targetILNS1_3genE0ELNS1_11target_archE4294967295ELNS1_3gpuE0ELNS1_3repE0EEENS1_30default_config_static_selectorELNS0_4arch9wavefront6targetE1EEEvT1_,@function
_ZN7rocprim17ROCPRIM_400000_NS6detail17trampoline_kernelINS0_14default_configENS1_29reduce_by_key_config_selectorIxjN6thrust23THRUST_200600_302600_NS4plusIjEEEEZZNS1_33reduce_by_key_impl_wrapped_configILNS1_25lookback_scan_determinismE0ES3_S9_NS6_6detail15normal_iteratorINS6_10device_ptrIxEEEENSD_INSE_IjEEEESG_SI_PmS8_NS6_8equal_toIxEEEE10hipError_tPvRmT2_T3_mT4_T5_T6_T7_T8_P12ihipStream_tbENKUlT_T0_E_clISt17integral_constantIbLb1EES13_EEDaSY_SZ_EUlSY_E_NS1_11comp_targetILNS1_3genE0ELNS1_11target_archE4294967295ELNS1_3gpuE0ELNS1_3repE0EEENS1_30default_config_static_selectorELNS0_4arch9wavefront6targetE1EEEvT1_: ; @_ZN7rocprim17ROCPRIM_400000_NS6detail17trampoline_kernelINS0_14default_configENS1_29reduce_by_key_config_selectorIxjN6thrust23THRUST_200600_302600_NS4plusIjEEEEZZNS1_33reduce_by_key_impl_wrapped_configILNS1_25lookback_scan_determinismE0ES3_S9_NS6_6detail15normal_iteratorINS6_10device_ptrIxEEEENSD_INSE_IjEEEESG_SI_PmS8_NS6_8equal_toIxEEEE10hipError_tPvRmT2_T3_mT4_T5_T6_T7_T8_P12ihipStream_tbENKUlT_T0_E_clISt17integral_constantIbLb1EES13_EEDaSY_SZ_EUlSY_E_NS1_11comp_targetILNS1_3genE0ELNS1_11target_archE4294967295ELNS1_3gpuE0ELNS1_3repE0EEENS1_30default_config_static_selectorELNS0_4arch9wavefront6targetE1EEEvT1_
; %bb.0:
	.section	.rodata,"a",@progbits
	.p2align	6, 0x0
	.amdhsa_kernel _ZN7rocprim17ROCPRIM_400000_NS6detail17trampoline_kernelINS0_14default_configENS1_29reduce_by_key_config_selectorIxjN6thrust23THRUST_200600_302600_NS4plusIjEEEEZZNS1_33reduce_by_key_impl_wrapped_configILNS1_25lookback_scan_determinismE0ES3_S9_NS6_6detail15normal_iteratorINS6_10device_ptrIxEEEENSD_INSE_IjEEEESG_SI_PmS8_NS6_8equal_toIxEEEE10hipError_tPvRmT2_T3_mT4_T5_T6_T7_T8_P12ihipStream_tbENKUlT_T0_E_clISt17integral_constantIbLb1EES13_EEDaSY_SZ_EUlSY_E_NS1_11comp_targetILNS1_3genE0ELNS1_11target_archE4294967295ELNS1_3gpuE0ELNS1_3repE0EEENS1_30default_config_static_selectorELNS0_4arch9wavefront6targetE1EEEvT1_
		.amdhsa_group_segment_fixed_size 0
		.amdhsa_private_segment_fixed_size 0
		.amdhsa_kernarg_size 120
		.amdhsa_user_sgpr_count 6
		.amdhsa_user_sgpr_private_segment_buffer 1
		.amdhsa_user_sgpr_dispatch_ptr 0
		.amdhsa_user_sgpr_queue_ptr 0
		.amdhsa_user_sgpr_kernarg_segment_ptr 1
		.amdhsa_user_sgpr_dispatch_id 0
		.amdhsa_user_sgpr_flat_scratch_init 0
		.amdhsa_user_sgpr_kernarg_preload_length 0
		.amdhsa_user_sgpr_kernarg_preload_offset 0
		.amdhsa_user_sgpr_private_segment_size 0
		.amdhsa_uses_dynamic_stack 0
		.amdhsa_system_sgpr_private_segment_wavefront_offset 0
		.amdhsa_system_sgpr_workgroup_id_x 1
		.amdhsa_system_sgpr_workgroup_id_y 0
		.amdhsa_system_sgpr_workgroup_id_z 0
		.amdhsa_system_sgpr_workgroup_info 0
		.amdhsa_system_vgpr_workitem_id 0
		.amdhsa_next_free_vgpr 1
		.amdhsa_next_free_sgpr 0
		.amdhsa_accum_offset 4
		.amdhsa_reserve_vcc 0
		.amdhsa_reserve_flat_scratch 0
		.amdhsa_float_round_mode_32 0
		.amdhsa_float_round_mode_16_64 0
		.amdhsa_float_denorm_mode_32 3
		.amdhsa_float_denorm_mode_16_64 3
		.amdhsa_dx10_clamp 1
		.amdhsa_ieee_mode 1
		.amdhsa_fp16_overflow 0
		.amdhsa_tg_split 0
		.amdhsa_exception_fp_ieee_invalid_op 0
		.amdhsa_exception_fp_denorm_src 0
		.amdhsa_exception_fp_ieee_div_zero 0
		.amdhsa_exception_fp_ieee_overflow 0
		.amdhsa_exception_fp_ieee_underflow 0
		.amdhsa_exception_fp_ieee_inexact 0
		.amdhsa_exception_int_div_zero 0
	.end_amdhsa_kernel
	.section	.text._ZN7rocprim17ROCPRIM_400000_NS6detail17trampoline_kernelINS0_14default_configENS1_29reduce_by_key_config_selectorIxjN6thrust23THRUST_200600_302600_NS4plusIjEEEEZZNS1_33reduce_by_key_impl_wrapped_configILNS1_25lookback_scan_determinismE0ES3_S9_NS6_6detail15normal_iteratorINS6_10device_ptrIxEEEENSD_INSE_IjEEEESG_SI_PmS8_NS6_8equal_toIxEEEE10hipError_tPvRmT2_T3_mT4_T5_T6_T7_T8_P12ihipStream_tbENKUlT_T0_E_clISt17integral_constantIbLb1EES13_EEDaSY_SZ_EUlSY_E_NS1_11comp_targetILNS1_3genE0ELNS1_11target_archE4294967295ELNS1_3gpuE0ELNS1_3repE0EEENS1_30default_config_static_selectorELNS0_4arch9wavefront6targetE1EEEvT1_,"axG",@progbits,_ZN7rocprim17ROCPRIM_400000_NS6detail17trampoline_kernelINS0_14default_configENS1_29reduce_by_key_config_selectorIxjN6thrust23THRUST_200600_302600_NS4plusIjEEEEZZNS1_33reduce_by_key_impl_wrapped_configILNS1_25lookback_scan_determinismE0ES3_S9_NS6_6detail15normal_iteratorINS6_10device_ptrIxEEEENSD_INSE_IjEEEESG_SI_PmS8_NS6_8equal_toIxEEEE10hipError_tPvRmT2_T3_mT4_T5_T6_T7_T8_P12ihipStream_tbENKUlT_T0_E_clISt17integral_constantIbLb1EES13_EEDaSY_SZ_EUlSY_E_NS1_11comp_targetILNS1_3genE0ELNS1_11target_archE4294967295ELNS1_3gpuE0ELNS1_3repE0EEENS1_30default_config_static_selectorELNS0_4arch9wavefront6targetE1EEEvT1_,comdat
.Lfunc_end778:
	.size	_ZN7rocprim17ROCPRIM_400000_NS6detail17trampoline_kernelINS0_14default_configENS1_29reduce_by_key_config_selectorIxjN6thrust23THRUST_200600_302600_NS4plusIjEEEEZZNS1_33reduce_by_key_impl_wrapped_configILNS1_25lookback_scan_determinismE0ES3_S9_NS6_6detail15normal_iteratorINS6_10device_ptrIxEEEENSD_INSE_IjEEEESG_SI_PmS8_NS6_8equal_toIxEEEE10hipError_tPvRmT2_T3_mT4_T5_T6_T7_T8_P12ihipStream_tbENKUlT_T0_E_clISt17integral_constantIbLb1EES13_EEDaSY_SZ_EUlSY_E_NS1_11comp_targetILNS1_3genE0ELNS1_11target_archE4294967295ELNS1_3gpuE0ELNS1_3repE0EEENS1_30default_config_static_selectorELNS0_4arch9wavefront6targetE1EEEvT1_, .Lfunc_end778-_ZN7rocprim17ROCPRIM_400000_NS6detail17trampoline_kernelINS0_14default_configENS1_29reduce_by_key_config_selectorIxjN6thrust23THRUST_200600_302600_NS4plusIjEEEEZZNS1_33reduce_by_key_impl_wrapped_configILNS1_25lookback_scan_determinismE0ES3_S9_NS6_6detail15normal_iteratorINS6_10device_ptrIxEEEENSD_INSE_IjEEEESG_SI_PmS8_NS6_8equal_toIxEEEE10hipError_tPvRmT2_T3_mT4_T5_T6_T7_T8_P12ihipStream_tbENKUlT_T0_E_clISt17integral_constantIbLb1EES13_EEDaSY_SZ_EUlSY_E_NS1_11comp_targetILNS1_3genE0ELNS1_11target_archE4294967295ELNS1_3gpuE0ELNS1_3repE0EEENS1_30default_config_static_selectorELNS0_4arch9wavefront6targetE1EEEvT1_
                                        ; -- End function
	.section	.AMDGPU.csdata,"",@progbits
; Kernel info:
; codeLenInByte = 0
; NumSgprs: 4
; NumVgprs: 0
; NumAgprs: 0
; TotalNumVgprs: 0
; ScratchSize: 0
; MemoryBound: 0
; FloatMode: 240
; IeeeMode: 1
; LDSByteSize: 0 bytes/workgroup (compile time only)
; SGPRBlocks: 0
; VGPRBlocks: 0
; NumSGPRsForWavesPerEU: 4
; NumVGPRsForWavesPerEU: 1
; AccumOffset: 4
; Occupancy: 8
; WaveLimiterHint : 0
; COMPUTE_PGM_RSRC2:SCRATCH_EN: 0
; COMPUTE_PGM_RSRC2:USER_SGPR: 6
; COMPUTE_PGM_RSRC2:TRAP_HANDLER: 0
; COMPUTE_PGM_RSRC2:TGID_X_EN: 1
; COMPUTE_PGM_RSRC2:TGID_Y_EN: 0
; COMPUTE_PGM_RSRC2:TGID_Z_EN: 0
; COMPUTE_PGM_RSRC2:TIDIG_COMP_CNT: 0
; COMPUTE_PGM_RSRC3_GFX90A:ACCUM_OFFSET: 0
; COMPUTE_PGM_RSRC3_GFX90A:TG_SPLIT: 0
	.section	.text._ZN7rocprim17ROCPRIM_400000_NS6detail17trampoline_kernelINS0_14default_configENS1_29reduce_by_key_config_selectorIxjN6thrust23THRUST_200600_302600_NS4plusIjEEEEZZNS1_33reduce_by_key_impl_wrapped_configILNS1_25lookback_scan_determinismE0ES3_S9_NS6_6detail15normal_iteratorINS6_10device_ptrIxEEEENSD_INSE_IjEEEESG_SI_PmS8_NS6_8equal_toIxEEEE10hipError_tPvRmT2_T3_mT4_T5_T6_T7_T8_P12ihipStream_tbENKUlT_T0_E_clISt17integral_constantIbLb1EES13_EEDaSY_SZ_EUlSY_E_NS1_11comp_targetILNS1_3genE5ELNS1_11target_archE942ELNS1_3gpuE9ELNS1_3repE0EEENS1_30default_config_static_selectorELNS0_4arch9wavefront6targetE1EEEvT1_,"axG",@progbits,_ZN7rocprim17ROCPRIM_400000_NS6detail17trampoline_kernelINS0_14default_configENS1_29reduce_by_key_config_selectorIxjN6thrust23THRUST_200600_302600_NS4plusIjEEEEZZNS1_33reduce_by_key_impl_wrapped_configILNS1_25lookback_scan_determinismE0ES3_S9_NS6_6detail15normal_iteratorINS6_10device_ptrIxEEEENSD_INSE_IjEEEESG_SI_PmS8_NS6_8equal_toIxEEEE10hipError_tPvRmT2_T3_mT4_T5_T6_T7_T8_P12ihipStream_tbENKUlT_T0_E_clISt17integral_constantIbLb1EES13_EEDaSY_SZ_EUlSY_E_NS1_11comp_targetILNS1_3genE5ELNS1_11target_archE942ELNS1_3gpuE9ELNS1_3repE0EEENS1_30default_config_static_selectorELNS0_4arch9wavefront6targetE1EEEvT1_,comdat
	.protected	_ZN7rocprim17ROCPRIM_400000_NS6detail17trampoline_kernelINS0_14default_configENS1_29reduce_by_key_config_selectorIxjN6thrust23THRUST_200600_302600_NS4plusIjEEEEZZNS1_33reduce_by_key_impl_wrapped_configILNS1_25lookback_scan_determinismE0ES3_S9_NS6_6detail15normal_iteratorINS6_10device_ptrIxEEEENSD_INSE_IjEEEESG_SI_PmS8_NS6_8equal_toIxEEEE10hipError_tPvRmT2_T3_mT4_T5_T6_T7_T8_P12ihipStream_tbENKUlT_T0_E_clISt17integral_constantIbLb1EES13_EEDaSY_SZ_EUlSY_E_NS1_11comp_targetILNS1_3genE5ELNS1_11target_archE942ELNS1_3gpuE9ELNS1_3repE0EEENS1_30default_config_static_selectorELNS0_4arch9wavefront6targetE1EEEvT1_ ; -- Begin function _ZN7rocprim17ROCPRIM_400000_NS6detail17trampoline_kernelINS0_14default_configENS1_29reduce_by_key_config_selectorIxjN6thrust23THRUST_200600_302600_NS4plusIjEEEEZZNS1_33reduce_by_key_impl_wrapped_configILNS1_25lookback_scan_determinismE0ES3_S9_NS6_6detail15normal_iteratorINS6_10device_ptrIxEEEENSD_INSE_IjEEEESG_SI_PmS8_NS6_8equal_toIxEEEE10hipError_tPvRmT2_T3_mT4_T5_T6_T7_T8_P12ihipStream_tbENKUlT_T0_E_clISt17integral_constantIbLb1EES13_EEDaSY_SZ_EUlSY_E_NS1_11comp_targetILNS1_3genE5ELNS1_11target_archE942ELNS1_3gpuE9ELNS1_3repE0EEENS1_30default_config_static_selectorELNS0_4arch9wavefront6targetE1EEEvT1_
	.globl	_ZN7rocprim17ROCPRIM_400000_NS6detail17trampoline_kernelINS0_14default_configENS1_29reduce_by_key_config_selectorIxjN6thrust23THRUST_200600_302600_NS4plusIjEEEEZZNS1_33reduce_by_key_impl_wrapped_configILNS1_25lookback_scan_determinismE0ES3_S9_NS6_6detail15normal_iteratorINS6_10device_ptrIxEEEENSD_INSE_IjEEEESG_SI_PmS8_NS6_8equal_toIxEEEE10hipError_tPvRmT2_T3_mT4_T5_T6_T7_T8_P12ihipStream_tbENKUlT_T0_E_clISt17integral_constantIbLb1EES13_EEDaSY_SZ_EUlSY_E_NS1_11comp_targetILNS1_3genE5ELNS1_11target_archE942ELNS1_3gpuE9ELNS1_3repE0EEENS1_30default_config_static_selectorELNS0_4arch9wavefront6targetE1EEEvT1_
	.p2align	8
	.type	_ZN7rocprim17ROCPRIM_400000_NS6detail17trampoline_kernelINS0_14default_configENS1_29reduce_by_key_config_selectorIxjN6thrust23THRUST_200600_302600_NS4plusIjEEEEZZNS1_33reduce_by_key_impl_wrapped_configILNS1_25lookback_scan_determinismE0ES3_S9_NS6_6detail15normal_iteratorINS6_10device_ptrIxEEEENSD_INSE_IjEEEESG_SI_PmS8_NS6_8equal_toIxEEEE10hipError_tPvRmT2_T3_mT4_T5_T6_T7_T8_P12ihipStream_tbENKUlT_T0_E_clISt17integral_constantIbLb1EES13_EEDaSY_SZ_EUlSY_E_NS1_11comp_targetILNS1_3genE5ELNS1_11target_archE942ELNS1_3gpuE9ELNS1_3repE0EEENS1_30default_config_static_selectorELNS0_4arch9wavefront6targetE1EEEvT1_,@function
_ZN7rocprim17ROCPRIM_400000_NS6detail17trampoline_kernelINS0_14default_configENS1_29reduce_by_key_config_selectorIxjN6thrust23THRUST_200600_302600_NS4plusIjEEEEZZNS1_33reduce_by_key_impl_wrapped_configILNS1_25lookback_scan_determinismE0ES3_S9_NS6_6detail15normal_iteratorINS6_10device_ptrIxEEEENSD_INSE_IjEEEESG_SI_PmS8_NS6_8equal_toIxEEEE10hipError_tPvRmT2_T3_mT4_T5_T6_T7_T8_P12ihipStream_tbENKUlT_T0_E_clISt17integral_constantIbLb1EES13_EEDaSY_SZ_EUlSY_E_NS1_11comp_targetILNS1_3genE5ELNS1_11target_archE942ELNS1_3gpuE9ELNS1_3repE0EEENS1_30default_config_static_selectorELNS0_4arch9wavefront6targetE1EEEvT1_: ; @_ZN7rocprim17ROCPRIM_400000_NS6detail17trampoline_kernelINS0_14default_configENS1_29reduce_by_key_config_selectorIxjN6thrust23THRUST_200600_302600_NS4plusIjEEEEZZNS1_33reduce_by_key_impl_wrapped_configILNS1_25lookback_scan_determinismE0ES3_S9_NS6_6detail15normal_iteratorINS6_10device_ptrIxEEEENSD_INSE_IjEEEESG_SI_PmS8_NS6_8equal_toIxEEEE10hipError_tPvRmT2_T3_mT4_T5_T6_T7_T8_P12ihipStream_tbENKUlT_T0_E_clISt17integral_constantIbLb1EES13_EEDaSY_SZ_EUlSY_E_NS1_11comp_targetILNS1_3genE5ELNS1_11target_archE942ELNS1_3gpuE9ELNS1_3repE0EEENS1_30default_config_static_selectorELNS0_4arch9wavefront6targetE1EEEvT1_
; %bb.0:
	.section	.rodata,"a",@progbits
	.p2align	6, 0x0
	.amdhsa_kernel _ZN7rocprim17ROCPRIM_400000_NS6detail17trampoline_kernelINS0_14default_configENS1_29reduce_by_key_config_selectorIxjN6thrust23THRUST_200600_302600_NS4plusIjEEEEZZNS1_33reduce_by_key_impl_wrapped_configILNS1_25lookback_scan_determinismE0ES3_S9_NS6_6detail15normal_iteratorINS6_10device_ptrIxEEEENSD_INSE_IjEEEESG_SI_PmS8_NS6_8equal_toIxEEEE10hipError_tPvRmT2_T3_mT4_T5_T6_T7_T8_P12ihipStream_tbENKUlT_T0_E_clISt17integral_constantIbLb1EES13_EEDaSY_SZ_EUlSY_E_NS1_11comp_targetILNS1_3genE5ELNS1_11target_archE942ELNS1_3gpuE9ELNS1_3repE0EEENS1_30default_config_static_selectorELNS0_4arch9wavefront6targetE1EEEvT1_
		.amdhsa_group_segment_fixed_size 0
		.amdhsa_private_segment_fixed_size 0
		.amdhsa_kernarg_size 120
		.amdhsa_user_sgpr_count 6
		.amdhsa_user_sgpr_private_segment_buffer 1
		.amdhsa_user_sgpr_dispatch_ptr 0
		.amdhsa_user_sgpr_queue_ptr 0
		.amdhsa_user_sgpr_kernarg_segment_ptr 1
		.amdhsa_user_sgpr_dispatch_id 0
		.amdhsa_user_sgpr_flat_scratch_init 0
		.amdhsa_user_sgpr_kernarg_preload_length 0
		.amdhsa_user_sgpr_kernarg_preload_offset 0
		.amdhsa_user_sgpr_private_segment_size 0
		.amdhsa_uses_dynamic_stack 0
		.amdhsa_system_sgpr_private_segment_wavefront_offset 0
		.amdhsa_system_sgpr_workgroup_id_x 1
		.amdhsa_system_sgpr_workgroup_id_y 0
		.amdhsa_system_sgpr_workgroup_id_z 0
		.amdhsa_system_sgpr_workgroup_info 0
		.amdhsa_system_vgpr_workitem_id 0
		.amdhsa_next_free_vgpr 1
		.amdhsa_next_free_sgpr 0
		.amdhsa_accum_offset 4
		.amdhsa_reserve_vcc 0
		.amdhsa_reserve_flat_scratch 0
		.amdhsa_float_round_mode_32 0
		.amdhsa_float_round_mode_16_64 0
		.amdhsa_float_denorm_mode_32 3
		.amdhsa_float_denorm_mode_16_64 3
		.amdhsa_dx10_clamp 1
		.amdhsa_ieee_mode 1
		.amdhsa_fp16_overflow 0
		.amdhsa_tg_split 0
		.amdhsa_exception_fp_ieee_invalid_op 0
		.amdhsa_exception_fp_denorm_src 0
		.amdhsa_exception_fp_ieee_div_zero 0
		.amdhsa_exception_fp_ieee_overflow 0
		.amdhsa_exception_fp_ieee_underflow 0
		.amdhsa_exception_fp_ieee_inexact 0
		.amdhsa_exception_int_div_zero 0
	.end_amdhsa_kernel
	.section	.text._ZN7rocprim17ROCPRIM_400000_NS6detail17trampoline_kernelINS0_14default_configENS1_29reduce_by_key_config_selectorIxjN6thrust23THRUST_200600_302600_NS4plusIjEEEEZZNS1_33reduce_by_key_impl_wrapped_configILNS1_25lookback_scan_determinismE0ES3_S9_NS6_6detail15normal_iteratorINS6_10device_ptrIxEEEENSD_INSE_IjEEEESG_SI_PmS8_NS6_8equal_toIxEEEE10hipError_tPvRmT2_T3_mT4_T5_T6_T7_T8_P12ihipStream_tbENKUlT_T0_E_clISt17integral_constantIbLb1EES13_EEDaSY_SZ_EUlSY_E_NS1_11comp_targetILNS1_3genE5ELNS1_11target_archE942ELNS1_3gpuE9ELNS1_3repE0EEENS1_30default_config_static_selectorELNS0_4arch9wavefront6targetE1EEEvT1_,"axG",@progbits,_ZN7rocprim17ROCPRIM_400000_NS6detail17trampoline_kernelINS0_14default_configENS1_29reduce_by_key_config_selectorIxjN6thrust23THRUST_200600_302600_NS4plusIjEEEEZZNS1_33reduce_by_key_impl_wrapped_configILNS1_25lookback_scan_determinismE0ES3_S9_NS6_6detail15normal_iteratorINS6_10device_ptrIxEEEENSD_INSE_IjEEEESG_SI_PmS8_NS6_8equal_toIxEEEE10hipError_tPvRmT2_T3_mT4_T5_T6_T7_T8_P12ihipStream_tbENKUlT_T0_E_clISt17integral_constantIbLb1EES13_EEDaSY_SZ_EUlSY_E_NS1_11comp_targetILNS1_3genE5ELNS1_11target_archE942ELNS1_3gpuE9ELNS1_3repE0EEENS1_30default_config_static_selectorELNS0_4arch9wavefront6targetE1EEEvT1_,comdat
.Lfunc_end779:
	.size	_ZN7rocprim17ROCPRIM_400000_NS6detail17trampoline_kernelINS0_14default_configENS1_29reduce_by_key_config_selectorIxjN6thrust23THRUST_200600_302600_NS4plusIjEEEEZZNS1_33reduce_by_key_impl_wrapped_configILNS1_25lookback_scan_determinismE0ES3_S9_NS6_6detail15normal_iteratorINS6_10device_ptrIxEEEENSD_INSE_IjEEEESG_SI_PmS8_NS6_8equal_toIxEEEE10hipError_tPvRmT2_T3_mT4_T5_T6_T7_T8_P12ihipStream_tbENKUlT_T0_E_clISt17integral_constantIbLb1EES13_EEDaSY_SZ_EUlSY_E_NS1_11comp_targetILNS1_3genE5ELNS1_11target_archE942ELNS1_3gpuE9ELNS1_3repE0EEENS1_30default_config_static_selectorELNS0_4arch9wavefront6targetE1EEEvT1_, .Lfunc_end779-_ZN7rocprim17ROCPRIM_400000_NS6detail17trampoline_kernelINS0_14default_configENS1_29reduce_by_key_config_selectorIxjN6thrust23THRUST_200600_302600_NS4plusIjEEEEZZNS1_33reduce_by_key_impl_wrapped_configILNS1_25lookback_scan_determinismE0ES3_S9_NS6_6detail15normal_iteratorINS6_10device_ptrIxEEEENSD_INSE_IjEEEESG_SI_PmS8_NS6_8equal_toIxEEEE10hipError_tPvRmT2_T3_mT4_T5_T6_T7_T8_P12ihipStream_tbENKUlT_T0_E_clISt17integral_constantIbLb1EES13_EEDaSY_SZ_EUlSY_E_NS1_11comp_targetILNS1_3genE5ELNS1_11target_archE942ELNS1_3gpuE9ELNS1_3repE0EEENS1_30default_config_static_selectorELNS0_4arch9wavefront6targetE1EEEvT1_
                                        ; -- End function
	.section	.AMDGPU.csdata,"",@progbits
; Kernel info:
; codeLenInByte = 0
; NumSgprs: 4
; NumVgprs: 0
; NumAgprs: 0
; TotalNumVgprs: 0
; ScratchSize: 0
; MemoryBound: 0
; FloatMode: 240
; IeeeMode: 1
; LDSByteSize: 0 bytes/workgroup (compile time only)
; SGPRBlocks: 0
; VGPRBlocks: 0
; NumSGPRsForWavesPerEU: 4
; NumVGPRsForWavesPerEU: 1
; AccumOffset: 4
; Occupancy: 8
; WaveLimiterHint : 0
; COMPUTE_PGM_RSRC2:SCRATCH_EN: 0
; COMPUTE_PGM_RSRC2:USER_SGPR: 6
; COMPUTE_PGM_RSRC2:TRAP_HANDLER: 0
; COMPUTE_PGM_RSRC2:TGID_X_EN: 1
; COMPUTE_PGM_RSRC2:TGID_Y_EN: 0
; COMPUTE_PGM_RSRC2:TGID_Z_EN: 0
; COMPUTE_PGM_RSRC2:TIDIG_COMP_CNT: 0
; COMPUTE_PGM_RSRC3_GFX90A:ACCUM_OFFSET: 0
; COMPUTE_PGM_RSRC3_GFX90A:TG_SPLIT: 0
	.section	.text._ZN7rocprim17ROCPRIM_400000_NS6detail17trampoline_kernelINS0_14default_configENS1_29reduce_by_key_config_selectorIxjN6thrust23THRUST_200600_302600_NS4plusIjEEEEZZNS1_33reduce_by_key_impl_wrapped_configILNS1_25lookback_scan_determinismE0ES3_S9_NS6_6detail15normal_iteratorINS6_10device_ptrIxEEEENSD_INSE_IjEEEESG_SI_PmS8_NS6_8equal_toIxEEEE10hipError_tPvRmT2_T3_mT4_T5_T6_T7_T8_P12ihipStream_tbENKUlT_T0_E_clISt17integral_constantIbLb1EES13_EEDaSY_SZ_EUlSY_E_NS1_11comp_targetILNS1_3genE4ELNS1_11target_archE910ELNS1_3gpuE8ELNS1_3repE0EEENS1_30default_config_static_selectorELNS0_4arch9wavefront6targetE1EEEvT1_,"axG",@progbits,_ZN7rocprim17ROCPRIM_400000_NS6detail17trampoline_kernelINS0_14default_configENS1_29reduce_by_key_config_selectorIxjN6thrust23THRUST_200600_302600_NS4plusIjEEEEZZNS1_33reduce_by_key_impl_wrapped_configILNS1_25lookback_scan_determinismE0ES3_S9_NS6_6detail15normal_iteratorINS6_10device_ptrIxEEEENSD_INSE_IjEEEESG_SI_PmS8_NS6_8equal_toIxEEEE10hipError_tPvRmT2_T3_mT4_T5_T6_T7_T8_P12ihipStream_tbENKUlT_T0_E_clISt17integral_constantIbLb1EES13_EEDaSY_SZ_EUlSY_E_NS1_11comp_targetILNS1_3genE4ELNS1_11target_archE910ELNS1_3gpuE8ELNS1_3repE0EEENS1_30default_config_static_selectorELNS0_4arch9wavefront6targetE1EEEvT1_,comdat
	.protected	_ZN7rocprim17ROCPRIM_400000_NS6detail17trampoline_kernelINS0_14default_configENS1_29reduce_by_key_config_selectorIxjN6thrust23THRUST_200600_302600_NS4plusIjEEEEZZNS1_33reduce_by_key_impl_wrapped_configILNS1_25lookback_scan_determinismE0ES3_S9_NS6_6detail15normal_iteratorINS6_10device_ptrIxEEEENSD_INSE_IjEEEESG_SI_PmS8_NS6_8equal_toIxEEEE10hipError_tPvRmT2_T3_mT4_T5_T6_T7_T8_P12ihipStream_tbENKUlT_T0_E_clISt17integral_constantIbLb1EES13_EEDaSY_SZ_EUlSY_E_NS1_11comp_targetILNS1_3genE4ELNS1_11target_archE910ELNS1_3gpuE8ELNS1_3repE0EEENS1_30default_config_static_selectorELNS0_4arch9wavefront6targetE1EEEvT1_ ; -- Begin function _ZN7rocprim17ROCPRIM_400000_NS6detail17trampoline_kernelINS0_14default_configENS1_29reduce_by_key_config_selectorIxjN6thrust23THRUST_200600_302600_NS4plusIjEEEEZZNS1_33reduce_by_key_impl_wrapped_configILNS1_25lookback_scan_determinismE0ES3_S9_NS6_6detail15normal_iteratorINS6_10device_ptrIxEEEENSD_INSE_IjEEEESG_SI_PmS8_NS6_8equal_toIxEEEE10hipError_tPvRmT2_T3_mT4_T5_T6_T7_T8_P12ihipStream_tbENKUlT_T0_E_clISt17integral_constantIbLb1EES13_EEDaSY_SZ_EUlSY_E_NS1_11comp_targetILNS1_3genE4ELNS1_11target_archE910ELNS1_3gpuE8ELNS1_3repE0EEENS1_30default_config_static_selectorELNS0_4arch9wavefront6targetE1EEEvT1_
	.globl	_ZN7rocprim17ROCPRIM_400000_NS6detail17trampoline_kernelINS0_14default_configENS1_29reduce_by_key_config_selectorIxjN6thrust23THRUST_200600_302600_NS4plusIjEEEEZZNS1_33reduce_by_key_impl_wrapped_configILNS1_25lookback_scan_determinismE0ES3_S9_NS6_6detail15normal_iteratorINS6_10device_ptrIxEEEENSD_INSE_IjEEEESG_SI_PmS8_NS6_8equal_toIxEEEE10hipError_tPvRmT2_T3_mT4_T5_T6_T7_T8_P12ihipStream_tbENKUlT_T0_E_clISt17integral_constantIbLb1EES13_EEDaSY_SZ_EUlSY_E_NS1_11comp_targetILNS1_3genE4ELNS1_11target_archE910ELNS1_3gpuE8ELNS1_3repE0EEENS1_30default_config_static_selectorELNS0_4arch9wavefront6targetE1EEEvT1_
	.p2align	8
	.type	_ZN7rocprim17ROCPRIM_400000_NS6detail17trampoline_kernelINS0_14default_configENS1_29reduce_by_key_config_selectorIxjN6thrust23THRUST_200600_302600_NS4plusIjEEEEZZNS1_33reduce_by_key_impl_wrapped_configILNS1_25lookback_scan_determinismE0ES3_S9_NS6_6detail15normal_iteratorINS6_10device_ptrIxEEEENSD_INSE_IjEEEESG_SI_PmS8_NS6_8equal_toIxEEEE10hipError_tPvRmT2_T3_mT4_T5_T6_T7_T8_P12ihipStream_tbENKUlT_T0_E_clISt17integral_constantIbLb1EES13_EEDaSY_SZ_EUlSY_E_NS1_11comp_targetILNS1_3genE4ELNS1_11target_archE910ELNS1_3gpuE8ELNS1_3repE0EEENS1_30default_config_static_selectorELNS0_4arch9wavefront6targetE1EEEvT1_,@function
_ZN7rocprim17ROCPRIM_400000_NS6detail17trampoline_kernelINS0_14default_configENS1_29reduce_by_key_config_selectorIxjN6thrust23THRUST_200600_302600_NS4plusIjEEEEZZNS1_33reduce_by_key_impl_wrapped_configILNS1_25lookback_scan_determinismE0ES3_S9_NS6_6detail15normal_iteratorINS6_10device_ptrIxEEEENSD_INSE_IjEEEESG_SI_PmS8_NS6_8equal_toIxEEEE10hipError_tPvRmT2_T3_mT4_T5_T6_T7_T8_P12ihipStream_tbENKUlT_T0_E_clISt17integral_constantIbLb1EES13_EEDaSY_SZ_EUlSY_E_NS1_11comp_targetILNS1_3genE4ELNS1_11target_archE910ELNS1_3gpuE8ELNS1_3repE0EEENS1_30default_config_static_selectorELNS0_4arch9wavefront6targetE1EEEvT1_: ; @_ZN7rocprim17ROCPRIM_400000_NS6detail17trampoline_kernelINS0_14default_configENS1_29reduce_by_key_config_selectorIxjN6thrust23THRUST_200600_302600_NS4plusIjEEEEZZNS1_33reduce_by_key_impl_wrapped_configILNS1_25lookback_scan_determinismE0ES3_S9_NS6_6detail15normal_iteratorINS6_10device_ptrIxEEEENSD_INSE_IjEEEESG_SI_PmS8_NS6_8equal_toIxEEEE10hipError_tPvRmT2_T3_mT4_T5_T6_T7_T8_P12ihipStream_tbENKUlT_T0_E_clISt17integral_constantIbLb1EES13_EEDaSY_SZ_EUlSY_E_NS1_11comp_targetILNS1_3genE4ELNS1_11target_archE910ELNS1_3gpuE8ELNS1_3repE0EEENS1_30default_config_static_selectorELNS0_4arch9wavefront6targetE1EEEvT1_
; %bb.0:
	s_load_dwordx8 s[36:43], s[4:5], 0x0
	s_load_dwordx4 s[52:55], s[4:5], 0x20
	s_load_dwordx8 s[44:51], s[4:5], 0x38
	s_load_dwordx2 s[60:61], s[4:5], 0x68
	s_load_dwordx4 s[56:59], s[4:5], 0x58
	v_cmp_ne_u32_e64 s[2:3], 0, v0
	v_cmp_eq_u32_e64 s[0:1], 0, v0
	s_and_saveexec_b64 s[6:7], s[0:1]
	s_cbranch_execz .LBB780_4
; %bb.1:
	s_mov_b64 s[10:11], exec
	v_mbcnt_lo_u32_b32 v1, s10, 0
	v_mbcnt_hi_u32_b32 v1, s11, v1
	v_cmp_eq_u32_e32 vcc, 0, v1
                                        ; implicit-def: $vgpr2
	s_and_saveexec_b64 s[8:9], vcc
	s_cbranch_execz .LBB780_3
; %bb.2:
	s_load_dwordx2 s[4:5], s[4:5], 0x70
	s_bcnt1_i32_b64 s10, s[10:11]
	v_mov_b32_e32 v2, 0
	v_mov_b32_e32 v3, s10
	s_waitcnt lgkmcnt(0)
	global_atomic_add v2, v2, v3, s[4:5] glc
.LBB780_3:
	s_or_b64 exec, exec, s[8:9]
	s_waitcnt vmcnt(0)
	v_readfirstlane_b32 s4, v2
	v_add_u32_e32 v1, s4, v1
	v_mov_b32_e32 v2, 0
	ds_write_b32 v2, v1
.LBB780_4:
	s_or_b64 exec, exec, s[6:7]
	v_mov_b32_e32 v3, 0
	s_waitcnt lgkmcnt(0)
	s_lshl_b64 s[4:5], s[38:39], 3
	s_barrier
	ds_read_b32 v1, v3
	s_add_u32 s6, s36, s4
	s_addc_u32 s7, s37, s5
	s_lshl_b64 s[4:5], s[38:39], 2
	s_add_u32 s4, s40, s4
	s_mul_i32 s8, s48, s47
	s_mul_hi_u32 s9, s48, s46
	s_addc_u32 s5, s41, s5
	s_add_i32 s8, s9, s8
	s_mul_i32 s9, s49, s46
	s_add_i32 s8, s8, s9
	s_mul_i32 s9, s48, s46
	s_waitcnt lgkmcnt(0)
	v_readfirstlane_b32 s62, v1
	s_movk_i32 s10, 0xf00
	v_mul_lo_u32 v2, v1, s10
	s_add_u32 s40, s9, s62
	v_lshlrev_b64 v[4:5], 3, v[2:3]
	s_addc_u32 s41, s8, 0
	v_mov_b32_e32 v1, s7
	v_add_co_u32_e32 v48, vcc, s6, v4
	s_add_u32 s6, s50, -1
	v_addc_co_u32_e32 v49, vcc, v1, v5, vcc
	v_lshlrev_b64 v[2:3], 2, v[2:3]
	s_addc_u32 s7, s51, -1
	v_mov_b32_e32 v4, s5
	v_add_co_u32_e32 v1, vcc, s4, v2
	s_cmp_eq_u64 s[40:41], s[6:7]
	v_addc_co_u32_e32 v50, vcc, v4, v3, vcc
	s_cselect_b64 s[36:37], -1, 0
	s_cmp_lg_u64 s[40:41], s[6:7]
	s_mov_b64 s[4:5], -1
	s_cselect_b64 s[48:49], -1, 0
	s_mul_i32 s33, s6, 0xfffff100
	s_and_b64 vcc, exec, s[36:37]
	s_barrier
	s_cbranch_vccnz .LBB780_6
; %bb.5:
	v_lshlrev_b32_e32 v40, 3, v0
	v_add_co_u32_e32 v2, vcc, v48, v40
	v_addc_co_u32_e32 v3, vcc, 0, v49, vcc
	v_add_co_u32_e32 v4, vcc, 0x1000, v2
	v_addc_co_u32_e32 v5, vcc, 0, v3, vcc
	flat_load_dwordx2 v[6:7], v[2:3]
	flat_load_dwordx2 v[8:9], v[2:3] offset:2048
	flat_load_dwordx2 v[10:11], v[4:5]
	flat_load_dwordx2 v[12:13], v[4:5] offset:2048
	v_add_co_u32_e32 v4, vcc, 0x2000, v2
	v_addc_co_u32_e32 v5, vcc, 0, v3, vcc
	v_add_co_u32_e32 v14, vcc, 0x3000, v2
	v_addc_co_u32_e32 v15, vcc, 0, v3, vcc
	flat_load_dwordx2 v[16:17], v[4:5]
	flat_load_dwordx2 v[18:19], v[4:5] offset:2048
	flat_load_dwordx2 v[20:21], v[14:15]
	flat_load_dwordx2 v[22:23], v[14:15] offset:2048
	;; [unrolled: 8-line block ×3, first 2 shown]
	v_add_co_u32_e32 v4, vcc, 0x6000, v2
	v_addc_co_u32_e32 v5, vcc, 0, v3, vcc
	v_add_co_u32_e32 v2, vcc, 0x7000, v2
	v_addc_co_u32_e32 v3, vcc, 0, v3, vcc
	flat_load_dwordx2 v[14:15], v[4:5]
	flat_load_dwordx2 v[32:33], v[4:5] offset:2048
	flat_load_dwordx2 v[34:35], v[2:3]
	v_lshlrev_b32_e32 v2, 2, v0
	v_add_co_u32_e32 v36, vcc, v1, v2
	s_movk_i32 s4, 0x1000
	v_addc_co_u32_e32 v37, vcc, 0, v50, vcc
	v_add_co_u32_e32 v38, vcc, s4, v36
	s_movk_i32 s5, 0x2000
	v_addc_co_u32_e32 v39, vcc, 0, v37, vcc
	s_movk_i32 s6, 0x3000
	s_movk_i32 s7, 0x70
	v_mad_u32_u24 v41, v0, s7, v40
	s_movk_i32 s4, 0xff8c
	v_mul_u32_u24_e32 v51, 15, v0
	v_mad_u32_u24 v53, v0, 15, 1
	v_mad_u32_u24 v52, v0, 15, 2
	;; [unrolled: 1-line block ×14, first 2 shown]
	v_mad_i32_i24 v79, v0, s4, v41
	s_waitcnt vmcnt(0) lgkmcnt(0)
	ds_write2st64_b64 v40, v[6:7], v[8:9] offset1:4
	ds_write2st64_b64 v40, v[10:11], v[12:13] offset0:8 offset1:12
	ds_write2st64_b64 v40, v[16:17], v[18:19] offset0:16 offset1:20
	;; [unrolled: 1-line block ×6, first 2 shown]
	ds_write_b64 v40, v[34:35] offset:28672
	v_add_co_u32_e32 v30, vcc, s5, v36
	v_addc_co_u32_e32 v31, vcc, 0, v37, vcc
	v_add_co_u32_e32 v32, vcc, s6, v36
	s_waitcnt lgkmcnt(0)
	s_barrier
	ds_read2_b64 v[26:29], v41 offset1:1
	ds_read2_b64 v[22:25], v41 offset0:2 offset1:3
	ds_read2_b64 v[18:21], v41 offset0:4 offset1:5
	;; [unrolled: 1-line block ×6, first 2 shown]
	ds_read_b64 v[46:47], v41 offset:112
	s_waitcnt lgkmcnt(0)
	s_barrier
	flat_load_dword v44, v[36:37]
	flat_load_dword v45, v[36:37] offset:1024
	flat_load_dword v66, v[36:37] offset:2048
	;; [unrolled: 1-line block ×3, first 2 shown]
	flat_load_dword v68, v[38:39]
	flat_load_dword v69, v[38:39] offset:1024
	flat_load_dword v70, v[38:39] offset:2048
	;; [unrolled: 1-line block ×3, first 2 shown]
	v_addc_co_u32_e32 v33, vcc, 0, v37, vcc
	flat_load_dword v72, v[30:31]
	flat_load_dword v73, v[30:31] offset:1024
	flat_load_dword v74, v[30:31] offset:2048
	;; [unrolled: 1-line block ×3, first 2 shown]
	flat_load_dword v76, v[32:33]
	flat_load_dword v77, v[32:33] offset:1024
	flat_load_dword v78, v[32:33] offset:2048
	v_mov_b32_e32 v30, v26
	v_mov_b32_e32 v31, v27
	;; [unrolled: 1-line block ×14, first 2 shown]
	s_waitcnt vmcnt(0) lgkmcnt(0)
	ds_write2st64_b32 v79, v44, v45 offset1:4
	ds_write2st64_b32 v79, v66, v67 offset0:8 offset1:12
	ds_write2st64_b32 v79, v68, v69 offset0:16 offset1:20
	;; [unrolled: 1-line block ×6, first 2 shown]
	ds_write_b32 v79, v78 offset:14336
	s_waitcnt lgkmcnt(0)
	s_barrier
	s_add_i32 s33, s33, s56
	s_cbranch_execz .LBB780_7
	s_branch .LBB780_68
.LBB780_6:
                                        ; implicit-def: $vgpr46_vgpr47
                                        ; implicit-def: $vgpr2_vgpr3
                                        ; implicit-def: $vgpr6_vgpr7
                                        ; implicit-def: $vgpr10_vgpr11
                                        ; implicit-def: $vgpr14_vgpr15
                                        ; implicit-def: $vgpr18_vgpr19
                                        ; implicit-def: $vgpr22_vgpr23
                                        ; implicit-def: $vgpr26_vgpr27
                                        ; implicit-def: $vgpr64
                                        ; implicit-def: $vgpr65
                                        ; implicit-def: $vgpr62
                                        ; implicit-def: $vgpr63
                                        ; implicit-def: $vgpr59
                                        ; implicit-def: $vgpr61
                                        ; implicit-def: $vgpr57
                                        ; implicit-def: $vgpr60
                                        ; implicit-def: $vgpr56
                                        ; implicit-def: $vgpr58
                                        ; implicit-def: $vgpr54
                                        ; implicit-def: $vgpr55
                                        ; implicit-def: $vgpr52
                                        ; implicit-def: $vgpr53
                                        ; implicit-def: $vgpr51
                                        ; implicit-def: $vgpr38_vgpr39_vgpr40_vgpr41
                                        ; implicit-def: $vgpr34_vgpr35_vgpr36_vgpr37
                                        ; implicit-def: $vgpr30_vgpr31_vgpr32_vgpr33
                                        ; implicit-def: $vgpr42_vgpr43_vgpr44_vgpr45
	s_andn2_b64 vcc, exec, s[4:5]
	s_add_i32 s33, s33, s56
	s_cbranch_vccnz .LBB780_68
.LBB780_7:
	v_cmp_gt_u32_e32 vcc, s33, v0
                                        ; implicit-def: $vgpr2_vgpr3
	s_and_saveexec_b64 s[6:7], vcc
	s_cbranch_execz .LBB780_9
; %bb.8:
	v_lshlrev_b32_e32 v2, 3, v0
	v_add_co_u32_e64 v2, s[4:5], v48, v2
	v_addc_co_u32_e64 v3, s[4:5], 0, v49, s[4:5]
	flat_load_dwordx2 v[2:3], v[2:3]
.LBB780_9:
	s_or_b64 exec, exec, s[6:7]
	v_or_b32_e32 v4, 0x100, v0
	v_cmp_gt_u32_e64 s[4:5], s33, v4
                                        ; implicit-def: $vgpr4_vgpr5
	s_and_saveexec_b64 s[8:9], s[4:5]
	s_cbranch_execz .LBB780_11
; %bb.10:
	v_lshlrev_b32_e32 v4, 3, v0
	v_add_co_u32_e64 v4, s[6:7], v48, v4
	v_addc_co_u32_e64 v5, s[6:7], 0, v49, s[6:7]
	flat_load_dwordx2 v[4:5], v[4:5] offset:2048
.LBB780_11:
	s_or_b64 exec, exec, s[8:9]
	v_or_b32_e32 v8, 0x200, v0
	v_cmp_gt_u32_e64 s[6:7], s33, v8
                                        ; implicit-def: $vgpr6_vgpr7
	s_and_saveexec_b64 s[10:11], s[6:7]
	s_cbranch_execz .LBB780_13
; %bb.12:
	v_lshlrev_b32_e32 v6, 3, v8
	v_add_co_u32_e64 v6, s[8:9], v48, v6
	v_addc_co_u32_e64 v7, s[8:9], 0, v49, s[8:9]
	flat_load_dwordx2 v[6:7], v[6:7]
.LBB780_13:
	s_or_b64 exec, exec, s[10:11]
	v_or_b32_e32 v10, 0x300, v0
	v_cmp_gt_u32_e64 s[8:9], s33, v10
                                        ; implicit-def: $vgpr8_vgpr9
	s_and_saveexec_b64 s[12:13], s[8:9]
	s_cbranch_execz .LBB780_15
; %bb.14:
	v_lshlrev_b32_e32 v8, 3, v10
	v_add_co_u32_e64 v8, s[10:11], v48, v8
	v_addc_co_u32_e64 v9, s[10:11], 0, v49, s[10:11]
	flat_load_dwordx2 v[8:9], v[8:9]
.LBB780_15:
	s_or_b64 exec, exec, s[12:13]
	v_or_b32_e32 v33, 0x400, v0
	v_cmp_gt_u32_e64 s[10:11], s33, v33
                                        ; implicit-def: $vgpr10_vgpr11
	s_and_saveexec_b64 s[14:15], s[10:11]
	s_cbranch_execz .LBB780_17
; %bb.16:
	v_lshlrev_b32_e32 v10, 3, v33
	v_add_co_u32_e64 v10, s[12:13], v48, v10
	v_addc_co_u32_e64 v11, s[12:13], 0, v49, s[12:13]
	flat_load_dwordx2 v[10:11], v[10:11]
.LBB780_17:
	s_or_b64 exec, exec, s[14:15]
	v_or_b32_e32 v34, 0x500, v0
	v_cmp_gt_u32_e64 s[12:13], s33, v34
                                        ; implicit-def: $vgpr12_vgpr13
	s_and_saveexec_b64 s[16:17], s[12:13]
	s_cbranch_execz .LBB780_19
; %bb.18:
	v_lshlrev_b32_e32 v12, 3, v34
	v_add_co_u32_e64 v12, s[14:15], v48, v12
	v_addc_co_u32_e64 v13, s[14:15], 0, v49, s[14:15]
	flat_load_dwordx2 v[12:13], v[12:13]
.LBB780_19:
	s_or_b64 exec, exec, s[16:17]
	v_or_b32_e32 v35, 0x600, v0
	v_cmp_gt_u32_e64 s[14:15], s33, v35
                                        ; implicit-def: $vgpr14_vgpr15
	s_and_saveexec_b64 s[18:19], s[14:15]
	s_cbranch_execz .LBB780_21
; %bb.20:
	v_lshlrev_b32_e32 v14, 3, v35
	v_add_co_u32_e64 v14, s[16:17], v48, v14
	v_addc_co_u32_e64 v15, s[16:17], 0, v49, s[16:17]
	flat_load_dwordx2 v[14:15], v[14:15]
.LBB780_21:
	s_or_b64 exec, exec, s[18:19]
	v_or_b32_e32 v36, 0x700, v0
	v_cmp_gt_u32_e64 s[16:17], s33, v36
                                        ; implicit-def: $vgpr16_vgpr17
	s_and_saveexec_b64 s[20:21], s[16:17]
	s_cbranch_execz .LBB780_23
; %bb.22:
	v_lshlrev_b32_e32 v16, 3, v36
	v_add_co_u32_e64 v16, s[18:19], v48, v16
	v_addc_co_u32_e64 v17, s[18:19], 0, v49, s[18:19]
	flat_load_dwordx2 v[16:17], v[16:17]
.LBB780_23:
	s_or_b64 exec, exec, s[20:21]
	v_or_b32_e32 v38, 0x800, v0
	v_cmp_gt_u32_e64 s[18:19], s33, v38
                                        ; implicit-def: $vgpr18_vgpr19
	s_and_saveexec_b64 s[22:23], s[18:19]
	s_cbranch_execz .LBB780_25
; %bb.24:
	v_lshlrev_b32_e32 v18, 3, v38
	v_add_co_u32_e64 v18, s[20:21], v48, v18
	v_addc_co_u32_e64 v19, s[20:21], 0, v49, s[20:21]
	flat_load_dwordx2 v[18:19], v[18:19]
.LBB780_25:
	s_or_b64 exec, exec, s[22:23]
	v_or_b32_e32 v39, 0x900, v0
	v_cmp_gt_u32_e64 s[20:21], s33, v39
                                        ; implicit-def: $vgpr20_vgpr21
	s_and_saveexec_b64 s[24:25], s[20:21]
	s_cbranch_execz .LBB780_27
; %bb.26:
	v_lshlrev_b32_e32 v20, 3, v39
	v_add_co_u32_e64 v20, s[22:23], v48, v20
	v_addc_co_u32_e64 v21, s[22:23], 0, v49, s[22:23]
	flat_load_dwordx2 v[20:21], v[20:21]
.LBB780_27:
	s_or_b64 exec, exec, s[24:25]
	v_or_b32_e32 v40, 0xa00, v0
	v_cmp_gt_u32_e64 s[22:23], s33, v40
                                        ; implicit-def: $vgpr22_vgpr23
	s_and_saveexec_b64 s[26:27], s[22:23]
	s_cbranch_execz .LBB780_29
; %bb.28:
	v_lshlrev_b32_e32 v22, 3, v40
	v_add_co_u32_e64 v22, s[24:25], v48, v22
	v_addc_co_u32_e64 v23, s[24:25], 0, v49, s[24:25]
	flat_load_dwordx2 v[22:23], v[22:23]
.LBB780_29:
	s_or_b64 exec, exec, s[26:27]
	v_or_b32_e32 v41, 0xb00, v0
	v_cmp_gt_u32_e64 s[24:25], s33, v41
                                        ; implicit-def: $vgpr24_vgpr25
	s_and_saveexec_b64 s[28:29], s[24:25]
	s_cbranch_execz .LBB780_31
; %bb.30:
	v_lshlrev_b32_e32 v24, 3, v41
	v_add_co_u32_e64 v24, s[26:27], v48, v24
	v_addc_co_u32_e64 v25, s[26:27], 0, v49, s[26:27]
	flat_load_dwordx2 v[24:25], v[24:25]
.LBB780_31:
	s_or_b64 exec, exec, s[28:29]
	v_or_b32_e32 v42, 0xc00, v0
	v_cmp_gt_u32_e64 s[26:27], s33, v42
                                        ; implicit-def: $vgpr26_vgpr27
	s_and_saveexec_b64 s[30:31], s[26:27]
	s_cbranch_execz .LBB780_33
; %bb.32:
	v_lshlrev_b32_e32 v26, 3, v42
	v_add_co_u32_e64 v26, s[28:29], v48, v26
	v_addc_co_u32_e64 v27, s[28:29], 0, v49, s[28:29]
	flat_load_dwordx2 v[26:27], v[26:27]
.LBB780_33:
	s_or_b64 exec, exec, s[30:31]
	v_or_b32_e32 v43, 0xd00, v0
	v_cmp_gt_u32_e64 s[28:29], s33, v43
                                        ; implicit-def: $vgpr28_vgpr29
	s_and_saveexec_b64 s[34:35], s[28:29]
	s_cbranch_execz .LBB780_35
; %bb.34:
	v_lshlrev_b32_e32 v28, 3, v43
	v_add_co_u32_e64 v28, s[30:31], v48, v28
	v_addc_co_u32_e64 v29, s[30:31], 0, v49, s[30:31]
	flat_load_dwordx2 v[28:29], v[28:29]
.LBB780_35:
	s_or_b64 exec, exec, s[34:35]
	v_or_b32_e32 v44, 0xe00, v0
	v_cmp_gt_u32_e64 s[30:31], s33, v44
                                        ; implicit-def: $vgpr30_vgpr31
	s_and_saveexec_b64 s[38:39], s[30:31]
	s_cbranch_execz .LBB780_37
; %bb.36:
	v_lshlrev_b32_e32 v30, 3, v44
	v_add_co_u32_e64 v30, s[34:35], v48, v30
	v_addc_co_u32_e64 v31, s[34:35], 0, v49, s[34:35]
	flat_load_dwordx2 v[30:31], v[30:31]
.LBB780_37:
	s_or_b64 exec, exec, s[38:39]
	v_lshlrev_b32_e32 v32, 3, v0
	s_movk_i32 s34, 0x70
	s_waitcnt vmcnt(0) lgkmcnt(0)
	ds_write2st64_b64 v32, v[2:3], v[4:5] offset1:4
	ds_write2st64_b64 v32, v[6:7], v[8:9] offset0:8 offset1:12
	ds_write2st64_b64 v32, v[10:11], v[12:13] offset0:16 offset1:20
	;; [unrolled: 1-line block ×6, first 2 shown]
	ds_write_b64 v32, v[30:31] offset:28672
	v_mad_u32_u24 v30, v0, s34, v32
	s_waitcnt lgkmcnt(0)
	s_barrier
	ds_read2_b64 v[26:29], v30 offset1:1
	ds_read2_b64 v[22:25], v30 offset0:2 offset1:3
	ds_read2_b64 v[18:21], v30 offset0:4 offset1:5
	;; [unrolled: 1-line block ×6, first 2 shown]
	ds_read_b64 v[46:47], v30 offset:112
	s_waitcnt lgkmcnt(0)
	s_barrier
	s_waitcnt lgkmcnt(0)
                                        ; implicit-def: $vgpr31
	s_and_saveexec_b64 s[34:35], vcc
	s_cbranch_execz .LBB780_51
; %bb.38:
	v_lshlrev_b32_e32 v31, 2, v0
	v_add_co_u32_e32 v52, vcc, v1, v31
	v_addc_co_u32_e32 v53, vcc, 0, v50, vcc
	flat_load_dword v31, v[52:53]
	s_or_b64 exec, exec, s[34:35]
                                        ; implicit-def: $vgpr32
	s_and_saveexec_b64 s[34:35], s[4:5]
	s_cbranch_execnz .LBB780_52
.LBB780_39:
	s_or_b64 exec, exec, s[34:35]
                                        ; implicit-def: $vgpr37
	s_and_saveexec_b64 s[4:5], s[6:7]
	s_cbranch_execz .LBB780_53
.LBB780_40:
	v_lshlrev_b32_e32 v37, 2, v0
	v_add_co_u32_e32 v52, vcc, v1, v37
	v_addc_co_u32_e32 v53, vcc, 0, v50, vcc
	flat_load_dword v37, v[52:53] offset:2048
	s_or_b64 exec, exec, s[4:5]
                                        ; implicit-def: $vgpr45
	s_and_saveexec_b64 s[4:5], s[8:9]
	s_cbranch_execnz .LBB780_54
.LBB780_41:
	s_or_b64 exec, exec, s[4:5]
                                        ; implicit-def: $vgpr66
	s_and_saveexec_b64 s[4:5], s[10:11]
	s_cbranch_execz .LBB780_55
.LBB780_42:
	v_lshlrev_b32_e32 v33, 2, v33
	v_add_co_u32_e32 v52, vcc, v1, v33
	v_addc_co_u32_e32 v53, vcc, 0, v50, vcc
	flat_load_dword v66, v[52:53]
	s_or_b64 exec, exec, s[4:5]
                                        ; implicit-def: $vgpr33
	s_and_saveexec_b64 s[4:5], s[12:13]
	s_cbranch_execnz .LBB780_56
.LBB780_43:
	s_or_b64 exec, exec, s[4:5]
                                        ; implicit-def: $vgpr34
	s_and_saveexec_b64 s[4:5], s[14:15]
	s_cbranch_execz .LBB780_57
.LBB780_44:
	v_lshlrev_b32_e32 v34, 2, v35
	v_add_co_u32_e32 v34, vcc, v1, v34
	v_addc_co_u32_e32 v35, vcc, 0, v50, vcc
	flat_load_dword v34, v[34:35]
	s_or_b64 exec, exec, s[4:5]
                                        ; implicit-def: $vgpr35
	s_and_saveexec_b64 s[4:5], s[16:17]
	s_cbranch_execnz .LBB780_58
.LBB780_45:
	s_or_b64 exec, exec, s[4:5]
                                        ; implicit-def: $vgpr36
	s_and_saveexec_b64 s[4:5], s[18:19]
	s_cbranch_execz .LBB780_59
.LBB780_46:
	v_lshlrev_b32_e32 v36, 2, v38
	v_add_co_u32_e32 v52, vcc, v1, v36
	v_addc_co_u32_e32 v53, vcc, 0, v50, vcc
	flat_load_dword v36, v[52:53]
	s_or_b64 exec, exec, s[4:5]
                                        ; implicit-def: $vgpr38
	s_and_saveexec_b64 s[4:5], s[20:21]
	s_cbranch_execnz .LBB780_60
.LBB780_47:
	s_or_b64 exec, exec, s[4:5]
                                        ; implicit-def: $vgpr39
	s_and_saveexec_b64 s[4:5], s[22:23]
	s_cbranch_execz .LBB780_61
.LBB780_48:
	v_lshlrev_b32_e32 v39, 2, v40
	v_add_co_u32_e32 v52, vcc, v1, v39
	v_addc_co_u32_e32 v53, vcc, 0, v50, vcc
	flat_load_dword v39, v[52:53]
	s_or_b64 exec, exec, s[4:5]
                                        ; implicit-def: $vgpr40
	s_and_saveexec_b64 s[4:5], s[24:25]
	s_cbranch_execnz .LBB780_62
.LBB780_49:
	s_or_b64 exec, exec, s[4:5]
                                        ; implicit-def: $vgpr41
	s_and_saveexec_b64 s[4:5], s[26:27]
	s_cbranch_execz .LBB780_63
.LBB780_50:
	v_lshlrev_b32_e32 v41, 2, v42
	v_add_co_u32_e32 v52, vcc, v1, v41
	v_addc_co_u32_e32 v53, vcc, 0, v50, vcc
	flat_load_dword v41, v[52:53]
	s_or_b64 exec, exec, s[4:5]
                                        ; implicit-def: $vgpr42
	s_and_saveexec_b64 s[4:5], s[28:29]
	s_cbranch_execz .LBB780_65
	s_branch .LBB780_64
.LBB780_51:
	s_or_b64 exec, exec, s[34:35]
                                        ; implicit-def: $vgpr32
	s_and_saveexec_b64 s[34:35], s[4:5]
	s_cbranch_execz .LBB780_39
.LBB780_52:
	v_lshlrev_b32_e32 v32, 2, v0
	v_add_co_u32_e32 v52, vcc, v1, v32
	v_addc_co_u32_e32 v53, vcc, 0, v50, vcc
	flat_load_dword v32, v[52:53] offset:1024
	s_or_b64 exec, exec, s[34:35]
                                        ; implicit-def: $vgpr37
	s_and_saveexec_b64 s[4:5], s[6:7]
	s_cbranch_execnz .LBB780_40
.LBB780_53:
	s_or_b64 exec, exec, s[4:5]
                                        ; implicit-def: $vgpr45
	s_and_saveexec_b64 s[4:5], s[8:9]
	s_cbranch_execz .LBB780_41
.LBB780_54:
	v_lshlrev_b32_e32 v45, 2, v0
	v_add_co_u32_e32 v52, vcc, v1, v45
	v_addc_co_u32_e32 v53, vcc, 0, v50, vcc
	flat_load_dword v45, v[52:53] offset:3072
	s_or_b64 exec, exec, s[4:5]
                                        ; implicit-def: $vgpr66
	s_and_saveexec_b64 s[4:5], s[10:11]
	s_cbranch_execnz .LBB780_42
.LBB780_55:
	s_or_b64 exec, exec, s[4:5]
                                        ; implicit-def: $vgpr33
	s_and_saveexec_b64 s[4:5], s[12:13]
	s_cbranch_execz .LBB780_43
.LBB780_56:
	v_lshlrev_b32_e32 v33, 2, v34
	v_add_co_u32_e32 v52, vcc, v1, v33
	v_addc_co_u32_e32 v53, vcc, 0, v50, vcc
	flat_load_dword v33, v[52:53]
	s_or_b64 exec, exec, s[4:5]
                                        ; implicit-def: $vgpr34
	s_and_saveexec_b64 s[4:5], s[14:15]
	s_cbranch_execnz .LBB780_44
.LBB780_57:
	s_or_b64 exec, exec, s[4:5]
                                        ; implicit-def: $vgpr35
	s_and_saveexec_b64 s[4:5], s[16:17]
	s_cbranch_execz .LBB780_45
.LBB780_58:
	v_lshlrev_b32_e32 v35, 2, v36
	v_add_co_u32_e32 v52, vcc, v1, v35
	v_addc_co_u32_e32 v53, vcc, 0, v50, vcc
	flat_load_dword v35, v[52:53]
	s_or_b64 exec, exec, s[4:5]
                                        ; implicit-def: $vgpr36
	s_and_saveexec_b64 s[4:5], s[18:19]
	s_cbranch_execnz .LBB780_46
.LBB780_59:
	s_or_b64 exec, exec, s[4:5]
                                        ; implicit-def: $vgpr38
	s_and_saveexec_b64 s[4:5], s[20:21]
	s_cbranch_execz .LBB780_47
.LBB780_60:
	v_lshlrev_b32_e32 v38, 2, v39
	v_add_co_u32_e32 v38, vcc, v1, v38
	v_addc_co_u32_e32 v39, vcc, 0, v50, vcc
	flat_load_dword v38, v[38:39]
	s_or_b64 exec, exec, s[4:5]
                                        ; implicit-def: $vgpr39
	s_and_saveexec_b64 s[4:5], s[22:23]
	s_cbranch_execnz .LBB780_48
.LBB780_61:
	s_or_b64 exec, exec, s[4:5]
                                        ; implicit-def: $vgpr40
	s_and_saveexec_b64 s[4:5], s[24:25]
	s_cbranch_execz .LBB780_49
.LBB780_62:
	v_lshlrev_b32_e32 v40, 2, v41
	v_add_co_u32_e32 v40, vcc, v1, v40
	v_addc_co_u32_e32 v41, vcc, 0, v50, vcc
	flat_load_dword v40, v[40:41]
	s_or_b64 exec, exec, s[4:5]
                                        ; implicit-def: $vgpr41
	s_and_saveexec_b64 s[4:5], s[26:27]
	s_cbranch_execnz .LBB780_50
.LBB780_63:
	s_or_b64 exec, exec, s[4:5]
                                        ; implicit-def: $vgpr42
	s_and_saveexec_b64 s[4:5], s[28:29]
	s_cbranch_execz .LBB780_65
.LBB780_64:
	v_lshlrev_b32_e32 v42, 2, v43
	v_add_co_u32_e32 v42, vcc, v1, v42
	v_addc_co_u32_e32 v43, vcc, 0, v50, vcc
	flat_load_dword v42, v[42:43]
.LBB780_65:
	s_or_b64 exec, exec, s[4:5]
	v_mul_u32_u24_e32 v51, 15, v0
                                        ; implicit-def: $vgpr43
	s_and_saveexec_b64 s[4:5], s[30:31]
	s_cbranch_execz .LBB780_67
; %bb.66:
	v_lshlrev_b32_e32 v43, 2, v44
	v_add_co_u32_e32 v52, vcc, v1, v43
	v_addc_co_u32_e32 v53, vcc, 0, v50, vcc
	flat_load_dword v43, v[52:53]
.LBB780_67:
	s_or_b64 exec, exec, s[4:5]
	s_movk_i32 s4, 0xff8c
	v_mad_i32_i24 v1, v0, s4, v30
	v_add_u32_e32 v53, 1, v51
	v_add_u32_e32 v52, 2, v51
	;; [unrolled: 1-line block ×14, first 2 shown]
	s_waitcnt vmcnt(0) lgkmcnt(0)
	ds_write2st64_b32 v1, v31, v32 offset1:4
	ds_write2st64_b32 v1, v37, v45 offset0:8 offset1:12
	ds_write2st64_b32 v1, v66, v33 offset0:16 offset1:20
	;; [unrolled: 1-line block ×6, first 2 shown]
	ds_write_b32 v1, v43 offset:14336
	v_mov_b32_e32 v30, v26
	v_mov_b32_e32 v31, v27
	;; [unrolled: 1-line block ×14, first 2 shown]
	s_waitcnt lgkmcnt(0)
	s_barrier
.LBB780_68:
	v_lshlrev_b32_e32 v1, 2, v51
	v_lshlrev_b32_e32 v44, 2, v53
	;; [unrolled: 1-line block ×8, first 2 shown]
	ds_read_b32 v95, v1
	ds_read_b32 v94, v44
	;; [unrolled: 1-line block ×8, first 2 shown]
	v_lshlrev_b32_e32 v1, 2, v57
	v_lshlrev_b32_e32 v44, 2, v61
	;; [unrolled: 1-line block ×7, first 2 shown]
	ds_read_b32 v93, v1
	ds_read_b32 v91, v44
	;; [unrolled: 1-line block ×7, first 2 shown]
	s_cmp_eq_u64 s[40:41], 0
	s_cselect_b64 s[38:39], -1, 0
	s_cmp_lg_u64 s[40:41], 0
	s_mov_b64 s[6:7], 0
	s_cselect_b64 s[30:31], -1, 0
	s_and_b64 vcc, exec, s[48:49]
	s_waitcnt lgkmcnt(0)
	s_barrier
	s_cbranch_vccz .LBB780_74
; %bb.69:
	s_and_b64 vcc, exec, s[30:31]
	s_cbranch_vccz .LBB780_139
; %bb.70:
	v_add_co_u32_e32 v44, vcc, -8, v48
	v_addc_co_u32_e32 v45, vcc, -1, v49, vcc
	flat_load_dwordx2 v[44:45], v[44:45]
	v_lshlrev_b32_e32 v1, 3, v0
	v_cmp_ne_u64_e32 vcc, v[4:5], v[46:47]
	v_cmp_ne_u64_e64 s[4:5], v[2:3], v[4:5]
	v_cmp_ne_u64_e64 s[6:7], v[8:9], v[2:3]
	;; [unrolled: 1-line block ×13, first 2 shown]
	ds_write_b64 v1, v[46:47]
	s_waitcnt lgkmcnt(0)
	s_barrier
	s_and_saveexec_b64 s[34:35], s[2:3]
	s_cbranch_execz .LBB780_72
; %bb.71:
	v_add_u32_e32 v1, -8, v1
	s_waitcnt vmcnt(0)
	ds_read_b64 v[44:45], v1
.LBB780_72:
	s_or_b64 exec, exec, s[34:35]
	v_cndmask_b32_e64 v1, 0, 1, vcc
	v_cndmask_b32_e64 v68, 0, 1, s[4:5]
	v_cndmask_b32_e64 v69, 0, 1, s[6:7]
	v_cndmask_b32_e64 v70, 0, 1, s[8:9]
	v_cndmask_b32_e64 v71, 0, 1, s[10:11]
	v_cndmask_b32_e64 v72, 0, 1, s[12:13]
	v_cndmask_b32_e64 v73, 0, 1, s[14:15]
	v_cndmask_b32_e64 v74, 0, 1, s[16:17]
	v_cndmask_b32_e64 v75, 0, 1, s[18:19]
	v_cndmask_b32_e64 v76, 0, 1, s[20:21]
	v_cndmask_b32_e64 v77, 0, 1, s[22:23]
	v_cndmask_b32_e64 v78, 0, 1, s[24:25]
	v_cndmask_b32_e64 v79, 0, 1, s[26:27]
	v_cndmask_b32_e64 v80, 0, 1, s[28:29]
	s_waitcnt vmcnt(0) lgkmcnt(0)
	v_cmp_ne_u64_e64 s[4:5], v[44:45], v[26:27]
	s_mov_b64 s[6:7], -1
.LBB780_73:
                                        ; implicit-def: $sgpr12
	s_branch .LBB780_75
.LBB780_74:
                                        ; implicit-def: $sgpr4_sgpr5
                                        ; implicit-def: $vgpr1
                                        ; implicit-def: $vgpr68
                                        ; implicit-def: $vgpr69
                                        ; implicit-def: $vgpr70
                                        ; implicit-def: $vgpr71
                                        ; implicit-def: $vgpr72
                                        ; implicit-def: $vgpr73
                                        ; implicit-def: $vgpr74
                                        ; implicit-def: $vgpr75
                                        ; implicit-def: $vgpr76
                                        ; implicit-def: $vgpr77
                                        ; implicit-def: $vgpr78
                                        ; implicit-def: $vgpr79
                                        ; implicit-def: $vgpr80
                                        ; implicit-def: $sgpr12
	s_cbranch_execnz .LBB780_143
.LBB780_75:
	v_mov_b32_e32 v96, s12
	s_and_saveexec_b64 s[2:3], s[6:7]
.LBB780_76:
	v_cndmask_b32_e64 v96, 0, 1, s[4:5]
.LBB780_77:
	s_or_b64 exec, exec, s[2:3]
	s_cmp_eq_u64 s[46:47], 0
	v_add3_u32 v30, v80, v96, v79
	s_cselect_b64 s[34:35], -1, 0
	s_cmp_lg_u32 s62, 0
	v_cmp_eq_u32_e64 s[26:27], 0, v80
	v_cmp_eq_u32_e64 s[24:25], 0, v79
	;; [unrolled: 1-line block ×3, first 2 shown]
	v_add3_u32 v101, v30, v78, v77
	v_cmp_eq_u32_e64 s[20:21], 0, v77
	v_cmp_eq_u32_e64 s[18:19], 0, v76
	;; [unrolled: 1-line block ×10, first 2 shown]
	v_cmp_eq_u32_e32 vcc, 0, v1
	v_mbcnt_lo_u32_b32 v100, -1, 0
	v_lshrrev_b32_e32 v98, 6, v0
	v_or_b32_e32 v99, 63, v0
	s_cbranch_scc0 .LBB780_108
; %bb.78:
	v_cndmask_b32_e64 v30, 0, v95, s[26:27]
	v_add_u32_e32 v30, v30, v94
	v_cndmask_b32_e64 v30, 0, v30, s[24:25]
	v_add_u32_e32 v30, v30, v92
	;; [unrolled: 2-line block ×11, first 2 shown]
	v_cndmask_b32_e64 v30, 0, v30, s[4:5]
	v_add3_u32 v31, v101, v76, v75
	v_add_u32_e32 v30, v30, v83
	v_add3_u32 v31, v31, v74, v73
	v_cndmask_b32_e64 v30, 0, v30, s[2:3]
	v_add3_u32 v31, v31, v72, v71
	v_add_u32_e32 v30, v30, v82
	v_add3_u32 v31, v31, v70, v69
	v_cndmask_b32_e32 v30, 0, v30, vcc
	v_add3_u32 v31, v31, v68, v1
	v_add_u32_e32 v30, v30, v97
	v_mbcnt_hi_u32_b32 v39, -1, v100
	v_and_b32_e32 v32, 15, v39
	v_mov_b32_dpp v34, v30 row_shr:1 row_mask:0xf bank_mask:0xf
	v_cmp_eq_u32_e32 vcc, 0, v31
	v_mov_b32_dpp v33, v31 row_shr:1 row_mask:0xf bank_mask:0xf
	v_cndmask_b32_e32 v34, 0, v34, vcc
	v_cmp_eq_u32_e32 vcc, 0, v32
	v_cndmask_b32_e64 v33, v33, 0, vcc
	v_add_u32_e32 v31, v33, v31
	v_cndmask_b32_e64 v33, v34, 0, vcc
	v_add_u32_e32 v30, v33, v30
	v_cmp_eq_u32_e32 vcc, 0, v31
	v_mov_b32_dpp v33, v31 row_shr:2 row_mask:0xf bank_mask:0xf
	v_cmp_lt_u32_e64 s[28:29], 1, v32
	v_mov_b32_dpp v34, v30 row_shr:2 row_mask:0xf bank_mask:0xf
	v_cndmask_b32_e64 v33, 0, v33, s[28:29]
	s_and_b64 vcc, s[28:29], vcc
	v_cndmask_b32_e32 v34, 0, v34, vcc
	v_add_u32_e32 v31, v31, v33
	v_add_u32_e32 v30, v34, v30
	v_cmp_eq_u32_e32 vcc, 0, v31
	v_mov_b32_dpp v33, v31 row_shr:4 row_mask:0xf bank_mask:0xf
	v_cmp_lt_u32_e64 s[28:29], 3, v32
	v_mov_b32_dpp v34, v30 row_shr:4 row_mask:0xf bank_mask:0xf
	v_cndmask_b32_e64 v33, 0, v33, s[28:29]
	s_and_b64 vcc, s[28:29], vcc
	v_cndmask_b32_e32 v34, 0, v34, vcc
	v_add_u32_e32 v31, v33, v31
	v_add_u32_e32 v30, v30, v34
	v_cmp_eq_u32_e32 vcc, 0, v31
	v_cmp_lt_u32_e64 s[28:29], 7, v32
	v_mov_b32_dpp v33, v31 row_shr:8 row_mask:0xf bank_mask:0xf
	v_mov_b32_dpp v34, v30 row_shr:8 row_mask:0xf bank_mask:0xf
	s_and_b64 vcc, s[28:29], vcc
	v_cndmask_b32_e64 v32, 0, v33, s[28:29]
	v_cndmask_b32_e32 v33, 0, v34, vcc
	v_add_u32_e32 v30, v33, v30
	v_add_u32_e32 v31, v32, v31
	v_bfe_i32 v34, v39, 4, 1
	v_mov_b32_dpp v33, v30 row_bcast:15 row_mask:0xf bank_mask:0xf
	v_mov_b32_dpp v32, v31 row_bcast:15 row_mask:0xf bank_mask:0xf
	v_cmp_eq_u32_e32 vcc, 0, v31
	v_cndmask_b32_e32 v33, 0, v33, vcc
	v_and_b32_e32 v32, v34, v32
	v_add_u32_e32 v31, v32, v31
	v_and_b32_e32 v32, v34, v33
	v_add_u32_e32 v32, v32, v30
	v_mov_b32_dpp v30, v31 row_bcast:31 row_mask:0xf bank_mask:0xf
	v_cmp_eq_u32_e32 vcc, 0, v31
	v_cmp_lt_u32_e64 s[28:29], 31, v39
	v_mov_b32_dpp v33, v32 row_bcast:31 row_mask:0xf bank_mask:0xf
	v_cndmask_b32_e64 v30, 0, v30, s[28:29]
	s_and_b64 vcc, s[28:29], vcc
	v_add_u32_e32 v30, v30, v31
	v_cndmask_b32_e32 v31, 0, v33, vcc
	v_add_u32_e32 v31, v31, v32
	v_cmp_eq_u32_e32 vcc, v99, v0
	v_lshlrev_b32_e32 v32, 3, v98
	s_and_saveexec_b64 s[28:29], vcc
	s_cbranch_execz .LBB780_80
; %bb.79:
	ds_write_b64 v32, v[30:31] offset:4112
.LBB780_80:
	s_or_b64 exec, exec, s[28:29]
	v_cmp_gt_u32_e32 vcc, 4, v0
	s_waitcnt lgkmcnt(0)
	s_barrier
	s_and_saveexec_b64 s[30:31], vcc
	s_cbranch_execz .LBB780_82
; %bb.81:
	v_lshlrev_b32_e32 v33, 3, v0
	ds_read_b64 v[34:35], v33 offset:4112
	v_and_b32_e32 v36, 3, v39
	v_cmp_lt_u32_e64 s[28:29], 1, v36
	s_waitcnt lgkmcnt(0)
	v_mov_b32_dpp v38, v35 row_shr:1 row_mask:0xf bank_mask:0xf
	v_cmp_eq_u32_e32 vcc, 0, v34
	v_mov_b32_dpp v37, v34 row_shr:1 row_mask:0xf bank_mask:0xf
	v_cndmask_b32_e32 v38, 0, v38, vcc
	v_cmp_eq_u32_e32 vcc, 0, v36
	v_cndmask_b32_e64 v37, v37, 0, vcc
	v_add_u32_e32 v34, v37, v34
	v_cndmask_b32_e64 v37, v38, 0, vcc
	v_add_u32_e32 v35, v37, v35
	v_cmp_eq_u32_e32 vcc, 0, v34
	v_mov_b32_dpp v37, v34 row_shr:2 row_mask:0xf bank_mask:0xf
	v_mov_b32_dpp v38, v35 row_shr:2 row_mask:0xf bank_mask:0xf
	v_cndmask_b32_e64 v36, 0, v37, s[28:29]
	s_and_b64 vcc, s[28:29], vcc
	v_add_u32_e32 v34, v36, v34
	v_cndmask_b32_e32 v36, 0, v38, vcc
	v_add_u32_e32 v35, v36, v35
	ds_write_b64 v33, v[34:35] offset:4112
.LBB780_82:
	s_or_b64 exec, exec, s[30:31]
	v_cmp_gt_u32_e32 vcc, 64, v0
	v_cmp_lt_u32_e64 s[28:29], 63, v0
	v_mov_b32_e32 v36, 0
	v_mov_b32_e32 v37, 0
	s_waitcnt lgkmcnt(0)
	s_barrier
	s_and_saveexec_b64 s[30:31], s[28:29]
	s_cbranch_execz .LBB780_84
; %bb.83:
	ds_read_b64 v[36:37], v32 offset:4104
	v_cmp_eq_u32_e64 s[28:29], 0, v30
	s_waitcnt lgkmcnt(0)
	v_add_u32_e32 v32, v36, v30
	v_cndmask_b32_e64 v30, 0, v37, s[28:29]
	v_add_u32_e32 v31, v30, v31
	v_mov_b32_e32 v30, v32
.LBB780_84:
	s_or_b64 exec, exec, s[30:31]
	v_add_u32_e32 v32, -1, v39
	v_and_b32_e32 v33, 64, v39
	v_cmp_lt_i32_e64 s[28:29], v32, v33
	v_cndmask_b32_e64 v32, v32, v39, s[28:29]
	v_lshlrev_b32_e32 v32, 2, v32
	ds_bpermute_b32 v44, v32, v30
	ds_bpermute_b32 v45, v32, v31
	v_cmp_eq_u32_e64 s[28:29], 0, v39
	s_and_saveexec_b64 s[40:41], vcc
	s_cbranch_execz .LBB780_107
; %bb.85:
	v_mov_b32_e32 v35, 0
	ds_read_b64 v[30:31], v35 offset:4136
	s_waitcnt lgkmcnt(0)
	v_readfirstlane_b32 s48, v30
	v_readfirstlane_b32 s49, v31
	s_and_saveexec_b64 s[30:31], s[28:29]
	s_cbranch_execz .LBB780_87
; %bb.86:
	s_add_i32 s46, s62, 64
	s_mov_b32 s47, 0
	s_lshl_b64 s[50:51], s[46:47], 4
	s_add_u32 s50, s44, s50
	s_addc_u32 s51, s45, s51
	s_and_b32 s57, s49, 0xff000000
	s_mov_b32 s56, s47
	s_and_b32 s65, s49, 0xff0000
	s_mov_b32 s64, s47
	s_or_b64 s[56:57], s[64:65], s[56:57]
	s_and_b32 s65, s49, 0xff00
	s_or_b64 s[56:57], s[56:57], s[64:65]
	s_and_b32 s65, s49, 0xff
	s_or_b64 s[46:47], s[56:57], s[64:65]
	v_mov_b32_e32 v32, s48
	v_mov_b32_e32 v33, s47
	;; [unrolled: 1-line block ×3, first 2 shown]
	v_pk_mov_b32 v[30:31], s[50:51], s[50:51] op_sel:[0,1]
	;;#ASMSTART
	global_store_dwordx4 v[30:31], v[32:35] off	
s_waitcnt vmcnt(0)
	;;#ASMEND
.LBB780_87:
	s_or_b64 exec, exec, s[30:31]
	v_xad_u32 v38, v39, -1, s62
	v_add_u32_e32 v34, 64, v38
	v_lshlrev_b64 v[30:31], 4, v[34:35]
	v_mov_b32_e32 v32, s45
	v_add_co_u32_e32 v40, vcc, s44, v30
	v_addc_co_u32_e32 v41, vcc, v32, v31, vcc
	;;#ASMSTART
	global_load_dwordx4 v[30:33], v[40:41] off glc	
s_waitcnt vmcnt(0)
	;;#ASMEND
	v_and_b32_e32 v33, 0xff, v31
	v_and_b32_e32 v34, 0xff00, v31
	;; [unrolled: 1-line block ×3, first 2 shown]
	v_or3_b32 v33, 0, v33, v34
	v_or3_b32 v30, v30, 0, 0
	v_and_b32_e32 v31, 0xff000000, v31
	v_or3_b32 v31, v33, v42, v31
	v_or3_b32 v30, v30, 0, 0
	v_cmp_eq_u16_sdwa s[46:47], v32, v35 src0_sel:BYTE_0 src1_sel:DWORD
	s_and_saveexec_b64 s[30:31], s[46:47]
	s_cbranch_execz .LBB780_93
; %bb.88:
	s_mov_b32 s50, 1
	s_mov_b64 s[46:47], 0
	v_mov_b32_e32 v34, 0
.LBB780_89:                             ; =>This Loop Header: Depth=1
                                        ;     Child Loop BB780_90 Depth 2
	s_max_u32 s51, s50, 1
.LBB780_90:                             ;   Parent Loop BB780_89 Depth=1
                                        ; =>  This Inner Loop Header: Depth=2
	s_add_i32 s51, s51, -1
	s_cmp_eq_u32 s51, 0
	s_sleep 1
	s_cbranch_scc0 .LBB780_90
; %bb.91:                               ;   in Loop: Header=BB780_89 Depth=1
	s_cmp_lt_u32 s50, 32
	s_cselect_b64 s[56:57], -1, 0
	s_cmp_lg_u64 s[56:57], 0
	s_addc_u32 s50, s50, 0
	;;#ASMSTART
	global_load_dwordx4 v[30:33], v[40:41] off glc	
s_waitcnt vmcnt(0)
	;;#ASMEND
	v_cmp_ne_u16_sdwa s[56:57], v32, v34 src0_sel:BYTE_0 src1_sel:DWORD
	s_or_b64 s[46:47], s[56:57], s[46:47]
	s_andn2_b64 exec, exec, s[46:47]
	s_cbranch_execnz .LBB780_89
; %bb.92:
	s_or_b64 exec, exec, s[46:47]
.LBB780_93:
	s_or_b64 exec, exec, s[30:31]
	v_mov_b32_e32 v48, 2
	v_cmp_eq_u16_sdwa s[30:31], v32, v48 src0_sel:BYTE_0 src1_sel:DWORD
	v_lshlrev_b64 v[40:41], v39, -1
	v_and_b32_e32 v33, s31, v41
	v_and_b32_e32 v49, 63, v39
	v_or_b32_e32 v33, 0x80000000, v33
	v_cmp_ne_u32_e32 vcc, 63, v49
	v_and_b32_e32 v34, s30, v40
	v_ffbl_b32_e32 v33, v33
	v_addc_co_u32_e32 v35, vcc, 0, v39, vcc
	v_add_u32_e32 v33, 32, v33
	v_ffbl_b32_e32 v34, v34
	v_lshlrev_b32_e32 v50, 2, v35
	v_min_u32_e32 v33, v34, v33
	ds_bpermute_b32 v34, v50, v31
	v_cmp_eq_u32_e32 vcc, 0, v30
	v_cmp_lt_u32_e64 s[30:31], v49, v33
	ds_bpermute_b32 v35, v50, v30
	s_and_b64 vcc, s[30:31], vcc
	s_waitcnt lgkmcnt(1)
	v_cndmask_b32_e32 v34, 0, v34, vcc
	v_cmp_gt_u32_e32 vcc, 62, v49
	v_add_u32_e32 v31, v34, v31
	v_cndmask_b32_e64 v34, 0, 1, vcc
	v_lshlrev_b32_e32 v34, 1, v34
	v_add_lshl_u32 v51, v34, v39, 2
	s_waitcnt lgkmcnt(0)
	v_cndmask_b32_e64 v35, 0, v35, s[30:31]
	ds_bpermute_b32 v34, v51, v31
	v_add_u32_e32 v30, v35, v30
	ds_bpermute_b32 v35, v51, v30
	v_add_u32_e32 v52, 2, v49
	v_cmp_eq_u32_e32 vcc, 0, v30
	s_waitcnt lgkmcnt(1)
	v_cndmask_b32_e32 v34, 0, v34, vcc
	v_cmp_gt_u32_e32 vcc, v52, v33
	v_cndmask_b32_e64 v34, v34, 0, vcc
	v_add_u32_e32 v31, v34, v31
	s_waitcnt lgkmcnt(0)
	v_cndmask_b32_e64 v34, v35, 0, vcc
	v_cmp_gt_u32_e32 vcc, 60, v49
	v_cndmask_b32_e64 v35, 0, 1, vcc
	v_lshlrev_b32_e32 v35, 2, v35
	v_add_lshl_u32 v53, v35, v39, 2
	ds_bpermute_b32 v35, v53, v31
	v_add_u32_e32 v30, v30, v34
	ds_bpermute_b32 v34, v53, v30
	v_add_u32_e32 v54, 4, v49
	v_cmp_eq_u32_e32 vcc, 0, v30
	s_waitcnt lgkmcnt(1)
	v_cndmask_b32_e32 v35, 0, v35, vcc
	v_cmp_gt_u32_e32 vcc, v54, v33
	v_cndmask_b32_e64 v35, v35, 0, vcc
	s_waitcnt lgkmcnt(0)
	v_cndmask_b32_e64 v34, v34, 0, vcc
	v_cmp_gt_u32_e32 vcc, 56, v49
	v_add_u32_e32 v31, v31, v35
	v_cndmask_b32_e64 v35, 0, 1, vcc
	v_lshlrev_b32_e32 v35, 3, v35
	v_add_lshl_u32 v55, v35, v39, 2
	ds_bpermute_b32 v35, v55, v31
	v_add_u32_e32 v30, v30, v34
	ds_bpermute_b32 v34, v55, v30
	v_add_u32_e32 v56, 8, v49
	v_cmp_eq_u32_e32 vcc, 0, v30
	s_waitcnt lgkmcnt(1)
	v_cndmask_b32_e32 v35, 0, v35, vcc
	v_cmp_gt_u32_e32 vcc, v56, v33
	v_cndmask_b32_e64 v35, v35, 0, vcc
	s_waitcnt lgkmcnt(0)
	v_cndmask_b32_e64 v34, v34, 0, vcc
	v_cmp_gt_u32_e32 vcc, 48, v49
	v_add_u32_e32 v31, v31, v35
	v_cndmask_b32_e64 v35, 0, 1, vcc
	v_lshlrev_b32_e32 v35, 4, v35
	v_add_lshl_u32 v57, v35, v39, 2
	ds_bpermute_b32 v35, v57, v31
	v_add_u32_e32 v30, v30, v34
	ds_bpermute_b32 v34, v57, v30
	v_add_u32_e32 v58, 16, v49
	v_cmp_eq_u32_e32 vcc, 0, v30
	s_waitcnt lgkmcnt(1)
	v_cndmask_b32_e32 v35, 0, v35, vcc
	v_cmp_gt_u32_e32 vcc, v58, v33
	v_cndmask_b32_e64 v35, v35, 0, vcc
	s_waitcnt lgkmcnt(0)
	v_cndmask_b32_e64 v34, v34, 0, vcc
	v_cmp_gt_u32_e32 vcc, 32, v49
	v_add_u32_e32 v31, v31, v35
	v_cndmask_b32_e64 v35, 0, 1, vcc
	v_lshlrev_b32_e32 v35, 5, v35
	v_add_lshl_u32 v59, v35, v39, 2
	ds_bpermute_b32 v35, v59, v31
	v_add_u32_e32 v30, v30, v34
	ds_bpermute_b32 v34, v59, v30
	v_add_u32_e32 v60, 32, v49
	v_cmp_eq_u32_e32 vcc, 0, v30
	s_waitcnt lgkmcnt(1)
	v_cndmask_b32_e32 v35, 0, v35, vcc
	v_cmp_gt_u32_e32 vcc, v60, v33
	v_cndmask_b32_e64 v33, v35, 0, vcc
	v_add_u32_e32 v31, v33, v31
	s_waitcnt lgkmcnt(0)
	v_cndmask_b32_e64 v33, v34, 0, vcc
	v_add_u32_e32 v30, v33, v30
	v_mov_b32_e32 v39, 0
	s_branch .LBB780_95
.LBB780_94:                             ;   in Loop: Header=BB780_95 Depth=1
	s_or_b64 exec, exec, s[30:31]
	v_cmp_eq_u16_sdwa s[30:31], v32, v48 src0_sel:BYTE_0 src1_sel:DWORD
	v_and_b32_e32 v33, s31, v41
	v_or_b32_e32 v33, 0x80000000, v33
	v_and_b32_e32 v42, s30, v40
	v_ffbl_b32_e32 v33, v33
	v_add_u32_e32 v33, 32, v33
	v_ffbl_b32_e32 v42, v42
	v_min_u32_e32 v33, v42, v33
	ds_bpermute_b32 v42, v50, v31
	v_cmp_eq_u32_e32 vcc, 0, v30
	v_cmp_lt_u32_e64 s[30:31], v49, v33
	ds_bpermute_b32 v43, v50, v30
	s_and_b64 vcc, s[30:31], vcc
	s_waitcnt lgkmcnt(1)
	v_cndmask_b32_e32 v42, 0, v42, vcc
	v_add_u32_e32 v31, v42, v31
	ds_bpermute_b32 v42, v51, v31
	s_waitcnt lgkmcnt(1)
	v_cndmask_b32_e64 v43, 0, v43, s[30:31]
	v_add_u32_e32 v30, v43, v30
	v_cmp_eq_u32_e32 vcc, 0, v30
	ds_bpermute_b32 v43, v51, v30
	s_waitcnt lgkmcnt(1)
	v_cndmask_b32_e32 v42, 0, v42, vcc
	v_cmp_gt_u32_e32 vcc, v52, v33
	v_cndmask_b32_e64 v42, v42, 0, vcc
	v_add_u32_e32 v31, v42, v31
	ds_bpermute_b32 v42, v53, v31
	s_waitcnt lgkmcnt(1)
	v_cndmask_b32_e64 v43, v43, 0, vcc
	v_add_u32_e32 v30, v30, v43
	v_cmp_eq_u32_e32 vcc, 0, v30
	ds_bpermute_b32 v43, v53, v30
	s_waitcnt lgkmcnt(1)
	v_cndmask_b32_e32 v42, 0, v42, vcc
	v_cmp_gt_u32_e32 vcc, v54, v33
	v_cndmask_b32_e64 v42, v42, 0, vcc
	v_add_u32_e32 v31, v31, v42
	ds_bpermute_b32 v42, v55, v31
	s_waitcnt lgkmcnt(1)
	v_cndmask_b32_e64 v43, v43, 0, vcc
	v_add_u32_e32 v30, v30, v43
	ds_bpermute_b32 v43, v55, v30
	v_cmp_eq_u32_e32 vcc, 0, v30
	s_waitcnt lgkmcnt(1)
	v_cndmask_b32_e32 v42, 0, v42, vcc
	v_cmp_gt_u32_e32 vcc, v56, v33
	v_cndmask_b32_e64 v42, v42, 0, vcc
	v_add_u32_e32 v31, v31, v42
	ds_bpermute_b32 v42, v57, v31
	s_waitcnt lgkmcnt(1)
	v_cndmask_b32_e64 v43, v43, 0, vcc
	v_add_u32_e32 v30, v30, v43
	ds_bpermute_b32 v43, v57, v30
	v_cmp_eq_u32_e32 vcc, 0, v30
	;; [unrolled: 11-line block ×3, first 2 shown]
	s_waitcnt lgkmcnt(1)
	v_cndmask_b32_e32 v42, 0, v42, vcc
	v_cmp_gt_u32_e32 vcc, v60, v33
	v_cndmask_b32_e64 v33, v42, 0, vcc
	v_add_u32_e32 v31, v33, v31
	s_waitcnt lgkmcnt(0)
	v_cndmask_b32_e64 v33, v43, 0, vcc
	v_cmp_eq_u32_e32 vcc, 0, v34
	v_cndmask_b32_e32 v31, 0, v31, vcc
	v_subrev_u32_e32 v38, 64, v38
	v_add3_u32 v30, v30, v34, v33
	v_add_u32_e32 v31, v31, v35
.LBB780_95:                             ; =>This Loop Header: Depth=1
                                        ;     Child Loop BB780_98 Depth 2
                                        ;       Child Loop BB780_99 Depth 3
	v_cmp_ne_u16_sdwa s[30:31], v32, v48 src0_sel:BYTE_0 src1_sel:DWORD
	v_mov_b32_e32 v35, v31
	v_cndmask_b32_e64 v31, 0, 1, s[30:31]
	;;#ASMSTART
	;;#ASMEND
	v_cmp_ne_u32_e32 vcc, 0, v31
	s_cmp_lg_u64 vcc, exec
	v_mov_b32_e32 v34, v30
	s_cbranch_scc1 .LBB780_102
; %bb.96:                               ;   in Loop: Header=BB780_95 Depth=1
	v_lshlrev_b64 v[30:31], 4, v[38:39]
	v_mov_b32_e32 v32, s45
	v_add_co_u32_e32 v42, vcc, s44, v30
	v_addc_co_u32_e32 v43, vcc, v32, v31, vcc
	;;#ASMSTART
	global_load_dwordx4 v[30:33], v[42:43] off glc	
s_waitcnt vmcnt(0)
	;;#ASMEND
	v_and_b32_e32 v33, 0xff, v31
	v_and_b32_e32 v61, 0xff00, v31
	;; [unrolled: 1-line block ×3, first 2 shown]
	v_or3_b32 v33, 0, v33, v61
	v_or3_b32 v30, v30, 0, 0
	v_and_b32_e32 v31, 0xff000000, v31
	v_or3_b32 v31, v33, v62, v31
	v_or3_b32 v30, v30, 0, 0
	v_cmp_eq_u16_sdwa s[46:47], v32, v39 src0_sel:BYTE_0 src1_sel:DWORD
	s_and_saveexec_b64 s[30:31], s[46:47]
	s_cbranch_execz .LBB780_94
; %bb.97:                               ;   in Loop: Header=BB780_95 Depth=1
	s_mov_b32 s50, 1
	s_mov_b64 s[46:47], 0
.LBB780_98:                             ;   Parent Loop BB780_95 Depth=1
                                        ; =>  This Loop Header: Depth=2
                                        ;       Child Loop BB780_99 Depth 3
	s_max_u32 s51, s50, 1
.LBB780_99:                             ;   Parent Loop BB780_95 Depth=1
                                        ;     Parent Loop BB780_98 Depth=2
                                        ; =>    This Inner Loop Header: Depth=3
	s_add_i32 s51, s51, -1
	s_cmp_eq_u32 s51, 0
	s_sleep 1
	s_cbranch_scc0 .LBB780_99
; %bb.100:                              ;   in Loop: Header=BB780_98 Depth=2
	s_cmp_lt_u32 s50, 32
	s_cselect_b64 s[56:57], -1, 0
	s_cmp_lg_u64 s[56:57], 0
	s_addc_u32 s50, s50, 0
	;;#ASMSTART
	global_load_dwordx4 v[30:33], v[42:43] off glc	
s_waitcnt vmcnt(0)
	;;#ASMEND
	v_cmp_ne_u16_sdwa s[56:57], v32, v39 src0_sel:BYTE_0 src1_sel:DWORD
	s_or_b64 s[46:47], s[56:57], s[46:47]
	s_andn2_b64 exec, exec, s[46:47]
	s_cbranch_execnz .LBB780_98
; %bb.101:                              ;   in Loop: Header=BB780_95 Depth=1
	s_or_b64 exec, exec, s[46:47]
	s_branch .LBB780_94
.LBB780_102:                            ;   in Loop: Header=BB780_95 Depth=1
                                        ; implicit-def: $vgpr31
                                        ; implicit-def: $vgpr30
                                        ; implicit-def: $vgpr32
	s_cbranch_execz .LBB780_95
; %bb.103:
	s_and_saveexec_b64 s[30:31], s[28:29]
	s_cbranch_execz .LBB780_105
; %bb.104:
	s_cmp_eq_u32 s48, 0
	s_cselect_b64 vcc, -1, 0
	s_mov_b32 s47, 0
	v_cndmask_b32_e32 v30, 0, v35, vcc
	s_add_i32 s46, s62, 64
	v_add_u32_e32 v30, s49, v30
	s_lshl_b64 s[46:47], s[46:47], 4
	s_add_u32 s46, s44, s46
	v_and_b32_e32 v31, 0xff000000, v30
	v_and_b32_e32 v32, 0xff0000, v30
	s_addc_u32 s47, s45, s47
	v_or_b32_e32 v31, v32, v31
	v_and_b32_e32 v32, 0xff00, v30
	v_and_b32_e32 v30, 0xff, v30
	v_add_u32_e32 v38, s48, v34
	v_mov_b32_e32 v41, 0
	v_or3_b32 v39, v31, v32, v30
	v_mov_b32_e32 v40, 2
	v_pk_mov_b32 v[30:31], s[46:47], s[46:47] op_sel:[0,1]
	;;#ASMSTART
	global_store_dwordx4 v[30:31], v[38:41] off	
s_waitcnt vmcnt(0)
	;;#ASMEND
	v_mov_b32_e32 v32, s48
	v_mov_b32_e32 v33, s49
	ds_write_b128 v41, v[32:35] offset:4096
.LBB780_105:
	s_or_b64 exec, exec, s[30:31]
	s_and_b64 exec, exec, s[0:1]
	s_cbranch_execz .LBB780_107
; %bb.106:
	v_mov_b32_e32 v30, 0
	ds_write_b64 v30, v[34:35] offset:4136
.LBB780_107:
	s_or_b64 exec, exec, s[40:41]
	v_mov_b32_e32 v32, 0
	s_waitcnt lgkmcnt(0)
	s_barrier
	ds_read_b64 v[30:31], v32 offset:4136
	v_cndmask_b32_e64 v34, v44, v36, s[28:29]
	v_cmp_eq_u32_e32 vcc, 0, v34
	v_cndmask_b32_e64 v33, v45, v37, s[28:29]
	s_waitcnt lgkmcnt(0)
	v_cndmask_b32_e32 v35, 0, v31, vcc
	v_add_u32_e32 v33, v35, v33
	v_cndmask_b32_e64 v67, v33, v31, s[0:1]
	v_cndmask_b32_e64 v31, v34, 0, s[0:1]
	v_cmp_eq_u32_e32 vcc, 0, v96
	v_add_u32_e32 v66, v30, v31
	v_cndmask_b32_e32 v30, 0, v67, vcc
	v_add_u32_e32 v65, v30, v95
	v_cndmask_b32_e64 v30, 0, v65, s[26:27]
	v_add_u32_e32 v63, v30, v94
	v_cndmask_b32_e64 v30, 0, v63, s[24:25]
	;; [unrolled: 2-line block ×8, first 2 shown]
	v_add_u32_e32 v64, v66, v96
	v_add_u32_e32 v49, v30, v93
	v_add_u32_e32 v62, v64, v80
	v_cndmask_b32_e64 v30, 0, v49, s[10:11]
	v_add_u32_e32 v60, v62, v79
	v_add_u32_e32 v45, v30, v91
	v_add_u32_e32 v58, v60, v78
	v_cndmask_b32_e64 v30, 0, v45, s[8:9]
	;; [unrolled: 4-line block ×3, first 2 shown]
	v_add_u32_e32 v52, v54, v75
	v_add_u32_e32 v41, v30, v87
	s_barrier
	ds_read_b128 v[30:33], v32 offset:4096
	v_add_u32_e32 v50, v52, v74
	v_add_u32_e32 v48, v50, v73
	;; [unrolled: 1-line block ×4, first 2 shown]
	v_cndmask_b32_e64 v34, 0, v41, s[4:5]
	v_add_u32_e32 v40, v42, v70
	v_add_u32_e32 v39, v34, v83
	s_waitcnt lgkmcnt(0)
	v_cmp_eq_u32_e32 vcc, 0, v30
	v_add_u32_e32 v38, v40, v69
	v_cndmask_b32_e64 v34, 0, v39, s[2:3]
	v_cndmask_b32_e32 v33, 0, v33, vcc
	v_add_u32_e32 v36, v38, v68
	v_add_u32_e32 v37, v34, v82
	;; [unrolled: 1-line block ×3, first 2 shown]
	s_branch .LBB780_120
.LBB780_108:
                                        ; implicit-def: $vgpr30
                                        ; implicit-def: $vgpr81
                                        ; implicit-def: $vgpr66_vgpr67
                                        ; implicit-def: $vgpr64_vgpr65
                                        ; implicit-def: $vgpr62_vgpr63
                                        ; implicit-def: $vgpr60_vgpr61
                                        ; implicit-def: $vgpr58_vgpr59
                                        ; implicit-def: $vgpr56_vgpr57
                                        ; implicit-def: $vgpr54_vgpr55
                                        ; implicit-def: $vgpr52_vgpr53
                                        ; implicit-def: $vgpr50_vgpr51
                                        ; implicit-def: $vgpr48_vgpr49
                                        ; implicit-def: $vgpr44_vgpr45
                                        ; implicit-def: $vgpr42_vgpr43
                                        ; implicit-def: $vgpr40_vgpr41
                                        ; implicit-def: $vgpr38_vgpr39
                                        ; implicit-def: $vgpr36_vgpr37
	s_cbranch_execz .LBB780_120
; %bb.109:
	s_and_b64 s[2:3], s[34:35], exec
	s_cselect_b32 s3, 0, s61
	s_cselect_b32 s2, 0, s60
	s_cmp_eq_u64 s[2:3], 0
	v_mov_b32_e32 v34, v95
	s_cbranch_scc1 .LBB780_111
; %bb.110:
	v_mov_b32_e32 v30, 0
	global_load_dword v34, v30, s[2:3]
.LBB780_111:
	v_cmp_eq_u32_e64 s[2:3], 0, v80
	v_cndmask_b32_e64 v30, 0, v95, s[2:3]
	v_add_u32_e32 v30, v30, v94
	v_cmp_eq_u32_e64 s[4:5], 0, v79
	v_cndmask_b32_e64 v30, 0, v30, s[4:5]
	v_add_u32_e32 v30, v30, v92
	;; [unrolled: 3-line block ×11, first 2 shown]
	v_cmp_eq_u32_e64 s[24:25], 0, v69
	v_cndmask_b32_e64 v30, 0, v30, s[24:25]
	v_add3_u32 v31, v101, v76, v75
	v_add_u32_e32 v30, v30, v83
	v_cmp_eq_u32_e32 vcc, 0, v68
	v_add3_u32 v31, v31, v74, v73
	v_cndmask_b32_e32 v30, 0, v30, vcc
	v_add3_u32 v31, v31, v72, v71
	v_add_u32_e32 v30, v30, v82
	v_cmp_eq_u32_e64 s[26:27], 0, v1
	v_add3_u32 v31, v31, v70, v69
	v_cndmask_b32_e64 v30, 0, v30, s[26:27]
	v_add3_u32 v31, v31, v68, v1
	v_add_u32_e32 v30, v30, v97
	v_mbcnt_hi_u32_b32 v35, -1, v100
	v_and_b32_e32 v32, 15, v35
	v_mov_b32_dpp v36, v30 row_shr:1 row_mask:0xf bank_mask:0xf
	v_cmp_eq_u32_e64 s[26:27], 0, v31
	v_mov_b32_dpp v33, v31 row_shr:1 row_mask:0xf bank_mask:0xf
	v_cndmask_b32_e64 v36, 0, v36, s[26:27]
	v_cmp_eq_u32_e64 s[26:27], 0, v32
	v_cndmask_b32_e64 v33, v33, 0, s[26:27]
	v_add_u32_e32 v31, v33, v31
	v_cndmask_b32_e64 v33, v36, 0, s[26:27]
	v_add_u32_e32 v30, v33, v30
	v_cmp_eq_u32_e64 s[26:27], 0, v31
	v_mov_b32_dpp v33, v31 row_shr:2 row_mask:0xf bank_mask:0xf
	v_cmp_lt_u32_e64 s[28:29], 1, v32
	v_mov_b32_dpp v36, v30 row_shr:2 row_mask:0xf bank_mask:0xf
	v_cndmask_b32_e64 v33, 0, v33, s[28:29]
	s_and_b64 s[26:27], s[28:29], s[26:27]
	v_cndmask_b32_e64 v36, 0, v36, s[26:27]
	v_add_u32_e32 v31, v31, v33
	v_add_u32_e32 v30, v36, v30
	v_cmp_eq_u32_e64 s[26:27], 0, v31
	v_mov_b32_dpp v33, v31 row_shr:4 row_mask:0xf bank_mask:0xf
	v_cmp_lt_u32_e64 s[28:29], 3, v32
	v_mov_b32_dpp v36, v30 row_shr:4 row_mask:0xf bank_mask:0xf
	v_cndmask_b32_e64 v33, 0, v33, s[28:29]
	s_and_b64 s[26:27], s[28:29], s[26:27]
	v_cndmask_b32_e64 v36, 0, v36, s[26:27]
	v_add_u32_e32 v31, v33, v31
	v_add_u32_e32 v30, v30, v36
	v_cmp_eq_u32_e64 s[26:27], 0, v31
	v_cmp_lt_u32_e64 s[28:29], 7, v32
	v_mov_b32_dpp v33, v31 row_shr:8 row_mask:0xf bank_mask:0xf
	v_mov_b32_dpp v36, v30 row_shr:8 row_mask:0xf bank_mask:0xf
	s_and_b64 s[26:27], s[28:29], s[26:27]
	v_cndmask_b32_e64 v32, 0, v33, s[28:29]
	v_cndmask_b32_e64 v33, 0, v36, s[26:27]
	v_add_u32_e32 v30, v33, v30
	v_add_u32_e32 v31, v32, v31
	v_bfe_i32 v36, v35, 4, 1
	v_mov_b32_dpp v33, v30 row_bcast:15 row_mask:0xf bank_mask:0xf
	v_mov_b32_dpp v32, v31 row_bcast:15 row_mask:0xf bank_mask:0xf
	v_cmp_eq_u32_e64 s[26:27], 0, v31
	v_cndmask_b32_e64 v33, 0, v33, s[26:27]
	v_and_b32_e32 v32, v36, v32
	v_add_u32_e32 v31, v32, v31
	v_and_b32_e32 v32, v36, v33
	v_add_u32_e32 v32, v32, v30
	v_mov_b32_dpp v30, v31 row_bcast:31 row_mask:0xf bank_mask:0xf
	v_cmp_eq_u32_e64 s[26:27], 0, v31
	v_cmp_lt_u32_e64 s[28:29], 31, v35
	v_mov_b32_dpp v33, v32 row_bcast:31 row_mask:0xf bank_mask:0xf
	v_cndmask_b32_e64 v30, 0, v30, s[28:29]
	s_and_b64 s[26:27], s[28:29], s[26:27]
	v_add_u32_e32 v30, v30, v31
	v_cndmask_b32_e64 v31, 0, v33, s[26:27]
	v_add_u32_e32 v31, v31, v32
	v_cmp_eq_u32_e64 s[26:27], v99, v0
	s_and_saveexec_b64 s[28:29], s[26:27]
	s_cbranch_execz .LBB780_113
; %bb.112:
	v_lshlrev_b32_e32 v32, 3, v98
	ds_write_b64 v32, v[30:31] offset:4112
.LBB780_113:
	s_or_b64 exec, exec, s[28:29]
	v_cmp_gt_u32_e64 s[26:27], 4, v0
	s_waitcnt lgkmcnt(0)
	s_barrier
	s_and_saveexec_b64 s[30:31], s[26:27]
	s_cbranch_execz .LBB780_115
; %bb.114:
	v_lshlrev_b32_e32 v36, 3, v0
	ds_read_b64 v[32:33], v36 offset:4112
	v_and_b32_e32 v37, 3, v35
	v_cmp_lt_u32_e64 s[28:29], 1, v37
	s_waitcnt lgkmcnt(0)
	v_mov_b32_dpp v39, v33 row_shr:1 row_mask:0xf bank_mask:0xf
	v_cmp_eq_u32_e64 s[26:27], 0, v32
	v_mov_b32_dpp v38, v32 row_shr:1 row_mask:0xf bank_mask:0xf
	v_cndmask_b32_e64 v39, 0, v39, s[26:27]
	v_cmp_eq_u32_e64 s[26:27], 0, v37
	v_cndmask_b32_e64 v38, v38, 0, s[26:27]
	v_add_u32_e32 v32, v38, v32
	v_cndmask_b32_e64 v38, v39, 0, s[26:27]
	v_add_u32_e32 v33, v38, v33
	v_cmp_eq_u32_e64 s[26:27], 0, v32
	v_mov_b32_dpp v38, v32 row_shr:2 row_mask:0xf bank_mask:0xf
	v_mov_b32_dpp v39, v33 row_shr:2 row_mask:0xf bank_mask:0xf
	v_cndmask_b32_e64 v37, 0, v38, s[28:29]
	s_and_b64 s[26:27], s[28:29], s[26:27]
	v_add_u32_e32 v32, v37, v32
	v_cndmask_b32_e64 v37, 0, v39, s[26:27]
	v_add_u32_e32 v33, v37, v33
	ds_write_b64 v36, v[32:33] offset:4112
.LBB780_115:
	s_or_b64 exec, exec, s[30:31]
	v_cmp_lt_u32_e64 s[26:27], 63, v0
	v_mov_b32_e32 v36, 0
	v_mov_b32_e32 v32, 0
	s_waitcnt vmcnt(0)
	v_mov_b32_e32 v33, v34
	s_waitcnt lgkmcnt(0)
	s_barrier
	s_and_saveexec_b64 s[28:29], s[26:27]
	s_cbranch_execz .LBB780_117
; %bb.116:
	v_lshlrev_b32_e32 v32, 3, v98
	ds_read_b64 v[32:33], v32 offset:4104
	s_waitcnt lgkmcnt(0)
	v_cmp_eq_u32_e64 s[26:27], 0, v32
	v_cndmask_b32_e64 v37, 0, v34, s[26:27]
	v_add_u32_e32 v33, v37, v33
.LBB780_117:
	s_or_b64 exec, exec, s[28:29]
	v_cmp_eq_u32_e64 s[26:27], 0, v30
	v_add_u32_e32 v37, v32, v30
	v_cndmask_b32_e64 v30, 0, v33, s[26:27]
	v_add_u32_e32 v30, v30, v31
	v_add_u32_e32 v31, -1, v35
	v_and_b32_e32 v38, 64, v35
	v_cmp_lt_i32_e64 s[26:27], v31, v38
	v_cndmask_b32_e64 v31, v31, v35, s[26:27]
	v_lshlrev_b32_e32 v31, 2, v31
	ds_bpermute_b32 v30, v31, v30
	ds_bpermute_b32 v37, v31, v37
	v_cmp_eq_u32_e64 s[26:27], 0, v35
	s_waitcnt lgkmcnt(1)
	v_cndmask_b32_e64 v30, v30, v33, s[26:27]
	s_waitcnt lgkmcnt(0)
	v_cndmask_b32_e64 v31, v37, v32, s[26:27]
	v_cndmask_b32_e64 v67, v30, v34, s[0:1]
	v_cmp_eq_u32_e64 s[26:27], 0, v96
	v_cndmask_b32_e64 v30, 0, v67, s[26:27]
	v_add_u32_e32 v65, v30, v95
	v_cndmask_b32_e64 v30, 0, v65, s[2:3]
	v_add_u32_e32 v63, v30, v94
	;; [unrolled: 2-line block ×8, first 2 shown]
	v_cndmask_b32_e64 v66, v31, 0, s[0:1]
	v_cndmask_b32_e64 v30, 0, v51, s[16:17]
	v_add_u32_e32 v64, v66, v96
	v_add_u32_e32 v49, v30, v93
	v_add_u32_e32 v62, v64, v80
	v_cndmask_b32_e64 v30, 0, v49, s[18:19]
	v_add_u32_e32 v60, v62, v79
	v_add_u32_e32 v45, v30, v91
	v_add_u32_e32 v58, v60, v78
	;; [unrolled: 4-line block ×3, first 2 shown]
	v_cndmask_b32_e64 v30, 0, v43, s[22:23]
	v_add_u32_e32 v52, v54, v75
	v_add_u32_e32 v41, v30, v87
	ds_read_b64 v[30:31], v36 offset:4136
	v_add_u32_e32 v50, v52, v74
	v_add_u32_e32 v48, v50, v73
	;; [unrolled: 1-line block ×3, first 2 shown]
	v_cndmask_b32_e64 v32, 0, v41, s[24:25]
	v_add_u32_e32 v42, v44, v71
	v_add_u32_e32 v39, v32, v83
	;; [unrolled: 1-line block ×3, first 2 shown]
	v_cndmask_b32_e32 v32, 0, v39, vcc
	s_waitcnt lgkmcnt(0)
	v_cmp_eq_u32_e32 vcc, 0, v30
	v_add_u32_e32 v38, v40, v69
	v_add_u32_e32 v37, v32, v82
	v_cndmask_b32_e32 v32, 0, v34, vcc
	v_add_u32_e32 v36, v38, v68
	v_add_u32_e32 v81, v32, v31
	s_and_saveexec_b64 s[2:3], s[0:1]
	s_cbranch_execz .LBB780_119
; %bb.118:
	s_add_u32 s4, s44, 0x400
	v_and_b32_e32 v31, 0xff000000, v81
	v_and_b32_e32 v32, 0xff0000, v81
	s_addc_u32 s5, s45, 0
	v_or_b32_e32 v31, v32, v31
	v_and_b32_e32 v32, 0xff00, v81
	v_and_b32_e32 v34, 0xff, v81
	v_mov_b32_e32 v33, 0
	v_or3_b32 v31, v31, v32, v34
	v_mov_b32_e32 v32, 2
	v_pk_mov_b32 v[34:35], s[4:5], s[4:5] op_sel:[0,1]
	;;#ASMSTART
	global_store_dwordx4 v[34:35], v[30:33] off	
s_waitcnt vmcnt(0)
	;;#ASMEND
.LBB780_119:
	s_or_b64 exec, exec, s[2:3]
	v_mov_b32_e32 v32, 0
.LBB780_120:
	s_and_b64 s[2:3], s[34:35], exec
	s_cselect_b32 s3, 0, s59
	s_cselect_b32 s2, 0, s58
	s_cmp_eq_u64 s[2:3], 0
	v_pk_mov_b32 v[34:35], 0, 0
	s_barrier
	s_cbranch_scc1 .LBB780_122
; %bb.121:
	v_mov_b32_e32 v31, 0
	global_load_dwordx2 v[34:35], v31, s[2:3]
.LBB780_122:
	s_waitcnt vmcnt(0)
	v_lshlrev_b64 v[82:83], 3, v[34:35]
	v_mov_b32_e32 v31, s43
	v_add_co_u32_e32 v84, vcc, s42, v82
	v_mov_b32_e32 v33, 0
	v_addc_co_u32_e32 v85, vcc, v31, v83, vcc
	v_lshlrev_b64 v[82:83], 3, v[32:33]
	v_add_co_u32_e32 v31, vcc, v84, v82
	v_addc_co_u32_e32 v82, vcc, v85, v83, vcc
	v_cmp_eq_u32_e32 vcc, 0, v96
	v_cndmask_b32_e64 v83, 1, 2, vcc
	v_cmp_eq_u32_e32 vcc, 0, v80
	v_cndmask_b32_e64 v84, 1, 2, vcc
	v_cmp_eq_u32_e32 vcc, 0, v79
	v_and_b32_e32 v83, v84, v83
	v_cndmask_b32_e64 v84, 1, 2, vcc
	v_cmp_eq_u32_e32 vcc, 0, v78
	v_and_b32_e32 v83, v83, v84
	;; [unrolled: 3-line block ×13, first 2 shown]
	v_cndmask_b32_e64 v84, 1, 2, vcc
	s_movk_i32 s34, 0x100
	v_and_b32_e32 v83, v83, v84
	v_cmp_gt_u32_e32 vcc, s34, v30
	v_cmp_ne_u32_e64 s[30:31], 0, v96
	v_cmp_ne_u32_e64 s[28:29], 0, v80
	;; [unrolled: 1-line block ×15, first 2 shown]
	s_mov_b64 s[40:41], -1
	v_cmp_gt_i16_e64 s[34:35], 2, v83
	s_cbranch_vccz .LBB780_171
; %bb.123:
	s_and_saveexec_b64 s[40:41], s[34:35]
	s_cbranch_execz .LBB780_170
; %bb.124:
	v_cmp_ne_u16_e32 vcc, 1, v83
	s_mov_b64 s[42:43], 0
	s_and_saveexec_b64 s[34:35], vcc
	s_xor_b64 s[34:35], exec, s[34:35]
	s_cbranch_execz .LBB780_148
; %bb.125:
	s_and_saveexec_b64 s[42:43], s[30:31]
	s_cbranch_execz .LBB780_153
; %bb.126:
	v_sub_u32_e32 v84, v66, v32
	v_mov_b32_e32 v85, 0
	v_lshlrev_b64 v[84:85], 3, v[84:85]
	v_add_co_u32_e32 v84, vcc, v31, v84
	v_addc_co_u32_e32 v85, vcc, v82, v85, vcc
	global_store_dwordx2 v[84:85], v[26:27], off
	s_or_b64 exec, exec, s[42:43]
	s_and_saveexec_b64 s[42:43], s[28:29]
	s_cbranch_execnz .LBB780_154
.LBB780_127:
	s_or_b64 exec, exec, s[42:43]
	s_and_saveexec_b64 s[42:43], s[26:27]
	s_cbranch_execz .LBB780_155
.LBB780_128:
	v_sub_u32_e32 v84, v62, v32
	v_mov_b32_e32 v85, 0
	v_lshlrev_b64 v[84:85], 3, v[84:85]
	v_add_co_u32_e32 v84, vcc, v31, v84
	v_addc_co_u32_e32 v85, vcc, v82, v85, vcc
	global_store_dwordx2 v[84:85], v[22:23], off
	s_or_b64 exec, exec, s[42:43]
	s_and_saveexec_b64 s[42:43], s[24:25]
	s_cbranch_execnz .LBB780_156
.LBB780_129:
	s_or_b64 exec, exec, s[42:43]
	s_and_saveexec_b64 s[42:43], s[22:23]
	s_cbranch_execz .LBB780_157
.LBB780_130:
	v_sub_u32_e32 v84, v58, v32
	v_mov_b32_e32 v85, 0
	v_lshlrev_b64 v[84:85], 3, v[84:85]
	v_add_co_u32_e32 v84, vcc, v31, v84
	v_addc_co_u32_e32 v85, vcc, v82, v85, vcc
	global_store_dwordx2 v[84:85], v[18:19], off
	s_or_b64 exec, exec, s[42:43]
	s_and_saveexec_b64 s[42:43], s[20:21]
	s_cbranch_execnz .LBB780_158
.LBB780_131:
	s_or_b64 exec, exec, s[42:43]
	s_and_saveexec_b64 s[42:43], s[18:19]
	s_cbranch_execz .LBB780_159
.LBB780_132:
	v_sub_u32_e32 v84, v54, v32
	v_mov_b32_e32 v85, 0
	v_lshlrev_b64 v[84:85], 3, v[84:85]
	v_add_co_u32_e32 v84, vcc, v31, v84
	v_addc_co_u32_e32 v85, vcc, v82, v85, vcc
	global_store_dwordx2 v[84:85], v[14:15], off
	s_or_b64 exec, exec, s[42:43]
	s_and_saveexec_b64 s[42:43], s[16:17]
	s_cbranch_execnz .LBB780_160
.LBB780_133:
	s_or_b64 exec, exec, s[42:43]
	s_and_saveexec_b64 s[42:43], s[14:15]
	s_cbranch_execz .LBB780_161
.LBB780_134:
	v_sub_u32_e32 v84, v50, v32
	v_mov_b32_e32 v85, 0
	v_lshlrev_b64 v[84:85], 3, v[84:85]
	v_add_co_u32_e32 v84, vcc, v31, v84
	v_addc_co_u32_e32 v85, vcc, v82, v85, vcc
	global_store_dwordx2 v[84:85], v[10:11], off
	s_or_b64 exec, exec, s[42:43]
	s_and_saveexec_b64 s[42:43], s[12:13]
	s_cbranch_execnz .LBB780_162
.LBB780_135:
	s_or_b64 exec, exec, s[42:43]
	s_and_saveexec_b64 s[42:43], s[10:11]
	s_cbranch_execz .LBB780_163
.LBB780_136:
	v_sub_u32_e32 v84, v44, v32
	v_mov_b32_e32 v85, 0
	v_lshlrev_b64 v[84:85], 3, v[84:85]
	v_add_co_u32_e32 v84, vcc, v31, v84
	v_addc_co_u32_e32 v85, vcc, v82, v85, vcc
	global_store_dwordx2 v[84:85], v[6:7], off
	s_or_b64 exec, exec, s[42:43]
	s_and_saveexec_b64 s[42:43], s[8:9]
	s_cbranch_execnz .LBB780_164
.LBB780_137:
	s_or_b64 exec, exec, s[42:43]
	s_and_saveexec_b64 s[42:43], s[6:7]
	s_cbranch_execz .LBB780_165
.LBB780_138:
	v_sub_u32_e32 v84, v40, v32
	v_mov_b32_e32 v85, 0
	v_lshlrev_b64 v[84:85], 3, v[84:85]
	v_add_co_u32_e32 v84, vcc, v31, v84
	v_addc_co_u32_e32 v85, vcc, v82, v85, vcc
	global_store_dwordx2 v[84:85], v[2:3], off
	s_or_b64 exec, exec, s[42:43]
	s_and_saveexec_b64 s[42:43], s[4:5]
	s_cbranch_execnz .LBB780_166
	s_branch .LBB780_167
.LBB780_139:
                                        ; implicit-def: $sgpr4_sgpr5
                                        ; implicit-def: $vgpr1
                                        ; implicit-def: $vgpr68
                                        ; implicit-def: $vgpr69
                                        ; implicit-def: $vgpr70
                                        ; implicit-def: $vgpr71
                                        ; implicit-def: $vgpr72
                                        ; implicit-def: $vgpr73
                                        ; implicit-def: $vgpr74
                                        ; implicit-def: $vgpr75
                                        ; implicit-def: $vgpr76
                                        ; implicit-def: $vgpr77
                                        ; implicit-def: $vgpr78
                                        ; implicit-def: $vgpr79
                                        ; implicit-def: $vgpr80
	s_cbranch_execz .LBB780_73
; %bb.140:
	v_cmp_ne_u64_e32 vcc, v[28:29], v[30:31]
	v_cndmask_b32_e64 v80, 0, 1, vcc
	v_cmp_ne_u64_e32 vcc, v[28:29], v[32:33]
	v_cndmask_b32_e64 v79, 0, 1, vcc
	;; [unrolled: 2-line block ×13, first 2 shown]
	v_cmp_ne_u64_e32 vcc, v[4:5], v[46:47]
	v_lshlrev_b32_e32 v44, 3, v0
	v_cndmask_b32_e64 v1, 0, 1, vcc
	ds_write_b64 v44, v[46:47]
	s_waitcnt lgkmcnt(0)
	s_barrier
	s_waitcnt lgkmcnt(0)
                                        ; implicit-def: $sgpr4_sgpr5
	s_and_saveexec_b64 s[8:9], s[2:3]
	s_xor_b64 s[8:9], exec, s[8:9]
	s_cbranch_execz .LBB780_142
; %bb.141:
	v_add_u32_e32 v30, -8, v44
	ds_read_b64 v[30:31], v30
	s_or_b64 s[6:7], s[6:7], exec
	s_waitcnt lgkmcnt(0)
	v_cmp_ne_u64_e32 vcc, v[30:31], v[26:27]
	s_and_b64 s[4:5], vcc, exec
.LBB780_142:
	s_or_b64 exec, exec, s[8:9]
	s_mov_b32 s12, 1
	s_branch .LBB780_75
.LBB780_143:
	s_mul_hi_u32 s5, s40, 0xfffff100
	s_mul_i32 s4, s41, 0xfffff100
	s_sub_i32 s5, s5, s40
	s_add_i32 s5, s5, s4
	s_mul_i32 s4, s40, 0xfffff100
	s_add_u32 s8, s4, s56
	s_addc_u32 s9, s5, s57
	s_and_b64 vcc, exec, s[30:31]
	s_cbranch_vccz .LBB780_150
; %bb.144:
	v_add_co_u32_e32 v30, vcc, -8, v48
	v_addc_co_u32_e32 v31, vcc, -1, v49, vcc
	flat_load_dwordx2 v[30:31], v[30:31]
	v_mad_u32_u24 v34, v0, 15, 14
	v_mov_b32_e32 v35, 0
	v_cmp_gt_u64_e32 vcc, s[8:9], v[34:35]
	v_cmp_ne_u64_e64 s[4:5], v[4:5], v[46:47]
	v_mad_u32_u24 v34, v0, 15, 13
	s_and_b64 s[6:7], vcc, s[4:5]
	v_cmp_gt_u64_e32 vcc, s[8:9], v[34:35]
	v_cmp_ne_u64_e64 s[4:5], v[2:3], v[4:5]
	v_mad_u32_u24 v34, v0, 15, 12
	s_and_b64 s[10:11], vcc, s[4:5]
	;; [unrolled: 4-line block ×13, first 2 shown]
	v_cmp_gt_u64_e32 vcc, s[8:9], v[34:35]
	v_cmp_ne_u64_e64 s[4:5], v[26:27], v[28:29]
	v_lshlrev_b32_e32 v1, 3, v0
	v_mul_u32_u24_e32 v32, 15, v0
	s_and_b64 s[4:5], vcc, s[4:5]
	ds_write_b64 v1, v[46:47]
	s_waitcnt lgkmcnt(0)
	s_barrier
	s_and_saveexec_b64 s[40:41], s[2:3]
	s_cbranch_execz .LBB780_146
; %bb.145:
	v_add_u32_e32 v1, -8, v1
	s_waitcnt vmcnt(0)
	ds_read_b64 v[30:31], v1
.LBB780_146:
	s_or_b64 exec, exec, s[40:41]
	v_mov_b32_e32 v33, v35
	v_cndmask_b32_e64 v80, 0, 1, s[4:5]
	v_cmp_gt_u64_e32 vcc, s[8:9], v[32:33]
	s_waitcnt vmcnt(0) lgkmcnt(0)
	v_cmp_ne_u64_e64 s[4:5], v[30:31], v[26:27]
	v_cndmask_b32_e64 v1, 0, 1, s[6:7]
	v_cndmask_b32_e64 v68, 0, 1, s[10:11]
	;; [unrolled: 1-line block ×13, first 2 shown]
	s_and_b64 s[4:5], vcc, s[4:5]
	s_mov_b64 s[6:7], -1
.LBB780_147:
                                        ; implicit-def: $sgpr12
	v_mov_b32_e32 v96, s12
	s_and_saveexec_b64 s[2:3], s[6:7]
	s_cbranch_execnz .LBB780_76
	s_branch .LBB780_77
.LBB780_148:
	s_andn2_saveexec_b64 s[34:35], s[34:35]
	s_cbranch_execz .LBB780_168
.LBB780_149:
	v_sub_u32_e32 v84, v66, v32
	v_mov_b32_e32 v85, 0
	v_lshlrev_b64 v[86:87], 3, v[84:85]
	v_add_co_u32_e32 v86, vcc, v31, v86
	v_addc_co_u32_e32 v87, vcc, v82, v87, vcc
	v_sub_u32_e32 v84, v64, v32
	global_store_dwordx2 v[86:87], v[26:27], off
	v_lshlrev_b64 v[86:87], 3, v[84:85]
	v_add_co_u32_e32 v86, vcc, v31, v86
	v_addc_co_u32_e32 v87, vcc, v82, v87, vcc
	v_sub_u32_e32 v84, v62, v32
	global_store_dwordx2 v[86:87], v[28:29], off
	;; [unrolled: 5-line block ×12, first 2 shown]
	v_lshlrev_b64 v[86:87], 3, v[84:85]
	v_add_co_u32_e32 v86, vcc, v31, v86
	v_sub_u32_e32 v84, v38, v32
	v_addc_co_u32_e32 v87, vcc, v82, v87, vcc
	v_lshlrev_b64 v[84:85], 3, v[84:85]
	v_add_co_u32_e32 v84, vcc, v31, v84
	v_addc_co_u32_e32 v85, vcc, v82, v85, vcc
	s_or_b64 s[42:43], s[42:43], exec
	global_store_dwordx2 v[86:87], v[2:3], off
	global_store_dwordx2 v[84:85], v[4:5], off
	s_or_b64 exec, exec, s[34:35]
	s_and_b64 exec, exec, s[42:43]
	s_cbranch_execnz .LBB780_169
	s_branch .LBB780_170
.LBB780_150:
                                        ; implicit-def: $sgpr4_sgpr5
                                        ; implicit-def: $vgpr1
                                        ; implicit-def: $vgpr68
                                        ; implicit-def: $vgpr69
                                        ; implicit-def: $vgpr70
                                        ; implicit-def: $vgpr71
                                        ; implicit-def: $vgpr72
                                        ; implicit-def: $vgpr73
                                        ; implicit-def: $vgpr74
                                        ; implicit-def: $vgpr75
                                        ; implicit-def: $vgpr76
                                        ; implicit-def: $vgpr77
                                        ; implicit-def: $vgpr78
                                        ; implicit-def: $vgpr79
                                        ; implicit-def: $vgpr80
	s_cbranch_execz .LBB780_147
; %bb.151:
	v_mad_u32_u24 v30, v0, 15, 14
	v_mov_b32_e32 v31, 0
	v_cmp_gt_u64_e32 vcc, s[8:9], v[30:31]
	v_cmp_ne_u64_e64 s[4:5], v[4:5], v[46:47]
	s_and_b64 s[4:5], vcc, s[4:5]
	v_mad_u32_u24 v30, v0, 15, 13
	v_cndmask_b32_e64 v1, 0, 1, s[4:5]
	v_cmp_gt_u64_e32 vcc, s[8:9], v[30:31]
	v_cmp_ne_u64_e64 s[4:5], v[2:3], v[4:5]
	s_and_b64 s[4:5], vcc, s[4:5]
	v_mad_u32_u24 v30, v0, 15, 12
	v_cndmask_b32_e64 v68, 0, 1, s[4:5]
	;; [unrolled: 5-line block ×13, first 2 shown]
	v_cmp_gt_u64_e32 vcc, s[8:9], v[30:31]
	v_cmp_ne_u64_e64 s[4:5], v[26:27], v[28:29]
	s_and_b64 s[4:5], vcc, s[4:5]
	v_lshlrev_b32_e32 v32, 3, v0
	s_mov_b32 s12, 1
	v_cndmask_b32_e64 v80, 0, 1, s[4:5]
	ds_write_b64 v32, v[46:47]
	s_waitcnt lgkmcnt(0)
	s_barrier
	s_waitcnt lgkmcnt(0)
                                        ; implicit-def: $sgpr4_sgpr5
	s_and_saveexec_b64 s[10:11], s[2:3]
	s_cbranch_execz .LBB780_190
; %bb.152:
	v_add_u32_e32 v30, -8, v32
	ds_read_b64 v[32:33], v30
	v_mul_u32_u24_e32 v30, 15, v0
	v_cmp_gt_u64_e32 vcc, s[8:9], v[30:31]
	s_or_b64 s[6:7], s[6:7], exec
	s_waitcnt lgkmcnt(0)
	v_cmp_ne_u64_e64 s[2:3], v[32:33], v[26:27]
	s_and_b64 s[2:3], vcc, s[2:3]
	s_and_b64 s[4:5], s[2:3], exec
	s_or_b64 exec, exec, s[10:11]
	v_mov_b32_e32 v96, s12
	s_and_saveexec_b64 s[2:3], s[6:7]
	s_cbranch_execz .LBB780_77
	s_branch .LBB780_76
.LBB780_153:
	s_or_b64 exec, exec, s[42:43]
	s_and_saveexec_b64 s[42:43], s[28:29]
	s_cbranch_execz .LBB780_127
.LBB780_154:
	v_sub_u32_e32 v84, v64, v32
	v_mov_b32_e32 v85, 0
	v_lshlrev_b64 v[84:85], 3, v[84:85]
	v_add_co_u32_e32 v84, vcc, v31, v84
	v_addc_co_u32_e32 v85, vcc, v82, v85, vcc
	global_store_dwordx2 v[84:85], v[28:29], off
	s_or_b64 exec, exec, s[42:43]
	s_and_saveexec_b64 s[42:43], s[26:27]
	s_cbranch_execnz .LBB780_128
.LBB780_155:
	s_or_b64 exec, exec, s[42:43]
	s_and_saveexec_b64 s[42:43], s[24:25]
	s_cbranch_execz .LBB780_129
.LBB780_156:
	v_sub_u32_e32 v84, v60, v32
	v_mov_b32_e32 v85, 0
	v_lshlrev_b64 v[84:85], 3, v[84:85]
	v_add_co_u32_e32 v84, vcc, v31, v84
	v_addc_co_u32_e32 v85, vcc, v82, v85, vcc
	global_store_dwordx2 v[84:85], v[24:25], off
	s_or_b64 exec, exec, s[42:43]
	s_and_saveexec_b64 s[42:43], s[22:23]
	s_cbranch_execnz .LBB780_130
.LBB780_157:
	s_or_b64 exec, exec, s[42:43]
	s_and_saveexec_b64 s[42:43], s[20:21]
	s_cbranch_execz .LBB780_131
.LBB780_158:
	v_sub_u32_e32 v84, v56, v32
	v_mov_b32_e32 v85, 0
	v_lshlrev_b64 v[84:85], 3, v[84:85]
	v_add_co_u32_e32 v84, vcc, v31, v84
	v_addc_co_u32_e32 v85, vcc, v82, v85, vcc
	global_store_dwordx2 v[84:85], v[20:21], off
	s_or_b64 exec, exec, s[42:43]
	s_and_saveexec_b64 s[42:43], s[18:19]
	s_cbranch_execnz .LBB780_132
.LBB780_159:
	s_or_b64 exec, exec, s[42:43]
	s_and_saveexec_b64 s[42:43], s[16:17]
	s_cbranch_execz .LBB780_133
.LBB780_160:
	v_sub_u32_e32 v84, v52, v32
	v_mov_b32_e32 v85, 0
	v_lshlrev_b64 v[84:85], 3, v[84:85]
	v_add_co_u32_e32 v84, vcc, v31, v84
	v_addc_co_u32_e32 v85, vcc, v82, v85, vcc
	global_store_dwordx2 v[84:85], v[16:17], off
	s_or_b64 exec, exec, s[42:43]
	s_and_saveexec_b64 s[42:43], s[14:15]
	s_cbranch_execnz .LBB780_134
.LBB780_161:
	s_or_b64 exec, exec, s[42:43]
	s_and_saveexec_b64 s[42:43], s[12:13]
	s_cbranch_execz .LBB780_135
.LBB780_162:
	v_sub_u32_e32 v84, v48, v32
	v_mov_b32_e32 v85, 0
	v_lshlrev_b64 v[84:85], 3, v[84:85]
	v_add_co_u32_e32 v84, vcc, v31, v84
	v_addc_co_u32_e32 v85, vcc, v82, v85, vcc
	global_store_dwordx2 v[84:85], v[12:13], off
	s_or_b64 exec, exec, s[42:43]
	s_and_saveexec_b64 s[42:43], s[10:11]
	s_cbranch_execnz .LBB780_136
.LBB780_163:
	s_or_b64 exec, exec, s[42:43]
	s_and_saveexec_b64 s[42:43], s[8:9]
	s_cbranch_execz .LBB780_137
.LBB780_164:
	v_sub_u32_e32 v84, v42, v32
	v_mov_b32_e32 v85, 0
	v_lshlrev_b64 v[84:85], 3, v[84:85]
	v_add_co_u32_e32 v84, vcc, v31, v84
	v_addc_co_u32_e32 v85, vcc, v82, v85, vcc
	global_store_dwordx2 v[84:85], v[8:9], off
	s_or_b64 exec, exec, s[42:43]
	s_and_saveexec_b64 s[42:43], s[6:7]
	s_cbranch_execnz .LBB780_138
.LBB780_165:
	s_or_b64 exec, exec, s[42:43]
	s_and_saveexec_b64 s[42:43], s[4:5]
	s_cbranch_execz .LBB780_167
.LBB780_166:
	v_sub_u32_e32 v84, v38, v32
	v_mov_b32_e32 v85, 0
	v_lshlrev_b64 v[84:85], 3, v[84:85]
	v_add_co_u32_e32 v84, vcc, v31, v84
	v_addc_co_u32_e32 v85, vcc, v82, v85, vcc
	global_store_dwordx2 v[84:85], v[4:5], off
.LBB780_167:
	s_or_b64 exec, exec, s[42:43]
	s_and_b64 s[42:43], s[2:3], exec
	s_andn2_saveexec_b64 s[34:35], s[34:35]
	s_cbranch_execnz .LBB780_149
.LBB780_168:
	s_or_b64 exec, exec, s[34:35]
	s_and_b64 exec, exec, s[42:43]
	s_cbranch_execz .LBB780_170
.LBB780_169:
	v_sub_u32_e32 v84, v36, v32
	v_mov_b32_e32 v85, 0
	v_lshlrev_b64 v[84:85], 3, v[84:85]
	v_add_co_u32_e32 v84, vcc, v31, v84
	v_addc_co_u32_e32 v85, vcc, v82, v85, vcc
	global_store_dwordx2 v[84:85], v[46:47], off
.LBB780_170:
	s_or_b64 exec, exec, s[40:41]
	s_mov_b64 s[40:41], 0
.LBB780_171:
	s_and_b64 vcc, exec, s[40:41]
	s_cbranch_vccz .LBB780_212
; %bb.172:
	v_cmp_gt_i16_e32 vcc, 2, v83
	s_and_saveexec_b64 s[34:35], vcc
	s_cbranch_execz .LBB780_208
; %bb.173:
	v_cmp_ne_u16_e32 vcc, 1, v83
	s_mov_b64 s[42:43], 0
	s_and_saveexec_b64 s[40:41], vcc
	s_xor_b64 s[40:41], exec, s[40:41]
	s_cbranch_execz .LBB780_188
; %bb.174:
	s_and_saveexec_b64 s[42:43], s[30:31]
	s_cbranch_execz .LBB780_191
; %bb.175:
	v_sub_u32_e32 v83, v66, v32
	v_lshlrev_b32_e32 v83, 3, v83
	ds_write_b64 v83, v[26:27]
	s_or_b64 exec, exec, s[42:43]
	s_and_saveexec_b64 s[30:31], s[28:29]
	s_cbranch_execnz .LBB780_192
.LBB780_176:
	s_or_b64 exec, exec, s[30:31]
	s_and_saveexec_b64 s[28:29], s[26:27]
	s_cbranch_execz .LBB780_193
.LBB780_177:
	v_sub_u32_e32 v26, v62, v32
	v_lshlrev_b32_e32 v26, 3, v26
	ds_write_b64 v26, v[22:23]
	s_or_b64 exec, exec, s[28:29]
	s_and_saveexec_b64 s[26:27], s[24:25]
	s_cbranch_execnz .LBB780_194
.LBB780_178:
	s_or_b64 exec, exec, s[26:27]
	s_and_saveexec_b64 s[24:25], s[22:23]
	s_cbranch_execz .LBB780_195
.LBB780_179:
	v_sub_u32_e32 v22, v58, v32
	v_lshlrev_b32_e32 v22, 3, v22
	ds_write_b64 v22, v[18:19]
	s_or_b64 exec, exec, s[24:25]
	s_and_saveexec_b64 s[22:23], s[20:21]
	s_cbranch_execnz .LBB780_196
.LBB780_180:
	s_or_b64 exec, exec, s[22:23]
	s_and_saveexec_b64 s[20:21], s[18:19]
	s_cbranch_execz .LBB780_197
.LBB780_181:
	v_sub_u32_e32 v18, v54, v32
	v_lshlrev_b32_e32 v18, 3, v18
	ds_write_b64 v18, v[14:15]
	s_or_b64 exec, exec, s[20:21]
	s_and_saveexec_b64 s[18:19], s[16:17]
	s_cbranch_execnz .LBB780_198
.LBB780_182:
	s_or_b64 exec, exec, s[18:19]
	s_and_saveexec_b64 s[16:17], s[14:15]
	s_cbranch_execz .LBB780_199
.LBB780_183:
	v_sub_u32_e32 v14, v50, v32
	v_lshlrev_b32_e32 v14, 3, v14
	ds_write_b64 v14, v[10:11]
	s_or_b64 exec, exec, s[16:17]
	s_and_saveexec_b64 s[14:15], s[12:13]
	s_cbranch_execnz .LBB780_200
.LBB780_184:
	s_or_b64 exec, exec, s[14:15]
	s_and_saveexec_b64 s[12:13], s[10:11]
	s_cbranch_execz .LBB780_201
.LBB780_185:
	v_sub_u32_e32 v10, v44, v32
	v_lshlrev_b32_e32 v10, 3, v10
	ds_write_b64 v10, v[6:7]
	s_or_b64 exec, exec, s[12:13]
	s_and_saveexec_b64 s[10:11], s[8:9]
	s_cbranch_execnz .LBB780_202
.LBB780_186:
	s_or_b64 exec, exec, s[10:11]
	s_and_saveexec_b64 s[8:9], s[6:7]
	s_cbranch_execz .LBB780_203
.LBB780_187:
	v_sub_u32_e32 v6, v40, v32
	v_lshlrev_b32_e32 v6, 3, v6
	ds_write_b64 v6, v[2:3]
	s_or_b64 exec, exec, s[8:9]
	s_and_saveexec_b64 s[6:7], s[4:5]
	s_cbranch_execnz .LBB780_204
	s_branch .LBB780_205
.LBB780_188:
	s_andn2_saveexec_b64 s[2:3], s[40:41]
	s_cbranch_execz .LBB780_206
.LBB780_189:
	v_sub_u32_e32 v83, v66, v32
	v_lshlrev_b32_e32 v83, 3, v83
	ds_write_b64 v83, v[26:27]
	v_sub_u32_e32 v26, v64, v32
	v_lshlrev_b32_e32 v26, 3, v26
	ds_write_b64 v26, v[28:29]
	;; [unrolled: 3-line block ×13, first 2 shown]
	v_sub_u32_e32 v2, v38, v32
	v_lshlrev_b32_e32 v2, 3, v2
	s_or_b64 s[42:43], s[42:43], exec
	ds_write_b64 v2, v[4:5]
	s_or_b64 exec, exec, s[2:3]
	s_and_b64 exec, exec, s[42:43]
	s_cbranch_execnz .LBB780_207
	s_branch .LBB780_208
.LBB780_190:
	s_or_b64 exec, exec, s[10:11]
	v_mov_b32_e32 v96, s12
	s_and_saveexec_b64 s[2:3], s[6:7]
	s_cbranch_execnz .LBB780_76
	s_branch .LBB780_77
.LBB780_191:
	s_or_b64 exec, exec, s[42:43]
	s_and_saveexec_b64 s[30:31], s[28:29]
	s_cbranch_execz .LBB780_176
.LBB780_192:
	v_sub_u32_e32 v26, v64, v32
	v_lshlrev_b32_e32 v26, 3, v26
	ds_write_b64 v26, v[28:29]
	s_or_b64 exec, exec, s[30:31]
	s_and_saveexec_b64 s[28:29], s[26:27]
	s_cbranch_execnz .LBB780_177
.LBB780_193:
	s_or_b64 exec, exec, s[28:29]
	s_and_saveexec_b64 s[26:27], s[24:25]
	s_cbranch_execz .LBB780_178
.LBB780_194:
	v_sub_u32_e32 v22, v60, v32
	v_lshlrev_b32_e32 v22, 3, v22
	ds_write_b64 v22, v[24:25]
	s_or_b64 exec, exec, s[26:27]
	s_and_saveexec_b64 s[24:25], s[22:23]
	s_cbranch_execnz .LBB780_179
.LBB780_195:
	s_or_b64 exec, exec, s[24:25]
	s_and_saveexec_b64 s[22:23], s[20:21]
	s_cbranch_execz .LBB780_180
.LBB780_196:
	v_sub_u32_e32 v18, v56, v32
	v_lshlrev_b32_e32 v18, 3, v18
	ds_write_b64 v18, v[20:21]
	s_or_b64 exec, exec, s[22:23]
	s_and_saveexec_b64 s[20:21], s[18:19]
	s_cbranch_execnz .LBB780_181
.LBB780_197:
	s_or_b64 exec, exec, s[20:21]
	s_and_saveexec_b64 s[18:19], s[16:17]
	s_cbranch_execz .LBB780_182
.LBB780_198:
	v_sub_u32_e32 v14, v52, v32
	v_lshlrev_b32_e32 v14, 3, v14
	ds_write_b64 v14, v[16:17]
	s_or_b64 exec, exec, s[18:19]
	s_and_saveexec_b64 s[16:17], s[14:15]
	s_cbranch_execnz .LBB780_183
.LBB780_199:
	s_or_b64 exec, exec, s[16:17]
	s_and_saveexec_b64 s[14:15], s[12:13]
	s_cbranch_execz .LBB780_184
.LBB780_200:
	v_sub_u32_e32 v10, v48, v32
	v_lshlrev_b32_e32 v10, 3, v10
	ds_write_b64 v10, v[12:13]
	s_or_b64 exec, exec, s[14:15]
	s_and_saveexec_b64 s[12:13], s[10:11]
	s_cbranch_execnz .LBB780_185
.LBB780_201:
	s_or_b64 exec, exec, s[12:13]
	s_and_saveexec_b64 s[10:11], s[8:9]
	s_cbranch_execz .LBB780_186
.LBB780_202:
	v_sub_u32_e32 v6, v42, v32
	v_lshlrev_b32_e32 v6, 3, v6
	ds_write_b64 v6, v[8:9]
	s_or_b64 exec, exec, s[10:11]
	s_and_saveexec_b64 s[8:9], s[6:7]
	s_cbranch_execnz .LBB780_187
.LBB780_203:
	s_or_b64 exec, exec, s[8:9]
	s_and_saveexec_b64 s[6:7], s[4:5]
	s_cbranch_execz .LBB780_205
.LBB780_204:
	v_sub_u32_e32 v2, v38, v32
	v_lshlrev_b32_e32 v2, 3, v2
	ds_write_b64 v2, v[4:5]
.LBB780_205:
	s_or_b64 exec, exec, s[6:7]
	s_and_b64 s[42:43], s[2:3], exec
                                        ; implicit-def: $vgpr2_vgpr3
                                        ; implicit-def: $vgpr6_vgpr7
                                        ; implicit-def: $vgpr10_vgpr11
                                        ; implicit-def: $vgpr14_vgpr15
                                        ; implicit-def: $vgpr18_vgpr19
                                        ; implicit-def: $vgpr22_vgpr23
                                        ; implicit-def: $vgpr26_vgpr27
	s_andn2_saveexec_b64 s[2:3], s[40:41]
	s_cbranch_execnz .LBB780_189
.LBB780_206:
	s_or_b64 exec, exec, s[2:3]
	s_and_b64 exec, exec, s[42:43]
	s_cbranch_execz .LBB780_208
.LBB780_207:
	v_sub_u32_e32 v2, v36, v32
	v_lshlrev_b32_e32 v2, 3, v2
	ds_write_b64 v2, v[46:47]
.LBB780_208:
	s_or_b64 exec, exec, s[34:35]
	v_cmp_lt_u32_e32 vcc, v0, v30
	s_waitcnt lgkmcnt(0)
	s_barrier
	s_and_saveexec_b64 s[2:3], vcc
	s_cbranch_execz .LBB780_211
; %bb.209:
	v_lshlrev_b32_e32 v4, 3, v0
	s_mov_b64 s[4:5], 0
	v_mov_b32_e32 v3, 0
	v_mov_b32_e32 v2, v0
.LBB780_210:                            ; =>This Inner Loop Header: Depth=1
	v_lshlrev_b64 v[6:7], 3, v[2:3]
	ds_read_b64 v[8:9], v4
	v_add_co_u32_e32 v6, vcc, v31, v6
	v_add_u32_e32 v2, 0x100, v2
	v_addc_co_u32_e32 v7, vcc, v82, v7, vcc
	v_cmp_ge_u32_e32 vcc, v2, v30
	v_add_u32_e32 v4, 0x800, v4
	s_or_b64 s[4:5], vcc, s[4:5]
	s_waitcnt lgkmcnt(0)
	global_store_dwordx2 v[6:7], v[8:9], off
	s_andn2_b64 exec, exec, s[4:5]
	s_cbranch_execnz .LBB780_210
.LBB780_211:
	s_or_b64 exec, exec, s[2:3]
.LBB780_212:
	s_cmpk_lg_i32 s33, 0xf00
	s_cselect_b64 s[2:3], -1, 0
	v_cndmask_b32_e64 v3, 0, 1, s[38:39]
	s_and_b64 s[2:3], s[2:3], s[36:37]
	v_sub_u32_e32 v4, v30, v3
	v_cndmask_b32_e64 v2, 0, 1, s[2:3]
	s_and_b64 s[0:1], s[0:1], s[38:39]
	v_add_u32_e32 v6, v4, v2
	v_cndmask_b32_e64 v4, v96, 0, s[0:1]
	s_mul_hi_u32 s0, s33, 0x88888889
	s_lshr_b32 s0, s0, 3
	v_mad_i32_i24 v5, v0, -15, s33
	v_cmp_eq_u32_e32 vcc, s0, v0
	v_cmp_ne_u32_e64 s[0:1], 0, v5
	v_cndmask_b32_e64 v7, 1, v4, s[0:1]
	v_cmp_ne_u32_e64 s[0:1], 1, v5
	v_cndmask_b32_e64 v8, 1, v80, s[0:1]
	;; [unrolled: 2-line block ×15, first 2 shown]
	s_and_b64 vcc, vcc, s[36:37]
	v_cndmask_b32_e32 v21, v1, v5, vcc
	v_cndmask_b32_e32 v25, v4, v7, vcc
	v_lshlrev_b64 v[4:5], 2, v[34:35]
	v_cndmask_b32_e32 v20, v68, v20, vcc
	v_cndmask_b32_e32 v19, v69, v19, vcc
	;; [unrolled: 1-line block ×13, first 2 shown]
	v_mov_b32_e32 v1, s53
	v_add_co_u32_e32 v7, vcc, s52, v4
	v_addc_co_u32_e32 v1, vcc, v1, v5, vcc
	v_lshlrev_b64 v[4:5], 2, v[32:33]
	v_add_co_u32_e32 v7, vcc, v7, v4
	v_addc_co_u32_e32 v8, vcc, v1, v5, vcc
	v_lshlrev_b32_e32 v1, 2, v3
	v_add_co_u32_e32 v1, vcc, v1, v7
	v_addc_co_u32_e32 v4, vcc, 0, v8, vcc
	v_add_co_u32_e32 v9, vcc, -4, v1
	v_addc_co_u32_e32 v10, vcc, -1, v4, vcc
	v_cmp_eq_u32_e32 vcc, 0, v25
	v_cndmask_b32_e64 v4, 1, 2, vcc
	v_cmp_eq_u32_e32 vcc, 0, v24
	v_cndmask_b32_e64 v5, 1, 2, vcc
	v_cmp_eq_u32_e32 vcc, 0, v23
	v_and_b32_e32 v4, v5, v4
	v_cndmask_b32_e64 v5, 1, 2, vcc
	v_cmp_eq_u32_e32 vcc, 0, v22
	v_and_b32_e32 v4, v4, v5
	;; [unrolled: 3-line block ×13, first 2 shown]
	v_cndmask_b32_e64 v5, 1, 2, vcc
	s_movk_i32 s30, 0x100
	v_and_b32_e32 v4, v4, v5
	v_cmp_gt_u32_e32 vcc, s30, v6
	v_add_u32_e32 v1, v32, v3
	v_cmp_ne_u32_e64 s[28:29], 0, v25
	v_cmp_ne_u32_e64 s[26:27], 0, v24
	v_cmp_ne_u32_e64 s[24:25], 0, v23
	v_cmp_ne_u32_e64 s[22:23], 0, v22
	v_cmp_ne_u32_e64 s[20:21], 0, v11
	v_cmp_ne_u32_e64 s[18:19], 0, v12
	v_cmp_ne_u32_e64 s[16:17], 0, v13
	v_cmp_ne_u32_e64 s[14:15], 0, v14
	v_cmp_ne_u32_e64 s[12:13], 0, v15
	v_cmp_ne_u32_e64 s[10:11], 0, v16
	v_cmp_ne_u32_e64 s[8:9], 0, v17
	v_cmp_ne_u32_e64 s[6:7], 0, v18
	v_cmp_ne_u32_e64 s[4:5], 0, v19
	v_cmp_ne_u32_e64 s[2:3], 0, v20
	v_cmp_ne_u32_e64 s[0:1], 0, v21
	s_mov_b64 s[34:35], -1
	v_cmp_gt_i16_e64 s[30:31], 2, v4
	s_barrier
	s_cbranch_vccz .LBB780_249
; %bb.213:
	s_and_saveexec_b64 s[34:35], s[30:31]
	s_cbranch_execz .LBB780_248
; %bb.214:
	v_cmp_ne_u16_e32 vcc, 1, v4
	s_mov_b64 s[38:39], 0
	s_and_saveexec_b64 s[30:31], vcc
	s_xor_b64 s[30:31], exec, s[30:31]
	s_cbranch_execz .LBB780_229
; %bb.215:
	s_and_saveexec_b64 s[38:39], s[28:29]
	s_cbranch_execz .LBB780_231
; %bb.216:
	v_sub_u32_e32 v12, v66, v1
	v_mov_b32_e32 v13, 0
	v_lshlrev_b64 v[12:13], 2, v[12:13]
	v_add_co_u32_e32 v12, vcc, v9, v12
	v_addc_co_u32_e32 v13, vcc, v10, v13, vcc
	global_store_dword v[12:13], v67, off
	s_or_b64 exec, exec, s[38:39]
	s_and_saveexec_b64 s[38:39], s[26:27]
	s_cbranch_execnz .LBB780_232
.LBB780_217:
	s_or_b64 exec, exec, s[38:39]
	s_and_saveexec_b64 s[38:39], s[24:25]
	s_cbranch_execz .LBB780_233
.LBB780_218:
	v_sub_u32_e32 v12, v62, v1
	v_mov_b32_e32 v13, 0
	v_lshlrev_b64 v[12:13], 2, v[12:13]
	v_add_co_u32_e32 v12, vcc, v9, v12
	v_addc_co_u32_e32 v13, vcc, v10, v13, vcc
	global_store_dword v[12:13], v63, off
	s_or_b64 exec, exec, s[38:39]
	s_and_saveexec_b64 s[38:39], s[22:23]
	s_cbranch_execnz .LBB780_234
.LBB780_219:
	s_or_b64 exec, exec, s[38:39]
	s_and_saveexec_b64 s[38:39], s[20:21]
	s_cbranch_execz .LBB780_235
.LBB780_220:
	v_sub_u32_e32 v12, v58, v1
	v_mov_b32_e32 v13, 0
	v_lshlrev_b64 v[12:13], 2, v[12:13]
	v_add_co_u32_e32 v12, vcc, v9, v12
	v_addc_co_u32_e32 v13, vcc, v10, v13, vcc
	global_store_dword v[12:13], v59, off
	s_or_b64 exec, exec, s[38:39]
	s_and_saveexec_b64 s[38:39], s[18:19]
	s_cbranch_execnz .LBB780_236
.LBB780_221:
	s_or_b64 exec, exec, s[38:39]
	s_and_saveexec_b64 s[38:39], s[16:17]
	s_cbranch_execz .LBB780_237
.LBB780_222:
	v_sub_u32_e32 v12, v54, v1
	v_mov_b32_e32 v13, 0
	v_lshlrev_b64 v[12:13], 2, v[12:13]
	v_add_co_u32_e32 v12, vcc, v9, v12
	v_addc_co_u32_e32 v13, vcc, v10, v13, vcc
	global_store_dword v[12:13], v55, off
	s_or_b64 exec, exec, s[38:39]
	s_and_saveexec_b64 s[38:39], s[14:15]
	s_cbranch_execnz .LBB780_238
.LBB780_223:
	s_or_b64 exec, exec, s[38:39]
	s_and_saveexec_b64 s[38:39], s[12:13]
	s_cbranch_execz .LBB780_239
.LBB780_224:
	v_sub_u32_e32 v12, v50, v1
	v_mov_b32_e32 v13, 0
	v_lshlrev_b64 v[12:13], 2, v[12:13]
	v_add_co_u32_e32 v12, vcc, v9, v12
	v_addc_co_u32_e32 v13, vcc, v10, v13, vcc
	global_store_dword v[12:13], v51, off
	s_or_b64 exec, exec, s[38:39]
	s_and_saveexec_b64 s[38:39], s[10:11]
	s_cbranch_execnz .LBB780_240
.LBB780_225:
	s_or_b64 exec, exec, s[38:39]
	s_and_saveexec_b64 s[38:39], s[8:9]
	s_cbranch_execz .LBB780_241
.LBB780_226:
	v_sub_u32_e32 v12, v44, v1
	v_mov_b32_e32 v13, 0
	v_lshlrev_b64 v[12:13], 2, v[12:13]
	v_add_co_u32_e32 v12, vcc, v9, v12
	v_addc_co_u32_e32 v13, vcc, v10, v13, vcc
	global_store_dword v[12:13], v45, off
	s_or_b64 exec, exec, s[38:39]
	s_and_saveexec_b64 s[38:39], s[6:7]
	s_cbranch_execnz .LBB780_242
.LBB780_227:
	s_or_b64 exec, exec, s[38:39]
	s_and_saveexec_b64 s[38:39], s[4:5]
	s_cbranch_execz .LBB780_243
.LBB780_228:
	v_sub_u32_e32 v12, v40, v1
	v_mov_b32_e32 v13, 0
	v_lshlrev_b64 v[12:13], 2, v[12:13]
	v_add_co_u32_e32 v12, vcc, v9, v12
	v_addc_co_u32_e32 v13, vcc, v10, v13, vcc
	global_store_dword v[12:13], v41, off
	s_or_b64 exec, exec, s[38:39]
	s_and_saveexec_b64 s[38:39], s[2:3]
	s_cbranch_execnz .LBB780_244
	s_branch .LBB780_245
.LBB780_229:
	s_andn2_saveexec_b64 s[30:31], s[30:31]
	s_cbranch_execz .LBB780_246
.LBB780_230:
	v_sub_u32_e32 v12, v66, v1
	v_mov_b32_e32 v13, 0
	v_lshlrev_b64 v[14:15], 2, v[12:13]
	v_add_co_u32_e32 v14, vcc, v9, v14
	v_addc_co_u32_e32 v15, vcc, v10, v15, vcc
	v_sub_u32_e32 v12, v64, v1
	global_store_dword v[14:15], v67, off
	v_lshlrev_b64 v[14:15], 2, v[12:13]
	v_add_co_u32_e32 v14, vcc, v9, v14
	v_addc_co_u32_e32 v15, vcc, v10, v15, vcc
	v_sub_u32_e32 v12, v62, v1
	global_store_dword v[14:15], v65, off
	;; [unrolled: 5-line block ×12, first 2 shown]
	v_lshlrev_b64 v[14:15], 2, v[12:13]
	v_add_co_u32_e32 v14, vcc, v9, v14
	v_sub_u32_e32 v12, v38, v1
	v_addc_co_u32_e32 v15, vcc, v10, v15, vcc
	v_lshlrev_b64 v[12:13], 2, v[12:13]
	v_add_co_u32_e32 v12, vcc, v9, v12
	v_addc_co_u32_e32 v13, vcc, v10, v13, vcc
	s_or_b64 s[38:39], s[38:39], exec
	global_store_dword v[14:15], v41, off
	global_store_dword v[12:13], v39, off
	s_or_b64 exec, exec, s[30:31]
	s_and_b64 exec, exec, s[38:39]
	s_cbranch_execnz .LBB780_247
	s_branch .LBB780_248
.LBB780_231:
	s_or_b64 exec, exec, s[38:39]
	s_and_saveexec_b64 s[38:39], s[26:27]
	s_cbranch_execz .LBB780_217
.LBB780_232:
	v_sub_u32_e32 v12, v64, v1
	v_mov_b32_e32 v13, 0
	v_lshlrev_b64 v[12:13], 2, v[12:13]
	v_add_co_u32_e32 v12, vcc, v9, v12
	v_addc_co_u32_e32 v13, vcc, v10, v13, vcc
	global_store_dword v[12:13], v65, off
	s_or_b64 exec, exec, s[38:39]
	s_and_saveexec_b64 s[38:39], s[24:25]
	s_cbranch_execnz .LBB780_218
.LBB780_233:
	s_or_b64 exec, exec, s[38:39]
	s_and_saveexec_b64 s[38:39], s[22:23]
	s_cbranch_execz .LBB780_219
.LBB780_234:
	v_sub_u32_e32 v12, v60, v1
	v_mov_b32_e32 v13, 0
	v_lshlrev_b64 v[12:13], 2, v[12:13]
	v_add_co_u32_e32 v12, vcc, v9, v12
	v_addc_co_u32_e32 v13, vcc, v10, v13, vcc
	global_store_dword v[12:13], v61, off
	s_or_b64 exec, exec, s[38:39]
	s_and_saveexec_b64 s[38:39], s[20:21]
	s_cbranch_execnz .LBB780_220
.LBB780_235:
	s_or_b64 exec, exec, s[38:39]
	s_and_saveexec_b64 s[38:39], s[18:19]
	s_cbranch_execz .LBB780_221
.LBB780_236:
	v_sub_u32_e32 v12, v56, v1
	v_mov_b32_e32 v13, 0
	v_lshlrev_b64 v[12:13], 2, v[12:13]
	v_add_co_u32_e32 v12, vcc, v9, v12
	v_addc_co_u32_e32 v13, vcc, v10, v13, vcc
	global_store_dword v[12:13], v57, off
	s_or_b64 exec, exec, s[38:39]
	s_and_saveexec_b64 s[38:39], s[16:17]
	s_cbranch_execnz .LBB780_222
.LBB780_237:
	s_or_b64 exec, exec, s[38:39]
	s_and_saveexec_b64 s[38:39], s[14:15]
	s_cbranch_execz .LBB780_223
.LBB780_238:
	v_sub_u32_e32 v12, v52, v1
	v_mov_b32_e32 v13, 0
	v_lshlrev_b64 v[12:13], 2, v[12:13]
	v_add_co_u32_e32 v12, vcc, v9, v12
	v_addc_co_u32_e32 v13, vcc, v10, v13, vcc
	global_store_dword v[12:13], v53, off
	s_or_b64 exec, exec, s[38:39]
	s_and_saveexec_b64 s[38:39], s[12:13]
	s_cbranch_execnz .LBB780_224
.LBB780_239:
	s_or_b64 exec, exec, s[38:39]
	s_and_saveexec_b64 s[38:39], s[10:11]
	s_cbranch_execz .LBB780_225
.LBB780_240:
	v_sub_u32_e32 v12, v48, v1
	v_mov_b32_e32 v13, 0
	v_lshlrev_b64 v[12:13], 2, v[12:13]
	v_add_co_u32_e32 v12, vcc, v9, v12
	v_addc_co_u32_e32 v13, vcc, v10, v13, vcc
	global_store_dword v[12:13], v49, off
	s_or_b64 exec, exec, s[38:39]
	s_and_saveexec_b64 s[38:39], s[8:9]
	s_cbranch_execnz .LBB780_226
.LBB780_241:
	s_or_b64 exec, exec, s[38:39]
	s_and_saveexec_b64 s[38:39], s[6:7]
	s_cbranch_execz .LBB780_227
.LBB780_242:
	v_sub_u32_e32 v12, v42, v1
	v_mov_b32_e32 v13, 0
	v_lshlrev_b64 v[12:13], 2, v[12:13]
	v_add_co_u32_e32 v12, vcc, v9, v12
	v_addc_co_u32_e32 v13, vcc, v10, v13, vcc
	global_store_dword v[12:13], v43, off
	s_or_b64 exec, exec, s[38:39]
	s_and_saveexec_b64 s[38:39], s[4:5]
	s_cbranch_execnz .LBB780_228
.LBB780_243:
	s_or_b64 exec, exec, s[38:39]
	s_and_saveexec_b64 s[38:39], s[2:3]
	s_cbranch_execz .LBB780_245
.LBB780_244:
	v_sub_u32_e32 v12, v38, v1
	v_mov_b32_e32 v13, 0
	v_lshlrev_b64 v[12:13], 2, v[12:13]
	v_add_co_u32_e32 v12, vcc, v9, v12
	v_addc_co_u32_e32 v13, vcc, v10, v13, vcc
	global_store_dword v[12:13], v39, off
.LBB780_245:
	s_or_b64 exec, exec, s[38:39]
	s_and_b64 s[38:39], s[0:1], exec
	s_andn2_saveexec_b64 s[30:31], s[30:31]
	s_cbranch_execnz .LBB780_230
.LBB780_246:
	s_or_b64 exec, exec, s[30:31]
	s_and_b64 exec, exec, s[38:39]
	s_cbranch_execz .LBB780_248
.LBB780_247:
	v_sub_u32_e32 v12, v36, v1
	v_mov_b32_e32 v13, 0
	v_lshlrev_b64 v[12:13], 2, v[12:13]
	v_add_co_u32_e32 v12, vcc, v9, v12
	v_addc_co_u32_e32 v13, vcc, v10, v13, vcc
	global_store_dword v[12:13], v37, off
.LBB780_248:
	s_or_b64 exec, exec, s[34:35]
	s_mov_b64 s[34:35], 0
.LBB780_249:
	s_and_b64 vcc, exec, s[34:35]
	s_cbranch_vccz .LBB780_301
; %bb.250:
	v_cmp_gt_i16_e32 vcc, 2, v4
	s_and_saveexec_b64 s[30:31], vcc
	s_cbranch_execz .LBB780_285
; %bb.251:
	v_cmp_ne_u16_e32 vcc, 1, v4
	s_mov_b64 s[38:39], 0
	s_and_saveexec_b64 s[34:35], vcc
	s_xor_b64 s[34:35], exec, s[34:35]
	s_cbranch_execz .LBB780_266
; %bb.252:
	s_and_saveexec_b64 s[38:39], s[28:29]
	s_cbranch_execz .LBB780_268
; %bb.253:
	v_sub_u32_e32 v4, v66, v1
	v_lshlrev_b32_e32 v4, 2, v4
	ds_write_b32 v4, v67
	s_or_b64 exec, exec, s[38:39]
	s_and_saveexec_b64 s[28:29], s[26:27]
	s_cbranch_execnz .LBB780_269
.LBB780_254:
	s_or_b64 exec, exec, s[28:29]
	s_and_saveexec_b64 s[26:27], s[24:25]
	s_cbranch_execz .LBB780_270
.LBB780_255:
	v_sub_u32_e32 v4, v62, v1
	v_lshlrev_b32_e32 v4, 2, v4
	ds_write_b32 v4, v63
	s_or_b64 exec, exec, s[26:27]
	s_and_saveexec_b64 s[24:25], s[22:23]
	s_cbranch_execnz .LBB780_271
.LBB780_256:
	s_or_b64 exec, exec, s[24:25]
	s_and_saveexec_b64 s[22:23], s[20:21]
	s_cbranch_execz .LBB780_272
.LBB780_257:
	v_sub_u32_e32 v4, v58, v1
	v_lshlrev_b32_e32 v4, 2, v4
	ds_write_b32 v4, v59
	s_or_b64 exec, exec, s[22:23]
	s_and_saveexec_b64 s[20:21], s[18:19]
	s_cbranch_execnz .LBB780_273
.LBB780_258:
	s_or_b64 exec, exec, s[20:21]
	s_and_saveexec_b64 s[18:19], s[16:17]
	s_cbranch_execz .LBB780_274
.LBB780_259:
	v_sub_u32_e32 v4, v54, v1
	v_lshlrev_b32_e32 v4, 2, v4
	ds_write_b32 v4, v55
	s_or_b64 exec, exec, s[18:19]
	s_and_saveexec_b64 s[16:17], s[14:15]
	s_cbranch_execnz .LBB780_275
.LBB780_260:
	s_or_b64 exec, exec, s[16:17]
	s_and_saveexec_b64 s[14:15], s[12:13]
	s_cbranch_execz .LBB780_276
.LBB780_261:
	v_sub_u32_e32 v4, v50, v1
	v_lshlrev_b32_e32 v4, 2, v4
	ds_write_b32 v4, v51
	s_or_b64 exec, exec, s[14:15]
	s_and_saveexec_b64 s[12:13], s[10:11]
	s_cbranch_execnz .LBB780_277
.LBB780_262:
	s_or_b64 exec, exec, s[12:13]
	s_and_saveexec_b64 s[10:11], s[8:9]
	s_cbranch_execz .LBB780_278
.LBB780_263:
	v_sub_u32_e32 v4, v44, v1
	v_lshlrev_b32_e32 v4, 2, v4
	ds_write_b32 v4, v45
	s_or_b64 exec, exec, s[10:11]
	s_and_saveexec_b64 s[8:9], s[6:7]
	s_cbranch_execnz .LBB780_279
.LBB780_264:
	s_or_b64 exec, exec, s[8:9]
	s_and_saveexec_b64 s[6:7], s[4:5]
	s_cbranch_execz .LBB780_280
.LBB780_265:
	v_sub_u32_e32 v4, v40, v1
	v_lshlrev_b32_e32 v4, 2, v4
	ds_write_b32 v4, v41
	s_or_b64 exec, exec, s[6:7]
	s_and_saveexec_b64 s[4:5], s[2:3]
	s_cbranch_execnz .LBB780_281
	s_branch .LBB780_282
.LBB780_266:
	s_andn2_saveexec_b64 s[0:1], s[34:35]
	s_cbranch_execz .LBB780_283
.LBB780_267:
	v_sub_u32_e32 v4, v66, v1
	v_lshlrev_b32_e32 v4, 2, v4
	ds_write_b32 v4, v67
	v_sub_u32_e32 v4, v64, v1
	v_lshlrev_b32_e32 v4, 2, v4
	ds_write_b32 v4, v65
	;; [unrolled: 3-line block ×13, first 2 shown]
	v_sub_u32_e32 v4, v38, v1
	v_lshlrev_b32_e32 v4, 2, v4
	s_or_b64 s[38:39], s[38:39], exec
	ds_write_b32 v4, v39
	s_or_b64 exec, exec, s[0:1]
	s_and_b64 exec, exec, s[38:39]
	s_cbranch_execnz .LBB780_284
	s_branch .LBB780_285
.LBB780_268:
	s_or_b64 exec, exec, s[38:39]
	s_and_saveexec_b64 s[28:29], s[26:27]
	s_cbranch_execz .LBB780_254
.LBB780_269:
	v_sub_u32_e32 v4, v64, v1
	v_lshlrev_b32_e32 v4, 2, v4
	ds_write_b32 v4, v65
	s_or_b64 exec, exec, s[28:29]
	s_and_saveexec_b64 s[26:27], s[24:25]
	s_cbranch_execnz .LBB780_255
.LBB780_270:
	s_or_b64 exec, exec, s[26:27]
	s_and_saveexec_b64 s[24:25], s[22:23]
	s_cbranch_execz .LBB780_256
.LBB780_271:
	v_sub_u32_e32 v4, v60, v1
	v_lshlrev_b32_e32 v4, 2, v4
	ds_write_b32 v4, v61
	s_or_b64 exec, exec, s[24:25]
	s_and_saveexec_b64 s[22:23], s[20:21]
	s_cbranch_execnz .LBB780_257
.LBB780_272:
	s_or_b64 exec, exec, s[22:23]
	s_and_saveexec_b64 s[20:21], s[18:19]
	s_cbranch_execz .LBB780_258
.LBB780_273:
	v_sub_u32_e32 v4, v56, v1
	v_lshlrev_b32_e32 v4, 2, v4
	ds_write_b32 v4, v57
	s_or_b64 exec, exec, s[20:21]
	s_and_saveexec_b64 s[18:19], s[16:17]
	s_cbranch_execnz .LBB780_259
.LBB780_274:
	s_or_b64 exec, exec, s[18:19]
	s_and_saveexec_b64 s[16:17], s[14:15]
	s_cbranch_execz .LBB780_260
.LBB780_275:
	v_sub_u32_e32 v4, v52, v1
	v_lshlrev_b32_e32 v4, 2, v4
	ds_write_b32 v4, v53
	s_or_b64 exec, exec, s[16:17]
	s_and_saveexec_b64 s[14:15], s[12:13]
	s_cbranch_execnz .LBB780_261
.LBB780_276:
	s_or_b64 exec, exec, s[14:15]
	s_and_saveexec_b64 s[12:13], s[10:11]
	s_cbranch_execz .LBB780_262
.LBB780_277:
	v_sub_u32_e32 v4, v48, v1
	v_lshlrev_b32_e32 v4, 2, v4
	ds_write_b32 v4, v49
	s_or_b64 exec, exec, s[12:13]
	s_and_saveexec_b64 s[10:11], s[8:9]
	s_cbranch_execnz .LBB780_263
.LBB780_278:
	s_or_b64 exec, exec, s[10:11]
	s_and_saveexec_b64 s[8:9], s[6:7]
	s_cbranch_execz .LBB780_264
.LBB780_279:
	v_sub_u32_e32 v4, v42, v1
	v_lshlrev_b32_e32 v4, 2, v4
	ds_write_b32 v4, v43
	s_or_b64 exec, exec, s[8:9]
	s_and_saveexec_b64 s[6:7], s[4:5]
	s_cbranch_execnz .LBB780_265
.LBB780_280:
	s_or_b64 exec, exec, s[6:7]
	s_and_saveexec_b64 s[4:5], s[2:3]
	s_cbranch_execz .LBB780_282
.LBB780_281:
	v_sub_u32_e32 v4, v38, v1
	v_lshlrev_b32_e32 v4, 2, v4
	ds_write_b32 v4, v39
.LBB780_282:
	s_or_b64 exec, exec, s[4:5]
	s_and_b64 s[38:39], s[0:1], exec
                                        ; implicit-def: $vgpr66_vgpr67
                                        ; implicit-def: $vgpr64_vgpr65
                                        ; implicit-def: $vgpr62_vgpr63
                                        ; implicit-def: $vgpr60_vgpr61
                                        ; implicit-def: $vgpr58_vgpr59
                                        ; implicit-def: $vgpr56_vgpr57
                                        ; implicit-def: $vgpr54_vgpr55
                                        ; implicit-def: $vgpr52_vgpr53
                                        ; implicit-def: $vgpr50_vgpr51
                                        ; implicit-def: $vgpr48_vgpr49
                                        ; implicit-def: $vgpr44_vgpr45
                                        ; implicit-def: $vgpr42_vgpr43
                                        ; implicit-def: $vgpr40_vgpr41
                                        ; implicit-def: $vgpr38_vgpr39
	s_andn2_saveexec_b64 s[0:1], s[34:35]
	s_cbranch_execnz .LBB780_267
.LBB780_283:
	s_or_b64 exec, exec, s[0:1]
	s_and_b64 exec, exec, s[38:39]
	s_cbranch_execz .LBB780_285
.LBB780_284:
	v_sub_u32_e32 v1, v36, v1
	v_lshlrev_b32_e32 v1, 2, v1
	ds_write_b32 v1, v37
.LBB780_285:
	s_or_b64 exec, exec, s[30:31]
	v_cmp_lt_u32_e32 vcc, v0, v6
	s_waitcnt lgkmcnt(0)
	s_barrier
	s_and_saveexec_b64 s[2:3], vcc
	s_cbranch_execz .LBB780_300
; %bb.286:
	v_add_u32_e32 v4, v30, v2
	v_xad_u32 v1, v0, -1, v4
	v_sub_u32_e32 v1, v1, v3
	s_movk_i32 s0, 0x1900
	v_cmp_gt_u32_e64 s[4:5], s0, v1
	s_movk_i32 s0, 0x18ff
	v_cmp_lt_u32_e32 vcc, s0, v1
	v_mov_b32_e32 v2, v0
	s_and_saveexec_b64 s[6:7], vcc
	s_cbranch_execz .LBB780_297
; %bb.287:
	v_sub_u32_e32 v2, v0, v4
	v_add_u32_e32 v2, v2, v3
	v_or_b32_e32 v2, 0xff, v2
	v_cmp_ge_u32_e32 vcc, v2, v0
	s_mov_b64 s[0:1], -1
	v_mov_b32_e32 v2, v0
	s_and_saveexec_b64 s[8:9], vcc
	s_cbranch_execz .LBB780_296
; %bb.288:
	v_lshrrev_b32_e32 v11, 8, v1
	v_add_u32_e32 v2, -1, v11
	v_or_b32_e32 v1, 0x100, v0
	v_lshrrev_b32_e32 v3, 1, v2
	v_add_u32_e32 v13, 1, v3
	v_cmp_lt_u32_e32 vcc, 13, v2
	v_mov_b32_e32 v16, 0
	v_lshlrev_b32_e32 v12, 2, v0
	v_pk_mov_b32 v[2:3], v[0:1], v[0:1] op_sel:[0,1]
	s_and_saveexec_b64 s[10:11], vcc
	s_cbranch_execz .LBB780_292
; %bb.289:
	v_and_b32_e32 v14, -8, v13
	s_mov_b32 s14, 0
	s_mov_b64 s[12:13], 0
	v_mov_b32_e32 v5, 0
	v_mov_b32_e32 v15, v12
	v_pk_mov_b32 v[2:3], v[0:1], v[0:1] op_sel:[0,1]
.LBB780_290:                            ; =>This Inner Loop Header: Depth=1
	v_mov_b32_e32 v4, v2
	v_add_u32_e32 v14, -8, v14
	v_lshlrev_b64 v[52:53], 2, v[4:5]
	v_mov_b32_e32 v4, v3
	ds_read2st64_b32 v[18:19], v15 offset1:4
	s_add_i32 s14, s14, 16
	v_cmp_eq_u32_e32 vcc, 0, v14
	v_lshlrev_b64 v[56:57], 2, v[4:5]
	v_add_u32_e32 v4, 0x200, v2
	s_or_b64 s[12:13], vcc, s[12:13]
	v_add_co_u32_e32 v56, vcc, v9, v56
	v_add_u32_e32 v16, 0x200, v3
	v_mov_b32_e32 v17, v5
	ds_read2st64_b32 v[20:21], v15 offset0:8 offset1:12
	ds_read2st64_b32 v[24:25], v15 offset0:16 offset1:20
	v_add_co_u32_e64 v52, s[0:1], v9, v52
	v_addc_co_u32_e32 v57, vcc, v10, v57, vcc
	v_lshlrev_b64 v[58:59], 2, v[4:5]
	v_lshlrev_b64 v[54:55], 2, v[16:17]
	v_addc_co_u32_e64 v53, s[0:1], v10, v53, s[0:1]
	v_add_u32_e32 v4, 0x400, v2
	v_add_co_u32_e32 v58, vcc, v9, v58
	v_add_u32_e32 v22, 0x400, v3
	v_mov_b32_e32 v23, v5
	ds_read2st64_b32 v[28:29], v15 offset0:24 offset1:28
	v_add_co_u32_e64 v54, s[0:1], v9, v54
	v_addc_co_u32_e32 v59, vcc, v10, v59, vcc
	v_lshlrev_b64 v[60:61], 2, v[4:5]
	ds_read2st64_b32 v[38:39], v15 offset0:32 offset1:36
	ds_read2st64_b32 v[42:43], v15 offset0:40 offset1:44
	ds_read2st64_b32 v[46:47], v15 offset0:48 offset1:52
	ds_read2st64_b32 v[50:51], v15 offset0:56 offset1:60
	v_lshlrev_b64 v[22:23], 2, v[22:23]
	v_addc_co_u32_e64 v55, s[0:1], v10, v55, s[0:1]
	v_add_u32_e32 v4, 0x600, v2
	s_waitcnt lgkmcnt(7)
	global_store_dword v[52:53], v18, off
	global_store_dword v[56:57], v19, off
	s_waitcnt lgkmcnt(6)
	global_store_dword v[58:59], v20, off
	global_store_dword v[54:55], v21, off
	v_add_co_u32_e32 v18, vcc, v9, v60
	v_add_u32_e32 v26, 0x600, v3
	v_mov_b32_e32 v27, v5
	v_add_co_u32_e64 v22, s[0:1], v9, v22
	v_addc_co_u32_e32 v19, vcc, v10, v61, vcc
	v_lshlrev_b64 v[20:21], 2, v[4:5]
	v_lshlrev_b64 v[26:27], 2, v[26:27]
	v_addc_co_u32_e64 v23, s[0:1], v10, v23, s[0:1]
	v_add_u32_e32 v4, 0x800, v2
	s_waitcnt lgkmcnt(5)
	global_store_dword v[18:19], v24, off
	global_store_dword v[22:23], v25, off
	v_add_co_u32_e32 v18, vcc, v9, v20
	v_add_u32_e32 v36, 0x800, v3
	v_mov_b32_e32 v37, v5
	v_add_co_u32_e64 v26, s[0:1], v9, v26
	v_addc_co_u32_e32 v19, vcc, v10, v21, vcc
	v_lshlrev_b64 v[20:21], 2, v[4:5]
	v_lshlrev_b64 v[36:37], 2, v[36:37]
	v_addc_co_u32_e64 v27, s[0:1], v10, v27, s[0:1]
	v_add_u32_e32 v4, 0xa00, v2
	;; [unrolled: 12-line block ×4, first 2 shown]
	s_waitcnt lgkmcnt(2)
	global_store_dword v[18:19], v42, off
	global_store_dword v[40:41], v43, off
	v_add_co_u32_e32 v18, vcc, v9, v20
	v_add_u32_e32 v48, 0xe00, v3
	v_mov_b32_e32 v49, v5
	v_add_co_u32_e64 v44, s[0:1], v9, v44
	v_addc_co_u32_e32 v19, vcc, v10, v21, vcc
	v_lshlrev_b64 v[20:21], 2, v[4:5]
	v_lshlrev_b64 v[48:49], 2, v[48:49]
	v_addc_co_u32_e64 v45, s[0:1], v10, v45, s[0:1]
	s_waitcnt lgkmcnt(1)
	global_store_dword v[18:19], v46, off
	global_store_dword v[44:45], v47, off
	v_add_co_u32_e32 v18, vcc, v9, v20
	v_add_u32_e32 v15, 0x4000, v15
	v_add_u32_e32 v3, 0x1000, v3
	v_mov_b32_e32 v16, s14
	v_add_co_u32_e64 v48, s[0:1], v9, v48
	v_add_u32_e32 v2, 0x1000, v2
	v_addc_co_u32_e32 v19, vcc, v10, v21, vcc
	v_addc_co_u32_e64 v49, s[0:1], v10, v49, s[0:1]
	s_waitcnt lgkmcnt(0)
	global_store_dword v[18:19], v50, off
	global_store_dword v[48:49], v51, off
	s_andn2_b64 exec, exec, s[12:13]
	s_cbranch_execnz .LBB780_290
; %bb.291:
	s_or_b64 exec, exec, s[12:13]
.LBB780_292:
	s_or_b64 exec, exec, s[10:11]
	v_and_b32_e32 v1, 7, v13
	v_cmp_ne_u32_e32 vcc, 0, v1
	s_and_saveexec_b64 s[10:11], vcc
	s_cbranch_execz .LBB780_295
; %bb.293:
	v_lshl_or_b32 v12, v16, 10, v12
	s_mov_b64 s[12:13], 0
	v_mov_b32_e32 v5, 0
.LBB780_294:                            ; =>This Inner Loop Header: Depth=1
	ds_read2st64_b32 v[14:15], v12 offset1:4
	v_mov_b32_e32 v4, v2
	v_add_u32_e32 v1, -1, v1
	v_lshlrev_b64 v[16:17], 2, v[4:5]
	v_mov_b32_e32 v4, v3
	v_cmp_eq_u32_e32 vcc, 0, v1
	v_add_co_u32_e64 v16, s[0:1], v9, v16
	v_lshlrev_b64 v[18:19], 2, v[4:5]
	v_add_u32_e32 v2, 0x200, v2
	v_add_u32_e32 v12, 0x800, v12
	;; [unrolled: 1-line block ×3, first 2 shown]
	v_addc_co_u32_e64 v17, s[0:1], v10, v17, s[0:1]
	s_or_b64 s[12:13], vcc, s[12:13]
	v_add_co_u32_e32 v18, vcc, v9, v18
	v_addc_co_u32_e32 v19, vcc, v10, v19, vcc
	s_waitcnt lgkmcnt(0)
	global_store_dword v[16:17], v14, off
	global_store_dword v[18:19], v15, off
	s_andn2_b64 exec, exec, s[12:13]
	s_cbranch_execnz .LBB780_294
.LBB780_295:
	s_or_b64 exec, exec, s[10:11]
	v_add_u32_e32 v1, 1, v11
	v_and_b32_e32 v3, 0x1fffffe, v1
	v_cmp_ne_u32_e32 vcc, v1, v3
	v_lshl_or_b32 v2, v3, 8, v0
	s_orn2_b64 s[0:1], vcc, exec
.LBB780_296:
	s_or_b64 exec, exec, s[8:9]
	s_andn2_b64 s[4:5], s[4:5], exec
	s_and_b64 s[0:1], s[0:1], exec
	s_or_b64 s[4:5], s[4:5], s[0:1]
.LBB780_297:
	s_or_b64 exec, exec, s[6:7]
	s_and_b64 exec, exec, s[4:5]
	s_cbranch_execz .LBB780_300
; %bb.298:
	v_lshlrev_b32_e32 v1, 2, v2
	s_mov_b64 s[0:1], 0
	v_mov_b32_e32 v3, 0
.LBB780_299:                            ; =>This Inner Loop Header: Depth=1
	v_lshlrev_b64 v[4:5], 2, v[2:3]
	ds_read_b32 v11, v1
	v_add_co_u32_e32 v4, vcc, v9, v4
	v_add_u32_e32 v2, 0x100, v2
	v_addc_co_u32_e32 v5, vcc, v10, v5, vcc
	v_cmp_ge_u32_e32 vcc, v2, v6
	v_add_u32_e32 v1, 0x400, v1
	s_or_b64 s[0:1], vcc, s[0:1]
	s_waitcnt lgkmcnt(0)
	global_store_dword v[4:5], v11, off
	s_andn2_b64 exec, exec, s[0:1]
	s_cbranch_execnz .LBB780_299
.LBB780_300:
	s_or_b64 exec, exec, s[2:3]
.LBB780_301:
	s_movk_i32 s0, 0xff
	v_cmp_eq_u32_e32 vcc, s0, v0
	s_and_b64 s[0:1], vcc, s[36:37]
	s_and_saveexec_b64 s[2:3], s[0:1]
	s_cbranch_execz .LBB780_304
; %bb.302:
	v_add_co_u32_e32 v0, vcc, v30, v32
	v_addc_co_u32_e64 v1, s[0:1], 0, 0, vcc
	v_add_co_u32_e32 v0, vcc, v0, v34
	v_mov_b32_e32 v31, 0
	v_addc_co_u32_e32 v1, vcc, v1, v35, vcc
	s_cmpk_lg_i32 s33, 0xf00
	global_store_dwordx2 v31, v[0:1], s[54:55]
	s_cbranch_scc1 .LBB780_304
; %bb.303:
	v_lshlrev_b64 v[0:1], 2, v[30:31]
	v_add_co_u32_e32 v0, vcc, v7, v0
	v_addc_co_u32_e32 v1, vcc, v8, v1, vcc
	global_store_dword v[0:1], v81, off offset:-4
.LBB780_304:
	s_endpgm
	.section	.rodata,"a",@progbits
	.p2align	6, 0x0
	.amdhsa_kernel _ZN7rocprim17ROCPRIM_400000_NS6detail17trampoline_kernelINS0_14default_configENS1_29reduce_by_key_config_selectorIxjN6thrust23THRUST_200600_302600_NS4plusIjEEEEZZNS1_33reduce_by_key_impl_wrapped_configILNS1_25lookback_scan_determinismE0ES3_S9_NS6_6detail15normal_iteratorINS6_10device_ptrIxEEEENSD_INSE_IjEEEESG_SI_PmS8_NS6_8equal_toIxEEEE10hipError_tPvRmT2_T3_mT4_T5_T6_T7_T8_P12ihipStream_tbENKUlT_T0_E_clISt17integral_constantIbLb1EES13_EEDaSY_SZ_EUlSY_E_NS1_11comp_targetILNS1_3genE4ELNS1_11target_archE910ELNS1_3gpuE8ELNS1_3repE0EEENS1_30default_config_static_selectorELNS0_4arch9wavefront6targetE1EEEvT1_
		.amdhsa_group_segment_fixed_size 30720
		.amdhsa_private_segment_fixed_size 0
		.amdhsa_kernarg_size 120
		.amdhsa_user_sgpr_count 6
		.amdhsa_user_sgpr_private_segment_buffer 1
		.amdhsa_user_sgpr_dispatch_ptr 0
		.amdhsa_user_sgpr_queue_ptr 0
		.amdhsa_user_sgpr_kernarg_segment_ptr 1
		.amdhsa_user_sgpr_dispatch_id 0
		.amdhsa_user_sgpr_flat_scratch_init 0
		.amdhsa_user_sgpr_kernarg_preload_length 0
		.amdhsa_user_sgpr_kernarg_preload_offset 0
		.amdhsa_user_sgpr_private_segment_size 0
		.amdhsa_uses_dynamic_stack 0
		.amdhsa_system_sgpr_private_segment_wavefront_offset 0
		.amdhsa_system_sgpr_workgroup_id_x 1
		.amdhsa_system_sgpr_workgroup_id_y 0
		.amdhsa_system_sgpr_workgroup_id_z 0
		.amdhsa_system_sgpr_workgroup_info 0
		.amdhsa_system_vgpr_workitem_id 0
		.amdhsa_next_free_vgpr 102
		.amdhsa_next_free_sgpr 66
		.amdhsa_accum_offset 104
		.amdhsa_reserve_vcc 1
		.amdhsa_reserve_flat_scratch 0
		.amdhsa_float_round_mode_32 0
		.amdhsa_float_round_mode_16_64 0
		.amdhsa_float_denorm_mode_32 3
		.amdhsa_float_denorm_mode_16_64 3
		.amdhsa_dx10_clamp 1
		.amdhsa_ieee_mode 1
		.amdhsa_fp16_overflow 0
		.amdhsa_tg_split 0
		.amdhsa_exception_fp_ieee_invalid_op 0
		.amdhsa_exception_fp_denorm_src 0
		.amdhsa_exception_fp_ieee_div_zero 0
		.amdhsa_exception_fp_ieee_overflow 0
		.amdhsa_exception_fp_ieee_underflow 0
		.amdhsa_exception_fp_ieee_inexact 0
		.amdhsa_exception_int_div_zero 0
	.end_amdhsa_kernel
	.section	.text._ZN7rocprim17ROCPRIM_400000_NS6detail17trampoline_kernelINS0_14default_configENS1_29reduce_by_key_config_selectorIxjN6thrust23THRUST_200600_302600_NS4plusIjEEEEZZNS1_33reduce_by_key_impl_wrapped_configILNS1_25lookback_scan_determinismE0ES3_S9_NS6_6detail15normal_iteratorINS6_10device_ptrIxEEEENSD_INSE_IjEEEESG_SI_PmS8_NS6_8equal_toIxEEEE10hipError_tPvRmT2_T3_mT4_T5_T6_T7_T8_P12ihipStream_tbENKUlT_T0_E_clISt17integral_constantIbLb1EES13_EEDaSY_SZ_EUlSY_E_NS1_11comp_targetILNS1_3genE4ELNS1_11target_archE910ELNS1_3gpuE8ELNS1_3repE0EEENS1_30default_config_static_selectorELNS0_4arch9wavefront6targetE1EEEvT1_,"axG",@progbits,_ZN7rocprim17ROCPRIM_400000_NS6detail17trampoline_kernelINS0_14default_configENS1_29reduce_by_key_config_selectorIxjN6thrust23THRUST_200600_302600_NS4plusIjEEEEZZNS1_33reduce_by_key_impl_wrapped_configILNS1_25lookback_scan_determinismE0ES3_S9_NS6_6detail15normal_iteratorINS6_10device_ptrIxEEEENSD_INSE_IjEEEESG_SI_PmS8_NS6_8equal_toIxEEEE10hipError_tPvRmT2_T3_mT4_T5_T6_T7_T8_P12ihipStream_tbENKUlT_T0_E_clISt17integral_constantIbLb1EES13_EEDaSY_SZ_EUlSY_E_NS1_11comp_targetILNS1_3genE4ELNS1_11target_archE910ELNS1_3gpuE8ELNS1_3repE0EEENS1_30default_config_static_selectorELNS0_4arch9wavefront6targetE1EEEvT1_,comdat
.Lfunc_end780:
	.size	_ZN7rocprim17ROCPRIM_400000_NS6detail17trampoline_kernelINS0_14default_configENS1_29reduce_by_key_config_selectorIxjN6thrust23THRUST_200600_302600_NS4plusIjEEEEZZNS1_33reduce_by_key_impl_wrapped_configILNS1_25lookback_scan_determinismE0ES3_S9_NS6_6detail15normal_iteratorINS6_10device_ptrIxEEEENSD_INSE_IjEEEESG_SI_PmS8_NS6_8equal_toIxEEEE10hipError_tPvRmT2_T3_mT4_T5_T6_T7_T8_P12ihipStream_tbENKUlT_T0_E_clISt17integral_constantIbLb1EES13_EEDaSY_SZ_EUlSY_E_NS1_11comp_targetILNS1_3genE4ELNS1_11target_archE910ELNS1_3gpuE8ELNS1_3repE0EEENS1_30default_config_static_selectorELNS0_4arch9wavefront6targetE1EEEvT1_, .Lfunc_end780-_ZN7rocprim17ROCPRIM_400000_NS6detail17trampoline_kernelINS0_14default_configENS1_29reduce_by_key_config_selectorIxjN6thrust23THRUST_200600_302600_NS4plusIjEEEEZZNS1_33reduce_by_key_impl_wrapped_configILNS1_25lookback_scan_determinismE0ES3_S9_NS6_6detail15normal_iteratorINS6_10device_ptrIxEEEENSD_INSE_IjEEEESG_SI_PmS8_NS6_8equal_toIxEEEE10hipError_tPvRmT2_T3_mT4_T5_T6_T7_T8_P12ihipStream_tbENKUlT_T0_E_clISt17integral_constantIbLb1EES13_EEDaSY_SZ_EUlSY_E_NS1_11comp_targetILNS1_3genE4ELNS1_11target_archE910ELNS1_3gpuE8ELNS1_3repE0EEENS1_30default_config_static_selectorELNS0_4arch9wavefront6targetE1EEEvT1_
                                        ; -- End function
	.section	.AMDGPU.csdata,"",@progbits
; Kernel info:
; codeLenInByte = 16672
; NumSgprs: 70
; NumVgprs: 102
; NumAgprs: 0
; TotalNumVgprs: 102
; ScratchSize: 0
; MemoryBound: 0
; FloatMode: 240
; IeeeMode: 1
; LDSByteSize: 30720 bytes/workgroup (compile time only)
; SGPRBlocks: 8
; VGPRBlocks: 12
; NumSGPRsForWavesPerEU: 70
; NumVGPRsForWavesPerEU: 102
; AccumOffset: 104
; Occupancy: 2
; WaveLimiterHint : 1
; COMPUTE_PGM_RSRC2:SCRATCH_EN: 0
; COMPUTE_PGM_RSRC2:USER_SGPR: 6
; COMPUTE_PGM_RSRC2:TRAP_HANDLER: 0
; COMPUTE_PGM_RSRC2:TGID_X_EN: 1
; COMPUTE_PGM_RSRC2:TGID_Y_EN: 0
; COMPUTE_PGM_RSRC2:TGID_Z_EN: 0
; COMPUTE_PGM_RSRC2:TIDIG_COMP_CNT: 0
; COMPUTE_PGM_RSRC3_GFX90A:ACCUM_OFFSET: 25
; COMPUTE_PGM_RSRC3_GFX90A:TG_SPLIT: 0
	.section	.text._ZN7rocprim17ROCPRIM_400000_NS6detail17trampoline_kernelINS0_14default_configENS1_29reduce_by_key_config_selectorIxjN6thrust23THRUST_200600_302600_NS4plusIjEEEEZZNS1_33reduce_by_key_impl_wrapped_configILNS1_25lookback_scan_determinismE0ES3_S9_NS6_6detail15normal_iteratorINS6_10device_ptrIxEEEENSD_INSE_IjEEEESG_SI_PmS8_NS6_8equal_toIxEEEE10hipError_tPvRmT2_T3_mT4_T5_T6_T7_T8_P12ihipStream_tbENKUlT_T0_E_clISt17integral_constantIbLb1EES13_EEDaSY_SZ_EUlSY_E_NS1_11comp_targetILNS1_3genE3ELNS1_11target_archE908ELNS1_3gpuE7ELNS1_3repE0EEENS1_30default_config_static_selectorELNS0_4arch9wavefront6targetE1EEEvT1_,"axG",@progbits,_ZN7rocprim17ROCPRIM_400000_NS6detail17trampoline_kernelINS0_14default_configENS1_29reduce_by_key_config_selectorIxjN6thrust23THRUST_200600_302600_NS4plusIjEEEEZZNS1_33reduce_by_key_impl_wrapped_configILNS1_25lookback_scan_determinismE0ES3_S9_NS6_6detail15normal_iteratorINS6_10device_ptrIxEEEENSD_INSE_IjEEEESG_SI_PmS8_NS6_8equal_toIxEEEE10hipError_tPvRmT2_T3_mT4_T5_T6_T7_T8_P12ihipStream_tbENKUlT_T0_E_clISt17integral_constantIbLb1EES13_EEDaSY_SZ_EUlSY_E_NS1_11comp_targetILNS1_3genE3ELNS1_11target_archE908ELNS1_3gpuE7ELNS1_3repE0EEENS1_30default_config_static_selectorELNS0_4arch9wavefront6targetE1EEEvT1_,comdat
	.protected	_ZN7rocprim17ROCPRIM_400000_NS6detail17trampoline_kernelINS0_14default_configENS1_29reduce_by_key_config_selectorIxjN6thrust23THRUST_200600_302600_NS4plusIjEEEEZZNS1_33reduce_by_key_impl_wrapped_configILNS1_25lookback_scan_determinismE0ES3_S9_NS6_6detail15normal_iteratorINS6_10device_ptrIxEEEENSD_INSE_IjEEEESG_SI_PmS8_NS6_8equal_toIxEEEE10hipError_tPvRmT2_T3_mT4_T5_T6_T7_T8_P12ihipStream_tbENKUlT_T0_E_clISt17integral_constantIbLb1EES13_EEDaSY_SZ_EUlSY_E_NS1_11comp_targetILNS1_3genE3ELNS1_11target_archE908ELNS1_3gpuE7ELNS1_3repE0EEENS1_30default_config_static_selectorELNS0_4arch9wavefront6targetE1EEEvT1_ ; -- Begin function _ZN7rocprim17ROCPRIM_400000_NS6detail17trampoline_kernelINS0_14default_configENS1_29reduce_by_key_config_selectorIxjN6thrust23THRUST_200600_302600_NS4plusIjEEEEZZNS1_33reduce_by_key_impl_wrapped_configILNS1_25lookback_scan_determinismE0ES3_S9_NS6_6detail15normal_iteratorINS6_10device_ptrIxEEEENSD_INSE_IjEEEESG_SI_PmS8_NS6_8equal_toIxEEEE10hipError_tPvRmT2_T3_mT4_T5_T6_T7_T8_P12ihipStream_tbENKUlT_T0_E_clISt17integral_constantIbLb1EES13_EEDaSY_SZ_EUlSY_E_NS1_11comp_targetILNS1_3genE3ELNS1_11target_archE908ELNS1_3gpuE7ELNS1_3repE0EEENS1_30default_config_static_selectorELNS0_4arch9wavefront6targetE1EEEvT1_
	.globl	_ZN7rocprim17ROCPRIM_400000_NS6detail17trampoline_kernelINS0_14default_configENS1_29reduce_by_key_config_selectorIxjN6thrust23THRUST_200600_302600_NS4plusIjEEEEZZNS1_33reduce_by_key_impl_wrapped_configILNS1_25lookback_scan_determinismE0ES3_S9_NS6_6detail15normal_iteratorINS6_10device_ptrIxEEEENSD_INSE_IjEEEESG_SI_PmS8_NS6_8equal_toIxEEEE10hipError_tPvRmT2_T3_mT4_T5_T6_T7_T8_P12ihipStream_tbENKUlT_T0_E_clISt17integral_constantIbLb1EES13_EEDaSY_SZ_EUlSY_E_NS1_11comp_targetILNS1_3genE3ELNS1_11target_archE908ELNS1_3gpuE7ELNS1_3repE0EEENS1_30default_config_static_selectorELNS0_4arch9wavefront6targetE1EEEvT1_
	.p2align	8
	.type	_ZN7rocprim17ROCPRIM_400000_NS6detail17trampoline_kernelINS0_14default_configENS1_29reduce_by_key_config_selectorIxjN6thrust23THRUST_200600_302600_NS4plusIjEEEEZZNS1_33reduce_by_key_impl_wrapped_configILNS1_25lookback_scan_determinismE0ES3_S9_NS6_6detail15normal_iteratorINS6_10device_ptrIxEEEENSD_INSE_IjEEEESG_SI_PmS8_NS6_8equal_toIxEEEE10hipError_tPvRmT2_T3_mT4_T5_T6_T7_T8_P12ihipStream_tbENKUlT_T0_E_clISt17integral_constantIbLb1EES13_EEDaSY_SZ_EUlSY_E_NS1_11comp_targetILNS1_3genE3ELNS1_11target_archE908ELNS1_3gpuE7ELNS1_3repE0EEENS1_30default_config_static_selectorELNS0_4arch9wavefront6targetE1EEEvT1_,@function
_ZN7rocprim17ROCPRIM_400000_NS6detail17trampoline_kernelINS0_14default_configENS1_29reduce_by_key_config_selectorIxjN6thrust23THRUST_200600_302600_NS4plusIjEEEEZZNS1_33reduce_by_key_impl_wrapped_configILNS1_25lookback_scan_determinismE0ES3_S9_NS6_6detail15normal_iteratorINS6_10device_ptrIxEEEENSD_INSE_IjEEEESG_SI_PmS8_NS6_8equal_toIxEEEE10hipError_tPvRmT2_T3_mT4_T5_T6_T7_T8_P12ihipStream_tbENKUlT_T0_E_clISt17integral_constantIbLb1EES13_EEDaSY_SZ_EUlSY_E_NS1_11comp_targetILNS1_3genE3ELNS1_11target_archE908ELNS1_3gpuE7ELNS1_3repE0EEENS1_30default_config_static_selectorELNS0_4arch9wavefront6targetE1EEEvT1_: ; @_ZN7rocprim17ROCPRIM_400000_NS6detail17trampoline_kernelINS0_14default_configENS1_29reduce_by_key_config_selectorIxjN6thrust23THRUST_200600_302600_NS4plusIjEEEEZZNS1_33reduce_by_key_impl_wrapped_configILNS1_25lookback_scan_determinismE0ES3_S9_NS6_6detail15normal_iteratorINS6_10device_ptrIxEEEENSD_INSE_IjEEEESG_SI_PmS8_NS6_8equal_toIxEEEE10hipError_tPvRmT2_T3_mT4_T5_T6_T7_T8_P12ihipStream_tbENKUlT_T0_E_clISt17integral_constantIbLb1EES13_EEDaSY_SZ_EUlSY_E_NS1_11comp_targetILNS1_3genE3ELNS1_11target_archE908ELNS1_3gpuE7ELNS1_3repE0EEENS1_30default_config_static_selectorELNS0_4arch9wavefront6targetE1EEEvT1_
; %bb.0:
	.section	.rodata,"a",@progbits
	.p2align	6, 0x0
	.amdhsa_kernel _ZN7rocprim17ROCPRIM_400000_NS6detail17trampoline_kernelINS0_14default_configENS1_29reduce_by_key_config_selectorIxjN6thrust23THRUST_200600_302600_NS4plusIjEEEEZZNS1_33reduce_by_key_impl_wrapped_configILNS1_25lookback_scan_determinismE0ES3_S9_NS6_6detail15normal_iteratorINS6_10device_ptrIxEEEENSD_INSE_IjEEEESG_SI_PmS8_NS6_8equal_toIxEEEE10hipError_tPvRmT2_T3_mT4_T5_T6_T7_T8_P12ihipStream_tbENKUlT_T0_E_clISt17integral_constantIbLb1EES13_EEDaSY_SZ_EUlSY_E_NS1_11comp_targetILNS1_3genE3ELNS1_11target_archE908ELNS1_3gpuE7ELNS1_3repE0EEENS1_30default_config_static_selectorELNS0_4arch9wavefront6targetE1EEEvT1_
		.amdhsa_group_segment_fixed_size 0
		.amdhsa_private_segment_fixed_size 0
		.amdhsa_kernarg_size 120
		.amdhsa_user_sgpr_count 6
		.amdhsa_user_sgpr_private_segment_buffer 1
		.amdhsa_user_sgpr_dispatch_ptr 0
		.amdhsa_user_sgpr_queue_ptr 0
		.amdhsa_user_sgpr_kernarg_segment_ptr 1
		.amdhsa_user_sgpr_dispatch_id 0
		.amdhsa_user_sgpr_flat_scratch_init 0
		.amdhsa_user_sgpr_kernarg_preload_length 0
		.amdhsa_user_sgpr_kernarg_preload_offset 0
		.amdhsa_user_sgpr_private_segment_size 0
		.amdhsa_uses_dynamic_stack 0
		.amdhsa_system_sgpr_private_segment_wavefront_offset 0
		.amdhsa_system_sgpr_workgroup_id_x 1
		.amdhsa_system_sgpr_workgroup_id_y 0
		.amdhsa_system_sgpr_workgroup_id_z 0
		.amdhsa_system_sgpr_workgroup_info 0
		.amdhsa_system_vgpr_workitem_id 0
		.amdhsa_next_free_vgpr 1
		.amdhsa_next_free_sgpr 0
		.amdhsa_accum_offset 4
		.amdhsa_reserve_vcc 0
		.amdhsa_reserve_flat_scratch 0
		.amdhsa_float_round_mode_32 0
		.amdhsa_float_round_mode_16_64 0
		.amdhsa_float_denorm_mode_32 3
		.amdhsa_float_denorm_mode_16_64 3
		.amdhsa_dx10_clamp 1
		.amdhsa_ieee_mode 1
		.amdhsa_fp16_overflow 0
		.amdhsa_tg_split 0
		.amdhsa_exception_fp_ieee_invalid_op 0
		.amdhsa_exception_fp_denorm_src 0
		.amdhsa_exception_fp_ieee_div_zero 0
		.amdhsa_exception_fp_ieee_overflow 0
		.amdhsa_exception_fp_ieee_underflow 0
		.amdhsa_exception_fp_ieee_inexact 0
		.amdhsa_exception_int_div_zero 0
	.end_amdhsa_kernel
	.section	.text._ZN7rocprim17ROCPRIM_400000_NS6detail17trampoline_kernelINS0_14default_configENS1_29reduce_by_key_config_selectorIxjN6thrust23THRUST_200600_302600_NS4plusIjEEEEZZNS1_33reduce_by_key_impl_wrapped_configILNS1_25lookback_scan_determinismE0ES3_S9_NS6_6detail15normal_iteratorINS6_10device_ptrIxEEEENSD_INSE_IjEEEESG_SI_PmS8_NS6_8equal_toIxEEEE10hipError_tPvRmT2_T3_mT4_T5_T6_T7_T8_P12ihipStream_tbENKUlT_T0_E_clISt17integral_constantIbLb1EES13_EEDaSY_SZ_EUlSY_E_NS1_11comp_targetILNS1_3genE3ELNS1_11target_archE908ELNS1_3gpuE7ELNS1_3repE0EEENS1_30default_config_static_selectorELNS0_4arch9wavefront6targetE1EEEvT1_,"axG",@progbits,_ZN7rocprim17ROCPRIM_400000_NS6detail17trampoline_kernelINS0_14default_configENS1_29reduce_by_key_config_selectorIxjN6thrust23THRUST_200600_302600_NS4plusIjEEEEZZNS1_33reduce_by_key_impl_wrapped_configILNS1_25lookback_scan_determinismE0ES3_S9_NS6_6detail15normal_iteratorINS6_10device_ptrIxEEEENSD_INSE_IjEEEESG_SI_PmS8_NS6_8equal_toIxEEEE10hipError_tPvRmT2_T3_mT4_T5_T6_T7_T8_P12ihipStream_tbENKUlT_T0_E_clISt17integral_constantIbLb1EES13_EEDaSY_SZ_EUlSY_E_NS1_11comp_targetILNS1_3genE3ELNS1_11target_archE908ELNS1_3gpuE7ELNS1_3repE0EEENS1_30default_config_static_selectorELNS0_4arch9wavefront6targetE1EEEvT1_,comdat
.Lfunc_end781:
	.size	_ZN7rocprim17ROCPRIM_400000_NS6detail17trampoline_kernelINS0_14default_configENS1_29reduce_by_key_config_selectorIxjN6thrust23THRUST_200600_302600_NS4plusIjEEEEZZNS1_33reduce_by_key_impl_wrapped_configILNS1_25lookback_scan_determinismE0ES3_S9_NS6_6detail15normal_iteratorINS6_10device_ptrIxEEEENSD_INSE_IjEEEESG_SI_PmS8_NS6_8equal_toIxEEEE10hipError_tPvRmT2_T3_mT4_T5_T6_T7_T8_P12ihipStream_tbENKUlT_T0_E_clISt17integral_constantIbLb1EES13_EEDaSY_SZ_EUlSY_E_NS1_11comp_targetILNS1_3genE3ELNS1_11target_archE908ELNS1_3gpuE7ELNS1_3repE0EEENS1_30default_config_static_selectorELNS0_4arch9wavefront6targetE1EEEvT1_, .Lfunc_end781-_ZN7rocprim17ROCPRIM_400000_NS6detail17trampoline_kernelINS0_14default_configENS1_29reduce_by_key_config_selectorIxjN6thrust23THRUST_200600_302600_NS4plusIjEEEEZZNS1_33reduce_by_key_impl_wrapped_configILNS1_25lookback_scan_determinismE0ES3_S9_NS6_6detail15normal_iteratorINS6_10device_ptrIxEEEENSD_INSE_IjEEEESG_SI_PmS8_NS6_8equal_toIxEEEE10hipError_tPvRmT2_T3_mT4_T5_T6_T7_T8_P12ihipStream_tbENKUlT_T0_E_clISt17integral_constantIbLb1EES13_EEDaSY_SZ_EUlSY_E_NS1_11comp_targetILNS1_3genE3ELNS1_11target_archE908ELNS1_3gpuE7ELNS1_3repE0EEENS1_30default_config_static_selectorELNS0_4arch9wavefront6targetE1EEEvT1_
                                        ; -- End function
	.section	.AMDGPU.csdata,"",@progbits
; Kernel info:
; codeLenInByte = 0
; NumSgprs: 4
; NumVgprs: 0
; NumAgprs: 0
; TotalNumVgprs: 0
; ScratchSize: 0
; MemoryBound: 0
; FloatMode: 240
; IeeeMode: 1
; LDSByteSize: 0 bytes/workgroup (compile time only)
; SGPRBlocks: 0
; VGPRBlocks: 0
; NumSGPRsForWavesPerEU: 4
; NumVGPRsForWavesPerEU: 1
; AccumOffset: 4
; Occupancy: 8
; WaveLimiterHint : 0
; COMPUTE_PGM_RSRC2:SCRATCH_EN: 0
; COMPUTE_PGM_RSRC2:USER_SGPR: 6
; COMPUTE_PGM_RSRC2:TRAP_HANDLER: 0
; COMPUTE_PGM_RSRC2:TGID_X_EN: 1
; COMPUTE_PGM_RSRC2:TGID_Y_EN: 0
; COMPUTE_PGM_RSRC2:TGID_Z_EN: 0
; COMPUTE_PGM_RSRC2:TIDIG_COMP_CNT: 0
; COMPUTE_PGM_RSRC3_GFX90A:ACCUM_OFFSET: 0
; COMPUTE_PGM_RSRC3_GFX90A:TG_SPLIT: 0
	.section	.text._ZN7rocprim17ROCPRIM_400000_NS6detail17trampoline_kernelINS0_14default_configENS1_29reduce_by_key_config_selectorIxjN6thrust23THRUST_200600_302600_NS4plusIjEEEEZZNS1_33reduce_by_key_impl_wrapped_configILNS1_25lookback_scan_determinismE0ES3_S9_NS6_6detail15normal_iteratorINS6_10device_ptrIxEEEENSD_INSE_IjEEEESG_SI_PmS8_NS6_8equal_toIxEEEE10hipError_tPvRmT2_T3_mT4_T5_T6_T7_T8_P12ihipStream_tbENKUlT_T0_E_clISt17integral_constantIbLb1EES13_EEDaSY_SZ_EUlSY_E_NS1_11comp_targetILNS1_3genE2ELNS1_11target_archE906ELNS1_3gpuE6ELNS1_3repE0EEENS1_30default_config_static_selectorELNS0_4arch9wavefront6targetE1EEEvT1_,"axG",@progbits,_ZN7rocprim17ROCPRIM_400000_NS6detail17trampoline_kernelINS0_14default_configENS1_29reduce_by_key_config_selectorIxjN6thrust23THRUST_200600_302600_NS4plusIjEEEEZZNS1_33reduce_by_key_impl_wrapped_configILNS1_25lookback_scan_determinismE0ES3_S9_NS6_6detail15normal_iteratorINS6_10device_ptrIxEEEENSD_INSE_IjEEEESG_SI_PmS8_NS6_8equal_toIxEEEE10hipError_tPvRmT2_T3_mT4_T5_T6_T7_T8_P12ihipStream_tbENKUlT_T0_E_clISt17integral_constantIbLb1EES13_EEDaSY_SZ_EUlSY_E_NS1_11comp_targetILNS1_3genE2ELNS1_11target_archE906ELNS1_3gpuE6ELNS1_3repE0EEENS1_30default_config_static_selectorELNS0_4arch9wavefront6targetE1EEEvT1_,comdat
	.protected	_ZN7rocprim17ROCPRIM_400000_NS6detail17trampoline_kernelINS0_14default_configENS1_29reduce_by_key_config_selectorIxjN6thrust23THRUST_200600_302600_NS4plusIjEEEEZZNS1_33reduce_by_key_impl_wrapped_configILNS1_25lookback_scan_determinismE0ES3_S9_NS6_6detail15normal_iteratorINS6_10device_ptrIxEEEENSD_INSE_IjEEEESG_SI_PmS8_NS6_8equal_toIxEEEE10hipError_tPvRmT2_T3_mT4_T5_T6_T7_T8_P12ihipStream_tbENKUlT_T0_E_clISt17integral_constantIbLb1EES13_EEDaSY_SZ_EUlSY_E_NS1_11comp_targetILNS1_3genE2ELNS1_11target_archE906ELNS1_3gpuE6ELNS1_3repE0EEENS1_30default_config_static_selectorELNS0_4arch9wavefront6targetE1EEEvT1_ ; -- Begin function _ZN7rocprim17ROCPRIM_400000_NS6detail17trampoline_kernelINS0_14default_configENS1_29reduce_by_key_config_selectorIxjN6thrust23THRUST_200600_302600_NS4plusIjEEEEZZNS1_33reduce_by_key_impl_wrapped_configILNS1_25lookback_scan_determinismE0ES3_S9_NS6_6detail15normal_iteratorINS6_10device_ptrIxEEEENSD_INSE_IjEEEESG_SI_PmS8_NS6_8equal_toIxEEEE10hipError_tPvRmT2_T3_mT4_T5_T6_T7_T8_P12ihipStream_tbENKUlT_T0_E_clISt17integral_constantIbLb1EES13_EEDaSY_SZ_EUlSY_E_NS1_11comp_targetILNS1_3genE2ELNS1_11target_archE906ELNS1_3gpuE6ELNS1_3repE0EEENS1_30default_config_static_selectorELNS0_4arch9wavefront6targetE1EEEvT1_
	.globl	_ZN7rocprim17ROCPRIM_400000_NS6detail17trampoline_kernelINS0_14default_configENS1_29reduce_by_key_config_selectorIxjN6thrust23THRUST_200600_302600_NS4plusIjEEEEZZNS1_33reduce_by_key_impl_wrapped_configILNS1_25lookback_scan_determinismE0ES3_S9_NS6_6detail15normal_iteratorINS6_10device_ptrIxEEEENSD_INSE_IjEEEESG_SI_PmS8_NS6_8equal_toIxEEEE10hipError_tPvRmT2_T3_mT4_T5_T6_T7_T8_P12ihipStream_tbENKUlT_T0_E_clISt17integral_constantIbLb1EES13_EEDaSY_SZ_EUlSY_E_NS1_11comp_targetILNS1_3genE2ELNS1_11target_archE906ELNS1_3gpuE6ELNS1_3repE0EEENS1_30default_config_static_selectorELNS0_4arch9wavefront6targetE1EEEvT1_
	.p2align	8
	.type	_ZN7rocprim17ROCPRIM_400000_NS6detail17trampoline_kernelINS0_14default_configENS1_29reduce_by_key_config_selectorIxjN6thrust23THRUST_200600_302600_NS4plusIjEEEEZZNS1_33reduce_by_key_impl_wrapped_configILNS1_25lookback_scan_determinismE0ES3_S9_NS6_6detail15normal_iteratorINS6_10device_ptrIxEEEENSD_INSE_IjEEEESG_SI_PmS8_NS6_8equal_toIxEEEE10hipError_tPvRmT2_T3_mT4_T5_T6_T7_T8_P12ihipStream_tbENKUlT_T0_E_clISt17integral_constantIbLb1EES13_EEDaSY_SZ_EUlSY_E_NS1_11comp_targetILNS1_3genE2ELNS1_11target_archE906ELNS1_3gpuE6ELNS1_3repE0EEENS1_30default_config_static_selectorELNS0_4arch9wavefront6targetE1EEEvT1_,@function
_ZN7rocprim17ROCPRIM_400000_NS6detail17trampoline_kernelINS0_14default_configENS1_29reduce_by_key_config_selectorIxjN6thrust23THRUST_200600_302600_NS4plusIjEEEEZZNS1_33reduce_by_key_impl_wrapped_configILNS1_25lookback_scan_determinismE0ES3_S9_NS6_6detail15normal_iteratorINS6_10device_ptrIxEEEENSD_INSE_IjEEEESG_SI_PmS8_NS6_8equal_toIxEEEE10hipError_tPvRmT2_T3_mT4_T5_T6_T7_T8_P12ihipStream_tbENKUlT_T0_E_clISt17integral_constantIbLb1EES13_EEDaSY_SZ_EUlSY_E_NS1_11comp_targetILNS1_3genE2ELNS1_11target_archE906ELNS1_3gpuE6ELNS1_3repE0EEENS1_30default_config_static_selectorELNS0_4arch9wavefront6targetE1EEEvT1_: ; @_ZN7rocprim17ROCPRIM_400000_NS6detail17trampoline_kernelINS0_14default_configENS1_29reduce_by_key_config_selectorIxjN6thrust23THRUST_200600_302600_NS4plusIjEEEEZZNS1_33reduce_by_key_impl_wrapped_configILNS1_25lookback_scan_determinismE0ES3_S9_NS6_6detail15normal_iteratorINS6_10device_ptrIxEEEENSD_INSE_IjEEEESG_SI_PmS8_NS6_8equal_toIxEEEE10hipError_tPvRmT2_T3_mT4_T5_T6_T7_T8_P12ihipStream_tbENKUlT_T0_E_clISt17integral_constantIbLb1EES13_EEDaSY_SZ_EUlSY_E_NS1_11comp_targetILNS1_3genE2ELNS1_11target_archE906ELNS1_3gpuE6ELNS1_3repE0EEENS1_30default_config_static_selectorELNS0_4arch9wavefront6targetE1EEEvT1_
; %bb.0:
	.section	.rodata,"a",@progbits
	.p2align	6, 0x0
	.amdhsa_kernel _ZN7rocprim17ROCPRIM_400000_NS6detail17trampoline_kernelINS0_14default_configENS1_29reduce_by_key_config_selectorIxjN6thrust23THRUST_200600_302600_NS4plusIjEEEEZZNS1_33reduce_by_key_impl_wrapped_configILNS1_25lookback_scan_determinismE0ES3_S9_NS6_6detail15normal_iteratorINS6_10device_ptrIxEEEENSD_INSE_IjEEEESG_SI_PmS8_NS6_8equal_toIxEEEE10hipError_tPvRmT2_T3_mT4_T5_T6_T7_T8_P12ihipStream_tbENKUlT_T0_E_clISt17integral_constantIbLb1EES13_EEDaSY_SZ_EUlSY_E_NS1_11comp_targetILNS1_3genE2ELNS1_11target_archE906ELNS1_3gpuE6ELNS1_3repE0EEENS1_30default_config_static_selectorELNS0_4arch9wavefront6targetE1EEEvT1_
		.amdhsa_group_segment_fixed_size 0
		.amdhsa_private_segment_fixed_size 0
		.amdhsa_kernarg_size 120
		.amdhsa_user_sgpr_count 6
		.amdhsa_user_sgpr_private_segment_buffer 1
		.amdhsa_user_sgpr_dispatch_ptr 0
		.amdhsa_user_sgpr_queue_ptr 0
		.amdhsa_user_sgpr_kernarg_segment_ptr 1
		.amdhsa_user_sgpr_dispatch_id 0
		.amdhsa_user_sgpr_flat_scratch_init 0
		.amdhsa_user_sgpr_kernarg_preload_length 0
		.amdhsa_user_sgpr_kernarg_preload_offset 0
		.amdhsa_user_sgpr_private_segment_size 0
		.amdhsa_uses_dynamic_stack 0
		.amdhsa_system_sgpr_private_segment_wavefront_offset 0
		.amdhsa_system_sgpr_workgroup_id_x 1
		.amdhsa_system_sgpr_workgroup_id_y 0
		.amdhsa_system_sgpr_workgroup_id_z 0
		.amdhsa_system_sgpr_workgroup_info 0
		.amdhsa_system_vgpr_workitem_id 0
		.amdhsa_next_free_vgpr 1
		.amdhsa_next_free_sgpr 0
		.amdhsa_accum_offset 4
		.amdhsa_reserve_vcc 0
		.amdhsa_reserve_flat_scratch 0
		.amdhsa_float_round_mode_32 0
		.amdhsa_float_round_mode_16_64 0
		.amdhsa_float_denorm_mode_32 3
		.amdhsa_float_denorm_mode_16_64 3
		.amdhsa_dx10_clamp 1
		.amdhsa_ieee_mode 1
		.amdhsa_fp16_overflow 0
		.amdhsa_tg_split 0
		.amdhsa_exception_fp_ieee_invalid_op 0
		.amdhsa_exception_fp_denorm_src 0
		.amdhsa_exception_fp_ieee_div_zero 0
		.amdhsa_exception_fp_ieee_overflow 0
		.amdhsa_exception_fp_ieee_underflow 0
		.amdhsa_exception_fp_ieee_inexact 0
		.amdhsa_exception_int_div_zero 0
	.end_amdhsa_kernel
	.section	.text._ZN7rocprim17ROCPRIM_400000_NS6detail17trampoline_kernelINS0_14default_configENS1_29reduce_by_key_config_selectorIxjN6thrust23THRUST_200600_302600_NS4plusIjEEEEZZNS1_33reduce_by_key_impl_wrapped_configILNS1_25lookback_scan_determinismE0ES3_S9_NS6_6detail15normal_iteratorINS6_10device_ptrIxEEEENSD_INSE_IjEEEESG_SI_PmS8_NS6_8equal_toIxEEEE10hipError_tPvRmT2_T3_mT4_T5_T6_T7_T8_P12ihipStream_tbENKUlT_T0_E_clISt17integral_constantIbLb1EES13_EEDaSY_SZ_EUlSY_E_NS1_11comp_targetILNS1_3genE2ELNS1_11target_archE906ELNS1_3gpuE6ELNS1_3repE0EEENS1_30default_config_static_selectorELNS0_4arch9wavefront6targetE1EEEvT1_,"axG",@progbits,_ZN7rocprim17ROCPRIM_400000_NS6detail17trampoline_kernelINS0_14default_configENS1_29reduce_by_key_config_selectorIxjN6thrust23THRUST_200600_302600_NS4plusIjEEEEZZNS1_33reduce_by_key_impl_wrapped_configILNS1_25lookback_scan_determinismE0ES3_S9_NS6_6detail15normal_iteratorINS6_10device_ptrIxEEEENSD_INSE_IjEEEESG_SI_PmS8_NS6_8equal_toIxEEEE10hipError_tPvRmT2_T3_mT4_T5_T6_T7_T8_P12ihipStream_tbENKUlT_T0_E_clISt17integral_constantIbLb1EES13_EEDaSY_SZ_EUlSY_E_NS1_11comp_targetILNS1_3genE2ELNS1_11target_archE906ELNS1_3gpuE6ELNS1_3repE0EEENS1_30default_config_static_selectorELNS0_4arch9wavefront6targetE1EEEvT1_,comdat
.Lfunc_end782:
	.size	_ZN7rocprim17ROCPRIM_400000_NS6detail17trampoline_kernelINS0_14default_configENS1_29reduce_by_key_config_selectorIxjN6thrust23THRUST_200600_302600_NS4plusIjEEEEZZNS1_33reduce_by_key_impl_wrapped_configILNS1_25lookback_scan_determinismE0ES3_S9_NS6_6detail15normal_iteratorINS6_10device_ptrIxEEEENSD_INSE_IjEEEESG_SI_PmS8_NS6_8equal_toIxEEEE10hipError_tPvRmT2_T3_mT4_T5_T6_T7_T8_P12ihipStream_tbENKUlT_T0_E_clISt17integral_constantIbLb1EES13_EEDaSY_SZ_EUlSY_E_NS1_11comp_targetILNS1_3genE2ELNS1_11target_archE906ELNS1_3gpuE6ELNS1_3repE0EEENS1_30default_config_static_selectorELNS0_4arch9wavefront6targetE1EEEvT1_, .Lfunc_end782-_ZN7rocprim17ROCPRIM_400000_NS6detail17trampoline_kernelINS0_14default_configENS1_29reduce_by_key_config_selectorIxjN6thrust23THRUST_200600_302600_NS4plusIjEEEEZZNS1_33reduce_by_key_impl_wrapped_configILNS1_25lookback_scan_determinismE0ES3_S9_NS6_6detail15normal_iteratorINS6_10device_ptrIxEEEENSD_INSE_IjEEEESG_SI_PmS8_NS6_8equal_toIxEEEE10hipError_tPvRmT2_T3_mT4_T5_T6_T7_T8_P12ihipStream_tbENKUlT_T0_E_clISt17integral_constantIbLb1EES13_EEDaSY_SZ_EUlSY_E_NS1_11comp_targetILNS1_3genE2ELNS1_11target_archE906ELNS1_3gpuE6ELNS1_3repE0EEENS1_30default_config_static_selectorELNS0_4arch9wavefront6targetE1EEEvT1_
                                        ; -- End function
	.section	.AMDGPU.csdata,"",@progbits
; Kernel info:
; codeLenInByte = 0
; NumSgprs: 4
; NumVgprs: 0
; NumAgprs: 0
; TotalNumVgprs: 0
; ScratchSize: 0
; MemoryBound: 0
; FloatMode: 240
; IeeeMode: 1
; LDSByteSize: 0 bytes/workgroup (compile time only)
; SGPRBlocks: 0
; VGPRBlocks: 0
; NumSGPRsForWavesPerEU: 4
; NumVGPRsForWavesPerEU: 1
; AccumOffset: 4
; Occupancy: 8
; WaveLimiterHint : 0
; COMPUTE_PGM_RSRC2:SCRATCH_EN: 0
; COMPUTE_PGM_RSRC2:USER_SGPR: 6
; COMPUTE_PGM_RSRC2:TRAP_HANDLER: 0
; COMPUTE_PGM_RSRC2:TGID_X_EN: 1
; COMPUTE_PGM_RSRC2:TGID_Y_EN: 0
; COMPUTE_PGM_RSRC2:TGID_Z_EN: 0
; COMPUTE_PGM_RSRC2:TIDIG_COMP_CNT: 0
; COMPUTE_PGM_RSRC3_GFX90A:ACCUM_OFFSET: 0
; COMPUTE_PGM_RSRC3_GFX90A:TG_SPLIT: 0
	.section	.text._ZN7rocprim17ROCPRIM_400000_NS6detail17trampoline_kernelINS0_14default_configENS1_29reduce_by_key_config_selectorIxjN6thrust23THRUST_200600_302600_NS4plusIjEEEEZZNS1_33reduce_by_key_impl_wrapped_configILNS1_25lookback_scan_determinismE0ES3_S9_NS6_6detail15normal_iteratorINS6_10device_ptrIxEEEENSD_INSE_IjEEEESG_SI_PmS8_NS6_8equal_toIxEEEE10hipError_tPvRmT2_T3_mT4_T5_T6_T7_T8_P12ihipStream_tbENKUlT_T0_E_clISt17integral_constantIbLb1EES13_EEDaSY_SZ_EUlSY_E_NS1_11comp_targetILNS1_3genE10ELNS1_11target_archE1201ELNS1_3gpuE5ELNS1_3repE0EEENS1_30default_config_static_selectorELNS0_4arch9wavefront6targetE1EEEvT1_,"axG",@progbits,_ZN7rocprim17ROCPRIM_400000_NS6detail17trampoline_kernelINS0_14default_configENS1_29reduce_by_key_config_selectorIxjN6thrust23THRUST_200600_302600_NS4plusIjEEEEZZNS1_33reduce_by_key_impl_wrapped_configILNS1_25lookback_scan_determinismE0ES3_S9_NS6_6detail15normal_iteratorINS6_10device_ptrIxEEEENSD_INSE_IjEEEESG_SI_PmS8_NS6_8equal_toIxEEEE10hipError_tPvRmT2_T3_mT4_T5_T6_T7_T8_P12ihipStream_tbENKUlT_T0_E_clISt17integral_constantIbLb1EES13_EEDaSY_SZ_EUlSY_E_NS1_11comp_targetILNS1_3genE10ELNS1_11target_archE1201ELNS1_3gpuE5ELNS1_3repE0EEENS1_30default_config_static_selectorELNS0_4arch9wavefront6targetE1EEEvT1_,comdat
	.protected	_ZN7rocprim17ROCPRIM_400000_NS6detail17trampoline_kernelINS0_14default_configENS1_29reduce_by_key_config_selectorIxjN6thrust23THRUST_200600_302600_NS4plusIjEEEEZZNS1_33reduce_by_key_impl_wrapped_configILNS1_25lookback_scan_determinismE0ES3_S9_NS6_6detail15normal_iteratorINS6_10device_ptrIxEEEENSD_INSE_IjEEEESG_SI_PmS8_NS6_8equal_toIxEEEE10hipError_tPvRmT2_T3_mT4_T5_T6_T7_T8_P12ihipStream_tbENKUlT_T0_E_clISt17integral_constantIbLb1EES13_EEDaSY_SZ_EUlSY_E_NS1_11comp_targetILNS1_3genE10ELNS1_11target_archE1201ELNS1_3gpuE5ELNS1_3repE0EEENS1_30default_config_static_selectorELNS0_4arch9wavefront6targetE1EEEvT1_ ; -- Begin function _ZN7rocprim17ROCPRIM_400000_NS6detail17trampoline_kernelINS0_14default_configENS1_29reduce_by_key_config_selectorIxjN6thrust23THRUST_200600_302600_NS4plusIjEEEEZZNS1_33reduce_by_key_impl_wrapped_configILNS1_25lookback_scan_determinismE0ES3_S9_NS6_6detail15normal_iteratorINS6_10device_ptrIxEEEENSD_INSE_IjEEEESG_SI_PmS8_NS6_8equal_toIxEEEE10hipError_tPvRmT2_T3_mT4_T5_T6_T7_T8_P12ihipStream_tbENKUlT_T0_E_clISt17integral_constantIbLb1EES13_EEDaSY_SZ_EUlSY_E_NS1_11comp_targetILNS1_3genE10ELNS1_11target_archE1201ELNS1_3gpuE5ELNS1_3repE0EEENS1_30default_config_static_selectorELNS0_4arch9wavefront6targetE1EEEvT1_
	.globl	_ZN7rocprim17ROCPRIM_400000_NS6detail17trampoline_kernelINS0_14default_configENS1_29reduce_by_key_config_selectorIxjN6thrust23THRUST_200600_302600_NS4plusIjEEEEZZNS1_33reduce_by_key_impl_wrapped_configILNS1_25lookback_scan_determinismE0ES3_S9_NS6_6detail15normal_iteratorINS6_10device_ptrIxEEEENSD_INSE_IjEEEESG_SI_PmS8_NS6_8equal_toIxEEEE10hipError_tPvRmT2_T3_mT4_T5_T6_T7_T8_P12ihipStream_tbENKUlT_T0_E_clISt17integral_constantIbLb1EES13_EEDaSY_SZ_EUlSY_E_NS1_11comp_targetILNS1_3genE10ELNS1_11target_archE1201ELNS1_3gpuE5ELNS1_3repE0EEENS1_30default_config_static_selectorELNS0_4arch9wavefront6targetE1EEEvT1_
	.p2align	8
	.type	_ZN7rocprim17ROCPRIM_400000_NS6detail17trampoline_kernelINS0_14default_configENS1_29reduce_by_key_config_selectorIxjN6thrust23THRUST_200600_302600_NS4plusIjEEEEZZNS1_33reduce_by_key_impl_wrapped_configILNS1_25lookback_scan_determinismE0ES3_S9_NS6_6detail15normal_iteratorINS6_10device_ptrIxEEEENSD_INSE_IjEEEESG_SI_PmS8_NS6_8equal_toIxEEEE10hipError_tPvRmT2_T3_mT4_T5_T6_T7_T8_P12ihipStream_tbENKUlT_T0_E_clISt17integral_constantIbLb1EES13_EEDaSY_SZ_EUlSY_E_NS1_11comp_targetILNS1_3genE10ELNS1_11target_archE1201ELNS1_3gpuE5ELNS1_3repE0EEENS1_30default_config_static_selectorELNS0_4arch9wavefront6targetE1EEEvT1_,@function
_ZN7rocprim17ROCPRIM_400000_NS6detail17trampoline_kernelINS0_14default_configENS1_29reduce_by_key_config_selectorIxjN6thrust23THRUST_200600_302600_NS4plusIjEEEEZZNS1_33reduce_by_key_impl_wrapped_configILNS1_25lookback_scan_determinismE0ES3_S9_NS6_6detail15normal_iteratorINS6_10device_ptrIxEEEENSD_INSE_IjEEEESG_SI_PmS8_NS6_8equal_toIxEEEE10hipError_tPvRmT2_T3_mT4_T5_T6_T7_T8_P12ihipStream_tbENKUlT_T0_E_clISt17integral_constantIbLb1EES13_EEDaSY_SZ_EUlSY_E_NS1_11comp_targetILNS1_3genE10ELNS1_11target_archE1201ELNS1_3gpuE5ELNS1_3repE0EEENS1_30default_config_static_selectorELNS0_4arch9wavefront6targetE1EEEvT1_: ; @_ZN7rocprim17ROCPRIM_400000_NS6detail17trampoline_kernelINS0_14default_configENS1_29reduce_by_key_config_selectorIxjN6thrust23THRUST_200600_302600_NS4plusIjEEEEZZNS1_33reduce_by_key_impl_wrapped_configILNS1_25lookback_scan_determinismE0ES3_S9_NS6_6detail15normal_iteratorINS6_10device_ptrIxEEEENSD_INSE_IjEEEESG_SI_PmS8_NS6_8equal_toIxEEEE10hipError_tPvRmT2_T3_mT4_T5_T6_T7_T8_P12ihipStream_tbENKUlT_T0_E_clISt17integral_constantIbLb1EES13_EEDaSY_SZ_EUlSY_E_NS1_11comp_targetILNS1_3genE10ELNS1_11target_archE1201ELNS1_3gpuE5ELNS1_3repE0EEENS1_30default_config_static_selectorELNS0_4arch9wavefront6targetE1EEEvT1_
; %bb.0:
	.section	.rodata,"a",@progbits
	.p2align	6, 0x0
	.amdhsa_kernel _ZN7rocprim17ROCPRIM_400000_NS6detail17trampoline_kernelINS0_14default_configENS1_29reduce_by_key_config_selectorIxjN6thrust23THRUST_200600_302600_NS4plusIjEEEEZZNS1_33reduce_by_key_impl_wrapped_configILNS1_25lookback_scan_determinismE0ES3_S9_NS6_6detail15normal_iteratorINS6_10device_ptrIxEEEENSD_INSE_IjEEEESG_SI_PmS8_NS6_8equal_toIxEEEE10hipError_tPvRmT2_T3_mT4_T5_T6_T7_T8_P12ihipStream_tbENKUlT_T0_E_clISt17integral_constantIbLb1EES13_EEDaSY_SZ_EUlSY_E_NS1_11comp_targetILNS1_3genE10ELNS1_11target_archE1201ELNS1_3gpuE5ELNS1_3repE0EEENS1_30default_config_static_selectorELNS0_4arch9wavefront6targetE1EEEvT1_
		.amdhsa_group_segment_fixed_size 0
		.amdhsa_private_segment_fixed_size 0
		.amdhsa_kernarg_size 120
		.amdhsa_user_sgpr_count 6
		.amdhsa_user_sgpr_private_segment_buffer 1
		.amdhsa_user_sgpr_dispatch_ptr 0
		.amdhsa_user_sgpr_queue_ptr 0
		.amdhsa_user_sgpr_kernarg_segment_ptr 1
		.amdhsa_user_sgpr_dispatch_id 0
		.amdhsa_user_sgpr_flat_scratch_init 0
		.amdhsa_user_sgpr_kernarg_preload_length 0
		.amdhsa_user_sgpr_kernarg_preload_offset 0
		.amdhsa_user_sgpr_private_segment_size 0
		.amdhsa_uses_dynamic_stack 0
		.amdhsa_system_sgpr_private_segment_wavefront_offset 0
		.amdhsa_system_sgpr_workgroup_id_x 1
		.amdhsa_system_sgpr_workgroup_id_y 0
		.amdhsa_system_sgpr_workgroup_id_z 0
		.amdhsa_system_sgpr_workgroup_info 0
		.amdhsa_system_vgpr_workitem_id 0
		.amdhsa_next_free_vgpr 1
		.amdhsa_next_free_sgpr 0
		.amdhsa_accum_offset 4
		.amdhsa_reserve_vcc 0
		.amdhsa_reserve_flat_scratch 0
		.amdhsa_float_round_mode_32 0
		.amdhsa_float_round_mode_16_64 0
		.amdhsa_float_denorm_mode_32 3
		.amdhsa_float_denorm_mode_16_64 3
		.amdhsa_dx10_clamp 1
		.amdhsa_ieee_mode 1
		.amdhsa_fp16_overflow 0
		.amdhsa_tg_split 0
		.amdhsa_exception_fp_ieee_invalid_op 0
		.amdhsa_exception_fp_denorm_src 0
		.amdhsa_exception_fp_ieee_div_zero 0
		.amdhsa_exception_fp_ieee_overflow 0
		.amdhsa_exception_fp_ieee_underflow 0
		.amdhsa_exception_fp_ieee_inexact 0
		.amdhsa_exception_int_div_zero 0
	.end_amdhsa_kernel
	.section	.text._ZN7rocprim17ROCPRIM_400000_NS6detail17trampoline_kernelINS0_14default_configENS1_29reduce_by_key_config_selectorIxjN6thrust23THRUST_200600_302600_NS4plusIjEEEEZZNS1_33reduce_by_key_impl_wrapped_configILNS1_25lookback_scan_determinismE0ES3_S9_NS6_6detail15normal_iteratorINS6_10device_ptrIxEEEENSD_INSE_IjEEEESG_SI_PmS8_NS6_8equal_toIxEEEE10hipError_tPvRmT2_T3_mT4_T5_T6_T7_T8_P12ihipStream_tbENKUlT_T0_E_clISt17integral_constantIbLb1EES13_EEDaSY_SZ_EUlSY_E_NS1_11comp_targetILNS1_3genE10ELNS1_11target_archE1201ELNS1_3gpuE5ELNS1_3repE0EEENS1_30default_config_static_selectorELNS0_4arch9wavefront6targetE1EEEvT1_,"axG",@progbits,_ZN7rocprim17ROCPRIM_400000_NS6detail17trampoline_kernelINS0_14default_configENS1_29reduce_by_key_config_selectorIxjN6thrust23THRUST_200600_302600_NS4plusIjEEEEZZNS1_33reduce_by_key_impl_wrapped_configILNS1_25lookback_scan_determinismE0ES3_S9_NS6_6detail15normal_iteratorINS6_10device_ptrIxEEEENSD_INSE_IjEEEESG_SI_PmS8_NS6_8equal_toIxEEEE10hipError_tPvRmT2_T3_mT4_T5_T6_T7_T8_P12ihipStream_tbENKUlT_T0_E_clISt17integral_constantIbLb1EES13_EEDaSY_SZ_EUlSY_E_NS1_11comp_targetILNS1_3genE10ELNS1_11target_archE1201ELNS1_3gpuE5ELNS1_3repE0EEENS1_30default_config_static_selectorELNS0_4arch9wavefront6targetE1EEEvT1_,comdat
.Lfunc_end783:
	.size	_ZN7rocprim17ROCPRIM_400000_NS6detail17trampoline_kernelINS0_14default_configENS1_29reduce_by_key_config_selectorIxjN6thrust23THRUST_200600_302600_NS4plusIjEEEEZZNS1_33reduce_by_key_impl_wrapped_configILNS1_25lookback_scan_determinismE0ES3_S9_NS6_6detail15normal_iteratorINS6_10device_ptrIxEEEENSD_INSE_IjEEEESG_SI_PmS8_NS6_8equal_toIxEEEE10hipError_tPvRmT2_T3_mT4_T5_T6_T7_T8_P12ihipStream_tbENKUlT_T0_E_clISt17integral_constantIbLb1EES13_EEDaSY_SZ_EUlSY_E_NS1_11comp_targetILNS1_3genE10ELNS1_11target_archE1201ELNS1_3gpuE5ELNS1_3repE0EEENS1_30default_config_static_selectorELNS0_4arch9wavefront6targetE1EEEvT1_, .Lfunc_end783-_ZN7rocprim17ROCPRIM_400000_NS6detail17trampoline_kernelINS0_14default_configENS1_29reduce_by_key_config_selectorIxjN6thrust23THRUST_200600_302600_NS4plusIjEEEEZZNS1_33reduce_by_key_impl_wrapped_configILNS1_25lookback_scan_determinismE0ES3_S9_NS6_6detail15normal_iteratorINS6_10device_ptrIxEEEENSD_INSE_IjEEEESG_SI_PmS8_NS6_8equal_toIxEEEE10hipError_tPvRmT2_T3_mT4_T5_T6_T7_T8_P12ihipStream_tbENKUlT_T0_E_clISt17integral_constantIbLb1EES13_EEDaSY_SZ_EUlSY_E_NS1_11comp_targetILNS1_3genE10ELNS1_11target_archE1201ELNS1_3gpuE5ELNS1_3repE0EEENS1_30default_config_static_selectorELNS0_4arch9wavefront6targetE1EEEvT1_
                                        ; -- End function
	.section	.AMDGPU.csdata,"",@progbits
; Kernel info:
; codeLenInByte = 0
; NumSgprs: 4
; NumVgprs: 0
; NumAgprs: 0
; TotalNumVgprs: 0
; ScratchSize: 0
; MemoryBound: 0
; FloatMode: 240
; IeeeMode: 1
; LDSByteSize: 0 bytes/workgroup (compile time only)
; SGPRBlocks: 0
; VGPRBlocks: 0
; NumSGPRsForWavesPerEU: 4
; NumVGPRsForWavesPerEU: 1
; AccumOffset: 4
; Occupancy: 8
; WaveLimiterHint : 0
; COMPUTE_PGM_RSRC2:SCRATCH_EN: 0
; COMPUTE_PGM_RSRC2:USER_SGPR: 6
; COMPUTE_PGM_RSRC2:TRAP_HANDLER: 0
; COMPUTE_PGM_RSRC2:TGID_X_EN: 1
; COMPUTE_PGM_RSRC2:TGID_Y_EN: 0
; COMPUTE_PGM_RSRC2:TGID_Z_EN: 0
; COMPUTE_PGM_RSRC2:TIDIG_COMP_CNT: 0
; COMPUTE_PGM_RSRC3_GFX90A:ACCUM_OFFSET: 0
; COMPUTE_PGM_RSRC3_GFX90A:TG_SPLIT: 0
	.section	.text._ZN7rocprim17ROCPRIM_400000_NS6detail17trampoline_kernelINS0_14default_configENS1_29reduce_by_key_config_selectorIxjN6thrust23THRUST_200600_302600_NS4plusIjEEEEZZNS1_33reduce_by_key_impl_wrapped_configILNS1_25lookback_scan_determinismE0ES3_S9_NS6_6detail15normal_iteratorINS6_10device_ptrIxEEEENSD_INSE_IjEEEESG_SI_PmS8_NS6_8equal_toIxEEEE10hipError_tPvRmT2_T3_mT4_T5_T6_T7_T8_P12ihipStream_tbENKUlT_T0_E_clISt17integral_constantIbLb1EES13_EEDaSY_SZ_EUlSY_E_NS1_11comp_targetILNS1_3genE10ELNS1_11target_archE1200ELNS1_3gpuE4ELNS1_3repE0EEENS1_30default_config_static_selectorELNS0_4arch9wavefront6targetE1EEEvT1_,"axG",@progbits,_ZN7rocprim17ROCPRIM_400000_NS6detail17trampoline_kernelINS0_14default_configENS1_29reduce_by_key_config_selectorIxjN6thrust23THRUST_200600_302600_NS4plusIjEEEEZZNS1_33reduce_by_key_impl_wrapped_configILNS1_25lookback_scan_determinismE0ES3_S9_NS6_6detail15normal_iteratorINS6_10device_ptrIxEEEENSD_INSE_IjEEEESG_SI_PmS8_NS6_8equal_toIxEEEE10hipError_tPvRmT2_T3_mT4_T5_T6_T7_T8_P12ihipStream_tbENKUlT_T0_E_clISt17integral_constantIbLb1EES13_EEDaSY_SZ_EUlSY_E_NS1_11comp_targetILNS1_3genE10ELNS1_11target_archE1200ELNS1_3gpuE4ELNS1_3repE0EEENS1_30default_config_static_selectorELNS0_4arch9wavefront6targetE1EEEvT1_,comdat
	.protected	_ZN7rocprim17ROCPRIM_400000_NS6detail17trampoline_kernelINS0_14default_configENS1_29reduce_by_key_config_selectorIxjN6thrust23THRUST_200600_302600_NS4plusIjEEEEZZNS1_33reduce_by_key_impl_wrapped_configILNS1_25lookback_scan_determinismE0ES3_S9_NS6_6detail15normal_iteratorINS6_10device_ptrIxEEEENSD_INSE_IjEEEESG_SI_PmS8_NS6_8equal_toIxEEEE10hipError_tPvRmT2_T3_mT4_T5_T6_T7_T8_P12ihipStream_tbENKUlT_T0_E_clISt17integral_constantIbLb1EES13_EEDaSY_SZ_EUlSY_E_NS1_11comp_targetILNS1_3genE10ELNS1_11target_archE1200ELNS1_3gpuE4ELNS1_3repE0EEENS1_30default_config_static_selectorELNS0_4arch9wavefront6targetE1EEEvT1_ ; -- Begin function _ZN7rocprim17ROCPRIM_400000_NS6detail17trampoline_kernelINS0_14default_configENS1_29reduce_by_key_config_selectorIxjN6thrust23THRUST_200600_302600_NS4plusIjEEEEZZNS1_33reduce_by_key_impl_wrapped_configILNS1_25lookback_scan_determinismE0ES3_S9_NS6_6detail15normal_iteratorINS6_10device_ptrIxEEEENSD_INSE_IjEEEESG_SI_PmS8_NS6_8equal_toIxEEEE10hipError_tPvRmT2_T3_mT4_T5_T6_T7_T8_P12ihipStream_tbENKUlT_T0_E_clISt17integral_constantIbLb1EES13_EEDaSY_SZ_EUlSY_E_NS1_11comp_targetILNS1_3genE10ELNS1_11target_archE1200ELNS1_3gpuE4ELNS1_3repE0EEENS1_30default_config_static_selectorELNS0_4arch9wavefront6targetE1EEEvT1_
	.globl	_ZN7rocprim17ROCPRIM_400000_NS6detail17trampoline_kernelINS0_14default_configENS1_29reduce_by_key_config_selectorIxjN6thrust23THRUST_200600_302600_NS4plusIjEEEEZZNS1_33reduce_by_key_impl_wrapped_configILNS1_25lookback_scan_determinismE0ES3_S9_NS6_6detail15normal_iteratorINS6_10device_ptrIxEEEENSD_INSE_IjEEEESG_SI_PmS8_NS6_8equal_toIxEEEE10hipError_tPvRmT2_T3_mT4_T5_T6_T7_T8_P12ihipStream_tbENKUlT_T0_E_clISt17integral_constantIbLb1EES13_EEDaSY_SZ_EUlSY_E_NS1_11comp_targetILNS1_3genE10ELNS1_11target_archE1200ELNS1_3gpuE4ELNS1_3repE0EEENS1_30default_config_static_selectorELNS0_4arch9wavefront6targetE1EEEvT1_
	.p2align	8
	.type	_ZN7rocprim17ROCPRIM_400000_NS6detail17trampoline_kernelINS0_14default_configENS1_29reduce_by_key_config_selectorIxjN6thrust23THRUST_200600_302600_NS4plusIjEEEEZZNS1_33reduce_by_key_impl_wrapped_configILNS1_25lookback_scan_determinismE0ES3_S9_NS6_6detail15normal_iteratorINS6_10device_ptrIxEEEENSD_INSE_IjEEEESG_SI_PmS8_NS6_8equal_toIxEEEE10hipError_tPvRmT2_T3_mT4_T5_T6_T7_T8_P12ihipStream_tbENKUlT_T0_E_clISt17integral_constantIbLb1EES13_EEDaSY_SZ_EUlSY_E_NS1_11comp_targetILNS1_3genE10ELNS1_11target_archE1200ELNS1_3gpuE4ELNS1_3repE0EEENS1_30default_config_static_selectorELNS0_4arch9wavefront6targetE1EEEvT1_,@function
_ZN7rocprim17ROCPRIM_400000_NS6detail17trampoline_kernelINS0_14default_configENS1_29reduce_by_key_config_selectorIxjN6thrust23THRUST_200600_302600_NS4plusIjEEEEZZNS1_33reduce_by_key_impl_wrapped_configILNS1_25lookback_scan_determinismE0ES3_S9_NS6_6detail15normal_iteratorINS6_10device_ptrIxEEEENSD_INSE_IjEEEESG_SI_PmS8_NS6_8equal_toIxEEEE10hipError_tPvRmT2_T3_mT4_T5_T6_T7_T8_P12ihipStream_tbENKUlT_T0_E_clISt17integral_constantIbLb1EES13_EEDaSY_SZ_EUlSY_E_NS1_11comp_targetILNS1_3genE10ELNS1_11target_archE1200ELNS1_3gpuE4ELNS1_3repE0EEENS1_30default_config_static_selectorELNS0_4arch9wavefront6targetE1EEEvT1_: ; @_ZN7rocprim17ROCPRIM_400000_NS6detail17trampoline_kernelINS0_14default_configENS1_29reduce_by_key_config_selectorIxjN6thrust23THRUST_200600_302600_NS4plusIjEEEEZZNS1_33reduce_by_key_impl_wrapped_configILNS1_25lookback_scan_determinismE0ES3_S9_NS6_6detail15normal_iteratorINS6_10device_ptrIxEEEENSD_INSE_IjEEEESG_SI_PmS8_NS6_8equal_toIxEEEE10hipError_tPvRmT2_T3_mT4_T5_T6_T7_T8_P12ihipStream_tbENKUlT_T0_E_clISt17integral_constantIbLb1EES13_EEDaSY_SZ_EUlSY_E_NS1_11comp_targetILNS1_3genE10ELNS1_11target_archE1200ELNS1_3gpuE4ELNS1_3repE0EEENS1_30default_config_static_selectorELNS0_4arch9wavefront6targetE1EEEvT1_
; %bb.0:
	.section	.rodata,"a",@progbits
	.p2align	6, 0x0
	.amdhsa_kernel _ZN7rocprim17ROCPRIM_400000_NS6detail17trampoline_kernelINS0_14default_configENS1_29reduce_by_key_config_selectorIxjN6thrust23THRUST_200600_302600_NS4plusIjEEEEZZNS1_33reduce_by_key_impl_wrapped_configILNS1_25lookback_scan_determinismE0ES3_S9_NS6_6detail15normal_iteratorINS6_10device_ptrIxEEEENSD_INSE_IjEEEESG_SI_PmS8_NS6_8equal_toIxEEEE10hipError_tPvRmT2_T3_mT4_T5_T6_T7_T8_P12ihipStream_tbENKUlT_T0_E_clISt17integral_constantIbLb1EES13_EEDaSY_SZ_EUlSY_E_NS1_11comp_targetILNS1_3genE10ELNS1_11target_archE1200ELNS1_3gpuE4ELNS1_3repE0EEENS1_30default_config_static_selectorELNS0_4arch9wavefront6targetE1EEEvT1_
		.amdhsa_group_segment_fixed_size 0
		.amdhsa_private_segment_fixed_size 0
		.amdhsa_kernarg_size 120
		.amdhsa_user_sgpr_count 6
		.amdhsa_user_sgpr_private_segment_buffer 1
		.amdhsa_user_sgpr_dispatch_ptr 0
		.amdhsa_user_sgpr_queue_ptr 0
		.amdhsa_user_sgpr_kernarg_segment_ptr 1
		.amdhsa_user_sgpr_dispatch_id 0
		.amdhsa_user_sgpr_flat_scratch_init 0
		.amdhsa_user_sgpr_kernarg_preload_length 0
		.amdhsa_user_sgpr_kernarg_preload_offset 0
		.amdhsa_user_sgpr_private_segment_size 0
		.amdhsa_uses_dynamic_stack 0
		.amdhsa_system_sgpr_private_segment_wavefront_offset 0
		.amdhsa_system_sgpr_workgroup_id_x 1
		.amdhsa_system_sgpr_workgroup_id_y 0
		.amdhsa_system_sgpr_workgroup_id_z 0
		.amdhsa_system_sgpr_workgroup_info 0
		.amdhsa_system_vgpr_workitem_id 0
		.amdhsa_next_free_vgpr 1
		.amdhsa_next_free_sgpr 0
		.amdhsa_accum_offset 4
		.amdhsa_reserve_vcc 0
		.amdhsa_reserve_flat_scratch 0
		.amdhsa_float_round_mode_32 0
		.amdhsa_float_round_mode_16_64 0
		.amdhsa_float_denorm_mode_32 3
		.amdhsa_float_denorm_mode_16_64 3
		.amdhsa_dx10_clamp 1
		.amdhsa_ieee_mode 1
		.amdhsa_fp16_overflow 0
		.amdhsa_tg_split 0
		.amdhsa_exception_fp_ieee_invalid_op 0
		.amdhsa_exception_fp_denorm_src 0
		.amdhsa_exception_fp_ieee_div_zero 0
		.amdhsa_exception_fp_ieee_overflow 0
		.amdhsa_exception_fp_ieee_underflow 0
		.amdhsa_exception_fp_ieee_inexact 0
		.amdhsa_exception_int_div_zero 0
	.end_amdhsa_kernel
	.section	.text._ZN7rocprim17ROCPRIM_400000_NS6detail17trampoline_kernelINS0_14default_configENS1_29reduce_by_key_config_selectorIxjN6thrust23THRUST_200600_302600_NS4plusIjEEEEZZNS1_33reduce_by_key_impl_wrapped_configILNS1_25lookback_scan_determinismE0ES3_S9_NS6_6detail15normal_iteratorINS6_10device_ptrIxEEEENSD_INSE_IjEEEESG_SI_PmS8_NS6_8equal_toIxEEEE10hipError_tPvRmT2_T3_mT4_T5_T6_T7_T8_P12ihipStream_tbENKUlT_T0_E_clISt17integral_constantIbLb1EES13_EEDaSY_SZ_EUlSY_E_NS1_11comp_targetILNS1_3genE10ELNS1_11target_archE1200ELNS1_3gpuE4ELNS1_3repE0EEENS1_30default_config_static_selectorELNS0_4arch9wavefront6targetE1EEEvT1_,"axG",@progbits,_ZN7rocprim17ROCPRIM_400000_NS6detail17trampoline_kernelINS0_14default_configENS1_29reduce_by_key_config_selectorIxjN6thrust23THRUST_200600_302600_NS4plusIjEEEEZZNS1_33reduce_by_key_impl_wrapped_configILNS1_25lookback_scan_determinismE0ES3_S9_NS6_6detail15normal_iteratorINS6_10device_ptrIxEEEENSD_INSE_IjEEEESG_SI_PmS8_NS6_8equal_toIxEEEE10hipError_tPvRmT2_T3_mT4_T5_T6_T7_T8_P12ihipStream_tbENKUlT_T0_E_clISt17integral_constantIbLb1EES13_EEDaSY_SZ_EUlSY_E_NS1_11comp_targetILNS1_3genE10ELNS1_11target_archE1200ELNS1_3gpuE4ELNS1_3repE0EEENS1_30default_config_static_selectorELNS0_4arch9wavefront6targetE1EEEvT1_,comdat
.Lfunc_end784:
	.size	_ZN7rocprim17ROCPRIM_400000_NS6detail17trampoline_kernelINS0_14default_configENS1_29reduce_by_key_config_selectorIxjN6thrust23THRUST_200600_302600_NS4plusIjEEEEZZNS1_33reduce_by_key_impl_wrapped_configILNS1_25lookback_scan_determinismE0ES3_S9_NS6_6detail15normal_iteratorINS6_10device_ptrIxEEEENSD_INSE_IjEEEESG_SI_PmS8_NS6_8equal_toIxEEEE10hipError_tPvRmT2_T3_mT4_T5_T6_T7_T8_P12ihipStream_tbENKUlT_T0_E_clISt17integral_constantIbLb1EES13_EEDaSY_SZ_EUlSY_E_NS1_11comp_targetILNS1_3genE10ELNS1_11target_archE1200ELNS1_3gpuE4ELNS1_3repE0EEENS1_30default_config_static_selectorELNS0_4arch9wavefront6targetE1EEEvT1_, .Lfunc_end784-_ZN7rocprim17ROCPRIM_400000_NS6detail17trampoline_kernelINS0_14default_configENS1_29reduce_by_key_config_selectorIxjN6thrust23THRUST_200600_302600_NS4plusIjEEEEZZNS1_33reduce_by_key_impl_wrapped_configILNS1_25lookback_scan_determinismE0ES3_S9_NS6_6detail15normal_iteratorINS6_10device_ptrIxEEEENSD_INSE_IjEEEESG_SI_PmS8_NS6_8equal_toIxEEEE10hipError_tPvRmT2_T3_mT4_T5_T6_T7_T8_P12ihipStream_tbENKUlT_T0_E_clISt17integral_constantIbLb1EES13_EEDaSY_SZ_EUlSY_E_NS1_11comp_targetILNS1_3genE10ELNS1_11target_archE1200ELNS1_3gpuE4ELNS1_3repE0EEENS1_30default_config_static_selectorELNS0_4arch9wavefront6targetE1EEEvT1_
                                        ; -- End function
	.section	.AMDGPU.csdata,"",@progbits
; Kernel info:
; codeLenInByte = 0
; NumSgprs: 4
; NumVgprs: 0
; NumAgprs: 0
; TotalNumVgprs: 0
; ScratchSize: 0
; MemoryBound: 0
; FloatMode: 240
; IeeeMode: 1
; LDSByteSize: 0 bytes/workgroup (compile time only)
; SGPRBlocks: 0
; VGPRBlocks: 0
; NumSGPRsForWavesPerEU: 4
; NumVGPRsForWavesPerEU: 1
; AccumOffset: 4
; Occupancy: 8
; WaveLimiterHint : 0
; COMPUTE_PGM_RSRC2:SCRATCH_EN: 0
; COMPUTE_PGM_RSRC2:USER_SGPR: 6
; COMPUTE_PGM_RSRC2:TRAP_HANDLER: 0
; COMPUTE_PGM_RSRC2:TGID_X_EN: 1
; COMPUTE_PGM_RSRC2:TGID_Y_EN: 0
; COMPUTE_PGM_RSRC2:TGID_Z_EN: 0
; COMPUTE_PGM_RSRC2:TIDIG_COMP_CNT: 0
; COMPUTE_PGM_RSRC3_GFX90A:ACCUM_OFFSET: 0
; COMPUTE_PGM_RSRC3_GFX90A:TG_SPLIT: 0
	.section	.text._ZN7rocprim17ROCPRIM_400000_NS6detail17trampoline_kernelINS0_14default_configENS1_29reduce_by_key_config_selectorIxjN6thrust23THRUST_200600_302600_NS4plusIjEEEEZZNS1_33reduce_by_key_impl_wrapped_configILNS1_25lookback_scan_determinismE0ES3_S9_NS6_6detail15normal_iteratorINS6_10device_ptrIxEEEENSD_INSE_IjEEEESG_SI_PmS8_NS6_8equal_toIxEEEE10hipError_tPvRmT2_T3_mT4_T5_T6_T7_T8_P12ihipStream_tbENKUlT_T0_E_clISt17integral_constantIbLb1EES13_EEDaSY_SZ_EUlSY_E_NS1_11comp_targetILNS1_3genE9ELNS1_11target_archE1100ELNS1_3gpuE3ELNS1_3repE0EEENS1_30default_config_static_selectorELNS0_4arch9wavefront6targetE1EEEvT1_,"axG",@progbits,_ZN7rocprim17ROCPRIM_400000_NS6detail17trampoline_kernelINS0_14default_configENS1_29reduce_by_key_config_selectorIxjN6thrust23THRUST_200600_302600_NS4plusIjEEEEZZNS1_33reduce_by_key_impl_wrapped_configILNS1_25lookback_scan_determinismE0ES3_S9_NS6_6detail15normal_iteratorINS6_10device_ptrIxEEEENSD_INSE_IjEEEESG_SI_PmS8_NS6_8equal_toIxEEEE10hipError_tPvRmT2_T3_mT4_T5_T6_T7_T8_P12ihipStream_tbENKUlT_T0_E_clISt17integral_constantIbLb1EES13_EEDaSY_SZ_EUlSY_E_NS1_11comp_targetILNS1_3genE9ELNS1_11target_archE1100ELNS1_3gpuE3ELNS1_3repE0EEENS1_30default_config_static_selectorELNS0_4arch9wavefront6targetE1EEEvT1_,comdat
	.protected	_ZN7rocprim17ROCPRIM_400000_NS6detail17trampoline_kernelINS0_14default_configENS1_29reduce_by_key_config_selectorIxjN6thrust23THRUST_200600_302600_NS4plusIjEEEEZZNS1_33reduce_by_key_impl_wrapped_configILNS1_25lookback_scan_determinismE0ES3_S9_NS6_6detail15normal_iteratorINS6_10device_ptrIxEEEENSD_INSE_IjEEEESG_SI_PmS8_NS6_8equal_toIxEEEE10hipError_tPvRmT2_T3_mT4_T5_T6_T7_T8_P12ihipStream_tbENKUlT_T0_E_clISt17integral_constantIbLb1EES13_EEDaSY_SZ_EUlSY_E_NS1_11comp_targetILNS1_3genE9ELNS1_11target_archE1100ELNS1_3gpuE3ELNS1_3repE0EEENS1_30default_config_static_selectorELNS0_4arch9wavefront6targetE1EEEvT1_ ; -- Begin function _ZN7rocprim17ROCPRIM_400000_NS6detail17trampoline_kernelINS0_14default_configENS1_29reduce_by_key_config_selectorIxjN6thrust23THRUST_200600_302600_NS4plusIjEEEEZZNS1_33reduce_by_key_impl_wrapped_configILNS1_25lookback_scan_determinismE0ES3_S9_NS6_6detail15normal_iteratorINS6_10device_ptrIxEEEENSD_INSE_IjEEEESG_SI_PmS8_NS6_8equal_toIxEEEE10hipError_tPvRmT2_T3_mT4_T5_T6_T7_T8_P12ihipStream_tbENKUlT_T0_E_clISt17integral_constantIbLb1EES13_EEDaSY_SZ_EUlSY_E_NS1_11comp_targetILNS1_3genE9ELNS1_11target_archE1100ELNS1_3gpuE3ELNS1_3repE0EEENS1_30default_config_static_selectorELNS0_4arch9wavefront6targetE1EEEvT1_
	.globl	_ZN7rocprim17ROCPRIM_400000_NS6detail17trampoline_kernelINS0_14default_configENS1_29reduce_by_key_config_selectorIxjN6thrust23THRUST_200600_302600_NS4plusIjEEEEZZNS1_33reduce_by_key_impl_wrapped_configILNS1_25lookback_scan_determinismE0ES3_S9_NS6_6detail15normal_iteratorINS6_10device_ptrIxEEEENSD_INSE_IjEEEESG_SI_PmS8_NS6_8equal_toIxEEEE10hipError_tPvRmT2_T3_mT4_T5_T6_T7_T8_P12ihipStream_tbENKUlT_T0_E_clISt17integral_constantIbLb1EES13_EEDaSY_SZ_EUlSY_E_NS1_11comp_targetILNS1_3genE9ELNS1_11target_archE1100ELNS1_3gpuE3ELNS1_3repE0EEENS1_30default_config_static_selectorELNS0_4arch9wavefront6targetE1EEEvT1_
	.p2align	8
	.type	_ZN7rocprim17ROCPRIM_400000_NS6detail17trampoline_kernelINS0_14default_configENS1_29reduce_by_key_config_selectorIxjN6thrust23THRUST_200600_302600_NS4plusIjEEEEZZNS1_33reduce_by_key_impl_wrapped_configILNS1_25lookback_scan_determinismE0ES3_S9_NS6_6detail15normal_iteratorINS6_10device_ptrIxEEEENSD_INSE_IjEEEESG_SI_PmS8_NS6_8equal_toIxEEEE10hipError_tPvRmT2_T3_mT4_T5_T6_T7_T8_P12ihipStream_tbENKUlT_T0_E_clISt17integral_constantIbLb1EES13_EEDaSY_SZ_EUlSY_E_NS1_11comp_targetILNS1_3genE9ELNS1_11target_archE1100ELNS1_3gpuE3ELNS1_3repE0EEENS1_30default_config_static_selectorELNS0_4arch9wavefront6targetE1EEEvT1_,@function
_ZN7rocprim17ROCPRIM_400000_NS6detail17trampoline_kernelINS0_14default_configENS1_29reduce_by_key_config_selectorIxjN6thrust23THRUST_200600_302600_NS4plusIjEEEEZZNS1_33reduce_by_key_impl_wrapped_configILNS1_25lookback_scan_determinismE0ES3_S9_NS6_6detail15normal_iteratorINS6_10device_ptrIxEEEENSD_INSE_IjEEEESG_SI_PmS8_NS6_8equal_toIxEEEE10hipError_tPvRmT2_T3_mT4_T5_T6_T7_T8_P12ihipStream_tbENKUlT_T0_E_clISt17integral_constantIbLb1EES13_EEDaSY_SZ_EUlSY_E_NS1_11comp_targetILNS1_3genE9ELNS1_11target_archE1100ELNS1_3gpuE3ELNS1_3repE0EEENS1_30default_config_static_selectorELNS0_4arch9wavefront6targetE1EEEvT1_: ; @_ZN7rocprim17ROCPRIM_400000_NS6detail17trampoline_kernelINS0_14default_configENS1_29reduce_by_key_config_selectorIxjN6thrust23THRUST_200600_302600_NS4plusIjEEEEZZNS1_33reduce_by_key_impl_wrapped_configILNS1_25lookback_scan_determinismE0ES3_S9_NS6_6detail15normal_iteratorINS6_10device_ptrIxEEEENSD_INSE_IjEEEESG_SI_PmS8_NS6_8equal_toIxEEEE10hipError_tPvRmT2_T3_mT4_T5_T6_T7_T8_P12ihipStream_tbENKUlT_T0_E_clISt17integral_constantIbLb1EES13_EEDaSY_SZ_EUlSY_E_NS1_11comp_targetILNS1_3genE9ELNS1_11target_archE1100ELNS1_3gpuE3ELNS1_3repE0EEENS1_30default_config_static_selectorELNS0_4arch9wavefront6targetE1EEEvT1_
; %bb.0:
	.section	.rodata,"a",@progbits
	.p2align	6, 0x0
	.amdhsa_kernel _ZN7rocprim17ROCPRIM_400000_NS6detail17trampoline_kernelINS0_14default_configENS1_29reduce_by_key_config_selectorIxjN6thrust23THRUST_200600_302600_NS4plusIjEEEEZZNS1_33reduce_by_key_impl_wrapped_configILNS1_25lookback_scan_determinismE0ES3_S9_NS6_6detail15normal_iteratorINS6_10device_ptrIxEEEENSD_INSE_IjEEEESG_SI_PmS8_NS6_8equal_toIxEEEE10hipError_tPvRmT2_T3_mT4_T5_T6_T7_T8_P12ihipStream_tbENKUlT_T0_E_clISt17integral_constantIbLb1EES13_EEDaSY_SZ_EUlSY_E_NS1_11comp_targetILNS1_3genE9ELNS1_11target_archE1100ELNS1_3gpuE3ELNS1_3repE0EEENS1_30default_config_static_selectorELNS0_4arch9wavefront6targetE1EEEvT1_
		.amdhsa_group_segment_fixed_size 0
		.amdhsa_private_segment_fixed_size 0
		.amdhsa_kernarg_size 120
		.amdhsa_user_sgpr_count 6
		.amdhsa_user_sgpr_private_segment_buffer 1
		.amdhsa_user_sgpr_dispatch_ptr 0
		.amdhsa_user_sgpr_queue_ptr 0
		.amdhsa_user_sgpr_kernarg_segment_ptr 1
		.amdhsa_user_sgpr_dispatch_id 0
		.amdhsa_user_sgpr_flat_scratch_init 0
		.amdhsa_user_sgpr_kernarg_preload_length 0
		.amdhsa_user_sgpr_kernarg_preload_offset 0
		.amdhsa_user_sgpr_private_segment_size 0
		.amdhsa_uses_dynamic_stack 0
		.amdhsa_system_sgpr_private_segment_wavefront_offset 0
		.amdhsa_system_sgpr_workgroup_id_x 1
		.amdhsa_system_sgpr_workgroup_id_y 0
		.amdhsa_system_sgpr_workgroup_id_z 0
		.amdhsa_system_sgpr_workgroup_info 0
		.amdhsa_system_vgpr_workitem_id 0
		.amdhsa_next_free_vgpr 1
		.amdhsa_next_free_sgpr 0
		.amdhsa_accum_offset 4
		.amdhsa_reserve_vcc 0
		.amdhsa_reserve_flat_scratch 0
		.amdhsa_float_round_mode_32 0
		.amdhsa_float_round_mode_16_64 0
		.amdhsa_float_denorm_mode_32 3
		.amdhsa_float_denorm_mode_16_64 3
		.amdhsa_dx10_clamp 1
		.amdhsa_ieee_mode 1
		.amdhsa_fp16_overflow 0
		.amdhsa_tg_split 0
		.amdhsa_exception_fp_ieee_invalid_op 0
		.amdhsa_exception_fp_denorm_src 0
		.amdhsa_exception_fp_ieee_div_zero 0
		.amdhsa_exception_fp_ieee_overflow 0
		.amdhsa_exception_fp_ieee_underflow 0
		.amdhsa_exception_fp_ieee_inexact 0
		.amdhsa_exception_int_div_zero 0
	.end_amdhsa_kernel
	.section	.text._ZN7rocprim17ROCPRIM_400000_NS6detail17trampoline_kernelINS0_14default_configENS1_29reduce_by_key_config_selectorIxjN6thrust23THRUST_200600_302600_NS4plusIjEEEEZZNS1_33reduce_by_key_impl_wrapped_configILNS1_25lookback_scan_determinismE0ES3_S9_NS6_6detail15normal_iteratorINS6_10device_ptrIxEEEENSD_INSE_IjEEEESG_SI_PmS8_NS6_8equal_toIxEEEE10hipError_tPvRmT2_T3_mT4_T5_T6_T7_T8_P12ihipStream_tbENKUlT_T0_E_clISt17integral_constantIbLb1EES13_EEDaSY_SZ_EUlSY_E_NS1_11comp_targetILNS1_3genE9ELNS1_11target_archE1100ELNS1_3gpuE3ELNS1_3repE0EEENS1_30default_config_static_selectorELNS0_4arch9wavefront6targetE1EEEvT1_,"axG",@progbits,_ZN7rocprim17ROCPRIM_400000_NS6detail17trampoline_kernelINS0_14default_configENS1_29reduce_by_key_config_selectorIxjN6thrust23THRUST_200600_302600_NS4plusIjEEEEZZNS1_33reduce_by_key_impl_wrapped_configILNS1_25lookback_scan_determinismE0ES3_S9_NS6_6detail15normal_iteratorINS6_10device_ptrIxEEEENSD_INSE_IjEEEESG_SI_PmS8_NS6_8equal_toIxEEEE10hipError_tPvRmT2_T3_mT4_T5_T6_T7_T8_P12ihipStream_tbENKUlT_T0_E_clISt17integral_constantIbLb1EES13_EEDaSY_SZ_EUlSY_E_NS1_11comp_targetILNS1_3genE9ELNS1_11target_archE1100ELNS1_3gpuE3ELNS1_3repE0EEENS1_30default_config_static_selectorELNS0_4arch9wavefront6targetE1EEEvT1_,comdat
.Lfunc_end785:
	.size	_ZN7rocprim17ROCPRIM_400000_NS6detail17trampoline_kernelINS0_14default_configENS1_29reduce_by_key_config_selectorIxjN6thrust23THRUST_200600_302600_NS4plusIjEEEEZZNS1_33reduce_by_key_impl_wrapped_configILNS1_25lookback_scan_determinismE0ES3_S9_NS6_6detail15normal_iteratorINS6_10device_ptrIxEEEENSD_INSE_IjEEEESG_SI_PmS8_NS6_8equal_toIxEEEE10hipError_tPvRmT2_T3_mT4_T5_T6_T7_T8_P12ihipStream_tbENKUlT_T0_E_clISt17integral_constantIbLb1EES13_EEDaSY_SZ_EUlSY_E_NS1_11comp_targetILNS1_3genE9ELNS1_11target_archE1100ELNS1_3gpuE3ELNS1_3repE0EEENS1_30default_config_static_selectorELNS0_4arch9wavefront6targetE1EEEvT1_, .Lfunc_end785-_ZN7rocprim17ROCPRIM_400000_NS6detail17trampoline_kernelINS0_14default_configENS1_29reduce_by_key_config_selectorIxjN6thrust23THRUST_200600_302600_NS4plusIjEEEEZZNS1_33reduce_by_key_impl_wrapped_configILNS1_25lookback_scan_determinismE0ES3_S9_NS6_6detail15normal_iteratorINS6_10device_ptrIxEEEENSD_INSE_IjEEEESG_SI_PmS8_NS6_8equal_toIxEEEE10hipError_tPvRmT2_T3_mT4_T5_T6_T7_T8_P12ihipStream_tbENKUlT_T0_E_clISt17integral_constantIbLb1EES13_EEDaSY_SZ_EUlSY_E_NS1_11comp_targetILNS1_3genE9ELNS1_11target_archE1100ELNS1_3gpuE3ELNS1_3repE0EEENS1_30default_config_static_selectorELNS0_4arch9wavefront6targetE1EEEvT1_
                                        ; -- End function
	.section	.AMDGPU.csdata,"",@progbits
; Kernel info:
; codeLenInByte = 0
; NumSgprs: 4
; NumVgprs: 0
; NumAgprs: 0
; TotalNumVgprs: 0
; ScratchSize: 0
; MemoryBound: 0
; FloatMode: 240
; IeeeMode: 1
; LDSByteSize: 0 bytes/workgroup (compile time only)
; SGPRBlocks: 0
; VGPRBlocks: 0
; NumSGPRsForWavesPerEU: 4
; NumVGPRsForWavesPerEU: 1
; AccumOffset: 4
; Occupancy: 8
; WaveLimiterHint : 0
; COMPUTE_PGM_RSRC2:SCRATCH_EN: 0
; COMPUTE_PGM_RSRC2:USER_SGPR: 6
; COMPUTE_PGM_RSRC2:TRAP_HANDLER: 0
; COMPUTE_PGM_RSRC2:TGID_X_EN: 1
; COMPUTE_PGM_RSRC2:TGID_Y_EN: 0
; COMPUTE_PGM_RSRC2:TGID_Z_EN: 0
; COMPUTE_PGM_RSRC2:TIDIG_COMP_CNT: 0
; COMPUTE_PGM_RSRC3_GFX90A:ACCUM_OFFSET: 0
; COMPUTE_PGM_RSRC3_GFX90A:TG_SPLIT: 0
	.section	.text._ZN7rocprim17ROCPRIM_400000_NS6detail17trampoline_kernelINS0_14default_configENS1_29reduce_by_key_config_selectorIxjN6thrust23THRUST_200600_302600_NS4plusIjEEEEZZNS1_33reduce_by_key_impl_wrapped_configILNS1_25lookback_scan_determinismE0ES3_S9_NS6_6detail15normal_iteratorINS6_10device_ptrIxEEEENSD_INSE_IjEEEESG_SI_PmS8_NS6_8equal_toIxEEEE10hipError_tPvRmT2_T3_mT4_T5_T6_T7_T8_P12ihipStream_tbENKUlT_T0_E_clISt17integral_constantIbLb1EES13_EEDaSY_SZ_EUlSY_E_NS1_11comp_targetILNS1_3genE8ELNS1_11target_archE1030ELNS1_3gpuE2ELNS1_3repE0EEENS1_30default_config_static_selectorELNS0_4arch9wavefront6targetE1EEEvT1_,"axG",@progbits,_ZN7rocprim17ROCPRIM_400000_NS6detail17trampoline_kernelINS0_14default_configENS1_29reduce_by_key_config_selectorIxjN6thrust23THRUST_200600_302600_NS4plusIjEEEEZZNS1_33reduce_by_key_impl_wrapped_configILNS1_25lookback_scan_determinismE0ES3_S9_NS6_6detail15normal_iteratorINS6_10device_ptrIxEEEENSD_INSE_IjEEEESG_SI_PmS8_NS6_8equal_toIxEEEE10hipError_tPvRmT2_T3_mT4_T5_T6_T7_T8_P12ihipStream_tbENKUlT_T0_E_clISt17integral_constantIbLb1EES13_EEDaSY_SZ_EUlSY_E_NS1_11comp_targetILNS1_3genE8ELNS1_11target_archE1030ELNS1_3gpuE2ELNS1_3repE0EEENS1_30default_config_static_selectorELNS0_4arch9wavefront6targetE1EEEvT1_,comdat
	.protected	_ZN7rocprim17ROCPRIM_400000_NS6detail17trampoline_kernelINS0_14default_configENS1_29reduce_by_key_config_selectorIxjN6thrust23THRUST_200600_302600_NS4plusIjEEEEZZNS1_33reduce_by_key_impl_wrapped_configILNS1_25lookback_scan_determinismE0ES3_S9_NS6_6detail15normal_iteratorINS6_10device_ptrIxEEEENSD_INSE_IjEEEESG_SI_PmS8_NS6_8equal_toIxEEEE10hipError_tPvRmT2_T3_mT4_T5_T6_T7_T8_P12ihipStream_tbENKUlT_T0_E_clISt17integral_constantIbLb1EES13_EEDaSY_SZ_EUlSY_E_NS1_11comp_targetILNS1_3genE8ELNS1_11target_archE1030ELNS1_3gpuE2ELNS1_3repE0EEENS1_30default_config_static_selectorELNS0_4arch9wavefront6targetE1EEEvT1_ ; -- Begin function _ZN7rocprim17ROCPRIM_400000_NS6detail17trampoline_kernelINS0_14default_configENS1_29reduce_by_key_config_selectorIxjN6thrust23THRUST_200600_302600_NS4plusIjEEEEZZNS1_33reduce_by_key_impl_wrapped_configILNS1_25lookback_scan_determinismE0ES3_S9_NS6_6detail15normal_iteratorINS6_10device_ptrIxEEEENSD_INSE_IjEEEESG_SI_PmS8_NS6_8equal_toIxEEEE10hipError_tPvRmT2_T3_mT4_T5_T6_T7_T8_P12ihipStream_tbENKUlT_T0_E_clISt17integral_constantIbLb1EES13_EEDaSY_SZ_EUlSY_E_NS1_11comp_targetILNS1_3genE8ELNS1_11target_archE1030ELNS1_3gpuE2ELNS1_3repE0EEENS1_30default_config_static_selectorELNS0_4arch9wavefront6targetE1EEEvT1_
	.globl	_ZN7rocprim17ROCPRIM_400000_NS6detail17trampoline_kernelINS0_14default_configENS1_29reduce_by_key_config_selectorIxjN6thrust23THRUST_200600_302600_NS4plusIjEEEEZZNS1_33reduce_by_key_impl_wrapped_configILNS1_25lookback_scan_determinismE0ES3_S9_NS6_6detail15normal_iteratorINS6_10device_ptrIxEEEENSD_INSE_IjEEEESG_SI_PmS8_NS6_8equal_toIxEEEE10hipError_tPvRmT2_T3_mT4_T5_T6_T7_T8_P12ihipStream_tbENKUlT_T0_E_clISt17integral_constantIbLb1EES13_EEDaSY_SZ_EUlSY_E_NS1_11comp_targetILNS1_3genE8ELNS1_11target_archE1030ELNS1_3gpuE2ELNS1_3repE0EEENS1_30default_config_static_selectorELNS0_4arch9wavefront6targetE1EEEvT1_
	.p2align	8
	.type	_ZN7rocprim17ROCPRIM_400000_NS6detail17trampoline_kernelINS0_14default_configENS1_29reduce_by_key_config_selectorIxjN6thrust23THRUST_200600_302600_NS4plusIjEEEEZZNS1_33reduce_by_key_impl_wrapped_configILNS1_25lookback_scan_determinismE0ES3_S9_NS6_6detail15normal_iteratorINS6_10device_ptrIxEEEENSD_INSE_IjEEEESG_SI_PmS8_NS6_8equal_toIxEEEE10hipError_tPvRmT2_T3_mT4_T5_T6_T7_T8_P12ihipStream_tbENKUlT_T0_E_clISt17integral_constantIbLb1EES13_EEDaSY_SZ_EUlSY_E_NS1_11comp_targetILNS1_3genE8ELNS1_11target_archE1030ELNS1_3gpuE2ELNS1_3repE0EEENS1_30default_config_static_selectorELNS0_4arch9wavefront6targetE1EEEvT1_,@function
_ZN7rocprim17ROCPRIM_400000_NS6detail17trampoline_kernelINS0_14default_configENS1_29reduce_by_key_config_selectorIxjN6thrust23THRUST_200600_302600_NS4plusIjEEEEZZNS1_33reduce_by_key_impl_wrapped_configILNS1_25lookback_scan_determinismE0ES3_S9_NS6_6detail15normal_iteratorINS6_10device_ptrIxEEEENSD_INSE_IjEEEESG_SI_PmS8_NS6_8equal_toIxEEEE10hipError_tPvRmT2_T3_mT4_T5_T6_T7_T8_P12ihipStream_tbENKUlT_T0_E_clISt17integral_constantIbLb1EES13_EEDaSY_SZ_EUlSY_E_NS1_11comp_targetILNS1_3genE8ELNS1_11target_archE1030ELNS1_3gpuE2ELNS1_3repE0EEENS1_30default_config_static_selectorELNS0_4arch9wavefront6targetE1EEEvT1_: ; @_ZN7rocprim17ROCPRIM_400000_NS6detail17trampoline_kernelINS0_14default_configENS1_29reduce_by_key_config_selectorIxjN6thrust23THRUST_200600_302600_NS4plusIjEEEEZZNS1_33reduce_by_key_impl_wrapped_configILNS1_25lookback_scan_determinismE0ES3_S9_NS6_6detail15normal_iteratorINS6_10device_ptrIxEEEENSD_INSE_IjEEEESG_SI_PmS8_NS6_8equal_toIxEEEE10hipError_tPvRmT2_T3_mT4_T5_T6_T7_T8_P12ihipStream_tbENKUlT_T0_E_clISt17integral_constantIbLb1EES13_EEDaSY_SZ_EUlSY_E_NS1_11comp_targetILNS1_3genE8ELNS1_11target_archE1030ELNS1_3gpuE2ELNS1_3repE0EEENS1_30default_config_static_selectorELNS0_4arch9wavefront6targetE1EEEvT1_
; %bb.0:
	.section	.rodata,"a",@progbits
	.p2align	6, 0x0
	.amdhsa_kernel _ZN7rocprim17ROCPRIM_400000_NS6detail17trampoline_kernelINS0_14default_configENS1_29reduce_by_key_config_selectorIxjN6thrust23THRUST_200600_302600_NS4plusIjEEEEZZNS1_33reduce_by_key_impl_wrapped_configILNS1_25lookback_scan_determinismE0ES3_S9_NS6_6detail15normal_iteratorINS6_10device_ptrIxEEEENSD_INSE_IjEEEESG_SI_PmS8_NS6_8equal_toIxEEEE10hipError_tPvRmT2_T3_mT4_T5_T6_T7_T8_P12ihipStream_tbENKUlT_T0_E_clISt17integral_constantIbLb1EES13_EEDaSY_SZ_EUlSY_E_NS1_11comp_targetILNS1_3genE8ELNS1_11target_archE1030ELNS1_3gpuE2ELNS1_3repE0EEENS1_30default_config_static_selectorELNS0_4arch9wavefront6targetE1EEEvT1_
		.amdhsa_group_segment_fixed_size 0
		.amdhsa_private_segment_fixed_size 0
		.amdhsa_kernarg_size 120
		.amdhsa_user_sgpr_count 6
		.amdhsa_user_sgpr_private_segment_buffer 1
		.amdhsa_user_sgpr_dispatch_ptr 0
		.amdhsa_user_sgpr_queue_ptr 0
		.amdhsa_user_sgpr_kernarg_segment_ptr 1
		.amdhsa_user_sgpr_dispatch_id 0
		.amdhsa_user_sgpr_flat_scratch_init 0
		.amdhsa_user_sgpr_kernarg_preload_length 0
		.amdhsa_user_sgpr_kernarg_preload_offset 0
		.amdhsa_user_sgpr_private_segment_size 0
		.amdhsa_uses_dynamic_stack 0
		.amdhsa_system_sgpr_private_segment_wavefront_offset 0
		.amdhsa_system_sgpr_workgroup_id_x 1
		.amdhsa_system_sgpr_workgroup_id_y 0
		.amdhsa_system_sgpr_workgroup_id_z 0
		.amdhsa_system_sgpr_workgroup_info 0
		.amdhsa_system_vgpr_workitem_id 0
		.amdhsa_next_free_vgpr 1
		.amdhsa_next_free_sgpr 0
		.amdhsa_accum_offset 4
		.amdhsa_reserve_vcc 0
		.amdhsa_reserve_flat_scratch 0
		.amdhsa_float_round_mode_32 0
		.amdhsa_float_round_mode_16_64 0
		.amdhsa_float_denorm_mode_32 3
		.amdhsa_float_denorm_mode_16_64 3
		.amdhsa_dx10_clamp 1
		.amdhsa_ieee_mode 1
		.amdhsa_fp16_overflow 0
		.amdhsa_tg_split 0
		.amdhsa_exception_fp_ieee_invalid_op 0
		.amdhsa_exception_fp_denorm_src 0
		.amdhsa_exception_fp_ieee_div_zero 0
		.amdhsa_exception_fp_ieee_overflow 0
		.amdhsa_exception_fp_ieee_underflow 0
		.amdhsa_exception_fp_ieee_inexact 0
		.amdhsa_exception_int_div_zero 0
	.end_amdhsa_kernel
	.section	.text._ZN7rocprim17ROCPRIM_400000_NS6detail17trampoline_kernelINS0_14default_configENS1_29reduce_by_key_config_selectorIxjN6thrust23THRUST_200600_302600_NS4plusIjEEEEZZNS1_33reduce_by_key_impl_wrapped_configILNS1_25lookback_scan_determinismE0ES3_S9_NS6_6detail15normal_iteratorINS6_10device_ptrIxEEEENSD_INSE_IjEEEESG_SI_PmS8_NS6_8equal_toIxEEEE10hipError_tPvRmT2_T3_mT4_T5_T6_T7_T8_P12ihipStream_tbENKUlT_T0_E_clISt17integral_constantIbLb1EES13_EEDaSY_SZ_EUlSY_E_NS1_11comp_targetILNS1_3genE8ELNS1_11target_archE1030ELNS1_3gpuE2ELNS1_3repE0EEENS1_30default_config_static_selectorELNS0_4arch9wavefront6targetE1EEEvT1_,"axG",@progbits,_ZN7rocprim17ROCPRIM_400000_NS6detail17trampoline_kernelINS0_14default_configENS1_29reduce_by_key_config_selectorIxjN6thrust23THRUST_200600_302600_NS4plusIjEEEEZZNS1_33reduce_by_key_impl_wrapped_configILNS1_25lookback_scan_determinismE0ES3_S9_NS6_6detail15normal_iteratorINS6_10device_ptrIxEEEENSD_INSE_IjEEEESG_SI_PmS8_NS6_8equal_toIxEEEE10hipError_tPvRmT2_T3_mT4_T5_T6_T7_T8_P12ihipStream_tbENKUlT_T0_E_clISt17integral_constantIbLb1EES13_EEDaSY_SZ_EUlSY_E_NS1_11comp_targetILNS1_3genE8ELNS1_11target_archE1030ELNS1_3gpuE2ELNS1_3repE0EEENS1_30default_config_static_selectorELNS0_4arch9wavefront6targetE1EEEvT1_,comdat
.Lfunc_end786:
	.size	_ZN7rocprim17ROCPRIM_400000_NS6detail17trampoline_kernelINS0_14default_configENS1_29reduce_by_key_config_selectorIxjN6thrust23THRUST_200600_302600_NS4plusIjEEEEZZNS1_33reduce_by_key_impl_wrapped_configILNS1_25lookback_scan_determinismE0ES3_S9_NS6_6detail15normal_iteratorINS6_10device_ptrIxEEEENSD_INSE_IjEEEESG_SI_PmS8_NS6_8equal_toIxEEEE10hipError_tPvRmT2_T3_mT4_T5_T6_T7_T8_P12ihipStream_tbENKUlT_T0_E_clISt17integral_constantIbLb1EES13_EEDaSY_SZ_EUlSY_E_NS1_11comp_targetILNS1_3genE8ELNS1_11target_archE1030ELNS1_3gpuE2ELNS1_3repE0EEENS1_30default_config_static_selectorELNS0_4arch9wavefront6targetE1EEEvT1_, .Lfunc_end786-_ZN7rocprim17ROCPRIM_400000_NS6detail17trampoline_kernelINS0_14default_configENS1_29reduce_by_key_config_selectorIxjN6thrust23THRUST_200600_302600_NS4plusIjEEEEZZNS1_33reduce_by_key_impl_wrapped_configILNS1_25lookback_scan_determinismE0ES3_S9_NS6_6detail15normal_iteratorINS6_10device_ptrIxEEEENSD_INSE_IjEEEESG_SI_PmS8_NS6_8equal_toIxEEEE10hipError_tPvRmT2_T3_mT4_T5_T6_T7_T8_P12ihipStream_tbENKUlT_T0_E_clISt17integral_constantIbLb1EES13_EEDaSY_SZ_EUlSY_E_NS1_11comp_targetILNS1_3genE8ELNS1_11target_archE1030ELNS1_3gpuE2ELNS1_3repE0EEENS1_30default_config_static_selectorELNS0_4arch9wavefront6targetE1EEEvT1_
                                        ; -- End function
	.section	.AMDGPU.csdata,"",@progbits
; Kernel info:
; codeLenInByte = 0
; NumSgprs: 4
; NumVgprs: 0
; NumAgprs: 0
; TotalNumVgprs: 0
; ScratchSize: 0
; MemoryBound: 0
; FloatMode: 240
; IeeeMode: 1
; LDSByteSize: 0 bytes/workgroup (compile time only)
; SGPRBlocks: 0
; VGPRBlocks: 0
; NumSGPRsForWavesPerEU: 4
; NumVGPRsForWavesPerEU: 1
; AccumOffset: 4
; Occupancy: 8
; WaveLimiterHint : 0
; COMPUTE_PGM_RSRC2:SCRATCH_EN: 0
; COMPUTE_PGM_RSRC2:USER_SGPR: 6
; COMPUTE_PGM_RSRC2:TRAP_HANDLER: 0
; COMPUTE_PGM_RSRC2:TGID_X_EN: 1
; COMPUTE_PGM_RSRC2:TGID_Y_EN: 0
; COMPUTE_PGM_RSRC2:TGID_Z_EN: 0
; COMPUTE_PGM_RSRC2:TIDIG_COMP_CNT: 0
; COMPUTE_PGM_RSRC3_GFX90A:ACCUM_OFFSET: 0
; COMPUTE_PGM_RSRC3_GFX90A:TG_SPLIT: 0
	.section	.text._ZN7rocprim17ROCPRIM_400000_NS6detail17trampoline_kernelINS0_14default_configENS1_29reduce_by_key_config_selectorIxjN6thrust23THRUST_200600_302600_NS4plusIjEEEEZZNS1_33reduce_by_key_impl_wrapped_configILNS1_25lookback_scan_determinismE0ES3_S9_NS6_6detail15normal_iteratorINS6_10device_ptrIxEEEENSD_INSE_IjEEEESG_SI_PmS8_NS6_8equal_toIxEEEE10hipError_tPvRmT2_T3_mT4_T5_T6_T7_T8_P12ihipStream_tbENKUlT_T0_E_clISt17integral_constantIbLb1EES12_IbLb0EEEEDaSY_SZ_EUlSY_E_NS1_11comp_targetILNS1_3genE0ELNS1_11target_archE4294967295ELNS1_3gpuE0ELNS1_3repE0EEENS1_30default_config_static_selectorELNS0_4arch9wavefront6targetE1EEEvT1_,"axG",@progbits,_ZN7rocprim17ROCPRIM_400000_NS6detail17trampoline_kernelINS0_14default_configENS1_29reduce_by_key_config_selectorIxjN6thrust23THRUST_200600_302600_NS4plusIjEEEEZZNS1_33reduce_by_key_impl_wrapped_configILNS1_25lookback_scan_determinismE0ES3_S9_NS6_6detail15normal_iteratorINS6_10device_ptrIxEEEENSD_INSE_IjEEEESG_SI_PmS8_NS6_8equal_toIxEEEE10hipError_tPvRmT2_T3_mT4_T5_T6_T7_T8_P12ihipStream_tbENKUlT_T0_E_clISt17integral_constantIbLb1EES12_IbLb0EEEEDaSY_SZ_EUlSY_E_NS1_11comp_targetILNS1_3genE0ELNS1_11target_archE4294967295ELNS1_3gpuE0ELNS1_3repE0EEENS1_30default_config_static_selectorELNS0_4arch9wavefront6targetE1EEEvT1_,comdat
	.protected	_ZN7rocprim17ROCPRIM_400000_NS6detail17trampoline_kernelINS0_14default_configENS1_29reduce_by_key_config_selectorIxjN6thrust23THRUST_200600_302600_NS4plusIjEEEEZZNS1_33reduce_by_key_impl_wrapped_configILNS1_25lookback_scan_determinismE0ES3_S9_NS6_6detail15normal_iteratorINS6_10device_ptrIxEEEENSD_INSE_IjEEEESG_SI_PmS8_NS6_8equal_toIxEEEE10hipError_tPvRmT2_T3_mT4_T5_T6_T7_T8_P12ihipStream_tbENKUlT_T0_E_clISt17integral_constantIbLb1EES12_IbLb0EEEEDaSY_SZ_EUlSY_E_NS1_11comp_targetILNS1_3genE0ELNS1_11target_archE4294967295ELNS1_3gpuE0ELNS1_3repE0EEENS1_30default_config_static_selectorELNS0_4arch9wavefront6targetE1EEEvT1_ ; -- Begin function _ZN7rocprim17ROCPRIM_400000_NS6detail17trampoline_kernelINS0_14default_configENS1_29reduce_by_key_config_selectorIxjN6thrust23THRUST_200600_302600_NS4plusIjEEEEZZNS1_33reduce_by_key_impl_wrapped_configILNS1_25lookback_scan_determinismE0ES3_S9_NS6_6detail15normal_iteratorINS6_10device_ptrIxEEEENSD_INSE_IjEEEESG_SI_PmS8_NS6_8equal_toIxEEEE10hipError_tPvRmT2_T3_mT4_T5_T6_T7_T8_P12ihipStream_tbENKUlT_T0_E_clISt17integral_constantIbLb1EES12_IbLb0EEEEDaSY_SZ_EUlSY_E_NS1_11comp_targetILNS1_3genE0ELNS1_11target_archE4294967295ELNS1_3gpuE0ELNS1_3repE0EEENS1_30default_config_static_selectorELNS0_4arch9wavefront6targetE1EEEvT1_
	.globl	_ZN7rocprim17ROCPRIM_400000_NS6detail17trampoline_kernelINS0_14default_configENS1_29reduce_by_key_config_selectorIxjN6thrust23THRUST_200600_302600_NS4plusIjEEEEZZNS1_33reduce_by_key_impl_wrapped_configILNS1_25lookback_scan_determinismE0ES3_S9_NS6_6detail15normal_iteratorINS6_10device_ptrIxEEEENSD_INSE_IjEEEESG_SI_PmS8_NS6_8equal_toIxEEEE10hipError_tPvRmT2_T3_mT4_T5_T6_T7_T8_P12ihipStream_tbENKUlT_T0_E_clISt17integral_constantIbLb1EES12_IbLb0EEEEDaSY_SZ_EUlSY_E_NS1_11comp_targetILNS1_3genE0ELNS1_11target_archE4294967295ELNS1_3gpuE0ELNS1_3repE0EEENS1_30default_config_static_selectorELNS0_4arch9wavefront6targetE1EEEvT1_
	.p2align	8
	.type	_ZN7rocprim17ROCPRIM_400000_NS6detail17trampoline_kernelINS0_14default_configENS1_29reduce_by_key_config_selectorIxjN6thrust23THRUST_200600_302600_NS4plusIjEEEEZZNS1_33reduce_by_key_impl_wrapped_configILNS1_25lookback_scan_determinismE0ES3_S9_NS6_6detail15normal_iteratorINS6_10device_ptrIxEEEENSD_INSE_IjEEEESG_SI_PmS8_NS6_8equal_toIxEEEE10hipError_tPvRmT2_T3_mT4_T5_T6_T7_T8_P12ihipStream_tbENKUlT_T0_E_clISt17integral_constantIbLb1EES12_IbLb0EEEEDaSY_SZ_EUlSY_E_NS1_11comp_targetILNS1_3genE0ELNS1_11target_archE4294967295ELNS1_3gpuE0ELNS1_3repE0EEENS1_30default_config_static_selectorELNS0_4arch9wavefront6targetE1EEEvT1_,@function
_ZN7rocprim17ROCPRIM_400000_NS6detail17trampoline_kernelINS0_14default_configENS1_29reduce_by_key_config_selectorIxjN6thrust23THRUST_200600_302600_NS4plusIjEEEEZZNS1_33reduce_by_key_impl_wrapped_configILNS1_25lookback_scan_determinismE0ES3_S9_NS6_6detail15normal_iteratorINS6_10device_ptrIxEEEENSD_INSE_IjEEEESG_SI_PmS8_NS6_8equal_toIxEEEE10hipError_tPvRmT2_T3_mT4_T5_T6_T7_T8_P12ihipStream_tbENKUlT_T0_E_clISt17integral_constantIbLb1EES12_IbLb0EEEEDaSY_SZ_EUlSY_E_NS1_11comp_targetILNS1_3genE0ELNS1_11target_archE4294967295ELNS1_3gpuE0ELNS1_3repE0EEENS1_30default_config_static_selectorELNS0_4arch9wavefront6targetE1EEEvT1_: ; @_ZN7rocprim17ROCPRIM_400000_NS6detail17trampoline_kernelINS0_14default_configENS1_29reduce_by_key_config_selectorIxjN6thrust23THRUST_200600_302600_NS4plusIjEEEEZZNS1_33reduce_by_key_impl_wrapped_configILNS1_25lookback_scan_determinismE0ES3_S9_NS6_6detail15normal_iteratorINS6_10device_ptrIxEEEENSD_INSE_IjEEEESG_SI_PmS8_NS6_8equal_toIxEEEE10hipError_tPvRmT2_T3_mT4_T5_T6_T7_T8_P12ihipStream_tbENKUlT_T0_E_clISt17integral_constantIbLb1EES12_IbLb0EEEEDaSY_SZ_EUlSY_E_NS1_11comp_targetILNS1_3genE0ELNS1_11target_archE4294967295ELNS1_3gpuE0ELNS1_3repE0EEENS1_30default_config_static_selectorELNS0_4arch9wavefront6targetE1EEEvT1_
; %bb.0:
	.section	.rodata,"a",@progbits
	.p2align	6, 0x0
	.amdhsa_kernel _ZN7rocprim17ROCPRIM_400000_NS6detail17trampoline_kernelINS0_14default_configENS1_29reduce_by_key_config_selectorIxjN6thrust23THRUST_200600_302600_NS4plusIjEEEEZZNS1_33reduce_by_key_impl_wrapped_configILNS1_25lookback_scan_determinismE0ES3_S9_NS6_6detail15normal_iteratorINS6_10device_ptrIxEEEENSD_INSE_IjEEEESG_SI_PmS8_NS6_8equal_toIxEEEE10hipError_tPvRmT2_T3_mT4_T5_T6_T7_T8_P12ihipStream_tbENKUlT_T0_E_clISt17integral_constantIbLb1EES12_IbLb0EEEEDaSY_SZ_EUlSY_E_NS1_11comp_targetILNS1_3genE0ELNS1_11target_archE4294967295ELNS1_3gpuE0ELNS1_3repE0EEENS1_30default_config_static_selectorELNS0_4arch9wavefront6targetE1EEEvT1_
		.amdhsa_group_segment_fixed_size 0
		.amdhsa_private_segment_fixed_size 0
		.amdhsa_kernarg_size 120
		.amdhsa_user_sgpr_count 6
		.amdhsa_user_sgpr_private_segment_buffer 1
		.amdhsa_user_sgpr_dispatch_ptr 0
		.amdhsa_user_sgpr_queue_ptr 0
		.amdhsa_user_sgpr_kernarg_segment_ptr 1
		.amdhsa_user_sgpr_dispatch_id 0
		.amdhsa_user_sgpr_flat_scratch_init 0
		.amdhsa_user_sgpr_kernarg_preload_length 0
		.amdhsa_user_sgpr_kernarg_preload_offset 0
		.amdhsa_user_sgpr_private_segment_size 0
		.amdhsa_uses_dynamic_stack 0
		.amdhsa_system_sgpr_private_segment_wavefront_offset 0
		.amdhsa_system_sgpr_workgroup_id_x 1
		.amdhsa_system_sgpr_workgroup_id_y 0
		.amdhsa_system_sgpr_workgroup_id_z 0
		.amdhsa_system_sgpr_workgroup_info 0
		.amdhsa_system_vgpr_workitem_id 0
		.amdhsa_next_free_vgpr 1
		.amdhsa_next_free_sgpr 0
		.amdhsa_accum_offset 4
		.amdhsa_reserve_vcc 0
		.amdhsa_reserve_flat_scratch 0
		.amdhsa_float_round_mode_32 0
		.amdhsa_float_round_mode_16_64 0
		.amdhsa_float_denorm_mode_32 3
		.amdhsa_float_denorm_mode_16_64 3
		.amdhsa_dx10_clamp 1
		.amdhsa_ieee_mode 1
		.amdhsa_fp16_overflow 0
		.amdhsa_tg_split 0
		.amdhsa_exception_fp_ieee_invalid_op 0
		.amdhsa_exception_fp_denorm_src 0
		.amdhsa_exception_fp_ieee_div_zero 0
		.amdhsa_exception_fp_ieee_overflow 0
		.amdhsa_exception_fp_ieee_underflow 0
		.amdhsa_exception_fp_ieee_inexact 0
		.amdhsa_exception_int_div_zero 0
	.end_amdhsa_kernel
	.section	.text._ZN7rocprim17ROCPRIM_400000_NS6detail17trampoline_kernelINS0_14default_configENS1_29reduce_by_key_config_selectorIxjN6thrust23THRUST_200600_302600_NS4plusIjEEEEZZNS1_33reduce_by_key_impl_wrapped_configILNS1_25lookback_scan_determinismE0ES3_S9_NS6_6detail15normal_iteratorINS6_10device_ptrIxEEEENSD_INSE_IjEEEESG_SI_PmS8_NS6_8equal_toIxEEEE10hipError_tPvRmT2_T3_mT4_T5_T6_T7_T8_P12ihipStream_tbENKUlT_T0_E_clISt17integral_constantIbLb1EES12_IbLb0EEEEDaSY_SZ_EUlSY_E_NS1_11comp_targetILNS1_3genE0ELNS1_11target_archE4294967295ELNS1_3gpuE0ELNS1_3repE0EEENS1_30default_config_static_selectorELNS0_4arch9wavefront6targetE1EEEvT1_,"axG",@progbits,_ZN7rocprim17ROCPRIM_400000_NS6detail17trampoline_kernelINS0_14default_configENS1_29reduce_by_key_config_selectorIxjN6thrust23THRUST_200600_302600_NS4plusIjEEEEZZNS1_33reduce_by_key_impl_wrapped_configILNS1_25lookback_scan_determinismE0ES3_S9_NS6_6detail15normal_iteratorINS6_10device_ptrIxEEEENSD_INSE_IjEEEESG_SI_PmS8_NS6_8equal_toIxEEEE10hipError_tPvRmT2_T3_mT4_T5_T6_T7_T8_P12ihipStream_tbENKUlT_T0_E_clISt17integral_constantIbLb1EES12_IbLb0EEEEDaSY_SZ_EUlSY_E_NS1_11comp_targetILNS1_3genE0ELNS1_11target_archE4294967295ELNS1_3gpuE0ELNS1_3repE0EEENS1_30default_config_static_selectorELNS0_4arch9wavefront6targetE1EEEvT1_,comdat
.Lfunc_end787:
	.size	_ZN7rocprim17ROCPRIM_400000_NS6detail17trampoline_kernelINS0_14default_configENS1_29reduce_by_key_config_selectorIxjN6thrust23THRUST_200600_302600_NS4plusIjEEEEZZNS1_33reduce_by_key_impl_wrapped_configILNS1_25lookback_scan_determinismE0ES3_S9_NS6_6detail15normal_iteratorINS6_10device_ptrIxEEEENSD_INSE_IjEEEESG_SI_PmS8_NS6_8equal_toIxEEEE10hipError_tPvRmT2_T3_mT4_T5_T6_T7_T8_P12ihipStream_tbENKUlT_T0_E_clISt17integral_constantIbLb1EES12_IbLb0EEEEDaSY_SZ_EUlSY_E_NS1_11comp_targetILNS1_3genE0ELNS1_11target_archE4294967295ELNS1_3gpuE0ELNS1_3repE0EEENS1_30default_config_static_selectorELNS0_4arch9wavefront6targetE1EEEvT1_, .Lfunc_end787-_ZN7rocprim17ROCPRIM_400000_NS6detail17trampoline_kernelINS0_14default_configENS1_29reduce_by_key_config_selectorIxjN6thrust23THRUST_200600_302600_NS4plusIjEEEEZZNS1_33reduce_by_key_impl_wrapped_configILNS1_25lookback_scan_determinismE0ES3_S9_NS6_6detail15normal_iteratorINS6_10device_ptrIxEEEENSD_INSE_IjEEEESG_SI_PmS8_NS6_8equal_toIxEEEE10hipError_tPvRmT2_T3_mT4_T5_T6_T7_T8_P12ihipStream_tbENKUlT_T0_E_clISt17integral_constantIbLb1EES12_IbLb0EEEEDaSY_SZ_EUlSY_E_NS1_11comp_targetILNS1_3genE0ELNS1_11target_archE4294967295ELNS1_3gpuE0ELNS1_3repE0EEENS1_30default_config_static_selectorELNS0_4arch9wavefront6targetE1EEEvT1_
                                        ; -- End function
	.section	.AMDGPU.csdata,"",@progbits
; Kernel info:
; codeLenInByte = 0
; NumSgprs: 4
; NumVgprs: 0
; NumAgprs: 0
; TotalNumVgprs: 0
; ScratchSize: 0
; MemoryBound: 0
; FloatMode: 240
; IeeeMode: 1
; LDSByteSize: 0 bytes/workgroup (compile time only)
; SGPRBlocks: 0
; VGPRBlocks: 0
; NumSGPRsForWavesPerEU: 4
; NumVGPRsForWavesPerEU: 1
; AccumOffset: 4
; Occupancy: 8
; WaveLimiterHint : 0
; COMPUTE_PGM_RSRC2:SCRATCH_EN: 0
; COMPUTE_PGM_RSRC2:USER_SGPR: 6
; COMPUTE_PGM_RSRC2:TRAP_HANDLER: 0
; COMPUTE_PGM_RSRC2:TGID_X_EN: 1
; COMPUTE_PGM_RSRC2:TGID_Y_EN: 0
; COMPUTE_PGM_RSRC2:TGID_Z_EN: 0
; COMPUTE_PGM_RSRC2:TIDIG_COMP_CNT: 0
; COMPUTE_PGM_RSRC3_GFX90A:ACCUM_OFFSET: 0
; COMPUTE_PGM_RSRC3_GFX90A:TG_SPLIT: 0
	.section	.text._ZN7rocprim17ROCPRIM_400000_NS6detail17trampoline_kernelINS0_14default_configENS1_29reduce_by_key_config_selectorIxjN6thrust23THRUST_200600_302600_NS4plusIjEEEEZZNS1_33reduce_by_key_impl_wrapped_configILNS1_25lookback_scan_determinismE0ES3_S9_NS6_6detail15normal_iteratorINS6_10device_ptrIxEEEENSD_INSE_IjEEEESG_SI_PmS8_NS6_8equal_toIxEEEE10hipError_tPvRmT2_T3_mT4_T5_T6_T7_T8_P12ihipStream_tbENKUlT_T0_E_clISt17integral_constantIbLb1EES12_IbLb0EEEEDaSY_SZ_EUlSY_E_NS1_11comp_targetILNS1_3genE5ELNS1_11target_archE942ELNS1_3gpuE9ELNS1_3repE0EEENS1_30default_config_static_selectorELNS0_4arch9wavefront6targetE1EEEvT1_,"axG",@progbits,_ZN7rocprim17ROCPRIM_400000_NS6detail17trampoline_kernelINS0_14default_configENS1_29reduce_by_key_config_selectorIxjN6thrust23THRUST_200600_302600_NS4plusIjEEEEZZNS1_33reduce_by_key_impl_wrapped_configILNS1_25lookback_scan_determinismE0ES3_S9_NS6_6detail15normal_iteratorINS6_10device_ptrIxEEEENSD_INSE_IjEEEESG_SI_PmS8_NS6_8equal_toIxEEEE10hipError_tPvRmT2_T3_mT4_T5_T6_T7_T8_P12ihipStream_tbENKUlT_T0_E_clISt17integral_constantIbLb1EES12_IbLb0EEEEDaSY_SZ_EUlSY_E_NS1_11comp_targetILNS1_3genE5ELNS1_11target_archE942ELNS1_3gpuE9ELNS1_3repE0EEENS1_30default_config_static_selectorELNS0_4arch9wavefront6targetE1EEEvT1_,comdat
	.protected	_ZN7rocprim17ROCPRIM_400000_NS6detail17trampoline_kernelINS0_14default_configENS1_29reduce_by_key_config_selectorIxjN6thrust23THRUST_200600_302600_NS4plusIjEEEEZZNS1_33reduce_by_key_impl_wrapped_configILNS1_25lookback_scan_determinismE0ES3_S9_NS6_6detail15normal_iteratorINS6_10device_ptrIxEEEENSD_INSE_IjEEEESG_SI_PmS8_NS6_8equal_toIxEEEE10hipError_tPvRmT2_T3_mT4_T5_T6_T7_T8_P12ihipStream_tbENKUlT_T0_E_clISt17integral_constantIbLb1EES12_IbLb0EEEEDaSY_SZ_EUlSY_E_NS1_11comp_targetILNS1_3genE5ELNS1_11target_archE942ELNS1_3gpuE9ELNS1_3repE0EEENS1_30default_config_static_selectorELNS0_4arch9wavefront6targetE1EEEvT1_ ; -- Begin function _ZN7rocprim17ROCPRIM_400000_NS6detail17trampoline_kernelINS0_14default_configENS1_29reduce_by_key_config_selectorIxjN6thrust23THRUST_200600_302600_NS4plusIjEEEEZZNS1_33reduce_by_key_impl_wrapped_configILNS1_25lookback_scan_determinismE0ES3_S9_NS6_6detail15normal_iteratorINS6_10device_ptrIxEEEENSD_INSE_IjEEEESG_SI_PmS8_NS6_8equal_toIxEEEE10hipError_tPvRmT2_T3_mT4_T5_T6_T7_T8_P12ihipStream_tbENKUlT_T0_E_clISt17integral_constantIbLb1EES12_IbLb0EEEEDaSY_SZ_EUlSY_E_NS1_11comp_targetILNS1_3genE5ELNS1_11target_archE942ELNS1_3gpuE9ELNS1_3repE0EEENS1_30default_config_static_selectorELNS0_4arch9wavefront6targetE1EEEvT1_
	.globl	_ZN7rocprim17ROCPRIM_400000_NS6detail17trampoline_kernelINS0_14default_configENS1_29reduce_by_key_config_selectorIxjN6thrust23THRUST_200600_302600_NS4plusIjEEEEZZNS1_33reduce_by_key_impl_wrapped_configILNS1_25lookback_scan_determinismE0ES3_S9_NS6_6detail15normal_iteratorINS6_10device_ptrIxEEEENSD_INSE_IjEEEESG_SI_PmS8_NS6_8equal_toIxEEEE10hipError_tPvRmT2_T3_mT4_T5_T6_T7_T8_P12ihipStream_tbENKUlT_T0_E_clISt17integral_constantIbLb1EES12_IbLb0EEEEDaSY_SZ_EUlSY_E_NS1_11comp_targetILNS1_3genE5ELNS1_11target_archE942ELNS1_3gpuE9ELNS1_3repE0EEENS1_30default_config_static_selectorELNS0_4arch9wavefront6targetE1EEEvT1_
	.p2align	8
	.type	_ZN7rocprim17ROCPRIM_400000_NS6detail17trampoline_kernelINS0_14default_configENS1_29reduce_by_key_config_selectorIxjN6thrust23THRUST_200600_302600_NS4plusIjEEEEZZNS1_33reduce_by_key_impl_wrapped_configILNS1_25lookback_scan_determinismE0ES3_S9_NS6_6detail15normal_iteratorINS6_10device_ptrIxEEEENSD_INSE_IjEEEESG_SI_PmS8_NS6_8equal_toIxEEEE10hipError_tPvRmT2_T3_mT4_T5_T6_T7_T8_P12ihipStream_tbENKUlT_T0_E_clISt17integral_constantIbLb1EES12_IbLb0EEEEDaSY_SZ_EUlSY_E_NS1_11comp_targetILNS1_3genE5ELNS1_11target_archE942ELNS1_3gpuE9ELNS1_3repE0EEENS1_30default_config_static_selectorELNS0_4arch9wavefront6targetE1EEEvT1_,@function
_ZN7rocprim17ROCPRIM_400000_NS6detail17trampoline_kernelINS0_14default_configENS1_29reduce_by_key_config_selectorIxjN6thrust23THRUST_200600_302600_NS4plusIjEEEEZZNS1_33reduce_by_key_impl_wrapped_configILNS1_25lookback_scan_determinismE0ES3_S9_NS6_6detail15normal_iteratorINS6_10device_ptrIxEEEENSD_INSE_IjEEEESG_SI_PmS8_NS6_8equal_toIxEEEE10hipError_tPvRmT2_T3_mT4_T5_T6_T7_T8_P12ihipStream_tbENKUlT_T0_E_clISt17integral_constantIbLb1EES12_IbLb0EEEEDaSY_SZ_EUlSY_E_NS1_11comp_targetILNS1_3genE5ELNS1_11target_archE942ELNS1_3gpuE9ELNS1_3repE0EEENS1_30default_config_static_selectorELNS0_4arch9wavefront6targetE1EEEvT1_: ; @_ZN7rocprim17ROCPRIM_400000_NS6detail17trampoline_kernelINS0_14default_configENS1_29reduce_by_key_config_selectorIxjN6thrust23THRUST_200600_302600_NS4plusIjEEEEZZNS1_33reduce_by_key_impl_wrapped_configILNS1_25lookback_scan_determinismE0ES3_S9_NS6_6detail15normal_iteratorINS6_10device_ptrIxEEEENSD_INSE_IjEEEESG_SI_PmS8_NS6_8equal_toIxEEEE10hipError_tPvRmT2_T3_mT4_T5_T6_T7_T8_P12ihipStream_tbENKUlT_T0_E_clISt17integral_constantIbLb1EES12_IbLb0EEEEDaSY_SZ_EUlSY_E_NS1_11comp_targetILNS1_3genE5ELNS1_11target_archE942ELNS1_3gpuE9ELNS1_3repE0EEENS1_30default_config_static_selectorELNS0_4arch9wavefront6targetE1EEEvT1_
; %bb.0:
	.section	.rodata,"a",@progbits
	.p2align	6, 0x0
	.amdhsa_kernel _ZN7rocprim17ROCPRIM_400000_NS6detail17trampoline_kernelINS0_14default_configENS1_29reduce_by_key_config_selectorIxjN6thrust23THRUST_200600_302600_NS4plusIjEEEEZZNS1_33reduce_by_key_impl_wrapped_configILNS1_25lookback_scan_determinismE0ES3_S9_NS6_6detail15normal_iteratorINS6_10device_ptrIxEEEENSD_INSE_IjEEEESG_SI_PmS8_NS6_8equal_toIxEEEE10hipError_tPvRmT2_T3_mT4_T5_T6_T7_T8_P12ihipStream_tbENKUlT_T0_E_clISt17integral_constantIbLb1EES12_IbLb0EEEEDaSY_SZ_EUlSY_E_NS1_11comp_targetILNS1_3genE5ELNS1_11target_archE942ELNS1_3gpuE9ELNS1_3repE0EEENS1_30default_config_static_selectorELNS0_4arch9wavefront6targetE1EEEvT1_
		.amdhsa_group_segment_fixed_size 0
		.amdhsa_private_segment_fixed_size 0
		.amdhsa_kernarg_size 120
		.amdhsa_user_sgpr_count 6
		.amdhsa_user_sgpr_private_segment_buffer 1
		.amdhsa_user_sgpr_dispatch_ptr 0
		.amdhsa_user_sgpr_queue_ptr 0
		.amdhsa_user_sgpr_kernarg_segment_ptr 1
		.amdhsa_user_sgpr_dispatch_id 0
		.amdhsa_user_sgpr_flat_scratch_init 0
		.amdhsa_user_sgpr_kernarg_preload_length 0
		.amdhsa_user_sgpr_kernarg_preload_offset 0
		.amdhsa_user_sgpr_private_segment_size 0
		.amdhsa_uses_dynamic_stack 0
		.amdhsa_system_sgpr_private_segment_wavefront_offset 0
		.amdhsa_system_sgpr_workgroup_id_x 1
		.amdhsa_system_sgpr_workgroup_id_y 0
		.amdhsa_system_sgpr_workgroup_id_z 0
		.amdhsa_system_sgpr_workgroup_info 0
		.amdhsa_system_vgpr_workitem_id 0
		.amdhsa_next_free_vgpr 1
		.amdhsa_next_free_sgpr 0
		.amdhsa_accum_offset 4
		.amdhsa_reserve_vcc 0
		.amdhsa_reserve_flat_scratch 0
		.amdhsa_float_round_mode_32 0
		.amdhsa_float_round_mode_16_64 0
		.amdhsa_float_denorm_mode_32 3
		.amdhsa_float_denorm_mode_16_64 3
		.amdhsa_dx10_clamp 1
		.amdhsa_ieee_mode 1
		.amdhsa_fp16_overflow 0
		.amdhsa_tg_split 0
		.amdhsa_exception_fp_ieee_invalid_op 0
		.amdhsa_exception_fp_denorm_src 0
		.amdhsa_exception_fp_ieee_div_zero 0
		.amdhsa_exception_fp_ieee_overflow 0
		.amdhsa_exception_fp_ieee_underflow 0
		.amdhsa_exception_fp_ieee_inexact 0
		.amdhsa_exception_int_div_zero 0
	.end_amdhsa_kernel
	.section	.text._ZN7rocprim17ROCPRIM_400000_NS6detail17trampoline_kernelINS0_14default_configENS1_29reduce_by_key_config_selectorIxjN6thrust23THRUST_200600_302600_NS4plusIjEEEEZZNS1_33reduce_by_key_impl_wrapped_configILNS1_25lookback_scan_determinismE0ES3_S9_NS6_6detail15normal_iteratorINS6_10device_ptrIxEEEENSD_INSE_IjEEEESG_SI_PmS8_NS6_8equal_toIxEEEE10hipError_tPvRmT2_T3_mT4_T5_T6_T7_T8_P12ihipStream_tbENKUlT_T0_E_clISt17integral_constantIbLb1EES12_IbLb0EEEEDaSY_SZ_EUlSY_E_NS1_11comp_targetILNS1_3genE5ELNS1_11target_archE942ELNS1_3gpuE9ELNS1_3repE0EEENS1_30default_config_static_selectorELNS0_4arch9wavefront6targetE1EEEvT1_,"axG",@progbits,_ZN7rocprim17ROCPRIM_400000_NS6detail17trampoline_kernelINS0_14default_configENS1_29reduce_by_key_config_selectorIxjN6thrust23THRUST_200600_302600_NS4plusIjEEEEZZNS1_33reduce_by_key_impl_wrapped_configILNS1_25lookback_scan_determinismE0ES3_S9_NS6_6detail15normal_iteratorINS6_10device_ptrIxEEEENSD_INSE_IjEEEESG_SI_PmS8_NS6_8equal_toIxEEEE10hipError_tPvRmT2_T3_mT4_T5_T6_T7_T8_P12ihipStream_tbENKUlT_T0_E_clISt17integral_constantIbLb1EES12_IbLb0EEEEDaSY_SZ_EUlSY_E_NS1_11comp_targetILNS1_3genE5ELNS1_11target_archE942ELNS1_3gpuE9ELNS1_3repE0EEENS1_30default_config_static_selectorELNS0_4arch9wavefront6targetE1EEEvT1_,comdat
.Lfunc_end788:
	.size	_ZN7rocprim17ROCPRIM_400000_NS6detail17trampoline_kernelINS0_14default_configENS1_29reduce_by_key_config_selectorIxjN6thrust23THRUST_200600_302600_NS4plusIjEEEEZZNS1_33reduce_by_key_impl_wrapped_configILNS1_25lookback_scan_determinismE0ES3_S9_NS6_6detail15normal_iteratorINS6_10device_ptrIxEEEENSD_INSE_IjEEEESG_SI_PmS8_NS6_8equal_toIxEEEE10hipError_tPvRmT2_T3_mT4_T5_T6_T7_T8_P12ihipStream_tbENKUlT_T0_E_clISt17integral_constantIbLb1EES12_IbLb0EEEEDaSY_SZ_EUlSY_E_NS1_11comp_targetILNS1_3genE5ELNS1_11target_archE942ELNS1_3gpuE9ELNS1_3repE0EEENS1_30default_config_static_selectorELNS0_4arch9wavefront6targetE1EEEvT1_, .Lfunc_end788-_ZN7rocprim17ROCPRIM_400000_NS6detail17trampoline_kernelINS0_14default_configENS1_29reduce_by_key_config_selectorIxjN6thrust23THRUST_200600_302600_NS4plusIjEEEEZZNS1_33reduce_by_key_impl_wrapped_configILNS1_25lookback_scan_determinismE0ES3_S9_NS6_6detail15normal_iteratorINS6_10device_ptrIxEEEENSD_INSE_IjEEEESG_SI_PmS8_NS6_8equal_toIxEEEE10hipError_tPvRmT2_T3_mT4_T5_T6_T7_T8_P12ihipStream_tbENKUlT_T0_E_clISt17integral_constantIbLb1EES12_IbLb0EEEEDaSY_SZ_EUlSY_E_NS1_11comp_targetILNS1_3genE5ELNS1_11target_archE942ELNS1_3gpuE9ELNS1_3repE0EEENS1_30default_config_static_selectorELNS0_4arch9wavefront6targetE1EEEvT1_
                                        ; -- End function
	.section	.AMDGPU.csdata,"",@progbits
; Kernel info:
; codeLenInByte = 0
; NumSgprs: 4
; NumVgprs: 0
; NumAgprs: 0
; TotalNumVgprs: 0
; ScratchSize: 0
; MemoryBound: 0
; FloatMode: 240
; IeeeMode: 1
; LDSByteSize: 0 bytes/workgroup (compile time only)
; SGPRBlocks: 0
; VGPRBlocks: 0
; NumSGPRsForWavesPerEU: 4
; NumVGPRsForWavesPerEU: 1
; AccumOffset: 4
; Occupancy: 8
; WaveLimiterHint : 0
; COMPUTE_PGM_RSRC2:SCRATCH_EN: 0
; COMPUTE_PGM_RSRC2:USER_SGPR: 6
; COMPUTE_PGM_RSRC2:TRAP_HANDLER: 0
; COMPUTE_PGM_RSRC2:TGID_X_EN: 1
; COMPUTE_PGM_RSRC2:TGID_Y_EN: 0
; COMPUTE_PGM_RSRC2:TGID_Z_EN: 0
; COMPUTE_PGM_RSRC2:TIDIG_COMP_CNT: 0
; COMPUTE_PGM_RSRC3_GFX90A:ACCUM_OFFSET: 0
; COMPUTE_PGM_RSRC3_GFX90A:TG_SPLIT: 0
	.section	.text._ZN7rocprim17ROCPRIM_400000_NS6detail17trampoline_kernelINS0_14default_configENS1_29reduce_by_key_config_selectorIxjN6thrust23THRUST_200600_302600_NS4plusIjEEEEZZNS1_33reduce_by_key_impl_wrapped_configILNS1_25lookback_scan_determinismE0ES3_S9_NS6_6detail15normal_iteratorINS6_10device_ptrIxEEEENSD_INSE_IjEEEESG_SI_PmS8_NS6_8equal_toIxEEEE10hipError_tPvRmT2_T3_mT4_T5_T6_T7_T8_P12ihipStream_tbENKUlT_T0_E_clISt17integral_constantIbLb1EES12_IbLb0EEEEDaSY_SZ_EUlSY_E_NS1_11comp_targetILNS1_3genE4ELNS1_11target_archE910ELNS1_3gpuE8ELNS1_3repE0EEENS1_30default_config_static_selectorELNS0_4arch9wavefront6targetE1EEEvT1_,"axG",@progbits,_ZN7rocprim17ROCPRIM_400000_NS6detail17trampoline_kernelINS0_14default_configENS1_29reduce_by_key_config_selectorIxjN6thrust23THRUST_200600_302600_NS4plusIjEEEEZZNS1_33reduce_by_key_impl_wrapped_configILNS1_25lookback_scan_determinismE0ES3_S9_NS6_6detail15normal_iteratorINS6_10device_ptrIxEEEENSD_INSE_IjEEEESG_SI_PmS8_NS6_8equal_toIxEEEE10hipError_tPvRmT2_T3_mT4_T5_T6_T7_T8_P12ihipStream_tbENKUlT_T0_E_clISt17integral_constantIbLb1EES12_IbLb0EEEEDaSY_SZ_EUlSY_E_NS1_11comp_targetILNS1_3genE4ELNS1_11target_archE910ELNS1_3gpuE8ELNS1_3repE0EEENS1_30default_config_static_selectorELNS0_4arch9wavefront6targetE1EEEvT1_,comdat
	.protected	_ZN7rocprim17ROCPRIM_400000_NS6detail17trampoline_kernelINS0_14default_configENS1_29reduce_by_key_config_selectorIxjN6thrust23THRUST_200600_302600_NS4plusIjEEEEZZNS1_33reduce_by_key_impl_wrapped_configILNS1_25lookback_scan_determinismE0ES3_S9_NS6_6detail15normal_iteratorINS6_10device_ptrIxEEEENSD_INSE_IjEEEESG_SI_PmS8_NS6_8equal_toIxEEEE10hipError_tPvRmT2_T3_mT4_T5_T6_T7_T8_P12ihipStream_tbENKUlT_T0_E_clISt17integral_constantIbLb1EES12_IbLb0EEEEDaSY_SZ_EUlSY_E_NS1_11comp_targetILNS1_3genE4ELNS1_11target_archE910ELNS1_3gpuE8ELNS1_3repE0EEENS1_30default_config_static_selectorELNS0_4arch9wavefront6targetE1EEEvT1_ ; -- Begin function _ZN7rocprim17ROCPRIM_400000_NS6detail17trampoline_kernelINS0_14default_configENS1_29reduce_by_key_config_selectorIxjN6thrust23THRUST_200600_302600_NS4plusIjEEEEZZNS1_33reduce_by_key_impl_wrapped_configILNS1_25lookback_scan_determinismE0ES3_S9_NS6_6detail15normal_iteratorINS6_10device_ptrIxEEEENSD_INSE_IjEEEESG_SI_PmS8_NS6_8equal_toIxEEEE10hipError_tPvRmT2_T3_mT4_T5_T6_T7_T8_P12ihipStream_tbENKUlT_T0_E_clISt17integral_constantIbLb1EES12_IbLb0EEEEDaSY_SZ_EUlSY_E_NS1_11comp_targetILNS1_3genE4ELNS1_11target_archE910ELNS1_3gpuE8ELNS1_3repE0EEENS1_30default_config_static_selectorELNS0_4arch9wavefront6targetE1EEEvT1_
	.globl	_ZN7rocprim17ROCPRIM_400000_NS6detail17trampoline_kernelINS0_14default_configENS1_29reduce_by_key_config_selectorIxjN6thrust23THRUST_200600_302600_NS4plusIjEEEEZZNS1_33reduce_by_key_impl_wrapped_configILNS1_25lookback_scan_determinismE0ES3_S9_NS6_6detail15normal_iteratorINS6_10device_ptrIxEEEENSD_INSE_IjEEEESG_SI_PmS8_NS6_8equal_toIxEEEE10hipError_tPvRmT2_T3_mT4_T5_T6_T7_T8_P12ihipStream_tbENKUlT_T0_E_clISt17integral_constantIbLb1EES12_IbLb0EEEEDaSY_SZ_EUlSY_E_NS1_11comp_targetILNS1_3genE4ELNS1_11target_archE910ELNS1_3gpuE8ELNS1_3repE0EEENS1_30default_config_static_selectorELNS0_4arch9wavefront6targetE1EEEvT1_
	.p2align	8
	.type	_ZN7rocprim17ROCPRIM_400000_NS6detail17trampoline_kernelINS0_14default_configENS1_29reduce_by_key_config_selectorIxjN6thrust23THRUST_200600_302600_NS4plusIjEEEEZZNS1_33reduce_by_key_impl_wrapped_configILNS1_25lookback_scan_determinismE0ES3_S9_NS6_6detail15normal_iteratorINS6_10device_ptrIxEEEENSD_INSE_IjEEEESG_SI_PmS8_NS6_8equal_toIxEEEE10hipError_tPvRmT2_T3_mT4_T5_T6_T7_T8_P12ihipStream_tbENKUlT_T0_E_clISt17integral_constantIbLb1EES12_IbLb0EEEEDaSY_SZ_EUlSY_E_NS1_11comp_targetILNS1_3genE4ELNS1_11target_archE910ELNS1_3gpuE8ELNS1_3repE0EEENS1_30default_config_static_selectorELNS0_4arch9wavefront6targetE1EEEvT1_,@function
_ZN7rocprim17ROCPRIM_400000_NS6detail17trampoline_kernelINS0_14default_configENS1_29reduce_by_key_config_selectorIxjN6thrust23THRUST_200600_302600_NS4plusIjEEEEZZNS1_33reduce_by_key_impl_wrapped_configILNS1_25lookback_scan_determinismE0ES3_S9_NS6_6detail15normal_iteratorINS6_10device_ptrIxEEEENSD_INSE_IjEEEESG_SI_PmS8_NS6_8equal_toIxEEEE10hipError_tPvRmT2_T3_mT4_T5_T6_T7_T8_P12ihipStream_tbENKUlT_T0_E_clISt17integral_constantIbLb1EES12_IbLb0EEEEDaSY_SZ_EUlSY_E_NS1_11comp_targetILNS1_3genE4ELNS1_11target_archE910ELNS1_3gpuE8ELNS1_3repE0EEENS1_30default_config_static_selectorELNS0_4arch9wavefront6targetE1EEEvT1_: ; @_ZN7rocprim17ROCPRIM_400000_NS6detail17trampoline_kernelINS0_14default_configENS1_29reduce_by_key_config_selectorIxjN6thrust23THRUST_200600_302600_NS4plusIjEEEEZZNS1_33reduce_by_key_impl_wrapped_configILNS1_25lookback_scan_determinismE0ES3_S9_NS6_6detail15normal_iteratorINS6_10device_ptrIxEEEENSD_INSE_IjEEEESG_SI_PmS8_NS6_8equal_toIxEEEE10hipError_tPvRmT2_T3_mT4_T5_T6_T7_T8_P12ihipStream_tbENKUlT_T0_E_clISt17integral_constantIbLb1EES12_IbLb0EEEEDaSY_SZ_EUlSY_E_NS1_11comp_targetILNS1_3genE4ELNS1_11target_archE910ELNS1_3gpuE8ELNS1_3repE0EEENS1_30default_config_static_selectorELNS0_4arch9wavefront6targetE1EEEvT1_
; %bb.0:
	s_load_dwordx8 s[36:43], s[4:5], 0x0
	s_load_dwordx4 s[52:55], s[4:5], 0x20
	s_load_dwordx8 s[44:51], s[4:5], 0x38
	s_load_dwordx2 s[60:61], s[4:5], 0x68
	s_load_dwordx4 s[56:59], s[4:5], 0x58
	s_waitcnt lgkmcnt(0)
	s_lshl_b64 s[0:1], s[38:39], 3
	s_add_u32 s4, s36, s0
	s_addc_u32 s5, s37, s1
	s_lshl_b64 s[0:1], s[38:39], 2
	s_add_u32 s8, s40, s0
	s_addc_u32 s9, s41, s1
	s_mul_i32 s0, s48, s47
	s_mul_hi_u32 s1, s48, s46
	s_add_i32 s0, s1, s0
	s_mul_i32 s1, s49, s46
	s_add_i32 s10, s0, s1
	s_mul_i32 s0, s6, 0xf00
	s_mov_b32 s1, 0
	s_lshl_b64 s[2:3], s[0:1], 3
	s_add_u32 s7, s4, s2
	s_mul_i32 s11, s48, s46
	s_addc_u32 s48, s5, s3
	s_lshl_b64 s[0:1], s[0:1], 2
	s_add_u32 s49, s8, s0
	s_addc_u32 s62, s9, s1
	s_add_u32 s38, s11, s6
	s_addc_u32 s39, s10, 0
	s_add_u32 s2, s50, -1
	s_addc_u32 s3, s51, -1
	s_cmp_eq_u64 s[38:39], s[2:3]
	s_cselect_b64 s[34:35], -1, 0
	s_cmp_lg_u64 s[38:39], s[2:3]
	s_mov_b64 s[0:1], -1
	s_cselect_b64 s[40:41], -1, 0
	s_mul_i32 s33, s2, 0xfffff100
	s_and_b64 vcc, exec, s[34:35]
	s_cbranch_vccnz .LBB789_2
; %bb.1:
	v_lshlrev_b32_e32 v1, 3, v0
	v_mov_b32_e32 v3, s48
	v_add_co_u32_e32 v2, vcc, s7, v1
	v_addc_co_u32_e32 v3, vcc, 0, v3, vcc
	v_add_co_u32_e32 v4, vcc, 0x1000, v2
	v_addc_co_u32_e32 v5, vcc, 0, v3, vcc
	flat_load_dwordx2 v[6:7], v[2:3]
	flat_load_dwordx2 v[8:9], v[2:3] offset:2048
	flat_load_dwordx2 v[10:11], v[4:5]
	flat_load_dwordx2 v[12:13], v[4:5] offset:2048
	v_add_co_u32_e32 v4, vcc, 0x2000, v2
	v_addc_co_u32_e32 v5, vcc, 0, v3, vcc
	v_add_co_u32_e32 v14, vcc, 0x3000, v2
	v_addc_co_u32_e32 v15, vcc, 0, v3, vcc
	flat_load_dwordx2 v[16:17], v[4:5]
	flat_load_dwordx2 v[18:19], v[4:5] offset:2048
	flat_load_dwordx2 v[20:21], v[14:15]
	flat_load_dwordx2 v[22:23], v[14:15] offset:2048
	;; [unrolled: 8-line block ×3, first 2 shown]
	v_add_co_u32_e32 v4, vcc, 0x6000, v2
	v_addc_co_u32_e32 v5, vcc, 0, v3, vcc
	v_add_co_u32_e32 v2, vcc, 0x7000, v2
	v_addc_co_u32_e32 v3, vcc, 0, v3, vcc
	flat_load_dwordx2 v[14:15], v[4:5]
	flat_load_dwordx2 v[32:33], v[4:5] offset:2048
	flat_load_dwordx2 v[34:35], v[2:3]
	v_lshlrev_b32_e32 v2, 2, v0
	v_mov_b32_e32 v3, s62
	v_add_co_u32_e32 v36, vcc, s49, v2
	s_movk_i32 s0, 0x1000
	v_addc_co_u32_e32 v37, vcc, 0, v3, vcc
	s_movk_i32 s3, 0x70
	s_movk_i32 s1, 0x2000
	v_mad_u32_u24 v38, v0, s3, v1
	s_movk_i32 s2, 0x3000
	v_mad_u32_u24 v49, v0, 15, 1
	v_mad_u32_u24 v48, v0, 15, 2
	;; [unrolled: 1-line block ×14, first 2 shown]
	s_waitcnt vmcnt(0) lgkmcnt(0)
	ds_write2st64_b64 v1, v[6:7], v[8:9] offset1:4
	ds_write2st64_b64 v1, v[10:11], v[12:13] offset0:8 offset1:12
	ds_write2st64_b64 v1, v[16:17], v[18:19] offset0:16 offset1:20
	ds_write2st64_b64 v1, v[20:21], v[22:23] offset0:24 offset1:28
	ds_write2st64_b64 v1, v[24:25], v[26:27] offset0:32 offset1:36
	ds_write2st64_b64 v1, v[28:29], v[30:31] offset0:40 offset1:44
	ds_write2st64_b64 v1, v[14:15], v[32:33] offset0:48 offset1:52
	ds_write_b64 v1, v[34:35] offset:28672
	v_add_co_u32_e32 v30, vcc, s0, v36
	v_addc_co_u32_e32 v31, vcc, 0, v37, vcc
	s_waitcnt lgkmcnt(0)
	s_barrier
	ds_read2_b64 v[26:29], v38 offset1:1
	ds_read2_b64 v[22:25], v38 offset0:2 offset1:3
	ds_read2_b64 v[18:21], v38 offset0:4 offset1:5
	;; [unrolled: 1-line block ×6, first 2 shown]
	ds_read_b64 v[46:47], v38 offset:112
	s_waitcnt lgkmcnt(0)
	s_barrier
	flat_load_dword v44, v[36:37]
	flat_load_dword v45, v[36:37] offset:1024
	flat_load_dword v62, v[36:37] offset:2048
	;; [unrolled: 1-line block ×3, first 2 shown]
	flat_load_dword v64, v[30:31]
	flat_load_dword v65, v[30:31] offset:1024
	flat_load_dword v66, v[30:31] offset:2048
	;; [unrolled: 1-line block ×3, first 2 shown]
	v_add_co_u32_e32 v30, vcc, s1, v36
	v_addc_co_u32_e32 v31, vcc, 0, v37, vcc
	v_add_co_u32_e32 v32, vcc, s2, v36
	v_addc_co_u32_e32 v33, vcc, 0, v37, vcc
	flat_load_dword v68, v[30:31]
	flat_load_dword v69, v[30:31] offset:1024
	flat_load_dword v70, v[30:31] offset:2048
	;; [unrolled: 1-line block ×3, first 2 shown]
	flat_load_dword v72, v[32:33]
	flat_load_dword v73, v[32:33] offset:1024
	flat_load_dword v74, v[32:33] offset:2048
	s_movk_i32 s0, 0xff8c
	v_mul_u32_u24_e32 v1, 15, v0
	v_mad_i32_i24 v75, v0, s0, v38
	v_mov_b32_e32 v30, v26
	v_mov_b32_e32 v31, v27
	;; [unrolled: 1-line block ×14, first 2 shown]
	s_waitcnt vmcnt(0) lgkmcnt(0)
	ds_write2st64_b32 v75, v44, v45 offset1:4
	ds_write2st64_b32 v75, v62, v63 offset0:8 offset1:12
	ds_write2st64_b32 v75, v64, v65 offset0:16 offset1:20
	;; [unrolled: 1-line block ×6, first 2 shown]
	ds_write_b32 v75, v74 offset:14336
	s_waitcnt lgkmcnt(0)
	s_barrier
	s_add_i32 s33, s33, s56
	s_cbranch_execz .LBB789_3
	s_branch .LBB789_64
.LBB789_2:
                                        ; implicit-def: $vgpr46_vgpr47
                                        ; implicit-def: $vgpr2_vgpr3
                                        ; implicit-def: $vgpr6_vgpr7
                                        ; implicit-def: $vgpr10_vgpr11
                                        ; implicit-def: $vgpr14_vgpr15
                                        ; implicit-def: $vgpr18_vgpr19
                                        ; implicit-def: $vgpr22_vgpr23
                                        ; implicit-def: $vgpr26_vgpr27
                                        ; implicit-def: $vgpr60
                                        ; implicit-def: $vgpr61
                                        ; implicit-def: $vgpr58
                                        ; implicit-def: $vgpr59
                                        ; implicit-def: $vgpr55
                                        ; implicit-def: $vgpr57
                                        ; implicit-def: $vgpr53
                                        ; implicit-def: $vgpr56
                                        ; implicit-def: $vgpr52
                                        ; implicit-def: $vgpr54
                                        ; implicit-def: $vgpr50
                                        ; implicit-def: $vgpr51
                                        ; implicit-def: $vgpr48
                                        ; implicit-def: $vgpr49
                                        ; implicit-def: $vgpr1
                                        ; implicit-def: $vgpr38_vgpr39_vgpr40_vgpr41
                                        ; implicit-def: $vgpr34_vgpr35_vgpr36_vgpr37
                                        ; implicit-def: $vgpr30_vgpr31_vgpr32_vgpr33
                                        ; implicit-def: $vgpr42_vgpr43_vgpr44_vgpr45
	s_andn2_b64 vcc, exec, s[0:1]
	s_add_i32 s33, s33, s56
	s_cbranch_vccnz .LBB789_64
.LBB789_3:
	v_cmp_gt_u32_e32 vcc, s33, v0
                                        ; implicit-def: $vgpr2_vgpr3
	s_and_saveexec_b64 s[2:3], vcc
	s_cbranch_execz .LBB789_5
; %bb.4:
	v_lshlrev_b32_e32 v1, 3, v0
	v_mov_b32_e32 v3, s48
	v_add_co_u32_e64 v2, s[0:1], s7, v1
	v_addc_co_u32_e64 v3, s[0:1], 0, v3, s[0:1]
	flat_load_dwordx2 v[2:3], v[2:3]
.LBB789_5:
	s_or_b64 exec, exec, s[2:3]
	v_or_b32_e32 v1, 0x100, v0
	v_cmp_gt_u32_e64 s[0:1], s33, v1
                                        ; implicit-def: $vgpr4_vgpr5
	s_and_saveexec_b64 s[4:5], s[0:1]
	s_cbranch_execz .LBB789_7
; %bb.6:
	v_lshlrev_b32_e32 v1, 3, v0
	v_mov_b32_e32 v5, s48
	v_add_co_u32_e64 v4, s[2:3], s7, v1
	v_addc_co_u32_e64 v5, s[2:3], 0, v5, s[2:3]
	flat_load_dwordx2 v[4:5], v[4:5] offset:2048
.LBB789_7:
	s_or_b64 exec, exec, s[4:5]
	v_or_b32_e32 v1, 0x200, v0
	v_cmp_gt_u32_e64 s[2:3], s33, v1
                                        ; implicit-def: $vgpr6_vgpr7
	s_and_saveexec_b64 s[8:9], s[2:3]
	s_cbranch_execz .LBB789_9
; %bb.8:
	v_lshlrev_b32_e32 v1, 3, v1
	v_mov_b32_e32 v7, s48
	v_add_co_u32_e64 v6, s[4:5], s7, v1
	v_addc_co_u32_e64 v7, s[4:5], 0, v7, s[4:5]
	flat_load_dwordx2 v[6:7], v[6:7]
.LBB789_9:
	s_or_b64 exec, exec, s[8:9]
	v_or_b32_e32 v1, 0x300, v0
	v_cmp_gt_u32_e64 s[4:5], s33, v1
                                        ; implicit-def: $vgpr8_vgpr9
	s_and_saveexec_b64 s[10:11], s[4:5]
	s_cbranch_execz .LBB789_11
; %bb.10:
	v_lshlrev_b32_e32 v1, 3, v1
	v_mov_b32_e32 v9, s48
	v_add_co_u32_e64 v8, s[8:9], s7, v1
	v_addc_co_u32_e64 v9, s[8:9], 0, v9, s[8:9]
	flat_load_dwordx2 v[8:9], v[8:9]
.LBB789_11:
	s_or_b64 exec, exec, s[10:11]
	v_or_b32_e32 v1, 0x400, v0
	v_cmp_gt_u32_e64 s[28:29], s33, v1
                                        ; implicit-def: $vgpr10_vgpr11
	s_and_saveexec_b64 s[10:11], s[28:29]
	s_cbranch_execz .LBB789_13
; %bb.12:
	v_lshlrev_b32_e32 v10, 3, v1
	v_mov_b32_e32 v11, s48
	v_add_co_u32_e64 v10, s[8:9], s7, v10
	v_addc_co_u32_e64 v11, s[8:9], 0, v11, s[8:9]
	flat_load_dwordx2 v[10:11], v[10:11]
.LBB789_13:
	s_or_b64 exec, exec, s[10:11]
	v_or_b32_e32 v33, 0x500, v0
	v_cmp_gt_u32_e64 s[8:9], s33, v33
                                        ; implicit-def: $vgpr12_vgpr13
	s_and_saveexec_b64 s[12:13], s[8:9]
	s_cbranch_execz .LBB789_15
; %bb.14:
	v_lshlrev_b32_e32 v12, 3, v33
	v_mov_b32_e32 v13, s48
	v_add_co_u32_e64 v12, s[10:11], s7, v12
	v_addc_co_u32_e64 v13, s[10:11], 0, v13, s[10:11]
	flat_load_dwordx2 v[12:13], v[12:13]
.LBB789_15:
	s_or_b64 exec, exec, s[12:13]
	v_or_b32_e32 v34, 0x600, v0
	v_cmp_gt_u32_e64 s[10:11], s33, v34
                                        ; implicit-def: $vgpr14_vgpr15
	s_and_saveexec_b64 s[14:15], s[10:11]
	s_cbranch_execz .LBB789_17
; %bb.16:
	v_lshlrev_b32_e32 v14, 3, v34
	v_mov_b32_e32 v15, s48
	v_add_co_u32_e64 v14, s[12:13], s7, v14
	v_addc_co_u32_e64 v15, s[12:13], 0, v15, s[12:13]
	flat_load_dwordx2 v[14:15], v[14:15]
.LBB789_17:
	s_or_b64 exec, exec, s[14:15]
	v_or_b32_e32 v35, 0x700, v0
	v_cmp_gt_u32_e64 s[12:13], s33, v35
                                        ; implicit-def: $vgpr16_vgpr17
	s_and_saveexec_b64 s[16:17], s[12:13]
	s_cbranch_execz .LBB789_19
; %bb.18:
	v_lshlrev_b32_e32 v16, 3, v35
	v_mov_b32_e32 v17, s48
	v_add_co_u32_e64 v16, s[14:15], s7, v16
	v_addc_co_u32_e64 v17, s[14:15], 0, v17, s[14:15]
	flat_load_dwordx2 v[16:17], v[16:17]
.LBB789_19:
	s_or_b64 exec, exec, s[16:17]
	v_or_b32_e32 v36, 0x800, v0
	v_cmp_gt_u32_e64 s[14:15], s33, v36
                                        ; implicit-def: $vgpr18_vgpr19
	s_and_saveexec_b64 s[18:19], s[14:15]
	s_cbranch_execz .LBB789_21
; %bb.20:
	v_lshlrev_b32_e32 v18, 3, v36
	v_mov_b32_e32 v19, s48
	v_add_co_u32_e64 v18, s[16:17], s7, v18
	v_addc_co_u32_e64 v19, s[16:17], 0, v19, s[16:17]
	flat_load_dwordx2 v[18:19], v[18:19]
.LBB789_21:
	s_or_b64 exec, exec, s[18:19]
	v_or_b32_e32 v37, 0x900, v0
	v_cmp_gt_u32_e64 s[16:17], s33, v37
                                        ; implicit-def: $vgpr20_vgpr21
	s_and_saveexec_b64 s[20:21], s[16:17]
	s_cbranch_execz .LBB789_23
; %bb.22:
	v_lshlrev_b32_e32 v20, 3, v37
	v_mov_b32_e32 v21, s48
	v_add_co_u32_e64 v20, s[18:19], s7, v20
	v_addc_co_u32_e64 v21, s[18:19], 0, v21, s[18:19]
	flat_load_dwordx2 v[20:21], v[20:21]
.LBB789_23:
	s_or_b64 exec, exec, s[20:21]
	v_or_b32_e32 v38, 0xa00, v0
	v_cmp_gt_u32_e64 s[18:19], s33, v38
                                        ; implicit-def: $vgpr22_vgpr23
	s_and_saveexec_b64 s[22:23], s[18:19]
	s_cbranch_execz .LBB789_25
; %bb.24:
	v_lshlrev_b32_e32 v22, 3, v38
	v_mov_b32_e32 v23, s48
	v_add_co_u32_e64 v22, s[20:21], s7, v22
	v_addc_co_u32_e64 v23, s[20:21], 0, v23, s[20:21]
	flat_load_dwordx2 v[22:23], v[22:23]
.LBB789_25:
	s_or_b64 exec, exec, s[22:23]
	v_or_b32_e32 v40, 0xb00, v0
	v_cmp_gt_u32_e64 s[20:21], s33, v40
                                        ; implicit-def: $vgpr24_vgpr25
	s_and_saveexec_b64 s[24:25], s[20:21]
	s_cbranch_execz .LBB789_27
; %bb.26:
	v_lshlrev_b32_e32 v24, 3, v40
	v_mov_b32_e32 v25, s48
	v_add_co_u32_e64 v24, s[22:23], s7, v24
	v_addc_co_u32_e64 v25, s[22:23], 0, v25, s[22:23]
	flat_load_dwordx2 v[24:25], v[24:25]
.LBB789_27:
	s_or_b64 exec, exec, s[24:25]
	v_or_b32_e32 v41, 0xc00, v0
	v_cmp_gt_u32_e64 s[22:23], s33, v41
                                        ; implicit-def: $vgpr26_vgpr27
	s_and_saveexec_b64 s[26:27], s[22:23]
	s_cbranch_execz .LBB789_29
; %bb.28:
	v_lshlrev_b32_e32 v26, 3, v41
	v_mov_b32_e32 v27, s48
	v_add_co_u32_e64 v26, s[24:25], s7, v26
	v_addc_co_u32_e64 v27, s[24:25], 0, v27, s[24:25]
	flat_load_dwordx2 v[26:27], v[26:27]
.LBB789_29:
	s_or_b64 exec, exec, s[26:27]
	v_or_b32_e32 v42, 0xd00, v0
	v_cmp_gt_u32_e64 s[24:25], s33, v42
                                        ; implicit-def: $vgpr28_vgpr29
	s_and_saveexec_b64 s[30:31], s[24:25]
	s_cbranch_execz .LBB789_31
; %bb.30:
	v_lshlrev_b32_e32 v28, 3, v42
	v_mov_b32_e32 v29, s48
	v_add_co_u32_e64 v28, s[26:27], s7, v28
	v_addc_co_u32_e64 v29, s[26:27], 0, v29, s[26:27]
	flat_load_dwordx2 v[28:29], v[28:29]
.LBB789_31:
	s_or_b64 exec, exec, s[30:31]
	v_or_b32_e32 v43, 0xe00, v0
	v_cmp_gt_u32_e64 s[26:27], s33, v43
                                        ; implicit-def: $vgpr30_vgpr31
	s_and_saveexec_b64 s[36:37], s[26:27]
	s_cbranch_execz .LBB789_33
; %bb.32:
	v_lshlrev_b32_e32 v30, 3, v43
	v_mov_b32_e32 v31, s48
	v_add_co_u32_e64 v30, s[30:31], s7, v30
	v_addc_co_u32_e64 v31, s[30:31], 0, v31, s[30:31]
	flat_load_dwordx2 v[30:31], v[30:31]
.LBB789_33:
	s_or_b64 exec, exec, s[36:37]
	v_lshlrev_b32_e32 v32, 3, v0
	s_movk_i32 s30, 0x70
	s_waitcnt vmcnt(0) lgkmcnt(0)
	ds_write2st64_b64 v32, v[2:3], v[4:5] offset1:4
	ds_write2st64_b64 v32, v[6:7], v[8:9] offset0:8 offset1:12
	ds_write2st64_b64 v32, v[10:11], v[12:13] offset0:16 offset1:20
	;; [unrolled: 1-line block ×6, first 2 shown]
	ds_write_b64 v32, v[30:31] offset:28672
	v_mad_u32_u24 v30, v0, s30, v32
	s_waitcnt lgkmcnt(0)
	s_barrier
	ds_read2_b64 v[26:29], v30 offset1:1
	ds_read2_b64 v[22:25], v30 offset0:2 offset1:3
	ds_read2_b64 v[18:21], v30 offset0:4 offset1:5
	;; [unrolled: 1-line block ×6, first 2 shown]
	ds_read_b64 v[46:47], v30 offset:112
	s_waitcnt lgkmcnt(0)
	s_barrier
	s_waitcnt lgkmcnt(0)
                                        ; implicit-def: $vgpr31
	s_and_saveexec_b64 s[30:31], vcc
	s_cbranch_execz .LBB789_47
; %bb.34:
	v_lshlrev_b32_e32 v31, 2, v0
	v_mov_b32_e32 v32, s62
	v_add_co_u32_e32 v44, vcc, s49, v31
	v_addc_co_u32_e32 v45, vcc, 0, v32, vcc
	flat_load_dword v31, v[44:45]
	s_or_b64 exec, exec, s[30:31]
                                        ; implicit-def: $vgpr32
	s_and_saveexec_b64 s[30:31], s[0:1]
	s_cbranch_execnz .LBB789_48
.LBB789_35:
	s_or_b64 exec, exec, s[30:31]
                                        ; implicit-def: $vgpr39
	s_and_saveexec_b64 s[0:1], s[2:3]
	s_cbranch_execz .LBB789_49
.LBB789_36:
	v_lshlrev_b32_e32 v39, 2, v0
	v_mov_b32_e32 v45, s62
	v_add_co_u32_e32 v44, vcc, s49, v39
	v_addc_co_u32_e32 v45, vcc, 0, v45, vcc
	flat_load_dword v39, v[44:45] offset:2048
	s_or_b64 exec, exec, s[0:1]
                                        ; implicit-def: $vgpr44
	s_and_saveexec_b64 s[0:1], s[4:5]
	s_cbranch_execnz .LBB789_50
.LBB789_37:
	s_or_b64 exec, exec, s[0:1]
                                        ; implicit-def: $vgpr45
	s_and_saveexec_b64 s[0:1], s[28:29]
	s_cbranch_execz .LBB789_51
.LBB789_38:
	v_lshlrev_b32_e32 v1, 2, v1
	v_mov_b32_e32 v45, s62
	v_add_co_u32_e32 v48, vcc, s49, v1
	v_addc_co_u32_e32 v49, vcc, 0, v45, vcc
	flat_load_dword v45, v[48:49]
	s_or_b64 exec, exec, s[0:1]
                                        ; implicit-def: $vgpr62
	s_and_saveexec_b64 s[0:1], s[8:9]
	s_cbranch_execnz .LBB789_52
.LBB789_39:
	s_or_b64 exec, exec, s[0:1]
                                        ; implicit-def: $vgpr33
	s_and_saveexec_b64 s[0:1], s[10:11]
	s_cbranch_execz .LBB789_53
.LBB789_40:
	v_lshlrev_b32_e32 v1, 2, v34
	v_mov_b32_e32 v33, s62
	v_add_co_u32_e32 v48, vcc, s49, v1
	v_addc_co_u32_e32 v49, vcc, 0, v33, vcc
	flat_load_dword v33, v[48:49]
	s_or_b64 exec, exec, s[0:1]
                                        ; implicit-def: $vgpr34
	s_and_saveexec_b64 s[0:1], s[12:13]
	s_cbranch_execnz .LBB789_54
.LBB789_41:
	s_or_b64 exec, exec, s[0:1]
                                        ; implicit-def: $vgpr35
	s_and_saveexec_b64 s[0:1], s[14:15]
	s_cbranch_execz .LBB789_55
.LBB789_42:
	v_lshlrev_b32_e32 v1, 2, v36
	v_mov_b32_e32 v35, s62
	v_add_co_u32_e32 v48, vcc, s49, v1
	v_addc_co_u32_e32 v49, vcc, 0, v35, vcc
	flat_load_dword v35, v[48:49]
	s_or_b64 exec, exec, s[0:1]
                                        ; implicit-def: $vgpr36
	s_and_saveexec_b64 s[0:1], s[16:17]
	s_cbranch_execnz .LBB789_56
.LBB789_43:
	s_or_b64 exec, exec, s[0:1]
                                        ; implicit-def: $vgpr37
	s_and_saveexec_b64 s[0:1], s[18:19]
	s_cbranch_execz .LBB789_57
.LBB789_44:
	v_lshlrev_b32_e32 v1, 2, v38
	v_mov_b32_e32 v37, s62
	v_add_co_u32_e32 v48, vcc, s49, v1
	v_addc_co_u32_e32 v49, vcc, 0, v37, vcc
	flat_load_dword v37, v[48:49]
	s_or_b64 exec, exec, s[0:1]
                                        ; implicit-def: $vgpr38
	s_and_saveexec_b64 s[0:1], s[20:21]
	s_cbranch_execnz .LBB789_58
.LBB789_45:
	s_or_b64 exec, exec, s[0:1]
                                        ; implicit-def: $vgpr40
	s_and_saveexec_b64 s[0:1], s[22:23]
	s_cbranch_execz .LBB789_59
.LBB789_46:
	v_lshlrev_b32_e32 v1, 2, v41
	v_mov_b32_e32 v41, s62
	v_add_co_u32_e32 v40, vcc, s49, v1
	v_addc_co_u32_e32 v41, vcc, 0, v41, vcc
	flat_load_dword v40, v[40:41]
	s_or_b64 exec, exec, s[0:1]
                                        ; implicit-def: $vgpr41
	s_and_saveexec_b64 s[0:1], s[24:25]
	s_cbranch_execz .LBB789_61
	s_branch .LBB789_60
.LBB789_47:
	s_or_b64 exec, exec, s[30:31]
                                        ; implicit-def: $vgpr32
	s_and_saveexec_b64 s[30:31], s[0:1]
	s_cbranch_execz .LBB789_35
.LBB789_48:
	v_lshlrev_b32_e32 v32, 2, v0
	v_mov_b32_e32 v39, s62
	v_add_co_u32_e32 v44, vcc, s49, v32
	v_addc_co_u32_e32 v45, vcc, 0, v39, vcc
	flat_load_dword v32, v[44:45] offset:1024
	s_or_b64 exec, exec, s[30:31]
                                        ; implicit-def: $vgpr39
	s_and_saveexec_b64 s[0:1], s[2:3]
	s_cbranch_execnz .LBB789_36
.LBB789_49:
	s_or_b64 exec, exec, s[0:1]
                                        ; implicit-def: $vgpr44
	s_and_saveexec_b64 s[0:1], s[4:5]
	s_cbranch_execz .LBB789_37
.LBB789_50:
	v_lshlrev_b32_e32 v44, 2, v0
	v_mov_b32_e32 v45, s62
	v_add_co_u32_e32 v44, vcc, s49, v44
	v_addc_co_u32_e32 v45, vcc, 0, v45, vcc
	flat_load_dword v44, v[44:45] offset:3072
	s_or_b64 exec, exec, s[0:1]
                                        ; implicit-def: $vgpr45
	s_and_saveexec_b64 s[0:1], s[28:29]
	s_cbranch_execnz .LBB789_38
.LBB789_51:
	s_or_b64 exec, exec, s[0:1]
                                        ; implicit-def: $vgpr62
	s_and_saveexec_b64 s[0:1], s[8:9]
	s_cbranch_execz .LBB789_39
.LBB789_52:
	v_lshlrev_b32_e32 v1, 2, v33
	v_mov_b32_e32 v33, s62
	v_add_co_u32_e32 v48, vcc, s49, v1
	v_addc_co_u32_e32 v49, vcc, 0, v33, vcc
	flat_load_dword v62, v[48:49]
	s_or_b64 exec, exec, s[0:1]
                                        ; implicit-def: $vgpr33
	s_and_saveexec_b64 s[0:1], s[10:11]
	s_cbranch_execnz .LBB789_40
.LBB789_53:
	s_or_b64 exec, exec, s[0:1]
                                        ; implicit-def: $vgpr34
	s_and_saveexec_b64 s[0:1], s[12:13]
	s_cbranch_execz .LBB789_41
.LBB789_54:
	v_lshlrev_b32_e32 v1, 2, v35
	v_mov_b32_e32 v35, s62
	v_add_co_u32_e32 v34, vcc, s49, v1
	v_addc_co_u32_e32 v35, vcc, 0, v35, vcc
	flat_load_dword v34, v[34:35]
	s_or_b64 exec, exec, s[0:1]
                                        ; implicit-def: $vgpr35
	s_and_saveexec_b64 s[0:1], s[14:15]
	s_cbranch_execnz .LBB789_42
.LBB789_55:
	s_or_b64 exec, exec, s[0:1]
                                        ; implicit-def: $vgpr36
	s_and_saveexec_b64 s[0:1], s[16:17]
	s_cbranch_execz .LBB789_43
.LBB789_56:
	v_lshlrev_b32_e32 v1, 2, v37
	v_mov_b32_e32 v37, s62
	v_add_co_u32_e32 v36, vcc, s49, v1
	v_addc_co_u32_e32 v37, vcc, 0, v37, vcc
	flat_load_dword v36, v[36:37]
	s_or_b64 exec, exec, s[0:1]
                                        ; implicit-def: $vgpr37
	s_and_saveexec_b64 s[0:1], s[18:19]
	s_cbranch_execnz .LBB789_44
.LBB789_57:
	s_or_b64 exec, exec, s[0:1]
                                        ; implicit-def: $vgpr38
	s_and_saveexec_b64 s[0:1], s[20:21]
	s_cbranch_execz .LBB789_45
.LBB789_58:
	v_lshlrev_b32_e32 v1, 2, v40
	v_mov_b32_e32 v38, s62
	v_add_co_u32_e32 v48, vcc, s49, v1
	v_addc_co_u32_e32 v49, vcc, 0, v38, vcc
	flat_load_dword v38, v[48:49]
	s_or_b64 exec, exec, s[0:1]
                                        ; implicit-def: $vgpr40
	s_and_saveexec_b64 s[0:1], s[22:23]
	s_cbranch_execnz .LBB789_46
.LBB789_59:
	s_or_b64 exec, exec, s[0:1]
                                        ; implicit-def: $vgpr41
	s_and_saveexec_b64 s[0:1], s[24:25]
	s_cbranch_execz .LBB789_61
.LBB789_60:
	v_lshlrev_b32_e32 v1, 2, v42
	v_mov_b32_e32 v41, s62
	v_add_co_u32_e32 v48, vcc, s49, v1
	v_addc_co_u32_e32 v49, vcc, 0, v41, vcc
	flat_load_dword v41, v[48:49]
.LBB789_61:
	s_or_b64 exec, exec, s[0:1]
	v_mul_u32_u24_e32 v1, 15, v0
                                        ; implicit-def: $vgpr42
	s_and_saveexec_b64 s[0:1], s[26:27]
	s_cbranch_execz .LBB789_63
; %bb.62:
	v_lshlrev_b32_e32 v42, 2, v43
	v_mov_b32_e32 v43, s62
	v_add_co_u32_e32 v42, vcc, s49, v42
	v_addc_co_u32_e32 v43, vcc, 0, v43, vcc
	flat_load_dword v42, v[42:43]
.LBB789_63:
	s_or_b64 exec, exec, s[0:1]
	s_movk_i32 s0, 0xff8c
	v_mad_i32_i24 v30, v0, s0, v30
	v_add_u32_e32 v49, 1, v1
	v_add_u32_e32 v48, 2, v1
	;; [unrolled: 1-line block ×14, first 2 shown]
	s_waitcnt vmcnt(0) lgkmcnt(0)
	ds_write2st64_b32 v30, v31, v32 offset1:4
	ds_write2st64_b32 v30, v39, v44 offset0:8 offset1:12
	ds_write2st64_b32 v30, v45, v62 offset0:16 offset1:20
	;; [unrolled: 1-line block ×6, first 2 shown]
	ds_write_b32 v30, v42 offset:14336
	v_mov_b32_e32 v30, v26
	v_mov_b32_e32 v31, v27
	;; [unrolled: 1-line block ×14, first 2 shown]
	s_waitcnt lgkmcnt(0)
	s_barrier
.LBB789_64:
	v_lshlrev_b32_e32 v1, 2, v1
	v_lshlrev_b32_e32 v44, 2, v49
	;; [unrolled: 1-line block ×8, first 2 shown]
	ds_read_b32 v95, v1
	ds_read_b32 v94, v44
	;; [unrolled: 1-line block ×8, first 2 shown]
	v_lshlrev_b32_e32 v1, 2, v53
	v_lshlrev_b32_e32 v44, 2, v57
	;; [unrolled: 1-line block ×7, first 2 shown]
	ds_read_b32 v93, v1
	ds_read_b32 v91, v44
	;; [unrolled: 1-line block ×7, first 2 shown]
	s_cmp_eq_u64 s[38:39], 0
	s_cselect_b64 s[36:37], -1, 0
	s_cmp_lg_u64 s[38:39], 0
	s_mov_b64 s[2:3], 0
	s_cselect_b64 s[30:31], -1, 0
	s_and_b64 vcc, exec, s[40:41]
	s_waitcnt lgkmcnt(0)
	s_barrier
	s_cbranch_vccz .LBB789_70
; %bb.65:
	s_and_b64 vcc, exec, s[30:31]
	s_cbranch_vccz .LBB789_135
; %bb.66:
	v_mov_b32_e32 v1, s48
	v_add_co_u32_e64 v44, vcc, -8, s7
	v_addc_co_u32_e32 v45, vcc, -1, v1, vcc
	flat_load_dwordx2 v[44:45], v[44:45]
	v_lshlrev_b32_e32 v1, 3, v0
	v_cmp_ne_u64_e32 vcc, v[4:5], v[46:47]
	v_cmp_ne_u64_e64 s[0:1], v[2:3], v[4:5]
	v_cmp_ne_u64_e64 s[2:3], v[8:9], v[2:3]
	;; [unrolled: 1-line block ×13, first 2 shown]
	v_cmp_ne_u32_e64 s[28:29], 0, v0
	ds_write_b64 v1, v[46:47]
	s_waitcnt lgkmcnt(0)
	s_barrier
	s_and_saveexec_b64 s[40:41], s[28:29]
	s_cbranch_execz .LBB789_68
; %bb.67:
	v_add_u32_e32 v1, -8, v1
	s_waitcnt vmcnt(0)
	ds_read_b64 v[44:45], v1
.LBB789_68:
	s_or_b64 exec, exec, s[40:41]
	v_cndmask_b32_e64 v1, 0, 1, vcc
	v_cndmask_b32_e64 v68, 0, 1, s[0:1]
	v_cndmask_b32_e64 v69, 0, 1, s[2:3]
	;; [unrolled: 1-line block ×13, first 2 shown]
	s_waitcnt vmcnt(0) lgkmcnt(0)
	v_cmp_ne_u64_e64 s[0:1], v[44:45], v[26:27]
	s_mov_b64 s[2:3], -1
.LBB789_69:
                                        ; implicit-def: $sgpr10
	s_branch .LBB789_71
.LBB789_70:
                                        ; implicit-def: $sgpr0_sgpr1
                                        ; implicit-def: $vgpr1
                                        ; implicit-def: $vgpr68
                                        ; implicit-def: $vgpr69
                                        ; implicit-def: $vgpr70
                                        ; implicit-def: $vgpr71
                                        ; implicit-def: $vgpr72
                                        ; implicit-def: $vgpr73
                                        ; implicit-def: $vgpr74
                                        ; implicit-def: $vgpr75
                                        ; implicit-def: $vgpr76
                                        ; implicit-def: $vgpr77
                                        ; implicit-def: $vgpr78
                                        ; implicit-def: $vgpr79
                                        ; implicit-def: $vgpr80
                                        ; implicit-def: $sgpr10
	s_cbranch_execnz .LBB789_139
.LBB789_71:
	v_mov_b32_e32 v96, s10
	s_and_saveexec_b64 s[4:5], s[2:3]
.LBB789_72:
	v_cndmask_b32_e64 v96, 0, 1, s[0:1]
.LBB789_73:
	s_or_b64 exec, exec, s[4:5]
	s_cmp_eq_u64 s[46:47], 0
	v_add3_u32 v30, v80, v96, v79
	s_cselect_b64 s[38:39], -1, 0
	s_cmp_lg_u32 s6, 0
	v_cmp_eq_u32_e64 s[24:25], 0, v80
	v_cmp_eq_u32_e64 s[22:23], 0, v79
	;; [unrolled: 1-line block ×3, first 2 shown]
	v_add3_u32 v101, v30, v78, v77
	v_cmp_eq_u32_e64 s[18:19], 0, v77
	v_cmp_eq_u32_e64 s[16:17], 0, v76
	;; [unrolled: 1-line block ×10, first 2 shown]
	v_cmp_eq_u32_e32 vcc, 0, v1
	v_mbcnt_lo_u32_b32 v100, -1, 0
	v_lshrrev_b32_e32 v98, 6, v0
	v_or_b32_e32 v99, 63, v0
	s_cbranch_scc0 .LBB789_104
; %bb.74:
	v_cndmask_b32_e64 v30, 0, v95, s[24:25]
	v_add_u32_e32 v30, v30, v94
	v_cndmask_b32_e64 v30, 0, v30, s[22:23]
	v_add_u32_e32 v30, v30, v92
	;; [unrolled: 2-line block ×11, first 2 shown]
	v_cndmask_b32_e64 v30, 0, v30, s[2:3]
	v_add3_u32 v31, v101, v76, v75
	v_add_u32_e32 v30, v30, v82
	v_add3_u32 v31, v31, v74, v73
	v_cndmask_b32_e64 v30, 0, v30, s[0:1]
	v_add3_u32 v31, v31, v72, v71
	v_add_u32_e32 v30, v30, v81
	v_add3_u32 v31, v31, v70, v69
	v_cndmask_b32_e32 v30, 0, v30, vcc
	v_add3_u32 v31, v31, v68, v1
	v_add_u32_e32 v30, v30, v97
	v_mbcnt_hi_u32_b32 v39, -1, v100
	v_and_b32_e32 v32, 15, v39
	v_mov_b32_dpp v34, v30 row_shr:1 row_mask:0xf bank_mask:0xf
	v_cmp_eq_u32_e32 vcc, 0, v31
	v_mov_b32_dpp v33, v31 row_shr:1 row_mask:0xf bank_mask:0xf
	v_cndmask_b32_e32 v34, 0, v34, vcc
	v_cmp_eq_u32_e32 vcc, 0, v32
	v_cndmask_b32_e64 v33, v33, 0, vcc
	v_add_u32_e32 v31, v33, v31
	v_cndmask_b32_e64 v33, v34, 0, vcc
	v_add_u32_e32 v30, v33, v30
	v_cmp_eq_u32_e32 vcc, 0, v31
	v_mov_b32_dpp v33, v31 row_shr:2 row_mask:0xf bank_mask:0xf
	v_cmp_lt_u32_e64 s[26:27], 1, v32
	v_mov_b32_dpp v34, v30 row_shr:2 row_mask:0xf bank_mask:0xf
	v_cndmask_b32_e64 v33, 0, v33, s[26:27]
	s_and_b64 vcc, s[26:27], vcc
	v_cndmask_b32_e32 v34, 0, v34, vcc
	v_add_u32_e32 v31, v31, v33
	v_add_u32_e32 v30, v34, v30
	v_cmp_eq_u32_e32 vcc, 0, v31
	v_mov_b32_dpp v33, v31 row_shr:4 row_mask:0xf bank_mask:0xf
	v_cmp_lt_u32_e64 s[26:27], 3, v32
	v_mov_b32_dpp v34, v30 row_shr:4 row_mask:0xf bank_mask:0xf
	v_cndmask_b32_e64 v33, 0, v33, s[26:27]
	s_and_b64 vcc, s[26:27], vcc
	v_cndmask_b32_e32 v34, 0, v34, vcc
	v_add_u32_e32 v31, v33, v31
	v_add_u32_e32 v30, v30, v34
	v_cmp_eq_u32_e32 vcc, 0, v31
	v_cmp_lt_u32_e64 s[26:27], 7, v32
	v_mov_b32_dpp v33, v31 row_shr:8 row_mask:0xf bank_mask:0xf
	v_mov_b32_dpp v34, v30 row_shr:8 row_mask:0xf bank_mask:0xf
	s_and_b64 vcc, s[26:27], vcc
	v_cndmask_b32_e64 v32, 0, v33, s[26:27]
	v_cndmask_b32_e32 v33, 0, v34, vcc
	v_add_u32_e32 v30, v33, v30
	v_add_u32_e32 v31, v32, v31
	v_bfe_i32 v34, v39, 4, 1
	v_mov_b32_dpp v33, v30 row_bcast:15 row_mask:0xf bank_mask:0xf
	v_mov_b32_dpp v32, v31 row_bcast:15 row_mask:0xf bank_mask:0xf
	v_cmp_eq_u32_e32 vcc, 0, v31
	v_cndmask_b32_e32 v33, 0, v33, vcc
	v_and_b32_e32 v32, v34, v32
	v_add_u32_e32 v31, v32, v31
	v_and_b32_e32 v32, v34, v33
	v_add_u32_e32 v32, v32, v30
	v_mov_b32_dpp v30, v31 row_bcast:31 row_mask:0xf bank_mask:0xf
	v_cmp_eq_u32_e32 vcc, 0, v31
	v_cmp_lt_u32_e64 s[26:27], 31, v39
	v_mov_b32_dpp v33, v32 row_bcast:31 row_mask:0xf bank_mask:0xf
	v_cndmask_b32_e64 v30, 0, v30, s[26:27]
	s_and_b64 vcc, s[26:27], vcc
	v_add_u32_e32 v30, v30, v31
	v_cndmask_b32_e32 v31, 0, v33, vcc
	v_add_u32_e32 v31, v31, v32
	v_cmp_eq_u32_e32 vcc, v99, v0
	v_lshlrev_b32_e32 v32, 3, v98
	s_and_saveexec_b64 s[26:27], vcc
	s_cbranch_execz .LBB789_76
; %bb.75:
	ds_write_b64 v32, v[30:31] offset:4112
.LBB789_76:
	s_or_b64 exec, exec, s[26:27]
	v_cmp_gt_u32_e32 vcc, 4, v0
	s_waitcnt lgkmcnt(0)
	s_barrier
	s_and_saveexec_b64 s[30:31], vcc
	s_cbranch_execz .LBB789_78
; %bb.77:
	v_lshlrev_b32_e32 v33, 3, v0
	ds_read_b64 v[34:35], v33 offset:4112
	v_and_b32_e32 v36, 3, v39
	v_cmp_lt_u32_e64 s[26:27], 1, v36
	s_waitcnt lgkmcnt(0)
	v_mov_b32_dpp v38, v35 row_shr:1 row_mask:0xf bank_mask:0xf
	v_cmp_eq_u32_e32 vcc, 0, v34
	v_mov_b32_dpp v37, v34 row_shr:1 row_mask:0xf bank_mask:0xf
	v_cndmask_b32_e32 v38, 0, v38, vcc
	v_cmp_eq_u32_e32 vcc, 0, v36
	v_cndmask_b32_e64 v37, v37, 0, vcc
	v_add_u32_e32 v34, v37, v34
	v_cndmask_b32_e64 v37, v38, 0, vcc
	v_add_u32_e32 v35, v37, v35
	v_cmp_eq_u32_e32 vcc, 0, v34
	v_mov_b32_dpp v37, v34 row_shr:2 row_mask:0xf bank_mask:0xf
	v_mov_b32_dpp v38, v35 row_shr:2 row_mask:0xf bank_mask:0xf
	v_cndmask_b32_e64 v36, 0, v37, s[26:27]
	s_and_b64 vcc, s[26:27], vcc
	v_add_u32_e32 v34, v36, v34
	v_cndmask_b32_e32 v36, 0, v38, vcc
	v_add_u32_e32 v35, v36, v35
	ds_write_b64 v33, v[34:35] offset:4112
.LBB789_78:
	s_or_b64 exec, exec, s[30:31]
	v_cmp_gt_u32_e32 vcc, 64, v0
	v_cmp_lt_u32_e64 s[26:27], 63, v0
	v_mov_b32_e32 v36, 0
	v_mov_b32_e32 v37, 0
	s_waitcnt lgkmcnt(0)
	s_barrier
	s_and_saveexec_b64 s[30:31], s[26:27]
	s_cbranch_execz .LBB789_80
; %bb.79:
	ds_read_b64 v[36:37], v32 offset:4104
	v_cmp_eq_u32_e64 s[26:27], 0, v30
	s_waitcnt lgkmcnt(0)
	v_add_u32_e32 v32, v36, v30
	v_cndmask_b32_e64 v30, 0, v37, s[26:27]
	v_add_u32_e32 v31, v30, v31
	v_mov_b32_e32 v30, v32
.LBB789_80:
	s_or_b64 exec, exec, s[30:31]
	v_add_u32_e32 v32, -1, v39
	v_and_b32_e32 v33, 64, v39
	v_cmp_lt_i32_e64 s[26:27], v32, v33
	v_cndmask_b32_e64 v32, v32, v39, s[26:27]
	v_lshlrev_b32_e32 v32, 2, v32
	ds_bpermute_b32 v44, v32, v30
	ds_bpermute_b32 v45, v32, v31
	v_cmp_eq_u32_e64 s[26:27], 0, v39
	s_and_saveexec_b64 s[40:41], vcc
	s_cbranch_execz .LBB789_103
; %bb.81:
	v_mov_b32_e32 v35, 0
	ds_read_b64 v[30:31], v35 offset:4136
	s_waitcnt lgkmcnt(0)
	v_readfirstlane_b32 s7, v30
	v_readfirstlane_b32 s48, v31
	s_and_saveexec_b64 s[30:31], s[26:27]
	s_cbranch_execz .LBB789_83
; %bb.82:
	s_add_i32 s46, s6, 64
	s_mov_b32 s47, 0
	s_lshl_b64 s[50:51], s[46:47], 4
	s_add_u32 s50, s44, s50
	s_addc_u32 s51, s45, s51
	s_and_b32 s57, s48, 0xff000000
	s_mov_b32 s56, s47
	s_and_b32 s63, s48, 0xff0000
	s_mov_b32 s62, s47
	s_or_b64 s[56:57], s[62:63], s[56:57]
	s_and_b32 s63, s48, 0xff00
	s_or_b64 s[56:57], s[56:57], s[62:63]
	s_and_b32 s63, s48, 0xff
	s_or_b64 s[46:47], s[56:57], s[62:63]
	v_mov_b32_e32 v32, s7
	v_mov_b32_e32 v33, s47
	;; [unrolled: 1-line block ×3, first 2 shown]
	v_pk_mov_b32 v[30:31], s[50:51], s[50:51] op_sel:[0,1]
	;;#ASMSTART
	global_store_dwordx4 v[30:31], v[32:35] off	
s_waitcnt vmcnt(0)
	;;#ASMEND
.LBB789_83:
	s_or_b64 exec, exec, s[30:31]
	v_xad_u32 v38, v39, -1, s6
	v_add_u32_e32 v34, 64, v38
	v_lshlrev_b64 v[30:31], 4, v[34:35]
	v_mov_b32_e32 v32, s45
	v_add_co_u32_e32 v40, vcc, s44, v30
	v_addc_co_u32_e32 v41, vcc, v32, v31, vcc
	;;#ASMSTART
	global_load_dwordx4 v[30:33], v[40:41] off glc	
s_waitcnt vmcnt(0)
	;;#ASMEND
	v_and_b32_e32 v33, 0xff, v31
	v_and_b32_e32 v34, 0xff00, v31
	v_and_b32_e32 v42, 0xff0000, v31
	v_or3_b32 v33, 0, v33, v34
	v_or3_b32 v30, v30, 0, 0
	v_and_b32_e32 v31, 0xff000000, v31
	v_or3_b32 v31, v33, v42, v31
	v_or3_b32 v30, v30, 0, 0
	v_cmp_eq_u16_sdwa s[46:47], v32, v35 src0_sel:BYTE_0 src1_sel:DWORD
	s_and_saveexec_b64 s[30:31], s[46:47]
	s_cbranch_execz .LBB789_89
; %bb.84:
	s_mov_b32 s49, 1
	s_mov_b64 s[46:47], 0
	v_mov_b32_e32 v34, 0
.LBB789_85:                             ; =>This Loop Header: Depth=1
                                        ;     Child Loop BB789_86 Depth 2
	s_max_u32 s50, s49, 1
.LBB789_86:                             ;   Parent Loop BB789_85 Depth=1
                                        ; =>  This Inner Loop Header: Depth=2
	s_add_i32 s50, s50, -1
	s_cmp_eq_u32 s50, 0
	s_sleep 1
	s_cbranch_scc0 .LBB789_86
; %bb.87:                               ;   in Loop: Header=BB789_85 Depth=1
	s_cmp_lt_u32 s49, 32
	s_cselect_b64 s[50:51], -1, 0
	s_cmp_lg_u64 s[50:51], 0
	s_addc_u32 s49, s49, 0
	;;#ASMSTART
	global_load_dwordx4 v[30:33], v[40:41] off glc	
s_waitcnt vmcnt(0)
	;;#ASMEND
	v_cmp_ne_u16_sdwa s[50:51], v32, v34 src0_sel:BYTE_0 src1_sel:DWORD
	s_or_b64 s[46:47], s[50:51], s[46:47]
	s_andn2_b64 exec, exec, s[46:47]
	s_cbranch_execnz .LBB789_85
; %bb.88:
	s_or_b64 exec, exec, s[46:47]
.LBB789_89:
	s_or_b64 exec, exec, s[30:31]
	v_mov_b32_e32 v48, 2
	v_cmp_eq_u16_sdwa s[30:31], v32, v48 src0_sel:BYTE_0 src1_sel:DWORD
	v_lshlrev_b64 v[40:41], v39, -1
	v_and_b32_e32 v33, s31, v41
	v_and_b32_e32 v49, 63, v39
	v_or_b32_e32 v33, 0x80000000, v33
	v_cmp_ne_u32_e32 vcc, 63, v49
	v_and_b32_e32 v34, s30, v40
	v_ffbl_b32_e32 v33, v33
	v_addc_co_u32_e32 v35, vcc, 0, v39, vcc
	v_add_u32_e32 v33, 32, v33
	v_ffbl_b32_e32 v34, v34
	v_lshlrev_b32_e32 v50, 2, v35
	v_min_u32_e32 v33, v34, v33
	ds_bpermute_b32 v34, v50, v31
	v_cmp_eq_u32_e32 vcc, 0, v30
	v_cmp_lt_u32_e64 s[30:31], v49, v33
	ds_bpermute_b32 v35, v50, v30
	s_and_b64 vcc, s[30:31], vcc
	s_waitcnt lgkmcnt(1)
	v_cndmask_b32_e32 v34, 0, v34, vcc
	v_cmp_gt_u32_e32 vcc, 62, v49
	v_add_u32_e32 v31, v34, v31
	v_cndmask_b32_e64 v34, 0, 1, vcc
	v_lshlrev_b32_e32 v34, 1, v34
	v_add_lshl_u32 v51, v34, v39, 2
	s_waitcnt lgkmcnt(0)
	v_cndmask_b32_e64 v35, 0, v35, s[30:31]
	ds_bpermute_b32 v34, v51, v31
	v_add_u32_e32 v30, v35, v30
	ds_bpermute_b32 v35, v51, v30
	v_add_u32_e32 v52, 2, v49
	v_cmp_eq_u32_e32 vcc, 0, v30
	s_waitcnt lgkmcnt(1)
	v_cndmask_b32_e32 v34, 0, v34, vcc
	v_cmp_gt_u32_e32 vcc, v52, v33
	v_cndmask_b32_e64 v34, v34, 0, vcc
	v_add_u32_e32 v31, v34, v31
	s_waitcnt lgkmcnt(0)
	v_cndmask_b32_e64 v34, v35, 0, vcc
	v_cmp_gt_u32_e32 vcc, 60, v49
	v_cndmask_b32_e64 v35, 0, 1, vcc
	v_lshlrev_b32_e32 v35, 2, v35
	v_add_lshl_u32 v53, v35, v39, 2
	ds_bpermute_b32 v35, v53, v31
	v_add_u32_e32 v30, v30, v34
	ds_bpermute_b32 v34, v53, v30
	v_add_u32_e32 v54, 4, v49
	v_cmp_eq_u32_e32 vcc, 0, v30
	s_waitcnt lgkmcnt(1)
	v_cndmask_b32_e32 v35, 0, v35, vcc
	v_cmp_gt_u32_e32 vcc, v54, v33
	v_cndmask_b32_e64 v35, v35, 0, vcc
	s_waitcnt lgkmcnt(0)
	v_cndmask_b32_e64 v34, v34, 0, vcc
	v_cmp_gt_u32_e32 vcc, 56, v49
	v_add_u32_e32 v31, v31, v35
	v_cndmask_b32_e64 v35, 0, 1, vcc
	v_lshlrev_b32_e32 v35, 3, v35
	v_add_lshl_u32 v55, v35, v39, 2
	ds_bpermute_b32 v35, v55, v31
	v_add_u32_e32 v30, v30, v34
	ds_bpermute_b32 v34, v55, v30
	v_add_u32_e32 v56, 8, v49
	v_cmp_eq_u32_e32 vcc, 0, v30
	s_waitcnt lgkmcnt(1)
	v_cndmask_b32_e32 v35, 0, v35, vcc
	v_cmp_gt_u32_e32 vcc, v56, v33
	v_cndmask_b32_e64 v35, v35, 0, vcc
	s_waitcnt lgkmcnt(0)
	v_cndmask_b32_e64 v34, v34, 0, vcc
	v_cmp_gt_u32_e32 vcc, 48, v49
	v_add_u32_e32 v31, v31, v35
	;; [unrolled: 16-line block ×3, first 2 shown]
	v_cndmask_b32_e64 v35, 0, 1, vcc
	v_lshlrev_b32_e32 v35, 5, v35
	v_add_lshl_u32 v59, v35, v39, 2
	ds_bpermute_b32 v35, v59, v31
	v_add_u32_e32 v30, v30, v34
	ds_bpermute_b32 v34, v59, v30
	v_add_u32_e32 v60, 32, v49
	v_cmp_eq_u32_e32 vcc, 0, v30
	s_waitcnt lgkmcnt(1)
	v_cndmask_b32_e32 v35, 0, v35, vcc
	v_cmp_gt_u32_e32 vcc, v60, v33
	v_cndmask_b32_e64 v33, v35, 0, vcc
	v_add_u32_e32 v31, v33, v31
	s_waitcnt lgkmcnt(0)
	v_cndmask_b32_e64 v33, v34, 0, vcc
	v_add_u32_e32 v30, v33, v30
	v_mov_b32_e32 v39, 0
	s_branch .LBB789_91
.LBB789_90:                             ;   in Loop: Header=BB789_91 Depth=1
	s_or_b64 exec, exec, s[30:31]
	v_cmp_eq_u16_sdwa s[30:31], v32, v48 src0_sel:BYTE_0 src1_sel:DWORD
	v_and_b32_e32 v33, s31, v41
	v_or_b32_e32 v33, 0x80000000, v33
	v_and_b32_e32 v42, s30, v40
	v_ffbl_b32_e32 v33, v33
	v_add_u32_e32 v33, 32, v33
	v_ffbl_b32_e32 v42, v42
	v_min_u32_e32 v33, v42, v33
	ds_bpermute_b32 v42, v50, v31
	v_cmp_eq_u32_e32 vcc, 0, v30
	v_cmp_lt_u32_e64 s[30:31], v49, v33
	ds_bpermute_b32 v43, v50, v30
	s_and_b64 vcc, s[30:31], vcc
	s_waitcnt lgkmcnt(1)
	v_cndmask_b32_e32 v42, 0, v42, vcc
	v_add_u32_e32 v31, v42, v31
	ds_bpermute_b32 v42, v51, v31
	s_waitcnt lgkmcnt(1)
	v_cndmask_b32_e64 v43, 0, v43, s[30:31]
	v_add_u32_e32 v30, v43, v30
	v_cmp_eq_u32_e32 vcc, 0, v30
	ds_bpermute_b32 v43, v51, v30
	s_waitcnt lgkmcnt(1)
	v_cndmask_b32_e32 v42, 0, v42, vcc
	v_cmp_gt_u32_e32 vcc, v52, v33
	v_cndmask_b32_e64 v42, v42, 0, vcc
	v_add_u32_e32 v31, v42, v31
	ds_bpermute_b32 v42, v53, v31
	s_waitcnt lgkmcnt(1)
	v_cndmask_b32_e64 v43, v43, 0, vcc
	v_add_u32_e32 v30, v30, v43
	v_cmp_eq_u32_e32 vcc, 0, v30
	ds_bpermute_b32 v43, v53, v30
	s_waitcnt lgkmcnt(1)
	v_cndmask_b32_e32 v42, 0, v42, vcc
	v_cmp_gt_u32_e32 vcc, v54, v33
	v_cndmask_b32_e64 v42, v42, 0, vcc
	v_add_u32_e32 v31, v31, v42
	ds_bpermute_b32 v42, v55, v31
	s_waitcnt lgkmcnt(1)
	v_cndmask_b32_e64 v43, v43, 0, vcc
	v_add_u32_e32 v30, v30, v43
	ds_bpermute_b32 v43, v55, v30
	v_cmp_eq_u32_e32 vcc, 0, v30
	s_waitcnt lgkmcnt(1)
	v_cndmask_b32_e32 v42, 0, v42, vcc
	v_cmp_gt_u32_e32 vcc, v56, v33
	v_cndmask_b32_e64 v42, v42, 0, vcc
	v_add_u32_e32 v31, v31, v42
	ds_bpermute_b32 v42, v57, v31
	s_waitcnt lgkmcnt(1)
	v_cndmask_b32_e64 v43, v43, 0, vcc
	v_add_u32_e32 v30, v30, v43
	ds_bpermute_b32 v43, v57, v30
	v_cmp_eq_u32_e32 vcc, 0, v30
	;; [unrolled: 11-line block ×3, first 2 shown]
	s_waitcnt lgkmcnt(1)
	v_cndmask_b32_e32 v42, 0, v42, vcc
	v_cmp_gt_u32_e32 vcc, v60, v33
	v_cndmask_b32_e64 v33, v42, 0, vcc
	v_add_u32_e32 v31, v33, v31
	s_waitcnt lgkmcnt(0)
	v_cndmask_b32_e64 v33, v43, 0, vcc
	v_cmp_eq_u32_e32 vcc, 0, v34
	v_cndmask_b32_e32 v31, 0, v31, vcc
	v_subrev_u32_e32 v38, 64, v38
	v_add3_u32 v30, v30, v34, v33
	v_add_u32_e32 v31, v31, v35
.LBB789_91:                             ; =>This Loop Header: Depth=1
                                        ;     Child Loop BB789_94 Depth 2
                                        ;       Child Loop BB789_95 Depth 3
	v_cmp_ne_u16_sdwa s[30:31], v32, v48 src0_sel:BYTE_0 src1_sel:DWORD
	v_mov_b32_e32 v35, v31
	v_cndmask_b32_e64 v31, 0, 1, s[30:31]
	;;#ASMSTART
	;;#ASMEND
	v_cmp_ne_u32_e32 vcc, 0, v31
	s_cmp_lg_u64 vcc, exec
	v_mov_b32_e32 v34, v30
	s_cbranch_scc1 .LBB789_98
; %bb.92:                               ;   in Loop: Header=BB789_91 Depth=1
	v_lshlrev_b64 v[30:31], 4, v[38:39]
	v_mov_b32_e32 v32, s45
	v_add_co_u32_e32 v42, vcc, s44, v30
	v_addc_co_u32_e32 v43, vcc, v32, v31, vcc
	;;#ASMSTART
	global_load_dwordx4 v[30:33], v[42:43] off glc	
s_waitcnt vmcnt(0)
	;;#ASMEND
	v_and_b32_e32 v33, 0xff, v31
	v_and_b32_e32 v61, 0xff00, v31
	;; [unrolled: 1-line block ×3, first 2 shown]
	v_or3_b32 v33, 0, v33, v61
	v_or3_b32 v30, v30, 0, 0
	v_and_b32_e32 v31, 0xff000000, v31
	v_or3_b32 v31, v33, v62, v31
	v_or3_b32 v30, v30, 0, 0
	v_cmp_eq_u16_sdwa s[46:47], v32, v39 src0_sel:BYTE_0 src1_sel:DWORD
	s_and_saveexec_b64 s[30:31], s[46:47]
	s_cbranch_execz .LBB789_90
; %bb.93:                               ;   in Loop: Header=BB789_91 Depth=1
	s_mov_b32 s49, 1
	s_mov_b64 s[46:47], 0
.LBB789_94:                             ;   Parent Loop BB789_91 Depth=1
                                        ; =>  This Loop Header: Depth=2
                                        ;       Child Loop BB789_95 Depth 3
	s_max_u32 s50, s49, 1
.LBB789_95:                             ;   Parent Loop BB789_91 Depth=1
                                        ;     Parent Loop BB789_94 Depth=2
                                        ; =>    This Inner Loop Header: Depth=3
	s_add_i32 s50, s50, -1
	s_cmp_eq_u32 s50, 0
	s_sleep 1
	s_cbranch_scc0 .LBB789_95
; %bb.96:                               ;   in Loop: Header=BB789_94 Depth=2
	s_cmp_lt_u32 s49, 32
	s_cselect_b64 s[50:51], -1, 0
	s_cmp_lg_u64 s[50:51], 0
	s_addc_u32 s49, s49, 0
	;;#ASMSTART
	global_load_dwordx4 v[30:33], v[42:43] off glc	
s_waitcnt vmcnt(0)
	;;#ASMEND
	v_cmp_ne_u16_sdwa s[50:51], v32, v39 src0_sel:BYTE_0 src1_sel:DWORD
	s_or_b64 s[46:47], s[50:51], s[46:47]
	s_andn2_b64 exec, exec, s[46:47]
	s_cbranch_execnz .LBB789_94
; %bb.97:                               ;   in Loop: Header=BB789_91 Depth=1
	s_or_b64 exec, exec, s[46:47]
	s_branch .LBB789_90
.LBB789_98:                             ;   in Loop: Header=BB789_91 Depth=1
                                        ; implicit-def: $vgpr31
                                        ; implicit-def: $vgpr30
                                        ; implicit-def: $vgpr32
	s_cbranch_execz .LBB789_91
; %bb.99:
	s_and_saveexec_b64 s[30:31], s[26:27]
	s_cbranch_execz .LBB789_101
; %bb.100:
	s_cmp_eq_u32 s7, 0
	s_cselect_b64 vcc, -1, 0
	s_mov_b32 s47, 0
	v_cndmask_b32_e32 v30, 0, v35, vcc
	s_add_i32 s46, s6, 64
	v_add_u32_e32 v30, s48, v30
	s_lshl_b64 s[46:47], s[46:47], 4
	s_add_u32 s46, s44, s46
	v_and_b32_e32 v31, 0xff000000, v30
	v_and_b32_e32 v32, 0xff0000, v30
	s_addc_u32 s47, s45, s47
	v_or_b32_e32 v31, v32, v31
	v_and_b32_e32 v32, 0xff00, v30
	v_and_b32_e32 v30, 0xff, v30
	v_add_u32_e32 v38, s7, v34
	v_mov_b32_e32 v41, 0
	v_or3_b32 v39, v31, v32, v30
	v_mov_b32_e32 v40, 2
	v_pk_mov_b32 v[30:31], s[46:47], s[46:47] op_sel:[0,1]
	;;#ASMSTART
	global_store_dwordx4 v[30:31], v[38:41] off	
s_waitcnt vmcnt(0)
	;;#ASMEND
	v_mov_b32_e32 v32, s7
	v_mov_b32_e32 v33, s48
	ds_write_b128 v41, v[32:35] offset:4096
.LBB789_101:
	s_or_b64 exec, exec, s[30:31]
	v_cmp_eq_u32_e32 vcc, 0, v0
	s_and_b64 exec, exec, vcc
	s_cbranch_execz .LBB789_103
; %bb.102:
	v_mov_b32_e32 v30, 0
	ds_write_b64 v30, v[34:35] offset:4136
.LBB789_103:
	s_or_b64 exec, exec, s[40:41]
	v_mov_b32_e32 v32, 0
	s_waitcnt lgkmcnt(0)
	s_barrier
	ds_read_b64 v[30:31], v32 offset:4136
	v_cndmask_b32_e64 v34, v44, v36, s[26:27]
	v_cmp_eq_u32_e32 vcc, 0, v34
	v_cndmask_b32_e64 v33, v45, v37, s[26:27]
	s_waitcnt lgkmcnt(0)
	v_cndmask_b32_e32 v35, 0, v31, vcc
	v_add_u32_e32 v33, v35, v33
	v_cmp_eq_u32_e32 vcc, 0, v0
	v_cndmask_b32_e32 v67, v33, v31, vcc
	v_cndmask_b32_e64 v31, v34, 0, vcc
	v_cmp_eq_u32_e32 vcc, 0, v96
	v_add_u32_e32 v66, v30, v31
	v_cndmask_b32_e32 v30, 0, v67, vcc
	v_add_u32_e32 v65, v30, v95
	v_cndmask_b32_e64 v30, 0, v65, s[24:25]
	v_add_u32_e32 v63, v30, v94
	v_cndmask_b32_e64 v30, 0, v63, s[22:23]
	;; [unrolled: 2-line block ×8, first 2 shown]
	v_add_u32_e32 v64, v66, v96
	v_add_u32_e32 v49, v30, v93
	v_add_u32_e32 v62, v64, v80
	v_cndmask_b32_e64 v30, 0, v49, s[8:9]
	v_add_u32_e32 v60, v62, v79
	v_add_u32_e32 v45, v30, v91
	v_add_u32_e32 v58, v60, v78
	v_cndmask_b32_e64 v30, 0, v45, s[28:29]
	;; [unrolled: 4-line block ×3, first 2 shown]
	v_add_u32_e32 v52, v54, v75
	v_add_u32_e32 v41, v30, v87
	s_barrier
	ds_read_b128 v[30:33], v32 offset:4096
	v_add_u32_e32 v50, v52, v74
	v_add_u32_e32 v48, v50, v73
	;; [unrolled: 1-line block ×4, first 2 shown]
	v_cndmask_b32_e64 v34, 0, v41, s[2:3]
	v_add_u32_e32 v40, v42, v70
	v_add_u32_e32 v39, v34, v82
	s_waitcnt lgkmcnt(0)
	v_cmp_eq_u32_e32 vcc, 0, v30
	v_add_u32_e32 v38, v40, v69
	v_cndmask_b32_e64 v34, 0, v39, s[0:1]
	v_cndmask_b32_e32 v33, 0, v33, vcc
	v_add_u32_e32 v36, v38, v68
	v_add_u32_e32 v37, v34, v81
	;; [unrolled: 1-line block ×3, first 2 shown]
	s_branch .LBB789_116
.LBB789_104:
                                        ; implicit-def: $vgpr30
                                        ; implicit-def: $vgpr85
                                        ; implicit-def: $vgpr66_vgpr67
                                        ; implicit-def: $vgpr64_vgpr65
                                        ; implicit-def: $vgpr62_vgpr63
                                        ; implicit-def: $vgpr60_vgpr61
                                        ; implicit-def: $vgpr58_vgpr59
                                        ; implicit-def: $vgpr56_vgpr57
                                        ; implicit-def: $vgpr54_vgpr55
                                        ; implicit-def: $vgpr52_vgpr53
                                        ; implicit-def: $vgpr50_vgpr51
                                        ; implicit-def: $vgpr48_vgpr49
                                        ; implicit-def: $vgpr44_vgpr45
                                        ; implicit-def: $vgpr42_vgpr43
                                        ; implicit-def: $vgpr40_vgpr41
                                        ; implicit-def: $vgpr38_vgpr39
                                        ; implicit-def: $vgpr36_vgpr37
	s_cbranch_execz .LBB789_116
; %bb.105:
	s_and_b64 s[0:1], s[38:39], exec
	s_cselect_b32 s1, 0, s61
	s_cselect_b32 s0, 0, s60
	s_cmp_eq_u64 s[0:1], 0
	v_mov_b32_e32 v34, v95
	s_cbranch_scc1 .LBB789_107
; %bb.106:
	v_mov_b32_e32 v30, 0
	global_load_dword v34, v30, s[0:1]
.LBB789_107:
	v_cmp_eq_u32_e64 s[0:1], 0, v80
	v_cndmask_b32_e64 v30, 0, v95, s[0:1]
	v_add_u32_e32 v30, v30, v94
	v_cmp_eq_u32_e64 s[2:3], 0, v79
	v_cndmask_b32_e64 v30, 0, v30, s[2:3]
	v_add_u32_e32 v30, v30, v92
	;; [unrolled: 3-line block ×11, first 2 shown]
	v_cmp_eq_u32_e64 s[22:23], 0, v69
	v_cndmask_b32_e64 v30, 0, v30, s[22:23]
	v_add3_u32 v31, v101, v76, v75
	v_add_u32_e32 v30, v30, v82
	v_cmp_eq_u32_e32 vcc, 0, v68
	v_add3_u32 v31, v31, v74, v73
	v_cndmask_b32_e32 v30, 0, v30, vcc
	v_add3_u32 v31, v31, v72, v71
	v_add_u32_e32 v30, v30, v81
	v_cmp_eq_u32_e64 s[24:25], 0, v1
	v_add3_u32 v31, v31, v70, v69
	v_cndmask_b32_e64 v30, 0, v30, s[24:25]
	v_add3_u32 v31, v31, v68, v1
	v_add_u32_e32 v30, v30, v97
	v_mbcnt_hi_u32_b32 v35, -1, v100
	v_and_b32_e32 v32, 15, v35
	v_mov_b32_dpp v36, v30 row_shr:1 row_mask:0xf bank_mask:0xf
	v_cmp_eq_u32_e64 s[24:25], 0, v31
	v_mov_b32_dpp v33, v31 row_shr:1 row_mask:0xf bank_mask:0xf
	v_cndmask_b32_e64 v36, 0, v36, s[24:25]
	v_cmp_eq_u32_e64 s[24:25], 0, v32
	v_cndmask_b32_e64 v33, v33, 0, s[24:25]
	v_add_u32_e32 v31, v33, v31
	v_cndmask_b32_e64 v33, v36, 0, s[24:25]
	v_add_u32_e32 v30, v33, v30
	v_cmp_eq_u32_e64 s[24:25], 0, v31
	v_mov_b32_dpp v33, v31 row_shr:2 row_mask:0xf bank_mask:0xf
	v_cmp_lt_u32_e64 s[26:27], 1, v32
	v_mov_b32_dpp v36, v30 row_shr:2 row_mask:0xf bank_mask:0xf
	v_cndmask_b32_e64 v33, 0, v33, s[26:27]
	s_and_b64 s[24:25], s[26:27], s[24:25]
	v_cndmask_b32_e64 v36, 0, v36, s[24:25]
	v_add_u32_e32 v31, v31, v33
	v_add_u32_e32 v30, v36, v30
	v_cmp_eq_u32_e64 s[24:25], 0, v31
	v_mov_b32_dpp v33, v31 row_shr:4 row_mask:0xf bank_mask:0xf
	v_cmp_lt_u32_e64 s[26:27], 3, v32
	v_mov_b32_dpp v36, v30 row_shr:4 row_mask:0xf bank_mask:0xf
	v_cndmask_b32_e64 v33, 0, v33, s[26:27]
	s_and_b64 s[24:25], s[26:27], s[24:25]
	v_cndmask_b32_e64 v36, 0, v36, s[24:25]
	v_add_u32_e32 v31, v33, v31
	v_add_u32_e32 v30, v30, v36
	v_cmp_eq_u32_e64 s[24:25], 0, v31
	v_cmp_lt_u32_e64 s[26:27], 7, v32
	v_mov_b32_dpp v33, v31 row_shr:8 row_mask:0xf bank_mask:0xf
	v_mov_b32_dpp v36, v30 row_shr:8 row_mask:0xf bank_mask:0xf
	s_and_b64 s[24:25], s[26:27], s[24:25]
	v_cndmask_b32_e64 v32, 0, v33, s[26:27]
	v_cndmask_b32_e64 v33, 0, v36, s[24:25]
	v_add_u32_e32 v30, v33, v30
	v_add_u32_e32 v31, v32, v31
	v_bfe_i32 v36, v35, 4, 1
	v_mov_b32_dpp v33, v30 row_bcast:15 row_mask:0xf bank_mask:0xf
	v_mov_b32_dpp v32, v31 row_bcast:15 row_mask:0xf bank_mask:0xf
	v_cmp_eq_u32_e64 s[24:25], 0, v31
	v_cndmask_b32_e64 v33, 0, v33, s[24:25]
	v_and_b32_e32 v32, v36, v32
	v_add_u32_e32 v31, v32, v31
	v_and_b32_e32 v32, v36, v33
	v_add_u32_e32 v32, v32, v30
	v_mov_b32_dpp v30, v31 row_bcast:31 row_mask:0xf bank_mask:0xf
	v_cmp_eq_u32_e64 s[24:25], 0, v31
	v_cmp_lt_u32_e64 s[26:27], 31, v35
	v_mov_b32_dpp v33, v32 row_bcast:31 row_mask:0xf bank_mask:0xf
	v_cndmask_b32_e64 v30, 0, v30, s[26:27]
	s_and_b64 s[24:25], s[26:27], s[24:25]
	v_add_u32_e32 v30, v30, v31
	v_cndmask_b32_e64 v31, 0, v33, s[24:25]
	v_add_u32_e32 v31, v31, v32
	v_cmp_eq_u32_e64 s[24:25], v99, v0
	s_and_saveexec_b64 s[26:27], s[24:25]
	s_cbranch_execz .LBB789_109
; %bb.108:
	v_lshlrev_b32_e32 v32, 3, v98
	ds_write_b64 v32, v[30:31] offset:4112
.LBB789_109:
	s_or_b64 exec, exec, s[26:27]
	v_cmp_gt_u32_e64 s[24:25], 4, v0
	s_waitcnt lgkmcnt(0)
	s_barrier
	s_and_saveexec_b64 s[28:29], s[24:25]
	s_cbranch_execz .LBB789_111
; %bb.110:
	v_lshlrev_b32_e32 v36, 3, v0
	ds_read_b64 v[32:33], v36 offset:4112
	v_and_b32_e32 v37, 3, v35
	v_cmp_lt_u32_e64 s[26:27], 1, v37
	s_waitcnt lgkmcnt(0)
	v_mov_b32_dpp v39, v33 row_shr:1 row_mask:0xf bank_mask:0xf
	v_cmp_eq_u32_e64 s[24:25], 0, v32
	v_mov_b32_dpp v38, v32 row_shr:1 row_mask:0xf bank_mask:0xf
	v_cndmask_b32_e64 v39, 0, v39, s[24:25]
	v_cmp_eq_u32_e64 s[24:25], 0, v37
	v_cndmask_b32_e64 v38, v38, 0, s[24:25]
	v_add_u32_e32 v32, v38, v32
	v_cndmask_b32_e64 v38, v39, 0, s[24:25]
	v_add_u32_e32 v33, v38, v33
	v_cmp_eq_u32_e64 s[24:25], 0, v32
	v_mov_b32_dpp v38, v32 row_shr:2 row_mask:0xf bank_mask:0xf
	v_mov_b32_dpp v39, v33 row_shr:2 row_mask:0xf bank_mask:0xf
	v_cndmask_b32_e64 v37, 0, v38, s[26:27]
	s_and_b64 s[24:25], s[26:27], s[24:25]
	v_add_u32_e32 v32, v37, v32
	v_cndmask_b32_e64 v37, 0, v39, s[24:25]
	v_add_u32_e32 v33, v37, v33
	ds_write_b64 v36, v[32:33] offset:4112
.LBB789_111:
	s_or_b64 exec, exec, s[28:29]
	v_cmp_lt_u32_e64 s[24:25], 63, v0
	v_mov_b32_e32 v36, 0
	v_mov_b32_e32 v32, 0
	s_waitcnt vmcnt(0)
	v_mov_b32_e32 v33, v34
	s_waitcnt lgkmcnt(0)
	s_barrier
	s_and_saveexec_b64 s[26:27], s[24:25]
	s_cbranch_execz .LBB789_113
; %bb.112:
	v_lshlrev_b32_e32 v32, 3, v98
	ds_read_b64 v[32:33], v32 offset:4104
	s_waitcnt lgkmcnt(0)
	v_cmp_eq_u32_e64 s[24:25], 0, v32
	v_cndmask_b32_e64 v37, 0, v34, s[24:25]
	v_add_u32_e32 v33, v37, v33
.LBB789_113:
	s_or_b64 exec, exec, s[26:27]
	v_cmp_eq_u32_e64 s[24:25], 0, v30
	v_add_u32_e32 v37, v32, v30
	v_cndmask_b32_e64 v30, 0, v33, s[24:25]
	v_add_u32_e32 v30, v30, v31
	v_add_u32_e32 v31, -1, v35
	v_and_b32_e32 v38, 64, v35
	v_cmp_lt_i32_e64 s[24:25], v31, v38
	v_cndmask_b32_e64 v31, v31, v35, s[24:25]
	v_lshlrev_b32_e32 v31, 2, v31
	ds_bpermute_b32 v37, v31, v37
	ds_bpermute_b32 v30, v31, v30
	v_cmp_eq_u32_e64 s[24:25], 0, v35
	v_cmp_eq_u32_e64 s[26:27], 0, v96
	s_waitcnt lgkmcnt(1)
	v_cndmask_b32_e64 v31, v37, v32, s[24:25]
	s_waitcnt lgkmcnt(0)
	v_cndmask_b32_e64 v30, v30, v33, s[24:25]
	v_cmp_eq_u32_e64 s[24:25], 0, v0
	v_cndmask_b32_e64 v67, v30, v34, s[24:25]
	v_cndmask_b32_e64 v30, 0, v67, s[26:27]
	v_add_u32_e32 v65, v30, v95
	v_cndmask_b32_e64 v30, 0, v65, s[0:1]
	v_add_u32_e32 v63, v30, v94
	;; [unrolled: 2-line block ×8, first 2 shown]
	v_cndmask_b32_e64 v66, v31, 0, s[24:25]
	v_cndmask_b32_e64 v30, 0, v51, s[14:15]
	v_add_u32_e32 v64, v66, v96
	v_add_u32_e32 v49, v30, v93
	v_add_u32_e32 v62, v64, v80
	v_cndmask_b32_e64 v30, 0, v49, s[16:17]
	v_add_u32_e32 v60, v62, v79
	v_add_u32_e32 v45, v30, v91
	v_add_u32_e32 v58, v60, v78
	;; [unrolled: 4-line block ×3, first 2 shown]
	v_cndmask_b32_e64 v30, 0, v43, s[20:21]
	v_add_u32_e32 v52, v54, v75
	v_add_u32_e32 v41, v30, v87
	ds_read_b64 v[30:31], v36 offset:4136
	v_add_u32_e32 v50, v52, v74
	v_add_u32_e32 v48, v50, v73
	;; [unrolled: 1-line block ×3, first 2 shown]
	v_cndmask_b32_e64 v32, 0, v41, s[22:23]
	v_add_u32_e32 v42, v44, v71
	v_add_u32_e32 v39, v32, v82
	;; [unrolled: 1-line block ×3, first 2 shown]
	v_cndmask_b32_e32 v32, 0, v39, vcc
	s_waitcnt lgkmcnt(0)
	v_cmp_eq_u32_e32 vcc, 0, v30
	v_add_u32_e32 v38, v40, v69
	v_add_u32_e32 v37, v32, v81
	v_cndmask_b32_e32 v32, 0, v34, vcc
	v_add_u32_e32 v36, v38, v68
	v_add_u32_e32 v85, v32, v31
	s_and_saveexec_b64 s[0:1], s[24:25]
	s_cbranch_execz .LBB789_115
; %bb.114:
	s_add_u32 s2, s44, 0x400
	v_and_b32_e32 v31, 0xff000000, v85
	v_and_b32_e32 v32, 0xff0000, v85
	s_addc_u32 s3, s45, 0
	v_or_b32_e32 v31, v32, v31
	v_and_b32_e32 v32, 0xff00, v85
	v_and_b32_e32 v34, 0xff, v85
	v_mov_b32_e32 v33, 0
	v_or3_b32 v31, v31, v32, v34
	v_mov_b32_e32 v32, 2
	v_pk_mov_b32 v[34:35], s[2:3], s[2:3] op_sel:[0,1]
	;;#ASMSTART
	global_store_dwordx4 v[34:35], v[30:33] off	
s_waitcnt vmcnt(0)
	;;#ASMEND
.LBB789_115:
	s_or_b64 exec, exec, s[0:1]
	v_mov_b32_e32 v32, 0
.LBB789_116:
	s_and_b64 s[0:1], s[38:39], exec
	s_cselect_b32 s1, 0, s59
	s_cselect_b32 s0, 0, s58
	s_cmp_eq_u64 s[0:1], 0
	v_pk_mov_b32 v[34:35], 0, 0
	s_barrier
	s_cbranch_scc1 .LBB789_118
; %bb.117:
	v_mov_b32_e32 v31, 0
	global_load_dwordx2 v[34:35], v31, s[0:1]
.LBB789_118:
	s_waitcnt vmcnt(0)
	v_lshlrev_b64 v[82:83], 3, v[34:35]
	v_mov_b32_e32 v31, s43
	v_add_co_u32_e32 v81, vcc, s42, v82
	v_mov_b32_e32 v33, 0
	v_addc_co_u32_e32 v84, vcc, v31, v83, vcc
	v_lshlrev_b64 v[82:83], 3, v[32:33]
	v_add_co_u32_e32 v31, vcc, v81, v82
	v_addc_co_u32_e32 v81, vcc, v84, v83, vcc
	v_cmp_eq_u32_e32 vcc, 0, v96
	v_cndmask_b32_e64 v82, 1, 2, vcc
	v_cmp_eq_u32_e32 vcc, 0, v80
	v_cndmask_b32_e64 v83, 1, 2, vcc
	v_cmp_eq_u32_e32 vcc, 0, v79
	v_and_b32_e32 v82, v83, v82
	v_cndmask_b32_e64 v83, 1, 2, vcc
	v_cmp_eq_u32_e32 vcc, 0, v78
	v_and_b32_e32 v82, v82, v83
	;; [unrolled: 3-line block ×13, first 2 shown]
	v_cndmask_b32_e64 v83, 1, 2, vcc
	s_movk_i32 s30, 0x100
	v_and_b32_e32 v82, v82, v83
	v_cmp_gt_u32_e32 vcc, s30, v30
	v_cmp_ne_u32_e64 s[28:29], 0, v96
	v_cmp_ne_u32_e64 s[26:27], 0, v80
	;; [unrolled: 1-line block ×15, first 2 shown]
	s_mov_b64 s[38:39], -1
	v_cmp_gt_i16_e64 s[30:31], 2, v82
	s_cbranch_vccz .LBB789_167
; %bb.119:
	s_and_saveexec_b64 s[38:39], s[30:31]
	s_cbranch_execz .LBB789_166
; %bb.120:
	v_cmp_ne_u16_e32 vcc, 1, v82
	s_mov_b64 s[40:41], 0
	s_and_saveexec_b64 s[30:31], vcc
	s_xor_b64 s[30:31], exec, s[30:31]
	s_cbranch_execz .LBB789_144
; %bb.121:
	s_and_saveexec_b64 s[40:41], s[28:29]
	s_cbranch_execz .LBB789_149
; %bb.122:
	v_sub_u32_e32 v86, v66, v32
	v_mov_b32_e32 v87, 0
	v_lshlrev_b64 v[86:87], 3, v[86:87]
	v_add_co_u32_e32 v86, vcc, v31, v86
	v_addc_co_u32_e32 v87, vcc, v81, v87, vcc
	global_store_dwordx2 v[86:87], v[26:27], off
	s_or_b64 exec, exec, s[40:41]
	s_and_saveexec_b64 s[40:41], s[26:27]
	s_cbranch_execnz .LBB789_150
.LBB789_123:
	s_or_b64 exec, exec, s[40:41]
	s_and_saveexec_b64 s[40:41], s[24:25]
	s_cbranch_execz .LBB789_151
.LBB789_124:
	v_sub_u32_e32 v86, v62, v32
	v_mov_b32_e32 v87, 0
	v_lshlrev_b64 v[86:87], 3, v[86:87]
	v_add_co_u32_e32 v86, vcc, v31, v86
	v_addc_co_u32_e32 v87, vcc, v81, v87, vcc
	global_store_dwordx2 v[86:87], v[22:23], off
	s_or_b64 exec, exec, s[40:41]
	s_and_saveexec_b64 s[40:41], s[22:23]
	s_cbranch_execnz .LBB789_152
.LBB789_125:
	s_or_b64 exec, exec, s[40:41]
	s_and_saveexec_b64 s[40:41], s[20:21]
	s_cbranch_execz .LBB789_153
.LBB789_126:
	v_sub_u32_e32 v86, v58, v32
	v_mov_b32_e32 v87, 0
	v_lshlrev_b64 v[86:87], 3, v[86:87]
	v_add_co_u32_e32 v86, vcc, v31, v86
	v_addc_co_u32_e32 v87, vcc, v81, v87, vcc
	global_store_dwordx2 v[86:87], v[18:19], off
	s_or_b64 exec, exec, s[40:41]
	s_and_saveexec_b64 s[40:41], s[18:19]
	s_cbranch_execnz .LBB789_154
.LBB789_127:
	s_or_b64 exec, exec, s[40:41]
	s_and_saveexec_b64 s[40:41], s[16:17]
	s_cbranch_execz .LBB789_155
.LBB789_128:
	v_sub_u32_e32 v86, v54, v32
	v_mov_b32_e32 v87, 0
	v_lshlrev_b64 v[86:87], 3, v[86:87]
	v_add_co_u32_e32 v86, vcc, v31, v86
	v_addc_co_u32_e32 v87, vcc, v81, v87, vcc
	global_store_dwordx2 v[86:87], v[14:15], off
	s_or_b64 exec, exec, s[40:41]
	s_and_saveexec_b64 s[40:41], s[14:15]
	s_cbranch_execnz .LBB789_156
.LBB789_129:
	s_or_b64 exec, exec, s[40:41]
	s_and_saveexec_b64 s[40:41], s[12:13]
	s_cbranch_execz .LBB789_157
.LBB789_130:
	v_sub_u32_e32 v86, v50, v32
	v_mov_b32_e32 v87, 0
	v_lshlrev_b64 v[86:87], 3, v[86:87]
	v_add_co_u32_e32 v86, vcc, v31, v86
	v_addc_co_u32_e32 v87, vcc, v81, v87, vcc
	global_store_dwordx2 v[86:87], v[10:11], off
	s_or_b64 exec, exec, s[40:41]
	s_and_saveexec_b64 s[40:41], s[10:11]
	s_cbranch_execnz .LBB789_158
.LBB789_131:
	s_or_b64 exec, exec, s[40:41]
	s_and_saveexec_b64 s[40:41], s[8:9]
	s_cbranch_execz .LBB789_159
.LBB789_132:
	v_sub_u32_e32 v86, v44, v32
	v_mov_b32_e32 v87, 0
	v_lshlrev_b64 v[86:87], 3, v[86:87]
	v_add_co_u32_e32 v86, vcc, v31, v86
	v_addc_co_u32_e32 v87, vcc, v81, v87, vcc
	global_store_dwordx2 v[86:87], v[6:7], off
	s_or_b64 exec, exec, s[40:41]
	s_and_saveexec_b64 s[40:41], s[6:7]
	s_cbranch_execnz .LBB789_160
.LBB789_133:
	s_or_b64 exec, exec, s[40:41]
	s_and_saveexec_b64 s[40:41], s[4:5]
	s_cbranch_execz .LBB789_161
.LBB789_134:
	v_sub_u32_e32 v86, v40, v32
	v_mov_b32_e32 v87, 0
	v_lshlrev_b64 v[86:87], 3, v[86:87]
	v_add_co_u32_e32 v86, vcc, v31, v86
	v_addc_co_u32_e32 v87, vcc, v81, v87, vcc
	global_store_dwordx2 v[86:87], v[2:3], off
	s_or_b64 exec, exec, s[40:41]
	s_and_saveexec_b64 s[40:41], s[2:3]
	s_cbranch_execnz .LBB789_162
	s_branch .LBB789_163
.LBB789_135:
                                        ; implicit-def: $sgpr0_sgpr1
                                        ; implicit-def: $vgpr1
                                        ; implicit-def: $vgpr68
                                        ; implicit-def: $vgpr69
                                        ; implicit-def: $vgpr70
                                        ; implicit-def: $vgpr71
                                        ; implicit-def: $vgpr72
                                        ; implicit-def: $vgpr73
                                        ; implicit-def: $vgpr74
                                        ; implicit-def: $vgpr75
                                        ; implicit-def: $vgpr76
                                        ; implicit-def: $vgpr77
                                        ; implicit-def: $vgpr78
                                        ; implicit-def: $vgpr79
                                        ; implicit-def: $vgpr80
	s_cbranch_execz .LBB789_69
; %bb.136:
	v_cmp_ne_u64_e32 vcc, v[28:29], v[30:31]
	v_cndmask_b32_e64 v80, 0, 1, vcc
	v_cmp_ne_u64_e32 vcc, v[28:29], v[32:33]
	v_cndmask_b32_e64 v79, 0, 1, vcc
	;; [unrolled: 2-line block ×13, first 2 shown]
	v_cmp_ne_u64_e32 vcc, v[4:5], v[46:47]
	v_lshlrev_b32_e32 v44, 3, v0
	v_cndmask_b32_e64 v1, 0, 1, vcc
	v_cmp_ne_u32_e32 vcc, 0, v0
	ds_write_b64 v44, v[46:47]
	s_waitcnt lgkmcnt(0)
	s_barrier
	s_waitcnt lgkmcnt(0)
                                        ; implicit-def: $sgpr0_sgpr1
	s_and_saveexec_b64 s[4:5], vcc
	s_xor_b64 s[4:5], exec, s[4:5]
	s_cbranch_execz .LBB789_138
; %bb.137:
	v_add_u32_e32 v30, -8, v44
	ds_read_b64 v[30:31], v30
	s_or_b64 s[2:3], s[2:3], exec
	s_waitcnt lgkmcnt(0)
	v_cmp_ne_u64_e32 vcc, v[30:31], v[26:27]
	s_and_b64 s[0:1], vcc, exec
.LBB789_138:
	s_or_b64 exec, exec, s[4:5]
	s_mov_b32 s10, 1
	s_branch .LBB789_71
.LBB789_139:
	s_mul_hi_u32 s1, s38, 0xfffff100
	s_mul_i32 s0, s39, 0xfffff100
	s_sub_i32 s1, s1, s38
	s_add_i32 s1, s1, s0
	s_mul_i32 s0, s38, 0xfffff100
	s_add_u32 s4, s0, s56
	s_addc_u32 s5, s1, s57
	s_and_b64 vcc, exec, s[30:31]
	s_cbranch_vccz .LBB789_146
; %bb.140:
	v_mov_b32_e32 v1, s48
	v_add_co_u32_e64 v30, vcc, -8, s7
	v_addc_co_u32_e32 v31, vcc, -1, v1, vcc
	flat_load_dwordx2 v[30:31], v[30:31]
	v_mad_u32_u24 v34, v0, 15, 14
	v_mov_b32_e32 v35, 0
	v_cmp_gt_u64_e32 vcc, s[4:5], v[34:35]
	v_cmp_ne_u64_e64 s[0:1], v[4:5], v[46:47]
	v_mad_u32_u24 v34, v0, 15, 13
	s_and_b64 s[2:3], vcc, s[0:1]
	v_cmp_gt_u64_e32 vcc, s[4:5], v[34:35]
	v_cmp_ne_u64_e64 s[0:1], v[2:3], v[4:5]
	v_mad_u32_u24 v34, v0, 15, 12
	s_and_b64 s[8:9], vcc, s[0:1]
	;; [unrolled: 4-line block ×13, first 2 shown]
	v_cmp_gt_u64_e32 vcc, s[4:5], v[34:35]
	v_cmp_ne_u64_e64 s[0:1], v[26:27], v[28:29]
	v_lshlrev_b32_e32 v1, 3, v0
	v_mul_u32_u24_e32 v32, 15, v0
	s_and_b64 s[0:1], vcc, s[0:1]
	v_cmp_ne_u32_e32 vcc, 0, v0
	ds_write_b64 v1, v[46:47]
	s_waitcnt lgkmcnt(0)
	s_barrier
	s_and_saveexec_b64 s[38:39], vcc
	s_cbranch_execz .LBB789_142
; %bb.141:
	v_add_u32_e32 v1, -8, v1
	s_waitcnt vmcnt(0)
	ds_read_b64 v[30:31], v1
.LBB789_142:
	s_or_b64 exec, exec, s[38:39]
	v_mov_b32_e32 v33, v35
	v_cndmask_b32_e64 v80, 0, 1, s[0:1]
	v_cmp_gt_u64_e32 vcc, s[4:5], v[32:33]
	s_waitcnt vmcnt(0) lgkmcnt(0)
	v_cmp_ne_u64_e64 s[0:1], v[30:31], v[26:27]
	v_cndmask_b32_e64 v1, 0, 1, s[2:3]
	v_cndmask_b32_e64 v68, 0, 1, s[8:9]
	;; [unrolled: 1-line block ×13, first 2 shown]
	s_and_b64 s[0:1], vcc, s[0:1]
	s_mov_b64 s[2:3], -1
.LBB789_143:
                                        ; implicit-def: $sgpr10
	v_mov_b32_e32 v96, s10
	s_and_saveexec_b64 s[4:5], s[2:3]
	s_cbranch_execnz .LBB789_72
	s_branch .LBB789_73
.LBB789_144:
	s_andn2_saveexec_b64 s[30:31], s[30:31]
	s_cbranch_execz .LBB789_164
.LBB789_145:
	v_sub_u32_e32 v86, v66, v32
	v_mov_b32_e32 v87, 0
	v_lshlrev_b64 v[88:89], 3, v[86:87]
	v_add_co_u32_e32 v88, vcc, v31, v88
	v_addc_co_u32_e32 v89, vcc, v81, v89, vcc
	v_sub_u32_e32 v86, v64, v32
	global_store_dwordx2 v[88:89], v[26:27], off
	v_lshlrev_b64 v[88:89], 3, v[86:87]
	v_add_co_u32_e32 v88, vcc, v31, v88
	v_addc_co_u32_e32 v89, vcc, v81, v89, vcc
	v_sub_u32_e32 v86, v62, v32
	global_store_dwordx2 v[88:89], v[28:29], off
	;; [unrolled: 5-line block ×12, first 2 shown]
	v_lshlrev_b64 v[88:89], 3, v[86:87]
	v_add_co_u32_e32 v88, vcc, v31, v88
	v_sub_u32_e32 v86, v38, v32
	v_addc_co_u32_e32 v89, vcc, v81, v89, vcc
	v_lshlrev_b64 v[86:87], 3, v[86:87]
	v_add_co_u32_e32 v86, vcc, v31, v86
	v_addc_co_u32_e32 v87, vcc, v81, v87, vcc
	s_or_b64 s[40:41], s[40:41], exec
	global_store_dwordx2 v[88:89], v[2:3], off
	global_store_dwordx2 v[86:87], v[4:5], off
	s_or_b64 exec, exec, s[30:31]
	s_and_b64 exec, exec, s[40:41]
	s_cbranch_execnz .LBB789_165
	s_branch .LBB789_166
.LBB789_146:
                                        ; implicit-def: $sgpr0_sgpr1
                                        ; implicit-def: $vgpr1
                                        ; implicit-def: $vgpr68
                                        ; implicit-def: $vgpr69
                                        ; implicit-def: $vgpr70
                                        ; implicit-def: $vgpr71
                                        ; implicit-def: $vgpr72
                                        ; implicit-def: $vgpr73
                                        ; implicit-def: $vgpr74
                                        ; implicit-def: $vgpr75
                                        ; implicit-def: $vgpr76
                                        ; implicit-def: $vgpr77
                                        ; implicit-def: $vgpr78
                                        ; implicit-def: $vgpr79
                                        ; implicit-def: $vgpr80
	s_cbranch_execz .LBB789_143
; %bb.147:
	v_mad_u32_u24 v30, v0, 15, 14
	v_mov_b32_e32 v31, 0
	v_cmp_gt_u64_e32 vcc, s[4:5], v[30:31]
	v_cmp_ne_u64_e64 s[0:1], v[4:5], v[46:47]
	s_and_b64 s[0:1], vcc, s[0:1]
	v_mad_u32_u24 v30, v0, 15, 13
	v_cndmask_b32_e64 v1, 0, 1, s[0:1]
	v_cmp_gt_u64_e32 vcc, s[4:5], v[30:31]
	v_cmp_ne_u64_e64 s[0:1], v[2:3], v[4:5]
	s_and_b64 s[0:1], vcc, s[0:1]
	v_mad_u32_u24 v30, v0, 15, 12
	v_cndmask_b32_e64 v68, 0, 1, s[0:1]
	;; [unrolled: 5-line block ×13, first 2 shown]
	v_cmp_gt_u64_e32 vcc, s[4:5], v[30:31]
	v_cmp_ne_u64_e64 s[0:1], v[26:27], v[28:29]
	s_and_b64 s[0:1], vcc, s[0:1]
	v_lshlrev_b32_e32 v32, 3, v0
	s_mov_b32 s10, 1
	v_cndmask_b32_e64 v80, 0, 1, s[0:1]
	v_cmp_ne_u32_e32 vcc, 0, v0
	ds_write_b64 v32, v[46:47]
	s_waitcnt lgkmcnt(0)
	s_barrier
	s_waitcnt lgkmcnt(0)
                                        ; implicit-def: $sgpr0_sgpr1
	s_and_saveexec_b64 s[8:9], vcc
	s_cbranch_execz .LBB789_186
; %bb.148:
	v_add_u32_e32 v30, -8, v32
	ds_read_b64 v[32:33], v30
	v_mul_u32_u24_e32 v30, 15, v0
	v_cmp_gt_u64_e32 vcc, s[4:5], v[30:31]
	s_or_b64 s[2:3], s[2:3], exec
	s_waitcnt lgkmcnt(0)
	v_cmp_ne_u64_e64 s[0:1], v[32:33], v[26:27]
	s_and_b64 s[0:1], vcc, s[0:1]
	s_and_b64 s[0:1], s[0:1], exec
	s_or_b64 exec, exec, s[8:9]
	v_mov_b32_e32 v96, s10
	s_and_saveexec_b64 s[4:5], s[2:3]
	s_cbranch_execz .LBB789_73
	s_branch .LBB789_72
.LBB789_149:
	s_or_b64 exec, exec, s[40:41]
	s_and_saveexec_b64 s[40:41], s[26:27]
	s_cbranch_execz .LBB789_123
.LBB789_150:
	v_sub_u32_e32 v86, v64, v32
	v_mov_b32_e32 v87, 0
	v_lshlrev_b64 v[86:87], 3, v[86:87]
	v_add_co_u32_e32 v86, vcc, v31, v86
	v_addc_co_u32_e32 v87, vcc, v81, v87, vcc
	global_store_dwordx2 v[86:87], v[28:29], off
	s_or_b64 exec, exec, s[40:41]
	s_and_saveexec_b64 s[40:41], s[24:25]
	s_cbranch_execnz .LBB789_124
.LBB789_151:
	s_or_b64 exec, exec, s[40:41]
	s_and_saveexec_b64 s[40:41], s[22:23]
	s_cbranch_execz .LBB789_125
.LBB789_152:
	v_sub_u32_e32 v86, v60, v32
	v_mov_b32_e32 v87, 0
	v_lshlrev_b64 v[86:87], 3, v[86:87]
	v_add_co_u32_e32 v86, vcc, v31, v86
	v_addc_co_u32_e32 v87, vcc, v81, v87, vcc
	global_store_dwordx2 v[86:87], v[24:25], off
	s_or_b64 exec, exec, s[40:41]
	s_and_saveexec_b64 s[40:41], s[20:21]
	s_cbranch_execnz .LBB789_126
.LBB789_153:
	s_or_b64 exec, exec, s[40:41]
	s_and_saveexec_b64 s[40:41], s[18:19]
	s_cbranch_execz .LBB789_127
.LBB789_154:
	v_sub_u32_e32 v86, v56, v32
	v_mov_b32_e32 v87, 0
	v_lshlrev_b64 v[86:87], 3, v[86:87]
	v_add_co_u32_e32 v86, vcc, v31, v86
	v_addc_co_u32_e32 v87, vcc, v81, v87, vcc
	global_store_dwordx2 v[86:87], v[20:21], off
	s_or_b64 exec, exec, s[40:41]
	s_and_saveexec_b64 s[40:41], s[16:17]
	s_cbranch_execnz .LBB789_128
.LBB789_155:
	s_or_b64 exec, exec, s[40:41]
	s_and_saveexec_b64 s[40:41], s[14:15]
	s_cbranch_execz .LBB789_129
.LBB789_156:
	v_sub_u32_e32 v86, v52, v32
	v_mov_b32_e32 v87, 0
	v_lshlrev_b64 v[86:87], 3, v[86:87]
	v_add_co_u32_e32 v86, vcc, v31, v86
	v_addc_co_u32_e32 v87, vcc, v81, v87, vcc
	global_store_dwordx2 v[86:87], v[16:17], off
	s_or_b64 exec, exec, s[40:41]
	s_and_saveexec_b64 s[40:41], s[12:13]
	s_cbranch_execnz .LBB789_130
.LBB789_157:
	s_or_b64 exec, exec, s[40:41]
	s_and_saveexec_b64 s[40:41], s[10:11]
	s_cbranch_execz .LBB789_131
.LBB789_158:
	v_sub_u32_e32 v86, v48, v32
	v_mov_b32_e32 v87, 0
	v_lshlrev_b64 v[86:87], 3, v[86:87]
	v_add_co_u32_e32 v86, vcc, v31, v86
	v_addc_co_u32_e32 v87, vcc, v81, v87, vcc
	global_store_dwordx2 v[86:87], v[12:13], off
	s_or_b64 exec, exec, s[40:41]
	s_and_saveexec_b64 s[40:41], s[8:9]
	s_cbranch_execnz .LBB789_132
.LBB789_159:
	s_or_b64 exec, exec, s[40:41]
	s_and_saveexec_b64 s[40:41], s[6:7]
	s_cbranch_execz .LBB789_133
.LBB789_160:
	v_sub_u32_e32 v86, v42, v32
	v_mov_b32_e32 v87, 0
	v_lshlrev_b64 v[86:87], 3, v[86:87]
	v_add_co_u32_e32 v86, vcc, v31, v86
	v_addc_co_u32_e32 v87, vcc, v81, v87, vcc
	global_store_dwordx2 v[86:87], v[8:9], off
	s_or_b64 exec, exec, s[40:41]
	s_and_saveexec_b64 s[40:41], s[4:5]
	s_cbranch_execnz .LBB789_134
.LBB789_161:
	s_or_b64 exec, exec, s[40:41]
	s_and_saveexec_b64 s[40:41], s[2:3]
	s_cbranch_execz .LBB789_163
.LBB789_162:
	v_sub_u32_e32 v86, v38, v32
	v_mov_b32_e32 v87, 0
	v_lshlrev_b64 v[86:87], 3, v[86:87]
	v_add_co_u32_e32 v86, vcc, v31, v86
	v_addc_co_u32_e32 v87, vcc, v81, v87, vcc
	global_store_dwordx2 v[86:87], v[4:5], off
.LBB789_163:
	s_or_b64 exec, exec, s[40:41]
	s_and_b64 s[40:41], s[0:1], exec
	s_andn2_saveexec_b64 s[30:31], s[30:31]
	s_cbranch_execnz .LBB789_145
.LBB789_164:
	s_or_b64 exec, exec, s[30:31]
	s_and_b64 exec, exec, s[40:41]
	s_cbranch_execz .LBB789_166
.LBB789_165:
	v_sub_u32_e32 v86, v36, v32
	v_mov_b32_e32 v87, 0
	v_lshlrev_b64 v[86:87], 3, v[86:87]
	v_add_co_u32_e32 v86, vcc, v31, v86
	v_addc_co_u32_e32 v87, vcc, v81, v87, vcc
	global_store_dwordx2 v[86:87], v[46:47], off
.LBB789_166:
	s_or_b64 exec, exec, s[38:39]
	s_mov_b64 s[38:39], 0
.LBB789_167:
	s_and_b64 vcc, exec, s[38:39]
	s_cbranch_vccz .LBB789_208
; %bb.168:
	v_cmp_gt_i16_e32 vcc, 2, v82
	s_and_saveexec_b64 s[30:31], vcc
	s_cbranch_execz .LBB789_204
; %bb.169:
	v_cmp_ne_u16_e32 vcc, 1, v82
	s_mov_b64 s[40:41], 0
	s_and_saveexec_b64 s[38:39], vcc
	s_xor_b64 s[38:39], exec, s[38:39]
	s_cbranch_execz .LBB789_184
; %bb.170:
	s_and_saveexec_b64 s[40:41], s[28:29]
	s_cbranch_execz .LBB789_187
; %bb.171:
	v_sub_u32_e32 v82, v66, v32
	v_lshlrev_b32_e32 v82, 3, v82
	ds_write_b64 v82, v[26:27]
	s_or_b64 exec, exec, s[40:41]
	s_and_saveexec_b64 s[28:29], s[26:27]
	s_cbranch_execnz .LBB789_188
.LBB789_172:
	s_or_b64 exec, exec, s[28:29]
	s_and_saveexec_b64 s[26:27], s[24:25]
	s_cbranch_execz .LBB789_189
.LBB789_173:
	v_sub_u32_e32 v26, v62, v32
	v_lshlrev_b32_e32 v26, 3, v26
	ds_write_b64 v26, v[22:23]
	s_or_b64 exec, exec, s[26:27]
	s_and_saveexec_b64 s[24:25], s[22:23]
	s_cbranch_execnz .LBB789_190
.LBB789_174:
	s_or_b64 exec, exec, s[24:25]
	s_and_saveexec_b64 s[22:23], s[20:21]
	s_cbranch_execz .LBB789_191
.LBB789_175:
	v_sub_u32_e32 v22, v58, v32
	v_lshlrev_b32_e32 v22, 3, v22
	ds_write_b64 v22, v[18:19]
	s_or_b64 exec, exec, s[22:23]
	s_and_saveexec_b64 s[20:21], s[18:19]
	s_cbranch_execnz .LBB789_192
.LBB789_176:
	s_or_b64 exec, exec, s[20:21]
	s_and_saveexec_b64 s[18:19], s[16:17]
	s_cbranch_execz .LBB789_193
.LBB789_177:
	v_sub_u32_e32 v18, v54, v32
	v_lshlrev_b32_e32 v18, 3, v18
	ds_write_b64 v18, v[14:15]
	s_or_b64 exec, exec, s[18:19]
	s_and_saveexec_b64 s[16:17], s[14:15]
	s_cbranch_execnz .LBB789_194
.LBB789_178:
	s_or_b64 exec, exec, s[16:17]
	s_and_saveexec_b64 s[14:15], s[12:13]
	s_cbranch_execz .LBB789_195
.LBB789_179:
	v_sub_u32_e32 v14, v50, v32
	v_lshlrev_b32_e32 v14, 3, v14
	ds_write_b64 v14, v[10:11]
	s_or_b64 exec, exec, s[14:15]
	s_and_saveexec_b64 s[12:13], s[10:11]
	s_cbranch_execnz .LBB789_196
.LBB789_180:
	s_or_b64 exec, exec, s[12:13]
	s_and_saveexec_b64 s[10:11], s[8:9]
	s_cbranch_execz .LBB789_197
.LBB789_181:
	v_sub_u32_e32 v10, v44, v32
	v_lshlrev_b32_e32 v10, 3, v10
	ds_write_b64 v10, v[6:7]
	s_or_b64 exec, exec, s[10:11]
	s_and_saveexec_b64 s[8:9], s[6:7]
	s_cbranch_execnz .LBB789_198
.LBB789_182:
	s_or_b64 exec, exec, s[8:9]
	s_and_saveexec_b64 s[6:7], s[4:5]
	s_cbranch_execz .LBB789_199
.LBB789_183:
	v_sub_u32_e32 v6, v40, v32
	v_lshlrev_b32_e32 v6, 3, v6
	ds_write_b64 v6, v[2:3]
	s_or_b64 exec, exec, s[6:7]
	s_and_saveexec_b64 s[4:5], s[2:3]
	s_cbranch_execnz .LBB789_200
	s_branch .LBB789_201
.LBB789_184:
	s_andn2_saveexec_b64 s[0:1], s[38:39]
	s_cbranch_execz .LBB789_202
.LBB789_185:
	v_sub_u32_e32 v82, v66, v32
	v_lshlrev_b32_e32 v82, 3, v82
	ds_write_b64 v82, v[26:27]
	v_sub_u32_e32 v26, v64, v32
	v_lshlrev_b32_e32 v26, 3, v26
	ds_write_b64 v26, v[28:29]
	;; [unrolled: 3-line block ×13, first 2 shown]
	v_sub_u32_e32 v2, v38, v32
	v_lshlrev_b32_e32 v2, 3, v2
	s_or_b64 s[40:41], s[40:41], exec
	ds_write_b64 v2, v[4:5]
	s_or_b64 exec, exec, s[0:1]
	s_and_b64 exec, exec, s[40:41]
	s_cbranch_execnz .LBB789_203
	s_branch .LBB789_204
.LBB789_186:
	s_or_b64 exec, exec, s[8:9]
	v_mov_b32_e32 v96, s10
	s_and_saveexec_b64 s[4:5], s[2:3]
	s_cbranch_execnz .LBB789_72
	s_branch .LBB789_73
.LBB789_187:
	s_or_b64 exec, exec, s[40:41]
	s_and_saveexec_b64 s[28:29], s[26:27]
	s_cbranch_execz .LBB789_172
.LBB789_188:
	v_sub_u32_e32 v26, v64, v32
	v_lshlrev_b32_e32 v26, 3, v26
	ds_write_b64 v26, v[28:29]
	s_or_b64 exec, exec, s[28:29]
	s_and_saveexec_b64 s[26:27], s[24:25]
	s_cbranch_execnz .LBB789_173
.LBB789_189:
	s_or_b64 exec, exec, s[26:27]
	s_and_saveexec_b64 s[24:25], s[22:23]
	s_cbranch_execz .LBB789_174
.LBB789_190:
	v_sub_u32_e32 v22, v60, v32
	v_lshlrev_b32_e32 v22, 3, v22
	ds_write_b64 v22, v[24:25]
	s_or_b64 exec, exec, s[24:25]
	s_and_saveexec_b64 s[22:23], s[20:21]
	s_cbranch_execnz .LBB789_175
.LBB789_191:
	s_or_b64 exec, exec, s[22:23]
	s_and_saveexec_b64 s[20:21], s[18:19]
	s_cbranch_execz .LBB789_176
.LBB789_192:
	v_sub_u32_e32 v18, v56, v32
	v_lshlrev_b32_e32 v18, 3, v18
	ds_write_b64 v18, v[20:21]
	s_or_b64 exec, exec, s[20:21]
	s_and_saveexec_b64 s[18:19], s[16:17]
	s_cbranch_execnz .LBB789_177
.LBB789_193:
	s_or_b64 exec, exec, s[18:19]
	s_and_saveexec_b64 s[16:17], s[14:15]
	s_cbranch_execz .LBB789_178
.LBB789_194:
	v_sub_u32_e32 v14, v52, v32
	v_lshlrev_b32_e32 v14, 3, v14
	ds_write_b64 v14, v[16:17]
	s_or_b64 exec, exec, s[16:17]
	s_and_saveexec_b64 s[14:15], s[12:13]
	s_cbranch_execnz .LBB789_179
.LBB789_195:
	s_or_b64 exec, exec, s[14:15]
	s_and_saveexec_b64 s[12:13], s[10:11]
	s_cbranch_execz .LBB789_180
.LBB789_196:
	v_sub_u32_e32 v10, v48, v32
	v_lshlrev_b32_e32 v10, 3, v10
	ds_write_b64 v10, v[12:13]
	s_or_b64 exec, exec, s[12:13]
	s_and_saveexec_b64 s[10:11], s[8:9]
	s_cbranch_execnz .LBB789_181
.LBB789_197:
	s_or_b64 exec, exec, s[10:11]
	s_and_saveexec_b64 s[8:9], s[6:7]
	s_cbranch_execz .LBB789_182
.LBB789_198:
	v_sub_u32_e32 v6, v42, v32
	v_lshlrev_b32_e32 v6, 3, v6
	ds_write_b64 v6, v[8:9]
	s_or_b64 exec, exec, s[8:9]
	s_and_saveexec_b64 s[6:7], s[4:5]
	s_cbranch_execnz .LBB789_183
.LBB789_199:
	s_or_b64 exec, exec, s[6:7]
	s_and_saveexec_b64 s[4:5], s[2:3]
	s_cbranch_execz .LBB789_201
.LBB789_200:
	v_sub_u32_e32 v2, v38, v32
	v_lshlrev_b32_e32 v2, 3, v2
	ds_write_b64 v2, v[4:5]
.LBB789_201:
	s_or_b64 exec, exec, s[4:5]
	s_and_b64 s[40:41], s[0:1], exec
                                        ; implicit-def: $vgpr2_vgpr3
                                        ; implicit-def: $vgpr6_vgpr7
                                        ; implicit-def: $vgpr10_vgpr11
                                        ; implicit-def: $vgpr14_vgpr15
                                        ; implicit-def: $vgpr18_vgpr19
                                        ; implicit-def: $vgpr22_vgpr23
                                        ; implicit-def: $vgpr26_vgpr27
	s_andn2_saveexec_b64 s[0:1], s[38:39]
	s_cbranch_execnz .LBB789_185
.LBB789_202:
	s_or_b64 exec, exec, s[0:1]
	s_and_b64 exec, exec, s[40:41]
	s_cbranch_execz .LBB789_204
.LBB789_203:
	v_sub_u32_e32 v2, v36, v32
	v_lshlrev_b32_e32 v2, 3, v2
	ds_write_b64 v2, v[46:47]
.LBB789_204:
	s_or_b64 exec, exec, s[30:31]
	v_cmp_lt_u32_e32 vcc, v0, v30
	s_waitcnt lgkmcnt(0)
	s_barrier
	s_and_saveexec_b64 s[0:1], vcc
	s_cbranch_execz .LBB789_207
; %bb.205:
	v_lshlrev_b32_e32 v4, 3, v0
	s_mov_b64 s[2:3], 0
	v_mov_b32_e32 v3, 0
	v_mov_b32_e32 v2, v0
.LBB789_206:                            ; =>This Inner Loop Header: Depth=1
	v_lshlrev_b64 v[6:7], 3, v[2:3]
	ds_read_b64 v[8:9], v4
	v_add_co_u32_e32 v6, vcc, v31, v6
	v_add_u32_e32 v2, 0x100, v2
	v_addc_co_u32_e32 v7, vcc, v81, v7, vcc
	v_cmp_ge_u32_e32 vcc, v2, v30
	v_add_u32_e32 v4, 0x800, v4
	s_or_b64 s[2:3], vcc, s[2:3]
	s_waitcnt lgkmcnt(0)
	global_store_dwordx2 v[6:7], v[8:9], off
	s_andn2_b64 exec, exec, s[2:3]
	s_cbranch_execnz .LBB789_206
.LBB789_207:
	s_or_b64 exec, exec, s[0:1]
.LBB789_208:
	s_cmpk_lg_i32 s33, 0xf00
	s_cselect_b64 s[0:1], -1, 0
	v_cndmask_b32_e64 v3, 0, 1, s[36:37]
	s_and_b64 s[0:1], s[34:35], s[0:1]
	v_cmp_eq_u32_e32 vcc, 0, v0
	v_sub_u32_e32 v4, v30, v3
	v_cndmask_b32_e64 v2, 0, 1, s[0:1]
	s_and_b64 s[0:1], vcc, s[36:37]
	v_add_u32_e32 v6, v4, v2
	v_cndmask_b32_e64 v4, v96, 0, s[0:1]
	s_mul_hi_u32 s0, s33, 0x88888889
	s_lshr_b32 s0, s0, 3
	v_mad_i32_i24 v5, v0, -15, s33
	v_cmp_eq_u32_e32 vcc, s0, v0
	v_cmp_ne_u32_e64 s[0:1], 0, v5
	v_cndmask_b32_e64 v7, 1, v4, s[0:1]
	v_cmp_ne_u32_e64 s[0:1], 1, v5
	v_cndmask_b32_e64 v8, 1, v80, s[0:1]
	;; [unrolled: 2-line block ×15, first 2 shown]
	s_and_b64 vcc, s[34:35], vcc
	v_cndmask_b32_e32 v21, v1, v5, vcc
	v_cndmask_b32_e32 v25, v4, v7, vcc
	v_lshlrev_b64 v[4:5], 2, v[34:35]
	v_cndmask_b32_e32 v20, v68, v20, vcc
	v_cndmask_b32_e32 v19, v69, v19, vcc
	;; [unrolled: 1-line block ×13, first 2 shown]
	v_mov_b32_e32 v1, s53
	v_add_co_u32_e32 v7, vcc, s52, v4
	v_addc_co_u32_e32 v1, vcc, v1, v5, vcc
	v_lshlrev_b64 v[4:5], 2, v[32:33]
	v_add_co_u32_e32 v7, vcc, v7, v4
	v_addc_co_u32_e32 v8, vcc, v1, v5, vcc
	v_lshlrev_b32_e32 v1, 2, v3
	v_add_co_u32_e32 v1, vcc, v1, v7
	v_addc_co_u32_e32 v4, vcc, 0, v8, vcc
	v_add_co_u32_e32 v9, vcc, -4, v1
	v_addc_co_u32_e32 v10, vcc, -1, v4, vcc
	v_cmp_eq_u32_e32 vcc, 0, v25
	v_cndmask_b32_e64 v4, 1, 2, vcc
	v_cmp_eq_u32_e32 vcc, 0, v24
	v_cndmask_b32_e64 v5, 1, 2, vcc
	v_cmp_eq_u32_e32 vcc, 0, v23
	v_and_b32_e32 v4, v5, v4
	v_cndmask_b32_e64 v5, 1, 2, vcc
	v_cmp_eq_u32_e32 vcc, 0, v22
	v_and_b32_e32 v4, v4, v5
	;; [unrolled: 3-line block ×13, first 2 shown]
	v_cndmask_b32_e64 v5, 1, 2, vcc
	s_movk_i32 s30, 0x100
	v_and_b32_e32 v4, v4, v5
	v_cmp_gt_u32_e32 vcc, s30, v6
	v_add_u32_e32 v1, v32, v3
	v_cmp_ne_u32_e64 s[28:29], 0, v25
	v_cmp_ne_u32_e64 s[26:27], 0, v24
	;; [unrolled: 1-line block ×15, first 2 shown]
	s_mov_b64 s[36:37], -1
	v_cmp_gt_i16_e64 s[30:31], 2, v4
	s_barrier
	s_cbranch_vccz .LBB789_245
; %bb.209:
	s_and_saveexec_b64 s[36:37], s[30:31]
	s_cbranch_execz .LBB789_244
; %bb.210:
	v_cmp_ne_u16_e32 vcc, 1, v4
	s_mov_b64 s[38:39], 0
	s_and_saveexec_b64 s[30:31], vcc
	s_xor_b64 s[30:31], exec, s[30:31]
	s_cbranch_execz .LBB789_225
; %bb.211:
	s_and_saveexec_b64 s[38:39], s[28:29]
	s_cbranch_execz .LBB789_227
; %bb.212:
	v_sub_u32_e32 v12, v66, v1
	v_mov_b32_e32 v13, 0
	v_lshlrev_b64 v[12:13], 2, v[12:13]
	v_add_co_u32_e32 v12, vcc, v9, v12
	v_addc_co_u32_e32 v13, vcc, v10, v13, vcc
	global_store_dword v[12:13], v67, off
	s_or_b64 exec, exec, s[38:39]
	s_and_saveexec_b64 s[38:39], s[26:27]
	s_cbranch_execnz .LBB789_228
.LBB789_213:
	s_or_b64 exec, exec, s[38:39]
	s_and_saveexec_b64 s[38:39], s[24:25]
	s_cbranch_execz .LBB789_229
.LBB789_214:
	v_sub_u32_e32 v12, v62, v1
	v_mov_b32_e32 v13, 0
	v_lshlrev_b64 v[12:13], 2, v[12:13]
	v_add_co_u32_e32 v12, vcc, v9, v12
	v_addc_co_u32_e32 v13, vcc, v10, v13, vcc
	global_store_dword v[12:13], v63, off
	s_or_b64 exec, exec, s[38:39]
	s_and_saveexec_b64 s[38:39], s[22:23]
	s_cbranch_execnz .LBB789_230
.LBB789_215:
	s_or_b64 exec, exec, s[38:39]
	s_and_saveexec_b64 s[38:39], s[20:21]
	s_cbranch_execz .LBB789_231
.LBB789_216:
	v_sub_u32_e32 v12, v58, v1
	v_mov_b32_e32 v13, 0
	v_lshlrev_b64 v[12:13], 2, v[12:13]
	v_add_co_u32_e32 v12, vcc, v9, v12
	v_addc_co_u32_e32 v13, vcc, v10, v13, vcc
	global_store_dword v[12:13], v59, off
	s_or_b64 exec, exec, s[38:39]
	s_and_saveexec_b64 s[38:39], s[18:19]
	s_cbranch_execnz .LBB789_232
.LBB789_217:
	s_or_b64 exec, exec, s[38:39]
	s_and_saveexec_b64 s[38:39], s[16:17]
	s_cbranch_execz .LBB789_233
.LBB789_218:
	v_sub_u32_e32 v12, v54, v1
	v_mov_b32_e32 v13, 0
	v_lshlrev_b64 v[12:13], 2, v[12:13]
	v_add_co_u32_e32 v12, vcc, v9, v12
	v_addc_co_u32_e32 v13, vcc, v10, v13, vcc
	global_store_dword v[12:13], v55, off
	s_or_b64 exec, exec, s[38:39]
	s_and_saveexec_b64 s[38:39], s[14:15]
	s_cbranch_execnz .LBB789_234
.LBB789_219:
	s_or_b64 exec, exec, s[38:39]
	s_and_saveexec_b64 s[38:39], s[12:13]
	s_cbranch_execz .LBB789_235
.LBB789_220:
	v_sub_u32_e32 v12, v50, v1
	v_mov_b32_e32 v13, 0
	v_lshlrev_b64 v[12:13], 2, v[12:13]
	v_add_co_u32_e32 v12, vcc, v9, v12
	v_addc_co_u32_e32 v13, vcc, v10, v13, vcc
	global_store_dword v[12:13], v51, off
	s_or_b64 exec, exec, s[38:39]
	s_and_saveexec_b64 s[38:39], s[10:11]
	s_cbranch_execnz .LBB789_236
.LBB789_221:
	s_or_b64 exec, exec, s[38:39]
	s_and_saveexec_b64 s[38:39], s[8:9]
	s_cbranch_execz .LBB789_237
.LBB789_222:
	v_sub_u32_e32 v12, v44, v1
	v_mov_b32_e32 v13, 0
	v_lshlrev_b64 v[12:13], 2, v[12:13]
	v_add_co_u32_e32 v12, vcc, v9, v12
	v_addc_co_u32_e32 v13, vcc, v10, v13, vcc
	global_store_dword v[12:13], v45, off
	s_or_b64 exec, exec, s[38:39]
	s_and_saveexec_b64 s[38:39], s[6:7]
	s_cbranch_execnz .LBB789_238
.LBB789_223:
	s_or_b64 exec, exec, s[38:39]
	s_and_saveexec_b64 s[38:39], s[4:5]
	s_cbranch_execz .LBB789_239
.LBB789_224:
	v_sub_u32_e32 v12, v40, v1
	v_mov_b32_e32 v13, 0
	v_lshlrev_b64 v[12:13], 2, v[12:13]
	v_add_co_u32_e32 v12, vcc, v9, v12
	v_addc_co_u32_e32 v13, vcc, v10, v13, vcc
	global_store_dword v[12:13], v41, off
	s_or_b64 exec, exec, s[38:39]
	s_and_saveexec_b64 s[38:39], s[2:3]
	s_cbranch_execnz .LBB789_240
	s_branch .LBB789_241
.LBB789_225:
	s_andn2_saveexec_b64 s[30:31], s[30:31]
	s_cbranch_execz .LBB789_242
.LBB789_226:
	v_sub_u32_e32 v12, v66, v1
	v_mov_b32_e32 v13, 0
	v_lshlrev_b64 v[14:15], 2, v[12:13]
	v_add_co_u32_e32 v14, vcc, v9, v14
	v_addc_co_u32_e32 v15, vcc, v10, v15, vcc
	v_sub_u32_e32 v12, v64, v1
	global_store_dword v[14:15], v67, off
	v_lshlrev_b64 v[14:15], 2, v[12:13]
	v_add_co_u32_e32 v14, vcc, v9, v14
	v_addc_co_u32_e32 v15, vcc, v10, v15, vcc
	v_sub_u32_e32 v12, v62, v1
	global_store_dword v[14:15], v65, off
	;; [unrolled: 5-line block ×12, first 2 shown]
	v_lshlrev_b64 v[14:15], 2, v[12:13]
	v_add_co_u32_e32 v14, vcc, v9, v14
	v_sub_u32_e32 v12, v38, v1
	v_addc_co_u32_e32 v15, vcc, v10, v15, vcc
	v_lshlrev_b64 v[12:13], 2, v[12:13]
	v_add_co_u32_e32 v12, vcc, v9, v12
	v_addc_co_u32_e32 v13, vcc, v10, v13, vcc
	s_or_b64 s[38:39], s[38:39], exec
	global_store_dword v[14:15], v41, off
	global_store_dword v[12:13], v39, off
	s_or_b64 exec, exec, s[30:31]
	s_and_b64 exec, exec, s[38:39]
	s_cbranch_execnz .LBB789_243
	s_branch .LBB789_244
.LBB789_227:
	s_or_b64 exec, exec, s[38:39]
	s_and_saveexec_b64 s[38:39], s[26:27]
	s_cbranch_execz .LBB789_213
.LBB789_228:
	v_sub_u32_e32 v12, v64, v1
	v_mov_b32_e32 v13, 0
	v_lshlrev_b64 v[12:13], 2, v[12:13]
	v_add_co_u32_e32 v12, vcc, v9, v12
	v_addc_co_u32_e32 v13, vcc, v10, v13, vcc
	global_store_dword v[12:13], v65, off
	s_or_b64 exec, exec, s[38:39]
	s_and_saveexec_b64 s[38:39], s[24:25]
	s_cbranch_execnz .LBB789_214
.LBB789_229:
	s_or_b64 exec, exec, s[38:39]
	s_and_saveexec_b64 s[38:39], s[22:23]
	s_cbranch_execz .LBB789_215
.LBB789_230:
	v_sub_u32_e32 v12, v60, v1
	v_mov_b32_e32 v13, 0
	v_lshlrev_b64 v[12:13], 2, v[12:13]
	v_add_co_u32_e32 v12, vcc, v9, v12
	v_addc_co_u32_e32 v13, vcc, v10, v13, vcc
	global_store_dword v[12:13], v61, off
	s_or_b64 exec, exec, s[38:39]
	s_and_saveexec_b64 s[38:39], s[20:21]
	s_cbranch_execnz .LBB789_216
.LBB789_231:
	s_or_b64 exec, exec, s[38:39]
	s_and_saveexec_b64 s[38:39], s[18:19]
	s_cbranch_execz .LBB789_217
.LBB789_232:
	v_sub_u32_e32 v12, v56, v1
	v_mov_b32_e32 v13, 0
	v_lshlrev_b64 v[12:13], 2, v[12:13]
	v_add_co_u32_e32 v12, vcc, v9, v12
	v_addc_co_u32_e32 v13, vcc, v10, v13, vcc
	global_store_dword v[12:13], v57, off
	s_or_b64 exec, exec, s[38:39]
	s_and_saveexec_b64 s[38:39], s[16:17]
	s_cbranch_execnz .LBB789_218
.LBB789_233:
	s_or_b64 exec, exec, s[38:39]
	s_and_saveexec_b64 s[38:39], s[14:15]
	s_cbranch_execz .LBB789_219
.LBB789_234:
	v_sub_u32_e32 v12, v52, v1
	v_mov_b32_e32 v13, 0
	v_lshlrev_b64 v[12:13], 2, v[12:13]
	v_add_co_u32_e32 v12, vcc, v9, v12
	v_addc_co_u32_e32 v13, vcc, v10, v13, vcc
	global_store_dword v[12:13], v53, off
	s_or_b64 exec, exec, s[38:39]
	s_and_saveexec_b64 s[38:39], s[12:13]
	s_cbranch_execnz .LBB789_220
.LBB789_235:
	s_or_b64 exec, exec, s[38:39]
	s_and_saveexec_b64 s[38:39], s[10:11]
	s_cbranch_execz .LBB789_221
.LBB789_236:
	v_sub_u32_e32 v12, v48, v1
	v_mov_b32_e32 v13, 0
	v_lshlrev_b64 v[12:13], 2, v[12:13]
	v_add_co_u32_e32 v12, vcc, v9, v12
	v_addc_co_u32_e32 v13, vcc, v10, v13, vcc
	global_store_dword v[12:13], v49, off
	s_or_b64 exec, exec, s[38:39]
	s_and_saveexec_b64 s[38:39], s[8:9]
	s_cbranch_execnz .LBB789_222
.LBB789_237:
	s_or_b64 exec, exec, s[38:39]
	s_and_saveexec_b64 s[38:39], s[6:7]
	s_cbranch_execz .LBB789_223
.LBB789_238:
	v_sub_u32_e32 v12, v42, v1
	v_mov_b32_e32 v13, 0
	v_lshlrev_b64 v[12:13], 2, v[12:13]
	v_add_co_u32_e32 v12, vcc, v9, v12
	v_addc_co_u32_e32 v13, vcc, v10, v13, vcc
	global_store_dword v[12:13], v43, off
	s_or_b64 exec, exec, s[38:39]
	s_and_saveexec_b64 s[38:39], s[4:5]
	s_cbranch_execnz .LBB789_224
.LBB789_239:
	s_or_b64 exec, exec, s[38:39]
	s_and_saveexec_b64 s[38:39], s[2:3]
	s_cbranch_execz .LBB789_241
.LBB789_240:
	v_sub_u32_e32 v12, v38, v1
	v_mov_b32_e32 v13, 0
	v_lshlrev_b64 v[12:13], 2, v[12:13]
	v_add_co_u32_e32 v12, vcc, v9, v12
	v_addc_co_u32_e32 v13, vcc, v10, v13, vcc
	global_store_dword v[12:13], v39, off
.LBB789_241:
	s_or_b64 exec, exec, s[38:39]
	s_and_b64 s[38:39], s[0:1], exec
	s_andn2_saveexec_b64 s[30:31], s[30:31]
	s_cbranch_execnz .LBB789_226
.LBB789_242:
	s_or_b64 exec, exec, s[30:31]
	s_and_b64 exec, exec, s[38:39]
	s_cbranch_execz .LBB789_244
.LBB789_243:
	v_sub_u32_e32 v12, v36, v1
	v_mov_b32_e32 v13, 0
	v_lshlrev_b64 v[12:13], 2, v[12:13]
	v_add_co_u32_e32 v12, vcc, v9, v12
	v_addc_co_u32_e32 v13, vcc, v10, v13, vcc
	global_store_dword v[12:13], v37, off
.LBB789_244:
	s_or_b64 exec, exec, s[36:37]
	s_mov_b64 s[36:37], 0
.LBB789_245:
	s_and_b64 vcc, exec, s[36:37]
	s_cbranch_vccz .LBB789_297
; %bb.246:
	v_cmp_gt_i16_e32 vcc, 2, v4
	s_and_saveexec_b64 s[30:31], vcc
	s_cbranch_execz .LBB789_281
; %bb.247:
	v_cmp_ne_u16_e32 vcc, 1, v4
	s_mov_b64 s[38:39], 0
	s_and_saveexec_b64 s[36:37], vcc
	s_xor_b64 s[36:37], exec, s[36:37]
	s_cbranch_execz .LBB789_262
; %bb.248:
	s_and_saveexec_b64 s[38:39], s[28:29]
	s_cbranch_execz .LBB789_264
; %bb.249:
	v_sub_u32_e32 v4, v66, v1
	v_lshlrev_b32_e32 v4, 2, v4
	ds_write_b32 v4, v67
	s_or_b64 exec, exec, s[38:39]
	s_and_saveexec_b64 s[28:29], s[26:27]
	s_cbranch_execnz .LBB789_265
.LBB789_250:
	s_or_b64 exec, exec, s[28:29]
	s_and_saveexec_b64 s[26:27], s[24:25]
	s_cbranch_execz .LBB789_266
.LBB789_251:
	v_sub_u32_e32 v4, v62, v1
	v_lshlrev_b32_e32 v4, 2, v4
	ds_write_b32 v4, v63
	s_or_b64 exec, exec, s[26:27]
	s_and_saveexec_b64 s[24:25], s[22:23]
	s_cbranch_execnz .LBB789_267
.LBB789_252:
	s_or_b64 exec, exec, s[24:25]
	s_and_saveexec_b64 s[22:23], s[20:21]
	s_cbranch_execz .LBB789_268
.LBB789_253:
	v_sub_u32_e32 v4, v58, v1
	v_lshlrev_b32_e32 v4, 2, v4
	ds_write_b32 v4, v59
	s_or_b64 exec, exec, s[22:23]
	s_and_saveexec_b64 s[20:21], s[18:19]
	s_cbranch_execnz .LBB789_269
.LBB789_254:
	s_or_b64 exec, exec, s[20:21]
	s_and_saveexec_b64 s[18:19], s[16:17]
	s_cbranch_execz .LBB789_270
.LBB789_255:
	v_sub_u32_e32 v4, v54, v1
	v_lshlrev_b32_e32 v4, 2, v4
	ds_write_b32 v4, v55
	s_or_b64 exec, exec, s[18:19]
	s_and_saveexec_b64 s[16:17], s[14:15]
	s_cbranch_execnz .LBB789_271
.LBB789_256:
	s_or_b64 exec, exec, s[16:17]
	s_and_saveexec_b64 s[14:15], s[12:13]
	s_cbranch_execz .LBB789_272
.LBB789_257:
	v_sub_u32_e32 v4, v50, v1
	v_lshlrev_b32_e32 v4, 2, v4
	ds_write_b32 v4, v51
	s_or_b64 exec, exec, s[14:15]
	s_and_saveexec_b64 s[12:13], s[10:11]
	s_cbranch_execnz .LBB789_273
.LBB789_258:
	s_or_b64 exec, exec, s[12:13]
	s_and_saveexec_b64 s[10:11], s[8:9]
	s_cbranch_execz .LBB789_274
.LBB789_259:
	v_sub_u32_e32 v4, v44, v1
	v_lshlrev_b32_e32 v4, 2, v4
	ds_write_b32 v4, v45
	s_or_b64 exec, exec, s[10:11]
	s_and_saveexec_b64 s[8:9], s[6:7]
	s_cbranch_execnz .LBB789_275
.LBB789_260:
	s_or_b64 exec, exec, s[8:9]
	s_and_saveexec_b64 s[6:7], s[4:5]
	s_cbranch_execz .LBB789_276
.LBB789_261:
	v_sub_u32_e32 v4, v40, v1
	v_lshlrev_b32_e32 v4, 2, v4
	ds_write_b32 v4, v41
	s_or_b64 exec, exec, s[6:7]
	s_and_saveexec_b64 s[4:5], s[2:3]
	s_cbranch_execnz .LBB789_277
	s_branch .LBB789_278
.LBB789_262:
	s_andn2_saveexec_b64 s[0:1], s[36:37]
	s_cbranch_execz .LBB789_279
.LBB789_263:
	v_sub_u32_e32 v4, v66, v1
	v_lshlrev_b32_e32 v4, 2, v4
	ds_write_b32 v4, v67
	v_sub_u32_e32 v4, v64, v1
	v_lshlrev_b32_e32 v4, 2, v4
	ds_write_b32 v4, v65
	;; [unrolled: 3-line block ×13, first 2 shown]
	v_sub_u32_e32 v4, v38, v1
	v_lshlrev_b32_e32 v4, 2, v4
	s_or_b64 s[38:39], s[38:39], exec
	ds_write_b32 v4, v39
	s_or_b64 exec, exec, s[0:1]
	s_and_b64 exec, exec, s[38:39]
	s_cbranch_execnz .LBB789_280
	s_branch .LBB789_281
.LBB789_264:
	s_or_b64 exec, exec, s[38:39]
	s_and_saveexec_b64 s[28:29], s[26:27]
	s_cbranch_execz .LBB789_250
.LBB789_265:
	v_sub_u32_e32 v4, v64, v1
	v_lshlrev_b32_e32 v4, 2, v4
	ds_write_b32 v4, v65
	s_or_b64 exec, exec, s[28:29]
	s_and_saveexec_b64 s[26:27], s[24:25]
	s_cbranch_execnz .LBB789_251
.LBB789_266:
	s_or_b64 exec, exec, s[26:27]
	s_and_saveexec_b64 s[24:25], s[22:23]
	s_cbranch_execz .LBB789_252
.LBB789_267:
	v_sub_u32_e32 v4, v60, v1
	v_lshlrev_b32_e32 v4, 2, v4
	ds_write_b32 v4, v61
	s_or_b64 exec, exec, s[24:25]
	s_and_saveexec_b64 s[22:23], s[20:21]
	s_cbranch_execnz .LBB789_253
.LBB789_268:
	s_or_b64 exec, exec, s[22:23]
	s_and_saveexec_b64 s[20:21], s[18:19]
	s_cbranch_execz .LBB789_254
.LBB789_269:
	v_sub_u32_e32 v4, v56, v1
	v_lshlrev_b32_e32 v4, 2, v4
	ds_write_b32 v4, v57
	s_or_b64 exec, exec, s[20:21]
	s_and_saveexec_b64 s[18:19], s[16:17]
	s_cbranch_execnz .LBB789_255
.LBB789_270:
	s_or_b64 exec, exec, s[18:19]
	s_and_saveexec_b64 s[16:17], s[14:15]
	s_cbranch_execz .LBB789_256
.LBB789_271:
	v_sub_u32_e32 v4, v52, v1
	v_lshlrev_b32_e32 v4, 2, v4
	ds_write_b32 v4, v53
	s_or_b64 exec, exec, s[16:17]
	s_and_saveexec_b64 s[14:15], s[12:13]
	s_cbranch_execnz .LBB789_257
.LBB789_272:
	s_or_b64 exec, exec, s[14:15]
	s_and_saveexec_b64 s[12:13], s[10:11]
	s_cbranch_execz .LBB789_258
.LBB789_273:
	v_sub_u32_e32 v4, v48, v1
	v_lshlrev_b32_e32 v4, 2, v4
	ds_write_b32 v4, v49
	s_or_b64 exec, exec, s[12:13]
	s_and_saveexec_b64 s[10:11], s[8:9]
	s_cbranch_execnz .LBB789_259
.LBB789_274:
	s_or_b64 exec, exec, s[10:11]
	s_and_saveexec_b64 s[8:9], s[6:7]
	s_cbranch_execz .LBB789_260
.LBB789_275:
	v_sub_u32_e32 v4, v42, v1
	v_lshlrev_b32_e32 v4, 2, v4
	ds_write_b32 v4, v43
	s_or_b64 exec, exec, s[8:9]
	s_and_saveexec_b64 s[6:7], s[4:5]
	s_cbranch_execnz .LBB789_261
.LBB789_276:
	s_or_b64 exec, exec, s[6:7]
	s_and_saveexec_b64 s[4:5], s[2:3]
	s_cbranch_execz .LBB789_278
.LBB789_277:
	v_sub_u32_e32 v4, v38, v1
	v_lshlrev_b32_e32 v4, 2, v4
	ds_write_b32 v4, v39
.LBB789_278:
	s_or_b64 exec, exec, s[4:5]
	s_and_b64 s[38:39], s[0:1], exec
                                        ; implicit-def: $vgpr66_vgpr67
                                        ; implicit-def: $vgpr64_vgpr65
                                        ; implicit-def: $vgpr62_vgpr63
                                        ; implicit-def: $vgpr60_vgpr61
                                        ; implicit-def: $vgpr58_vgpr59
                                        ; implicit-def: $vgpr56_vgpr57
                                        ; implicit-def: $vgpr54_vgpr55
                                        ; implicit-def: $vgpr52_vgpr53
                                        ; implicit-def: $vgpr50_vgpr51
                                        ; implicit-def: $vgpr48_vgpr49
                                        ; implicit-def: $vgpr44_vgpr45
                                        ; implicit-def: $vgpr42_vgpr43
                                        ; implicit-def: $vgpr40_vgpr41
                                        ; implicit-def: $vgpr38_vgpr39
	s_andn2_saveexec_b64 s[0:1], s[36:37]
	s_cbranch_execnz .LBB789_263
.LBB789_279:
	s_or_b64 exec, exec, s[0:1]
	s_and_b64 exec, exec, s[38:39]
	s_cbranch_execz .LBB789_281
.LBB789_280:
	v_sub_u32_e32 v1, v36, v1
	v_lshlrev_b32_e32 v1, 2, v1
	ds_write_b32 v1, v37
.LBB789_281:
	s_or_b64 exec, exec, s[30:31]
	v_cmp_lt_u32_e32 vcc, v0, v6
	s_waitcnt lgkmcnt(0)
	s_barrier
	s_and_saveexec_b64 s[2:3], vcc
	s_cbranch_execz .LBB789_296
; %bb.282:
	v_add_u32_e32 v4, v30, v2
	v_xad_u32 v1, v0, -1, v4
	v_sub_u32_e32 v1, v1, v3
	s_movk_i32 s0, 0x1900
	v_cmp_gt_u32_e64 s[4:5], s0, v1
	s_movk_i32 s0, 0x18ff
	v_cmp_lt_u32_e32 vcc, s0, v1
	v_mov_b32_e32 v2, v0
	s_and_saveexec_b64 s[6:7], vcc
	s_cbranch_execz .LBB789_293
; %bb.283:
	v_sub_u32_e32 v2, v0, v4
	v_add_u32_e32 v2, v2, v3
	v_or_b32_e32 v2, 0xff, v2
	v_cmp_ge_u32_e32 vcc, v2, v0
	s_mov_b64 s[0:1], -1
	v_mov_b32_e32 v2, v0
	s_and_saveexec_b64 s[8:9], vcc
	s_cbranch_execz .LBB789_292
; %bb.284:
	v_lshrrev_b32_e32 v11, 8, v1
	v_add_u32_e32 v2, -1, v11
	v_or_b32_e32 v1, 0x100, v0
	v_lshrrev_b32_e32 v3, 1, v2
	v_add_u32_e32 v13, 1, v3
	v_cmp_lt_u32_e32 vcc, 13, v2
	v_mov_b32_e32 v16, 0
	v_lshlrev_b32_e32 v12, 2, v0
	v_pk_mov_b32 v[2:3], v[0:1], v[0:1] op_sel:[0,1]
	s_and_saveexec_b64 s[10:11], vcc
	s_cbranch_execz .LBB789_288
; %bb.285:
	v_and_b32_e32 v14, -8, v13
	s_mov_b32 s14, 0
	s_mov_b64 s[12:13], 0
	v_mov_b32_e32 v5, 0
	v_mov_b32_e32 v15, v12
	v_pk_mov_b32 v[2:3], v[0:1], v[0:1] op_sel:[0,1]
.LBB789_286:                            ; =>This Inner Loop Header: Depth=1
	v_mov_b32_e32 v4, v2
	v_add_u32_e32 v14, -8, v14
	v_lshlrev_b64 v[52:53], 2, v[4:5]
	v_mov_b32_e32 v4, v3
	ds_read2st64_b32 v[18:19], v15 offset1:4
	s_add_i32 s14, s14, 16
	v_cmp_eq_u32_e32 vcc, 0, v14
	v_lshlrev_b64 v[56:57], 2, v[4:5]
	v_add_u32_e32 v4, 0x200, v2
	s_or_b64 s[12:13], vcc, s[12:13]
	v_add_co_u32_e32 v56, vcc, v9, v56
	v_add_u32_e32 v16, 0x200, v3
	v_mov_b32_e32 v17, v5
	ds_read2st64_b32 v[20:21], v15 offset0:8 offset1:12
	ds_read2st64_b32 v[24:25], v15 offset0:16 offset1:20
	v_add_co_u32_e64 v52, s[0:1], v9, v52
	v_addc_co_u32_e32 v57, vcc, v10, v57, vcc
	v_lshlrev_b64 v[58:59], 2, v[4:5]
	v_lshlrev_b64 v[54:55], 2, v[16:17]
	v_addc_co_u32_e64 v53, s[0:1], v10, v53, s[0:1]
	v_add_u32_e32 v4, 0x400, v2
	v_add_co_u32_e32 v58, vcc, v9, v58
	v_add_u32_e32 v22, 0x400, v3
	v_mov_b32_e32 v23, v5
	ds_read2st64_b32 v[28:29], v15 offset0:24 offset1:28
	v_add_co_u32_e64 v54, s[0:1], v9, v54
	v_addc_co_u32_e32 v59, vcc, v10, v59, vcc
	v_lshlrev_b64 v[60:61], 2, v[4:5]
	ds_read2st64_b32 v[38:39], v15 offset0:32 offset1:36
	ds_read2st64_b32 v[42:43], v15 offset0:40 offset1:44
	;; [unrolled: 1-line block ×4, first 2 shown]
	v_lshlrev_b64 v[22:23], 2, v[22:23]
	v_addc_co_u32_e64 v55, s[0:1], v10, v55, s[0:1]
	v_add_u32_e32 v4, 0x600, v2
	s_waitcnt lgkmcnt(7)
	global_store_dword v[52:53], v18, off
	global_store_dword v[56:57], v19, off
	s_waitcnt lgkmcnt(6)
	global_store_dword v[58:59], v20, off
	global_store_dword v[54:55], v21, off
	v_add_co_u32_e32 v18, vcc, v9, v60
	v_add_u32_e32 v26, 0x600, v3
	v_mov_b32_e32 v27, v5
	v_add_co_u32_e64 v22, s[0:1], v9, v22
	v_addc_co_u32_e32 v19, vcc, v10, v61, vcc
	v_lshlrev_b64 v[20:21], 2, v[4:5]
	v_lshlrev_b64 v[26:27], 2, v[26:27]
	v_addc_co_u32_e64 v23, s[0:1], v10, v23, s[0:1]
	v_add_u32_e32 v4, 0x800, v2
	s_waitcnt lgkmcnt(5)
	global_store_dword v[18:19], v24, off
	global_store_dword v[22:23], v25, off
	v_add_co_u32_e32 v18, vcc, v9, v20
	v_add_u32_e32 v36, 0x800, v3
	v_mov_b32_e32 v37, v5
	v_add_co_u32_e64 v26, s[0:1], v9, v26
	v_addc_co_u32_e32 v19, vcc, v10, v21, vcc
	v_lshlrev_b64 v[20:21], 2, v[4:5]
	v_lshlrev_b64 v[36:37], 2, v[36:37]
	v_addc_co_u32_e64 v27, s[0:1], v10, v27, s[0:1]
	v_add_u32_e32 v4, 0xa00, v2
	;; [unrolled: 12-line block ×4, first 2 shown]
	s_waitcnt lgkmcnt(2)
	global_store_dword v[18:19], v42, off
	global_store_dword v[40:41], v43, off
	v_add_co_u32_e32 v18, vcc, v9, v20
	v_add_u32_e32 v48, 0xe00, v3
	v_mov_b32_e32 v49, v5
	v_add_co_u32_e64 v44, s[0:1], v9, v44
	v_addc_co_u32_e32 v19, vcc, v10, v21, vcc
	v_lshlrev_b64 v[20:21], 2, v[4:5]
	v_lshlrev_b64 v[48:49], 2, v[48:49]
	v_addc_co_u32_e64 v45, s[0:1], v10, v45, s[0:1]
	s_waitcnt lgkmcnt(1)
	global_store_dword v[18:19], v46, off
	global_store_dword v[44:45], v47, off
	v_add_co_u32_e32 v18, vcc, v9, v20
	v_add_u32_e32 v15, 0x4000, v15
	v_add_u32_e32 v3, 0x1000, v3
	v_mov_b32_e32 v16, s14
	v_add_co_u32_e64 v48, s[0:1], v9, v48
	v_add_u32_e32 v2, 0x1000, v2
	v_addc_co_u32_e32 v19, vcc, v10, v21, vcc
	v_addc_co_u32_e64 v49, s[0:1], v10, v49, s[0:1]
	s_waitcnt lgkmcnt(0)
	global_store_dword v[18:19], v50, off
	global_store_dword v[48:49], v51, off
	s_andn2_b64 exec, exec, s[12:13]
	s_cbranch_execnz .LBB789_286
; %bb.287:
	s_or_b64 exec, exec, s[12:13]
.LBB789_288:
	s_or_b64 exec, exec, s[10:11]
	v_and_b32_e32 v1, 7, v13
	v_cmp_ne_u32_e32 vcc, 0, v1
	s_and_saveexec_b64 s[10:11], vcc
	s_cbranch_execz .LBB789_291
; %bb.289:
	v_lshl_or_b32 v12, v16, 10, v12
	s_mov_b64 s[12:13], 0
	v_mov_b32_e32 v5, 0
.LBB789_290:                            ; =>This Inner Loop Header: Depth=1
	ds_read2st64_b32 v[14:15], v12 offset1:4
	v_mov_b32_e32 v4, v2
	v_add_u32_e32 v1, -1, v1
	v_lshlrev_b64 v[16:17], 2, v[4:5]
	v_mov_b32_e32 v4, v3
	v_cmp_eq_u32_e32 vcc, 0, v1
	v_add_co_u32_e64 v16, s[0:1], v9, v16
	v_lshlrev_b64 v[18:19], 2, v[4:5]
	v_add_u32_e32 v2, 0x200, v2
	v_add_u32_e32 v12, 0x800, v12
	;; [unrolled: 1-line block ×3, first 2 shown]
	v_addc_co_u32_e64 v17, s[0:1], v10, v17, s[0:1]
	s_or_b64 s[12:13], vcc, s[12:13]
	v_add_co_u32_e32 v18, vcc, v9, v18
	v_addc_co_u32_e32 v19, vcc, v10, v19, vcc
	s_waitcnt lgkmcnt(0)
	global_store_dword v[16:17], v14, off
	global_store_dword v[18:19], v15, off
	s_andn2_b64 exec, exec, s[12:13]
	s_cbranch_execnz .LBB789_290
.LBB789_291:
	s_or_b64 exec, exec, s[10:11]
	v_add_u32_e32 v1, 1, v11
	v_and_b32_e32 v3, 0x1fffffe, v1
	v_cmp_ne_u32_e32 vcc, v1, v3
	v_lshl_or_b32 v2, v3, 8, v0
	s_orn2_b64 s[0:1], vcc, exec
.LBB789_292:
	s_or_b64 exec, exec, s[8:9]
	s_andn2_b64 s[4:5], s[4:5], exec
	s_and_b64 s[0:1], s[0:1], exec
	s_or_b64 s[4:5], s[4:5], s[0:1]
.LBB789_293:
	s_or_b64 exec, exec, s[6:7]
	s_and_b64 exec, exec, s[4:5]
	s_cbranch_execz .LBB789_296
; %bb.294:
	v_lshlrev_b32_e32 v1, 2, v2
	s_mov_b64 s[0:1], 0
	v_mov_b32_e32 v3, 0
.LBB789_295:                            ; =>This Inner Loop Header: Depth=1
	v_lshlrev_b64 v[4:5], 2, v[2:3]
	ds_read_b32 v11, v1
	v_add_co_u32_e32 v4, vcc, v9, v4
	v_add_u32_e32 v2, 0x100, v2
	v_addc_co_u32_e32 v5, vcc, v10, v5, vcc
	v_cmp_ge_u32_e32 vcc, v2, v6
	v_add_u32_e32 v1, 0x400, v1
	s_or_b64 s[0:1], vcc, s[0:1]
	s_waitcnt lgkmcnt(0)
	global_store_dword v[4:5], v11, off
	s_andn2_b64 exec, exec, s[0:1]
	s_cbranch_execnz .LBB789_295
.LBB789_296:
	s_or_b64 exec, exec, s[2:3]
.LBB789_297:
	s_movk_i32 s0, 0xff
	v_cmp_eq_u32_e32 vcc, s0, v0
	s_and_b64 s[0:1], vcc, s[34:35]
	s_and_saveexec_b64 s[2:3], s[0:1]
	s_cbranch_execz .LBB789_300
; %bb.298:
	v_add_co_u32_e32 v0, vcc, v30, v32
	v_addc_co_u32_e64 v1, s[0:1], 0, 0, vcc
	v_add_co_u32_e32 v0, vcc, v0, v34
	v_mov_b32_e32 v31, 0
	v_addc_co_u32_e32 v1, vcc, v1, v35, vcc
	s_cmpk_lg_i32 s33, 0xf00
	global_store_dwordx2 v31, v[0:1], s[54:55]
	s_cbranch_scc1 .LBB789_300
; %bb.299:
	v_lshlrev_b64 v[0:1], 2, v[30:31]
	v_add_co_u32_e32 v0, vcc, v7, v0
	v_addc_co_u32_e32 v1, vcc, v8, v1, vcc
	global_store_dword v[0:1], v85, off offset:-4
.LBB789_300:
	s_endpgm
	.section	.rodata,"a",@progbits
	.p2align	6, 0x0
	.amdhsa_kernel _ZN7rocprim17ROCPRIM_400000_NS6detail17trampoline_kernelINS0_14default_configENS1_29reduce_by_key_config_selectorIxjN6thrust23THRUST_200600_302600_NS4plusIjEEEEZZNS1_33reduce_by_key_impl_wrapped_configILNS1_25lookback_scan_determinismE0ES3_S9_NS6_6detail15normal_iteratorINS6_10device_ptrIxEEEENSD_INSE_IjEEEESG_SI_PmS8_NS6_8equal_toIxEEEE10hipError_tPvRmT2_T3_mT4_T5_T6_T7_T8_P12ihipStream_tbENKUlT_T0_E_clISt17integral_constantIbLb1EES12_IbLb0EEEEDaSY_SZ_EUlSY_E_NS1_11comp_targetILNS1_3genE4ELNS1_11target_archE910ELNS1_3gpuE8ELNS1_3repE0EEENS1_30default_config_static_selectorELNS0_4arch9wavefront6targetE1EEEvT1_
		.amdhsa_group_segment_fixed_size 30720
		.amdhsa_private_segment_fixed_size 0
		.amdhsa_kernarg_size 120
		.amdhsa_user_sgpr_count 6
		.amdhsa_user_sgpr_private_segment_buffer 1
		.amdhsa_user_sgpr_dispatch_ptr 0
		.amdhsa_user_sgpr_queue_ptr 0
		.amdhsa_user_sgpr_kernarg_segment_ptr 1
		.amdhsa_user_sgpr_dispatch_id 0
		.amdhsa_user_sgpr_flat_scratch_init 0
		.amdhsa_user_sgpr_kernarg_preload_length 0
		.amdhsa_user_sgpr_kernarg_preload_offset 0
		.amdhsa_user_sgpr_private_segment_size 0
		.amdhsa_uses_dynamic_stack 0
		.amdhsa_system_sgpr_private_segment_wavefront_offset 0
		.amdhsa_system_sgpr_workgroup_id_x 1
		.amdhsa_system_sgpr_workgroup_id_y 0
		.amdhsa_system_sgpr_workgroup_id_z 0
		.amdhsa_system_sgpr_workgroup_info 0
		.amdhsa_system_vgpr_workitem_id 0
		.amdhsa_next_free_vgpr 102
		.amdhsa_next_free_sgpr 64
		.amdhsa_accum_offset 104
		.amdhsa_reserve_vcc 1
		.amdhsa_reserve_flat_scratch 0
		.amdhsa_float_round_mode_32 0
		.amdhsa_float_round_mode_16_64 0
		.amdhsa_float_denorm_mode_32 3
		.amdhsa_float_denorm_mode_16_64 3
		.amdhsa_dx10_clamp 1
		.amdhsa_ieee_mode 1
		.amdhsa_fp16_overflow 0
		.amdhsa_tg_split 0
		.amdhsa_exception_fp_ieee_invalid_op 0
		.amdhsa_exception_fp_denorm_src 0
		.amdhsa_exception_fp_ieee_div_zero 0
		.amdhsa_exception_fp_ieee_overflow 0
		.amdhsa_exception_fp_ieee_underflow 0
		.amdhsa_exception_fp_ieee_inexact 0
		.amdhsa_exception_int_div_zero 0
	.end_amdhsa_kernel
	.section	.text._ZN7rocprim17ROCPRIM_400000_NS6detail17trampoline_kernelINS0_14default_configENS1_29reduce_by_key_config_selectorIxjN6thrust23THRUST_200600_302600_NS4plusIjEEEEZZNS1_33reduce_by_key_impl_wrapped_configILNS1_25lookback_scan_determinismE0ES3_S9_NS6_6detail15normal_iteratorINS6_10device_ptrIxEEEENSD_INSE_IjEEEESG_SI_PmS8_NS6_8equal_toIxEEEE10hipError_tPvRmT2_T3_mT4_T5_T6_T7_T8_P12ihipStream_tbENKUlT_T0_E_clISt17integral_constantIbLb1EES12_IbLb0EEEEDaSY_SZ_EUlSY_E_NS1_11comp_targetILNS1_3genE4ELNS1_11target_archE910ELNS1_3gpuE8ELNS1_3repE0EEENS1_30default_config_static_selectorELNS0_4arch9wavefront6targetE1EEEvT1_,"axG",@progbits,_ZN7rocprim17ROCPRIM_400000_NS6detail17trampoline_kernelINS0_14default_configENS1_29reduce_by_key_config_selectorIxjN6thrust23THRUST_200600_302600_NS4plusIjEEEEZZNS1_33reduce_by_key_impl_wrapped_configILNS1_25lookback_scan_determinismE0ES3_S9_NS6_6detail15normal_iteratorINS6_10device_ptrIxEEEENSD_INSE_IjEEEESG_SI_PmS8_NS6_8equal_toIxEEEE10hipError_tPvRmT2_T3_mT4_T5_T6_T7_T8_P12ihipStream_tbENKUlT_T0_E_clISt17integral_constantIbLb1EES12_IbLb0EEEEDaSY_SZ_EUlSY_E_NS1_11comp_targetILNS1_3genE4ELNS1_11target_archE910ELNS1_3gpuE8ELNS1_3repE0EEENS1_30default_config_static_selectorELNS0_4arch9wavefront6targetE1EEEvT1_,comdat
.Lfunc_end789:
	.size	_ZN7rocprim17ROCPRIM_400000_NS6detail17trampoline_kernelINS0_14default_configENS1_29reduce_by_key_config_selectorIxjN6thrust23THRUST_200600_302600_NS4plusIjEEEEZZNS1_33reduce_by_key_impl_wrapped_configILNS1_25lookback_scan_determinismE0ES3_S9_NS6_6detail15normal_iteratorINS6_10device_ptrIxEEEENSD_INSE_IjEEEESG_SI_PmS8_NS6_8equal_toIxEEEE10hipError_tPvRmT2_T3_mT4_T5_T6_T7_T8_P12ihipStream_tbENKUlT_T0_E_clISt17integral_constantIbLb1EES12_IbLb0EEEEDaSY_SZ_EUlSY_E_NS1_11comp_targetILNS1_3genE4ELNS1_11target_archE910ELNS1_3gpuE8ELNS1_3repE0EEENS1_30default_config_static_selectorELNS0_4arch9wavefront6targetE1EEEvT1_, .Lfunc_end789-_ZN7rocprim17ROCPRIM_400000_NS6detail17trampoline_kernelINS0_14default_configENS1_29reduce_by_key_config_selectorIxjN6thrust23THRUST_200600_302600_NS4plusIjEEEEZZNS1_33reduce_by_key_impl_wrapped_configILNS1_25lookback_scan_determinismE0ES3_S9_NS6_6detail15normal_iteratorINS6_10device_ptrIxEEEENSD_INSE_IjEEEESG_SI_PmS8_NS6_8equal_toIxEEEE10hipError_tPvRmT2_T3_mT4_T5_T6_T7_T8_P12ihipStream_tbENKUlT_T0_E_clISt17integral_constantIbLb1EES12_IbLb0EEEEDaSY_SZ_EUlSY_E_NS1_11comp_targetILNS1_3genE4ELNS1_11target_archE910ELNS1_3gpuE8ELNS1_3repE0EEENS1_30default_config_static_selectorELNS0_4arch9wavefront6targetE1EEEvT1_
                                        ; -- End function
	.section	.AMDGPU.csdata,"",@progbits
; Kernel info:
; codeLenInByte = 16688
; NumSgprs: 68
; NumVgprs: 102
; NumAgprs: 0
; TotalNumVgprs: 102
; ScratchSize: 0
; MemoryBound: 0
; FloatMode: 240
; IeeeMode: 1
; LDSByteSize: 30720 bytes/workgroup (compile time only)
; SGPRBlocks: 8
; VGPRBlocks: 12
; NumSGPRsForWavesPerEU: 68
; NumVGPRsForWavesPerEU: 102
; AccumOffset: 104
; Occupancy: 2
; WaveLimiterHint : 1
; COMPUTE_PGM_RSRC2:SCRATCH_EN: 0
; COMPUTE_PGM_RSRC2:USER_SGPR: 6
; COMPUTE_PGM_RSRC2:TRAP_HANDLER: 0
; COMPUTE_PGM_RSRC2:TGID_X_EN: 1
; COMPUTE_PGM_RSRC2:TGID_Y_EN: 0
; COMPUTE_PGM_RSRC2:TGID_Z_EN: 0
; COMPUTE_PGM_RSRC2:TIDIG_COMP_CNT: 0
; COMPUTE_PGM_RSRC3_GFX90A:ACCUM_OFFSET: 25
; COMPUTE_PGM_RSRC3_GFX90A:TG_SPLIT: 0
	.section	.text._ZN7rocprim17ROCPRIM_400000_NS6detail17trampoline_kernelINS0_14default_configENS1_29reduce_by_key_config_selectorIxjN6thrust23THRUST_200600_302600_NS4plusIjEEEEZZNS1_33reduce_by_key_impl_wrapped_configILNS1_25lookback_scan_determinismE0ES3_S9_NS6_6detail15normal_iteratorINS6_10device_ptrIxEEEENSD_INSE_IjEEEESG_SI_PmS8_NS6_8equal_toIxEEEE10hipError_tPvRmT2_T3_mT4_T5_T6_T7_T8_P12ihipStream_tbENKUlT_T0_E_clISt17integral_constantIbLb1EES12_IbLb0EEEEDaSY_SZ_EUlSY_E_NS1_11comp_targetILNS1_3genE3ELNS1_11target_archE908ELNS1_3gpuE7ELNS1_3repE0EEENS1_30default_config_static_selectorELNS0_4arch9wavefront6targetE1EEEvT1_,"axG",@progbits,_ZN7rocprim17ROCPRIM_400000_NS6detail17trampoline_kernelINS0_14default_configENS1_29reduce_by_key_config_selectorIxjN6thrust23THRUST_200600_302600_NS4plusIjEEEEZZNS1_33reduce_by_key_impl_wrapped_configILNS1_25lookback_scan_determinismE0ES3_S9_NS6_6detail15normal_iteratorINS6_10device_ptrIxEEEENSD_INSE_IjEEEESG_SI_PmS8_NS6_8equal_toIxEEEE10hipError_tPvRmT2_T3_mT4_T5_T6_T7_T8_P12ihipStream_tbENKUlT_T0_E_clISt17integral_constantIbLb1EES12_IbLb0EEEEDaSY_SZ_EUlSY_E_NS1_11comp_targetILNS1_3genE3ELNS1_11target_archE908ELNS1_3gpuE7ELNS1_3repE0EEENS1_30default_config_static_selectorELNS0_4arch9wavefront6targetE1EEEvT1_,comdat
	.protected	_ZN7rocprim17ROCPRIM_400000_NS6detail17trampoline_kernelINS0_14default_configENS1_29reduce_by_key_config_selectorIxjN6thrust23THRUST_200600_302600_NS4plusIjEEEEZZNS1_33reduce_by_key_impl_wrapped_configILNS1_25lookback_scan_determinismE0ES3_S9_NS6_6detail15normal_iteratorINS6_10device_ptrIxEEEENSD_INSE_IjEEEESG_SI_PmS8_NS6_8equal_toIxEEEE10hipError_tPvRmT2_T3_mT4_T5_T6_T7_T8_P12ihipStream_tbENKUlT_T0_E_clISt17integral_constantIbLb1EES12_IbLb0EEEEDaSY_SZ_EUlSY_E_NS1_11comp_targetILNS1_3genE3ELNS1_11target_archE908ELNS1_3gpuE7ELNS1_3repE0EEENS1_30default_config_static_selectorELNS0_4arch9wavefront6targetE1EEEvT1_ ; -- Begin function _ZN7rocprim17ROCPRIM_400000_NS6detail17trampoline_kernelINS0_14default_configENS1_29reduce_by_key_config_selectorIxjN6thrust23THRUST_200600_302600_NS4plusIjEEEEZZNS1_33reduce_by_key_impl_wrapped_configILNS1_25lookback_scan_determinismE0ES3_S9_NS6_6detail15normal_iteratorINS6_10device_ptrIxEEEENSD_INSE_IjEEEESG_SI_PmS8_NS6_8equal_toIxEEEE10hipError_tPvRmT2_T3_mT4_T5_T6_T7_T8_P12ihipStream_tbENKUlT_T0_E_clISt17integral_constantIbLb1EES12_IbLb0EEEEDaSY_SZ_EUlSY_E_NS1_11comp_targetILNS1_3genE3ELNS1_11target_archE908ELNS1_3gpuE7ELNS1_3repE0EEENS1_30default_config_static_selectorELNS0_4arch9wavefront6targetE1EEEvT1_
	.globl	_ZN7rocprim17ROCPRIM_400000_NS6detail17trampoline_kernelINS0_14default_configENS1_29reduce_by_key_config_selectorIxjN6thrust23THRUST_200600_302600_NS4plusIjEEEEZZNS1_33reduce_by_key_impl_wrapped_configILNS1_25lookback_scan_determinismE0ES3_S9_NS6_6detail15normal_iteratorINS6_10device_ptrIxEEEENSD_INSE_IjEEEESG_SI_PmS8_NS6_8equal_toIxEEEE10hipError_tPvRmT2_T3_mT4_T5_T6_T7_T8_P12ihipStream_tbENKUlT_T0_E_clISt17integral_constantIbLb1EES12_IbLb0EEEEDaSY_SZ_EUlSY_E_NS1_11comp_targetILNS1_3genE3ELNS1_11target_archE908ELNS1_3gpuE7ELNS1_3repE0EEENS1_30default_config_static_selectorELNS0_4arch9wavefront6targetE1EEEvT1_
	.p2align	8
	.type	_ZN7rocprim17ROCPRIM_400000_NS6detail17trampoline_kernelINS0_14default_configENS1_29reduce_by_key_config_selectorIxjN6thrust23THRUST_200600_302600_NS4plusIjEEEEZZNS1_33reduce_by_key_impl_wrapped_configILNS1_25lookback_scan_determinismE0ES3_S9_NS6_6detail15normal_iteratorINS6_10device_ptrIxEEEENSD_INSE_IjEEEESG_SI_PmS8_NS6_8equal_toIxEEEE10hipError_tPvRmT2_T3_mT4_T5_T6_T7_T8_P12ihipStream_tbENKUlT_T0_E_clISt17integral_constantIbLb1EES12_IbLb0EEEEDaSY_SZ_EUlSY_E_NS1_11comp_targetILNS1_3genE3ELNS1_11target_archE908ELNS1_3gpuE7ELNS1_3repE0EEENS1_30default_config_static_selectorELNS0_4arch9wavefront6targetE1EEEvT1_,@function
_ZN7rocprim17ROCPRIM_400000_NS6detail17trampoline_kernelINS0_14default_configENS1_29reduce_by_key_config_selectorIxjN6thrust23THRUST_200600_302600_NS4plusIjEEEEZZNS1_33reduce_by_key_impl_wrapped_configILNS1_25lookback_scan_determinismE0ES3_S9_NS6_6detail15normal_iteratorINS6_10device_ptrIxEEEENSD_INSE_IjEEEESG_SI_PmS8_NS6_8equal_toIxEEEE10hipError_tPvRmT2_T3_mT4_T5_T6_T7_T8_P12ihipStream_tbENKUlT_T0_E_clISt17integral_constantIbLb1EES12_IbLb0EEEEDaSY_SZ_EUlSY_E_NS1_11comp_targetILNS1_3genE3ELNS1_11target_archE908ELNS1_3gpuE7ELNS1_3repE0EEENS1_30default_config_static_selectorELNS0_4arch9wavefront6targetE1EEEvT1_: ; @_ZN7rocprim17ROCPRIM_400000_NS6detail17trampoline_kernelINS0_14default_configENS1_29reduce_by_key_config_selectorIxjN6thrust23THRUST_200600_302600_NS4plusIjEEEEZZNS1_33reduce_by_key_impl_wrapped_configILNS1_25lookback_scan_determinismE0ES3_S9_NS6_6detail15normal_iteratorINS6_10device_ptrIxEEEENSD_INSE_IjEEEESG_SI_PmS8_NS6_8equal_toIxEEEE10hipError_tPvRmT2_T3_mT4_T5_T6_T7_T8_P12ihipStream_tbENKUlT_T0_E_clISt17integral_constantIbLb1EES12_IbLb0EEEEDaSY_SZ_EUlSY_E_NS1_11comp_targetILNS1_3genE3ELNS1_11target_archE908ELNS1_3gpuE7ELNS1_3repE0EEENS1_30default_config_static_selectorELNS0_4arch9wavefront6targetE1EEEvT1_
; %bb.0:
	.section	.rodata,"a",@progbits
	.p2align	6, 0x0
	.amdhsa_kernel _ZN7rocprim17ROCPRIM_400000_NS6detail17trampoline_kernelINS0_14default_configENS1_29reduce_by_key_config_selectorIxjN6thrust23THRUST_200600_302600_NS4plusIjEEEEZZNS1_33reduce_by_key_impl_wrapped_configILNS1_25lookback_scan_determinismE0ES3_S9_NS6_6detail15normal_iteratorINS6_10device_ptrIxEEEENSD_INSE_IjEEEESG_SI_PmS8_NS6_8equal_toIxEEEE10hipError_tPvRmT2_T3_mT4_T5_T6_T7_T8_P12ihipStream_tbENKUlT_T0_E_clISt17integral_constantIbLb1EES12_IbLb0EEEEDaSY_SZ_EUlSY_E_NS1_11comp_targetILNS1_3genE3ELNS1_11target_archE908ELNS1_3gpuE7ELNS1_3repE0EEENS1_30default_config_static_selectorELNS0_4arch9wavefront6targetE1EEEvT1_
		.amdhsa_group_segment_fixed_size 0
		.amdhsa_private_segment_fixed_size 0
		.amdhsa_kernarg_size 120
		.amdhsa_user_sgpr_count 6
		.amdhsa_user_sgpr_private_segment_buffer 1
		.amdhsa_user_sgpr_dispatch_ptr 0
		.amdhsa_user_sgpr_queue_ptr 0
		.amdhsa_user_sgpr_kernarg_segment_ptr 1
		.amdhsa_user_sgpr_dispatch_id 0
		.amdhsa_user_sgpr_flat_scratch_init 0
		.amdhsa_user_sgpr_kernarg_preload_length 0
		.amdhsa_user_sgpr_kernarg_preload_offset 0
		.amdhsa_user_sgpr_private_segment_size 0
		.amdhsa_uses_dynamic_stack 0
		.amdhsa_system_sgpr_private_segment_wavefront_offset 0
		.amdhsa_system_sgpr_workgroup_id_x 1
		.amdhsa_system_sgpr_workgroup_id_y 0
		.amdhsa_system_sgpr_workgroup_id_z 0
		.amdhsa_system_sgpr_workgroup_info 0
		.amdhsa_system_vgpr_workitem_id 0
		.amdhsa_next_free_vgpr 1
		.amdhsa_next_free_sgpr 0
		.amdhsa_accum_offset 4
		.amdhsa_reserve_vcc 0
		.amdhsa_reserve_flat_scratch 0
		.amdhsa_float_round_mode_32 0
		.amdhsa_float_round_mode_16_64 0
		.amdhsa_float_denorm_mode_32 3
		.amdhsa_float_denorm_mode_16_64 3
		.amdhsa_dx10_clamp 1
		.amdhsa_ieee_mode 1
		.amdhsa_fp16_overflow 0
		.amdhsa_tg_split 0
		.amdhsa_exception_fp_ieee_invalid_op 0
		.amdhsa_exception_fp_denorm_src 0
		.amdhsa_exception_fp_ieee_div_zero 0
		.amdhsa_exception_fp_ieee_overflow 0
		.amdhsa_exception_fp_ieee_underflow 0
		.amdhsa_exception_fp_ieee_inexact 0
		.amdhsa_exception_int_div_zero 0
	.end_amdhsa_kernel
	.section	.text._ZN7rocprim17ROCPRIM_400000_NS6detail17trampoline_kernelINS0_14default_configENS1_29reduce_by_key_config_selectorIxjN6thrust23THRUST_200600_302600_NS4plusIjEEEEZZNS1_33reduce_by_key_impl_wrapped_configILNS1_25lookback_scan_determinismE0ES3_S9_NS6_6detail15normal_iteratorINS6_10device_ptrIxEEEENSD_INSE_IjEEEESG_SI_PmS8_NS6_8equal_toIxEEEE10hipError_tPvRmT2_T3_mT4_T5_T6_T7_T8_P12ihipStream_tbENKUlT_T0_E_clISt17integral_constantIbLb1EES12_IbLb0EEEEDaSY_SZ_EUlSY_E_NS1_11comp_targetILNS1_3genE3ELNS1_11target_archE908ELNS1_3gpuE7ELNS1_3repE0EEENS1_30default_config_static_selectorELNS0_4arch9wavefront6targetE1EEEvT1_,"axG",@progbits,_ZN7rocprim17ROCPRIM_400000_NS6detail17trampoline_kernelINS0_14default_configENS1_29reduce_by_key_config_selectorIxjN6thrust23THRUST_200600_302600_NS4plusIjEEEEZZNS1_33reduce_by_key_impl_wrapped_configILNS1_25lookback_scan_determinismE0ES3_S9_NS6_6detail15normal_iteratorINS6_10device_ptrIxEEEENSD_INSE_IjEEEESG_SI_PmS8_NS6_8equal_toIxEEEE10hipError_tPvRmT2_T3_mT4_T5_T6_T7_T8_P12ihipStream_tbENKUlT_T0_E_clISt17integral_constantIbLb1EES12_IbLb0EEEEDaSY_SZ_EUlSY_E_NS1_11comp_targetILNS1_3genE3ELNS1_11target_archE908ELNS1_3gpuE7ELNS1_3repE0EEENS1_30default_config_static_selectorELNS0_4arch9wavefront6targetE1EEEvT1_,comdat
.Lfunc_end790:
	.size	_ZN7rocprim17ROCPRIM_400000_NS6detail17trampoline_kernelINS0_14default_configENS1_29reduce_by_key_config_selectorIxjN6thrust23THRUST_200600_302600_NS4plusIjEEEEZZNS1_33reduce_by_key_impl_wrapped_configILNS1_25lookback_scan_determinismE0ES3_S9_NS6_6detail15normal_iteratorINS6_10device_ptrIxEEEENSD_INSE_IjEEEESG_SI_PmS8_NS6_8equal_toIxEEEE10hipError_tPvRmT2_T3_mT4_T5_T6_T7_T8_P12ihipStream_tbENKUlT_T0_E_clISt17integral_constantIbLb1EES12_IbLb0EEEEDaSY_SZ_EUlSY_E_NS1_11comp_targetILNS1_3genE3ELNS1_11target_archE908ELNS1_3gpuE7ELNS1_3repE0EEENS1_30default_config_static_selectorELNS0_4arch9wavefront6targetE1EEEvT1_, .Lfunc_end790-_ZN7rocprim17ROCPRIM_400000_NS6detail17trampoline_kernelINS0_14default_configENS1_29reduce_by_key_config_selectorIxjN6thrust23THRUST_200600_302600_NS4plusIjEEEEZZNS1_33reduce_by_key_impl_wrapped_configILNS1_25lookback_scan_determinismE0ES3_S9_NS6_6detail15normal_iteratorINS6_10device_ptrIxEEEENSD_INSE_IjEEEESG_SI_PmS8_NS6_8equal_toIxEEEE10hipError_tPvRmT2_T3_mT4_T5_T6_T7_T8_P12ihipStream_tbENKUlT_T0_E_clISt17integral_constantIbLb1EES12_IbLb0EEEEDaSY_SZ_EUlSY_E_NS1_11comp_targetILNS1_3genE3ELNS1_11target_archE908ELNS1_3gpuE7ELNS1_3repE0EEENS1_30default_config_static_selectorELNS0_4arch9wavefront6targetE1EEEvT1_
                                        ; -- End function
	.section	.AMDGPU.csdata,"",@progbits
; Kernel info:
; codeLenInByte = 0
; NumSgprs: 4
; NumVgprs: 0
; NumAgprs: 0
; TotalNumVgprs: 0
; ScratchSize: 0
; MemoryBound: 0
; FloatMode: 240
; IeeeMode: 1
; LDSByteSize: 0 bytes/workgroup (compile time only)
; SGPRBlocks: 0
; VGPRBlocks: 0
; NumSGPRsForWavesPerEU: 4
; NumVGPRsForWavesPerEU: 1
; AccumOffset: 4
; Occupancy: 8
; WaveLimiterHint : 0
; COMPUTE_PGM_RSRC2:SCRATCH_EN: 0
; COMPUTE_PGM_RSRC2:USER_SGPR: 6
; COMPUTE_PGM_RSRC2:TRAP_HANDLER: 0
; COMPUTE_PGM_RSRC2:TGID_X_EN: 1
; COMPUTE_PGM_RSRC2:TGID_Y_EN: 0
; COMPUTE_PGM_RSRC2:TGID_Z_EN: 0
; COMPUTE_PGM_RSRC2:TIDIG_COMP_CNT: 0
; COMPUTE_PGM_RSRC3_GFX90A:ACCUM_OFFSET: 0
; COMPUTE_PGM_RSRC3_GFX90A:TG_SPLIT: 0
	.section	.text._ZN7rocprim17ROCPRIM_400000_NS6detail17trampoline_kernelINS0_14default_configENS1_29reduce_by_key_config_selectorIxjN6thrust23THRUST_200600_302600_NS4plusIjEEEEZZNS1_33reduce_by_key_impl_wrapped_configILNS1_25lookback_scan_determinismE0ES3_S9_NS6_6detail15normal_iteratorINS6_10device_ptrIxEEEENSD_INSE_IjEEEESG_SI_PmS8_NS6_8equal_toIxEEEE10hipError_tPvRmT2_T3_mT4_T5_T6_T7_T8_P12ihipStream_tbENKUlT_T0_E_clISt17integral_constantIbLb1EES12_IbLb0EEEEDaSY_SZ_EUlSY_E_NS1_11comp_targetILNS1_3genE2ELNS1_11target_archE906ELNS1_3gpuE6ELNS1_3repE0EEENS1_30default_config_static_selectorELNS0_4arch9wavefront6targetE1EEEvT1_,"axG",@progbits,_ZN7rocprim17ROCPRIM_400000_NS6detail17trampoline_kernelINS0_14default_configENS1_29reduce_by_key_config_selectorIxjN6thrust23THRUST_200600_302600_NS4plusIjEEEEZZNS1_33reduce_by_key_impl_wrapped_configILNS1_25lookback_scan_determinismE0ES3_S9_NS6_6detail15normal_iteratorINS6_10device_ptrIxEEEENSD_INSE_IjEEEESG_SI_PmS8_NS6_8equal_toIxEEEE10hipError_tPvRmT2_T3_mT4_T5_T6_T7_T8_P12ihipStream_tbENKUlT_T0_E_clISt17integral_constantIbLb1EES12_IbLb0EEEEDaSY_SZ_EUlSY_E_NS1_11comp_targetILNS1_3genE2ELNS1_11target_archE906ELNS1_3gpuE6ELNS1_3repE0EEENS1_30default_config_static_selectorELNS0_4arch9wavefront6targetE1EEEvT1_,comdat
	.protected	_ZN7rocprim17ROCPRIM_400000_NS6detail17trampoline_kernelINS0_14default_configENS1_29reduce_by_key_config_selectorIxjN6thrust23THRUST_200600_302600_NS4plusIjEEEEZZNS1_33reduce_by_key_impl_wrapped_configILNS1_25lookback_scan_determinismE0ES3_S9_NS6_6detail15normal_iteratorINS6_10device_ptrIxEEEENSD_INSE_IjEEEESG_SI_PmS8_NS6_8equal_toIxEEEE10hipError_tPvRmT2_T3_mT4_T5_T6_T7_T8_P12ihipStream_tbENKUlT_T0_E_clISt17integral_constantIbLb1EES12_IbLb0EEEEDaSY_SZ_EUlSY_E_NS1_11comp_targetILNS1_3genE2ELNS1_11target_archE906ELNS1_3gpuE6ELNS1_3repE0EEENS1_30default_config_static_selectorELNS0_4arch9wavefront6targetE1EEEvT1_ ; -- Begin function _ZN7rocprim17ROCPRIM_400000_NS6detail17trampoline_kernelINS0_14default_configENS1_29reduce_by_key_config_selectorIxjN6thrust23THRUST_200600_302600_NS4plusIjEEEEZZNS1_33reduce_by_key_impl_wrapped_configILNS1_25lookback_scan_determinismE0ES3_S9_NS6_6detail15normal_iteratorINS6_10device_ptrIxEEEENSD_INSE_IjEEEESG_SI_PmS8_NS6_8equal_toIxEEEE10hipError_tPvRmT2_T3_mT4_T5_T6_T7_T8_P12ihipStream_tbENKUlT_T0_E_clISt17integral_constantIbLb1EES12_IbLb0EEEEDaSY_SZ_EUlSY_E_NS1_11comp_targetILNS1_3genE2ELNS1_11target_archE906ELNS1_3gpuE6ELNS1_3repE0EEENS1_30default_config_static_selectorELNS0_4arch9wavefront6targetE1EEEvT1_
	.globl	_ZN7rocprim17ROCPRIM_400000_NS6detail17trampoline_kernelINS0_14default_configENS1_29reduce_by_key_config_selectorIxjN6thrust23THRUST_200600_302600_NS4plusIjEEEEZZNS1_33reduce_by_key_impl_wrapped_configILNS1_25lookback_scan_determinismE0ES3_S9_NS6_6detail15normal_iteratorINS6_10device_ptrIxEEEENSD_INSE_IjEEEESG_SI_PmS8_NS6_8equal_toIxEEEE10hipError_tPvRmT2_T3_mT4_T5_T6_T7_T8_P12ihipStream_tbENKUlT_T0_E_clISt17integral_constantIbLb1EES12_IbLb0EEEEDaSY_SZ_EUlSY_E_NS1_11comp_targetILNS1_3genE2ELNS1_11target_archE906ELNS1_3gpuE6ELNS1_3repE0EEENS1_30default_config_static_selectorELNS0_4arch9wavefront6targetE1EEEvT1_
	.p2align	8
	.type	_ZN7rocprim17ROCPRIM_400000_NS6detail17trampoline_kernelINS0_14default_configENS1_29reduce_by_key_config_selectorIxjN6thrust23THRUST_200600_302600_NS4plusIjEEEEZZNS1_33reduce_by_key_impl_wrapped_configILNS1_25lookback_scan_determinismE0ES3_S9_NS6_6detail15normal_iteratorINS6_10device_ptrIxEEEENSD_INSE_IjEEEESG_SI_PmS8_NS6_8equal_toIxEEEE10hipError_tPvRmT2_T3_mT4_T5_T6_T7_T8_P12ihipStream_tbENKUlT_T0_E_clISt17integral_constantIbLb1EES12_IbLb0EEEEDaSY_SZ_EUlSY_E_NS1_11comp_targetILNS1_3genE2ELNS1_11target_archE906ELNS1_3gpuE6ELNS1_3repE0EEENS1_30default_config_static_selectorELNS0_4arch9wavefront6targetE1EEEvT1_,@function
_ZN7rocprim17ROCPRIM_400000_NS6detail17trampoline_kernelINS0_14default_configENS1_29reduce_by_key_config_selectorIxjN6thrust23THRUST_200600_302600_NS4plusIjEEEEZZNS1_33reduce_by_key_impl_wrapped_configILNS1_25lookback_scan_determinismE0ES3_S9_NS6_6detail15normal_iteratorINS6_10device_ptrIxEEEENSD_INSE_IjEEEESG_SI_PmS8_NS6_8equal_toIxEEEE10hipError_tPvRmT2_T3_mT4_T5_T6_T7_T8_P12ihipStream_tbENKUlT_T0_E_clISt17integral_constantIbLb1EES12_IbLb0EEEEDaSY_SZ_EUlSY_E_NS1_11comp_targetILNS1_3genE2ELNS1_11target_archE906ELNS1_3gpuE6ELNS1_3repE0EEENS1_30default_config_static_selectorELNS0_4arch9wavefront6targetE1EEEvT1_: ; @_ZN7rocprim17ROCPRIM_400000_NS6detail17trampoline_kernelINS0_14default_configENS1_29reduce_by_key_config_selectorIxjN6thrust23THRUST_200600_302600_NS4plusIjEEEEZZNS1_33reduce_by_key_impl_wrapped_configILNS1_25lookback_scan_determinismE0ES3_S9_NS6_6detail15normal_iteratorINS6_10device_ptrIxEEEENSD_INSE_IjEEEESG_SI_PmS8_NS6_8equal_toIxEEEE10hipError_tPvRmT2_T3_mT4_T5_T6_T7_T8_P12ihipStream_tbENKUlT_T0_E_clISt17integral_constantIbLb1EES12_IbLb0EEEEDaSY_SZ_EUlSY_E_NS1_11comp_targetILNS1_3genE2ELNS1_11target_archE906ELNS1_3gpuE6ELNS1_3repE0EEENS1_30default_config_static_selectorELNS0_4arch9wavefront6targetE1EEEvT1_
; %bb.0:
	.section	.rodata,"a",@progbits
	.p2align	6, 0x0
	.amdhsa_kernel _ZN7rocprim17ROCPRIM_400000_NS6detail17trampoline_kernelINS0_14default_configENS1_29reduce_by_key_config_selectorIxjN6thrust23THRUST_200600_302600_NS4plusIjEEEEZZNS1_33reduce_by_key_impl_wrapped_configILNS1_25lookback_scan_determinismE0ES3_S9_NS6_6detail15normal_iteratorINS6_10device_ptrIxEEEENSD_INSE_IjEEEESG_SI_PmS8_NS6_8equal_toIxEEEE10hipError_tPvRmT2_T3_mT4_T5_T6_T7_T8_P12ihipStream_tbENKUlT_T0_E_clISt17integral_constantIbLb1EES12_IbLb0EEEEDaSY_SZ_EUlSY_E_NS1_11comp_targetILNS1_3genE2ELNS1_11target_archE906ELNS1_3gpuE6ELNS1_3repE0EEENS1_30default_config_static_selectorELNS0_4arch9wavefront6targetE1EEEvT1_
		.amdhsa_group_segment_fixed_size 0
		.amdhsa_private_segment_fixed_size 0
		.amdhsa_kernarg_size 120
		.amdhsa_user_sgpr_count 6
		.amdhsa_user_sgpr_private_segment_buffer 1
		.amdhsa_user_sgpr_dispatch_ptr 0
		.amdhsa_user_sgpr_queue_ptr 0
		.amdhsa_user_sgpr_kernarg_segment_ptr 1
		.amdhsa_user_sgpr_dispatch_id 0
		.amdhsa_user_sgpr_flat_scratch_init 0
		.amdhsa_user_sgpr_kernarg_preload_length 0
		.amdhsa_user_sgpr_kernarg_preload_offset 0
		.amdhsa_user_sgpr_private_segment_size 0
		.amdhsa_uses_dynamic_stack 0
		.amdhsa_system_sgpr_private_segment_wavefront_offset 0
		.amdhsa_system_sgpr_workgroup_id_x 1
		.amdhsa_system_sgpr_workgroup_id_y 0
		.amdhsa_system_sgpr_workgroup_id_z 0
		.amdhsa_system_sgpr_workgroup_info 0
		.amdhsa_system_vgpr_workitem_id 0
		.amdhsa_next_free_vgpr 1
		.amdhsa_next_free_sgpr 0
		.amdhsa_accum_offset 4
		.amdhsa_reserve_vcc 0
		.amdhsa_reserve_flat_scratch 0
		.amdhsa_float_round_mode_32 0
		.amdhsa_float_round_mode_16_64 0
		.amdhsa_float_denorm_mode_32 3
		.amdhsa_float_denorm_mode_16_64 3
		.amdhsa_dx10_clamp 1
		.amdhsa_ieee_mode 1
		.amdhsa_fp16_overflow 0
		.amdhsa_tg_split 0
		.amdhsa_exception_fp_ieee_invalid_op 0
		.amdhsa_exception_fp_denorm_src 0
		.amdhsa_exception_fp_ieee_div_zero 0
		.amdhsa_exception_fp_ieee_overflow 0
		.amdhsa_exception_fp_ieee_underflow 0
		.amdhsa_exception_fp_ieee_inexact 0
		.amdhsa_exception_int_div_zero 0
	.end_amdhsa_kernel
	.section	.text._ZN7rocprim17ROCPRIM_400000_NS6detail17trampoline_kernelINS0_14default_configENS1_29reduce_by_key_config_selectorIxjN6thrust23THRUST_200600_302600_NS4plusIjEEEEZZNS1_33reduce_by_key_impl_wrapped_configILNS1_25lookback_scan_determinismE0ES3_S9_NS6_6detail15normal_iteratorINS6_10device_ptrIxEEEENSD_INSE_IjEEEESG_SI_PmS8_NS6_8equal_toIxEEEE10hipError_tPvRmT2_T3_mT4_T5_T6_T7_T8_P12ihipStream_tbENKUlT_T0_E_clISt17integral_constantIbLb1EES12_IbLb0EEEEDaSY_SZ_EUlSY_E_NS1_11comp_targetILNS1_3genE2ELNS1_11target_archE906ELNS1_3gpuE6ELNS1_3repE0EEENS1_30default_config_static_selectorELNS0_4arch9wavefront6targetE1EEEvT1_,"axG",@progbits,_ZN7rocprim17ROCPRIM_400000_NS6detail17trampoline_kernelINS0_14default_configENS1_29reduce_by_key_config_selectorIxjN6thrust23THRUST_200600_302600_NS4plusIjEEEEZZNS1_33reduce_by_key_impl_wrapped_configILNS1_25lookback_scan_determinismE0ES3_S9_NS6_6detail15normal_iteratorINS6_10device_ptrIxEEEENSD_INSE_IjEEEESG_SI_PmS8_NS6_8equal_toIxEEEE10hipError_tPvRmT2_T3_mT4_T5_T6_T7_T8_P12ihipStream_tbENKUlT_T0_E_clISt17integral_constantIbLb1EES12_IbLb0EEEEDaSY_SZ_EUlSY_E_NS1_11comp_targetILNS1_3genE2ELNS1_11target_archE906ELNS1_3gpuE6ELNS1_3repE0EEENS1_30default_config_static_selectorELNS0_4arch9wavefront6targetE1EEEvT1_,comdat
.Lfunc_end791:
	.size	_ZN7rocprim17ROCPRIM_400000_NS6detail17trampoline_kernelINS0_14default_configENS1_29reduce_by_key_config_selectorIxjN6thrust23THRUST_200600_302600_NS4plusIjEEEEZZNS1_33reduce_by_key_impl_wrapped_configILNS1_25lookback_scan_determinismE0ES3_S9_NS6_6detail15normal_iteratorINS6_10device_ptrIxEEEENSD_INSE_IjEEEESG_SI_PmS8_NS6_8equal_toIxEEEE10hipError_tPvRmT2_T3_mT4_T5_T6_T7_T8_P12ihipStream_tbENKUlT_T0_E_clISt17integral_constantIbLb1EES12_IbLb0EEEEDaSY_SZ_EUlSY_E_NS1_11comp_targetILNS1_3genE2ELNS1_11target_archE906ELNS1_3gpuE6ELNS1_3repE0EEENS1_30default_config_static_selectorELNS0_4arch9wavefront6targetE1EEEvT1_, .Lfunc_end791-_ZN7rocprim17ROCPRIM_400000_NS6detail17trampoline_kernelINS0_14default_configENS1_29reduce_by_key_config_selectorIxjN6thrust23THRUST_200600_302600_NS4plusIjEEEEZZNS1_33reduce_by_key_impl_wrapped_configILNS1_25lookback_scan_determinismE0ES3_S9_NS6_6detail15normal_iteratorINS6_10device_ptrIxEEEENSD_INSE_IjEEEESG_SI_PmS8_NS6_8equal_toIxEEEE10hipError_tPvRmT2_T3_mT4_T5_T6_T7_T8_P12ihipStream_tbENKUlT_T0_E_clISt17integral_constantIbLb1EES12_IbLb0EEEEDaSY_SZ_EUlSY_E_NS1_11comp_targetILNS1_3genE2ELNS1_11target_archE906ELNS1_3gpuE6ELNS1_3repE0EEENS1_30default_config_static_selectorELNS0_4arch9wavefront6targetE1EEEvT1_
                                        ; -- End function
	.section	.AMDGPU.csdata,"",@progbits
; Kernel info:
; codeLenInByte = 0
; NumSgprs: 4
; NumVgprs: 0
; NumAgprs: 0
; TotalNumVgprs: 0
; ScratchSize: 0
; MemoryBound: 0
; FloatMode: 240
; IeeeMode: 1
; LDSByteSize: 0 bytes/workgroup (compile time only)
; SGPRBlocks: 0
; VGPRBlocks: 0
; NumSGPRsForWavesPerEU: 4
; NumVGPRsForWavesPerEU: 1
; AccumOffset: 4
; Occupancy: 8
; WaveLimiterHint : 0
; COMPUTE_PGM_RSRC2:SCRATCH_EN: 0
; COMPUTE_PGM_RSRC2:USER_SGPR: 6
; COMPUTE_PGM_RSRC2:TRAP_HANDLER: 0
; COMPUTE_PGM_RSRC2:TGID_X_EN: 1
; COMPUTE_PGM_RSRC2:TGID_Y_EN: 0
; COMPUTE_PGM_RSRC2:TGID_Z_EN: 0
; COMPUTE_PGM_RSRC2:TIDIG_COMP_CNT: 0
; COMPUTE_PGM_RSRC3_GFX90A:ACCUM_OFFSET: 0
; COMPUTE_PGM_RSRC3_GFX90A:TG_SPLIT: 0
	.section	.text._ZN7rocprim17ROCPRIM_400000_NS6detail17trampoline_kernelINS0_14default_configENS1_29reduce_by_key_config_selectorIxjN6thrust23THRUST_200600_302600_NS4plusIjEEEEZZNS1_33reduce_by_key_impl_wrapped_configILNS1_25lookback_scan_determinismE0ES3_S9_NS6_6detail15normal_iteratorINS6_10device_ptrIxEEEENSD_INSE_IjEEEESG_SI_PmS8_NS6_8equal_toIxEEEE10hipError_tPvRmT2_T3_mT4_T5_T6_T7_T8_P12ihipStream_tbENKUlT_T0_E_clISt17integral_constantIbLb1EES12_IbLb0EEEEDaSY_SZ_EUlSY_E_NS1_11comp_targetILNS1_3genE10ELNS1_11target_archE1201ELNS1_3gpuE5ELNS1_3repE0EEENS1_30default_config_static_selectorELNS0_4arch9wavefront6targetE1EEEvT1_,"axG",@progbits,_ZN7rocprim17ROCPRIM_400000_NS6detail17trampoline_kernelINS0_14default_configENS1_29reduce_by_key_config_selectorIxjN6thrust23THRUST_200600_302600_NS4plusIjEEEEZZNS1_33reduce_by_key_impl_wrapped_configILNS1_25lookback_scan_determinismE0ES3_S9_NS6_6detail15normal_iteratorINS6_10device_ptrIxEEEENSD_INSE_IjEEEESG_SI_PmS8_NS6_8equal_toIxEEEE10hipError_tPvRmT2_T3_mT4_T5_T6_T7_T8_P12ihipStream_tbENKUlT_T0_E_clISt17integral_constantIbLb1EES12_IbLb0EEEEDaSY_SZ_EUlSY_E_NS1_11comp_targetILNS1_3genE10ELNS1_11target_archE1201ELNS1_3gpuE5ELNS1_3repE0EEENS1_30default_config_static_selectorELNS0_4arch9wavefront6targetE1EEEvT1_,comdat
	.protected	_ZN7rocprim17ROCPRIM_400000_NS6detail17trampoline_kernelINS0_14default_configENS1_29reduce_by_key_config_selectorIxjN6thrust23THRUST_200600_302600_NS4plusIjEEEEZZNS1_33reduce_by_key_impl_wrapped_configILNS1_25lookback_scan_determinismE0ES3_S9_NS6_6detail15normal_iteratorINS6_10device_ptrIxEEEENSD_INSE_IjEEEESG_SI_PmS8_NS6_8equal_toIxEEEE10hipError_tPvRmT2_T3_mT4_T5_T6_T7_T8_P12ihipStream_tbENKUlT_T0_E_clISt17integral_constantIbLb1EES12_IbLb0EEEEDaSY_SZ_EUlSY_E_NS1_11comp_targetILNS1_3genE10ELNS1_11target_archE1201ELNS1_3gpuE5ELNS1_3repE0EEENS1_30default_config_static_selectorELNS0_4arch9wavefront6targetE1EEEvT1_ ; -- Begin function _ZN7rocprim17ROCPRIM_400000_NS6detail17trampoline_kernelINS0_14default_configENS1_29reduce_by_key_config_selectorIxjN6thrust23THRUST_200600_302600_NS4plusIjEEEEZZNS1_33reduce_by_key_impl_wrapped_configILNS1_25lookback_scan_determinismE0ES3_S9_NS6_6detail15normal_iteratorINS6_10device_ptrIxEEEENSD_INSE_IjEEEESG_SI_PmS8_NS6_8equal_toIxEEEE10hipError_tPvRmT2_T3_mT4_T5_T6_T7_T8_P12ihipStream_tbENKUlT_T0_E_clISt17integral_constantIbLb1EES12_IbLb0EEEEDaSY_SZ_EUlSY_E_NS1_11comp_targetILNS1_3genE10ELNS1_11target_archE1201ELNS1_3gpuE5ELNS1_3repE0EEENS1_30default_config_static_selectorELNS0_4arch9wavefront6targetE1EEEvT1_
	.globl	_ZN7rocprim17ROCPRIM_400000_NS6detail17trampoline_kernelINS0_14default_configENS1_29reduce_by_key_config_selectorIxjN6thrust23THRUST_200600_302600_NS4plusIjEEEEZZNS1_33reduce_by_key_impl_wrapped_configILNS1_25lookback_scan_determinismE0ES3_S9_NS6_6detail15normal_iteratorINS6_10device_ptrIxEEEENSD_INSE_IjEEEESG_SI_PmS8_NS6_8equal_toIxEEEE10hipError_tPvRmT2_T3_mT4_T5_T6_T7_T8_P12ihipStream_tbENKUlT_T0_E_clISt17integral_constantIbLb1EES12_IbLb0EEEEDaSY_SZ_EUlSY_E_NS1_11comp_targetILNS1_3genE10ELNS1_11target_archE1201ELNS1_3gpuE5ELNS1_3repE0EEENS1_30default_config_static_selectorELNS0_4arch9wavefront6targetE1EEEvT1_
	.p2align	8
	.type	_ZN7rocprim17ROCPRIM_400000_NS6detail17trampoline_kernelINS0_14default_configENS1_29reduce_by_key_config_selectorIxjN6thrust23THRUST_200600_302600_NS4plusIjEEEEZZNS1_33reduce_by_key_impl_wrapped_configILNS1_25lookback_scan_determinismE0ES3_S9_NS6_6detail15normal_iteratorINS6_10device_ptrIxEEEENSD_INSE_IjEEEESG_SI_PmS8_NS6_8equal_toIxEEEE10hipError_tPvRmT2_T3_mT4_T5_T6_T7_T8_P12ihipStream_tbENKUlT_T0_E_clISt17integral_constantIbLb1EES12_IbLb0EEEEDaSY_SZ_EUlSY_E_NS1_11comp_targetILNS1_3genE10ELNS1_11target_archE1201ELNS1_3gpuE5ELNS1_3repE0EEENS1_30default_config_static_selectorELNS0_4arch9wavefront6targetE1EEEvT1_,@function
_ZN7rocprim17ROCPRIM_400000_NS6detail17trampoline_kernelINS0_14default_configENS1_29reduce_by_key_config_selectorIxjN6thrust23THRUST_200600_302600_NS4plusIjEEEEZZNS1_33reduce_by_key_impl_wrapped_configILNS1_25lookback_scan_determinismE0ES3_S9_NS6_6detail15normal_iteratorINS6_10device_ptrIxEEEENSD_INSE_IjEEEESG_SI_PmS8_NS6_8equal_toIxEEEE10hipError_tPvRmT2_T3_mT4_T5_T6_T7_T8_P12ihipStream_tbENKUlT_T0_E_clISt17integral_constantIbLb1EES12_IbLb0EEEEDaSY_SZ_EUlSY_E_NS1_11comp_targetILNS1_3genE10ELNS1_11target_archE1201ELNS1_3gpuE5ELNS1_3repE0EEENS1_30default_config_static_selectorELNS0_4arch9wavefront6targetE1EEEvT1_: ; @_ZN7rocprim17ROCPRIM_400000_NS6detail17trampoline_kernelINS0_14default_configENS1_29reduce_by_key_config_selectorIxjN6thrust23THRUST_200600_302600_NS4plusIjEEEEZZNS1_33reduce_by_key_impl_wrapped_configILNS1_25lookback_scan_determinismE0ES3_S9_NS6_6detail15normal_iteratorINS6_10device_ptrIxEEEENSD_INSE_IjEEEESG_SI_PmS8_NS6_8equal_toIxEEEE10hipError_tPvRmT2_T3_mT4_T5_T6_T7_T8_P12ihipStream_tbENKUlT_T0_E_clISt17integral_constantIbLb1EES12_IbLb0EEEEDaSY_SZ_EUlSY_E_NS1_11comp_targetILNS1_3genE10ELNS1_11target_archE1201ELNS1_3gpuE5ELNS1_3repE0EEENS1_30default_config_static_selectorELNS0_4arch9wavefront6targetE1EEEvT1_
; %bb.0:
	.section	.rodata,"a",@progbits
	.p2align	6, 0x0
	.amdhsa_kernel _ZN7rocprim17ROCPRIM_400000_NS6detail17trampoline_kernelINS0_14default_configENS1_29reduce_by_key_config_selectorIxjN6thrust23THRUST_200600_302600_NS4plusIjEEEEZZNS1_33reduce_by_key_impl_wrapped_configILNS1_25lookback_scan_determinismE0ES3_S9_NS6_6detail15normal_iteratorINS6_10device_ptrIxEEEENSD_INSE_IjEEEESG_SI_PmS8_NS6_8equal_toIxEEEE10hipError_tPvRmT2_T3_mT4_T5_T6_T7_T8_P12ihipStream_tbENKUlT_T0_E_clISt17integral_constantIbLb1EES12_IbLb0EEEEDaSY_SZ_EUlSY_E_NS1_11comp_targetILNS1_3genE10ELNS1_11target_archE1201ELNS1_3gpuE5ELNS1_3repE0EEENS1_30default_config_static_selectorELNS0_4arch9wavefront6targetE1EEEvT1_
		.amdhsa_group_segment_fixed_size 0
		.amdhsa_private_segment_fixed_size 0
		.amdhsa_kernarg_size 120
		.amdhsa_user_sgpr_count 6
		.amdhsa_user_sgpr_private_segment_buffer 1
		.amdhsa_user_sgpr_dispatch_ptr 0
		.amdhsa_user_sgpr_queue_ptr 0
		.amdhsa_user_sgpr_kernarg_segment_ptr 1
		.amdhsa_user_sgpr_dispatch_id 0
		.amdhsa_user_sgpr_flat_scratch_init 0
		.amdhsa_user_sgpr_kernarg_preload_length 0
		.amdhsa_user_sgpr_kernarg_preload_offset 0
		.amdhsa_user_sgpr_private_segment_size 0
		.amdhsa_uses_dynamic_stack 0
		.amdhsa_system_sgpr_private_segment_wavefront_offset 0
		.amdhsa_system_sgpr_workgroup_id_x 1
		.amdhsa_system_sgpr_workgroup_id_y 0
		.amdhsa_system_sgpr_workgroup_id_z 0
		.amdhsa_system_sgpr_workgroup_info 0
		.amdhsa_system_vgpr_workitem_id 0
		.amdhsa_next_free_vgpr 1
		.amdhsa_next_free_sgpr 0
		.amdhsa_accum_offset 4
		.amdhsa_reserve_vcc 0
		.amdhsa_reserve_flat_scratch 0
		.amdhsa_float_round_mode_32 0
		.amdhsa_float_round_mode_16_64 0
		.amdhsa_float_denorm_mode_32 3
		.amdhsa_float_denorm_mode_16_64 3
		.amdhsa_dx10_clamp 1
		.amdhsa_ieee_mode 1
		.amdhsa_fp16_overflow 0
		.amdhsa_tg_split 0
		.amdhsa_exception_fp_ieee_invalid_op 0
		.amdhsa_exception_fp_denorm_src 0
		.amdhsa_exception_fp_ieee_div_zero 0
		.amdhsa_exception_fp_ieee_overflow 0
		.amdhsa_exception_fp_ieee_underflow 0
		.amdhsa_exception_fp_ieee_inexact 0
		.amdhsa_exception_int_div_zero 0
	.end_amdhsa_kernel
	.section	.text._ZN7rocprim17ROCPRIM_400000_NS6detail17trampoline_kernelINS0_14default_configENS1_29reduce_by_key_config_selectorIxjN6thrust23THRUST_200600_302600_NS4plusIjEEEEZZNS1_33reduce_by_key_impl_wrapped_configILNS1_25lookback_scan_determinismE0ES3_S9_NS6_6detail15normal_iteratorINS6_10device_ptrIxEEEENSD_INSE_IjEEEESG_SI_PmS8_NS6_8equal_toIxEEEE10hipError_tPvRmT2_T3_mT4_T5_T6_T7_T8_P12ihipStream_tbENKUlT_T0_E_clISt17integral_constantIbLb1EES12_IbLb0EEEEDaSY_SZ_EUlSY_E_NS1_11comp_targetILNS1_3genE10ELNS1_11target_archE1201ELNS1_3gpuE5ELNS1_3repE0EEENS1_30default_config_static_selectorELNS0_4arch9wavefront6targetE1EEEvT1_,"axG",@progbits,_ZN7rocprim17ROCPRIM_400000_NS6detail17trampoline_kernelINS0_14default_configENS1_29reduce_by_key_config_selectorIxjN6thrust23THRUST_200600_302600_NS4plusIjEEEEZZNS1_33reduce_by_key_impl_wrapped_configILNS1_25lookback_scan_determinismE0ES3_S9_NS6_6detail15normal_iteratorINS6_10device_ptrIxEEEENSD_INSE_IjEEEESG_SI_PmS8_NS6_8equal_toIxEEEE10hipError_tPvRmT2_T3_mT4_T5_T6_T7_T8_P12ihipStream_tbENKUlT_T0_E_clISt17integral_constantIbLb1EES12_IbLb0EEEEDaSY_SZ_EUlSY_E_NS1_11comp_targetILNS1_3genE10ELNS1_11target_archE1201ELNS1_3gpuE5ELNS1_3repE0EEENS1_30default_config_static_selectorELNS0_4arch9wavefront6targetE1EEEvT1_,comdat
.Lfunc_end792:
	.size	_ZN7rocprim17ROCPRIM_400000_NS6detail17trampoline_kernelINS0_14default_configENS1_29reduce_by_key_config_selectorIxjN6thrust23THRUST_200600_302600_NS4plusIjEEEEZZNS1_33reduce_by_key_impl_wrapped_configILNS1_25lookback_scan_determinismE0ES3_S9_NS6_6detail15normal_iteratorINS6_10device_ptrIxEEEENSD_INSE_IjEEEESG_SI_PmS8_NS6_8equal_toIxEEEE10hipError_tPvRmT2_T3_mT4_T5_T6_T7_T8_P12ihipStream_tbENKUlT_T0_E_clISt17integral_constantIbLb1EES12_IbLb0EEEEDaSY_SZ_EUlSY_E_NS1_11comp_targetILNS1_3genE10ELNS1_11target_archE1201ELNS1_3gpuE5ELNS1_3repE0EEENS1_30default_config_static_selectorELNS0_4arch9wavefront6targetE1EEEvT1_, .Lfunc_end792-_ZN7rocprim17ROCPRIM_400000_NS6detail17trampoline_kernelINS0_14default_configENS1_29reduce_by_key_config_selectorIxjN6thrust23THRUST_200600_302600_NS4plusIjEEEEZZNS1_33reduce_by_key_impl_wrapped_configILNS1_25lookback_scan_determinismE0ES3_S9_NS6_6detail15normal_iteratorINS6_10device_ptrIxEEEENSD_INSE_IjEEEESG_SI_PmS8_NS6_8equal_toIxEEEE10hipError_tPvRmT2_T3_mT4_T5_T6_T7_T8_P12ihipStream_tbENKUlT_T0_E_clISt17integral_constantIbLb1EES12_IbLb0EEEEDaSY_SZ_EUlSY_E_NS1_11comp_targetILNS1_3genE10ELNS1_11target_archE1201ELNS1_3gpuE5ELNS1_3repE0EEENS1_30default_config_static_selectorELNS0_4arch9wavefront6targetE1EEEvT1_
                                        ; -- End function
	.section	.AMDGPU.csdata,"",@progbits
; Kernel info:
; codeLenInByte = 0
; NumSgprs: 4
; NumVgprs: 0
; NumAgprs: 0
; TotalNumVgprs: 0
; ScratchSize: 0
; MemoryBound: 0
; FloatMode: 240
; IeeeMode: 1
; LDSByteSize: 0 bytes/workgroup (compile time only)
; SGPRBlocks: 0
; VGPRBlocks: 0
; NumSGPRsForWavesPerEU: 4
; NumVGPRsForWavesPerEU: 1
; AccumOffset: 4
; Occupancy: 8
; WaveLimiterHint : 0
; COMPUTE_PGM_RSRC2:SCRATCH_EN: 0
; COMPUTE_PGM_RSRC2:USER_SGPR: 6
; COMPUTE_PGM_RSRC2:TRAP_HANDLER: 0
; COMPUTE_PGM_RSRC2:TGID_X_EN: 1
; COMPUTE_PGM_RSRC2:TGID_Y_EN: 0
; COMPUTE_PGM_RSRC2:TGID_Z_EN: 0
; COMPUTE_PGM_RSRC2:TIDIG_COMP_CNT: 0
; COMPUTE_PGM_RSRC3_GFX90A:ACCUM_OFFSET: 0
; COMPUTE_PGM_RSRC3_GFX90A:TG_SPLIT: 0
	.section	.text._ZN7rocprim17ROCPRIM_400000_NS6detail17trampoline_kernelINS0_14default_configENS1_29reduce_by_key_config_selectorIxjN6thrust23THRUST_200600_302600_NS4plusIjEEEEZZNS1_33reduce_by_key_impl_wrapped_configILNS1_25lookback_scan_determinismE0ES3_S9_NS6_6detail15normal_iteratorINS6_10device_ptrIxEEEENSD_INSE_IjEEEESG_SI_PmS8_NS6_8equal_toIxEEEE10hipError_tPvRmT2_T3_mT4_T5_T6_T7_T8_P12ihipStream_tbENKUlT_T0_E_clISt17integral_constantIbLb1EES12_IbLb0EEEEDaSY_SZ_EUlSY_E_NS1_11comp_targetILNS1_3genE10ELNS1_11target_archE1200ELNS1_3gpuE4ELNS1_3repE0EEENS1_30default_config_static_selectorELNS0_4arch9wavefront6targetE1EEEvT1_,"axG",@progbits,_ZN7rocprim17ROCPRIM_400000_NS6detail17trampoline_kernelINS0_14default_configENS1_29reduce_by_key_config_selectorIxjN6thrust23THRUST_200600_302600_NS4plusIjEEEEZZNS1_33reduce_by_key_impl_wrapped_configILNS1_25lookback_scan_determinismE0ES3_S9_NS6_6detail15normal_iteratorINS6_10device_ptrIxEEEENSD_INSE_IjEEEESG_SI_PmS8_NS6_8equal_toIxEEEE10hipError_tPvRmT2_T3_mT4_T5_T6_T7_T8_P12ihipStream_tbENKUlT_T0_E_clISt17integral_constantIbLb1EES12_IbLb0EEEEDaSY_SZ_EUlSY_E_NS1_11comp_targetILNS1_3genE10ELNS1_11target_archE1200ELNS1_3gpuE4ELNS1_3repE0EEENS1_30default_config_static_selectorELNS0_4arch9wavefront6targetE1EEEvT1_,comdat
	.protected	_ZN7rocprim17ROCPRIM_400000_NS6detail17trampoline_kernelINS0_14default_configENS1_29reduce_by_key_config_selectorIxjN6thrust23THRUST_200600_302600_NS4plusIjEEEEZZNS1_33reduce_by_key_impl_wrapped_configILNS1_25lookback_scan_determinismE0ES3_S9_NS6_6detail15normal_iteratorINS6_10device_ptrIxEEEENSD_INSE_IjEEEESG_SI_PmS8_NS6_8equal_toIxEEEE10hipError_tPvRmT2_T3_mT4_T5_T6_T7_T8_P12ihipStream_tbENKUlT_T0_E_clISt17integral_constantIbLb1EES12_IbLb0EEEEDaSY_SZ_EUlSY_E_NS1_11comp_targetILNS1_3genE10ELNS1_11target_archE1200ELNS1_3gpuE4ELNS1_3repE0EEENS1_30default_config_static_selectorELNS0_4arch9wavefront6targetE1EEEvT1_ ; -- Begin function _ZN7rocprim17ROCPRIM_400000_NS6detail17trampoline_kernelINS0_14default_configENS1_29reduce_by_key_config_selectorIxjN6thrust23THRUST_200600_302600_NS4plusIjEEEEZZNS1_33reduce_by_key_impl_wrapped_configILNS1_25lookback_scan_determinismE0ES3_S9_NS6_6detail15normal_iteratorINS6_10device_ptrIxEEEENSD_INSE_IjEEEESG_SI_PmS8_NS6_8equal_toIxEEEE10hipError_tPvRmT2_T3_mT4_T5_T6_T7_T8_P12ihipStream_tbENKUlT_T0_E_clISt17integral_constantIbLb1EES12_IbLb0EEEEDaSY_SZ_EUlSY_E_NS1_11comp_targetILNS1_3genE10ELNS1_11target_archE1200ELNS1_3gpuE4ELNS1_3repE0EEENS1_30default_config_static_selectorELNS0_4arch9wavefront6targetE1EEEvT1_
	.globl	_ZN7rocprim17ROCPRIM_400000_NS6detail17trampoline_kernelINS0_14default_configENS1_29reduce_by_key_config_selectorIxjN6thrust23THRUST_200600_302600_NS4plusIjEEEEZZNS1_33reduce_by_key_impl_wrapped_configILNS1_25lookback_scan_determinismE0ES3_S9_NS6_6detail15normal_iteratorINS6_10device_ptrIxEEEENSD_INSE_IjEEEESG_SI_PmS8_NS6_8equal_toIxEEEE10hipError_tPvRmT2_T3_mT4_T5_T6_T7_T8_P12ihipStream_tbENKUlT_T0_E_clISt17integral_constantIbLb1EES12_IbLb0EEEEDaSY_SZ_EUlSY_E_NS1_11comp_targetILNS1_3genE10ELNS1_11target_archE1200ELNS1_3gpuE4ELNS1_3repE0EEENS1_30default_config_static_selectorELNS0_4arch9wavefront6targetE1EEEvT1_
	.p2align	8
	.type	_ZN7rocprim17ROCPRIM_400000_NS6detail17trampoline_kernelINS0_14default_configENS1_29reduce_by_key_config_selectorIxjN6thrust23THRUST_200600_302600_NS4plusIjEEEEZZNS1_33reduce_by_key_impl_wrapped_configILNS1_25lookback_scan_determinismE0ES3_S9_NS6_6detail15normal_iteratorINS6_10device_ptrIxEEEENSD_INSE_IjEEEESG_SI_PmS8_NS6_8equal_toIxEEEE10hipError_tPvRmT2_T3_mT4_T5_T6_T7_T8_P12ihipStream_tbENKUlT_T0_E_clISt17integral_constantIbLb1EES12_IbLb0EEEEDaSY_SZ_EUlSY_E_NS1_11comp_targetILNS1_3genE10ELNS1_11target_archE1200ELNS1_3gpuE4ELNS1_3repE0EEENS1_30default_config_static_selectorELNS0_4arch9wavefront6targetE1EEEvT1_,@function
_ZN7rocprim17ROCPRIM_400000_NS6detail17trampoline_kernelINS0_14default_configENS1_29reduce_by_key_config_selectorIxjN6thrust23THRUST_200600_302600_NS4plusIjEEEEZZNS1_33reduce_by_key_impl_wrapped_configILNS1_25lookback_scan_determinismE0ES3_S9_NS6_6detail15normal_iteratorINS6_10device_ptrIxEEEENSD_INSE_IjEEEESG_SI_PmS8_NS6_8equal_toIxEEEE10hipError_tPvRmT2_T3_mT4_T5_T6_T7_T8_P12ihipStream_tbENKUlT_T0_E_clISt17integral_constantIbLb1EES12_IbLb0EEEEDaSY_SZ_EUlSY_E_NS1_11comp_targetILNS1_3genE10ELNS1_11target_archE1200ELNS1_3gpuE4ELNS1_3repE0EEENS1_30default_config_static_selectorELNS0_4arch9wavefront6targetE1EEEvT1_: ; @_ZN7rocprim17ROCPRIM_400000_NS6detail17trampoline_kernelINS0_14default_configENS1_29reduce_by_key_config_selectorIxjN6thrust23THRUST_200600_302600_NS4plusIjEEEEZZNS1_33reduce_by_key_impl_wrapped_configILNS1_25lookback_scan_determinismE0ES3_S9_NS6_6detail15normal_iteratorINS6_10device_ptrIxEEEENSD_INSE_IjEEEESG_SI_PmS8_NS6_8equal_toIxEEEE10hipError_tPvRmT2_T3_mT4_T5_T6_T7_T8_P12ihipStream_tbENKUlT_T0_E_clISt17integral_constantIbLb1EES12_IbLb0EEEEDaSY_SZ_EUlSY_E_NS1_11comp_targetILNS1_3genE10ELNS1_11target_archE1200ELNS1_3gpuE4ELNS1_3repE0EEENS1_30default_config_static_selectorELNS0_4arch9wavefront6targetE1EEEvT1_
; %bb.0:
	.section	.rodata,"a",@progbits
	.p2align	6, 0x0
	.amdhsa_kernel _ZN7rocprim17ROCPRIM_400000_NS6detail17trampoline_kernelINS0_14default_configENS1_29reduce_by_key_config_selectorIxjN6thrust23THRUST_200600_302600_NS4plusIjEEEEZZNS1_33reduce_by_key_impl_wrapped_configILNS1_25lookback_scan_determinismE0ES3_S9_NS6_6detail15normal_iteratorINS6_10device_ptrIxEEEENSD_INSE_IjEEEESG_SI_PmS8_NS6_8equal_toIxEEEE10hipError_tPvRmT2_T3_mT4_T5_T6_T7_T8_P12ihipStream_tbENKUlT_T0_E_clISt17integral_constantIbLb1EES12_IbLb0EEEEDaSY_SZ_EUlSY_E_NS1_11comp_targetILNS1_3genE10ELNS1_11target_archE1200ELNS1_3gpuE4ELNS1_3repE0EEENS1_30default_config_static_selectorELNS0_4arch9wavefront6targetE1EEEvT1_
		.amdhsa_group_segment_fixed_size 0
		.amdhsa_private_segment_fixed_size 0
		.amdhsa_kernarg_size 120
		.amdhsa_user_sgpr_count 6
		.amdhsa_user_sgpr_private_segment_buffer 1
		.amdhsa_user_sgpr_dispatch_ptr 0
		.amdhsa_user_sgpr_queue_ptr 0
		.amdhsa_user_sgpr_kernarg_segment_ptr 1
		.amdhsa_user_sgpr_dispatch_id 0
		.amdhsa_user_sgpr_flat_scratch_init 0
		.amdhsa_user_sgpr_kernarg_preload_length 0
		.amdhsa_user_sgpr_kernarg_preload_offset 0
		.amdhsa_user_sgpr_private_segment_size 0
		.amdhsa_uses_dynamic_stack 0
		.amdhsa_system_sgpr_private_segment_wavefront_offset 0
		.amdhsa_system_sgpr_workgroup_id_x 1
		.amdhsa_system_sgpr_workgroup_id_y 0
		.amdhsa_system_sgpr_workgroup_id_z 0
		.amdhsa_system_sgpr_workgroup_info 0
		.amdhsa_system_vgpr_workitem_id 0
		.amdhsa_next_free_vgpr 1
		.amdhsa_next_free_sgpr 0
		.amdhsa_accum_offset 4
		.amdhsa_reserve_vcc 0
		.amdhsa_reserve_flat_scratch 0
		.amdhsa_float_round_mode_32 0
		.amdhsa_float_round_mode_16_64 0
		.amdhsa_float_denorm_mode_32 3
		.amdhsa_float_denorm_mode_16_64 3
		.amdhsa_dx10_clamp 1
		.amdhsa_ieee_mode 1
		.amdhsa_fp16_overflow 0
		.amdhsa_tg_split 0
		.amdhsa_exception_fp_ieee_invalid_op 0
		.amdhsa_exception_fp_denorm_src 0
		.amdhsa_exception_fp_ieee_div_zero 0
		.amdhsa_exception_fp_ieee_overflow 0
		.amdhsa_exception_fp_ieee_underflow 0
		.amdhsa_exception_fp_ieee_inexact 0
		.amdhsa_exception_int_div_zero 0
	.end_amdhsa_kernel
	.section	.text._ZN7rocprim17ROCPRIM_400000_NS6detail17trampoline_kernelINS0_14default_configENS1_29reduce_by_key_config_selectorIxjN6thrust23THRUST_200600_302600_NS4plusIjEEEEZZNS1_33reduce_by_key_impl_wrapped_configILNS1_25lookback_scan_determinismE0ES3_S9_NS6_6detail15normal_iteratorINS6_10device_ptrIxEEEENSD_INSE_IjEEEESG_SI_PmS8_NS6_8equal_toIxEEEE10hipError_tPvRmT2_T3_mT4_T5_T6_T7_T8_P12ihipStream_tbENKUlT_T0_E_clISt17integral_constantIbLb1EES12_IbLb0EEEEDaSY_SZ_EUlSY_E_NS1_11comp_targetILNS1_3genE10ELNS1_11target_archE1200ELNS1_3gpuE4ELNS1_3repE0EEENS1_30default_config_static_selectorELNS0_4arch9wavefront6targetE1EEEvT1_,"axG",@progbits,_ZN7rocprim17ROCPRIM_400000_NS6detail17trampoline_kernelINS0_14default_configENS1_29reduce_by_key_config_selectorIxjN6thrust23THRUST_200600_302600_NS4plusIjEEEEZZNS1_33reduce_by_key_impl_wrapped_configILNS1_25lookback_scan_determinismE0ES3_S9_NS6_6detail15normal_iteratorINS6_10device_ptrIxEEEENSD_INSE_IjEEEESG_SI_PmS8_NS6_8equal_toIxEEEE10hipError_tPvRmT2_T3_mT4_T5_T6_T7_T8_P12ihipStream_tbENKUlT_T0_E_clISt17integral_constantIbLb1EES12_IbLb0EEEEDaSY_SZ_EUlSY_E_NS1_11comp_targetILNS1_3genE10ELNS1_11target_archE1200ELNS1_3gpuE4ELNS1_3repE0EEENS1_30default_config_static_selectorELNS0_4arch9wavefront6targetE1EEEvT1_,comdat
.Lfunc_end793:
	.size	_ZN7rocprim17ROCPRIM_400000_NS6detail17trampoline_kernelINS0_14default_configENS1_29reduce_by_key_config_selectorIxjN6thrust23THRUST_200600_302600_NS4plusIjEEEEZZNS1_33reduce_by_key_impl_wrapped_configILNS1_25lookback_scan_determinismE0ES3_S9_NS6_6detail15normal_iteratorINS6_10device_ptrIxEEEENSD_INSE_IjEEEESG_SI_PmS8_NS6_8equal_toIxEEEE10hipError_tPvRmT2_T3_mT4_T5_T6_T7_T8_P12ihipStream_tbENKUlT_T0_E_clISt17integral_constantIbLb1EES12_IbLb0EEEEDaSY_SZ_EUlSY_E_NS1_11comp_targetILNS1_3genE10ELNS1_11target_archE1200ELNS1_3gpuE4ELNS1_3repE0EEENS1_30default_config_static_selectorELNS0_4arch9wavefront6targetE1EEEvT1_, .Lfunc_end793-_ZN7rocprim17ROCPRIM_400000_NS6detail17trampoline_kernelINS0_14default_configENS1_29reduce_by_key_config_selectorIxjN6thrust23THRUST_200600_302600_NS4plusIjEEEEZZNS1_33reduce_by_key_impl_wrapped_configILNS1_25lookback_scan_determinismE0ES3_S9_NS6_6detail15normal_iteratorINS6_10device_ptrIxEEEENSD_INSE_IjEEEESG_SI_PmS8_NS6_8equal_toIxEEEE10hipError_tPvRmT2_T3_mT4_T5_T6_T7_T8_P12ihipStream_tbENKUlT_T0_E_clISt17integral_constantIbLb1EES12_IbLb0EEEEDaSY_SZ_EUlSY_E_NS1_11comp_targetILNS1_3genE10ELNS1_11target_archE1200ELNS1_3gpuE4ELNS1_3repE0EEENS1_30default_config_static_selectorELNS0_4arch9wavefront6targetE1EEEvT1_
                                        ; -- End function
	.section	.AMDGPU.csdata,"",@progbits
; Kernel info:
; codeLenInByte = 0
; NumSgprs: 4
; NumVgprs: 0
; NumAgprs: 0
; TotalNumVgprs: 0
; ScratchSize: 0
; MemoryBound: 0
; FloatMode: 240
; IeeeMode: 1
; LDSByteSize: 0 bytes/workgroup (compile time only)
; SGPRBlocks: 0
; VGPRBlocks: 0
; NumSGPRsForWavesPerEU: 4
; NumVGPRsForWavesPerEU: 1
; AccumOffset: 4
; Occupancy: 8
; WaveLimiterHint : 0
; COMPUTE_PGM_RSRC2:SCRATCH_EN: 0
; COMPUTE_PGM_RSRC2:USER_SGPR: 6
; COMPUTE_PGM_RSRC2:TRAP_HANDLER: 0
; COMPUTE_PGM_RSRC2:TGID_X_EN: 1
; COMPUTE_PGM_RSRC2:TGID_Y_EN: 0
; COMPUTE_PGM_RSRC2:TGID_Z_EN: 0
; COMPUTE_PGM_RSRC2:TIDIG_COMP_CNT: 0
; COMPUTE_PGM_RSRC3_GFX90A:ACCUM_OFFSET: 0
; COMPUTE_PGM_RSRC3_GFX90A:TG_SPLIT: 0
	.section	.text._ZN7rocprim17ROCPRIM_400000_NS6detail17trampoline_kernelINS0_14default_configENS1_29reduce_by_key_config_selectorIxjN6thrust23THRUST_200600_302600_NS4plusIjEEEEZZNS1_33reduce_by_key_impl_wrapped_configILNS1_25lookback_scan_determinismE0ES3_S9_NS6_6detail15normal_iteratorINS6_10device_ptrIxEEEENSD_INSE_IjEEEESG_SI_PmS8_NS6_8equal_toIxEEEE10hipError_tPvRmT2_T3_mT4_T5_T6_T7_T8_P12ihipStream_tbENKUlT_T0_E_clISt17integral_constantIbLb1EES12_IbLb0EEEEDaSY_SZ_EUlSY_E_NS1_11comp_targetILNS1_3genE9ELNS1_11target_archE1100ELNS1_3gpuE3ELNS1_3repE0EEENS1_30default_config_static_selectorELNS0_4arch9wavefront6targetE1EEEvT1_,"axG",@progbits,_ZN7rocprim17ROCPRIM_400000_NS6detail17trampoline_kernelINS0_14default_configENS1_29reduce_by_key_config_selectorIxjN6thrust23THRUST_200600_302600_NS4plusIjEEEEZZNS1_33reduce_by_key_impl_wrapped_configILNS1_25lookback_scan_determinismE0ES3_S9_NS6_6detail15normal_iteratorINS6_10device_ptrIxEEEENSD_INSE_IjEEEESG_SI_PmS8_NS6_8equal_toIxEEEE10hipError_tPvRmT2_T3_mT4_T5_T6_T7_T8_P12ihipStream_tbENKUlT_T0_E_clISt17integral_constantIbLb1EES12_IbLb0EEEEDaSY_SZ_EUlSY_E_NS1_11comp_targetILNS1_3genE9ELNS1_11target_archE1100ELNS1_3gpuE3ELNS1_3repE0EEENS1_30default_config_static_selectorELNS0_4arch9wavefront6targetE1EEEvT1_,comdat
	.protected	_ZN7rocprim17ROCPRIM_400000_NS6detail17trampoline_kernelINS0_14default_configENS1_29reduce_by_key_config_selectorIxjN6thrust23THRUST_200600_302600_NS4plusIjEEEEZZNS1_33reduce_by_key_impl_wrapped_configILNS1_25lookback_scan_determinismE0ES3_S9_NS6_6detail15normal_iteratorINS6_10device_ptrIxEEEENSD_INSE_IjEEEESG_SI_PmS8_NS6_8equal_toIxEEEE10hipError_tPvRmT2_T3_mT4_T5_T6_T7_T8_P12ihipStream_tbENKUlT_T0_E_clISt17integral_constantIbLb1EES12_IbLb0EEEEDaSY_SZ_EUlSY_E_NS1_11comp_targetILNS1_3genE9ELNS1_11target_archE1100ELNS1_3gpuE3ELNS1_3repE0EEENS1_30default_config_static_selectorELNS0_4arch9wavefront6targetE1EEEvT1_ ; -- Begin function _ZN7rocprim17ROCPRIM_400000_NS6detail17trampoline_kernelINS0_14default_configENS1_29reduce_by_key_config_selectorIxjN6thrust23THRUST_200600_302600_NS4plusIjEEEEZZNS1_33reduce_by_key_impl_wrapped_configILNS1_25lookback_scan_determinismE0ES3_S9_NS6_6detail15normal_iteratorINS6_10device_ptrIxEEEENSD_INSE_IjEEEESG_SI_PmS8_NS6_8equal_toIxEEEE10hipError_tPvRmT2_T3_mT4_T5_T6_T7_T8_P12ihipStream_tbENKUlT_T0_E_clISt17integral_constantIbLb1EES12_IbLb0EEEEDaSY_SZ_EUlSY_E_NS1_11comp_targetILNS1_3genE9ELNS1_11target_archE1100ELNS1_3gpuE3ELNS1_3repE0EEENS1_30default_config_static_selectorELNS0_4arch9wavefront6targetE1EEEvT1_
	.globl	_ZN7rocprim17ROCPRIM_400000_NS6detail17trampoline_kernelINS0_14default_configENS1_29reduce_by_key_config_selectorIxjN6thrust23THRUST_200600_302600_NS4plusIjEEEEZZNS1_33reduce_by_key_impl_wrapped_configILNS1_25lookback_scan_determinismE0ES3_S9_NS6_6detail15normal_iteratorINS6_10device_ptrIxEEEENSD_INSE_IjEEEESG_SI_PmS8_NS6_8equal_toIxEEEE10hipError_tPvRmT2_T3_mT4_T5_T6_T7_T8_P12ihipStream_tbENKUlT_T0_E_clISt17integral_constantIbLb1EES12_IbLb0EEEEDaSY_SZ_EUlSY_E_NS1_11comp_targetILNS1_3genE9ELNS1_11target_archE1100ELNS1_3gpuE3ELNS1_3repE0EEENS1_30default_config_static_selectorELNS0_4arch9wavefront6targetE1EEEvT1_
	.p2align	8
	.type	_ZN7rocprim17ROCPRIM_400000_NS6detail17trampoline_kernelINS0_14default_configENS1_29reduce_by_key_config_selectorIxjN6thrust23THRUST_200600_302600_NS4plusIjEEEEZZNS1_33reduce_by_key_impl_wrapped_configILNS1_25lookback_scan_determinismE0ES3_S9_NS6_6detail15normal_iteratorINS6_10device_ptrIxEEEENSD_INSE_IjEEEESG_SI_PmS8_NS6_8equal_toIxEEEE10hipError_tPvRmT2_T3_mT4_T5_T6_T7_T8_P12ihipStream_tbENKUlT_T0_E_clISt17integral_constantIbLb1EES12_IbLb0EEEEDaSY_SZ_EUlSY_E_NS1_11comp_targetILNS1_3genE9ELNS1_11target_archE1100ELNS1_3gpuE3ELNS1_3repE0EEENS1_30default_config_static_selectorELNS0_4arch9wavefront6targetE1EEEvT1_,@function
_ZN7rocprim17ROCPRIM_400000_NS6detail17trampoline_kernelINS0_14default_configENS1_29reduce_by_key_config_selectorIxjN6thrust23THRUST_200600_302600_NS4plusIjEEEEZZNS1_33reduce_by_key_impl_wrapped_configILNS1_25lookback_scan_determinismE0ES3_S9_NS6_6detail15normal_iteratorINS6_10device_ptrIxEEEENSD_INSE_IjEEEESG_SI_PmS8_NS6_8equal_toIxEEEE10hipError_tPvRmT2_T3_mT4_T5_T6_T7_T8_P12ihipStream_tbENKUlT_T0_E_clISt17integral_constantIbLb1EES12_IbLb0EEEEDaSY_SZ_EUlSY_E_NS1_11comp_targetILNS1_3genE9ELNS1_11target_archE1100ELNS1_3gpuE3ELNS1_3repE0EEENS1_30default_config_static_selectorELNS0_4arch9wavefront6targetE1EEEvT1_: ; @_ZN7rocprim17ROCPRIM_400000_NS6detail17trampoline_kernelINS0_14default_configENS1_29reduce_by_key_config_selectorIxjN6thrust23THRUST_200600_302600_NS4plusIjEEEEZZNS1_33reduce_by_key_impl_wrapped_configILNS1_25lookback_scan_determinismE0ES3_S9_NS6_6detail15normal_iteratorINS6_10device_ptrIxEEEENSD_INSE_IjEEEESG_SI_PmS8_NS6_8equal_toIxEEEE10hipError_tPvRmT2_T3_mT4_T5_T6_T7_T8_P12ihipStream_tbENKUlT_T0_E_clISt17integral_constantIbLb1EES12_IbLb0EEEEDaSY_SZ_EUlSY_E_NS1_11comp_targetILNS1_3genE9ELNS1_11target_archE1100ELNS1_3gpuE3ELNS1_3repE0EEENS1_30default_config_static_selectorELNS0_4arch9wavefront6targetE1EEEvT1_
; %bb.0:
	.section	.rodata,"a",@progbits
	.p2align	6, 0x0
	.amdhsa_kernel _ZN7rocprim17ROCPRIM_400000_NS6detail17trampoline_kernelINS0_14default_configENS1_29reduce_by_key_config_selectorIxjN6thrust23THRUST_200600_302600_NS4plusIjEEEEZZNS1_33reduce_by_key_impl_wrapped_configILNS1_25lookback_scan_determinismE0ES3_S9_NS6_6detail15normal_iteratorINS6_10device_ptrIxEEEENSD_INSE_IjEEEESG_SI_PmS8_NS6_8equal_toIxEEEE10hipError_tPvRmT2_T3_mT4_T5_T6_T7_T8_P12ihipStream_tbENKUlT_T0_E_clISt17integral_constantIbLb1EES12_IbLb0EEEEDaSY_SZ_EUlSY_E_NS1_11comp_targetILNS1_3genE9ELNS1_11target_archE1100ELNS1_3gpuE3ELNS1_3repE0EEENS1_30default_config_static_selectorELNS0_4arch9wavefront6targetE1EEEvT1_
		.amdhsa_group_segment_fixed_size 0
		.amdhsa_private_segment_fixed_size 0
		.amdhsa_kernarg_size 120
		.amdhsa_user_sgpr_count 6
		.amdhsa_user_sgpr_private_segment_buffer 1
		.amdhsa_user_sgpr_dispatch_ptr 0
		.amdhsa_user_sgpr_queue_ptr 0
		.amdhsa_user_sgpr_kernarg_segment_ptr 1
		.amdhsa_user_sgpr_dispatch_id 0
		.amdhsa_user_sgpr_flat_scratch_init 0
		.amdhsa_user_sgpr_kernarg_preload_length 0
		.amdhsa_user_sgpr_kernarg_preload_offset 0
		.amdhsa_user_sgpr_private_segment_size 0
		.amdhsa_uses_dynamic_stack 0
		.amdhsa_system_sgpr_private_segment_wavefront_offset 0
		.amdhsa_system_sgpr_workgroup_id_x 1
		.amdhsa_system_sgpr_workgroup_id_y 0
		.amdhsa_system_sgpr_workgroup_id_z 0
		.amdhsa_system_sgpr_workgroup_info 0
		.amdhsa_system_vgpr_workitem_id 0
		.amdhsa_next_free_vgpr 1
		.amdhsa_next_free_sgpr 0
		.amdhsa_accum_offset 4
		.amdhsa_reserve_vcc 0
		.amdhsa_reserve_flat_scratch 0
		.amdhsa_float_round_mode_32 0
		.amdhsa_float_round_mode_16_64 0
		.amdhsa_float_denorm_mode_32 3
		.amdhsa_float_denorm_mode_16_64 3
		.amdhsa_dx10_clamp 1
		.amdhsa_ieee_mode 1
		.amdhsa_fp16_overflow 0
		.amdhsa_tg_split 0
		.amdhsa_exception_fp_ieee_invalid_op 0
		.amdhsa_exception_fp_denorm_src 0
		.amdhsa_exception_fp_ieee_div_zero 0
		.amdhsa_exception_fp_ieee_overflow 0
		.amdhsa_exception_fp_ieee_underflow 0
		.amdhsa_exception_fp_ieee_inexact 0
		.amdhsa_exception_int_div_zero 0
	.end_amdhsa_kernel
	.section	.text._ZN7rocprim17ROCPRIM_400000_NS6detail17trampoline_kernelINS0_14default_configENS1_29reduce_by_key_config_selectorIxjN6thrust23THRUST_200600_302600_NS4plusIjEEEEZZNS1_33reduce_by_key_impl_wrapped_configILNS1_25lookback_scan_determinismE0ES3_S9_NS6_6detail15normal_iteratorINS6_10device_ptrIxEEEENSD_INSE_IjEEEESG_SI_PmS8_NS6_8equal_toIxEEEE10hipError_tPvRmT2_T3_mT4_T5_T6_T7_T8_P12ihipStream_tbENKUlT_T0_E_clISt17integral_constantIbLb1EES12_IbLb0EEEEDaSY_SZ_EUlSY_E_NS1_11comp_targetILNS1_3genE9ELNS1_11target_archE1100ELNS1_3gpuE3ELNS1_3repE0EEENS1_30default_config_static_selectorELNS0_4arch9wavefront6targetE1EEEvT1_,"axG",@progbits,_ZN7rocprim17ROCPRIM_400000_NS6detail17trampoline_kernelINS0_14default_configENS1_29reduce_by_key_config_selectorIxjN6thrust23THRUST_200600_302600_NS4plusIjEEEEZZNS1_33reduce_by_key_impl_wrapped_configILNS1_25lookback_scan_determinismE0ES3_S9_NS6_6detail15normal_iteratorINS6_10device_ptrIxEEEENSD_INSE_IjEEEESG_SI_PmS8_NS6_8equal_toIxEEEE10hipError_tPvRmT2_T3_mT4_T5_T6_T7_T8_P12ihipStream_tbENKUlT_T0_E_clISt17integral_constantIbLb1EES12_IbLb0EEEEDaSY_SZ_EUlSY_E_NS1_11comp_targetILNS1_3genE9ELNS1_11target_archE1100ELNS1_3gpuE3ELNS1_3repE0EEENS1_30default_config_static_selectorELNS0_4arch9wavefront6targetE1EEEvT1_,comdat
.Lfunc_end794:
	.size	_ZN7rocprim17ROCPRIM_400000_NS6detail17trampoline_kernelINS0_14default_configENS1_29reduce_by_key_config_selectorIxjN6thrust23THRUST_200600_302600_NS4plusIjEEEEZZNS1_33reduce_by_key_impl_wrapped_configILNS1_25lookback_scan_determinismE0ES3_S9_NS6_6detail15normal_iteratorINS6_10device_ptrIxEEEENSD_INSE_IjEEEESG_SI_PmS8_NS6_8equal_toIxEEEE10hipError_tPvRmT2_T3_mT4_T5_T6_T7_T8_P12ihipStream_tbENKUlT_T0_E_clISt17integral_constantIbLb1EES12_IbLb0EEEEDaSY_SZ_EUlSY_E_NS1_11comp_targetILNS1_3genE9ELNS1_11target_archE1100ELNS1_3gpuE3ELNS1_3repE0EEENS1_30default_config_static_selectorELNS0_4arch9wavefront6targetE1EEEvT1_, .Lfunc_end794-_ZN7rocprim17ROCPRIM_400000_NS6detail17trampoline_kernelINS0_14default_configENS1_29reduce_by_key_config_selectorIxjN6thrust23THRUST_200600_302600_NS4plusIjEEEEZZNS1_33reduce_by_key_impl_wrapped_configILNS1_25lookback_scan_determinismE0ES3_S9_NS6_6detail15normal_iteratorINS6_10device_ptrIxEEEENSD_INSE_IjEEEESG_SI_PmS8_NS6_8equal_toIxEEEE10hipError_tPvRmT2_T3_mT4_T5_T6_T7_T8_P12ihipStream_tbENKUlT_T0_E_clISt17integral_constantIbLb1EES12_IbLb0EEEEDaSY_SZ_EUlSY_E_NS1_11comp_targetILNS1_3genE9ELNS1_11target_archE1100ELNS1_3gpuE3ELNS1_3repE0EEENS1_30default_config_static_selectorELNS0_4arch9wavefront6targetE1EEEvT1_
                                        ; -- End function
	.section	.AMDGPU.csdata,"",@progbits
; Kernel info:
; codeLenInByte = 0
; NumSgprs: 4
; NumVgprs: 0
; NumAgprs: 0
; TotalNumVgprs: 0
; ScratchSize: 0
; MemoryBound: 0
; FloatMode: 240
; IeeeMode: 1
; LDSByteSize: 0 bytes/workgroup (compile time only)
; SGPRBlocks: 0
; VGPRBlocks: 0
; NumSGPRsForWavesPerEU: 4
; NumVGPRsForWavesPerEU: 1
; AccumOffset: 4
; Occupancy: 8
; WaveLimiterHint : 0
; COMPUTE_PGM_RSRC2:SCRATCH_EN: 0
; COMPUTE_PGM_RSRC2:USER_SGPR: 6
; COMPUTE_PGM_RSRC2:TRAP_HANDLER: 0
; COMPUTE_PGM_RSRC2:TGID_X_EN: 1
; COMPUTE_PGM_RSRC2:TGID_Y_EN: 0
; COMPUTE_PGM_RSRC2:TGID_Z_EN: 0
; COMPUTE_PGM_RSRC2:TIDIG_COMP_CNT: 0
; COMPUTE_PGM_RSRC3_GFX90A:ACCUM_OFFSET: 0
; COMPUTE_PGM_RSRC3_GFX90A:TG_SPLIT: 0
	.section	.text._ZN7rocprim17ROCPRIM_400000_NS6detail17trampoline_kernelINS0_14default_configENS1_29reduce_by_key_config_selectorIxjN6thrust23THRUST_200600_302600_NS4plusIjEEEEZZNS1_33reduce_by_key_impl_wrapped_configILNS1_25lookback_scan_determinismE0ES3_S9_NS6_6detail15normal_iteratorINS6_10device_ptrIxEEEENSD_INSE_IjEEEESG_SI_PmS8_NS6_8equal_toIxEEEE10hipError_tPvRmT2_T3_mT4_T5_T6_T7_T8_P12ihipStream_tbENKUlT_T0_E_clISt17integral_constantIbLb1EES12_IbLb0EEEEDaSY_SZ_EUlSY_E_NS1_11comp_targetILNS1_3genE8ELNS1_11target_archE1030ELNS1_3gpuE2ELNS1_3repE0EEENS1_30default_config_static_selectorELNS0_4arch9wavefront6targetE1EEEvT1_,"axG",@progbits,_ZN7rocprim17ROCPRIM_400000_NS6detail17trampoline_kernelINS0_14default_configENS1_29reduce_by_key_config_selectorIxjN6thrust23THRUST_200600_302600_NS4plusIjEEEEZZNS1_33reduce_by_key_impl_wrapped_configILNS1_25lookback_scan_determinismE0ES3_S9_NS6_6detail15normal_iteratorINS6_10device_ptrIxEEEENSD_INSE_IjEEEESG_SI_PmS8_NS6_8equal_toIxEEEE10hipError_tPvRmT2_T3_mT4_T5_T6_T7_T8_P12ihipStream_tbENKUlT_T0_E_clISt17integral_constantIbLb1EES12_IbLb0EEEEDaSY_SZ_EUlSY_E_NS1_11comp_targetILNS1_3genE8ELNS1_11target_archE1030ELNS1_3gpuE2ELNS1_3repE0EEENS1_30default_config_static_selectorELNS0_4arch9wavefront6targetE1EEEvT1_,comdat
	.protected	_ZN7rocprim17ROCPRIM_400000_NS6detail17trampoline_kernelINS0_14default_configENS1_29reduce_by_key_config_selectorIxjN6thrust23THRUST_200600_302600_NS4plusIjEEEEZZNS1_33reduce_by_key_impl_wrapped_configILNS1_25lookback_scan_determinismE0ES3_S9_NS6_6detail15normal_iteratorINS6_10device_ptrIxEEEENSD_INSE_IjEEEESG_SI_PmS8_NS6_8equal_toIxEEEE10hipError_tPvRmT2_T3_mT4_T5_T6_T7_T8_P12ihipStream_tbENKUlT_T0_E_clISt17integral_constantIbLb1EES12_IbLb0EEEEDaSY_SZ_EUlSY_E_NS1_11comp_targetILNS1_3genE8ELNS1_11target_archE1030ELNS1_3gpuE2ELNS1_3repE0EEENS1_30default_config_static_selectorELNS0_4arch9wavefront6targetE1EEEvT1_ ; -- Begin function _ZN7rocprim17ROCPRIM_400000_NS6detail17trampoline_kernelINS0_14default_configENS1_29reduce_by_key_config_selectorIxjN6thrust23THRUST_200600_302600_NS4plusIjEEEEZZNS1_33reduce_by_key_impl_wrapped_configILNS1_25lookback_scan_determinismE0ES3_S9_NS6_6detail15normal_iteratorINS6_10device_ptrIxEEEENSD_INSE_IjEEEESG_SI_PmS8_NS6_8equal_toIxEEEE10hipError_tPvRmT2_T3_mT4_T5_T6_T7_T8_P12ihipStream_tbENKUlT_T0_E_clISt17integral_constantIbLb1EES12_IbLb0EEEEDaSY_SZ_EUlSY_E_NS1_11comp_targetILNS1_3genE8ELNS1_11target_archE1030ELNS1_3gpuE2ELNS1_3repE0EEENS1_30default_config_static_selectorELNS0_4arch9wavefront6targetE1EEEvT1_
	.globl	_ZN7rocprim17ROCPRIM_400000_NS6detail17trampoline_kernelINS0_14default_configENS1_29reduce_by_key_config_selectorIxjN6thrust23THRUST_200600_302600_NS4plusIjEEEEZZNS1_33reduce_by_key_impl_wrapped_configILNS1_25lookback_scan_determinismE0ES3_S9_NS6_6detail15normal_iteratorINS6_10device_ptrIxEEEENSD_INSE_IjEEEESG_SI_PmS8_NS6_8equal_toIxEEEE10hipError_tPvRmT2_T3_mT4_T5_T6_T7_T8_P12ihipStream_tbENKUlT_T0_E_clISt17integral_constantIbLb1EES12_IbLb0EEEEDaSY_SZ_EUlSY_E_NS1_11comp_targetILNS1_3genE8ELNS1_11target_archE1030ELNS1_3gpuE2ELNS1_3repE0EEENS1_30default_config_static_selectorELNS0_4arch9wavefront6targetE1EEEvT1_
	.p2align	8
	.type	_ZN7rocprim17ROCPRIM_400000_NS6detail17trampoline_kernelINS0_14default_configENS1_29reduce_by_key_config_selectorIxjN6thrust23THRUST_200600_302600_NS4plusIjEEEEZZNS1_33reduce_by_key_impl_wrapped_configILNS1_25lookback_scan_determinismE0ES3_S9_NS6_6detail15normal_iteratorINS6_10device_ptrIxEEEENSD_INSE_IjEEEESG_SI_PmS8_NS6_8equal_toIxEEEE10hipError_tPvRmT2_T3_mT4_T5_T6_T7_T8_P12ihipStream_tbENKUlT_T0_E_clISt17integral_constantIbLb1EES12_IbLb0EEEEDaSY_SZ_EUlSY_E_NS1_11comp_targetILNS1_3genE8ELNS1_11target_archE1030ELNS1_3gpuE2ELNS1_3repE0EEENS1_30default_config_static_selectorELNS0_4arch9wavefront6targetE1EEEvT1_,@function
_ZN7rocprim17ROCPRIM_400000_NS6detail17trampoline_kernelINS0_14default_configENS1_29reduce_by_key_config_selectorIxjN6thrust23THRUST_200600_302600_NS4plusIjEEEEZZNS1_33reduce_by_key_impl_wrapped_configILNS1_25lookback_scan_determinismE0ES3_S9_NS6_6detail15normal_iteratorINS6_10device_ptrIxEEEENSD_INSE_IjEEEESG_SI_PmS8_NS6_8equal_toIxEEEE10hipError_tPvRmT2_T3_mT4_T5_T6_T7_T8_P12ihipStream_tbENKUlT_T0_E_clISt17integral_constantIbLb1EES12_IbLb0EEEEDaSY_SZ_EUlSY_E_NS1_11comp_targetILNS1_3genE8ELNS1_11target_archE1030ELNS1_3gpuE2ELNS1_3repE0EEENS1_30default_config_static_selectorELNS0_4arch9wavefront6targetE1EEEvT1_: ; @_ZN7rocprim17ROCPRIM_400000_NS6detail17trampoline_kernelINS0_14default_configENS1_29reduce_by_key_config_selectorIxjN6thrust23THRUST_200600_302600_NS4plusIjEEEEZZNS1_33reduce_by_key_impl_wrapped_configILNS1_25lookback_scan_determinismE0ES3_S9_NS6_6detail15normal_iteratorINS6_10device_ptrIxEEEENSD_INSE_IjEEEESG_SI_PmS8_NS6_8equal_toIxEEEE10hipError_tPvRmT2_T3_mT4_T5_T6_T7_T8_P12ihipStream_tbENKUlT_T0_E_clISt17integral_constantIbLb1EES12_IbLb0EEEEDaSY_SZ_EUlSY_E_NS1_11comp_targetILNS1_3genE8ELNS1_11target_archE1030ELNS1_3gpuE2ELNS1_3repE0EEENS1_30default_config_static_selectorELNS0_4arch9wavefront6targetE1EEEvT1_
; %bb.0:
	.section	.rodata,"a",@progbits
	.p2align	6, 0x0
	.amdhsa_kernel _ZN7rocprim17ROCPRIM_400000_NS6detail17trampoline_kernelINS0_14default_configENS1_29reduce_by_key_config_selectorIxjN6thrust23THRUST_200600_302600_NS4plusIjEEEEZZNS1_33reduce_by_key_impl_wrapped_configILNS1_25lookback_scan_determinismE0ES3_S9_NS6_6detail15normal_iteratorINS6_10device_ptrIxEEEENSD_INSE_IjEEEESG_SI_PmS8_NS6_8equal_toIxEEEE10hipError_tPvRmT2_T3_mT4_T5_T6_T7_T8_P12ihipStream_tbENKUlT_T0_E_clISt17integral_constantIbLb1EES12_IbLb0EEEEDaSY_SZ_EUlSY_E_NS1_11comp_targetILNS1_3genE8ELNS1_11target_archE1030ELNS1_3gpuE2ELNS1_3repE0EEENS1_30default_config_static_selectorELNS0_4arch9wavefront6targetE1EEEvT1_
		.amdhsa_group_segment_fixed_size 0
		.amdhsa_private_segment_fixed_size 0
		.amdhsa_kernarg_size 120
		.amdhsa_user_sgpr_count 6
		.amdhsa_user_sgpr_private_segment_buffer 1
		.amdhsa_user_sgpr_dispatch_ptr 0
		.amdhsa_user_sgpr_queue_ptr 0
		.amdhsa_user_sgpr_kernarg_segment_ptr 1
		.amdhsa_user_sgpr_dispatch_id 0
		.amdhsa_user_sgpr_flat_scratch_init 0
		.amdhsa_user_sgpr_kernarg_preload_length 0
		.amdhsa_user_sgpr_kernarg_preload_offset 0
		.amdhsa_user_sgpr_private_segment_size 0
		.amdhsa_uses_dynamic_stack 0
		.amdhsa_system_sgpr_private_segment_wavefront_offset 0
		.amdhsa_system_sgpr_workgroup_id_x 1
		.amdhsa_system_sgpr_workgroup_id_y 0
		.amdhsa_system_sgpr_workgroup_id_z 0
		.amdhsa_system_sgpr_workgroup_info 0
		.amdhsa_system_vgpr_workitem_id 0
		.amdhsa_next_free_vgpr 1
		.amdhsa_next_free_sgpr 0
		.amdhsa_accum_offset 4
		.amdhsa_reserve_vcc 0
		.amdhsa_reserve_flat_scratch 0
		.amdhsa_float_round_mode_32 0
		.amdhsa_float_round_mode_16_64 0
		.amdhsa_float_denorm_mode_32 3
		.amdhsa_float_denorm_mode_16_64 3
		.amdhsa_dx10_clamp 1
		.amdhsa_ieee_mode 1
		.amdhsa_fp16_overflow 0
		.amdhsa_tg_split 0
		.amdhsa_exception_fp_ieee_invalid_op 0
		.amdhsa_exception_fp_denorm_src 0
		.amdhsa_exception_fp_ieee_div_zero 0
		.amdhsa_exception_fp_ieee_overflow 0
		.amdhsa_exception_fp_ieee_underflow 0
		.amdhsa_exception_fp_ieee_inexact 0
		.amdhsa_exception_int_div_zero 0
	.end_amdhsa_kernel
	.section	.text._ZN7rocprim17ROCPRIM_400000_NS6detail17trampoline_kernelINS0_14default_configENS1_29reduce_by_key_config_selectorIxjN6thrust23THRUST_200600_302600_NS4plusIjEEEEZZNS1_33reduce_by_key_impl_wrapped_configILNS1_25lookback_scan_determinismE0ES3_S9_NS6_6detail15normal_iteratorINS6_10device_ptrIxEEEENSD_INSE_IjEEEESG_SI_PmS8_NS6_8equal_toIxEEEE10hipError_tPvRmT2_T3_mT4_T5_T6_T7_T8_P12ihipStream_tbENKUlT_T0_E_clISt17integral_constantIbLb1EES12_IbLb0EEEEDaSY_SZ_EUlSY_E_NS1_11comp_targetILNS1_3genE8ELNS1_11target_archE1030ELNS1_3gpuE2ELNS1_3repE0EEENS1_30default_config_static_selectorELNS0_4arch9wavefront6targetE1EEEvT1_,"axG",@progbits,_ZN7rocprim17ROCPRIM_400000_NS6detail17trampoline_kernelINS0_14default_configENS1_29reduce_by_key_config_selectorIxjN6thrust23THRUST_200600_302600_NS4plusIjEEEEZZNS1_33reduce_by_key_impl_wrapped_configILNS1_25lookback_scan_determinismE0ES3_S9_NS6_6detail15normal_iteratorINS6_10device_ptrIxEEEENSD_INSE_IjEEEESG_SI_PmS8_NS6_8equal_toIxEEEE10hipError_tPvRmT2_T3_mT4_T5_T6_T7_T8_P12ihipStream_tbENKUlT_T0_E_clISt17integral_constantIbLb1EES12_IbLb0EEEEDaSY_SZ_EUlSY_E_NS1_11comp_targetILNS1_3genE8ELNS1_11target_archE1030ELNS1_3gpuE2ELNS1_3repE0EEENS1_30default_config_static_selectorELNS0_4arch9wavefront6targetE1EEEvT1_,comdat
.Lfunc_end795:
	.size	_ZN7rocprim17ROCPRIM_400000_NS6detail17trampoline_kernelINS0_14default_configENS1_29reduce_by_key_config_selectorIxjN6thrust23THRUST_200600_302600_NS4plusIjEEEEZZNS1_33reduce_by_key_impl_wrapped_configILNS1_25lookback_scan_determinismE0ES3_S9_NS6_6detail15normal_iteratorINS6_10device_ptrIxEEEENSD_INSE_IjEEEESG_SI_PmS8_NS6_8equal_toIxEEEE10hipError_tPvRmT2_T3_mT4_T5_T6_T7_T8_P12ihipStream_tbENKUlT_T0_E_clISt17integral_constantIbLb1EES12_IbLb0EEEEDaSY_SZ_EUlSY_E_NS1_11comp_targetILNS1_3genE8ELNS1_11target_archE1030ELNS1_3gpuE2ELNS1_3repE0EEENS1_30default_config_static_selectorELNS0_4arch9wavefront6targetE1EEEvT1_, .Lfunc_end795-_ZN7rocprim17ROCPRIM_400000_NS6detail17trampoline_kernelINS0_14default_configENS1_29reduce_by_key_config_selectorIxjN6thrust23THRUST_200600_302600_NS4plusIjEEEEZZNS1_33reduce_by_key_impl_wrapped_configILNS1_25lookback_scan_determinismE0ES3_S9_NS6_6detail15normal_iteratorINS6_10device_ptrIxEEEENSD_INSE_IjEEEESG_SI_PmS8_NS6_8equal_toIxEEEE10hipError_tPvRmT2_T3_mT4_T5_T6_T7_T8_P12ihipStream_tbENKUlT_T0_E_clISt17integral_constantIbLb1EES12_IbLb0EEEEDaSY_SZ_EUlSY_E_NS1_11comp_targetILNS1_3genE8ELNS1_11target_archE1030ELNS1_3gpuE2ELNS1_3repE0EEENS1_30default_config_static_selectorELNS0_4arch9wavefront6targetE1EEEvT1_
                                        ; -- End function
	.section	.AMDGPU.csdata,"",@progbits
; Kernel info:
; codeLenInByte = 0
; NumSgprs: 4
; NumVgprs: 0
; NumAgprs: 0
; TotalNumVgprs: 0
; ScratchSize: 0
; MemoryBound: 0
; FloatMode: 240
; IeeeMode: 1
; LDSByteSize: 0 bytes/workgroup (compile time only)
; SGPRBlocks: 0
; VGPRBlocks: 0
; NumSGPRsForWavesPerEU: 4
; NumVGPRsForWavesPerEU: 1
; AccumOffset: 4
; Occupancy: 8
; WaveLimiterHint : 0
; COMPUTE_PGM_RSRC2:SCRATCH_EN: 0
; COMPUTE_PGM_RSRC2:USER_SGPR: 6
; COMPUTE_PGM_RSRC2:TRAP_HANDLER: 0
; COMPUTE_PGM_RSRC2:TGID_X_EN: 1
; COMPUTE_PGM_RSRC2:TGID_Y_EN: 0
; COMPUTE_PGM_RSRC2:TGID_Z_EN: 0
; COMPUTE_PGM_RSRC2:TIDIG_COMP_CNT: 0
; COMPUTE_PGM_RSRC3_GFX90A:ACCUM_OFFSET: 0
; COMPUTE_PGM_RSRC3_GFX90A:TG_SPLIT: 0
	.section	.text._ZN7rocprim17ROCPRIM_400000_NS6detail17trampoline_kernelINS0_14default_configENS1_29reduce_by_key_config_selectorIxjN6thrust23THRUST_200600_302600_NS4plusIjEEEEZZNS1_33reduce_by_key_impl_wrapped_configILNS1_25lookback_scan_determinismE0ES3_S9_NS6_6detail15normal_iteratorINS6_10device_ptrIxEEEENSD_INSE_IjEEEESG_SI_PmS8_NS6_8equal_toIxEEEE10hipError_tPvRmT2_T3_mT4_T5_T6_T7_T8_P12ihipStream_tbENKUlT_T0_E_clISt17integral_constantIbLb0EES12_IbLb1EEEEDaSY_SZ_EUlSY_E_NS1_11comp_targetILNS1_3genE0ELNS1_11target_archE4294967295ELNS1_3gpuE0ELNS1_3repE0EEENS1_30default_config_static_selectorELNS0_4arch9wavefront6targetE1EEEvT1_,"axG",@progbits,_ZN7rocprim17ROCPRIM_400000_NS6detail17trampoline_kernelINS0_14default_configENS1_29reduce_by_key_config_selectorIxjN6thrust23THRUST_200600_302600_NS4plusIjEEEEZZNS1_33reduce_by_key_impl_wrapped_configILNS1_25lookback_scan_determinismE0ES3_S9_NS6_6detail15normal_iteratorINS6_10device_ptrIxEEEENSD_INSE_IjEEEESG_SI_PmS8_NS6_8equal_toIxEEEE10hipError_tPvRmT2_T3_mT4_T5_T6_T7_T8_P12ihipStream_tbENKUlT_T0_E_clISt17integral_constantIbLb0EES12_IbLb1EEEEDaSY_SZ_EUlSY_E_NS1_11comp_targetILNS1_3genE0ELNS1_11target_archE4294967295ELNS1_3gpuE0ELNS1_3repE0EEENS1_30default_config_static_selectorELNS0_4arch9wavefront6targetE1EEEvT1_,comdat
	.protected	_ZN7rocprim17ROCPRIM_400000_NS6detail17trampoline_kernelINS0_14default_configENS1_29reduce_by_key_config_selectorIxjN6thrust23THRUST_200600_302600_NS4plusIjEEEEZZNS1_33reduce_by_key_impl_wrapped_configILNS1_25lookback_scan_determinismE0ES3_S9_NS6_6detail15normal_iteratorINS6_10device_ptrIxEEEENSD_INSE_IjEEEESG_SI_PmS8_NS6_8equal_toIxEEEE10hipError_tPvRmT2_T3_mT4_T5_T6_T7_T8_P12ihipStream_tbENKUlT_T0_E_clISt17integral_constantIbLb0EES12_IbLb1EEEEDaSY_SZ_EUlSY_E_NS1_11comp_targetILNS1_3genE0ELNS1_11target_archE4294967295ELNS1_3gpuE0ELNS1_3repE0EEENS1_30default_config_static_selectorELNS0_4arch9wavefront6targetE1EEEvT1_ ; -- Begin function _ZN7rocprim17ROCPRIM_400000_NS6detail17trampoline_kernelINS0_14default_configENS1_29reduce_by_key_config_selectorIxjN6thrust23THRUST_200600_302600_NS4plusIjEEEEZZNS1_33reduce_by_key_impl_wrapped_configILNS1_25lookback_scan_determinismE0ES3_S9_NS6_6detail15normal_iteratorINS6_10device_ptrIxEEEENSD_INSE_IjEEEESG_SI_PmS8_NS6_8equal_toIxEEEE10hipError_tPvRmT2_T3_mT4_T5_T6_T7_T8_P12ihipStream_tbENKUlT_T0_E_clISt17integral_constantIbLb0EES12_IbLb1EEEEDaSY_SZ_EUlSY_E_NS1_11comp_targetILNS1_3genE0ELNS1_11target_archE4294967295ELNS1_3gpuE0ELNS1_3repE0EEENS1_30default_config_static_selectorELNS0_4arch9wavefront6targetE1EEEvT1_
	.globl	_ZN7rocprim17ROCPRIM_400000_NS6detail17trampoline_kernelINS0_14default_configENS1_29reduce_by_key_config_selectorIxjN6thrust23THRUST_200600_302600_NS4plusIjEEEEZZNS1_33reduce_by_key_impl_wrapped_configILNS1_25lookback_scan_determinismE0ES3_S9_NS6_6detail15normal_iteratorINS6_10device_ptrIxEEEENSD_INSE_IjEEEESG_SI_PmS8_NS6_8equal_toIxEEEE10hipError_tPvRmT2_T3_mT4_T5_T6_T7_T8_P12ihipStream_tbENKUlT_T0_E_clISt17integral_constantIbLb0EES12_IbLb1EEEEDaSY_SZ_EUlSY_E_NS1_11comp_targetILNS1_3genE0ELNS1_11target_archE4294967295ELNS1_3gpuE0ELNS1_3repE0EEENS1_30default_config_static_selectorELNS0_4arch9wavefront6targetE1EEEvT1_
	.p2align	8
	.type	_ZN7rocprim17ROCPRIM_400000_NS6detail17trampoline_kernelINS0_14default_configENS1_29reduce_by_key_config_selectorIxjN6thrust23THRUST_200600_302600_NS4plusIjEEEEZZNS1_33reduce_by_key_impl_wrapped_configILNS1_25lookback_scan_determinismE0ES3_S9_NS6_6detail15normal_iteratorINS6_10device_ptrIxEEEENSD_INSE_IjEEEESG_SI_PmS8_NS6_8equal_toIxEEEE10hipError_tPvRmT2_T3_mT4_T5_T6_T7_T8_P12ihipStream_tbENKUlT_T0_E_clISt17integral_constantIbLb0EES12_IbLb1EEEEDaSY_SZ_EUlSY_E_NS1_11comp_targetILNS1_3genE0ELNS1_11target_archE4294967295ELNS1_3gpuE0ELNS1_3repE0EEENS1_30default_config_static_selectorELNS0_4arch9wavefront6targetE1EEEvT1_,@function
_ZN7rocprim17ROCPRIM_400000_NS6detail17trampoline_kernelINS0_14default_configENS1_29reduce_by_key_config_selectorIxjN6thrust23THRUST_200600_302600_NS4plusIjEEEEZZNS1_33reduce_by_key_impl_wrapped_configILNS1_25lookback_scan_determinismE0ES3_S9_NS6_6detail15normal_iteratorINS6_10device_ptrIxEEEENSD_INSE_IjEEEESG_SI_PmS8_NS6_8equal_toIxEEEE10hipError_tPvRmT2_T3_mT4_T5_T6_T7_T8_P12ihipStream_tbENKUlT_T0_E_clISt17integral_constantIbLb0EES12_IbLb1EEEEDaSY_SZ_EUlSY_E_NS1_11comp_targetILNS1_3genE0ELNS1_11target_archE4294967295ELNS1_3gpuE0ELNS1_3repE0EEENS1_30default_config_static_selectorELNS0_4arch9wavefront6targetE1EEEvT1_: ; @_ZN7rocprim17ROCPRIM_400000_NS6detail17trampoline_kernelINS0_14default_configENS1_29reduce_by_key_config_selectorIxjN6thrust23THRUST_200600_302600_NS4plusIjEEEEZZNS1_33reduce_by_key_impl_wrapped_configILNS1_25lookback_scan_determinismE0ES3_S9_NS6_6detail15normal_iteratorINS6_10device_ptrIxEEEENSD_INSE_IjEEEESG_SI_PmS8_NS6_8equal_toIxEEEE10hipError_tPvRmT2_T3_mT4_T5_T6_T7_T8_P12ihipStream_tbENKUlT_T0_E_clISt17integral_constantIbLb0EES12_IbLb1EEEEDaSY_SZ_EUlSY_E_NS1_11comp_targetILNS1_3genE0ELNS1_11target_archE4294967295ELNS1_3gpuE0ELNS1_3repE0EEENS1_30default_config_static_selectorELNS0_4arch9wavefront6targetE1EEEvT1_
; %bb.0:
	.section	.rodata,"a",@progbits
	.p2align	6, 0x0
	.amdhsa_kernel _ZN7rocprim17ROCPRIM_400000_NS6detail17trampoline_kernelINS0_14default_configENS1_29reduce_by_key_config_selectorIxjN6thrust23THRUST_200600_302600_NS4plusIjEEEEZZNS1_33reduce_by_key_impl_wrapped_configILNS1_25lookback_scan_determinismE0ES3_S9_NS6_6detail15normal_iteratorINS6_10device_ptrIxEEEENSD_INSE_IjEEEESG_SI_PmS8_NS6_8equal_toIxEEEE10hipError_tPvRmT2_T3_mT4_T5_T6_T7_T8_P12ihipStream_tbENKUlT_T0_E_clISt17integral_constantIbLb0EES12_IbLb1EEEEDaSY_SZ_EUlSY_E_NS1_11comp_targetILNS1_3genE0ELNS1_11target_archE4294967295ELNS1_3gpuE0ELNS1_3repE0EEENS1_30default_config_static_selectorELNS0_4arch9wavefront6targetE1EEEvT1_
		.amdhsa_group_segment_fixed_size 0
		.amdhsa_private_segment_fixed_size 0
		.amdhsa_kernarg_size 120
		.amdhsa_user_sgpr_count 6
		.amdhsa_user_sgpr_private_segment_buffer 1
		.amdhsa_user_sgpr_dispatch_ptr 0
		.amdhsa_user_sgpr_queue_ptr 0
		.amdhsa_user_sgpr_kernarg_segment_ptr 1
		.amdhsa_user_sgpr_dispatch_id 0
		.amdhsa_user_sgpr_flat_scratch_init 0
		.amdhsa_user_sgpr_kernarg_preload_length 0
		.amdhsa_user_sgpr_kernarg_preload_offset 0
		.amdhsa_user_sgpr_private_segment_size 0
		.amdhsa_uses_dynamic_stack 0
		.amdhsa_system_sgpr_private_segment_wavefront_offset 0
		.amdhsa_system_sgpr_workgroup_id_x 1
		.amdhsa_system_sgpr_workgroup_id_y 0
		.amdhsa_system_sgpr_workgroup_id_z 0
		.amdhsa_system_sgpr_workgroup_info 0
		.amdhsa_system_vgpr_workitem_id 0
		.amdhsa_next_free_vgpr 1
		.amdhsa_next_free_sgpr 0
		.amdhsa_accum_offset 4
		.amdhsa_reserve_vcc 0
		.amdhsa_reserve_flat_scratch 0
		.amdhsa_float_round_mode_32 0
		.amdhsa_float_round_mode_16_64 0
		.amdhsa_float_denorm_mode_32 3
		.amdhsa_float_denorm_mode_16_64 3
		.amdhsa_dx10_clamp 1
		.amdhsa_ieee_mode 1
		.amdhsa_fp16_overflow 0
		.amdhsa_tg_split 0
		.amdhsa_exception_fp_ieee_invalid_op 0
		.amdhsa_exception_fp_denorm_src 0
		.amdhsa_exception_fp_ieee_div_zero 0
		.amdhsa_exception_fp_ieee_overflow 0
		.amdhsa_exception_fp_ieee_underflow 0
		.amdhsa_exception_fp_ieee_inexact 0
		.amdhsa_exception_int_div_zero 0
	.end_amdhsa_kernel
	.section	.text._ZN7rocprim17ROCPRIM_400000_NS6detail17trampoline_kernelINS0_14default_configENS1_29reduce_by_key_config_selectorIxjN6thrust23THRUST_200600_302600_NS4plusIjEEEEZZNS1_33reduce_by_key_impl_wrapped_configILNS1_25lookback_scan_determinismE0ES3_S9_NS6_6detail15normal_iteratorINS6_10device_ptrIxEEEENSD_INSE_IjEEEESG_SI_PmS8_NS6_8equal_toIxEEEE10hipError_tPvRmT2_T3_mT4_T5_T6_T7_T8_P12ihipStream_tbENKUlT_T0_E_clISt17integral_constantIbLb0EES12_IbLb1EEEEDaSY_SZ_EUlSY_E_NS1_11comp_targetILNS1_3genE0ELNS1_11target_archE4294967295ELNS1_3gpuE0ELNS1_3repE0EEENS1_30default_config_static_selectorELNS0_4arch9wavefront6targetE1EEEvT1_,"axG",@progbits,_ZN7rocprim17ROCPRIM_400000_NS6detail17trampoline_kernelINS0_14default_configENS1_29reduce_by_key_config_selectorIxjN6thrust23THRUST_200600_302600_NS4plusIjEEEEZZNS1_33reduce_by_key_impl_wrapped_configILNS1_25lookback_scan_determinismE0ES3_S9_NS6_6detail15normal_iteratorINS6_10device_ptrIxEEEENSD_INSE_IjEEEESG_SI_PmS8_NS6_8equal_toIxEEEE10hipError_tPvRmT2_T3_mT4_T5_T6_T7_T8_P12ihipStream_tbENKUlT_T0_E_clISt17integral_constantIbLb0EES12_IbLb1EEEEDaSY_SZ_EUlSY_E_NS1_11comp_targetILNS1_3genE0ELNS1_11target_archE4294967295ELNS1_3gpuE0ELNS1_3repE0EEENS1_30default_config_static_selectorELNS0_4arch9wavefront6targetE1EEEvT1_,comdat
.Lfunc_end796:
	.size	_ZN7rocprim17ROCPRIM_400000_NS6detail17trampoline_kernelINS0_14default_configENS1_29reduce_by_key_config_selectorIxjN6thrust23THRUST_200600_302600_NS4plusIjEEEEZZNS1_33reduce_by_key_impl_wrapped_configILNS1_25lookback_scan_determinismE0ES3_S9_NS6_6detail15normal_iteratorINS6_10device_ptrIxEEEENSD_INSE_IjEEEESG_SI_PmS8_NS6_8equal_toIxEEEE10hipError_tPvRmT2_T3_mT4_T5_T6_T7_T8_P12ihipStream_tbENKUlT_T0_E_clISt17integral_constantIbLb0EES12_IbLb1EEEEDaSY_SZ_EUlSY_E_NS1_11comp_targetILNS1_3genE0ELNS1_11target_archE4294967295ELNS1_3gpuE0ELNS1_3repE0EEENS1_30default_config_static_selectorELNS0_4arch9wavefront6targetE1EEEvT1_, .Lfunc_end796-_ZN7rocprim17ROCPRIM_400000_NS6detail17trampoline_kernelINS0_14default_configENS1_29reduce_by_key_config_selectorIxjN6thrust23THRUST_200600_302600_NS4plusIjEEEEZZNS1_33reduce_by_key_impl_wrapped_configILNS1_25lookback_scan_determinismE0ES3_S9_NS6_6detail15normal_iteratorINS6_10device_ptrIxEEEENSD_INSE_IjEEEESG_SI_PmS8_NS6_8equal_toIxEEEE10hipError_tPvRmT2_T3_mT4_T5_T6_T7_T8_P12ihipStream_tbENKUlT_T0_E_clISt17integral_constantIbLb0EES12_IbLb1EEEEDaSY_SZ_EUlSY_E_NS1_11comp_targetILNS1_3genE0ELNS1_11target_archE4294967295ELNS1_3gpuE0ELNS1_3repE0EEENS1_30default_config_static_selectorELNS0_4arch9wavefront6targetE1EEEvT1_
                                        ; -- End function
	.section	.AMDGPU.csdata,"",@progbits
; Kernel info:
; codeLenInByte = 0
; NumSgprs: 4
; NumVgprs: 0
; NumAgprs: 0
; TotalNumVgprs: 0
; ScratchSize: 0
; MemoryBound: 0
; FloatMode: 240
; IeeeMode: 1
; LDSByteSize: 0 bytes/workgroup (compile time only)
; SGPRBlocks: 0
; VGPRBlocks: 0
; NumSGPRsForWavesPerEU: 4
; NumVGPRsForWavesPerEU: 1
; AccumOffset: 4
; Occupancy: 8
; WaveLimiterHint : 0
; COMPUTE_PGM_RSRC2:SCRATCH_EN: 0
; COMPUTE_PGM_RSRC2:USER_SGPR: 6
; COMPUTE_PGM_RSRC2:TRAP_HANDLER: 0
; COMPUTE_PGM_RSRC2:TGID_X_EN: 1
; COMPUTE_PGM_RSRC2:TGID_Y_EN: 0
; COMPUTE_PGM_RSRC2:TGID_Z_EN: 0
; COMPUTE_PGM_RSRC2:TIDIG_COMP_CNT: 0
; COMPUTE_PGM_RSRC3_GFX90A:ACCUM_OFFSET: 0
; COMPUTE_PGM_RSRC3_GFX90A:TG_SPLIT: 0
	.section	.text._ZN7rocprim17ROCPRIM_400000_NS6detail17trampoline_kernelINS0_14default_configENS1_29reduce_by_key_config_selectorIxjN6thrust23THRUST_200600_302600_NS4plusIjEEEEZZNS1_33reduce_by_key_impl_wrapped_configILNS1_25lookback_scan_determinismE0ES3_S9_NS6_6detail15normal_iteratorINS6_10device_ptrIxEEEENSD_INSE_IjEEEESG_SI_PmS8_NS6_8equal_toIxEEEE10hipError_tPvRmT2_T3_mT4_T5_T6_T7_T8_P12ihipStream_tbENKUlT_T0_E_clISt17integral_constantIbLb0EES12_IbLb1EEEEDaSY_SZ_EUlSY_E_NS1_11comp_targetILNS1_3genE5ELNS1_11target_archE942ELNS1_3gpuE9ELNS1_3repE0EEENS1_30default_config_static_selectorELNS0_4arch9wavefront6targetE1EEEvT1_,"axG",@progbits,_ZN7rocprim17ROCPRIM_400000_NS6detail17trampoline_kernelINS0_14default_configENS1_29reduce_by_key_config_selectorIxjN6thrust23THRUST_200600_302600_NS4plusIjEEEEZZNS1_33reduce_by_key_impl_wrapped_configILNS1_25lookback_scan_determinismE0ES3_S9_NS6_6detail15normal_iteratorINS6_10device_ptrIxEEEENSD_INSE_IjEEEESG_SI_PmS8_NS6_8equal_toIxEEEE10hipError_tPvRmT2_T3_mT4_T5_T6_T7_T8_P12ihipStream_tbENKUlT_T0_E_clISt17integral_constantIbLb0EES12_IbLb1EEEEDaSY_SZ_EUlSY_E_NS1_11comp_targetILNS1_3genE5ELNS1_11target_archE942ELNS1_3gpuE9ELNS1_3repE0EEENS1_30default_config_static_selectorELNS0_4arch9wavefront6targetE1EEEvT1_,comdat
	.protected	_ZN7rocprim17ROCPRIM_400000_NS6detail17trampoline_kernelINS0_14default_configENS1_29reduce_by_key_config_selectorIxjN6thrust23THRUST_200600_302600_NS4plusIjEEEEZZNS1_33reduce_by_key_impl_wrapped_configILNS1_25lookback_scan_determinismE0ES3_S9_NS6_6detail15normal_iteratorINS6_10device_ptrIxEEEENSD_INSE_IjEEEESG_SI_PmS8_NS6_8equal_toIxEEEE10hipError_tPvRmT2_T3_mT4_T5_T6_T7_T8_P12ihipStream_tbENKUlT_T0_E_clISt17integral_constantIbLb0EES12_IbLb1EEEEDaSY_SZ_EUlSY_E_NS1_11comp_targetILNS1_3genE5ELNS1_11target_archE942ELNS1_3gpuE9ELNS1_3repE0EEENS1_30default_config_static_selectorELNS0_4arch9wavefront6targetE1EEEvT1_ ; -- Begin function _ZN7rocprim17ROCPRIM_400000_NS6detail17trampoline_kernelINS0_14default_configENS1_29reduce_by_key_config_selectorIxjN6thrust23THRUST_200600_302600_NS4plusIjEEEEZZNS1_33reduce_by_key_impl_wrapped_configILNS1_25lookback_scan_determinismE0ES3_S9_NS6_6detail15normal_iteratorINS6_10device_ptrIxEEEENSD_INSE_IjEEEESG_SI_PmS8_NS6_8equal_toIxEEEE10hipError_tPvRmT2_T3_mT4_T5_T6_T7_T8_P12ihipStream_tbENKUlT_T0_E_clISt17integral_constantIbLb0EES12_IbLb1EEEEDaSY_SZ_EUlSY_E_NS1_11comp_targetILNS1_3genE5ELNS1_11target_archE942ELNS1_3gpuE9ELNS1_3repE0EEENS1_30default_config_static_selectorELNS0_4arch9wavefront6targetE1EEEvT1_
	.globl	_ZN7rocprim17ROCPRIM_400000_NS6detail17trampoline_kernelINS0_14default_configENS1_29reduce_by_key_config_selectorIxjN6thrust23THRUST_200600_302600_NS4plusIjEEEEZZNS1_33reduce_by_key_impl_wrapped_configILNS1_25lookback_scan_determinismE0ES3_S9_NS6_6detail15normal_iteratorINS6_10device_ptrIxEEEENSD_INSE_IjEEEESG_SI_PmS8_NS6_8equal_toIxEEEE10hipError_tPvRmT2_T3_mT4_T5_T6_T7_T8_P12ihipStream_tbENKUlT_T0_E_clISt17integral_constantIbLb0EES12_IbLb1EEEEDaSY_SZ_EUlSY_E_NS1_11comp_targetILNS1_3genE5ELNS1_11target_archE942ELNS1_3gpuE9ELNS1_3repE0EEENS1_30default_config_static_selectorELNS0_4arch9wavefront6targetE1EEEvT1_
	.p2align	8
	.type	_ZN7rocprim17ROCPRIM_400000_NS6detail17trampoline_kernelINS0_14default_configENS1_29reduce_by_key_config_selectorIxjN6thrust23THRUST_200600_302600_NS4plusIjEEEEZZNS1_33reduce_by_key_impl_wrapped_configILNS1_25lookback_scan_determinismE0ES3_S9_NS6_6detail15normal_iteratorINS6_10device_ptrIxEEEENSD_INSE_IjEEEESG_SI_PmS8_NS6_8equal_toIxEEEE10hipError_tPvRmT2_T3_mT4_T5_T6_T7_T8_P12ihipStream_tbENKUlT_T0_E_clISt17integral_constantIbLb0EES12_IbLb1EEEEDaSY_SZ_EUlSY_E_NS1_11comp_targetILNS1_3genE5ELNS1_11target_archE942ELNS1_3gpuE9ELNS1_3repE0EEENS1_30default_config_static_selectorELNS0_4arch9wavefront6targetE1EEEvT1_,@function
_ZN7rocprim17ROCPRIM_400000_NS6detail17trampoline_kernelINS0_14default_configENS1_29reduce_by_key_config_selectorIxjN6thrust23THRUST_200600_302600_NS4plusIjEEEEZZNS1_33reduce_by_key_impl_wrapped_configILNS1_25lookback_scan_determinismE0ES3_S9_NS6_6detail15normal_iteratorINS6_10device_ptrIxEEEENSD_INSE_IjEEEESG_SI_PmS8_NS6_8equal_toIxEEEE10hipError_tPvRmT2_T3_mT4_T5_T6_T7_T8_P12ihipStream_tbENKUlT_T0_E_clISt17integral_constantIbLb0EES12_IbLb1EEEEDaSY_SZ_EUlSY_E_NS1_11comp_targetILNS1_3genE5ELNS1_11target_archE942ELNS1_3gpuE9ELNS1_3repE0EEENS1_30default_config_static_selectorELNS0_4arch9wavefront6targetE1EEEvT1_: ; @_ZN7rocprim17ROCPRIM_400000_NS6detail17trampoline_kernelINS0_14default_configENS1_29reduce_by_key_config_selectorIxjN6thrust23THRUST_200600_302600_NS4plusIjEEEEZZNS1_33reduce_by_key_impl_wrapped_configILNS1_25lookback_scan_determinismE0ES3_S9_NS6_6detail15normal_iteratorINS6_10device_ptrIxEEEENSD_INSE_IjEEEESG_SI_PmS8_NS6_8equal_toIxEEEE10hipError_tPvRmT2_T3_mT4_T5_T6_T7_T8_P12ihipStream_tbENKUlT_T0_E_clISt17integral_constantIbLb0EES12_IbLb1EEEEDaSY_SZ_EUlSY_E_NS1_11comp_targetILNS1_3genE5ELNS1_11target_archE942ELNS1_3gpuE9ELNS1_3repE0EEENS1_30default_config_static_selectorELNS0_4arch9wavefront6targetE1EEEvT1_
; %bb.0:
	.section	.rodata,"a",@progbits
	.p2align	6, 0x0
	.amdhsa_kernel _ZN7rocprim17ROCPRIM_400000_NS6detail17trampoline_kernelINS0_14default_configENS1_29reduce_by_key_config_selectorIxjN6thrust23THRUST_200600_302600_NS4plusIjEEEEZZNS1_33reduce_by_key_impl_wrapped_configILNS1_25lookback_scan_determinismE0ES3_S9_NS6_6detail15normal_iteratorINS6_10device_ptrIxEEEENSD_INSE_IjEEEESG_SI_PmS8_NS6_8equal_toIxEEEE10hipError_tPvRmT2_T3_mT4_T5_T6_T7_T8_P12ihipStream_tbENKUlT_T0_E_clISt17integral_constantIbLb0EES12_IbLb1EEEEDaSY_SZ_EUlSY_E_NS1_11comp_targetILNS1_3genE5ELNS1_11target_archE942ELNS1_3gpuE9ELNS1_3repE0EEENS1_30default_config_static_selectorELNS0_4arch9wavefront6targetE1EEEvT1_
		.amdhsa_group_segment_fixed_size 0
		.amdhsa_private_segment_fixed_size 0
		.amdhsa_kernarg_size 120
		.amdhsa_user_sgpr_count 6
		.amdhsa_user_sgpr_private_segment_buffer 1
		.amdhsa_user_sgpr_dispatch_ptr 0
		.amdhsa_user_sgpr_queue_ptr 0
		.amdhsa_user_sgpr_kernarg_segment_ptr 1
		.amdhsa_user_sgpr_dispatch_id 0
		.amdhsa_user_sgpr_flat_scratch_init 0
		.amdhsa_user_sgpr_kernarg_preload_length 0
		.amdhsa_user_sgpr_kernarg_preload_offset 0
		.amdhsa_user_sgpr_private_segment_size 0
		.amdhsa_uses_dynamic_stack 0
		.amdhsa_system_sgpr_private_segment_wavefront_offset 0
		.amdhsa_system_sgpr_workgroup_id_x 1
		.amdhsa_system_sgpr_workgroup_id_y 0
		.amdhsa_system_sgpr_workgroup_id_z 0
		.amdhsa_system_sgpr_workgroup_info 0
		.amdhsa_system_vgpr_workitem_id 0
		.amdhsa_next_free_vgpr 1
		.amdhsa_next_free_sgpr 0
		.amdhsa_accum_offset 4
		.amdhsa_reserve_vcc 0
		.amdhsa_reserve_flat_scratch 0
		.amdhsa_float_round_mode_32 0
		.amdhsa_float_round_mode_16_64 0
		.amdhsa_float_denorm_mode_32 3
		.amdhsa_float_denorm_mode_16_64 3
		.amdhsa_dx10_clamp 1
		.amdhsa_ieee_mode 1
		.amdhsa_fp16_overflow 0
		.amdhsa_tg_split 0
		.amdhsa_exception_fp_ieee_invalid_op 0
		.amdhsa_exception_fp_denorm_src 0
		.amdhsa_exception_fp_ieee_div_zero 0
		.amdhsa_exception_fp_ieee_overflow 0
		.amdhsa_exception_fp_ieee_underflow 0
		.amdhsa_exception_fp_ieee_inexact 0
		.amdhsa_exception_int_div_zero 0
	.end_amdhsa_kernel
	.section	.text._ZN7rocprim17ROCPRIM_400000_NS6detail17trampoline_kernelINS0_14default_configENS1_29reduce_by_key_config_selectorIxjN6thrust23THRUST_200600_302600_NS4plusIjEEEEZZNS1_33reduce_by_key_impl_wrapped_configILNS1_25lookback_scan_determinismE0ES3_S9_NS6_6detail15normal_iteratorINS6_10device_ptrIxEEEENSD_INSE_IjEEEESG_SI_PmS8_NS6_8equal_toIxEEEE10hipError_tPvRmT2_T3_mT4_T5_T6_T7_T8_P12ihipStream_tbENKUlT_T0_E_clISt17integral_constantIbLb0EES12_IbLb1EEEEDaSY_SZ_EUlSY_E_NS1_11comp_targetILNS1_3genE5ELNS1_11target_archE942ELNS1_3gpuE9ELNS1_3repE0EEENS1_30default_config_static_selectorELNS0_4arch9wavefront6targetE1EEEvT1_,"axG",@progbits,_ZN7rocprim17ROCPRIM_400000_NS6detail17trampoline_kernelINS0_14default_configENS1_29reduce_by_key_config_selectorIxjN6thrust23THRUST_200600_302600_NS4plusIjEEEEZZNS1_33reduce_by_key_impl_wrapped_configILNS1_25lookback_scan_determinismE0ES3_S9_NS6_6detail15normal_iteratorINS6_10device_ptrIxEEEENSD_INSE_IjEEEESG_SI_PmS8_NS6_8equal_toIxEEEE10hipError_tPvRmT2_T3_mT4_T5_T6_T7_T8_P12ihipStream_tbENKUlT_T0_E_clISt17integral_constantIbLb0EES12_IbLb1EEEEDaSY_SZ_EUlSY_E_NS1_11comp_targetILNS1_3genE5ELNS1_11target_archE942ELNS1_3gpuE9ELNS1_3repE0EEENS1_30default_config_static_selectorELNS0_4arch9wavefront6targetE1EEEvT1_,comdat
.Lfunc_end797:
	.size	_ZN7rocprim17ROCPRIM_400000_NS6detail17trampoline_kernelINS0_14default_configENS1_29reduce_by_key_config_selectorIxjN6thrust23THRUST_200600_302600_NS4plusIjEEEEZZNS1_33reduce_by_key_impl_wrapped_configILNS1_25lookback_scan_determinismE0ES3_S9_NS6_6detail15normal_iteratorINS6_10device_ptrIxEEEENSD_INSE_IjEEEESG_SI_PmS8_NS6_8equal_toIxEEEE10hipError_tPvRmT2_T3_mT4_T5_T6_T7_T8_P12ihipStream_tbENKUlT_T0_E_clISt17integral_constantIbLb0EES12_IbLb1EEEEDaSY_SZ_EUlSY_E_NS1_11comp_targetILNS1_3genE5ELNS1_11target_archE942ELNS1_3gpuE9ELNS1_3repE0EEENS1_30default_config_static_selectorELNS0_4arch9wavefront6targetE1EEEvT1_, .Lfunc_end797-_ZN7rocprim17ROCPRIM_400000_NS6detail17trampoline_kernelINS0_14default_configENS1_29reduce_by_key_config_selectorIxjN6thrust23THRUST_200600_302600_NS4plusIjEEEEZZNS1_33reduce_by_key_impl_wrapped_configILNS1_25lookback_scan_determinismE0ES3_S9_NS6_6detail15normal_iteratorINS6_10device_ptrIxEEEENSD_INSE_IjEEEESG_SI_PmS8_NS6_8equal_toIxEEEE10hipError_tPvRmT2_T3_mT4_T5_T6_T7_T8_P12ihipStream_tbENKUlT_T0_E_clISt17integral_constantIbLb0EES12_IbLb1EEEEDaSY_SZ_EUlSY_E_NS1_11comp_targetILNS1_3genE5ELNS1_11target_archE942ELNS1_3gpuE9ELNS1_3repE0EEENS1_30default_config_static_selectorELNS0_4arch9wavefront6targetE1EEEvT1_
                                        ; -- End function
	.section	.AMDGPU.csdata,"",@progbits
; Kernel info:
; codeLenInByte = 0
; NumSgprs: 4
; NumVgprs: 0
; NumAgprs: 0
; TotalNumVgprs: 0
; ScratchSize: 0
; MemoryBound: 0
; FloatMode: 240
; IeeeMode: 1
; LDSByteSize: 0 bytes/workgroup (compile time only)
; SGPRBlocks: 0
; VGPRBlocks: 0
; NumSGPRsForWavesPerEU: 4
; NumVGPRsForWavesPerEU: 1
; AccumOffset: 4
; Occupancy: 8
; WaveLimiterHint : 0
; COMPUTE_PGM_RSRC2:SCRATCH_EN: 0
; COMPUTE_PGM_RSRC2:USER_SGPR: 6
; COMPUTE_PGM_RSRC2:TRAP_HANDLER: 0
; COMPUTE_PGM_RSRC2:TGID_X_EN: 1
; COMPUTE_PGM_RSRC2:TGID_Y_EN: 0
; COMPUTE_PGM_RSRC2:TGID_Z_EN: 0
; COMPUTE_PGM_RSRC2:TIDIG_COMP_CNT: 0
; COMPUTE_PGM_RSRC3_GFX90A:ACCUM_OFFSET: 0
; COMPUTE_PGM_RSRC3_GFX90A:TG_SPLIT: 0
	.section	.text._ZN7rocprim17ROCPRIM_400000_NS6detail17trampoline_kernelINS0_14default_configENS1_29reduce_by_key_config_selectorIxjN6thrust23THRUST_200600_302600_NS4plusIjEEEEZZNS1_33reduce_by_key_impl_wrapped_configILNS1_25lookback_scan_determinismE0ES3_S9_NS6_6detail15normal_iteratorINS6_10device_ptrIxEEEENSD_INSE_IjEEEESG_SI_PmS8_NS6_8equal_toIxEEEE10hipError_tPvRmT2_T3_mT4_T5_T6_T7_T8_P12ihipStream_tbENKUlT_T0_E_clISt17integral_constantIbLb0EES12_IbLb1EEEEDaSY_SZ_EUlSY_E_NS1_11comp_targetILNS1_3genE4ELNS1_11target_archE910ELNS1_3gpuE8ELNS1_3repE0EEENS1_30default_config_static_selectorELNS0_4arch9wavefront6targetE1EEEvT1_,"axG",@progbits,_ZN7rocprim17ROCPRIM_400000_NS6detail17trampoline_kernelINS0_14default_configENS1_29reduce_by_key_config_selectorIxjN6thrust23THRUST_200600_302600_NS4plusIjEEEEZZNS1_33reduce_by_key_impl_wrapped_configILNS1_25lookback_scan_determinismE0ES3_S9_NS6_6detail15normal_iteratorINS6_10device_ptrIxEEEENSD_INSE_IjEEEESG_SI_PmS8_NS6_8equal_toIxEEEE10hipError_tPvRmT2_T3_mT4_T5_T6_T7_T8_P12ihipStream_tbENKUlT_T0_E_clISt17integral_constantIbLb0EES12_IbLb1EEEEDaSY_SZ_EUlSY_E_NS1_11comp_targetILNS1_3genE4ELNS1_11target_archE910ELNS1_3gpuE8ELNS1_3repE0EEENS1_30default_config_static_selectorELNS0_4arch9wavefront6targetE1EEEvT1_,comdat
	.protected	_ZN7rocprim17ROCPRIM_400000_NS6detail17trampoline_kernelINS0_14default_configENS1_29reduce_by_key_config_selectorIxjN6thrust23THRUST_200600_302600_NS4plusIjEEEEZZNS1_33reduce_by_key_impl_wrapped_configILNS1_25lookback_scan_determinismE0ES3_S9_NS6_6detail15normal_iteratorINS6_10device_ptrIxEEEENSD_INSE_IjEEEESG_SI_PmS8_NS6_8equal_toIxEEEE10hipError_tPvRmT2_T3_mT4_T5_T6_T7_T8_P12ihipStream_tbENKUlT_T0_E_clISt17integral_constantIbLb0EES12_IbLb1EEEEDaSY_SZ_EUlSY_E_NS1_11comp_targetILNS1_3genE4ELNS1_11target_archE910ELNS1_3gpuE8ELNS1_3repE0EEENS1_30default_config_static_selectorELNS0_4arch9wavefront6targetE1EEEvT1_ ; -- Begin function _ZN7rocprim17ROCPRIM_400000_NS6detail17trampoline_kernelINS0_14default_configENS1_29reduce_by_key_config_selectorIxjN6thrust23THRUST_200600_302600_NS4plusIjEEEEZZNS1_33reduce_by_key_impl_wrapped_configILNS1_25lookback_scan_determinismE0ES3_S9_NS6_6detail15normal_iteratorINS6_10device_ptrIxEEEENSD_INSE_IjEEEESG_SI_PmS8_NS6_8equal_toIxEEEE10hipError_tPvRmT2_T3_mT4_T5_T6_T7_T8_P12ihipStream_tbENKUlT_T0_E_clISt17integral_constantIbLb0EES12_IbLb1EEEEDaSY_SZ_EUlSY_E_NS1_11comp_targetILNS1_3genE4ELNS1_11target_archE910ELNS1_3gpuE8ELNS1_3repE0EEENS1_30default_config_static_selectorELNS0_4arch9wavefront6targetE1EEEvT1_
	.globl	_ZN7rocprim17ROCPRIM_400000_NS6detail17trampoline_kernelINS0_14default_configENS1_29reduce_by_key_config_selectorIxjN6thrust23THRUST_200600_302600_NS4plusIjEEEEZZNS1_33reduce_by_key_impl_wrapped_configILNS1_25lookback_scan_determinismE0ES3_S9_NS6_6detail15normal_iteratorINS6_10device_ptrIxEEEENSD_INSE_IjEEEESG_SI_PmS8_NS6_8equal_toIxEEEE10hipError_tPvRmT2_T3_mT4_T5_T6_T7_T8_P12ihipStream_tbENKUlT_T0_E_clISt17integral_constantIbLb0EES12_IbLb1EEEEDaSY_SZ_EUlSY_E_NS1_11comp_targetILNS1_3genE4ELNS1_11target_archE910ELNS1_3gpuE8ELNS1_3repE0EEENS1_30default_config_static_selectorELNS0_4arch9wavefront6targetE1EEEvT1_
	.p2align	8
	.type	_ZN7rocprim17ROCPRIM_400000_NS6detail17trampoline_kernelINS0_14default_configENS1_29reduce_by_key_config_selectorIxjN6thrust23THRUST_200600_302600_NS4plusIjEEEEZZNS1_33reduce_by_key_impl_wrapped_configILNS1_25lookback_scan_determinismE0ES3_S9_NS6_6detail15normal_iteratorINS6_10device_ptrIxEEEENSD_INSE_IjEEEESG_SI_PmS8_NS6_8equal_toIxEEEE10hipError_tPvRmT2_T3_mT4_T5_T6_T7_T8_P12ihipStream_tbENKUlT_T0_E_clISt17integral_constantIbLb0EES12_IbLb1EEEEDaSY_SZ_EUlSY_E_NS1_11comp_targetILNS1_3genE4ELNS1_11target_archE910ELNS1_3gpuE8ELNS1_3repE0EEENS1_30default_config_static_selectorELNS0_4arch9wavefront6targetE1EEEvT1_,@function
_ZN7rocprim17ROCPRIM_400000_NS6detail17trampoline_kernelINS0_14default_configENS1_29reduce_by_key_config_selectorIxjN6thrust23THRUST_200600_302600_NS4plusIjEEEEZZNS1_33reduce_by_key_impl_wrapped_configILNS1_25lookback_scan_determinismE0ES3_S9_NS6_6detail15normal_iteratorINS6_10device_ptrIxEEEENSD_INSE_IjEEEESG_SI_PmS8_NS6_8equal_toIxEEEE10hipError_tPvRmT2_T3_mT4_T5_T6_T7_T8_P12ihipStream_tbENKUlT_T0_E_clISt17integral_constantIbLb0EES12_IbLb1EEEEDaSY_SZ_EUlSY_E_NS1_11comp_targetILNS1_3genE4ELNS1_11target_archE910ELNS1_3gpuE8ELNS1_3repE0EEENS1_30default_config_static_selectorELNS0_4arch9wavefront6targetE1EEEvT1_: ; @_ZN7rocprim17ROCPRIM_400000_NS6detail17trampoline_kernelINS0_14default_configENS1_29reduce_by_key_config_selectorIxjN6thrust23THRUST_200600_302600_NS4plusIjEEEEZZNS1_33reduce_by_key_impl_wrapped_configILNS1_25lookback_scan_determinismE0ES3_S9_NS6_6detail15normal_iteratorINS6_10device_ptrIxEEEENSD_INSE_IjEEEESG_SI_PmS8_NS6_8equal_toIxEEEE10hipError_tPvRmT2_T3_mT4_T5_T6_T7_T8_P12ihipStream_tbENKUlT_T0_E_clISt17integral_constantIbLb0EES12_IbLb1EEEEDaSY_SZ_EUlSY_E_NS1_11comp_targetILNS1_3genE4ELNS1_11target_archE910ELNS1_3gpuE8ELNS1_3repE0EEENS1_30default_config_static_selectorELNS0_4arch9wavefront6targetE1EEEvT1_
; %bb.0:
	s_load_dwordx8 s[36:43], s[4:5], 0x0
	s_load_dwordx4 s[52:55], s[4:5], 0x20
	s_load_dwordx8 s[44:51], s[4:5], 0x38
	s_load_dwordx2 s[60:61], s[4:5], 0x68
	s_load_dwordx4 s[56:59], s[4:5], 0x58
	v_cmp_ne_u32_e64 s[2:3], 0, v0
	v_cmp_eq_u32_e64 s[0:1], 0, v0
	s_and_saveexec_b64 s[6:7], s[0:1]
	s_cbranch_execz .LBB798_4
; %bb.1:
	s_mov_b64 s[10:11], exec
	v_mbcnt_lo_u32_b32 v1, s10, 0
	v_mbcnt_hi_u32_b32 v1, s11, v1
	v_cmp_eq_u32_e32 vcc, 0, v1
                                        ; implicit-def: $vgpr2
	s_and_saveexec_b64 s[8:9], vcc
	s_cbranch_execz .LBB798_3
; %bb.2:
	s_load_dwordx2 s[4:5], s[4:5], 0x70
	s_bcnt1_i32_b64 s10, s[10:11]
	v_mov_b32_e32 v2, 0
	v_mov_b32_e32 v3, s10
	s_waitcnt lgkmcnt(0)
	global_atomic_add v2, v2, v3, s[4:5] glc
.LBB798_3:
	s_or_b64 exec, exec, s[8:9]
	s_waitcnt vmcnt(0)
	v_readfirstlane_b32 s4, v2
	v_add_u32_e32 v1, s4, v1
	v_mov_b32_e32 v2, 0
	ds_write_b32 v2, v1
.LBB798_4:
	s_or_b64 exec, exec, s[6:7]
	v_mov_b32_e32 v3, 0
	s_waitcnt lgkmcnt(0)
	s_lshl_b64 s[4:5], s[38:39], 3
	s_barrier
	ds_read_b32 v1, v3
	s_add_u32 s6, s36, s4
	s_addc_u32 s7, s37, s5
	s_lshl_b64 s[4:5], s[38:39], 2
	s_add_u32 s4, s40, s4
	s_mul_i32 s8, s48, s47
	s_mul_hi_u32 s9, s48, s46
	s_addc_u32 s5, s41, s5
	s_add_i32 s8, s9, s8
	s_mul_i32 s9, s49, s46
	s_add_i32 s8, s8, s9
	s_mul_i32 s9, s48, s46
	s_waitcnt lgkmcnt(0)
	v_readfirstlane_b32 s62, v1
	s_movk_i32 s10, 0xf00
	v_mul_lo_u32 v2, v1, s10
	s_add_u32 s40, s9, s62
	v_lshlrev_b64 v[4:5], 3, v[2:3]
	s_addc_u32 s41, s8, 0
	v_mov_b32_e32 v1, s7
	v_add_co_u32_e32 v49, vcc, s6, v4
	s_add_u32 s6, s50, -1
	v_addc_co_u32_e32 v51, vcc, v1, v5, vcc
	v_lshlrev_b64 v[2:3], 2, v[2:3]
	s_addc_u32 s7, s51, -1
	v_mov_b32_e32 v4, s5
	v_add_co_u32_e32 v1, vcc, s4, v2
	s_cmp_eq_u64 s[40:41], s[6:7]
	v_addc_co_u32_e32 v53, vcc, v4, v3, vcc
	s_cselect_b64 s[36:37], -1, 0
	s_cmp_lg_u64 s[40:41], s[6:7]
	s_mov_b64 s[4:5], -1
	s_cselect_b64 s[48:49], -1, 0
	s_mul_i32 s33, s6, 0xfffff100
	s_and_b64 vcc, exec, s[36:37]
	v_mad_u32_u24 v50, v0, 15, 1
	v_mad_u32_u24 v52, v0, 15, 2
	;; [unrolled: 1-line block ×14, first 2 shown]
	s_barrier
	s_cbranch_vccnz .LBB798_6
; %bb.5:
	v_lshlrev_b32_e32 v40, 3, v0
	v_add_co_u32_e32 v2, vcc, v49, v40
	v_addc_co_u32_e32 v3, vcc, 0, v51, vcc
	v_add_co_u32_e32 v4, vcc, 0x1000, v2
	v_addc_co_u32_e32 v5, vcc, 0, v3, vcc
	flat_load_dwordx2 v[6:7], v[2:3]
	flat_load_dwordx2 v[8:9], v[2:3] offset:2048
	flat_load_dwordx2 v[10:11], v[4:5]
	flat_load_dwordx2 v[12:13], v[4:5] offset:2048
	v_add_co_u32_e32 v4, vcc, 0x2000, v2
	v_addc_co_u32_e32 v5, vcc, 0, v3, vcc
	v_add_co_u32_e32 v14, vcc, 0x3000, v2
	v_addc_co_u32_e32 v15, vcc, 0, v3, vcc
	flat_load_dwordx2 v[16:17], v[4:5]
	flat_load_dwordx2 v[18:19], v[4:5] offset:2048
	flat_load_dwordx2 v[20:21], v[14:15]
	flat_load_dwordx2 v[22:23], v[14:15] offset:2048
	v_add_co_u32_e32 v4, vcc, 0x4000, v2
	v_addc_co_u32_e32 v5, vcc, 0, v3, vcc
	v_add_co_u32_e32 v14, vcc, 0x5000, v2
	v_addc_co_u32_e32 v15, vcc, 0, v3, vcc
	flat_load_dwordx2 v[24:25], v[4:5]
	flat_load_dwordx2 v[26:27], v[4:5] offset:2048
	flat_load_dwordx2 v[28:29], v[14:15]
	flat_load_dwordx2 v[30:31], v[14:15] offset:2048
	v_add_co_u32_e32 v4, vcc, 0x6000, v2
	v_addc_co_u32_e32 v5, vcc, 0, v3, vcc
	v_add_co_u32_e32 v2, vcc, 0x7000, v2
	v_addc_co_u32_e32 v3, vcc, 0, v3, vcc
	flat_load_dwordx2 v[14:15], v[4:5]
	flat_load_dwordx2 v[32:33], v[4:5] offset:2048
	flat_load_dwordx2 v[34:35], v[2:3]
	v_lshlrev_b32_e32 v2, 2, v0
	v_add_co_u32_e32 v36, vcc, v1, v2
	s_movk_i32 s4, 0x1000
	v_addc_co_u32_e32 v37, vcc, 0, v53, vcc
	v_add_co_u32_e32 v38, vcc, s4, v36
	s_movk_i32 s5, 0x2000
	v_addc_co_u32_e32 v39, vcc, 0, v37, vcc
	s_movk_i32 s6, 0x3000
	s_movk_i32 s7, 0x70
	v_mad_u32_u24 v41, v0, s7, v40
	s_movk_i32 s4, 0xff8c
	v_mul_u32_u24_e32 v55, 15, v0
	v_mad_i32_i24 v79, v0, s4, v41
	s_waitcnt vmcnt(0) lgkmcnt(0)
	ds_write2st64_b64 v40, v[6:7], v[8:9] offset1:4
	ds_write2st64_b64 v40, v[10:11], v[12:13] offset0:8 offset1:12
	ds_write2st64_b64 v40, v[16:17], v[18:19] offset0:16 offset1:20
	;; [unrolled: 1-line block ×6, first 2 shown]
	ds_write_b64 v40, v[34:35] offset:28672
	v_add_co_u32_e32 v30, vcc, s5, v36
	v_addc_co_u32_e32 v31, vcc, 0, v37, vcc
	v_add_co_u32_e32 v32, vcc, s6, v36
	s_waitcnt lgkmcnt(0)
	s_barrier
	ds_read2_b64 v[26:29], v41 offset1:1
	ds_read2_b64 v[22:25], v41 offset0:2 offset1:3
	ds_read2_b64 v[18:21], v41 offset0:4 offset1:5
	ds_read2_b64 v[14:17], v41 offset0:6 offset1:7
	ds_read2_b64 v[10:13], v41 offset0:8 offset1:9
	ds_read2_b64 v[6:9], v41 offset0:10 offset1:11
	ds_read2_b64 v[2:5], v41 offset0:12 offset1:13
	ds_read_b64 v[46:47], v41 offset:112
	s_waitcnt lgkmcnt(0)
	s_barrier
	flat_load_dword v44, v[36:37]
	flat_load_dword v45, v[36:37] offset:1024
	flat_load_dword v57, v[36:37] offset:2048
	;; [unrolled: 1-line block ×3, first 2 shown]
	flat_load_dword v61, v[38:39]
	flat_load_dword v63, v[38:39] offset:1024
	flat_load_dword v65, v[38:39] offset:2048
	;; [unrolled: 1-line block ×3, first 2 shown]
	v_addc_co_u32_e32 v33, vcc, 0, v37, vcc
	flat_load_dword v69, v[30:31]
	flat_load_dword v71, v[30:31] offset:1024
	flat_load_dword v73, v[30:31] offset:2048
	;; [unrolled: 1-line block ×3, first 2 shown]
	flat_load_dword v76, v[32:33]
	flat_load_dword v77, v[32:33] offset:1024
	flat_load_dword v78, v[32:33] offset:2048
	v_mov_b32_e32 v30, v26
	v_mov_b32_e32 v31, v27
	;; [unrolled: 1-line block ×14, first 2 shown]
	s_mov_b64 s[4:5], 0
	s_waitcnt vmcnt(0) lgkmcnt(0)
	ds_write2st64_b32 v79, v44, v45 offset1:4
	ds_write2st64_b32 v79, v57, v59 offset0:8 offset1:12
	ds_write2st64_b32 v79, v61, v63 offset0:16 offset1:20
	;; [unrolled: 1-line block ×6, first 2 shown]
	ds_write_b32 v79, v78 offset:14336
	s_waitcnt lgkmcnt(0)
	s_barrier
	s_branch .LBB798_7
.LBB798_6:
                                        ; implicit-def: $vgpr46_vgpr47
                                        ; implicit-def: $vgpr2_vgpr3
                                        ; implicit-def: $vgpr6_vgpr7
                                        ; implicit-def: $vgpr10_vgpr11
                                        ; implicit-def: $vgpr14_vgpr15
                                        ; implicit-def: $vgpr18_vgpr19
                                        ; implicit-def: $vgpr22_vgpr23
                                        ; implicit-def: $vgpr26_vgpr27
                                        ; implicit-def: $vgpr55
                                        ; implicit-def: $vgpr38_vgpr39_vgpr40_vgpr41
                                        ; implicit-def: $vgpr34_vgpr35_vgpr36_vgpr37
                                        ; implicit-def: $vgpr30_vgpr31_vgpr32_vgpr33
                                        ; implicit-def: $vgpr42_vgpr43_vgpr44_vgpr45
.LBB798_7:
	s_add_i32 s33, s33, s56
	s_andn2_b64 vcc, exec, s[4:5]
	v_mov_b32_e32 v78, v48
	v_mov_b32_e32 v79, v74
	;; [unrolled: 1-line block ×14, first 2 shown]
	s_cbranch_vccnz .LBB798_69
; %bb.8:
	v_cmp_gt_u32_e32 vcc, s33, v0
                                        ; implicit-def: $vgpr2_vgpr3
	s_and_saveexec_b64 s[6:7], vcc
	s_cbranch_execz .LBB798_10
; %bb.9:
	v_lshlrev_b32_e32 v2, 3, v0
	v_add_co_u32_e64 v2, s[4:5], v49, v2
	v_addc_co_u32_e64 v3, s[4:5], 0, v51, s[4:5]
	flat_load_dwordx2 v[2:3], v[2:3]
.LBB798_10:
	s_or_b64 exec, exec, s[6:7]
	v_or_b32_e32 v4, 0x100, v0
	v_cmp_gt_u32_e64 s[4:5], s33, v4
                                        ; implicit-def: $vgpr4_vgpr5
	s_and_saveexec_b64 s[8:9], s[4:5]
	s_cbranch_execz .LBB798_12
; %bb.11:
	v_lshlrev_b32_e32 v4, 3, v0
	v_add_co_u32_e64 v4, s[6:7], v49, v4
	v_addc_co_u32_e64 v5, s[6:7], 0, v51, s[6:7]
	flat_load_dwordx2 v[4:5], v[4:5] offset:2048
.LBB798_12:
	s_or_b64 exec, exec, s[8:9]
	v_or_b32_e32 v8, 0x200, v0
	v_cmp_gt_u32_e64 s[6:7], s33, v8
                                        ; implicit-def: $vgpr6_vgpr7
	s_and_saveexec_b64 s[10:11], s[6:7]
	s_cbranch_execz .LBB798_14
; %bb.13:
	v_lshlrev_b32_e32 v6, 3, v8
	v_add_co_u32_e64 v6, s[8:9], v49, v6
	v_addc_co_u32_e64 v7, s[8:9], 0, v51, s[8:9]
	flat_load_dwordx2 v[6:7], v[6:7]
.LBB798_14:
	s_or_b64 exec, exec, s[10:11]
	v_or_b32_e32 v10, 0x300, v0
	v_cmp_gt_u32_e64 s[8:9], s33, v10
                                        ; implicit-def: $vgpr8_vgpr9
	s_and_saveexec_b64 s[12:13], s[8:9]
	s_cbranch_execz .LBB798_16
; %bb.15:
	v_lshlrev_b32_e32 v8, 3, v10
	v_add_co_u32_e64 v8, s[10:11], v49, v8
	v_addc_co_u32_e64 v9, s[10:11], 0, v51, s[10:11]
	flat_load_dwordx2 v[8:9], v[8:9]
.LBB798_16:
	s_or_b64 exec, exec, s[12:13]
	v_or_b32_e32 v33, 0x400, v0
	v_cmp_gt_u32_e64 s[10:11], s33, v33
                                        ; implicit-def: $vgpr10_vgpr11
	s_and_saveexec_b64 s[14:15], s[10:11]
	s_cbranch_execz .LBB798_18
; %bb.17:
	v_lshlrev_b32_e32 v10, 3, v33
	v_add_co_u32_e64 v10, s[12:13], v49, v10
	v_addc_co_u32_e64 v11, s[12:13], 0, v51, s[12:13]
	flat_load_dwordx2 v[10:11], v[10:11]
.LBB798_18:
	s_or_b64 exec, exec, s[14:15]
	v_or_b32_e32 v34, 0x500, v0
	v_cmp_gt_u32_e64 s[12:13], s33, v34
                                        ; implicit-def: $vgpr12_vgpr13
	s_and_saveexec_b64 s[16:17], s[12:13]
	s_cbranch_execz .LBB798_20
; %bb.19:
	v_lshlrev_b32_e32 v12, 3, v34
	v_add_co_u32_e64 v12, s[14:15], v49, v12
	v_addc_co_u32_e64 v13, s[14:15], 0, v51, s[14:15]
	flat_load_dwordx2 v[12:13], v[12:13]
.LBB798_20:
	s_or_b64 exec, exec, s[16:17]
	v_or_b32_e32 v35, 0x600, v0
	v_cmp_gt_u32_e64 s[14:15], s33, v35
                                        ; implicit-def: $vgpr14_vgpr15
	s_and_saveexec_b64 s[18:19], s[14:15]
	s_cbranch_execz .LBB798_22
; %bb.21:
	v_lshlrev_b32_e32 v14, 3, v35
	v_add_co_u32_e64 v14, s[16:17], v49, v14
	v_addc_co_u32_e64 v15, s[16:17], 0, v51, s[16:17]
	flat_load_dwordx2 v[14:15], v[14:15]
.LBB798_22:
	s_or_b64 exec, exec, s[18:19]
	v_or_b32_e32 v36, 0x700, v0
	v_cmp_gt_u32_e64 s[16:17], s33, v36
                                        ; implicit-def: $vgpr16_vgpr17
	s_and_saveexec_b64 s[20:21], s[16:17]
	s_cbranch_execz .LBB798_24
; %bb.23:
	v_lshlrev_b32_e32 v16, 3, v36
	v_add_co_u32_e64 v16, s[18:19], v49, v16
	v_addc_co_u32_e64 v17, s[18:19], 0, v51, s[18:19]
	flat_load_dwordx2 v[16:17], v[16:17]
.LBB798_24:
	s_or_b64 exec, exec, s[20:21]
	v_or_b32_e32 v38, 0x800, v0
	v_cmp_gt_u32_e64 s[18:19], s33, v38
                                        ; implicit-def: $vgpr18_vgpr19
	s_and_saveexec_b64 s[22:23], s[18:19]
	s_cbranch_execz .LBB798_26
; %bb.25:
	v_lshlrev_b32_e32 v18, 3, v38
	v_add_co_u32_e64 v18, s[20:21], v49, v18
	v_addc_co_u32_e64 v19, s[20:21], 0, v51, s[20:21]
	flat_load_dwordx2 v[18:19], v[18:19]
.LBB798_26:
	s_or_b64 exec, exec, s[22:23]
	v_or_b32_e32 v39, 0x900, v0
	v_cmp_gt_u32_e64 s[20:21], s33, v39
                                        ; implicit-def: $vgpr20_vgpr21
	s_and_saveexec_b64 s[24:25], s[20:21]
	s_cbranch_execz .LBB798_28
; %bb.27:
	v_lshlrev_b32_e32 v20, 3, v39
	v_add_co_u32_e64 v20, s[22:23], v49, v20
	v_addc_co_u32_e64 v21, s[22:23], 0, v51, s[22:23]
	flat_load_dwordx2 v[20:21], v[20:21]
.LBB798_28:
	s_or_b64 exec, exec, s[24:25]
	v_or_b32_e32 v40, 0xa00, v0
	v_cmp_gt_u32_e64 s[22:23], s33, v40
                                        ; implicit-def: $vgpr22_vgpr23
	s_and_saveexec_b64 s[26:27], s[22:23]
	s_cbranch_execz .LBB798_30
; %bb.29:
	v_lshlrev_b32_e32 v22, 3, v40
	v_add_co_u32_e64 v22, s[24:25], v49, v22
	v_addc_co_u32_e64 v23, s[24:25], 0, v51, s[24:25]
	flat_load_dwordx2 v[22:23], v[22:23]
.LBB798_30:
	s_or_b64 exec, exec, s[26:27]
	v_or_b32_e32 v41, 0xb00, v0
	v_cmp_gt_u32_e64 s[24:25], s33, v41
                                        ; implicit-def: $vgpr24_vgpr25
	s_and_saveexec_b64 s[28:29], s[24:25]
	s_cbranch_execz .LBB798_32
; %bb.31:
	v_lshlrev_b32_e32 v24, 3, v41
	v_add_co_u32_e64 v24, s[26:27], v49, v24
	v_addc_co_u32_e64 v25, s[26:27], 0, v51, s[26:27]
	flat_load_dwordx2 v[24:25], v[24:25]
.LBB798_32:
	s_or_b64 exec, exec, s[28:29]
	v_or_b32_e32 v42, 0xc00, v0
	v_cmp_gt_u32_e64 s[26:27], s33, v42
                                        ; implicit-def: $vgpr26_vgpr27
	s_and_saveexec_b64 s[30:31], s[26:27]
	s_cbranch_execz .LBB798_34
; %bb.33:
	v_lshlrev_b32_e32 v26, 3, v42
	v_add_co_u32_e64 v26, s[28:29], v49, v26
	v_addc_co_u32_e64 v27, s[28:29], 0, v51, s[28:29]
	flat_load_dwordx2 v[26:27], v[26:27]
.LBB798_34:
	s_or_b64 exec, exec, s[30:31]
	v_or_b32_e32 v43, 0xd00, v0
	v_cmp_gt_u32_e64 s[28:29], s33, v43
                                        ; implicit-def: $vgpr28_vgpr29
	s_and_saveexec_b64 s[34:35], s[28:29]
	s_cbranch_execz .LBB798_36
; %bb.35:
	v_lshlrev_b32_e32 v28, 3, v43
	v_add_co_u32_e64 v28, s[30:31], v49, v28
	v_addc_co_u32_e64 v29, s[30:31], 0, v51, s[30:31]
	flat_load_dwordx2 v[28:29], v[28:29]
.LBB798_36:
	s_or_b64 exec, exec, s[34:35]
	v_or_b32_e32 v44, 0xe00, v0
	v_cmp_gt_u32_e64 s[30:31], s33, v44
                                        ; implicit-def: $vgpr30_vgpr31
	s_and_saveexec_b64 s[38:39], s[30:31]
	s_cbranch_execz .LBB798_38
; %bb.37:
	v_lshlrev_b32_e32 v30, 3, v44
	v_add_co_u32_e64 v30, s[34:35], v49, v30
	v_addc_co_u32_e64 v31, s[34:35], 0, v51, s[34:35]
	flat_load_dwordx2 v[30:31], v[30:31]
.LBB798_38:
	s_or_b64 exec, exec, s[38:39]
	v_lshlrev_b32_e32 v32, 3, v0
	s_movk_i32 s34, 0x70
	s_waitcnt vmcnt(0) lgkmcnt(0)
	ds_write2st64_b64 v32, v[2:3], v[4:5] offset1:4
	ds_write2st64_b64 v32, v[6:7], v[8:9] offset0:8 offset1:12
	ds_write2st64_b64 v32, v[10:11], v[12:13] offset0:16 offset1:20
	;; [unrolled: 1-line block ×6, first 2 shown]
	ds_write_b64 v32, v[30:31] offset:28672
	v_mad_u32_u24 v30, v0, s34, v32
	s_waitcnt lgkmcnt(0)
	s_barrier
	ds_read2_b64 v[26:29], v30 offset1:1
	ds_read2_b64 v[22:25], v30 offset0:2 offset1:3
	ds_read2_b64 v[18:21], v30 offset0:4 offset1:5
	;; [unrolled: 1-line block ×6, first 2 shown]
	ds_read_b64 v[46:47], v30 offset:112
	s_waitcnt lgkmcnt(0)
	s_barrier
	s_waitcnt lgkmcnt(0)
                                        ; implicit-def: $vgpr31
	s_and_saveexec_b64 s[34:35], vcc
	s_cbranch_execz .LBB798_52
; %bb.39:
	v_lshlrev_b32_e32 v31, 2, v0
	v_add_co_u32_e32 v76, vcc, v1, v31
	v_addc_co_u32_e32 v77, vcc, 0, v53, vcc
	flat_load_dword v31, v[76:77]
	s_or_b64 exec, exec, s[34:35]
                                        ; implicit-def: $vgpr32
	s_and_saveexec_b64 s[34:35], s[4:5]
	s_cbranch_execnz .LBB798_53
.LBB798_40:
	s_or_b64 exec, exec, s[34:35]
                                        ; implicit-def: $vgpr37
	s_and_saveexec_b64 s[4:5], s[6:7]
	s_cbranch_execz .LBB798_54
.LBB798_41:
	v_lshlrev_b32_e32 v37, 2, v0
	v_add_co_u32_e32 v76, vcc, v1, v37
	v_addc_co_u32_e32 v77, vcc, 0, v53, vcc
	flat_load_dword v37, v[76:77] offset:2048
	s_or_b64 exec, exec, s[4:5]
                                        ; implicit-def: $vgpr45
	s_and_saveexec_b64 s[4:5], s[8:9]
	s_cbranch_execnz .LBB798_55
.LBB798_42:
	s_or_b64 exec, exec, s[4:5]
                                        ; implicit-def: $vgpr57
	s_and_saveexec_b64 s[4:5], s[10:11]
	s_cbranch_execz .LBB798_56
.LBB798_43:
	v_lshlrev_b32_e32 v33, 2, v33
	v_add_co_u32_e32 v76, vcc, v1, v33
	v_addc_co_u32_e32 v77, vcc, 0, v53, vcc
	flat_load_dword v57, v[76:77]
	s_or_b64 exec, exec, s[4:5]
                                        ; implicit-def: $vgpr33
	s_and_saveexec_b64 s[4:5], s[12:13]
	s_cbranch_execnz .LBB798_57
.LBB798_44:
	s_or_b64 exec, exec, s[4:5]
                                        ; implicit-def: $vgpr34
	s_and_saveexec_b64 s[4:5], s[14:15]
	s_cbranch_execz .LBB798_58
.LBB798_45:
	v_lshlrev_b32_e32 v34, 2, v35
	v_add_co_u32_e32 v34, vcc, v1, v34
	v_addc_co_u32_e32 v35, vcc, 0, v53, vcc
	flat_load_dword v34, v[34:35]
	s_or_b64 exec, exec, s[4:5]
                                        ; implicit-def: $vgpr35
	s_and_saveexec_b64 s[4:5], s[16:17]
	s_cbranch_execnz .LBB798_59
.LBB798_46:
	s_or_b64 exec, exec, s[4:5]
                                        ; implicit-def: $vgpr36
	s_and_saveexec_b64 s[4:5], s[18:19]
	s_cbranch_execz .LBB798_60
.LBB798_47:
	v_lshlrev_b32_e32 v36, 2, v38
	v_add_co_u32_e32 v76, vcc, v1, v36
	v_addc_co_u32_e32 v77, vcc, 0, v53, vcc
	flat_load_dword v36, v[76:77]
	s_or_b64 exec, exec, s[4:5]
                                        ; implicit-def: $vgpr38
	s_and_saveexec_b64 s[4:5], s[20:21]
	s_cbranch_execnz .LBB798_61
.LBB798_48:
	s_or_b64 exec, exec, s[4:5]
                                        ; implicit-def: $vgpr39
	s_and_saveexec_b64 s[4:5], s[22:23]
	s_cbranch_execz .LBB798_62
.LBB798_49:
	v_lshlrev_b32_e32 v39, 2, v40
	v_add_co_u32_e32 v76, vcc, v1, v39
	v_addc_co_u32_e32 v77, vcc, 0, v53, vcc
	flat_load_dword v39, v[76:77]
	s_or_b64 exec, exec, s[4:5]
                                        ; implicit-def: $vgpr40
	s_and_saveexec_b64 s[4:5], s[24:25]
	s_cbranch_execnz .LBB798_63
.LBB798_50:
	s_or_b64 exec, exec, s[4:5]
                                        ; implicit-def: $vgpr41
	s_and_saveexec_b64 s[4:5], s[26:27]
	s_cbranch_execz .LBB798_64
.LBB798_51:
	v_lshlrev_b32_e32 v41, 2, v42
	v_add_co_u32_e32 v76, vcc, v1, v41
	v_addc_co_u32_e32 v77, vcc, 0, v53, vcc
	flat_load_dword v41, v[76:77]
	s_or_b64 exec, exec, s[4:5]
                                        ; implicit-def: $vgpr42
	s_and_saveexec_b64 s[4:5], s[28:29]
	s_cbranch_execz .LBB798_66
	s_branch .LBB798_65
.LBB798_52:
	s_or_b64 exec, exec, s[34:35]
                                        ; implicit-def: $vgpr32
	s_and_saveexec_b64 s[34:35], s[4:5]
	s_cbranch_execz .LBB798_40
.LBB798_53:
	v_lshlrev_b32_e32 v32, 2, v0
	v_add_co_u32_e32 v76, vcc, v1, v32
	v_addc_co_u32_e32 v77, vcc, 0, v53, vcc
	flat_load_dword v32, v[76:77] offset:1024
	s_or_b64 exec, exec, s[34:35]
                                        ; implicit-def: $vgpr37
	s_and_saveexec_b64 s[4:5], s[6:7]
	s_cbranch_execnz .LBB798_41
.LBB798_54:
	s_or_b64 exec, exec, s[4:5]
                                        ; implicit-def: $vgpr45
	s_and_saveexec_b64 s[4:5], s[8:9]
	s_cbranch_execz .LBB798_42
.LBB798_55:
	v_lshlrev_b32_e32 v45, 2, v0
	v_add_co_u32_e32 v76, vcc, v1, v45
	v_addc_co_u32_e32 v77, vcc, 0, v53, vcc
	flat_load_dword v45, v[76:77] offset:3072
	s_or_b64 exec, exec, s[4:5]
                                        ; implicit-def: $vgpr57
	s_and_saveexec_b64 s[4:5], s[10:11]
	s_cbranch_execnz .LBB798_43
.LBB798_56:
	s_or_b64 exec, exec, s[4:5]
                                        ; implicit-def: $vgpr33
	s_and_saveexec_b64 s[4:5], s[12:13]
	s_cbranch_execz .LBB798_44
.LBB798_57:
	v_lshlrev_b32_e32 v33, 2, v34
	v_add_co_u32_e32 v76, vcc, v1, v33
	v_addc_co_u32_e32 v77, vcc, 0, v53, vcc
	flat_load_dword v33, v[76:77]
	s_or_b64 exec, exec, s[4:5]
                                        ; implicit-def: $vgpr34
	s_and_saveexec_b64 s[4:5], s[14:15]
	s_cbranch_execnz .LBB798_45
.LBB798_58:
	s_or_b64 exec, exec, s[4:5]
                                        ; implicit-def: $vgpr35
	s_and_saveexec_b64 s[4:5], s[16:17]
	s_cbranch_execz .LBB798_46
.LBB798_59:
	v_lshlrev_b32_e32 v35, 2, v36
	v_add_co_u32_e32 v76, vcc, v1, v35
	v_addc_co_u32_e32 v77, vcc, 0, v53, vcc
	flat_load_dword v35, v[76:77]
	s_or_b64 exec, exec, s[4:5]
                                        ; implicit-def: $vgpr36
	s_and_saveexec_b64 s[4:5], s[18:19]
	s_cbranch_execnz .LBB798_47
.LBB798_60:
	s_or_b64 exec, exec, s[4:5]
                                        ; implicit-def: $vgpr38
	s_and_saveexec_b64 s[4:5], s[20:21]
	s_cbranch_execz .LBB798_48
.LBB798_61:
	v_lshlrev_b32_e32 v38, 2, v39
	v_add_co_u32_e32 v38, vcc, v1, v38
	v_addc_co_u32_e32 v39, vcc, 0, v53, vcc
	flat_load_dword v38, v[38:39]
	s_or_b64 exec, exec, s[4:5]
                                        ; implicit-def: $vgpr39
	s_and_saveexec_b64 s[4:5], s[22:23]
	s_cbranch_execnz .LBB798_49
.LBB798_62:
	s_or_b64 exec, exec, s[4:5]
                                        ; implicit-def: $vgpr40
	s_and_saveexec_b64 s[4:5], s[24:25]
	s_cbranch_execz .LBB798_50
.LBB798_63:
	v_lshlrev_b32_e32 v40, 2, v41
	v_add_co_u32_e32 v40, vcc, v1, v40
	v_addc_co_u32_e32 v41, vcc, 0, v53, vcc
	flat_load_dword v40, v[40:41]
	s_or_b64 exec, exec, s[4:5]
                                        ; implicit-def: $vgpr41
	s_and_saveexec_b64 s[4:5], s[26:27]
	s_cbranch_execnz .LBB798_51
.LBB798_64:
	s_or_b64 exec, exec, s[4:5]
                                        ; implicit-def: $vgpr42
	s_and_saveexec_b64 s[4:5], s[28:29]
	s_cbranch_execz .LBB798_66
.LBB798_65:
	v_lshlrev_b32_e32 v42, 2, v43
	v_add_co_u32_e32 v42, vcc, v1, v42
	v_addc_co_u32_e32 v43, vcc, 0, v53, vcc
	flat_load_dword v42, v[42:43]
.LBB798_66:
	s_or_b64 exec, exec, s[4:5]
	v_mul_u32_u24_e32 v55, 15, v0
                                        ; implicit-def: $vgpr43
	s_and_saveexec_b64 s[4:5], s[30:31]
	s_cbranch_execz .LBB798_68
; %bb.67:
	v_lshlrev_b32_e32 v43, 2, v44
	v_add_co_u32_e32 v76, vcc, v1, v43
	v_addc_co_u32_e32 v77, vcc, 0, v53, vcc
	flat_load_dword v43, v[76:77]
.LBB798_68:
	s_or_b64 exec, exec, s[4:5]
	s_movk_i32 s4, 0xff8c
	v_mad_i32_i24 v1, v0, s4, v30
	v_add_u32_e32 v59, 1, v55
	v_add_u32_e32 v44, 2, v55
	;; [unrolled: 1-line block ×14, first 2 shown]
	s_waitcnt vmcnt(0) lgkmcnt(0)
	ds_write2st64_b32 v1, v31, v32 offset1:4
	ds_write2st64_b32 v1, v37, v45 offset0:8 offset1:12
	ds_write2st64_b32 v1, v57, v33 offset0:16 offset1:20
	;; [unrolled: 1-line block ×6, first 2 shown]
	ds_write_b32 v1, v43 offset:14336
	v_mov_b32_e32 v30, v26
	v_mov_b32_e32 v31, v27
	;; [unrolled: 1-line block ×14, first 2 shown]
	s_waitcnt lgkmcnt(0)
	s_barrier
.LBB798_69:
	v_lshlrev_b32_e32 v1, 2, v55
	v_lshlrev_b32_e32 v45, 2, v59
	;; [unrolled: 1-line block ×8, first 2 shown]
	ds_read_b32 v98, v1
	ds_read_b32 v97, v45
	;; [unrolled: 1-line block ×8, first 2 shown]
	v_lshlrev_b32_e32 v1, 2, v65
	v_lshlrev_b32_e32 v44, 2, v73
	;; [unrolled: 1-line block ×7, first 2 shown]
	ds_read_b32 v96, v1
	ds_read_b32 v94, v44
	;; [unrolled: 1-line block ×7, first 2 shown]
	s_cmp_eq_u64 s[40:41], 0
	s_cselect_b64 s[38:39], -1, 0
	s_cmp_lg_u64 s[40:41], 0
	s_mov_b64 s[34:35], 0
	s_cselect_b64 s[30:31], -1, 0
	s_and_b64 vcc, exec, s[48:49]
	s_waitcnt lgkmcnt(0)
	s_barrier
	s_cbranch_vccz .LBB798_75
; %bb.70:
	s_and_b64 vcc, exec, s[30:31]
	s_cbranch_vccz .LBB798_136
; %bb.71:
	v_add_co_u32_e32 v44, vcc, -8, v49
	v_addc_co_u32_e32 v45, vcc, -1, v51, vcc
	flat_load_dwordx2 v[44:45], v[44:45]
	v_lshlrev_b32_e32 v1, 3, v0
	v_cmp_ne_u64_e32 vcc, v[4:5], v[46:47]
	v_cmp_ne_u64_e64 s[4:5], v[2:3], v[4:5]
	v_cmp_ne_u64_e64 s[6:7], v[8:9], v[2:3]
	v_cmp_ne_u64_e64 s[8:9], v[6:7], v[8:9]
	v_cmp_ne_u64_e64 s[10:11], v[12:13], v[6:7]
	v_cmp_ne_u64_e64 s[12:13], v[10:11], v[12:13]
	v_cmp_ne_u64_e64 s[14:15], v[16:17], v[10:11]
	v_cmp_ne_u64_e64 s[16:17], v[14:15], v[16:17]
	v_cmp_ne_u64_e64 s[18:19], v[20:21], v[14:15]
	v_cmp_ne_u64_e64 s[20:21], v[18:19], v[20:21]
	v_cmp_ne_u64_e64 s[22:23], v[24:25], v[18:19]
	v_cmp_ne_u64_e64 s[24:25], v[22:23], v[24:25]
	v_cmp_ne_u64_e64 s[26:27], v[28:29], v[22:23]
	v_cmp_ne_u64_e64 s[28:29], v[26:27], v[28:29]
	ds_write_b64 v1, v[46:47]
	s_waitcnt lgkmcnt(0)
	s_barrier
	s_and_saveexec_b64 s[34:35], s[2:3]
	s_cbranch_execz .LBB798_73
; %bb.72:
	v_add_u32_e32 v1, -8, v1
	s_waitcnt vmcnt(0)
	ds_read_b64 v[44:45], v1
.LBB798_73:
	s_or_b64 exec, exec, s[34:35]
	v_cndmask_b32_e64 v1, 0, 1, vcc
	v_cndmask_b32_e64 v75, 0, 1, s[4:5]
	v_cndmask_b32_e64 v73, 0, 1, s[6:7]
	;; [unrolled: 1-line block ×13, first 2 shown]
	s_waitcnt vmcnt(0) lgkmcnt(0)
	v_cmp_ne_u64_e64 s[4:5], v[44:45], v[26:27]
	s_mov_b64 s[34:35], -1
.LBB798_74:
                                        ; implicit-def: $sgpr8
	s_branch .LBB798_76
.LBB798_75:
                                        ; implicit-def: $sgpr4_sgpr5
                                        ; implicit-def: $vgpr1
                                        ; implicit-def: $vgpr75
                                        ; implicit-def: $vgpr73
                                        ; implicit-def: $vgpr71
                                        ; implicit-def: $vgpr69
                                        ; implicit-def: $vgpr76
                                        ; implicit-def: $vgpr77
                                        ; implicit-def: $vgpr78
                                        ; implicit-def: $vgpr79
                                        ; implicit-def: $vgpr80
                                        ; implicit-def: $vgpr81
                                        ; implicit-def: $vgpr82
                                        ; implicit-def: $vgpr83
                                        ; implicit-def: $vgpr84
                                        ; implicit-def: $sgpr8
	s_cbranch_execnz .LBB798_140
.LBB798_76:
	v_mov_b32_e32 v70, s8
	s_and_saveexec_b64 s[2:3], s[34:35]
.LBB798_77:
	v_cndmask_b32_e64 v70, 0, 1, s[4:5]
.LBB798_78:
	s_or_b64 exec, exec, s[2:3]
	s_cmp_eq_u64 s[46:47], 0
	v_add3_u32 v30, v84, v70, v83
	s_cselect_b64 s[34:35], -1, 0
	s_cmp_lg_u32 s62, 0
	v_cmp_eq_u32_e64 s[26:27], 0, v84
	v_cmp_eq_u32_e64 s[24:25], 0, v83
	v_cmp_eq_u32_e64 s[22:23], 0, v82
	v_add3_u32 v101, v30, v82, v81
	v_cmp_eq_u32_e64 s[20:21], 0, v81
	v_cmp_eq_u32_e64 s[18:19], 0, v80
	;; [unrolled: 1-line block ×10, first 2 shown]
	v_cmp_eq_u32_e32 vcc, 0, v1
	v_mbcnt_lo_u32_b32 v100, -1, 0
	v_lshrrev_b32_e32 v72, 6, v0
	v_or_b32_e32 v74, 63, v0
	s_cbranch_scc0 .LBB798_105
; %bb.79:
	v_cndmask_b32_e64 v30, 0, v98, s[26:27]
	v_add_u32_e32 v30, v30, v97
	v_cndmask_b32_e64 v30, 0, v30, s[24:25]
	v_add_u32_e32 v30, v30, v95
	;; [unrolled: 2-line block ×11, first 2 shown]
	v_cndmask_b32_e64 v30, 0, v30, s[4:5]
	v_add3_u32 v31, v101, v80, v79
	v_add_u32_e32 v30, v30, v86
	v_add3_u32 v31, v31, v78, v77
	v_cndmask_b32_e64 v30, 0, v30, s[2:3]
	v_add3_u32 v31, v31, v76, v69
	v_add_u32_e32 v30, v30, v85
	v_add3_u32 v31, v31, v71, v73
	v_cndmask_b32_e32 v30, 0, v30, vcc
	v_add3_u32 v31, v31, v75, v1
	v_add_u32_e32 v30, v30, v99
	v_mbcnt_hi_u32_b32 v39, -1, v100
	v_and_b32_e32 v32, 15, v39
	v_mov_b32_dpp v34, v30 row_shr:1 row_mask:0xf bank_mask:0xf
	v_cmp_eq_u32_e32 vcc, 0, v31
	v_mov_b32_dpp v33, v31 row_shr:1 row_mask:0xf bank_mask:0xf
	v_cndmask_b32_e32 v34, 0, v34, vcc
	v_cmp_eq_u32_e32 vcc, 0, v32
	v_cndmask_b32_e64 v33, v33, 0, vcc
	v_add_u32_e32 v31, v33, v31
	v_cndmask_b32_e64 v33, v34, 0, vcc
	v_add_u32_e32 v30, v33, v30
	v_cmp_eq_u32_e32 vcc, 0, v31
	v_mov_b32_dpp v33, v31 row_shr:2 row_mask:0xf bank_mask:0xf
	v_cmp_lt_u32_e64 s[28:29], 1, v32
	v_mov_b32_dpp v34, v30 row_shr:2 row_mask:0xf bank_mask:0xf
	v_cndmask_b32_e64 v33, 0, v33, s[28:29]
	s_and_b64 vcc, s[28:29], vcc
	v_cndmask_b32_e32 v34, 0, v34, vcc
	v_add_u32_e32 v31, v31, v33
	v_add_u32_e32 v30, v34, v30
	v_cmp_eq_u32_e32 vcc, 0, v31
	v_mov_b32_dpp v33, v31 row_shr:4 row_mask:0xf bank_mask:0xf
	v_cmp_lt_u32_e64 s[28:29], 3, v32
	v_mov_b32_dpp v34, v30 row_shr:4 row_mask:0xf bank_mask:0xf
	v_cndmask_b32_e64 v33, 0, v33, s[28:29]
	s_and_b64 vcc, s[28:29], vcc
	v_cndmask_b32_e32 v34, 0, v34, vcc
	v_add_u32_e32 v31, v33, v31
	v_add_u32_e32 v30, v30, v34
	v_cmp_eq_u32_e32 vcc, 0, v31
	v_cmp_lt_u32_e64 s[28:29], 7, v32
	v_mov_b32_dpp v33, v31 row_shr:8 row_mask:0xf bank_mask:0xf
	v_mov_b32_dpp v34, v30 row_shr:8 row_mask:0xf bank_mask:0xf
	s_and_b64 vcc, s[28:29], vcc
	v_cndmask_b32_e64 v32, 0, v33, s[28:29]
	v_cndmask_b32_e32 v33, 0, v34, vcc
	v_add_u32_e32 v30, v33, v30
	v_add_u32_e32 v31, v32, v31
	v_bfe_i32 v34, v39, 4, 1
	v_mov_b32_dpp v33, v30 row_bcast:15 row_mask:0xf bank_mask:0xf
	v_mov_b32_dpp v32, v31 row_bcast:15 row_mask:0xf bank_mask:0xf
	v_cmp_eq_u32_e32 vcc, 0, v31
	v_cndmask_b32_e32 v33, 0, v33, vcc
	v_and_b32_e32 v32, v34, v32
	v_add_u32_e32 v31, v32, v31
	v_and_b32_e32 v32, v34, v33
	v_add_u32_e32 v32, v32, v30
	v_mov_b32_dpp v30, v31 row_bcast:31 row_mask:0xf bank_mask:0xf
	v_cmp_eq_u32_e32 vcc, 0, v31
	v_cmp_lt_u32_e64 s[28:29], 31, v39
	v_mov_b32_dpp v33, v32 row_bcast:31 row_mask:0xf bank_mask:0xf
	v_cndmask_b32_e64 v30, 0, v30, s[28:29]
	s_and_b64 vcc, s[28:29], vcc
	v_add_u32_e32 v30, v30, v31
	v_cndmask_b32_e32 v31, 0, v33, vcc
	v_add_u32_e32 v31, v31, v32
	v_cmp_eq_u32_e32 vcc, v74, v0
	v_lshlrev_b32_e32 v32, 3, v72
	s_and_saveexec_b64 s[28:29], vcc
	s_cbranch_execz .LBB798_81
; %bb.80:
	ds_write_b64 v32, v[30:31] offset:4112
.LBB798_81:
	s_or_b64 exec, exec, s[28:29]
	v_cmp_gt_u32_e32 vcc, 4, v0
	s_waitcnt lgkmcnt(0)
	s_barrier
	s_and_saveexec_b64 s[30:31], vcc
	s_cbranch_execz .LBB798_83
; %bb.82:
	v_lshlrev_b32_e32 v33, 3, v0
	ds_read_b64 v[34:35], v33 offset:4112
	v_and_b32_e32 v36, 3, v39
	v_cmp_lt_u32_e64 s[28:29], 1, v36
	s_waitcnt lgkmcnt(0)
	v_mov_b32_dpp v38, v35 row_shr:1 row_mask:0xf bank_mask:0xf
	v_cmp_eq_u32_e32 vcc, 0, v34
	v_mov_b32_dpp v37, v34 row_shr:1 row_mask:0xf bank_mask:0xf
	v_cndmask_b32_e32 v38, 0, v38, vcc
	v_cmp_eq_u32_e32 vcc, 0, v36
	v_cndmask_b32_e64 v37, v37, 0, vcc
	v_add_u32_e32 v34, v37, v34
	v_cndmask_b32_e64 v37, v38, 0, vcc
	v_add_u32_e32 v35, v37, v35
	v_cmp_eq_u32_e32 vcc, 0, v34
	v_mov_b32_dpp v37, v34 row_shr:2 row_mask:0xf bank_mask:0xf
	v_mov_b32_dpp v38, v35 row_shr:2 row_mask:0xf bank_mask:0xf
	v_cndmask_b32_e64 v36, 0, v37, s[28:29]
	s_and_b64 vcc, s[28:29], vcc
	v_add_u32_e32 v34, v36, v34
	v_cndmask_b32_e32 v36, 0, v38, vcc
	v_add_u32_e32 v35, v36, v35
	ds_write_b64 v33, v[34:35] offset:4112
.LBB798_83:
	s_or_b64 exec, exec, s[30:31]
	v_cmp_gt_u32_e32 vcc, 64, v0
	v_cmp_lt_u32_e64 s[28:29], 63, v0
	v_mov_b32_e32 v36, 0
	v_mov_b32_e32 v37, 0
	s_waitcnt lgkmcnt(0)
	s_barrier
	s_and_saveexec_b64 s[30:31], s[28:29]
	s_cbranch_execz .LBB798_85
; %bb.84:
	ds_read_b64 v[36:37], v32 offset:4104
	v_cmp_eq_u32_e64 s[28:29], 0, v30
	s_waitcnt lgkmcnt(0)
	v_add_u32_e32 v32, v36, v30
	v_cndmask_b32_e64 v30, 0, v37, s[28:29]
	v_add_u32_e32 v31, v30, v31
	v_mov_b32_e32 v30, v32
.LBB798_85:
	s_or_b64 exec, exec, s[30:31]
	v_add_u32_e32 v32, -1, v39
	v_and_b32_e32 v33, 64, v39
	v_cmp_lt_i32_e64 s[28:29], v32, v33
	v_cndmask_b32_e64 v32, v32, v39, s[28:29]
	v_lshlrev_b32_e32 v32, 2, v32
	ds_bpermute_b32 v44, v32, v30
	ds_bpermute_b32 v45, v32, v31
	v_cmp_eq_u32_e64 s[28:29], 0, v39
	s_and_saveexec_b64 s[40:41], vcc
	s_cbranch_execz .LBB798_104
; %bb.86:
	v_mov_b32_e32 v35, 0
	ds_read_b64 v[30:31], v35 offset:4136
	s_waitcnt lgkmcnt(0)
	v_readfirstlane_b32 s48, v30
	v_readfirstlane_b32 s49, v31
	s_and_saveexec_b64 s[30:31], s[28:29]
	s_cbranch_execz .LBB798_88
; %bb.87:
	s_add_i32 s46, s62, 64
	s_mov_b32 s47, 0
	s_lshl_b64 s[50:51], s[46:47], 4
	s_add_u32 s50, s44, s50
	s_addc_u32 s51, s45, s51
	s_and_b32 s57, s49, 0xff000000
	s_mov_b32 s56, s47
	s_and_b32 s65, s49, 0xff0000
	s_mov_b32 s64, s47
	s_or_b64 s[56:57], s[64:65], s[56:57]
	s_and_b32 s65, s49, 0xff00
	s_or_b64 s[56:57], s[56:57], s[64:65]
	s_and_b32 s65, s49, 0xff
	s_or_b64 s[46:47], s[56:57], s[64:65]
	v_mov_b32_e32 v32, s48
	v_mov_b32_e32 v33, s47
	;; [unrolled: 1-line block ×3, first 2 shown]
	v_pk_mov_b32 v[30:31], s[50:51], s[50:51] op_sel:[0,1]
	;;#ASMSTART
	global_store_dwordx4 v[30:31], v[32:35] off	
s_waitcnt vmcnt(0)
	;;#ASMEND
.LBB798_88:
	s_or_b64 exec, exec, s[30:31]
	v_xad_u32 v38, v39, -1, s62
	v_add_u32_e32 v34, 64, v38
	v_lshlrev_b64 v[30:31], 4, v[34:35]
	v_mov_b32_e32 v32, s45
	v_add_co_u32_e32 v40, vcc, s44, v30
	v_addc_co_u32_e32 v41, vcc, v32, v31, vcc
	;;#ASMSTART
	global_load_dwordx4 v[30:33], v[40:41] off glc	
s_waitcnt vmcnt(0)
	;;#ASMEND
	v_and_b32_e32 v33, 0xff, v31
	v_and_b32_e32 v34, 0xff00, v31
	;; [unrolled: 1-line block ×3, first 2 shown]
	v_or3_b32 v33, 0, v33, v34
	v_or3_b32 v30, v30, 0, 0
	v_and_b32_e32 v31, 0xff000000, v31
	v_or3_b32 v31, v33, v42, v31
	v_or3_b32 v30, v30, 0, 0
	v_cmp_eq_u16_sdwa s[46:47], v32, v35 src0_sel:BYTE_0 src1_sel:DWORD
	s_and_saveexec_b64 s[30:31], s[46:47]
	s_cbranch_execz .LBB798_92
; %bb.89:
	s_mov_b64 s[46:47], 0
	v_mov_b32_e32 v34, 0
.LBB798_90:                             ; =>This Inner Loop Header: Depth=1
	;;#ASMSTART
	global_load_dwordx4 v[30:33], v[40:41] off glc	
s_waitcnt vmcnt(0)
	;;#ASMEND
	v_cmp_ne_u16_sdwa s[50:51], v32, v34 src0_sel:BYTE_0 src1_sel:DWORD
	s_or_b64 s[46:47], s[50:51], s[46:47]
	s_andn2_b64 exec, exec, s[46:47]
	s_cbranch_execnz .LBB798_90
; %bb.91:
	s_or_b64 exec, exec, s[46:47]
.LBB798_92:
	s_or_b64 exec, exec, s[30:31]
	v_mov_b32_e32 v48, 2
	v_cmp_eq_u16_sdwa s[30:31], v32, v48 src0_sel:BYTE_0 src1_sel:DWORD
	v_lshlrev_b64 v[40:41], v39, -1
	v_and_b32_e32 v33, s31, v41
	v_and_b32_e32 v49, 63, v39
	v_or_b32_e32 v33, 0x80000000, v33
	v_cmp_ne_u32_e32 vcc, 63, v49
	v_and_b32_e32 v34, s30, v40
	v_ffbl_b32_e32 v33, v33
	v_addc_co_u32_e32 v35, vcc, 0, v39, vcc
	v_add_u32_e32 v33, 32, v33
	v_ffbl_b32_e32 v34, v34
	v_lshlrev_b32_e32 v50, 2, v35
	v_min_u32_e32 v33, v34, v33
	ds_bpermute_b32 v34, v50, v31
	v_cmp_eq_u32_e32 vcc, 0, v30
	v_cmp_lt_u32_e64 s[30:31], v49, v33
	ds_bpermute_b32 v35, v50, v30
	s_and_b64 vcc, s[30:31], vcc
	s_waitcnt lgkmcnt(1)
	v_cndmask_b32_e32 v34, 0, v34, vcc
	v_cmp_gt_u32_e32 vcc, 62, v49
	v_add_u32_e32 v31, v34, v31
	v_cndmask_b32_e64 v34, 0, 1, vcc
	v_lshlrev_b32_e32 v34, 1, v34
	v_add_lshl_u32 v51, v34, v39, 2
	s_waitcnt lgkmcnt(0)
	v_cndmask_b32_e64 v35, 0, v35, s[30:31]
	ds_bpermute_b32 v34, v51, v31
	v_add_u32_e32 v30, v35, v30
	ds_bpermute_b32 v35, v51, v30
	v_add_u32_e32 v52, 2, v49
	v_cmp_eq_u32_e32 vcc, 0, v30
	s_waitcnt lgkmcnt(1)
	v_cndmask_b32_e32 v34, 0, v34, vcc
	v_cmp_gt_u32_e32 vcc, v52, v33
	v_cndmask_b32_e64 v34, v34, 0, vcc
	v_add_u32_e32 v31, v34, v31
	s_waitcnt lgkmcnt(0)
	v_cndmask_b32_e64 v34, v35, 0, vcc
	v_cmp_gt_u32_e32 vcc, 60, v49
	v_cndmask_b32_e64 v35, 0, 1, vcc
	v_lshlrev_b32_e32 v35, 2, v35
	v_add_lshl_u32 v53, v35, v39, 2
	ds_bpermute_b32 v35, v53, v31
	v_add_u32_e32 v30, v30, v34
	ds_bpermute_b32 v34, v53, v30
	v_add_u32_e32 v54, 4, v49
	v_cmp_eq_u32_e32 vcc, 0, v30
	s_waitcnt lgkmcnt(1)
	v_cndmask_b32_e32 v35, 0, v35, vcc
	v_cmp_gt_u32_e32 vcc, v54, v33
	v_cndmask_b32_e64 v35, v35, 0, vcc
	s_waitcnt lgkmcnt(0)
	v_cndmask_b32_e64 v34, v34, 0, vcc
	v_cmp_gt_u32_e32 vcc, 56, v49
	v_add_u32_e32 v31, v31, v35
	v_cndmask_b32_e64 v35, 0, 1, vcc
	v_lshlrev_b32_e32 v35, 3, v35
	v_add_lshl_u32 v55, v35, v39, 2
	ds_bpermute_b32 v35, v55, v31
	v_add_u32_e32 v30, v30, v34
	ds_bpermute_b32 v34, v55, v30
	v_add_u32_e32 v56, 8, v49
	v_cmp_eq_u32_e32 vcc, 0, v30
	s_waitcnt lgkmcnt(1)
	v_cndmask_b32_e32 v35, 0, v35, vcc
	v_cmp_gt_u32_e32 vcc, v56, v33
	v_cndmask_b32_e64 v35, v35, 0, vcc
	s_waitcnt lgkmcnt(0)
	v_cndmask_b32_e64 v34, v34, 0, vcc
	v_cmp_gt_u32_e32 vcc, 48, v49
	v_add_u32_e32 v31, v31, v35
	;; [unrolled: 16-line block ×3, first 2 shown]
	v_cndmask_b32_e64 v35, 0, 1, vcc
	v_lshlrev_b32_e32 v35, 5, v35
	v_add_lshl_u32 v59, v35, v39, 2
	ds_bpermute_b32 v35, v59, v31
	v_add_u32_e32 v30, v30, v34
	ds_bpermute_b32 v34, v59, v30
	v_add_u32_e32 v60, 32, v49
	v_cmp_eq_u32_e32 vcc, 0, v30
	s_waitcnt lgkmcnt(1)
	v_cndmask_b32_e32 v35, 0, v35, vcc
	v_cmp_gt_u32_e32 vcc, v60, v33
	v_cndmask_b32_e64 v33, v35, 0, vcc
	v_add_u32_e32 v31, v33, v31
	s_waitcnt lgkmcnt(0)
	v_cndmask_b32_e64 v33, v34, 0, vcc
	v_add_u32_e32 v30, v33, v30
	v_mov_b32_e32 v39, 0
	s_branch .LBB798_94
.LBB798_93:                             ;   in Loop: Header=BB798_94 Depth=1
	s_or_b64 exec, exec, s[30:31]
	v_cmp_eq_u16_sdwa s[30:31], v32, v48 src0_sel:BYTE_0 src1_sel:DWORD
	v_and_b32_e32 v33, s31, v41
	v_or_b32_e32 v33, 0x80000000, v33
	v_and_b32_e32 v42, s30, v40
	v_ffbl_b32_e32 v33, v33
	v_add_u32_e32 v33, 32, v33
	v_ffbl_b32_e32 v42, v42
	v_min_u32_e32 v33, v42, v33
	ds_bpermute_b32 v42, v50, v31
	v_cmp_eq_u32_e32 vcc, 0, v30
	v_cmp_lt_u32_e64 s[30:31], v49, v33
	ds_bpermute_b32 v43, v50, v30
	s_and_b64 vcc, s[30:31], vcc
	s_waitcnt lgkmcnt(1)
	v_cndmask_b32_e32 v42, 0, v42, vcc
	v_add_u32_e32 v31, v42, v31
	ds_bpermute_b32 v42, v51, v31
	s_waitcnt lgkmcnt(1)
	v_cndmask_b32_e64 v43, 0, v43, s[30:31]
	v_add_u32_e32 v30, v43, v30
	v_cmp_eq_u32_e32 vcc, 0, v30
	ds_bpermute_b32 v43, v51, v30
	s_waitcnt lgkmcnt(1)
	v_cndmask_b32_e32 v42, 0, v42, vcc
	v_cmp_gt_u32_e32 vcc, v52, v33
	v_cndmask_b32_e64 v42, v42, 0, vcc
	v_add_u32_e32 v31, v42, v31
	ds_bpermute_b32 v42, v53, v31
	s_waitcnt lgkmcnt(1)
	v_cndmask_b32_e64 v43, v43, 0, vcc
	v_add_u32_e32 v30, v30, v43
	v_cmp_eq_u32_e32 vcc, 0, v30
	ds_bpermute_b32 v43, v53, v30
	s_waitcnt lgkmcnt(1)
	v_cndmask_b32_e32 v42, 0, v42, vcc
	v_cmp_gt_u32_e32 vcc, v54, v33
	v_cndmask_b32_e64 v42, v42, 0, vcc
	v_add_u32_e32 v31, v31, v42
	ds_bpermute_b32 v42, v55, v31
	s_waitcnt lgkmcnt(1)
	v_cndmask_b32_e64 v43, v43, 0, vcc
	v_add_u32_e32 v30, v30, v43
	ds_bpermute_b32 v43, v55, v30
	v_cmp_eq_u32_e32 vcc, 0, v30
	s_waitcnt lgkmcnt(1)
	v_cndmask_b32_e32 v42, 0, v42, vcc
	v_cmp_gt_u32_e32 vcc, v56, v33
	v_cndmask_b32_e64 v42, v42, 0, vcc
	v_add_u32_e32 v31, v31, v42
	ds_bpermute_b32 v42, v57, v31
	s_waitcnt lgkmcnt(1)
	v_cndmask_b32_e64 v43, v43, 0, vcc
	v_add_u32_e32 v30, v30, v43
	ds_bpermute_b32 v43, v57, v30
	v_cmp_eq_u32_e32 vcc, 0, v30
	;; [unrolled: 11-line block ×3, first 2 shown]
	s_waitcnt lgkmcnt(1)
	v_cndmask_b32_e32 v42, 0, v42, vcc
	v_cmp_gt_u32_e32 vcc, v60, v33
	v_cndmask_b32_e64 v33, v42, 0, vcc
	v_add_u32_e32 v31, v33, v31
	s_waitcnt lgkmcnt(0)
	v_cndmask_b32_e64 v33, v43, 0, vcc
	v_cmp_eq_u32_e32 vcc, 0, v34
	v_cndmask_b32_e32 v31, 0, v31, vcc
	v_subrev_u32_e32 v38, 64, v38
	v_add3_u32 v30, v30, v34, v33
	v_add_u32_e32 v31, v31, v35
.LBB798_94:                             ; =>This Loop Header: Depth=1
                                        ;     Child Loop BB798_97 Depth 2
	v_cmp_ne_u16_sdwa s[30:31], v32, v48 src0_sel:BYTE_0 src1_sel:DWORD
	v_mov_b32_e32 v35, v31
	v_cndmask_b32_e64 v31, 0, 1, s[30:31]
	;;#ASMSTART
	;;#ASMEND
	v_cmp_ne_u32_e32 vcc, 0, v31
	s_cmp_lg_u64 vcc, exec
	v_mov_b32_e32 v34, v30
	s_cbranch_scc1 .LBB798_99
; %bb.95:                               ;   in Loop: Header=BB798_94 Depth=1
	v_lshlrev_b64 v[30:31], 4, v[38:39]
	v_mov_b32_e32 v32, s45
	v_add_co_u32_e32 v42, vcc, s44, v30
	v_addc_co_u32_e32 v43, vcc, v32, v31, vcc
	;;#ASMSTART
	global_load_dwordx4 v[30:33], v[42:43] off glc	
s_waitcnt vmcnt(0)
	;;#ASMEND
	v_and_b32_e32 v33, 0xff, v31
	v_and_b32_e32 v61, 0xff00, v31
	;; [unrolled: 1-line block ×3, first 2 shown]
	v_or3_b32 v33, 0, v33, v61
	v_or3_b32 v30, v30, 0, 0
	v_and_b32_e32 v31, 0xff000000, v31
	v_or3_b32 v31, v33, v62, v31
	v_or3_b32 v30, v30, 0, 0
	v_cmp_eq_u16_sdwa s[46:47], v32, v39 src0_sel:BYTE_0 src1_sel:DWORD
	s_and_saveexec_b64 s[30:31], s[46:47]
	s_cbranch_execz .LBB798_93
; %bb.96:                               ;   in Loop: Header=BB798_94 Depth=1
	s_mov_b64 s[46:47], 0
.LBB798_97:                             ;   Parent Loop BB798_94 Depth=1
                                        ; =>  This Inner Loop Header: Depth=2
	;;#ASMSTART
	global_load_dwordx4 v[30:33], v[42:43] off glc	
s_waitcnt vmcnt(0)
	;;#ASMEND
	v_cmp_ne_u16_sdwa s[50:51], v32, v39 src0_sel:BYTE_0 src1_sel:DWORD
	s_or_b64 s[46:47], s[50:51], s[46:47]
	s_andn2_b64 exec, exec, s[46:47]
	s_cbranch_execnz .LBB798_97
; %bb.98:                               ;   in Loop: Header=BB798_94 Depth=1
	s_or_b64 exec, exec, s[46:47]
	s_branch .LBB798_93
.LBB798_99:                             ;   in Loop: Header=BB798_94 Depth=1
                                        ; implicit-def: $vgpr31
                                        ; implicit-def: $vgpr30
                                        ; implicit-def: $vgpr32
	s_cbranch_execz .LBB798_94
; %bb.100:
	s_and_saveexec_b64 s[30:31], s[28:29]
	s_cbranch_execz .LBB798_102
; %bb.101:
	s_cmp_eq_u32 s48, 0
	s_cselect_b64 vcc, -1, 0
	s_mov_b32 s47, 0
	v_cndmask_b32_e32 v30, 0, v35, vcc
	s_add_i32 s46, s62, 64
	v_add_u32_e32 v30, s49, v30
	s_lshl_b64 s[46:47], s[46:47], 4
	s_add_u32 s46, s44, s46
	v_and_b32_e32 v31, 0xff000000, v30
	v_and_b32_e32 v32, 0xff0000, v30
	s_addc_u32 s47, s45, s47
	v_or_b32_e32 v31, v32, v31
	v_and_b32_e32 v32, 0xff00, v30
	v_and_b32_e32 v30, 0xff, v30
	v_add_u32_e32 v38, s48, v34
	v_mov_b32_e32 v41, 0
	v_or3_b32 v39, v31, v32, v30
	v_mov_b32_e32 v40, 2
	v_pk_mov_b32 v[30:31], s[46:47], s[46:47] op_sel:[0,1]
	;;#ASMSTART
	global_store_dwordx4 v[30:31], v[38:41] off	
s_waitcnt vmcnt(0)
	;;#ASMEND
	v_mov_b32_e32 v32, s48
	v_mov_b32_e32 v33, s49
	ds_write_b128 v41, v[32:35] offset:4096
.LBB798_102:
	s_or_b64 exec, exec, s[30:31]
	s_and_b64 exec, exec, s[0:1]
	s_cbranch_execz .LBB798_104
; %bb.103:
	v_mov_b32_e32 v30, 0
	ds_write_b64 v30, v[34:35] offset:4136
.LBB798_104:
	s_or_b64 exec, exec, s[40:41]
	v_mov_b32_e32 v32, 0
	s_waitcnt lgkmcnt(0)
	s_barrier
	ds_read_b64 v[30:31], v32 offset:4136
	v_cndmask_b32_e64 v34, v44, v36, s[28:29]
	v_cmp_eq_u32_e32 vcc, 0, v34
	v_cndmask_b32_e64 v33, v45, v37, s[28:29]
	s_waitcnt lgkmcnt(0)
	v_cndmask_b32_e32 v35, 0, v31, vcc
	v_add_u32_e32 v33, v35, v33
	v_cndmask_b32_e64 v67, v33, v31, s[0:1]
	v_cndmask_b32_e64 v31, v34, 0, s[0:1]
	v_cmp_eq_u32_e32 vcc, 0, v70
	v_add_u32_e32 v66, v30, v31
	v_cndmask_b32_e32 v30, 0, v67, vcc
	v_add_u32_e32 v65, v30, v98
	v_cndmask_b32_e64 v30, 0, v65, s[26:27]
	v_add_u32_e32 v63, v30, v97
	v_cndmask_b32_e64 v30, 0, v63, s[24:25]
	v_add_u32_e32 v61, v30, v95
	v_cndmask_b32_e64 v30, 0, v61, s[22:23]
	v_add_u32_e32 v59, v30, v93
	v_cndmask_b32_e64 v30, 0, v59, s[20:21]
	v_add_u32_e32 v57, v30, v91
	v_cndmask_b32_e64 v30, 0, v57, s[18:19]
	v_add_u32_e32 v55, v30, v89
	v_cndmask_b32_e64 v30, 0, v55, s[16:17]
	v_add_u32_e32 v53, v30, v88
	v_cndmask_b32_e64 v30, 0, v53, s[14:15]
	v_add_u32_e32 v51, v30, v87
	v_cndmask_b32_e64 v30, 0, v51, s[12:13]
	v_add_u32_e32 v64, v66, v70
	v_add_u32_e32 v49, v30, v96
	v_add_u32_e32 v62, v64, v84
	v_cndmask_b32_e64 v30, 0, v49, s[10:11]
	v_add_u32_e32 v60, v62, v83
	v_add_u32_e32 v45, v30, v94
	v_add_u32_e32 v58, v60, v82
	v_cndmask_b32_e64 v30, 0, v45, s[8:9]
	;; [unrolled: 4-line block ×3, first 2 shown]
	v_add_u32_e32 v52, v54, v79
	v_add_u32_e32 v41, v30, v90
	s_barrier
	ds_read_b128 v[30:33], v32 offset:4096
	v_add_u32_e32 v50, v52, v78
	v_add_u32_e32 v48, v50, v77
	;; [unrolled: 1-line block ×4, first 2 shown]
	v_cndmask_b32_e64 v34, 0, v41, s[4:5]
	v_add_u32_e32 v40, v42, v71
	v_add_u32_e32 v39, v34, v86
	s_waitcnt lgkmcnt(0)
	v_cmp_eq_u32_e32 vcc, 0, v30
	v_add_u32_e32 v38, v40, v73
	v_cndmask_b32_e64 v34, 0, v39, s[2:3]
	v_cndmask_b32_e32 v33, 0, v33, vcc
	v_add_u32_e32 v36, v38, v75
	v_add_u32_e32 v37, v34, v85
	;; [unrolled: 1-line block ×3, first 2 shown]
	s_branch .LBB798_117
.LBB798_105:
                                        ; implicit-def: $vgpr30
                                        ; implicit-def: $vgpr68
                                        ; implicit-def: $vgpr66_vgpr67
                                        ; implicit-def: $vgpr64_vgpr65
                                        ; implicit-def: $vgpr62_vgpr63
                                        ; implicit-def: $vgpr60_vgpr61
                                        ; implicit-def: $vgpr58_vgpr59
                                        ; implicit-def: $vgpr56_vgpr57
                                        ; implicit-def: $vgpr54_vgpr55
                                        ; implicit-def: $vgpr52_vgpr53
                                        ; implicit-def: $vgpr50_vgpr51
                                        ; implicit-def: $vgpr48_vgpr49
                                        ; implicit-def: $vgpr44_vgpr45
                                        ; implicit-def: $vgpr42_vgpr43
                                        ; implicit-def: $vgpr40_vgpr41
                                        ; implicit-def: $vgpr38_vgpr39
                                        ; implicit-def: $vgpr36_vgpr37
	s_cbranch_execz .LBB798_117
; %bb.106:
	s_and_b64 s[2:3], s[34:35], exec
	s_cselect_b32 s3, 0, s61
	s_cselect_b32 s2, 0, s60
	s_cmp_eq_u64 s[2:3], 0
	v_mov_b32_e32 v34, v98
	s_cbranch_scc1 .LBB798_108
; %bb.107:
	v_mov_b32_e32 v30, 0
	global_load_dword v34, v30, s[2:3]
.LBB798_108:
	v_cmp_eq_u32_e64 s[2:3], 0, v84
	v_cndmask_b32_e64 v30, 0, v98, s[2:3]
	v_add_u32_e32 v30, v30, v97
	v_cmp_eq_u32_e64 s[4:5], 0, v83
	v_cndmask_b32_e64 v30, 0, v30, s[4:5]
	v_add_u32_e32 v30, v30, v95
	v_cmp_eq_u32_e64 s[6:7], 0, v82
	v_cndmask_b32_e64 v30, 0, v30, s[6:7]
	v_add_u32_e32 v30, v30, v93
	v_cmp_eq_u32_e64 s[8:9], 0, v81
	v_cndmask_b32_e64 v30, 0, v30, s[8:9]
	v_add_u32_e32 v30, v30, v91
	v_cmp_eq_u32_e64 s[10:11], 0, v80
	v_cndmask_b32_e64 v30, 0, v30, s[10:11]
	v_add_u32_e32 v30, v30, v89
	v_cmp_eq_u32_e64 s[12:13], 0, v79
	v_cndmask_b32_e64 v30, 0, v30, s[12:13]
	v_add_u32_e32 v30, v30, v88
	v_cmp_eq_u32_e64 s[14:15], 0, v78
	v_cndmask_b32_e64 v30, 0, v30, s[14:15]
	v_add_u32_e32 v30, v30, v87
	v_cmp_eq_u32_e64 s[16:17], 0, v77
	v_cndmask_b32_e64 v30, 0, v30, s[16:17]
	v_add_u32_e32 v30, v30, v96
	v_cmp_eq_u32_e64 s[18:19], 0, v76
	v_cndmask_b32_e64 v30, 0, v30, s[18:19]
	v_add_u32_e32 v30, v30, v94
	v_cmp_eq_u32_e64 s[20:21], 0, v69
	v_cndmask_b32_e64 v30, 0, v30, s[20:21]
	v_add_u32_e32 v30, v30, v92
	v_cmp_eq_u32_e64 s[22:23], 0, v71
	v_cndmask_b32_e64 v30, 0, v30, s[22:23]
	v_add_u32_e32 v30, v30, v90
	v_cmp_eq_u32_e64 s[24:25], 0, v73
	v_cndmask_b32_e64 v30, 0, v30, s[24:25]
	v_add3_u32 v31, v101, v80, v79
	v_add_u32_e32 v30, v30, v86
	v_cmp_eq_u32_e32 vcc, 0, v75
	v_add3_u32 v31, v31, v78, v77
	v_cndmask_b32_e32 v30, 0, v30, vcc
	v_add3_u32 v31, v31, v76, v69
	v_add_u32_e32 v30, v30, v85
	v_cmp_eq_u32_e64 s[26:27], 0, v1
	v_add3_u32 v31, v31, v71, v73
	v_cndmask_b32_e64 v30, 0, v30, s[26:27]
	v_add3_u32 v31, v31, v75, v1
	v_add_u32_e32 v30, v30, v99
	v_mbcnt_hi_u32_b32 v35, -1, v100
	v_and_b32_e32 v32, 15, v35
	v_mov_b32_dpp v36, v30 row_shr:1 row_mask:0xf bank_mask:0xf
	v_cmp_eq_u32_e64 s[26:27], 0, v31
	v_mov_b32_dpp v33, v31 row_shr:1 row_mask:0xf bank_mask:0xf
	v_cndmask_b32_e64 v36, 0, v36, s[26:27]
	v_cmp_eq_u32_e64 s[26:27], 0, v32
	v_cndmask_b32_e64 v33, v33, 0, s[26:27]
	v_add_u32_e32 v31, v33, v31
	v_cndmask_b32_e64 v33, v36, 0, s[26:27]
	v_add_u32_e32 v30, v33, v30
	v_cmp_eq_u32_e64 s[26:27], 0, v31
	v_mov_b32_dpp v33, v31 row_shr:2 row_mask:0xf bank_mask:0xf
	v_cmp_lt_u32_e64 s[28:29], 1, v32
	v_mov_b32_dpp v36, v30 row_shr:2 row_mask:0xf bank_mask:0xf
	v_cndmask_b32_e64 v33, 0, v33, s[28:29]
	s_and_b64 s[26:27], s[28:29], s[26:27]
	v_cndmask_b32_e64 v36, 0, v36, s[26:27]
	v_add_u32_e32 v31, v31, v33
	v_add_u32_e32 v30, v36, v30
	v_cmp_eq_u32_e64 s[26:27], 0, v31
	v_mov_b32_dpp v33, v31 row_shr:4 row_mask:0xf bank_mask:0xf
	v_cmp_lt_u32_e64 s[28:29], 3, v32
	v_mov_b32_dpp v36, v30 row_shr:4 row_mask:0xf bank_mask:0xf
	v_cndmask_b32_e64 v33, 0, v33, s[28:29]
	s_and_b64 s[26:27], s[28:29], s[26:27]
	v_cndmask_b32_e64 v36, 0, v36, s[26:27]
	v_add_u32_e32 v31, v33, v31
	v_add_u32_e32 v30, v30, v36
	v_cmp_eq_u32_e64 s[26:27], 0, v31
	v_cmp_lt_u32_e64 s[28:29], 7, v32
	v_mov_b32_dpp v33, v31 row_shr:8 row_mask:0xf bank_mask:0xf
	v_mov_b32_dpp v36, v30 row_shr:8 row_mask:0xf bank_mask:0xf
	s_and_b64 s[26:27], s[28:29], s[26:27]
	v_cndmask_b32_e64 v32, 0, v33, s[28:29]
	v_cndmask_b32_e64 v33, 0, v36, s[26:27]
	v_add_u32_e32 v30, v33, v30
	v_add_u32_e32 v31, v32, v31
	v_bfe_i32 v36, v35, 4, 1
	v_mov_b32_dpp v33, v30 row_bcast:15 row_mask:0xf bank_mask:0xf
	v_mov_b32_dpp v32, v31 row_bcast:15 row_mask:0xf bank_mask:0xf
	v_cmp_eq_u32_e64 s[26:27], 0, v31
	v_cndmask_b32_e64 v33, 0, v33, s[26:27]
	v_and_b32_e32 v32, v36, v32
	v_add_u32_e32 v31, v32, v31
	v_and_b32_e32 v32, v36, v33
	v_add_u32_e32 v32, v32, v30
	v_mov_b32_dpp v30, v31 row_bcast:31 row_mask:0xf bank_mask:0xf
	v_cmp_eq_u32_e64 s[26:27], 0, v31
	v_cmp_lt_u32_e64 s[28:29], 31, v35
	v_mov_b32_dpp v33, v32 row_bcast:31 row_mask:0xf bank_mask:0xf
	v_cndmask_b32_e64 v30, 0, v30, s[28:29]
	s_and_b64 s[26:27], s[28:29], s[26:27]
	v_add_u32_e32 v30, v30, v31
	v_cndmask_b32_e64 v31, 0, v33, s[26:27]
	v_add_u32_e32 v31, v31, v32
	v_cmp_eq_u32_e64 s[26:27], v74, v0
	v_lshlrev_b32_e32 v33, 3, v72
	s_and_saveexec_b64 s[28:29], s[26:27]
	s_cbranch_execz .LBB798_110
; %bb.109:
	ds_write_b64 v33, v[30:31] offset:4112
.LBB798_110:
	s_or_b64 exec, exec, s[28:29]
	v_cmp_gt_u32_e64 s[26:27], 4, v0
	s_waitcnt lgkmcnt(0)
	s_barrier
	s_and_saveexec_b64 s[30:31], s[26:27]
	s_cbranch_execz .LBB798_112
; %bb.111:
	v_lshlrev_b32_e32 v32, 3, v0
	ds_read_b64 v[36:37], v32 offset:4112
	v_and_b32_e32 v38, 3, v35
	v_cmp_lt_u32_e64 s[28:29], 1, v38
	s_waitcnt lgkmcnt(0)
	v_mov_b32_dpp v40, v37 row_shr:1 row_mask:0xf bank_mask:0xf
	v_cmp_eq_u32_e64 s[26:27], 0, v36
	v_mov_b32_dpp v39, v36 row_shr:1 row_mask:0xf bank_mask:0xf
	v_cndmask_b32_e64 v40, 0, v40, s[26:27]
	v_cmp_eq_u32_e64 s[26:27], 0, v38
	v_cndmask_b32_e64 v39, v39, 0, s[26:27]
	v_add_u32_e32 v36, v39, v36
	v_cndmask_b32_e64 v39, v40, 0, s[26:27]
	v_add_u32_e32 v37, v39, v37
	v_cmp_eq_u32_e64 s[26:27], 0, v36
	v_mov_b32_dpp v39, v36 row_shr:2 row_mask:0xf bank_mask:0xf
	v_mov_b32_dpp v40, v37 row_shr:2 row_mask:0xf bank_mask:0xf
	v_cndmask_b32_e64 v38, 0, v39, s[28:29]
	s_and_b64 s[26:27], s[28:29], s[26:27]
	v_add_u32_e32 v36, v38, v36
	v_cndmask_b32_e64 v38, 0, v40, s[26:27]
	v_add_u32_e32 v37, v38, v37
	ds_write_b64 v32, v[36:37] offset:4112
.LBB798_112:
	s_or_b64 exec, exec, s[30:31]
	v_cmp_lt_u32_e64 s[26:27], 63, v0
	v_mov_b32_e32 v36, 0
	v_mov_b32_e32 v32, 0
	s_waitcnt vmcnt(0)
	v_mov_b32_e32 v37, v34
	s_waitcnt lgkmcnt(0)
	s_barrier
	s_and_saveexec_b64 s[28:29], s[26:27]
	s_cbranch_execz .LBB798_114
; %bb.113:
	ds_read_b64 v[32:33], v33 offset:4104
	s_waitcnt lgkmcnt(0)
	v_cmp_eq_u32_e64 s[26:27], 0, v32
	v_cndmask_b32_e64 v37, 0, v34, s[26:27]
	v_add_u32_e32 v37, v37, v33
.LBB798_114:
	s_or_b64 exec, exec, s[28:29]
	v_cmp_eq_u32_e64 s[26:27], 0, v30
	v_add_u32_e32 v33, v32, v30
	v_cndmask_b32_e64 v30, 0, v37, s[26:27]
	v_add_u32_e32 v30, v30, v31
	v_add_u32_e32 v31, -1, v35
	v_and_b32_e32 v38, 64, v35
	v_cmp_lt_i32_e64 s[26:27], v31, v38
	v_cndmask_b32_e64 v31, v31, v35, s[26:27]
	v_lshlrev_b32_e32 v31, 2, v31
	ds_bpermute_b32 v30, v31, v30
	ds_bpermute_b32 v33, v31, v33
	v_cmp_eq_u32_e64 s[26:27], 0, v35
	s_waitcnt lgkmcnt(1)
	v_cndmask_b32_e64 v30, v30, v37, s[26:27]
	s_waitcnt lgkmcnt(0)
	v_cndmask_b32_e64 v31, v33, v32, s[26:27]
	v_cndmask_b32_e64 v67, v30, v34, s[0:1]
	v_cmp_eq_u32_e64 s[26:27], 0, v70
	v_cndmask_b32_e64 v30, 0, v67, s[26:27]
	v_add_u32_e32 v65, v30, v98
	v_cndmask_b32_e64 v30, 0, v65, s[2:3]
	v_add_u32_e32 v63, v30, v97
	;; [unrolled: 2-line block ×8, first 2 shown]
	v_cndmask_b32_e64 v66, v31, 0, s[0:1]
	v_cndmask_b32_e64 v30, 0, v51, s[16:17]
	v_add_u32_e32 v64, v66, v70
	v_add_u32_e32 v49, v30, v96
	v_add_u32_e32 v62, v64, v84
	v_cndmask_b32_e64 v30, 0, v49, s[18:19]
	v_add_u32_e32 v60, v62, v83
	v_add_u32_e32 v45, v30, v94
	v_add_u32_e32 v58, v60, v82
	;; [unrolled: 4-line block ×3, first 2 shown]
	v_cndmask_b32_e64 v30, 0, v43, s[22:23]
	v_add_u32_e32 v52, v54, v79
	v_add_u32_e32 v41, v30, v90
	ds_read_b64 v[30:31], v36 offset:4136
	v_add_u32_e32 v50, v52, v78
	v_add_u32_e32 v48, v50, v77
	;; [unrolled: 1-line block ×3, first 2 shown]
	v_cndmask_b32_e64 v32, 0, v41, s[24:25]
	v_add_u32_e32 v42, v44, v69
	v_add_u32_e32 v39, v32, v86
	;; [unrolled: 1-line block ×3, first 2 shown]
	v_cndmask_b32_e32 v32, 0, v39, vcc
	s_waitcnt lgkmcnt(0)
	v_cmp_eq_u32_e32 vcc, 0, v30
	v_add_u32_e32 v38, v40, v73
	v_add_u32_e32 v37, v32, v85
	v_cndmask_b32_e32 v32, 0, v34, vcc
	v_add_u32_e32 v36, v38, v75
	v_add_u32_e32 v68, v32, v31
	s_and_saveexec_b64 s[2:3], s[0:1]
	s_cbranch_execz .LBB798_116
; %bb.115:
	s_add_u32 s4, s44, 0x400
	v_and_b32_e32 v31, 0xff000000, v68
	v_and_b32_e32 v32, 0xff0000, v68
	s_addc_u32 s5, s45, 0
	v_or_b32_e32 v31, v32, v31
	v_and_b32_e32 v32, 0xff00, v68
	v_and_b32_e32 v34, 0xff, v68
	v_mov_b32_e32 v33, 0
	v_or3_b32 v31, v31, v32, v34
	v_mov_b32_e32 v32, 2
	v_pk_mov_b32 v[34:35], s[4:5], s[4:5] op_sel:[0,1]
	;;#ASMSTART
	global_store_dwordx4 v[34:35], v[30:33] off	
s_waitcnt vmcnt(0)
	;;#ASMEND
.LBB798_116:
	s_or_b64 exec, exec, s[2:3]
	v_mov_b32_e32 v32, 0
.LBB798_117:
	s_and_b64 s[2:3], s[34:35], exec
	s_cselect_b32 s3, 0, s59
	s_cselect_b32 s2, 0, s58
	s_cmp_eq_u64 s[2:3], 0
	v_pk_mov_b32 v[34:35], 0, 0
	s_barrier
	s_cbranch_scc1 .LBB798_119
; %bb.118:
	v_mov_b32_e32 v31, 0
	global_load_dwordx2 v[34:35], v31, s[2:3]
.LBB798_119:
	s_waitcnt vmcnt(0)
	v_lshlrev_b64 v[86:87], 3, v[34:35]
	v_mov_b32_e32 v31, s43
	v_add_co_u32_e32 v72, vcc, s42, v86
	v_mov_b32_e32 v33, 0
	v_addc_co_u32_e32 v74, vcc, v31, v87, vcc
	v_lshlrev_b64 v[86:87], 3, v[32:33]
	v_add_co_u32_e32 v31, vcc, v72, v86
	v_addc_co_u32_e32 v72, vcc, v74, v87, vcc
	v_cmp_eq_u32_e32 vcc, 0, v70
	v_cndmask_b32_e64 v74, 1, 2, vcc
	v_cmp_eq_u32_e32 vcc, 0, v84
	v_cndmask_b32_e64 v85, 1, 2, vcc
	v_cmp_eq_u32_e32 vcc, 0, v83
	v_and_b32_e32 v74, v85, v74
	v_cndmask_b32_e64 v85, 1, 2, vcc
	v_cmp_eq_u32_e32 vcc, 0, v82
	v_and_b32_e32 v74, v74, v85
	;; [unrolled: 3-line block ×13, first 2 shown]
	v_cndmask_b32_e64 v85, 1, 2, vcc
	s_movk_i32 s34, 0x100
	v_and_b32_e32 v74, v74, v85
	v_cmp_gt_u32_e32 vcc, s34, v30
	v_cmp_ne_u32_e64 s[30:31], 0, v70
	v_cmp_ne_u32_e64 s[28:29], 0, v84
	;; [unrolled: 1-line block ×15, first 2 shown]
	s_mov_b64 s[40:41], -1
	v_cmp_gt_i16_e64 s[34:35], 2, v74
	s_cbranch_vccz .LBB798_168
; %bb.120:
	s_and_saveexec_b64 s[40:41], s[34:35]
	s_cbranch_execz .LBB798_167
; %bb.121:
	v_cmp_ne_u16_e32 vcc, 1, v74
	s_mov_b64 s[42:43], 0
	s_and_saveexec_b64 s[34:35], vcc
	s_xor_b64 s[34:35], exec, s[34:35]
	s_cbranch_execz .LBB798_145
; %bb.122:
	s_and_saveexec_b64 s[42:43], s[30:31]
	s_cbranch_execz .LBB798_150
; %bb.123:
	v_sub_u32_e32 v86, v66, v32
	v_mov_b32_e32 v87, 0
	v_lshlrev_b64 v[86:87], 3, v[86:87]
	v_add_co_u32_e32 v86, vcc, v31, v86
	v_addc_co_u32_e32 v87, vcc, v72, v87, vcc
	global_store_dwordx2 v[86:87], v[26:27], off
	s_or_b64 exec, exec, s[42:43]
	s_and_saveexec_b64 s[42:43], s[28:29]
	s_cbranch_execnz .LBB798_151
.LBB798_124:
	s_or_b64 exec, exec, s[42:43]
	s_and_saveexec_b64 s[42:43], s[26:27]
	s_cbranch_execz .LBB798_152
.LBB798_125:
	v_sub_u32_e32 v86, v62, v32
	v_mov_b32_e32 v87, 0
	v_lshlrev_b64 v[86:87], 3, v[86:87]
	v_add_co_u32_e32 v86, vcc, v31, v86
	v_addc_co_u32_e32 v87, vcc, v72, v87, vcc
	global_store_dwordx2 v[86:87], v[22:23], off
	s_or_b64 exec, exec, s[42:43]
	s_and_saveexec_b64 s[42:43], s[24:25]
	s_cbranch_execnz .LBB798_153
.LBB798_126:
	s_or_b64 exec, exec, s[42:43]
	s_and_saveexec_b64 s[42:43], s[22:23]
	s_cbranch_execz .LBB798_154
.LBB798_127:
	v_sub_u32_e32 v86, v58, v32
	v_mov_b32_e32 v87, 0
	v_lshlrev_b64 v[86:87], 3, v[86:87]
	v_add_co_u32_e32 v86, vcc, v31, v86
	v_addc_co_u32_e32 v87, vcc, v72, v87, vcc
	global_store_dwordx2 v[86:87], v[18:19], off
	s_or_b64 exec, exec, s[42:43]
	s_and_saveexec_b64 s[42:43], s[20:21]
	s_cbranch_execnz .LBB798_155
.LBB798_128:
	s_or_b64 exec, exec, s[42:43]
	s_and_saveexec_b64 s[42:43], s[18:19]
	s_cbranch_execz .LBB798_156
.LBB798_129:
	v_sub_u32_e32 v86, v54, v32
	v_mov_b32_e32 v87, 0
	v_lshlrev_b64 v[86:87], 3, v[86:87]
	v_add_co_u32_e32 v86, vcc, v31, v86
	v_addc_co_u32_e32 v87, vcc, v72, v87, vcc
	global_store_dwordx2 v[86:87], v[14:15], off
	s_or_b64 exec, exec, s[42:43]
	s_and_saveexec_b64 s[42:43], s[16:17]
	s_cbranch_execnz .LBB798_157
.LBB798_130:
	s_or_b64 exec, exec, s[42:43]
	s_and_saveexec_b64 s[42:43], s[14:15]
	s_cbranch_execz .LBB798_158
.LBB798_131:
	v_sub_u32_e32 v86, v50, v32
	v_mov_b32_e32 v87, 0
	v_lshlrev_b64 v[86:87], 3, v[86:87]
	v_add_co_u32_e32 v86, vcc, v31, v86
	v_addc_co_u32_e32 v87, vcc, v72, v87, vcc
	global_store_dwordx2 v[86:87], v[10:11], off
	s_or_b64 exec, exec, s[42:43]
	s_and_saveexec_b64 s[42:43], s[12:13]
	s_cbranch_execnz .LBB798_159
.LBB798_132:
	s_or_b64 exec, exec, s[42:43]
	s_and_saveexec_b64 s[42:43], s[10:11]
	s_cbranch_execz .LBB798_160
.LBB798_133:
	v_sub_u32_e32 v86, v44, v32
	v_mov_b32_e32 v87, 0
	v_lshlrev_b64 v[86:87], 3, v[86:87]
	v_add_co_u32_e32 v86, vcc, v31, v86
	v_addc_co_u32_e32 v87, vcc, v72, v87, vcc
	global_store_dwordx2 v[86:87], v[6:7], off
	s_or_b64 exec, exec, s[42:43]
	s_and_saveexec_b64 s[42:43], s[8:9]
	s_cbranch_execnz .LBB798_161
.LBB798_134:
	s_or_b64 exec, exec, s[42:43]
	s_and_saveexec_b64 s[42:43], s[6:7]
	s_cbranch_execz .LBB798_162
.LBB798_135:
	v_sub_u32_e32 v86, v40, v32
	v_mov_b32_e32 v87, 0
	v_lshlrev_b64 v[86:87], 3, v[86:87]
	v_add_co_u32_e32 v86, vcc, v31, v86
	v_addc_co_u32_e32 v87, vcc, v72, v87, vcc
	global_store_dwordx2 v[86:87], v[2:3], off
	s_or_b64 exec, exec, s[42:43]
	s_and_saveexec_b64 s[42:43], s[4:5]
	s_cbranch_execnz .LBB798_163
	s_branch .LBB798_164
.LBB798_136:
                                        ; implicit-def: $sgpr4_sgpr5
                                        ; implicit-def: $vgpr1
                                        ; implicit-def: $vgpr75
                                        ; implicit-def: $vgpr73
                                        ; implicit-def: $vgpr71
                                        ; implicit-def: $vgpr69
                                        ; implicit-def: $vgpr76
                                        ; implicit-def: $vgpr77
                                        ; implicit-def: $vgpr78
                                        ; implicit-def: $vgpr79
                                        ; implicit-def: $vgpr80
                                        ; implicit-def: $vgpr81
                                        ; implicit-def: $vgpr82
                                        ; implicit-def: $vgpr83
                                        ; implicit-def: $vgpr84
	s_cbranch_execz .LBB798_74
; %bb.137:
	v_cmp_ne_u64_e32 vcc, v[28:29], v[30:31]
	v_cndmask_b32_e64 v84, 0, 1, vcc
	v_cmp_ne_u64_e32 vcc, v[28:29], v[32:33]
	v_cndmask_b32_e64 v83, 0, 1, vcc
	;; [unrolled: 2-line block ×13, first 2 shown]
	v_cmp_ne_u64_e32 vcc, v[4:5], v[46:47]
	v_lshlrev_b32_e32 v44, 3, v0
	v_cndmask_b32_e64 v1, 0, 1, vcc
	ds_write_b64 v44, v[46:47]
	s_waitcnt lgkmcnt(0)
	s_barrier
	s_waitcnt lgkmcnt(0)
                                        ; implicit-def: $sgpr4_sgpr5
	s_and_saveexec_b64 s[6:7], s[2:3]
	s_xor_b64 s[6:7], exec, s[6:7]
	s_cbranch_execz .LBB798_139
; %bb.138:
	v_add_u32_e32 v30, -8, v44
	ds_read_b64 v[30:31], v30
	s_or_b64 s[34:35], s[34:35], exec
	s_waitcnt lgkmcnt(0)
	v_cmp_ne_u64_e32 vcc, v[30:31], v[26:27]
	s_and_b64 s[4:5], vcc, exec
.LBB798_139:
	s_or_b64 exec, exec, s[6:7]
	s_mov_b32 s8, 1
	s_branch .LBB798_76
.LBB798_140:
	s_mul_hi_u32 s5, s40, 0xfffff100
	s_mul_i32 s4, s41, 0xfffff100
	s_sub_i32 s5, s5, s40
	s_add_i32 s5, s5, s4
	s_mul_i32 s4, s40, 0xfffff100
	s_add_u32 s40, s4, s56
	s_addc_u32 s41, s5, s57
	s_and_b64 vcc, exec, s[30:31]
	v_cmp_ne_u64_e64 s[30:31], v[4:5], v[46:47]
	v_cmp_ne_u64_e64 s[28:29], v[2:3], v[4:5]
	;; [unrolled: 1-line block ×14, first 2 shown]
	s_cbranch_vccz .LBB798_147
; %bb.141:
	v_add_co_u32_e32 v30, vcc, -8, v49
	v_addc_co_u32_e32 v31, vcc, -1, v51, vcc
	flat_load_dwordx2 v[30:31], v[30:31]
	v_mov_b32_e32 v49, 0
	v_cmp_gt_u64_e32 vcc, s[40:41], v[48:49]
	v_mov_b32_e32 v75, v49
	s_and_b64 s[30:31], vcc, s[30:31]
	v_cmp_gt_u64_e32 vcc, s[40:41], v[74:75]
	v_mov_b32_e32 v73, v49
	s_and_b64 s[28:29], vcc, s[28:29]
	;; [unrolled: 3-line block ×13, first 2 shown]
	v_cmp_gt_u64_e32 vcc, s[40:41], v[50:51]
	v_lshlrev_b32_e32 v1, 3, v0
	v_mul_u32_u24_e32 v32, 15, v0
	s_and_b64 s[4:5], vcc, s[4:5]
	ds_write_b64 v1, v[46:47]
	s_waitcnt lgkmcnt(0)
	s_barrier
	s_and_saveexec_b64 s[34:35], s[2:3]
	s_cbranch_execz .LBB798_143
; %bb.142:
	v_add_u32_e32 v1, -8, v1
	s_waitcnt vmcnt(0)
	ds_read_b64 v[30:31], v1
.LBB798_143:
	s_or_b64 exec, exec, s[34:35]
	v_mov_b32_e32 v33, v49
	v_cndmask_b32_e64 v84, 0, 1, s[4:5]
	v_cmp_gt_u64_e32 vcc, s[40:41], v[32:33]
	s_waitcnt vmcnt(0) lgkmcnt(0)
	v_cmp_ne_u64_e64 s[4:5], v[30:31], v[26:27]
	v_cndmask_b32_e64 v1, 0, 1, s[30:31]
	v_cndmask_b32_e64 v75, 0, 1, s[28:29]
	;; [unrolled: 1-line block ×13, first 2 shown]
	s_and_b64 s[4:5], vcc, s[4:5]
	s_mov_b64 s[34:35], -1
.LBB798_144:
                                        ; implicit-def: $sgpr8
	v_mov_b32_e32 v70, s8
	s_and_saveexec_b64 s[2:3], s[34:35]
	s_cbranch_execnz .LBB798_77
	s_branch .LBB798_78
.LBB798_145:
	s_andn2_saveexec_b64 s[34:35], s[34:35]
	s_cbranch_execz .LBB798_165
.LBB798_146:
	v_sub_u32_e32 v86, v66, v32
	v_mov_b32_e32 v87, 0
	v_lshlrev_b64 v[88:89], 3, v[86:87]
	v_add_co_u32_e32 v88, vcc, v31, v88
	v_addc_co_u32_e32 v89, vcc, v72, v89, vcc
	v_sub_u32_e32 v86, v64, v32
	global_store_dwordx2 v[88:89], v[26:27], off
	v_lshlrev_b64 v[88:89], 3, v[86:87]
	v_add_co_u32_e32 v88, vcc, v31, v88
	v_addc_co_u32_e32 v89, vcc, v72, v89, vcc
	v_sub_u32_e32 v86, v62, v32
	global_store_dwordx2 v[88:89], v[28:29], off
	;; [unrolled: 5-line block ×12, first 2 shown]
	v_lshlrev_b64 v[88:89], 3, v[86:87]
	v_add_co_u32_e32 v88, vcc, v31, v88
	v_sub_u32_e32 v86, v38, v32
	v_addc_co_u32_e32 v89, vcc, v72, v89, vcc
	v_lshlrev_b64 v[86:87], 3, v[86:87]
	v_add_co_u32_e32 v86, vcc, v31, v86
	v_addc_co_u32_e32 v87, vcc, v72, v87, vcc
	s_or_b64 s[42:43], s[42:43], exec
	global_store_dwordx2 v[88:89], v[2:3], off
	global_store_dwordx2 v[86:87], v[4:5], off
	s_or_b64 exec, exec, s[34:35]
	s_and_b64 exec, exec, s[42:43]
	s_cbranch_execnz .LBB798_166
	s_branch .LBB798_167
.LBB798_147:
                                        ; implicit-def: $sgpr4_sgpr5
                                        ; implicit-def: $vgpr1
                                        ; implicit-def: $vgpr75
                                        ; implicit-def: $vgpr73
                                        ; implicit-def: $vgpr71
                                        ; implicit-def: $vgpr69
                                        ; implicit-def: $vgpr76
                                        ; implicit-def: $vgpr77
                                        ; implicit-def: $vgpr78
                                        ; implicit-def: $vgpr79
                                        ; implicit-def: $vgpr80
                                        ; implicit-def: $vgpr81
                                        ; implicit-def: $vgpr82
                                        ; implicit-def: $vgpr83
                                        ; implicit-def: $vgpr84
	s_cbranch_execz .LBB798_144
; %bb.148:
	v_mov_b32_e32 v49, 0
	v_cmp_gt_u64_e32 vcc, s[40:41], v[48:49]
	v_cmp_ne_u64_e64 s[4:5], v[4:5], v[46:47]
	s_and_b64 s[4:5], vcc, s[4:5]
	v_mov_b32_e32 v75, v49
	v_cndmask_b32_e64 v1, 0, 1, s[4:5]
	v_cmp_gt_u64_e32 vcc, s[40:41], v[74:75]
	v_cmp_ne_u64_e64 s[4:5], v[2:3], v[4:5]
	s_and_b64 s[4:5], vcc, s[4:5]
	v_mov_b32_e32 v73, v49
	v_cndmask_b32_e64 v75, 0, 1, s[4:5]
	;; [unrolled: 5-line block ×13, first 2 shown]
	v_cmp_gt_u64_e32 vcc, s[40:41], v[50:51]
	v_cmp_ne_u64_e64 s[4:5], v[26:27], v[28:29]
	s_and_b64 s[4:5], vcc, s[4:5]
	v_lshlrev_b32_e32 v30, 3, v0
	s_mov_b32 s8, 1
	v_cndmask_b32_e64 v84, 0, 1, s[4:5]
	ds_write_b64 v30, v[46:47]
	s_waitcnt lgkmcnt(0)
	s_barrier
	s_waitcnt lgkmcnt(0)
                                        ; implicit-def: $sgpr4_sgpr5
	s_and_saveexec_b64 s[6:7], s[2:3]
	s_cbranch_execz .LBB798_187
; %bb.149:
	v_add_u32_e32 v30, -8, v30
	ds_read_b64 v[30:31], v30
	v_mul_u32_u24_e32 v48, 15, v0
	v_cmp_gt_u64_e32 vcc, s[40:41], v[48:49]
	s_or_b64 s[34:35], s[34:35], exec
	s_waitcnt lgkmcnt(0)
	v_cmp_ne_u64_e64 s[2:3], v[30:31], v[26:27]
	s_and_b64 s[2:3], vcc, s[2:3]
	s_and_b64 s[4:5], s[2:3], exec
	s_or_b64 exec, exec, s[6:7]
	v_mov_b32_e32 v70, s8
	s_and_saveexec_b64 s[2:3], s[34:35]
	s_cbranch_execz .LBB798_78
	s_branch .LBB798_77
.LBB798_150:
	s_or_b64 exec, exec, s[42:43]
	s_and_saveexec_b64 s[42:43], s[28:29]
	s_cbranch_execz .LBB798_124
.LBB798_151:
	v_sub_u32_e32 v86, v64, v32
	v_mov_b32_e32 v87, 0
	v_lshlrev_b64 v[86:87], 3, v[86:87]
	v_add_co_u32_e32 v86, vcc, v31, v86
	v_addc_co_u32_e32 v87, vcc, v72, v87, vcc
	global_store_dwordx2 v[86:87], v[28:29], off
	s_or_b64 exec, exec, s[42:43]
	s_and_saveexec_b64 s[42:43], s[26:27]
	s_cbranch_execnz .LBB798_125
.LBB798_152:
	s_or_b64 exec, exec, s[42:43]
	s_and_saveexec_b64 s[42:43], s[24:25]
	s_cbranch_execz .LBB798_126
.LBB798_153:
	v_sub_u32_e32 v86, v60, v32
	v_mov_b32_e32 v87, 0
	v_lshlrev_b64 v[86:87], 3, v[86:87]
	v_add_co_u32_e32 v86, vcc, v31, v86
	v_addc_co_u32_e32 v87, vcc, v72, v87, vcc
	global_store_dwordx2 v[86:87], v[24:25], off
	s_or_b64 exec, exec, s[42:43]
	s_and_saveexec_b64 s[42:43], s[22:23]
	s_cbranch_execnz .LBB798_127
.LBB798_154:
	s_or_b64 exec, exec, s[42:43]
	s_and_saveexec_b64 s[42:43], s[20:21]
	s_cbranch_execz .LBB798_128
.LBB798_155:
	v_sub_u32_e32 v86, v56, v32
	v_mov_b32_e32 v87, 0
	v_lshlrev_b64 v[86:87], 3, v[86:87]
	v_add_co_u32_e32 v86, vcc, v31, v86
	v_addc_co_u32_e32 v87, vcc, v72, v87, vcc
	global_store_dwordx2 v[86:87], v[20:21], off
	s_or_b64 exec, exec, s[42:43]
	s_and_saveexec_b64 s[42:43], s[18:19]
	s_cbranch_execnz .LBB798_129
.LBB798_156:
	s_or_b64 exec, exec, s[42:43]
	s_and_saveexec_b64 s[42:43], s[16:17]
	s_cbranch_execz .LBB798_130
.LBB798_157:
	v_sub_u32_e32 v86, v52, v32
	v_mov_b32_e32 v87, 0
	v_lshlrev_b64 v[86:87], 3, v[86:87]
	v_add_co_u32_e32 v86, vcc, v31, v86
	v_addc_co_u32_e32 v87, vcc, v72, v87, vcc
	global_store_dwordx2 v[86:87], v[16:17], off
	s_or_b64 exec, exec, s[42:43]
	s_and_saveexec_b64 s[42:43], s[14:15]
	s_cbranch_execnz .LBB798_131
.LBB798_158:
	s_or_b64 exec, exec, s[42:43]
	s_and_saveexec_b64 s[42:43], s[12:13]
	s_cbranch_execz .LBB798_132
.LBB798_159:
	v_sub_u32_e32 v86, v48, v32
	v_mov_b32_e32 v87, 0
	v_lshlrev_b64 v[86:87], 3, v[86:87]
	v_add_co_u32_e32 v86, vcc, v31, v86
	v_addc_co_u32_e32 v87, vcc, v72, v87, vcc
	global_store_dwordx2 v[86:87], v[12:13], off
	s_or_b64 exec, exec, s[42:43]
	s_and_saveexec_b64 s[42:43], s[10:11]
	s_cbranch_execnz .LBB798_133
.LBB798_160:
	s_or_b64 exec, exec, s[42:43]
	s_and_saveexec_b64 s[42:43], s[8:9]
	s_cbranch_execz .LBB798_134
.LBB798_161:
	v_sub_u32_e32 v86, v42, v32
	v_mov_b32_e32 v87, 0
	v_lshlrev_b64 v[86:87], 3, v[86:87]
	v_add_co_u32_e32 v86, vcc, v31, v86
	v_addc_co_u32_e32 v87, vcc, v72, v87, vcc
	global_store_dwordx2 v[86:87], v[8:9], off
	s_or_b64 exec, exec, s[42:43]
	s_and_saveexec_b64 s[42:43], s[6:7]
	s_cbranch_execnz .LBB798_135
.LBB798_162:
	s_or_b64 exec, exec, s[42:43]
	s_and_saveexec_b64 s[42:43], s[4:5]
	s_cbranch_execz .LBB798_164
.LBB798_163:
	v_sub_u32_e32 v86, v38, v32
	v_mov_b32_e32 v87, 0
	v_lshlrev_b64 v[86:87], 3, v[86:87]
	v_add_co_u32_e32 v86, vcc, v31, v86
	v_addc_co_u32_e32 v87, vcc, v72, v87, vcc
	global_store_dwordx2 v[86:87], v[4:5], off
.LBB798_164:
	s_or_b64 exec, exec, s[42:43]
	s_and_b64 s[42:43], s[2:3], exec
	s_andn2_saveexec_b64 s[34:35], s[34:35]
	s_cbranch_execnz .LBB798_146
.LBB798_165:
	s_or_b64 exec, exec, s[34:35]
	s_and_b64 exec, exec, s[42:43]
	s_cbranch_execz .LBB798_167
.LBB798_166:
	v_sub_u32_e32 v86, v36, v32
	v_mov_b32_e32 v87, 0
	v_lshlrev_b64 v[86:87], 3, v[86:87]
	v_add_co_u32_e32 v86, vcc, v31, v86
	v_addc_co_u32_e32 v87, vcc, v72, v87, vcc
	global_store_dwordx2 v[86:87], v[46:47], off
.LBB798_167:
	s_or_b64 exec, exec, s[40:41]
	s_mov_b64 s[40:41], 0
.LBB798_168:
	s_and_b64 vcc, exec, s[40:41]
	s_cbranch_vccz .LBB798_209
; %bb.169:
	v_cmp_gt_i16_e32 vcc, 2, v74
	s_and_saveexec_b64 s[34:35], vcc
	s_cbranch_execz .LBB798_205
; %bb.170:
	v_cmp_ne_u16_e32 vcc, 1, v74
	s_mov_b64 s[42:43], 0
	s_and_saveexec_b64 s[40:41], vcc
	s_xor_b64 s[40:41], exec, s[40:41]
	s_cbranch_execz .LBB798_185
; %bb.171:
	s_and_saveexec_b64 s[42:43], s[30:31]
	s_cbranch_execz .LBB798_188
; %bb.172:
	v_sub_u32_e32 v74, v66, v32
	v_lshlrev_b32_e32 v74, 3, v74
	ds_write_b64 v74, v[26:27]
	s_or_b64 exec, exec, s[42:43]
	s_and_saveexec_b64 s[30:31], s[28:29]
	s_cbranch_execnz .LBB798_189
.LBB798_173:
	s_or_b64 exec, exec, s[30:31]
	s_and_saveexec_b64 s[28:29], s[26:27]
	s_cbranch_execz .LBB798_190
.LBB798_174:
	v_sub_u32_e32 v26, v62, v32
	v_lshlrev_b32_e32 v26, 3, v26
	ds_write_b64 v26, v[22:23]
	s_or_b64 exec, exec, s[28:29]
	s_and_saveexec_b64 s[26:27], s[24:25]
	s_cbranch_execnz .LBB798_191
.LBB798_175:
	s_or_b64 exec, exec, s[26:27]
	s_and_saveexec_b64 s[24:25], s[22:23]
	s_cbranch_execz .LBB798_192
.LBB798_176:
	v_sub_u32_e32 v22, v58, v32
	v_lshlrev_b32_e32 v22, 3, v22
	ds_write_b64 v22, v[18:19]
	s_or_b64 exec, exec, s[24:25]
	s_and_saveexec_b64 s[22:23], s[20:21]
	s_cbranch_execnz .LBB798_193
.LBB798_177:
	s_or_b64 exec, exec, s[22:23]
	s_and_saveexec_b64 s[20:21], s[18:19]
	s_cbranch_execz .LBB798_194
.LBB798_178:
	v_sub_u32_e32 v18, v54, v32
	v_lshlrev_b32_e32 v18, 3, v18
	ds_write_b64 v18, v[14:15]
	s_or_b64 exec, exec, s[20:21]
	s_and_saveexec_b64 s[18:19], s[16:17]
	s_cbranch_execnz .LBB798_195
.LBB798_179:
	s_or_b64 exec, exec, s[18:19]
	s_and_saveexec_b64 s[16:17], s[14:15]
	s_cbranch_execz .LBB798_196
.LBB798_180:
	v_sub_u32_e32 v14, v50, v32
	v_lshlrev_b32_e32 v14, 3, v14
	ds_write_b64 v14, v[10:11]
	s_or_b64 exec, exec, s[16:17]
	s_and_saveexec_b64 s[14:15], s[12:13]
	s_cbranch_execnz .LBB798_197
.LBB798_181:
	s_or_b64 exec, exec, s[14:15]
	s_and_saveexec_b64 s[12:13], s[10:11]
	s_cbranch_execz .LBB798_198
.LBB798_182:
	v_sub_u32_e32 v10, v44, v32
	v_lshlrev_b32_e32 v10, 3, v10
	ds_write_b64 v10, v[6:7]
	s_or_b64 exec, exec, s[12:13]
	s_and_saveexec_b64 s[10:11], s[8:9]
	s_cbranch_execnz .LBB798_199
.LBB798_183:
	s_or_b64 exec, exec, s[10:11]
	s_and_saveexec_b64 s[8:9], s[6:7]
	s_cbranch_execz .LBB798_200
.LBB798_184:
	v_sub_u32_e32 v6, v40, v32
	v_lshlrev_b32_e32 v6, 3, v6
	ds_write_b64 v6, v[2:3]
	s_or_b64 exec, exec, s[8:9]
	s_and_saveexec_b64 s[6:7], s[4:5]
	s_cbranch_execnz .LBB798_201
	s_branch .LBB798_202
.LBB798_185:
	s_andn2_saveexec_b64 s[2:3], s[40:41]
	s_cbranch_execz .LBB798_203
.LBB798_186:
	v_sub_u32_e32 v74, v66, v32
	v_lshlrev_b32_e32 v74, 3, v74
	ds_write_b64 v74, v[26:27]
	v_sub_u32_e32 v26, v64, v32
	v_lshlrev_b32_e32 v26, 3, v26
	ds_write_b64 v26, v[28:29]
	;; [unrolled: 3-line block ×13, first 2 shown]
	v_sub_u32_e32 v2, v38, v32
	v_lshlrev_b32_e32 v2, 3, v2
	s_or_b64 s[42:43], s[42:43], exec
	ds_write_b64 v2, v[4:5]
	s_or_b64 exec, exec, s[2:3]
	s_and_b64 exec, exec, s[42:43]
	s_cbranch_execnz .LBB798_204
	s_branch .LBB798_205
.LBB798_187:
	s_or_b64 exec, exec, s[6:7]
	v_mov_b32_e32 v70, s8
	s_and_saveexec_b64 s[2:3], s[34:35]
	s_cbranch_execnz .LBB798_77
	s_branch .LBB798_78
.LBB798_188:
	s_or_b64 exec, exec, s[42:43]
	s_and_saveexec_b64 s[30:31], s[28:29]
	s_cbranch_execz .LBB798_173
.LBB798_189:
	v_sub_u32_e32 v26, v64, v32
	v_lshlrev_b32_e32 v26, 3, v26
	ds_write_b64 v26, v[28:29]
	s_or_b64 exec, exec, s[30:31]
	s_and_saveexec_b64 s[28:29], s[26:27]
	s_cbranch_execnz .LBB798_174
.LBB798_190:
	s_or_b64 exec, exec, s[28:29]
	s_and_saveexec_b64 s[26:27], s[24:25]
	s_cbranch_execz .LBB798_175
.LBB798_191:
	v_sub_u32_e32 v22, v60, v32
	v_lshlrev_b32_e32 v22, 3, v22
	ds_write_b64 v22, v[24:25]
	s_or_b64 exec, exec, s[26:27]
	s_and_saveexec_b64 s[24:25], s[22:23]
	s_cbranch_execnz .LBB798_176
.LBB798_192:
	s_or_b64 exec, exec, s[24:25]
	s_and_saveexec_b64 s[22:23], s[20:21]
	s_cbranch_execz .LBB798_177
.LBB798_193:
	v_sub_u32_e32 v18, v56, v32
	v_lshlrev_b32_e32 v18, 3, v18
	ds_write_b64 v18, v[20:21]
	s_or_b64 exec, exec, s[22:23]
	s_and_saveexec_b64 s[20:21], s[18:19]
	s_cbranch_execnz .LBB798_178
.LBB798_194:
	s_or_b64 exec, exec, s[20:21]
	s_and_saveexec_b64 s[18:19], s[16:17]
	s_cbranch_execz .LBB798_179
.LBB798_195:
	v_sub_u32_e32 v14, v52, v32
	v_lshlrev_b32_e32 v14, 3, v14
	ds_write_b64 v14, v[16:17]
	s_or_b64 exec, exec, s[18:19]
	s_and_saveexec_b64 s[16:17], s[14:15]
	s_cbranch_execnz .LBB798_180
.LBB798_196:
	s_or_b64 exec, exec, s[16:17]
	s_and_saveexec_b64 s[14:15], s[12:13]
	s_cbranch_execz .LBB798_181
.LBB798_197:
	v_sub_u32_e32 v10, v48, v32
	v_lshlrev_b32_e32 v10, 3, v10
	ds_write_b64 v10, v[12:13]
	s_or_b64 exec, exec, s[14:15]
	s_and_saveexec_b64 s[12:13], s[10:11]
	s_cbranch_execnz .LBB798_182
.LBB798_198:
	s_or_b64 exec, exec, s[12:13]
	s_and_saveexec_b64 s[10:11], s[8:9]
	s_cbranch_execz .LBB798_183
.LBB798_199:
	v_sub_u32_e32 v6, v42, v32
	v_lshlrev_b32_e32 v6, 3, v6
	ds_write_b64 v6, v[8:9]
	s_or_b64 exec, exec, s[10:11]
	s_and_saveexec_b64 s[8:9], s[6:7]
	s_cbranch_execnz .LBB798_184
.LBB798_200:
	s_or_b64 exec, exec, s[8:9]
	s_and_saveexec_b64 s[6:7], s[4:5]
	s_cbranch_execz .LBB798_202
.LBB798_201:
	v_sub_u32_e32 v2, v38, v32
	v_lshlrev_b32_e32 v2, 3, v2
	ds_write_b64 v2, v[4:5]
.LBB798_202:
	s_or_b64 exec, exec, s[6:7]
	s_and_b64 s[42:43], s[2:3], exec
                                        ; implicit-def: $vgpr2_vgpr3
                                        ; implicit-def: $vgpr6_vgpr7
                                        ; implicit-def: $vgpr10_vgpr11
                                        ; implicit-def: $vgpr14_vgpr15
                                        ; implicit-def: $vgpr18_vgpr19
                                        ; implicit-def: $vgpr22_vgpr23
                                        ; implicit-def: $vgpr26_vgpr27
	s_andn2_saveexec_b64 s[2:3], s[40:41]
	s_cbranch_execnz .LBB798_186
.LBB798_203:
	s_or_b64 exec, exec, s[2:3]
	s_and_b64 exec, exec, s[42:43]
	s_cbranch_execz .LBB798_205
.LBB798_204:
	v_sub_u32_e32 v2, v36, v32
	v_lshlrev_b32_e32 v2, 3, v2
	ds_write_b64 v2, v[46:47]
.LBB798_205:
	s_or_b64 exec, exec, s[34:35]
	v_cmp_lt_u32_e32 vcc, v0, v30
	s_waitcnt lgkmcnt(0)
	s_barrier
	s_and_saveexec_b64 s[2:3], vcc
	s_cbranch_execz .LBB798_208
; %bb.206:
	v_lshlrev_b32_e32 v4, 3, v0
	s_mov_b64 s[4:5], 0
	v_mov_b32_e32 v3, 0
	v_mov_b32_e32 v2, v0
.LBB798_207:                            ; =>This Inner Loop Header: Depth=1
	v_lshlrev_b64 v[6:7], 3, v[2:3]
	ds_read_b64 v[8:9], v4
	v_add_co_u32_e32 v6, vcc, v31, v6
	v_add_u32_e32 v2, 0x100, v2
	v_addc_co_u32_e32 v7, vcc, v72, v7, vcc
	v_cmp_ge_u32_e32 vcc, v2, v30
	v_add_u32_e32 v4, 0x800, v4
	s_or_b64 s[4:5], vcc, s[4:5]
	s_waitcnt lgkmcnt(0)
	global_store_dwordx2 v[6:7], v[8:9], off
	s_andn2_b64 exec, exec, s[4:5]
	s_cbranch_execnz .LBB798_207
.LBB798_208:
	s_or_b64 exec, exec, s[2:3]
.LBB798_209:
	s_cmpk_lg_i32 s33, 0xf00
	s_cselect_b64 s[2:3], -1, 0
	v_cndmask_b32_e64 v3, 0, 1, s[38:39]
	s_and_b64 s[2:3], s[2:3], s[36:37]
	v_sub_u32_e32 v4, v30, v3
	v_cndmask_b32_e64 v2, 0, 1, s[2:3]
	s_and_b64 s[0:1], s[0:1], s[38:39]
	v_add_u32_e32 v6, v4, v2
	v_cndmask_b32_e64 v4, v70, 0, s[0:1]
	s_mul_hi_u32 s0, s33, 0x88888889
	s_lshr_b32 s0, s0, 3
	v_mad_i32_i24 v5, v0, -15, s33
	v_cmp_eq_u32_e32 vcc, s0, v0
	v_cmp_ne_u32_e64 s[0:1], 0, v5
	v_cndmask_b32_e64 v7, 1, v4, s[0:1]
	v_cmp_ne_u32_e64 s[0:1], 1, v5
	v_cndmask_b32_e64 v8, 1, v84, s[0:1]
	;; [unrolled: 2-line block ×15, first 2 shown]
	s_and_b64 vcc, vcc, s[36:37]
	v_cndmask_b32_e32 v21, v1, v5, vcc
	v_cndmask_b32_e32 v25, v4, v7, vcc
	v_lshlrev_b64 v[4:5], 2, v[34:35]
	v_cndmask_b32_e32 v20, v75, v20, vcc
	v_cndmask_b32_e32 v19, v73, v19, vcc
	v_cndmask_b32_e32 v18, v71, v18, vcc
	v_cndmask_b32_e32 v17, v69, v17, vcc
	v_cndmask_b32_e32 v16, v76, v16, vcc
	v_cndmask_b32_e32 v15, v77, v15, vcc
	v_cndmask_b32_e32 v14, v78, v14, vcc
	v_cndmask_b32_e32 v13, v79, v13, vcc
	v_cndmask_b32_e32 v12, v80, v12, vcc
	v_cndmask_b32_e32 v11, v81, v11, vcc
	v_cndmask_b32_e32 v22, v82, v10, vcc
	v_cndmask_b32_e32 v23, v83, v9, vcc
	v_cndmask_b32_e32 v24, v84, v8, vcc
	v_mov_b32_e32 v1, s53
	v_add_co_u32_e32 v7, vcc, s52, v4
	v_addc_co_u32_e32 v1, vcc, v1, v5, vcc
	v_lshlrev_b64 v[4:5], 2, v[32:33]
	v_add_co_u32_e32 v7, vcc, v7, v4
	v_addc_co_u32_e32 v8, vcc, v1, v5, vcc
	v_lshlrev_b32_e32 v1, 2, v3
	v_add_co_u32_e32 v1, vcc, v1, v7
	v_addc_co_u32_e32 v4, vcc, 0, v8, vcc
	v_add_co_u32_e32 v9, vcc, -4, v1
	v_addc_co_u32_e32 v10, vcc, -1, v4, vcc
	v_cmp_eq_u32_e32 vcc, 0, v25
	v_cndmask_b32_e64 v4, 1, 2, vcc
	v_cmp_eq_u32_e32 vcc, 0, v24
	v_cndmask_b32_e64 v5, 1, 2, vcc
	v_cmp_eq_u32_e32 vcc, 0, v23
	v_and_b32_e32 v4, v5, v4
	v_cndmask_b32_e64 v5, 1, 2, vcc
	v_cmp_eq_u32_e32 vcc, 0, v22
	v_and_b32_e32 v4, v4, v5
	;; [unrolled: 3-line block ×13, first 2 shown]
	v_cndmask_b32_e64 v5, 1, 2, vcc
	s_movk_i32 s30, 0x100
	v_and_b32_e32 v4, v4, v5
	v_cmp_gt_u32_e32 vcc, s30, v6
	v_add_u32_e32 v1, v32, v3
	v_cmp_ne_u32_e64 s[28:29], 0, v25
	v_cmp_ne_u32_e64 s[26:27], 0, v24
	;; [unrolled: 1-line block ×15, first 2 shown]
	s_mov_b64 s[34:35], -1
	v_cmp_gt_i16_e64 s[30:31], 2, v4
	s_barrier
	s_cbranch_vccz .LBB798_246
; %bb.210:
	s_and_saveexec_b64 s[34:35], s[30:31]
	s_cbranch_execz .LBB798_245
; %bb.211:
	v_cmp_ne_u16_e32 vcc, 1, v4
	s_mov_b64 s[38:39], 0
	s_and_saveexec_b64 s[30:31], vcc
	s_xor_b64 s[30:31], exec, s[30:31]
	s_cbranch_execz .LBB798_226
; %bb.212:
	s_and_saveexec_b64 s[38:39], s[28:29]
	s_cbranch_execz .LBB798_228
; %bb.213:
	v_sub_u32_e32 v12, v66, v1
	v_mov_b32_e32 v13, 0
	v_lshlrev_b64 v[12:13], 2, v[12:13]
	v_add_co_u32_e32 v12, vcc, v9, v12
	v_addc_co_u32_e32 v13, vcc, v10, v13, vcc
	global_store_dword v[12:13], v67, off
	s_or_b64 exec, exec, s[38:39]
	s_and_saveexec_b64 s[38:39], s[26:27]
	s_cbranch_execnz .LBB798_229
.LBB798_214:
	s_or_b64 exec, exec, s[38:39]
	s_and_saveexec_b64 s[38:39], s[24:25]
	s_cbranch_execz .LBB798_230
.LBB798_215:
	v_sub_u32_e32 v12, v62, v1
	v_mov_b32_e32 v13, 0
	v_lshlrev_b64 v[12:13], 2, v[12:13]
	v_add_co_u32_e32 v12, vcc, v9, v12
	v_addc_co_u32_e32 v13, vcc, v10, v13, vcc
	global_store_dword v[12:13], v63, off
	s_or_b64 exec, exec, s[38:39]
	s_and_saveexec_b64 s[38:39], s[22:23]
	s_cbranch_execnz .LBB798_231
.LBB798_216:
	s_or_b64 exec, exec, s[38:39]
	s_and_saveexec_b64 s[38:39], s[20:21]
	s_cbranch_execz .LBB798_232
.LBB798_217:
	v_sub_u32_e32 v12, v58, v1
	v_mov_b32_e32 v13, 0
	v_lshlrev_b64 v[12:13], 2, v[12:13]
	v_add_co_u32_e32 v12, vcc, v9, v12
	v_addc_co_u32_e32 v13, vcc, v10, v13, vcc
	global_store_dword v[12:13], v59, off
	s_or_b64 exec, exec, s[38:39]
	s_and_saveexec_b64 s[38:39], s[18:19]
	s_cbranch_execnz .LBB798_233
.LBB798_218:
	s_or_b64 exec, exec, s[38:39]
	s_and_saveexec_b64 s[38:39], s[16:17]
	s_cbranch_execz .LBB798_234
.LBB798_219:
	v_sub_u32_e32 v12, v54, v1
	v_mov_b32_e32 v13, 0
	v_lshlrev_b64 v[12:13], 2, v[12:13]
	v_add_co_u32_e32 v12, vcc, v9, v12
	v_addc_co_u32_e32 v13, vcc, v10, v13, vcc
	global_store_dword v[12:13], v55, off
	s_or_b64 exec, exec, s[38:39]
	s_and_saveexec_b64 s[38:39], s[14:15]
	s_cbranch_execnz .LBB798_235
.LBB798_220:
	s_or_b64 exec, exec, s[38:39]
	s_and_saveexec_b64 s[38:39], s[12:13]
	s_cbranch_execz .LBB798_236
.LBB798_221:
	v_sub_u32_e32 v12, v50, v1
	v_mov_b32_e32 v13, 0
	v_lshlrev_b64 v[12:13], 2, v[12:13]
	v_add_co_u32_e32 v12, vcc, v9, v12
	v_addc_co_u32_e32 v13, vcc, v10, v13, vcc
	global_store_dword v[12:13], v51, off
	s_or_b64 exec, exec, s[38:39]
	s_and_saveexec_b64 s[38:39], s[10:11]
	s_cbranch_execnz .LBB798_237
.LBB798_222:
	s_or_b64 exec, exec, s[38:39]
	s_and_saveexec_b64 s[38:39], s[8:9]
	s_cbranch_execz .LBB798_238
.LBB798_223:
	v_sub_u32_e32 v12, v44, v1
	v_mov_b32_e32 v13, 0
	v_lshlrev_b64 v[12:13], 2, v[12:13]
	v_add_co_u32_e32 v12, vcc, v9, v12
	v_addc_co_u32_e32 v13, vcc, v10, v13, vcc
	global_store_dword v[12:13], v45, off
	s_or_b64 exec, exec, s[38:39]
	s_and_saveexec_b64 s[38:39], s[6:7]
	s_cbranch_execnz .LBB798_239
.LBB798_224:
	s_or_b64 exec, exec, s[38:39]
	s_and_saveexec_b64 s[38:39], s[4:5]
	s_cbranch_execz .LBB798_240
.LBB798_225:
	v_sub_u32_e32 v12, v40, v1
	v_mov_b32_e32 v13, 0
	v_lshlrev_b64 v[12:13], 2, v[12:13]
	v_add_co_u32_e32 v12, vcc, v9, v12
	v_addc_co_u32_e32 v13, vcc, v10, v13, vcc
	global_store_dword v[12:13], v41, off
	s_or_b64 exec, exec, s[38:39]
	s_and_saveexec_b64 s[38:39], s[2:3]
	s_cbranch_execnz .LBB798_241
	s_branch .LBB798_242
.LBB798_226:
	s_andn2_saveexec_b64 s[30:31], s[30:31]
	s_cbranch_execz .LBB798_243
.LBB798_227:
	v_sub_u32_e32 v12, v66, v1
	v_mov_b32_e32 v13, 0
	v_lshlrev_b64 v[14:15], 2, v[12:13]
	v_add_co_u32_e32 v14, vcc, v9, v14
	v_addc_co_u32_e32 v15, vcc, v10, v15, vcc
	v_sub_u32_e32 v12, v64, v1
	global_store_dword v[14:15], v67, off
	v_lshlrev_b64 v[14:15], 2, v[12:13]
	v_add_co_u32_e32 v14, vcc, v9, v14
	v_addc_co_u32_e32 v15, vcc, v10, v15, vcc
	v_sub_u32_e32 v12, v62, v1
	global_store_dword v[14:15], v65, off
	;; [unrolled: 5-line block ×12, first 2 shown]
	v_lshlrev_b64 v[14:15], 2, v[12:13]
	v_add_co_u32_e32 v14, vcc, v9, v14
	v_sub_u32_e32 v12, v38, v1
	v_addc_co_u32_e32 v15, vcc, v10, v15, vcc
	v_lshlrev_b64 v[12:13], 2, v[12:13]
	v_add_co_u32_e32 v12, vcc, v9, v12
	v_addc_co_u32_e32 v13, vcc, v10, v13, vcc
	s_or_b64 s[38:39], s[38:39], exec
	global_store_dword v[14:15], v41, off
	global_store_dword v[12:13], v39, off
	s_or_b64 exec, exec, s[30:31]
	s_and_b64 exec, exec, s[38:39]
	s_cbranch_execnz .LBB798_244
	s_branch .LBB798_245
.LBB798_228:
	s_or_b64 exec, exec, s[38:39]
	s_and_saveexec_b64 s[38:39], s[26:27]
	s_cbranch_execz .LBB798_214
.LBB798_229:
	v_sub_u32_e32 v12, v64, v1
	v_mov_b32_e32 v13, 0
	v_lshlrev_b64 v[12:13], 2, v[12:13]
	v_add_co_u32_e32 v12, vcc, v9, v12
	v_addc_co_u32_e32 v13, vcc, v10, v13, vcc
	global_store_dword v[12:13], v65, off
	s_or_b64 exec, exec, s[38:39]
	s_and_saveexec_b64 s[38:39], s[24:25]
	s_cbranch_execnz .LBB798_215
.LBB798_230:
	s_or_b64 exec, exec, s[38:39]
	s_and_saveexec_b64 s[38:39], s[22:23]
	s_cbranch_execz .LBB798_216
.LBB798_231:
	v_sub_u32_e32 v12, v60, v1
	v_mov_b32_e32 v13, 0
	v_lshlrev_b64 v[12:13], 2, v[12:13]
	v_add_co_u32_e32 v12, vcc, v9, v12
	v_addc_co_u32_e32 v13, vcc, v10, v13, vcc
	global_store_dword v[12:13], v61, off
	s_or_b64 exec, exec, s[38:39]
	s_and_saveexec_b64 s[38:39], s[20:21]
	s_cbranch_execnz .LBB798_217
.LBB798_232:
	s_or_b64 exec, exec, s[38:39]
	s_and_saveexec_b64 s[38:39], s[18:19]
	s_cbranch_execz .LBB798_218
.LBB798_233:
	v_sub_u32_e32 v12, v56, v1
	v_mov_b32_e32 v13, 0
	v_lshlrev_b64 v[12:13], 2, v[12:13]
	v_add_co_u32_e32 v12, vcc, v9, v12
	v_addc_co_u32_e32 v13, vcc, v10, v13, vcc
	global_store_dword v[12:13], v57, off
	s_or_b64 exec, exec, s[38:39]
	s_and_saveexec_b64 s[38:39], s[16:17]
	s_cbranch_execnz .LBB798_219
.LBB798_234:
	s_or_b64 exec, exec, s[38:39]
	s_and_saveexec_b64 s[38:39], s[14:15]
	s_cbranch_execz .LBB798_220
.LBB798_235:
	v_sub_u32_e32 v12, v52, v1
	v_mov_b32_e32 v13, 0
	v_lshlrev_b64 v[12:13], 2, v[12:13]
	v_add_co_u32_e32 v12, vcc, v9, v12
	v_addc_co_u32_e32 v13, vcc, v10, v13, vcc
	global_store_dword v[12:13], v53, off
	s_or_b64 exec, exec, s[38:39]
	s_and_saveexec_b64 s[38:39], s[12:13]
	s_cbranch_execnz .LBB798_221
.LBB798_236:
	s_or_b64 exec, exec, s[38:39]
	s_and_saveexec_b64 s[38:39], s[10:11]
	s_cbranch_execz .LBB798_222
.LBB798_237:
	v_sub_u32_e32 v12, v48, v1
	v_mov_b32_e32 v13, 0
	v_lshlrev_b64 v[12:13], 2, v[12:13]
	v_add_co_u32_e32 v12, vcc, v9, v12
	v_addc_co_u32_e32 v13, vcc, v10, v13, vcc
	global_store_dword v[12:13], v49, off
	s_or_b64 exec, exec, s[38:39]
	s_and_saveexec_b64 s[38:39], s[8:9]
	s_cbranch_execnz .LBB798_223
.LBB798_238:
	s_or_b64 exec, exec, s[38:39]
	s_and_saveexec_b64 s[38:39], s[6:7]
	s_cbranch_execz .LBB798_224
.LBB798_239:
	v_sub_u32_e32 v12, v42, v1
	v_mov_b32_e32 v13, 0
	v_lshlrev_b64 v[12:13], 2, v[12:13]
	v_add_co_u32_e32 v12, vcc, v9, v12
	v_addc_co_u32_e32 v13, vcc, v10, v13, vcc
	global_store_dword v[12:13], v43, off
	s_or_b64 exec, exec, s[38:39]
	s_and_saveexec_b64 s[38:39], s[4:5]
	s_cbranch_execnz .LBB798_225
.LBB798_240:
	s_or_b64 exec, exec, s[38:39]
	s_and_saveexec_b64 s[38:39], s[2:3]
	s_cbranch_execz .LBB798_242
.LBB798_241:
	v_sub_u32_e32 v12, v38, v1
	v_mov_b32_e32 v13, 0
	v_lshlrev_b64 v[12:13], 2, v[12:13]
	v_add_co_u32_e32 v12, vcc, v9, v12
	v_addc_co_u32_e32 v13, vcc, v10, v13, vcc
	global_store_dword v[12:13], v39, off
.LBB798_242:
	s_or_b64 exec, exec, s[38:39]
	s_and_b64 s[38:39], s[0:1], exec
	s_andn2_saveexec_b64 s[30:31], s[30:31]
	s_cbranch_execnz .LBB798_227
.LBB798_243:
	s_or_b64 exec, exec, s[30:31]
	s_and_b64 exec, exec, s[38:39]
	s_cbranch_execz .LBB798_245
.LBB798_244:
	v_sub_u32_e32 v12, v36, v1
	v_mov_b32_e32 v13, 0
	v_lshlrev_b64 v[12:13], 2, v[12:13]
	v_add_co_u32_e32 v12, vcc, v9, v12
	v_addc_co_u32_e32 v13, vcc, v10, v13, vcc
	global_store_dword v[12:13], v37, off
.LBB798_245:
	s_or_b64 exec, exec, s[34:35]
	s_mov_b64 s[34:35], 0
.LBB798_246:
	s_and_b64 vcc, exec, s[34:35]
	s_cbranch_vccz .LBB798_298
; %bb.247:
	v_cmp_gt_i16_e32 vcc, 2, v4
	s_and_saveexec_b64 s[30:31], vcc
	s_cbranch_execz .LBB798_282
; %bb.248:
	v_cmp_ne_u16_e32 vcc, 1, v4
	s_mov_b64 s[38:39], 0
	s_and_saveexec_b64 s[34:35], vcc
	s_xor_b64 s[34:35], exec, s[34:35]
	s_cbranch_execz .LBB798_263
; %bb.249:
	s_and_saveexec_b64 s[38:39], s[28:29]
	s_cbranch_execz .LBB798_265
; %bb.250:
	v_sub_u32_e32 v4, v66, v1
	v_lshlrev_b32_e32 v4, 2, v4
	ds_write_b32 v4, v67
	s_or_b64 exec, exec, s[38:39]
	s_and_saveexec_b64 s[28:29], s[26:27]
	s_cbranch_execnz .LBB798_266
.LBB798_251:
	s_or_b64 exec, exec, s[28:29]
	s_and_saveexec_b64 s[26:27], s[24:25]
	s_cbranch_execz .LBB798_267
.LBB798_252:
	v_sub_u32_e32 v4, v62, v1
	v_lshlrev_b32_e32 v4, 2, v4
	ds_write_b32 v4, v63
	s_or_b64 exec, exec, s[26:27]
	s_and_saveexec_b64 s[24:25], s[22:23]
	s_cbranch_execnz .LBB798_268
.LBB798_253:
	s_or_b64 exec, exec, s[24:25]
	s_and_saveexec_b64 s[22:23], s[20:21]
	s_cbranch_execz .LBB798_269
.LBB798_254:
	v_sub_u32_e32 v4, v58, v1
	v_lshlrev_b32_e32 v4, 2, v4
	ds_write_b32 v4, v59
	s_or_b64 exec, exec, s[22:23]
	s_and_saveexec_b64 s[20:21], s[18:19]
	s_cbranch_execnz .LBB798_270
.LBB798_255:
	s_or_b64 exec, exec, s[20:21]
	s_and_saveexec_b64 s[18:19], s[16:17]
	s_cbranch_execz .LBB798_271
.LBB798_256:
	v_sub_u32_e32 v4, v54, v1
	v_lshlrev_b32_e32 v4, 2, v4
	ds_write_b32 v4, v55
	s_or_b64 exec, exec, s[18:19]
	s_and_saveexec_b64 s[16:17], s[14:15]
	s_cbranch_execnz .LBB798_272
.LBB798_257:
	s_or_b64 exec, exec, s[16:17]
	s_and_saveexec_b64 s[14:15], s[12:13]
	s_cbranch_execz .LBB798_273
.LBB798_258:
	v_sub_u32_e32 v4, v50, v1
	v_lshlrev_b32_e32 v4, 2, v4
	ds_write_b32 v4, v51
	s_or_b64 exec, exec, s[14:15]
	s_and_saveexec_b64 s[12:13], s[10:11]
	s_cbranch_execnz .LBB798_274
.LBB798_259:
	s_or_b64 exec, exec, s[12:13]
	s_and_saveexec_b64 s[10:11], s[8:9]
	s_cbranch_execz .LBB798_275
.LBB798_260:
	v_sub_u32_e32 v4, v44, v1
	v_lshlrev_b32_e32 v4, 2, v4
	ds_write_b32 v4, v45
	s_or_b64 exec, exec, s[10:11]
	s_and_saveexec_b64 s[8:9], s[6:7]
	s_cbranch_execnz .LBB798_276
.LBB798_261:
	s_or_b64 exec, exec, s[8:9]
	s_and_saveexec_b64 s[6:7], s[4:5]
	s_cbranch_execz .LBB798_277
.LBB798_262:
	v_sub_u32_e32 v4, v40, v1
	v_lshlrev_b32_e32 v4, 2, v4
	ds_write_b32 v4, v41
	s_or_b64 exec, exec, s[6:7]
	s_and_saveexec_b64 s[4:5], s[2:3]
	s_cbranch_execnz .LBB798_278
	s_branch .LBB798_279
.LBB798_263:
	s_andn2_saveexec_b64 s[0:1], s[34:35]
	s_cbranch_execz .LBB798_280
.LBB798_264:
	v_sub_u32_e32 v4, v66, v1
	v_lshlrev_b32_e32 v4, 2, v4
	ds_write_b32 v4, v67
	v_sub_u32_e32 v4, v64, v1
	v_lshlrev_b32_e32 v4, 2, v4
	ds_write_b32 v4, v65
	;; [unrolled: 3-line block ×13, first 2 shown]
	v_sub_u32_e32 v4, v38, v1
	v_lshlrev_b32_e32 v4, 2, v4
	s_or_b64 s[38:39], s[38:39], exec
	ds_write_b32 v4, v39
	s_or_b64 exec, exec, s[0:1]
	s_and_b64 exec, exec, s[38:39]
	s_cbranch_execnz .LBB798_281
	s_branch .LBB798_282
.LBB798_265:
	s_or_b64 exec, exec, s[38:39]
	s_and_saveexec_b64 s[28:29], s[26:27]
	s_cbranch_execz .LBB798_251
.LBB798_266:
	v_sub_u32_e32 v4, v64, v1
	v_lshlrev_b32_e32 v4, 2, v4
	ds_write_b32 v4, v65
	s_or_b64 exec, exec, s[28:29]
	s_and_saveexec_b64 s[26:27], s[24:25]
	s_cbranch_execnz .LBB798_252
.LBB798_267:
	s_or_b64 exec, exec, s[26:27]
	s_and_saveexec_b64 s[24:25], s[22:23]
	s_cbranch_execz .LBB798_253
.LBB798_268:
	v_sub_u32_e32 v4, v60, v1
	v_lshlrev_b32_e32 v4, 2, v4
	ds_write_b32 v4, v61
	s_or_b64 exec, exec, s[24:25]
	s_and_saveexec_b64 s[22:23], s[20:21]
	s_cbranch_execnz .LBB798_254
.LBB798_269:
	s_or_b64 exec, exec, s[22:23]
	s_and_saveexec_b64 s[20:21], s[18:19]
	s_cbranch_execz .LBB798_255
.LBB798_270:
	v_sub_u32_e32 v4, v56, v1
	v_lshlrev_b32_e32 v4, 2, v4
	ds_write_b32 v4, v57
	s_or_b64 exec, exec, s[20:21]
	s_and_saveexec_b64 s[18:19], s[16:17]
	s_cbranch_execnz .LBB798_256
.LBB798_271:
	s_or_b64 exec, exec, s[18:19]
	s_and_saveexec_b64 s[16:17], s[14:15]
	s_cbranch_execz .LBB798_257
.LBB798_272:
	v_sub_u32_e32 v4, v52, v1
	v_lshlrev_b32_e32 v4, 2, v4
	ds_write_b32 v4, v53
	s_or_b64 exec, exec, s[16:17]
	s_and_saveexec_b64 s[14:15], s[12:13]
	s_cbranch_execnz .LBB798_258
.LBB798_273:
	s_or_b64 exec, exec, s[14:15]
	s_and_saveexec_b64 s[12:13], s[10:11]
	s_cbranch_execz .LBB798_259
.LBB798_274:
	v_sub_u32_e32 v4, v48, v1
	v_lshlrev_b32_e32 v4, 2, v4
	ds_write_b32 v4, v49
	s_or_b64 exec, exec, s[12:13]
	s_and_saveexec_b64 s[10:11], s[8:9]
	s_cbranch_execnz .LBB798_260
.LBB798_275:
	s_or_b64 exec, exec, s[10:11]
	s_and_saveexec_b64 s[8:9], s[6:7]
	s_cbranch_execz .LBB798_261
.LBB798_276:
	v_sub_u32_e32 v4, v42, v1
	v_lshlrev_b32_e32 v4, 2, v4
	ds_write_b32 v4, v43
	s_or_b64 exec, exec, s[8:9]
	s_and_saveexec_b64 s[6:7], s[4:5]
	s_cbranch_execnz .LBB798_262
.LBB798_277:
	s_or_b64 exec, exec, s[6:7]
	s_and_saveexec_b64 s[4:5], s[2:3]
	s_cbranch_execz .LBB798_279
.LBB798_278:
	v_sub_u32_e32 v4, v38, v1
	v_lshlrev_b32_e32 v4, 2, v4
	ds_write_b32 v4, v39
.LBB798_279:
	s_or_b64 exec, exec, s[4:5]
	s_and_b64 s[38:39], s[0:1], exec
                                        ; implicit-def: $vgpr66_vgpr67
                                        ; implicit-def: $vgpr64_vgpr65
                                        ; implicit-def: $vgpr62_vgpr63
                                        ; implicit-def: $vgpr60_vgpr61
                                        ; implicit-def: $vgpr58_vgpr59
                                        ; implicit-def: $vgpr56_vgpr57
                                        ; implicit-def: $vgpr54_vgpr55
                                        ; implicit-def: $vgpr52_vgpr53
                                        ; implicit-def: $vgpr50_vgpr51
                                        ; implicit-def: $vgpr48_vgpr49
                                        ; implicit-def: $vgpr44_vgpr45
                                        ; implicit-def: $vgpr42_vgpr43
                                        ; implicit-def: $vgpr40_vgpr41
                                        ; implicit-def: $vgpr38_vgpr39
	s_andn2_saveexec_b64 s[0:1], s[34:35]
	s_cbranch_execnz .LBB798_264
.LBB798_280:
	s_or_b64 exec, exec, s[0:1]
	s_and_b64 exec, exec, s[38:39]
	s_cbranch_execz .LBB798_282
.LBB798_281:
	v_sub_u32_e32 v1, v36, v1
	v_lshlrev_b32_e32 v1, 2, v1
	ds_write_b32 v1, v37
.LBB798_282:
	s_or_b64 exec, exec, s[30:31]
	v_cmp_lt_u32_e32 vcc, v0, v6
	s_waitcnt lgkmcnt(0)
	s_barrier
	s_and_saveexec_b64 s[2:3], vcc
	s_cbranch_execz .LBB798_297
; %bb.283:
	v_add_u32_e32 v4, v30, v2
	v_xad_u32 v1, v0, -1, v4
	v_sub_u32_e32 v1, v1, v3
	s_movk_i32 s0, 0x1900
	v_cmp_gt_u32_e64 s[4:5], s0, v1
	s_movk_i32 s0, 0x18ff
	v_cmp_lt_u32_e32 vcc, s0, v1
	v_mov_b32_e32 v2, v0
	s_and_saveexec_b64 s[6:7], vcc
	s_cbranch_execz .LBB798_294
; %bb.284:
	v_sub_u32_e32 v2, v0, v4
	v_add_u32_e32 v2, v2, v3
	v_or_b32_e32 v2, 0xff, v2
	v_cmp_ge_u32_e32 vcc, v2, v0
	s_mov_b64 s[0:1], -1
	v_mov_b32_e32 v2, v0
	s_and_saveexec_b64 s[8:9], vcc
	s_cbranch_execz .LBB798_293
; %bb.285:
	v_lshrrev_b32_e32 v11, 8, v1
	v_add_u32_e32 v2, -1, v11
	v_or_b32_e32 v1, 0x100, v0
	v_lshrrev_b32_e32 v3, 1, v2
	v_add_u32_e32 v13, 1, v3
	v_cmp_lt_u32_e32 vcc, 13, v2
	v_mov_b32_e32 v16, 0
	v_lshlrev_b32_e32 v12, 2, v0
	v_pk_mov_b32 v[2:3], v[0:1], v[0:1] op_sel:[0,1]
	s_and_saveexec_b64 s[10:11], vcc
	s_cbranch_execz .LBB798_289
; %bb.286:
	v_and_b32_e32 v14, -8, v13
	s_mov_b32 s14, 0
	s_mov_b64 s[12:13], 0
	v_mov_b32_e32 v5, 0
	v_mov_b32_e32 v15, v12
	v_pk_mov_b32 v[2:3], v[0:1], v[0:1] op_sel:[0,1]
.LBB798_287:                            ; =>This Inner Loop Header: Depth=1
	v_mov_b32_e32 v4, v2
	v_add_u32_e32 v14, -8, v14
	v_lshlrev_b64 v[52:53], 2, v[4:5]
	v_mov_b32_e32 v4, v3
	ds_read2st64_b32 v[18:19], v15 offset1:4
	s_add_i32 s14, s14, 16
	v_cmp_eq_u32_e32 vcc, 0, v14
	v_lshlrev_b64 v[56:57], 2, v[4:5]
	v_add_u32_e32 v4, 0x200, v2
	s_or_b64 s[12:13], vcc, s[12:13]
	v_add_co_u32_e32 v56, vcc, v9, v56
	v_add_u32_e32 v16, 0x200, v3
	v_mov_b32_e32 v17, v5
	ds_read2st64_b32 v[20:21], v15 offset0:8 offset1:12
	ds_read2st64_b32 v[24:25], v15 offset0:16 offset1:20
	v_add_co_u32_e64 v52, s[0:1], v9, v52
	v_addc_co_u32_e32 v57, vcc, v10, v57, vcc
	v_lshlrev_b64 v[58:59], 2, v[4:5]
	v_lshlrev_b64 v[54:55], 2, v[16:17]
	v_addc_co_u32_e64 v53, s[0:1], v10, v53, s[0:1]
	v_add_u32_e32 v4, 0x400, v2
	v_add_co_u32_e32 v58, vcc, v9, v58
	v_add_u32_e32 v22, 0x400, v3
	v_mov_b32_e32 v23, v5
	ds_read2st64_b32 v[28:29], v15 offset0:24 offset1:28
	v_add_co_u32_e64 v54, s[0:1], v9, v54
	v_addc_co_u32_e32 v59, vcc, v10, v59, vcc
	v_lshlrev_b64 v[60:61], 2, v[4:5]
	ds_read2st64_b32 v[38:39], v15 offset0:32 offset1:36
	ds_read2st64_b32 v[42:43], v15 offset0:40 offset1:44
	;; [unrolled: 1-line block ×4, first 2 shown]
	v_lshlrev_b64 v[22:23], 2, v[22:23]
	v_addc_co_u32_e64 v55, s[0:1], v10, v55, s[0:1]
	v_add_u32_e32 v4, 0x600, v2
	s_waitcnt lgkmcnt(7)
	global_store_dword v[52:53], v18, off
	global_store_dword v[56:57], v19, off
	s_waitcnt lgkmcnt(6)
	global_store_dword v[58:59], v20, off
	global_store_dword v[54:55], v21, off
	v_add_co_u32_e32 v18, vcc, v9, v60
	v_add_u32_e32 v26, 0x600, v3
	v_mov_b32_e32 v27, v5
	v_add_co_u32_e64 v22, s[0:1], v9, v22
	v_addc_co_u32_e32 v19, vcc, v10, v61, vcc
	v_lshlrev_b64 v[20:21], 2, v[4:5]
	v_lshlrev_b64 v[26:27], 2, v[26:27]
	v_addc_co_u32_e64 v23, s[0:1], v10, v23, s[0:1]
	v_add_u32_e32 v4, 0x800, v2
	s_waitcnt lgkmcnt(5)
	global_store_dword v[18:19], v24, off
	global_store_dword v[22:23], v25, off
	v_add_co_u32_e32 v18, vcc, v9, v20
	v_add_u32_e32 v36, 0x800, v3
	v_mov_b32_e32 v37, v5
	v_add_co_u32_e64 v26, s[0:1], v9, v26
	v_addc_co_u32_e32 v19, vcc, v10, v21, vcc
	v_lshlrev_b64 v[20:21], 2, v[4:5]
	v_lshlrev_b64 v[36:37], 2, v[36:37]
	v_addc_co_u32_e64 v27, s[0:1], v10, v27, s[0:1]
	v_add_u32_e32 v4, 0xa00, v2
	;; [unrolled: 12-line block ×4, first 2 shown]
	s_waitcnt lgkmcnt(2)
	global_store_dword v[18:19], v42, off
	global_store_dword v[40:41], v43, off
	v_add_co_u32_e32 v18, vcc, v9, v20
	v_add_u32_e32 v48, 0xe00, v3
	v_mov_b32_e32 v49, v5
	v_add_co_u32_e64 v44, s[0:1], v9, v44
	v_addc_co_u32_e32 v19, vcc, v10, v21, vcc
	v_lshlrev_b64 v[20:21], 2, v[4:5]
	v_lshlrev_b64 v[48:49], 2, v[48:49]
	v_addc_co_u32_e64 v45, s[0:1], v10, v45, s[0:1]
	s_waitcnt lgkmcnt(1)
	global_store_dword v[18:19], v46, off
	global_store_dword v[44:45], v47, off
	v_add_co_u32_e32 v18, vcc, v9, v20
	v_add_u32_e32 v15, 0x4000, v15
	v_add_u32_e32 v3, 0x1000, v3
	v_mov_b32_e32 v16, s14
	v_add_co_u32_e64 v48, s[0:1], v9, v48
	v_add_u32_e32 v2, 0x1000, v2
	v_addc_co_u32_e32 v19, vcc, v10, v21, vcc
	v_addc_co_u32_e64 v49, s[0:1], v10, v49, s[0:1]
	s_waitcnt lgkmcnt(0)
	global_store_dword v[18:19], v50, off
	global_store_dword v[48:49], v51, off
	s_andn2_b64 exec, exec, s[12:13]
	s_cbranch_execnz .LBB798_287
; %bb.288:
	s_or_b64 exec, exec, s[12:13]
.LBB798_289:
	s_or_b64 exec, exec, s[10:11]
	v_and_b32_e32 v1, 7, v13
	v_cmp_ne_u32_e32 vcc, 0, v1
	s_and_saveexec_b64 s[10:11], vcc
	s_cbranch_execz .LBB798_292
; %bb.290:
	v_lshl_or_b32 v12, v16, 10, v12
	s_mov_b64 s[12:13], 0
	v_mov_b32_e32 v5, 0
.LBB798_291:                            ; =>This Inner Loop Header: Depth=1
	ds_read2st64_b32 v[14:15], v12 offset1:4
	v_mov_b32_e32 v4, v2
	v_add_u32_e32 v1, -1, v1
	v_lshlrev_b64 v[16:17], 2, v[4:5]
	v_mov_b32_e32 v4, v3
	v_cmp_eq_u32_e32 vcc, 0, v1
	v_add_co_u32_e64 v16, s[0:1], v9, v16
	v_lshlrev_b64 v[18:19], 2, v[4:5]
	v_add_u32_e32 v2, 0x200, v2
	v_add_u32_e32 v12, 0x800, v12
	;; [unrolled: 1-line block ×3, first 2 shown]
	v_addc_co_u32_e64 v17, s[0:1], v10, v17, s[0:1]
	s_or_b64 s[12:13], vcc, s[12:13]
	v_add_co_u32_e32 v18, vcc, v9, v18
	v_addc_co_u32_e32 v19, vcc, v10, v19, vcc
	s_waitcnt lgkmcnt(0)
	global_store_dword v[16:17], v14, off
	global_store_dword v[18:19], v15, off
	s_andn2_b64 exec, exec, s[12:13]
	s_cbranch_execnz .LBB798_291
.LBB798_292:
	s_or_b64 exec, exec, s[10:11]
	v_add_u32_e32 v1, 1, v11
	v_and_b32_e32 v3, 0x1fffffe, v1
	v_cmp_ne_u32_e32 vcc, v1, v3
	v_lshl_or_b32 v2, v3, 8, v0
	s_orn2_b64 s[0:1], vcc, exec
.LBB798_293:
	s_or_b64 exec, exec, s[8:9]
	s_andn2_b64 s[4:5], s[4:5], exec
	s_and_b64 s[0:1], s[0:1], exec
	s_or_b64 s[4:5], s[4:5], s[0:1]
.LBB798_294:
	s_or_b64 exec, exec, s[6:7]
	s_and_b64 exec, exec, s[4:5]
	s_cbranch_execz .LBB798_297
; %bb.295:
	v_lshlrev_b32_e32 v1, 2, v2
	s_mov_b64 s[0:1], 0
	v_mov_b32_e32 v3, 0
.LBB798_296:                            ; =>This Inner Loop Header: Depth=1
	v_lshlrev_b64 v[4:5], 2, v[2:3]
	ds_read_b32 v11, v1
	v_add_co_u32_e32 v4, vcc, v9, v4
	v_add_u32_e32 v2, 0x100, v2
	v_addc_co_u32_e32 v5, vcc, v10, v5, vcc
	v_cmp_ge_u32_e32 vcc, v2, v6
	v_add_u32_e32 v1, 0x400, v1
	s_or_b64 s[0:1], vcc, s[0:1]
	s_waitcnt lgkmcnt(0)
	global_store_dword v[4:5], v11, off
	s_andn2_b64 exec, exec, s[0:1]
	s_cbranch_execnz .LBB798_296
.LBB798_297:
	s_or_b64 exec, exec, s[2:3]
.LBB798_298:
	s_movk_i32 s0, 0xff
	v_cmp_eq_u32_e32 vcc, s0, v0
	s_and_b64 s[0:1], vcc, s[36:37]
	s_and_saveexec_b64 s[2:3], s[0:1]
	s_cbranch_execz .LBB798_301
; %bb.299:
	v_add_co_u32_e32 v0, vcc, v30, v32
	v_addc_co_u32_e64 v1, s[0:1], 0, 0, vcc
	v_add_co_u32_e32 v0, vcc, v0, v34
	v_mov_b32_e32 v31, 0
	v_addc_co_u32_e32 v1, vcc, v1, v35, vcc
	s_cmpk_lg_i32 s33, 0xf00
	global_store_dwordx2 v31, v[0:1], s[54:55]
	s_cbranch_scc1 .LBB798_301
; %bb.300:
	v_lshlrev_b64 v[0:1], 2, v[30:31]
	v_add_co_u32_e32 v0, vcc, v7, v0
	v_addc_co_u32_e32 v1, vcc, v8, v1, vcc
	global_store_dword v[0:1], v68, off offset:-4
.LBB798_301:
	s_endpgm
	.section	.rodata,"a",@progbits
	.p2align	6, 0x0
	.amdhsa_kernel _ZN7rocprim17ROCPRIM_400000_NS6detail17trampoline_kernelINS0_14default_configENS1_29reduce_by_key_config_selectorIxjN6thrust23THRUST_200600_302600_NS4plusIjEEEEZZNS1_33reduce_by_key_impl_wrapped_configILNS1_25lookback_scan_determinismE0ES3_S9_NS6_6detail15normal_iteratorINS6_10device_ptrIxEEEENSD_INSE_IjEEEESG_SI_PmS8_NS6_8equal_toIxEEEE10hipError_tPvRmT2_T3_mT4_T5_T6_T7_T8_P12ihipStream_tbENKUlT_T0_E_clISt17integral_constantIbLb0EES12_IbLb1EEEEDaSY_SZ_EUlSY_E_NS1_11comp_targetILNS1_3genE4ELNS1_11target_archE910ELNS1_3gpuE8ELNS1_3repE0EEENS1_30default_config_static_selectorELNS0_4arch9wavefront6targetE1EEEvT1_
		.amdhsa_group_segment_fixed_size 30720
		.amdhsa_private_segment_fixed_size 0
		.amdhsa_kernarg_size 120
		.amdhsa_user_sgpr_count 6
		.amdhsa_user_sgpr_private_segment_buffer 1
		.amdhsa_user_sgpr_dispatch_ptr 0
		.amdhsa_user_sgpr_queue_ptr 0
		.amdhsa_user_sgpr_kernarg_segment_ptr 1
		.amdhsa_user_sgpr_dispatch_id 0
		.amdhsa_user_sgpr_flat_scratch_init 0
		.amdhsa_user_sgpr_kernarg_preload_length 0
		.amdhsa_user_sgpr_kernarg_preload_offset 0
		.amdhsa_user_sgpr_private_segment_size 0
		.amdhsa_uses_dynamic_stack 0
		.amdhsa_system_sgpr_private_segment_wavefront_offset 0
		.amdhsa_system_sgpr_workgroup_id_x 1
		.amdhsa_system_sgpr_workgroup_id_y 0
		.amdhsa_system_sgpr_workgroup_id_z 0
		.amdhsa_system_sgpr_workgroup_info 0
		.amdhsa_system_vgpr_workitem_id 0
		.amdhsa_next_free_vgpr 102
		.amdhsa_next_free_sgpr 66
		.amdhsa_accum_offset 104
		.amdhsa_reserve_vcc 1
		.amdhsa_reserve_flat_scratch 0
		.amdhsa_float_round_mode_32 0
		.amdhsa_float_round_mode_16_64 0
		.amdhsa_float_denorm_mode_32 3
		.amdhsa_float_denorm_mode_16_64 3
		.amdhsa_dx10_clamp 1
		.amdhsa_ieee_mode 1
		.amdhsa_fp16_overflow 0
		.amdhsa_tg_split 0
		.amdhsa_exception_fp_ieee_invalid_op 0
		.amdhsa_exception_fp_denorm_src 0
		.amdhsa_exception_fp_ieee_div_zero 0
		.amdhsa_exception_fp_ieee_overflow 0
		.amdhsa_exception_fp_ieee_underflow 0
		.amdhsa_exception_fp_ieee_inexact 0
		.amdhsa_exception_int_div_zero 0
	.end_amdhsa_kernel
	.section	.text._ZN7rocprim17ROCPRIM_400000_NS6detail17trampoline_kernelINS0_14default_configENS1_29reduce_by_key_config_selectorIxjN6thrust23THRUST_200600_302600_NS4plusIjEEEEZZNS1_33reduce_by_key_impl_wrapped_configILNS1_25lookback_scan_determinismE0ES3_S9_NS6_6detail15normal_iteratorINS6_10device_ptrIxEEEENSD_INSE_IjEEEESG_SI_PmS8_NS6_8equal_toIxEEEE10hipError_tPvRmT2_T3_mT4_T5_T6_T7_T8_P12ihipStream_tbENKUlT_T0_E_clISt17integral_constantIbLb0EES12_IbLb1EEEEDaSY_SZ_EUlSY_E_NS1_11comp_targetILNS1_3genE4ELNS1_11target_archE910ELNS1_3gpuE8ELNS1_3repE0EEENS1_30default_config_static_selectorELNS0_4arch9wavefront6targetE1EEEvT1_,"axG",@progbits,_ZN7rocprim17ROCPRIM_400000_NS6detail17trampoline_kernelINS0_14default_configENS1_29reduce_by_key_config_selectorIxjN6thrust23THRUST_200600_302600_NS4plusIjEEEEZZNS1_33reduce_by_key_impl_wrapped_configILNS1_25lookback_scan_determinismE0ES3_S9_NS6_6detail15normal_iteratorINS6_10device_ptrIxEEEENSD_INSE_IjEEEESG_SI_PmS8_NS6_8equal_toIxEEEE10hipError_tPvRmT2_T3_mT4_T5_T6_T7_T8_P12ihipStream_tbENKUlT_T0_E_clISt17integral_constantIbLb0EES12_IbLb1EEEEDaSY_SZ_EUlSY_E_NS1_11comp_targetILNS1_3genE4ELNS1_11target_archE910ELNS1_3gpuE8ELNS1_3repE0EEENS1_30default_config_static_selectorELNS0_4arch9wavefront6targetE1EEEvT1_,comdat
.Lfunc_end798:
	.size	_ZN7rocprim17ROCPRIM_400000_NS6detail17trampoline_kernelINS0_14default_configENS1_29reduce_by_key_config_selectorIxjN6thrust23THRUST_200600_302600_NS4plusIjEEEEZZNS1_33reduce_by_key_impl_wrapped_configILNS1_25lookback_scan_determinismE0ES3_S9_NS6_6detail15normal_iteratorINS6_10device_ptrIxEEEENSD_INSE_IjEEEESG_SI_PmS8_NS6_8equal_toIxEEEE10hipError_tPvRmT2_T3_mT4_T5_T6_T7_T8_P12ihipStream_tbENKUlT_T0_E_clISt17integral_constantIbLb0EES12_IbLb1EEEEDaSY_SZ_EUlSY_E_NS1_11comp_targetILNS1_3genE4ELNS1_11target_archE910ELNS1_3gpuE8ELNS1_3repE0EEENS1_30default_config_static_selectorELNS0_4arch9wavefront6targetE1EEEvT1_, .Lfunc_end798-_ZN7rocprim17ROCPRIM_400000_NS6detail17trampoline_kernelINS0_14default_configENS1_29reduce_by_key_config_selectorIxjN6thrust23THRUST_200600_302600_NS4plusIjEEEEZZNS1_33reduce_by_key_impl_wrapped_configILNS1_25lookback_scan_determinismE0ES3_S9_NS6_6detail15normal_iteratorINS6_10device_ptrIxEEEENSD_INSE_IjEEEESG_SI_PmS8_NS6_8equal_toIxEEEE10hipError_tPvRmT2_T3_mT4_T5_T6_T7_T8_P12ihipStream_tbENKUlT_T0_E_clISt17integral_constantIbLb0EES12_IbLb1EEEEDaSY_SZ_EUlSY_E_NS1_11comp_targetILNS1_3genE4ELNS1_11target_archE910ELNS1_3gpuE8ELNS1_3repE0EEENS1_30default_config_static_selectorELNS0_4arch9wavefront6targetE1EEEvT1_
                                        ; -- End function
	.section	.AMDGPU.csdata,"",@progbits
; Kernel info:
; codeLenInByte = 16520
; NumSgprs: 70
; NumVgprs: 102
; NumAgprs: 0
; TotalNumVgprs: 102
; ScratchSize: 0
; MemoryBound: 0
; FloatMode: 240
; IeeeMode: 1
; LDSByteSize: 30720 bytes/workgroup (compile time only)
; SGPRBlocks: 8
; VGPRBlocks: 12
; NumSGPRsForWavesPerEU: 70
; NumVGPRsForWavesPerEU: 102
; AccumOffset: 104
; Occupancy: 2
; WaveLimiterHint : 1
; COMPUTE_PGM_RSRC2:SCRATCH_EN: 0
; COMPUTE_PGM_RSRC2:USER_SGPR: 6
; COMPUTE_PGM_RSRC2:TRAP_HANDLER: 0
; COMPUTE_PGM_RSRC2:TGID_X_EN: 1
; COMPUTE_PGM_RSRC2:TGID_Y_EN: 0
; COMPUTE_PGM_RSRC2:TGID_Z_EN: 0
; COMPUTE_PGM_RSRC2:TIDIG_COMP_CNT: 0
; COMPUTE_PGM_RSRC3_GFX90A:ACCUM_OFFSET: 25
; COMPUTE_PGM_RSRC3_GFX90A:TG_SPLIT: 0
	.section	.text._ZN7rocprim17ROCPRIM_400000_NS6detail17trampoline_kernelINS0_14default_configENS1_29reduce_by_key_config_selectorIxjN6thrust23THRUST_200600_302600_NS4plusIjEEEEZZNS1_33reduce_by_key_impl_wrapped_configILNS1_25lookback_scan_determinismE0ES3_S9_NS6_6detail15normal_iteratorINS6_10device_ptrIxEEEENSD_INSE_IjEEEESG_SI_PmS8_NS6_8equal_toIxEEEE10hipError_tPvRmT2_T3_mT4_T5_T6_T7_T8_P12ihipStream_tbENKUlT_T0_E_clISt17integral_constantIbLb0EES12_IbLb1EEEEDaSY_SZ_EUlSY_E_NS1_11comp_targetILNS1_3genE3ELNS1_11target_archE908ELNS1_3gpuE7ELNS1_3repE0EEENS1_30default_config_static_selectorELNS0_4arch9wavefront6targetE1EEEvT1_,"axG",@progbits,_ZN7rocprim17ROCPRIM_400000_NS6detail17trampoline_kernelINS0_14default_configENS1_29reduce_by_key_config_selectorIxjN6thrust23THRUST_200600_302600_NS4plusIjEEEEZZNS1_33reduce_by_key_impl_wrapped_configILNS1_25lookback_scan_determinismE0ES3_S9_NS6_6detail15normal_iteratorINS6_10device_ptrIxEEEENSD_INSE_IjEEEESG_SI_PmS8_NS6_8equal_toIxEEEE10hipError_tPvRmT2_T3_mT4_T5_T6_T7_T8_P12ihipStream_tbENKUlT_T0_E_clISt17integral_constantIbLb0EES12_IbLb1EEEEDaSY_SZ_EUlSY_E_NS1_11comp_targetILNS1_3genE3ELNS1_11target_archE908ELNS1_3gpuE7ELNS1_3repE0EEENS1_30default_config_static_selectorELNS0_4arch9wavefront6targetE1EEEvT1_,comdat
	.protected	_ZN7rocprim17ROCPRIM_400000_NS6detail17trampoline_kernelINS0_14default_configENS1_29reduce_by_key_config_selectorIxjN6thrust23THRUST_200600_302600_NS4plusIjEEEEZZNS1_33reduce_by_key_impl_wrapped_configILNS1_25lookback_scan_determinismE0ES3_S9_NS6_6detail15normal_iteratorINS6_10device_ptrIxEEEENSD_INSE_IjEEEESG_SI_PmS8_NS6_8equal_toIxEEEE10hipError_tPvRmT2_T3_mT4_T5_T6_T7_T8_P12ihipStream_tbENKUlT_T0_E_clISt17integral_constantIbLb0EES12_IbLb1EEEEDaSY_SZ_EUlSY_E_NS1_11comp_targetILNS1_3genE3ELNS1_11target_archE908ELNS1_3gpuE7ELNS1_3repE0EEENS1_30default_config_static_selectorELNS0_4arch9wavefront6targetE1EEEvT1_ ; -- Begin function _ZN7rocprim17ROCPRIM_400000_NS6detail17trampoline_kernelINS0_14default_configENS1_29reduce_by_key_config_selectorIxjN6thrust23THRUST_200600_302600_NS4plusIjEEEEZZNS1_33reduce_by_key_impl_wrapped_configILNS1_25lookback_scan_determinismE0ES3_S9_NS6_6detail15normal_iteratorINS6_10device_ptrIxEEEENSD_INSE_IjEEEESG_SI_PmS8_NS6_8equal_toIxEEEE10hipError_tPvRmT2_T3_mT4_T5_T6_T7_T8_P12ihipStream_tbENKUlT_T0_E_clISt17integral_constantIbLb0EES12_IbLb1EEEEDaSY_SZ_EUlSY_E_NS1_11comp_targetILNS1_3genE3ELNS1_11target_archE908ELNS1_3gpuE7ELNS1_3repE0EEENS1_30default_config_static_selectorELNS0_4arch9wavefront6targetE1EEEvT1_
	.globl	_ZN7rocprim17ROCPRIM_400000_NS6detail17trampoline_kernelINS0_14default_configENS1_29reduce_by_key_config_selectorIxjN6thrust23THRUST_200600_302600_NS4plusIjEEEEZZNS1_33reduce_by_key_impl_wrapped_configILNS1_25lookback_scan_determinismE0ES3_S9_NS6_6detail15normal_iteratorINS6_10device_ptrIxEEEENSD_INSE_IjEEEESG_SI_PmS8_NS6_8equal_toIxEEEE10hipError_tPvRmT2_T3_mT4_T5_T6_T7_T8_P12ihipStream_tbENKUlT_T0_E_clISt17integral_constantIbLb0EES12_IbLb1EEEEDaSY_SZ_EUlSY_E_NS1_11comp_targetILNS1_3genE3ELNS1_11target_archE908ELNS1_3gpuE7ELNS1_3repE0EEENS1_30default_config_static_selectorELNS0_4arch9wavefront6targetE1EEEvT1_
	.p2align	8
	.type	_ZN7rocprim17ROCPRIM_400000_NS6detail17trampoline_kernelINS0_14default_configENS1_29reduce_by_key_config_selectorIxjN6thrust23THRUST_200600_302600_NS4plusIjEEEEZZNS1_33reduce_by_key_impl_wrapped_configILNS1_25lookback_scan_determinismE0ES3_S9_NS6_6detail15normal_iteratorINS6_10device_ptrIxEEEENSD_INSE_IjEEEESG_SI_PmS8_NS6_8equal_toIxEEEE10hipError_tPvRmT2_T3_mT4_T5_T6_T7_T8_P12ihipStream_tbENKUlT_T0_E_clISt17integral_constantIbLb0EES12_IbLb1EEEEDaSY_SZ_EUlSY_E_NS1_11comp_targetILNS1_3genE3ELNS1_11target_archE908ELNS1_3gpuE7ELNS1_3repE0EEENS1_30default_config_static_selectorELNS0_4arch9wavefront6targetE1EEEvT1_,@function
_ZN7rocprim17ROCPRIM_400000_NS6detail17trampoline_kernelINS0_14default_configENS1_29reduce_by_key_config_selectorIxjN6thrust23THRUST_200600_302600_NS4plusIjEEEEZZNS1_33reduce_by_key_impl_wrapped_configILNS1_25lookback_scan_determinismE0ES3_S9_NS6_6detail15normal_iteratorINS6_10device_ptrIxEEEENSD_INSE_IjEEEESG_SI_PmS8_NS6_8equal_toIxEEEE10hipError_tPvRmT2_T3_mT4_T5_T6_T7_T8_P12ihipStream_tbENKUlT_T0_E_clISt17integral_constantIbLb0EES12_IbLb1EEEEDaSY_SZ_EUlSY_E_NS1_11comp_targetILNS1_3genE3ELNS1_11target_archE908ELNS1_3gpuE7ELNS1_3repE0EEENS1_30default_config_static_selectorELNS0_4arch9wavefront6targetE1EEEvT1_: ; @_ZN7rocprim17ROCPRIM_400000_NS6detail17trampoline_kernelINS0_14default_configENS1_29reduce_by_key_config_selectorIxjN6thrust23THRUST_200600_302600_NS4plusIjEEEEZZNS1_33reduce_by_key_impl_wrapped_configILNS1_25lookback_scan_determinismE0ES3_S9_NS6_6detail15normal_iteratorINS6_10device_ptrIxEEEENSD_INSE_IjEEEESG_SI_PmS8_NS6_8equal_toIxEEEE10hipError_tPvRmT2_T3_mT4_T5_T6_T7_T8_P12ihipStream_tbENKUlT_T0_E_clISt17integral_constantIbLb0EES12_IbLb1EEEEDaSY_SZ_EUlSY_E_NS1_11comp_targetILNS1_3genE3ELNS1_11target_archE908ELNS1_3gpuE7ELNS1_3repE0EEENS1_30default_config_static_selectorELNS0_4arch9wavefront6targetE1EEEvT1_
; %bb.0:
	.section	.rodata,"a",@progbits
	.p2align	6, 0x0
	.amdhsa_kernel _ZN7rocprim17ROCPRIM_400000_NS6detail17trampoline_kernelINS0_14default_configENS1_29reduce_by_key_config_selectorIxjN6thrust23THRUST_200600_302600_NS4plusIjEEEEZZNS1_33reduce_by_key_impl_wrapped_configILNS1_25lookback_scan_determinismE0ES3_S9_NS6_6detail15normal_iteratorINS6_10device_ptrIxEEEENSD_INSE_IjEEEESG_SI_PmS8_NS6_8equal_toIxEEEE10hipError_tPvRmT2_T3_mT4_T5_T6_T7_T8_P12ihipStream_tbENKUlT_T0_E_clISt17integral_constantIbLb0EES12_IbLb1EEEEDaSY_SZ_EUlSY_E_NS1_11comp_targetILNS1_3genE3ELNS1_11target_archE908ELNS1_3gpuE7ELNS1_3repE0EEENS1_30default_config_static_selectorELNS0_4arch9wavefront6targetE1EEEvT1_
		.amdhsa_group_segment_fixed_size 0
		.amdhsa_private_segment_fixed_size 0
		.amdhsa_kernarg_size 120
		.amdhsa_user_sgpr_count 6
		.amdhsa_user_sgpr_private_segment_buffer 1
		.amdhsa_user_sgpr_dispatch_ptr 0
		.amdhsa_user_sgpr_queue_ptr 0
		.amdhsa_user_sgpr_kernarg_segment_ptr 1
		.amdhsa_user_sgpr_dispatch_id 0
		.amdhsa_user_sgpr_flat_scratch_init 0
		.amdhsa_user_sgpr_kernarg_preload_length 0
		.amdhsa_user_sgpr_kernarg_preload_offset 0
		.amdhsa_user_sgpr_private_segment_size 0
		.amdhsa_uses_dynamic_stack 0
		.amdhsa_system_sgpr_private_segment_wavefront_offset 0
		.amdhsa_system_sgpr_workgroup_id_x 1
		.amdhsa_system_sgpr_workgroup_id_y 0
		.amdhsa_system_sgpr_workgroup_id_z 0
		.amdhsa_system_sgpr_workgroup_info 0
		.amdhsa_system_vgpr_workitem_id 0
		.amdhsa_next_free_vgpr 1
		.amdhsa_next_free_sgpr 0
		.amdhsa_accum_offset 4
		.amdhsa_reserve_vcc 0
		.amdhsa_reserve_flat_scratch 0
		.amdhsa_float_round_mode_32 0
		.amdhsa_float_round_mode_16_64 0
		.amdhsa_float_denorm_mode_32 3
		.amdhsa_float_denorm_mode_16_64 3
		.amdhsa_dx10_clamp 1
		.amdhsa_ieee_mode 1
		.amdhsa_fp16_overflow 0
		.amdhsa_tg_split 0
		.amdhsa_exception_fp_ieee_invalid_op 0
		.amdhsa_exception_fp_denorm_src 0
		.amdhsa_exception_fp_ieee_div_zero 0
		.amdhsa_exception_fp_ieee_overflow 0
		.amdhsa_exception_fp_ieee_underflow 0
		.amdhsa_exception_fp_ieee_inexact 0
		.amdhsa_exception_int_div_zero 0
	.end_amdhsa_kernel
	.section	.text._ZN7rocprim17ROCPRIM_400000_NS6detail17trampoline_kernelINS0_14default_configENS1_29reduce_by_key_config_selectorIxjN6thrust23THRUST_200600_302600_NS4plusIjEEEEZZNS1_33reduce_by_key_impl_wrapped_configILNS1_25lookback_scan_determinismE0ES3_S9_NS6_6detail15normal_iteratorINS6_10device_ptrIxEEEENSD_INSE_IjEEEESG_SI_PmS8_NS6_8equal_toIxEEEE10hipError_tPvRmT2_T3_mT4_T5_T6_T7_T8_P12ihipStream_tbENKUlT_T0_E_clISt17integral_constantIbLb0EES12_IbLb1EEEEDaSY_SZ_EUlSY_E_NS1_11comp_targetILNS1_3genE3ELNS1_11target_archE908ELNS1_3gpuE7ELNS1_3repE0EEENS1_30default_config_static_selectorELNS0_4arch9wavefront6targetE1EEEvT1_,"axG",@progbits,_ZN7rocprim17ROCPRIM_400000_NS6detail17trampoline_kernelINS0_14default_configENS1_29reduce_by_key_config_selectorIxjN6thrust23THRUST_200600_302600_NS4plusIjEEEEZZNS1_33reduce_by_key_impl_wrapped_configILNS1_25lookback_scan_determinismE0ES3_S9_NS6_6detail15normal_iteratorINS6_10device_ptrIxEEEENSD_INSE_IjEEEESG_SI_PmS8_NS6_8equal_toIxEEEE10hipError_tPvRmT2_T3_mT4_T5_T6_T7_T8_P12ihipStream_tbENKUlT_T0_E_clISt17integral_constantIbLb0EES12_IbLb1EEEEDaSY_SZ_EUlSY_E_NS1_11comp_targetILNS1_3genE3ELNS1_11target_archE908ELNS1_3gpuE7ELNS1_3repE0EEENS1_30default_config_static_selectorELNS0_4arch9wavefront6targetE1EEEvT1_,comdat
.Lfunc_end799:
	.size	_ZN7rocprim17ROCPRIM_400000_NS6detail17trampoline_kernelINS0_14default_configENS1_29reduce_by_key_config_selectorIxjN6thrust23THRUST_200600_302600_NS4plusIjEEEEZZNS1_33reduce_by_key_impl_wrapped_configILNS1_25lookback_scan_determinismE0ES3_S9_NS6_6detail15normal_iteratorINS6_10device_ptrIxEEEENSD_INSE_IjEEEESG_SI_PmS8_NS6_8equal_toIxEEEE10hipError_tPvRmT2_T3_mT4_T5_T6_T7_T8_P12ihipStream_tbENKUlT_T0_E_clISt17integral_constantIbLb0EES12_IbLb1EEEEDaSY_SZ_EUlSY_E_NS1_11comp_targetILNS1_3genE3ELNS1_11target_archE908ELNS1_3gpuE7ELNS1_3repE0EEENS1_30default_config_static_selectorELNS0_4arch9wavefront6targetE1EEEvT1_, .Lfunc_end799-_ZN7rocprim17ROCPRIM_400000_NS6detail17trampoline_kernelINS0_14default_configENS1_29reduce_by_key_config_selectorIxjN6thrust23THRUST_200600_302600_NS4plusIjEEEEZZNS1_33reduce_by_key_impl_wrapped_configILNS1_25lookback_scan_determinismE0ES3_S9_NS6_6detail15normal_iteratorINS6_10device_ptrIxEEEENSD_INSE_IjEEEESG_SI_PmS8_NS6_8equal_toIxEEEE10hipError_tPvRmT2_T3_mT4_T5_T6_T7_T8_P12ihipStream_tbENKUlT_T0_E_clISt17integral_constantIbLb0EES12_IbLb1EEEEDaSY_SZ_EUlSY_E_NS1_11comp_targetILNS1_3genE3ELNS1_11target_archE908ELNS1_3gpuE7ELNS1_3repE0EEENS1_30default_config_static_selectorELNS0_4arch9wavefront6targetE1EEEvT1_
                                        ; -- End function
	.section	.AMDGPU.csdata,"",@progbits
; Kernel info:
; codeLenInByte = 0
; NumSgprs: 4
; NumVgprs: 0
; NumAgprs: 0
; TotalNumVgprs: 0
; ScratchSize: 0
; MemoryBound: 0
; FloatMode: 240
; IeeeMode: 1
; LDSByteSize: 0 bytes/workgroup (compile time only)
; SGPRBlocks: 0
; VGPRBlocks: 0
; NumSGPRsForWavesPerEU: 4
; NumVGPRsForWavesPerEU: 1
; AccumOffset: 4
; Occupancy: 8
; WaveLimiterHint : 0
; COMPUTE_PGM_RSRC2:SCRATCH_EN: 0
; COMPUTE_PGM_RSRC2:USER_SGPR: 6
; COMPUTE_PGM_RSRC2:TRAP_HANDLER: 0
; COMPUTE_PGM_RSRC2:TGID_X_EN: 1
; COMPUTE_PGM_RSRC2:TGID_Y_EN: 0
; COMPUTE_PGM_RSRC2:TGID_Z_EN: 0
; COMPUTE_PGM_RSRC2:TIDIG_COMP_CNT: 0
; COMPUTE_PGM_RSRC3_GFX90A:ACCUM_OFFSET: 0
; COMPUTE_PGM_RSRC3_GFX90A:TG_SPLIT: 0
	.section	.text._ZN7rocprim17ROCPRIM_400000_NS6detail17trampoline_kernelINS0_14default_configENS1_29reduce_by_key_config_selectorIxjN6thrust23THRUST_200600_302600_NS4plusIjEEEEZZNS1_33reduce_by_key_impl_wrapped_configILNS1_25lookback_scan_determinismE0ES3_S9_NS6_6detail15normal_iteratorINS6_10device_ptrIxEEEENSD_INSE_IjEEEESG_SI_PmS8_NS6_8equal_toIxEEEE10hipError_tPvRmT2_T3_mT4_T5_T6_T7_T8_P12ihipStream_tbENKUlT_T0_E_clISt17integral_constantIbLb0EES12_IbLb1EEEEDaSY_SZ_EUlSY_E_NS1_11comp_targetILNS1_3genE2ELNS1_11target_archE906ELNS1_3gpuE6ELNS1_3repE0EEENS1_30default_config_static_selectorELNS0_4arch9wavefront6targetE1EEEvT1_,"axG",@progbits,_ZN7rocprim17ROCPRIM_400000_NS6detail17trampoline_kernelINS0_14default_configENS1_29reduce_by_key_config_selectorIxjN6thrust23THRUST_200600_302600_NS4plusIjEEEEZZNS1_33reduce_by_key_impl_wrapped_configILNS1_25lookback_scan_determinismE0ES3_S9_NS6_6detail15normal_iteratorINS6_10device_ptrIxEEEENSD_INSE_IjEEEESG_SI_PmS8_NS6_8equal_toIxEEEE10hipError_tPvRmT2_T3_mT4_T5_T6_T7_T8_P12ihipStream_tbENKUlT_T0_E_clISt17integral_constantIbLb0EES12_IbLb1EEEEDaSY_SZ_EUlSY_E_NS1_11comp_targetILNS1_3genE2ELNS1_11target_archE906ELNS1_3gpuE6ELNS1_3repE0EEENS1_30default_config_static_selectorELNS0_4arch9wavefront6targetE1EEEvT1_,comdat
	.protected	_ZN7rocprim17ROCPRIM_400000_NS6detail17trampoline_kernelINS0_14default_configENS1_29reduce_by_key_config_selectorIxjN6thrust23THRUST_200600_302600_NS4plusIjEEEEZZNS1_33reduce_by_key_impl_wrapped_configILNS1_25lookback_scan_determinismE0ES3_S9_NS6_6detail15normal_iteratorINS6_10device_ptrIxEEEENSD_INSE_IjEEEESG_SI_PmS8_NS6_8equal_toIxEEEE10hipError_tPvRmT2_T3_mT4_T5_T6_T7_T8_P12ihipStream_tbENKUlT_T0_E_clISt17integral_constantIbLb0EES12_IbLb1EEEEDaSY_SZ_EUlSY_E_NS1_11comp_targetILNS1_3genE2ELNS1_11target_archE906ELNS1_3gpuE6ELNS1_3repE0EEENS1_30default_config_static_selectorELNS0_4arch9wavefront6targetE1EEEvT1_ ; -- Begin function _ZN7rocprim17ROCPRIM_400000_NS6detail17trampoline_kernelINS0_14default_configENS1_29reduce_by_key_config_selectorIxjN6thrust23THRUST_200600_302600_NS4plusIjEEEEZZNS1_33reduce_by_key_impl_wrapped_configILNS1_25lookback_scan_determinismE0ES3_S9_NS6_6detail15normal_iteratorINS6_10device_ptrIxEEEENSD_INSE_IjEEEESG_SI_PmS8_NS6_8equal_toIxEEEE10hipError_tPvRmT2_T3_mT4_T5_T6_T7_T8_P12ihipStream_tbENKUlT_T0_E_clISt17integral_constantIbLb0EES12_IbLb1EEEEDaSY_SZ_EUlSY_E_NS1_11comp_targetILNS1_3genE2ELNS1_11target_archE906ELNS1_3gpuE6ELNS1_3repE0EEENS1_30default_config_static_selectorELNS0_4arch9wavefront6targetE1EEEvT1_
	.globl	_ZN7rocprim17ROCPRIM_400000_NS6detail17trampoline_kernelINS0_14default_configENS1_29reduce_by_key_config_selectorIxjN6thrust23THRUST_200600_302600_NS4plusIjEEEEZZNS1_33reduce_by_key_impl_wrapped_configILNS1_25lookback_scan_determinismE0ES3_S9_NS6_6detail15normal_iteratorINS6_10device_ptrIxEEEENSD_INSE_IjEEEESG_SI_PmS8_NS6_8equal_toIxEEEE10hipError_tPvRmT2_T3_mT4_T5_T6_T7_T8_P12ihipStream_tbENKUlT_T0_E_clISt17integral_constantIbLb0EES12_IbLb1EEEEDaSY_SZ_EUlSY_E_NS1_11comp_targetILNS1_3genE2ELNS1_11target_archE906ELNS1_3gpuE6ELNS1_3repE0EEENS1_30default_config_static_selectorELNS0_4arch9wavefront6targetE1EEEvT1_
	.p2align	8
	.type	_ZN7rocprim17ROCPRIM_400000_NS6detail17trampoline_kernelINS0_14default_configENS1_29reduce_by_key_config_selectorIxjN6thrust23THRUST_200600_302600_NS4plusIjEEEEZZNS1_33reduce_by_key_impl_wrapped_configILNS1_25lookback_scan_determinismE0ES3_S9_NS6_6detail15normal_iteratorINS6_10device_ptrIxEEEENSD_INSE_IjEEEESG_SI_PmS8_NS6_8equal_toIxEEEE10hipError_tPvRmT2_T3_mT4_T5_T6_T7_T8_P12ihipStream_tbENKUlT_T0_E_clISt17integral_constantIbLb0EES12_IbLb1EEEEDaSY_SZ_EUlSY_E_NS1_11comp_targetILNS1_3genE2ELNS1_11target_archE906ELNS1_3gpuE6ELNS1_3repE0EEENS1_30default_config_static_selectorELNS0_4arch9wavefront6targetE1EEEvT1_,@function
_ZN7rocprim17ROCPRIM_400000_NS6detail17trampoline_kernelINS0_14default_configENS1_29reduce_by_key_config_selectorIxjN6thrust23THRUST_200600_302600_NS4plusIjEEEEZZNS1_33reduce_by_key_impl_wrapped_configILNS1_25lookback_scan_determinismE0ES3_S9_NS6_6detail15normal_iteratorINS6_10device_ptrIxEEEENSD_INSE_IjEEEESG_SI_PmS8_NS6_8equal_toIxEEEE10hipError_tPvRmT2_T3_mT4_T5_T6_T7_T8_P12ihipStream_tbENKUlT_T0_E_clISt17integral_constantIbLb0EES12_IbLb1EEEEDaSY_SZ_EUlSY_E_NS1_11comp_targetILNS1_3genE2ELNS1_11target_archE906ELNS1_3gpuE6ELNS1_3repE0EEENS1_30default_config_static_selectorELNS0_4arch9wavefront6targetE1EEEvT1_: ; @_ZN7rocprim17ROCPRIM_400000_NS6detail17trampoline_kernelINS0_14default_configENS1_29reduce_by_key_config_selectorIxjN6thrust23THRUST_200600_302600_NS4plusIjEEEEZZNS1_33reduce_by_key_impl_wrapped_configILNS1_25lookback_scan_determinismE0ES3_S9_NS6_6detail15normal_iteratorINS6_10device_ptrIxEEEENSD_INSE_IjEEEESG_SI_PmS8_NS6_8equal_toIxEEEE10hipError_tPvRmT2_T3_mT4_T5_T6_T7_T8_P12ihipStream_tbENKUlT_T0_E_clISt17integral_constantIbLb0EES12_IbLb1EEEEDaSY_SZ_EUlSY_E_NS1_11comp_targetILNS1_3genE2ELNS1_11target_archE906ELNS1_3gpuE6ELNS1_3repE0EEENS1_30default_config_static_selectorELNS0_4arch9wavefront6targetE1EEEvT1_
; %bb.0:
	.section	.rodata,"a",@progbits
	.p2align	6, 0x0
	.amdhsa_kernel _ZN7rocprim17ROCPRIM_400000_NS6detail17trampoline_kernelINS0_14default_configENS1_29reduce_by_key_config_selectorIxjN6thrust23THRUST_200600_302600_NS4plusIjEEEEZZNS1_33reduce_by_key_impl_wrapped_configILNS1_25lookback_scan_determinismE0ES3_S9_NS6_6detail15normal_iteratorINS6_10device_ptrIxEEEENSD_INSE_IjEEEESG_SI_PmS8_NS6_8equal_toIxEEEE10hipError_tPvRmT2_T3_mT4_T5_T6_T7_T8_P12ihipStream_tbENKUlT_T0_E_clISt17integral_constantIbLb0EES12_IbLb1EEEEDaSY_SZ_EUlSY_E_NS1_11comp_targetILNS1_3genE2ELNS1_11target_archE906ELNS1_3gpuE6ELNS1_3repE0EEENS1_30default_config_static_selectorELNS0_4arch9wavefront6targetE1EEEvT1_
		.amdhsa_group_segment_fixed_size 0
		.amdhsa_private_segment_fixed_size 0
		.amdhsa_kernarg_size 120
		.amdhsa_user_sgpr_count 6
		.amdhsa_user_sgpr_private_segment_buffer 1
		.amdhsa_user_sgpr_dispatch_ptr 0
		.amdhsa_user_sgpr_queue_ptr 0
		.amdhsa_user_sgpr_kernarg_segment_ptr 1
		.amdhsa_user_sgpr_dispatch_id 0
		.amdhsa_user_sgpr_flat_scratch_init 0
		.amdhsa_user_sgpr_kernarg_preload_length 0
		.amdhsa_user_sgpr_kernarg_preload_offset 0
		.amdhsa_user_sgpr_private_segment_size 0
		.amdhsa_uses_dynamic_stack 0
		.amdhsa_system_sgpr_private_segment_wavefront_offset 0
		.amdhsa_system_sgpr_workgroup_id_x 1
		.amdhsa_system_sgpr_workgroup_id_y 0
		.amdhsa_system_sgpr_workgroup_id_z 0
		.amdhsa_system_sgpr_workgroup_info 0
		.amdhsa_system_vgpr_workitem_id 0
		.amdhsa_next_free_vgpr 1
		.amdhsa_next_free_sgpr 0
		.amdhsa_accum_offset 4
		.amdhsa_reserve_vcc 0
		.amdhsa_reserve_flat_scratch 0
		.amdhsa_float_round_mode_32 0
		.amdhsa_float_round_mode_16_64 0
		.amdhsa_float_denorm_mode_32 3
		.amdhsa_float_denorm_mode_16_64 3
		.amdhsa_dx10_clamp 1
		.amdhsa_ieee_mode 1
		.amdhsa_fp16_overflow 0
		.amdhsa_tg_split 0
		.amdhsa_exception_fp_ieee_invalid_op 0
		.amdhsa_exception_fp_denorm_src 0
		.amdhsa_exception_fp_ieee_div_zero 0
		.amdhsa_exception_fp_ieee_overflow 0
		.amdhsa_exception_fp_ieee_underflow 0
		.amdhsa_exception_fp_ieee_inexact 0
		.amdhsa_exception_int_div_zero 0
	.end_amdhsa_kernel
	.section	.text._ZN7rocprim17ROCPRIM_400000_NS6detail17trampoline_kernelINS0_14default_configENS1_29reduce_by_key_config_selectorIxjN6thrust23THRUST_200600_302600_NS4plusIjEEEEZZNS1_33reduce_by_key_impl_wrapped_configILNS1_25lookback_scan_determinismE0ES3_S9_NS6_6detail15normal_iteratorINS6_10device_ptrIxEEEENSD_INSE_IjEEEESG_SI_PmS8_NS6_8equal_toIxEEEE10hipError_tPvRmT2_T3_mT4_T5_T6_T7_T8_P12ihipStream_tbENKUlT_T0_E_clISt17integral_constantIbLb0EES12_IbLb1EEEEDaSY_SZ_EUlSY_E_NS1_11comp_targetILNS1_3genE2ELNS1_11target_archE906ELNS1_3gpuE6ELNS1_3repE0EEENS1_30default_config_static_selectorELNS0_4arch9wavefront6targetE1EEEvT1_,"axG",@progbits,_ZN7rocprim17ROCPRIM_400000_NS6detail17trampoline_kernelINS0_14default_configENS1_29reduce_by_key_config_selectorIxjN6thrust23THRUST_200600_302600_NS4plusIjEEEEZZNS1_33reduce_by_key_impl_wrapped_configILNS1_25lookback_scan_determinismE0ES3_S9_NS6_6detail15normal_iteratorINS6_10device_ptrIxEEEENSD_INSE_IjEEEESG_SI_PmS8_NS6_8equal_toIxEEEE10hipError_tPvRmT2_T3_mT4_T5_T6_T7_T8_P12ihipStream_tbENKUlT_T0_E_clISt17integral_constantIbLb0EES12_IbLb1EEEEDaSY_SZ_EUlSY_E_NS1_11comp_targetILNS1_3genE2ELNS1_11target_archE906ELNS1_3gpuE6ELNS1_3repE0EEENS1_30default_config_static_selectorELNS0_4arch9wavefront6targetE1EEEvT1_,comdat
.Lfunc_end800:
	.size	_ZN7rocprim17ROCPRIM_400000_NS6detail17trampoline_kernelINS0_14default_configENS1_29reduce_by_key_config_selectorIxjN6thrust23THRUST_200600_302600_NS4plusIjEEEEZZNS1_33reduce_by_key_impl_wrapped_configILNS1_25lookback_scan_determinismE0ES3_S9_NS6_6detail15normal_iteratorINS6_10device_ptrIxEEEENSD_INSE_IjEEEESG_SI_PmS8_NS6_8equal_toIxEEEE10hipError_tPvRmT2_T3_mT4_T5_T6_T7_T8_P12ihipStream_tbENKUlT_T0_E_clISt17integral_constantIbLb0EES12_IbLb1EEEEDaSY_SZ_EUlSY_E_NS1_11comp_targetILNS1_3genE2ELNS1_11target_archE906ELNS1_3gpuE6ELNS1_3repE0EEENS1_30default_config_static_selectorELNS0_4arch9wavefront6targetE1EEEvT1_, .Lfunc_end800-_ZN7rocprim17ROCPRIM_400000_NS6detail17trampoline_kernelINS0_14default_configENS1_29reduce_by_key_config_selectorIxjN6thrust23THRUST_200600_302600_NS4plusIjEEEEZZNS1_33reduce_by_key_impl_wrapped_configILNS1_25lookback_scan_determinismE0ES3_S9_NS6_6detail15normal_iteratorINS6_10device_ptrIxEEEENSD_INSE_IjEEEESG_SI_PmS8_NS6_8equal_toIxEEEE10hipError_tPvRmT2_T3_mT4_T5_T6_T7_T8_P12ihipStream_tbENKUlT_T0_E_clISt17integral_constantIbLb0EES12_IbLb1EEEEDaSY_SZ_EUlSY_E_NS1_11comp_targetILNS1_3genE2ELNS1_11target_archE906ELNS1_3gpuE6ELNS1_3repE0EEENS1_30default_config_static_selectorELNS0_4arch9wavefront6targetE1EEEvT1_
                                        ; -- End function
	.section	.AMDGPU.csdata,"",@progbits
; Kernel info:
; codeLenInByte = 0
; NumSgprs: 4
; NumVgprs: 0
; NumAgprs: 0
; TotalNumVgprs: 0
; ScratchSize: 0
; MemoryBound: 0
; FloatMode: 240
; IeeeMode: 1
; LDSByteSize: 0 bytes/workgroup (compile time only)
; SGPRBlocks: 0
; VGPRBlocks: 0
; NumSGPRsForWavesPerEU: 4
; NumVGPRsForWavesPerEU: 1
; AccumOffset: 4
; Occupancy: 8
; WaveLimiterHint : 0
; COMPUTE_PGM_RSRC2:SCRATCH_EN: 0
; COMPUTE_PGM_RSRC2:USER_SGPR: 6
; COMPUTE_PGM_RSRC2:TRAP_HANDLER: 0
; COMPUTE_PGM_RSRC2:TGID_X_EN: 1
; COMPUTE_PGM_RSRC2:TGID_Y_EN: 0
; COMPUTE_PGM_RSRC2:TGID_Z_EN: 0
; COMPUTE_PGM_RSRC2:TIDIG_COMP_CNT: 0
; COMPUTE_PGM_RSRC3_GFX90A:ACCUM_OFFSET: 0
; COMPUTE_PGM_RSRC3_GFX90A:TG_SPLIT: 0
	.section	.text._ZN7rocprim17ROCPRIM_400000_NS6detail17trampoline_kernelINS0_14default_configENS1_29reduce_by_key_config_selectorIxjN6thrust23THRUST_200600_302600_NS4plusIjEEEEZZNS1_33reduce_by_key_impl_wrapped_configILNS1_25lookback_scan_determinismE0ES3_S9_NS6_6detail15normal_iteratorINS6_10device_ptrIxEEEENSD_INSE_IjEEEESG_SI_PmS8_NS6_8equal_toIxEEEE10hipError_tPvRmT2_T3_mT4_T5_T6_T7_T8_P12ihipStream_tbENKUlT_T0_E_clISt17integral_constantIbLb0EES12_IbLb1EEEEDaSY_SZ_EUlSY_E_NS1_11comp_targetILNS1_3genE10ELNS1_11target_archE1201ELNS1_3gpuE5ELNS1_3repE0EEENS1_30default_config_static_selectorELNS0_4arch9wavefront6targetE1EEEvT1_,"axG",@progbits,_ZN7rocprim17ROCPRIM_400000_NS6detail17trampoline_kernelINS0_14default_configENS1_29reduce_by_key_config_selectorIxjN6thrust23THRUST_200600_302600_NS4plusIjEEEEZZNS1_33reduce_by_key_impl_wrapped_configILNS1_25lookback_scan_determinismE0ES3_S9_NS6_6detail15normal_iteratorINS6_10device_ptrIxEEEENSD_INSE_IjEEEESG_SI_PmS8_NS6_8equal_toIxEEEE10hipError_tPvRmT2_T3_mT4_T5_T6_T7_T8_P12ihipStream_tbENKUlT_T0_E_clISt17integral_constantIbLb0EES12_IbLb1EEEEDaSY_SZ_EUlSY_E_NS1_11comp_targetILNS1_3genE10ELNS1_11target_archE1201ELNS1_3gpuE5ELNS1_3repE0EEENS1_30default_config_static_selectorELNS0_4arch9wavefront6targetE1EEEvT1_,comdat
	.protected	_ZN7rocprim17ROCPRIM_400000_NS6detail17trampoline_kernelINS0_14default_configENS1_29reduce_by_key_config_selectorIxjN6thrust23THRUST_200600_302600_NS4plusIjEEEEZZNS1_33reduce_by_key_impl_wrapped_configILNS1_25lookback_scan_determinismE0ES3_S9_NS6_6detail15normal_iteratorINS6_10device_ptrIxEEEENSD_INSE_IjEEEESG_SI_PmS8_NS6_8equal_toIxEEEE10hipError_tPvRmT2_T3_mT4_T5_T6_T7_T8_P12ihipStream_tbENKUlT_T0_E_clISt17integral_constantIbLb0EES12_IbLb1EEEEDaSY_SZ_EUlSY_E_NS1_11comp_targetILNS1_3genE10ELNS1_11target_archE1201ELNS1_3gpuE5ELNS1_3repE0EEENS1_30default_config_static_selectorELNS0_4arch9wavefront6targetE1EEEvT1_ ; -- Begin function _ZN7rocprim17ROCPRIM_400000_NS6detail17trampoline_kernelINS0_14default_configENS1_29reduce_by_key_config_selectorIxjN6thrust23THRUST_200600_302600_NS4plusIjEEEEZZNS1_33reduce_by_key_impl_wrapped_configILNS1_25lookback_scan_determinismE0ES3_S9_NS6_6detail15normal_iteratorINS6_10device_ptrIxEEEENSD_INSE_IjEEEESG_SI_PmS8_NS6_8equal_toIxEEEE10hipError_tPvRmT2_T3_mT4_T5_T6_T7_T8_P12ihipStream_tbENKUlT_T0_E_clISt17integral_constantIbLb0EES12_IbLb1EEEEDaSY_SZ_EUlSY_E_NS1_11comp_targetILNS1_3genE10ELNS1_11target_archE1201ELNS1_3gpuE5ELNS1_3repE0EEENS1_30default_config_static_selectorELNS0_4arch9wavefront6targetE1EEEvT1_
	.globl	_ZN7rocprim17ROCPRIM_400000_NS6detail17trampoline_kernelINS0_14default_configENS1_29reduce_by_key_config_selectorIxjN6thrust23THRUST_200600_302600_NS4plusIjEEEEZZNS1_33reduce_by_key_impl_wrapped_configILNS1_25lookback_scan_determinismE0ES3_S9_NS6_6detail15normal_iteratorINS6_10device_ptrIxEEEENSD_INSE_IjEEEESG_SI_PmS8_NS6_8equal_toIxEEEE10hipError_tPvRmT2_T3_mT4_T5_T6_T7_T8_P12ihipStream_tbENKUlT_T0_E_clISt17integral_constantIbLb0EES12_IbLb1EEEEDaSY_SZ_EUlSY_E_NS1_11comp_targetILNS1_3genE10ELNS1_11target_archE1201ELNS1_3gpuE5ELNS1_3repE0EEENS1_30default_config_static_selectorELNS0_4arch9wavefront6targetE1EEEvT1_
	.p2align	8
	.type	_ZN7rocprim17ROCPRIM_400000_NS6detail17trampoline_kernelINS0_14default_configENS1_29reduce_by_key_config_selectorIxjN6thrust23THRUST_200600_302600_NS4plusIjEEEEZZNS1_33reduce_by_key_impl_wrapped_configILNS1_25lookback_scan_determinismE0ES3_S9_NS6_6detail15normal_iteratorINS6_10device_ptrIxEEEENSD_INSE_IjEEEESG_SI_PmS8_NS6_8equal_toIxEEEE10hipError_tPvRmT2_T3_mT4_T5_T6_T7_T8_P12ihipStream_tbENKUlT_T0_E_clISt17integral_constantIbLb0EES12_IbLb1EEEEDaSY_SZ_EUlSY_E_NS1_11comp_targetILNS1_3genE10ELNS1_11target_archE1201ELNS1_3gpuE5ELNS1_3repE0EEENS1_30default_config_static_selectorELNS0_4arch9wavefront6targetE1EEEvT1_,@function
_ZN7rocprim17ROCPRIM_400000_NS6detail17trampoline_kernelINS0_14default_configENS1_29reduce_by_key_config_selectorIxjN6thrust23THRUST_200600_302600_NS4plusIjEEEEZZNS1_33reduce_by_key_impl_wrapped_configILNS1_25lookback_scan_determinismE0ES3_S9_NS6_6detail15normal_iteratorINS6_10device_ptrIxEEEENSD_INSE_IjEEEESG_SI_PmS8_NS6_8equal_toIxEEEE10hipError_tPvRmT2_T3_mT4_T5_T6_T7_T8_P12ihipStream_tbENKUlT_T0_E_clISt17integral_constantIbLb0EES12_IbLb1EEEEDaSY_SZ_EUlSY_E_NS1_11comp_targetILNS1_3genE10ELNS1_11target_archE1201ELNS1_3gpuE5ELNS1_3repE0EEENS1_30default_config_static_selectorELNS0_4arch9wavefront6targetE1EEEvT1_: ; @_ZN7rocprim17ROCPRIM_400000_NS6detail17trampoline_kernelINS0_14default_configENS1_29reduce_by_key_config_selectorIxjN6thrust23THRUST_200600_302600_NS4plusIjEEEEZZNS1_33reduce_by_key_impl_wrapped_configILNS1_25lookback_scan_determinismE0ES3_S9_NS6_6detail15normal_iteratorINS6_10device_ptrIxEEEENSD_INSE_IjEEEESG_SI_PmS8_NS6_8equal_toIxEEEE10hipError_tPvRmT2_T3_mT4_T5_T6_T7_T8_P12ihipStream_tbENKUlT_T0_E_clISt17integral_constantIbLb0EES12_IbLb1EEEEDaSY_SZ_EUlSY_E_NS1_11comp_targetILNS1_3genE10ELNS1_11target_archE1201ELNS1_3gpuE5ELNS1_3repE0EEENS1_30default_config_static_selectorELNS0_4arch9wavefront6targetE1EEEvT1_
; %bb.0:
	.section	.rodata,"a",@progbits
	.p2align	6, 0x0
	.amdhsa_kernel _ZN7rocprim17ROCPRIM_400000_NS6detail17trampoline_kernelINS0_14default_configENS1_29reduce_by_key_config_selectorIxjN6thrust23THRUST_200600_302600_NS4plusIjEEEEZZNS1_33reduce_by_key_impl_wrapped_configILNS1_25lookback_scan_determinismE0ES3_S9_NS6_6detail15normal_iteratorINS6_10device_ptrIxEEEENSD_INSE_IjEEEESG_SI_PmS8_NS6_8equal_toIxEEEE10hipError_tPvRmT2_T3_mT4_T5_T6_T7_T8_P12ihipStream_tbENKUlT_T0_E_clISt17integral_constantIbLb0EES12_IbLb1EEEEDaSY_SZ_EUlSY_E_NS1_11comp_targetILNS1_3genE10ELNS1_11target_archE1201ELNS1_3gpuE5ELNS1_3repE0EEENS1_30default_config_static_selectorELNS0_4arch9wavefront6targetE1EEEvT1_
		.amdhsa_group_segment_fixed_size 0
		.amdhsa_private_segment_fixed_size 0
		.amdhsa_kernarg_size 120
		.amdhsa_user_sgpr_count 6
		.amdhsa_user_sgpr_private_segment_buffer 1
		.amdhsa_user_sgpr_dispatch_ptr 0
		.amdhsa_user_sgpr_queue_ptr 0
		.amdhsa_user_sgpr_kernarg_segment_ptr 1
		.amdhsa_user_sgpr_dispatch_id 0
		.amdhsa_user_sgpr_flat_scratch_init 0
		.amdhsa_user_sgpr_kernarg_preload_length 0
		.amdhsa_user_sgpr_kernarg_preload_offset 0
		.amdhsa_user_sgpr_private_segment_size 0
		.amdhsa_uses_dynamic_stack 0
		.amdhsa_system_sgpr_private_segment_wavefront_offset 0
		.amdhsa_system_sgpr_workgroup_id_x 1
		.amdhsa_system_sgpr_workgroup_id_y 0
		.amdhsa_system_sgpr_workgroup_id_z 0
		.amdhsa_system_sgpr_workgroup_info 0
		.amdhsa_system_vgpr_workitem_id 0
		.amdhsa_next_free_vgpr 1
		.amdhsa_next_free_sgpr 0
		.amdhsa_accum_offset 4
		.amdhsa_reserve_vcc 0
		.amdhsa_reserve_flat_scratch 0
		.amdhsa_float_round_mode_32 0
		.amdhsa_float_round_mode_16_64 0
		.amdhsa_float_denorm_mode_32 3
		.amdhsa_float_denorm_mode_16_64 3
		.amdhsa_dx10_clamp 1
		.amdhsa_ieee_mode 1
		.amdhsa_fp16_overflow 0
		.amdhsa_tg_split 0
		.amdhsa_exception_fp_ieee_invalid_op 0
		.amdhsa_exception_fp_denorm_src 0
		.amdhsa_exception_fp_ieee_div_zero 0
		.amdhsa_exception_fp_ieee_overflow 0
		.amdhsa_exception_fp_ieee_underflow 0
		.amdhsa_exception_fp_ieee_inexact 0
		.amdhsa_exception_int_div_zero 0
	.end_amdhsa_kernel
	.section	.text._ZN7rocprim17ROCPRIM_400000_NS6detail17trampoline_kernelINS0_14default_configENS1_29reduce_by_key_config_selectorIxjN6thrust23THRUST_200600_302600_NS4plusIjEEEEZZNS1_33reduce_by_key_impl_wrapped_configILNS1_25lookback_scan_determinismE0ES3_S9_NS6_6detail15normal_iteratorINS6_10device_ptrIxEEEENSD_INSE_IjEEEESG_SI_PmS8_NS6_8equal_toIxEEEE10hipError_tPvRmT2_T3_mT4_T5_T6_T7_T8_P12ihipStream_tbENKUlT_T0_E_clISt17integral_constantIbLb0EES12_IbLb1EEEEDaSY_SZ_EUlSY_E_NS1_11comp_targetILNS1_3genE10ELNS1_11target_archE1201ELNS1_3gpuE5ELNS1_3repE0EEENS1_30default_config_static_selectorELNS0_4arch9wavefront6targetE1EEEvT1_,"axG",@progbits,_ZN7rocprim17ROCPRIM_400000_NS6detail17trampoline_kernelINS0_14default_configENS1_29reduce_by_key_config_selectorIxjN6thrust23THRUST_200600_302600_NS4plusIjEEEEZZNS1_33reduce_by_key_impl_wrapped_configILNS1_25lookback_scan_determinismE0ES3_S9_NS6_6detail15normal_iteratorINS6_10device_ptrIxEEEENSD_INSE_IjEEEESG_SI_PmS8_NS6_8equal_toIxEEEE10hipError_tPvRmT2_T3_mT4_T5_T6_T7_T8_P12ihipStream_tbENKUlT_T0_E_clISt17integral_constantIbLb0EES12_IbLb1EEEEDaSY_SZ_EUlSY_E_NS1_11comp_targetILNS1_3genE10ELNS1_11target_archE1201ELNS1_3gpuE5ELNS1_3repE0EEENS1_30default_config_static_selectorELNS0_4arch9wavefront6targetE1EEEvT1_,comdat
.Lfunc_end801:
	.size	_ZN7rocprim17ROCPRIM_400000_NS6detail17trampoline_kernelINS0_14default_configENS1_29reduce_by_key_config_selectorIxjN6thrust23THRUST_200600_302600_NS4plusIjEEEEZZNS1_33reduce_by_key_impl_wrapped_configILNS1_25lookback_scan_determinismE0ES3_S9_NS6_6detail15normal_iteratorINS6_10device_ptrIxEEEENSD_INSE_IjEEEESG_SI_PmS8_NS6_8equal_toIxEEEE10hipError_tPvRmT2_T3_mT4_T5_T6_T7_T8_P12ihipStream_tbENKUlT_T0_E_clISt17integral_constantIbLb0EES12_IbLb1EEEEDaSY_SZ_EUlSY_E_NS1_11comp_targetILNS1_3genE10ELNS1_11target_archE1201ELNS1_3gpuE5ELNS1_3repE0EEENS1_30default_config_static_selectorELNS0_4arch9wavefront6targetE1EEEvT1_, .Lfunc_end801-_ZN7rocprim17ROCPRIM_400000_NS6detail17trampoline_kernelINS0_14default_configENS1_29reduce_by_key_config_selectorIxjN6thrust23THRUST_200600_302600_NS4plusIjEEEEZZNS1_33reduce_by_key_impl_wrapped_configILNS1_25lookback_scan_determinismE0ES3_S9_NS6_6detail15normal_iteratorINS6_10device_ptrIxEEEENSD_INSE_IjEEEESG_SI_PmS8_NS6_8equal_toIxEEEE10hipError_tPvRmT2_T3_mT4_T5_T6_T7_T8_P12ihipStream_tbENKUlT_T0_E_clISt17integral_constantIbLb0EES12_IbLb1EEEEDaSY_SZ_EUlSY_E_NS1_11comp_targetILNS1_3genE10ELNS1_11target_archE1201ELNS1_3gpuE5ELNS1_3repE0EEENS1_30default_config_static_selectorELNS0_4arch9wavefront6targetE1EEEvT1_
                                        ; -- End function
	.section	.AMDGPU.csdata,"",@progbits
; Kernel info:
; codeLenInByte = 0
; NumSgprs: 4
; NumVgprs: 0
; NumAgprs: 0
; TotalNumVgprs: 0
; ScratchSize: 0
; MemoryBound: 0
; FloatMode: 240
; IeeeMode: 1
; LDSByteSize: 0 bytes/workgroup (compile time only)
; SGPRBlocks: 0
; VGPRBlocks: 0
; NumSGPRsForWavesPerEU: 4
; NumVGPRsForWavesPerEU: 1
; AccumOffset: 4
; Occupancy: 8
; WaveLimiterHint : 0
; COMPUTE_PGM_RSRC2:SCRATCH_EN: 0
; COMPUTE_PGM_RSRC2:USER_SGPR: 6
; COMPUTE_PGM_RSRC2:TRAP_HANDLER: 0
; COMPUTE_PGM_RSRC2:TGID_X_EN: 1
; COMPUTE_PGM_RSRC2:TGID_Y_EN: 0
; COMPUTE_PGM_RSRC2:TGID_Z_EN: 0
; COMPUTE_PGM_RSRC2:TIDIG_COMP_CNT: 0
; COMPUTE_PGM_RSRC3_GFX90A:ACCUM_OFFSET: 0
; COMPUTE_PGM_RSRC3_GFX90A:TG_SPLIT: 0
	.section	.text._ZN7rocprim17ROCPRIM_400000_NS6detail17trampoline_kernelINS0_14default_configENS1_29reduce_by_key_config_selectorIxjN6thrust23THRUST_200600_302600_NS4plusIjEEEEZZNS1_33reduce_by_key_impl_wrapped_configILNS1_25lookback_scan_determinismE0ES3_S9_NS6_6detail15normal_iteratorINS6_10device_ptrIxEEEENSD_INSE_IjEEEESG_SI_PmS8_NS6_8equal_toIxEEEE10hipError_tPvRmT2_T3_mT4_T5_T6_T7_T8_P12ihipStream_tbENKUlT_T0_E_clISt17integral_constantIbLb0EES12_IbLb1EEEEDaSY_SZ_EUlSY_E_NS1_11comp_targetILNS1_3genE10ELNS1_11target_archE1200ELNS1_3gpuE4ELNS1_3repE0EEENS1_30default_config_static_selectorELNS0_4arch9wavefront6targetE1EEEvT1_,"axG",@progbits,_ZN7rocprim17ROCPRIM_400000_NS6detail17trampoline_kernelINS0_14default_configENS1_29reduce_by_key_config_selectorIxjN6thrust23THRUST_200600_302600_NS4plusIjEEEEZZNS1_33reduce_by_key_impl_wrapped_configILNS1_25lookback_scan_determinismE0ES3_S9_NS6_6detail15normal_iteratorINS6_10device_ptrIxEEEENSD_INSE_IjEEEESG_SI_PmS8_NS6_8equal_toIxEEEE10hipError_tPvRmT2_T3_mT4_T5_T6_T7_T8_P12ihipStream_tbENKUlT_T0_E_clISt17integral_constantIbLb0EES12_IbLb1EEEEDaSY_SZ_EUlSY_E_NS1_11comp_targetILNS1_3genE10ELNS1_11target_archE1200ELNS1_3gpuE4ELNS1_3repE0EEENS1_30default_config_static_selectorELNS0_4arch9wavefront6targetE1EEEvT1_,comdat
	.protected	_ZN7rocprim17ROCPRIM_400000_NS6detail17trampoline_kernelINS0_14default_configENS1_29reduce_by_key_config_selectorIxjN6thrust23THRUST_200600_302600_NS4plusIjEEEEZZNS1_33reduce_by_key_impl_wrapped_configILNS1_25lookback_scan_determinismE0ES3_S9_NS6_6detail15normal_iteratorINS6_10device_ptrIxEEEENSD_INSE_IjEEEESG_SI_PmS8_NS6_8equal_toIxEEEE10hipError_tPvRmT2_T3_mT4_T5_T6_T7_T8_P12ihipStream_tbENKUlT_T0_E_clISt17integral_constantIbLb0EES12_IbLb1EEEEDaSY_SZ_EUlSY_E_NS1_11comp_targetILNS1_3genE10ELNS1_11target_archE1200ELNS1_3gpuE4ELNS1_3repE0EEENS1_30default_config_static_selectorELNS0_4arch9wavefront6targetE1EEEvT1_ ; -- Begin function _ZN7rocprim17ROCPRIM_400000_NS6detail17trampoline_kernelINS0_14default_configENS1_29reduce_by_key_config_selectorIxjN6thrust23THRUST_200600_302600_NS4plusIjEEEEZZNS1_33reduce_by_key_impl_wrapped_configILNS1_25lookback_scan_determinismE0ES3_S9_NS6_6detail15normal_iteratorINS6_10device_ptrIxEEEENSD_INSE_IjEEEESG_SI_PmS8_NS6_8equal_toIxEEEE10hipError_tPvRmT2_T3_mT4_T5_T6_T7_T8_P12ihipStream_tbENKUlT_T0_E_clISt17integral_constantIbLb0EES12_IbLb1EEEEDaSY_SZ_EUlSY_E_NS1_11comp_targetILNS1_3genE10ELNS1_11target_archE1200ELNS1_3gpuE4ELNS1_3repE0EEENS1_30default_config_static_selectorELNS0_4arch9wavefront6targetE1EEEvT1_
	.globl	_ZN7rocprim17ROCPRIM_400000_NS6detail17trampoline_kernelINS0_14default_configENS1_29reduce_by_key_config_selectorIxjN6thrust23THRUST_200600_302600_NS4plusIjEEEEZZNS1_33reduce_by_key_impl_wrapped_configILNS1_25lookback_scan_determinismE0ES3_S9_NS6_6detail15normal_iteratorINS6_10device_ptrIxEEEENSD_INSE_IjEEEESG_SI_PmS8_NS6_8equal_toIxEEEE10hipError_tPvRmT2_T3_mT4_T5_T6_T7_T8_P12ihipStream_tbENKUlT_T0_E_clISt17integral_constantIbLb0EES12_IbLb1EEEEDaSY_SZ_EUlSY_E_NS1_11comp_targetILNS1_3genE10ELNS1_11target_archE1200ELNS1_3gpuE4ELNS1_3repE0EEENS1_30default_config_static_selectorELNS0_4arch9wavefront6targetE1EEEvT1_
	.p2align	8
	.type	_ZN7rocprim17ROCPRIM_400000_NS6detail17trampoline_kernelINS0_14default_configENS1_29reduce_by_key_config_selectorIxjN6thrust23THRUST_200600_302600_NS4plusIjEEEEZZNS1_33reduce_by_key_impl_wrapped_configILNS1_25lookback_scan_determinismE0ES3_S9_NS6_6detail15normal_iteratorINS6_10device_ptrIxEEEENSD_INSE_IjEEEESG_SI_PmS8_NS6_8equal_toIxEEEE10hipError_tPvRmT2_T3_mT4_T5_T6_T7_T8_P12ihipStream_tbENKUlT_T0_E_clISt17integral_constantIbLb0EES12_IbLb1EEEEDaSY_SZ_EUlSY_E_NS1_11comp_targetILNS1_3genE10ELNS1_11target_archE1200ELNS1_3gpuE4ELNS1_3repE0EEENS1_30default_config_static_selectorELNS0_4arch9wavefront6targetE1EEEvT1_,@function
_ZN7rocprim17ROCPRIM_400000_NS6detail17trampoline_kernelINS0_14default_configENS1_29reduce_by_key_config_selectorIxjN6thrust23THRUST_200600_302600_NS4plusIjEEEEZZNS1_33reduce_by_key_impl_wrapped_configILNS1_25lookback_scan_determinismE0ES3_S9_NS6_6detail15normal_iteratorINS6_10device_ptrIxEEEENSD_INSE_IjEEEESG_SI_PmS8_NS6_8equal_toIxEEEE10hipError_tPvRmT2_T3_mT4_T5_T6_T7_T8_P12ihipStream_tbENKUlT_T0_E_clISt17integral_constantIbLb0EES12_IbLb1EEEEDaSY_SZ_EUlSY_E_NS1_11comp_targetILNS1_3genE10ELNS1_11target_archE1200ELNS1_3gpuE4ELNS1_3repE0EEENS1_30default_config_static_selectorELNS0_4arch9wavefront6targetE1EEEvT1_: ; @_ZN7rocprim17ROCPRIM_400000_NS6detail17trampoline_kernelINS0_14default_configENS1_29reduce_by_key_config_selectorIxjN6thrust23THRUST_200600_302600_NS4plusIjEEEEZZNS1_33reduce_by_key_impl_wrapped_configILNS1_25lookback_scan_determinismE0ES3_S9_NS6_6detail15normal_iteratorINS6_10device_ptrIxEEEENSD_INSE_IjEEEESG_SI_PmS8_NS6_8equal_toIxEEEE10hipError_tPvRmT2_T3_mT4_T5_T6_T7_T8_P12ihipStream_tbENKUlT_T0_E_clISt17integral_constantIbLb0EES12_IbLb1EEEEDaSY_SZ_EUlSY_E_NS1_11comp_targetILNS1_3genE10ELNS1_11target_archE1200ELNS1_3gpuE4ELNS1_3repE0EEENS1_30default_config_static_selectorELNS0_4arch9wavefront6targetE1EEEvT1_
; %bb.0:
	.section	.rodata,"a",@progbits
	.p2align	6, 0x0
	.amdhsa_kernel _ZN7rocprim17ROCPRIM_400000_NS6detail17trampoline_kernelINS0_14default_configENS1_29reduce_by_key_config_selectorIxjN6thrust23THRUST_200600_302600_NS4plusIjEEEEZZNS1_33reduce_by_key_impl_wrapped_configILNS1_25lookback_scan_determinismE0ES3_S9_NS6_6detail15normal_iteratorINS6_10device_ptrIxEEEENSD_INSE_IjEEEESG_SI_PmS8_NS6_8equal_toIxEEEE10hipError_tPvRmT2_T3_mT4_T5_T6_T7_T8_P12ihipStream_tbENKUlT_T0_E_clISt17integral_constantIbLb0EES12_IbLb1EEEEDaSY_SZ_EUlSY_E_NS1_11comp_targetILNS1_3genE10ELNS1_11target_archE1200ELNS1_3gpuE4ELNS1_3repE0EEENS1_30default_config_static_selectorELNS0_4arch9wavefront6targetE1EEEvT1_
		.amdhsa_group_segment_fixed_size 0
		.amdhsa_private_segment_fixed_size 0
		.amdhsa_kernarg_size 120
		.amdhsa_user_sgpr_count 6
		.amdhsa_user_sgpr_private_segment_buffer 1
		.amdhsa_user_sgpr_dispatch_ptr 0
		.amdhsa_user_sgpr_queue_ptr 0
		.amdhsa_user_sgpr_kernarg_segment_ptr 1
		.amdhsa_user_sgpr_dispatch_id 0
		.amdhsa_user_sgpr_flat_scratch_init 0
		.amdhsa_user_sgpr_kernarg_preload_length 0
		.amdhsa_user_sgpr_kernarg_preload_offset 0
		.amdhsa_user_sgpr_private_segment_size 0
		.amdhsa_uses_dynamic_stack 0
		.amdhsa_system_sgpr_private_segment_wavefront_offset 0
		.amdhsa_system_sgpr_workgroup_id_x 1
		.amdhsa_system_sgpr_workgroup_id_y 0
		.amdhsa_system_sgpr_workgroup_id_z 0
		.amdhsa_system_sgpr_workgroup_info 0
		.amdhsa_system_vgpr_workitem_id 0
		.amdhsa_next_free_vgpr 1
		.amdhsa_next_free_sgpr 0
		.amdhsa_accum_offset 4
		.amdhsa_reserve_vcc 0
		.amdhsa_reserve_flat_scratch 0
		.amdhsa_float_round_mode_32 0
		.amdhsa_float_round_mode_16_64 0
		.amdhsa_float_denorm_mode_32 3
		.amdhsa_float_denorm_mode_16_64 3
		.amdhsa_dx10_clamp 1
		.amdhsa_ieee_mode 1
		.amdhsa_fp16_overflow 0
		.amdhsa_tg_split 0
		.amdhsa_exception_fp_ieee_invalid_op 0
		.amdhsa_exception_fp_denorm_src 0
		.amdhsa_exception_fp_ieee_div_zero 0
		.amdhsa_exception_fp_ieee_overflow 0
		.amdhsa_exception_fp_ieee_underflow 0
		.amdhsa_exception_fp_ieee_inexact 0
		.amdhsa_exception_int_div_zero 0
	.end_amdhsa_kernel
	.section	.text._ZN7rocprim17ROCPRIM_400000_NS6detail17trampoline_kernelINS0_14default_configENS1_29reduce_by_key_config_selectorIxjN6thrust23THRUST_200600_302600_NS4plusIjEEEEZZNS1_33reduce_by_key_impl_wrapped_configILNS1_25lookback_scan_determinismE0ES3_S9_NS6_6detail15normal_iteratorINS6_10device_ptrIxEEEENSD_INSE_IjEEEESG_SI_PmS8_NS6_8equal_toIxEEEE10hipError_tPvRmT2_T3_mT4_T5_T6_T7_T8_P12ihipStream_tbENKUlT_T0_E_clISt17integral_constantIbLb0EES12_IbLb1EEEEDaSY_SZ_EUlSY_E_NS1_11comp_targetILNS1_3genE10ELNS1_11target_archE1200ELNS1_3gpuE4ELNS1_3repE0EEENS1_30default_config_static_selectorELNS0_4arch9wavefront6targetE1EEEvT1_,"axG",@progbits,_ZN7rocprim17ROCPRIM_400000_NS6detail17trampoline_kernelINS0_14default_configENS1_29reduce_by_key_config_selectorIxjN6thrust23THRUST_200600_302600_NS4plusIjEEEEZZNS1_33reduce_by_key_impl_wrapped_configILNS1_25lookback_scan_determinismE0ES3_S9_NS6_6detail15normal_iteratorINS6_10device_ptrIxEEEENSD_INSE_IjEEEESG_SI_PmS8_NS6_8equal_toIxEEEE10hipError_tPvRmT2_T3_mT4_T5_T6_T7_T8_P12ihipStream_tbENKUlT_T0_E_clISt17integral_constantIbLb0EES12_IbLb1EEEEDaSY_SZ_EUlSY_E_NS1_11comp_targetILNS1_3genE10ELNS1_11target_archE1200ELNS1_3gpuE4ELNS1_3repE0EEENS1_30default_config_static_selectorELNS0_4arch9wavefront6targetE1EEEvT1_,comdat
.Lfunc_end802:
	.size	_ZN7rocprim17ROCPRIM_400000_NS6detail17trampoline_kernelINS0_14default_configENS1_29reduce_by_key_config_selectorIxjN6thrust23THRUST_200600_302600_NS4plusIjEEEEZZNS1_33reduce_by_key_impl_wrapped_configILNS1_25lookback_scan_determinismE0ES3_S9_NS6_6detail15normal_iteratorINS6_10device_ptrIxEEEENSD_INSE_IjEEEESG_SI_PmS8_NS6_8equal_toIxEEEE10hipError_tPvRmT2_T3_mT4_T5_T6_T7_T8_P12ihipStream_tbENKUlT_T0_E_clISt17integral_constantIbLb0EES12_IbLb1EEEEDaSY_SZ_EUlSY_E_NS1_11comp_targetILNS1_3genE10ELNS1_11target_archE1200ELNS1_3gpuE4ELNS1_3repE0EEENS1_30default_config_static_selectorELNS0_4arch9wavefront6targetE1EEEvT1_, .Lfunc_end802-_ZN7rocprim17ROCPRIM_400000_NS6detail17trampoline_kernelINS0_14default_configENS1_29reduce_by_key_config_selectorIxjN6thrust23THRUST_200600_302600_NS4plusIjEEEEZZNS1_33reduce_by_key_impl_wrapped_configILNS1_25lookback_scan_determinismE0ES3_S9_NS6_6detail15normal_iteratorINS6_10device_ptrIxEEEENSD_INSE_IjEEEESG_SI_PmS8_NS6_8equal_toIxEEEE10hipError_tPvRmT2_T3_mT4_T5_T6_T7_T8_P12ihipStream_tbENKUlT_T0_E_clISt17integral_constantIbLb0EES12_IbLb1EEEEDaSY_SZ_EUlSY_E_NS1_11comp_targetILNS1_3genE10ELNS1_11target_archE1200ELNS1_3gpuE4ELNS1_3repE0EEENS1_30default_config_static_selectorELNS0_4arch9wavefront6targetE1EEEvT1_
                                        ; -- End function
	.section	.AMDGPU.csdata,"",@progbits
; Kernel info:
; codeLenInByte = 0
; NumSgprs: 4
; NumVgprs: 0
; NumAgprs: 0
; TotalNumVgprs: 0
; ScratchSize: 0
; MemoryBound: 0
; FloatMode: 240
; IeeeMode: 1
; LDSByteSize: 0 bytes/workgroup (compile time only)
; SGPRBlocks: 0
; VGPRBlocks: 0
; NumSGPRsForWavesPerEU: 4
; NumVGPRsForWavesPerEU: 1
; AccumOffset: 4
; Occupancy: 8
; WaveLimiterHint : 0
; COMPUTE_PGM_RSRC2:SCRATCH_EN: 0
; COMPUTE_PGM_RSRC2:USER_SGPR: 6
; COMPUTE_PGM_RSRC2:TRAP_HANDLER: 0
; COMPUTE_PGM_RSRC2:TGID_X_EN: 1
; COMPUTE_PGM_RSRC2:TGID_Y_EN: 0
; COMPUTE_PGM_RSRC2:TGID_Z_EN: 0
; COMPUTE_PGM_RSRC2:TIDIG_COMP_CNT: 0
; COMPUTE_PGM_RSRC3_GFX90A:ACCUM_OFFSET: 0
; COMPUTE_PGM_RSRC3_GFX90A:TG_SPLIT: 0
	.section	.text._ZN7rocprim17ROCPRIM_400000_NS6detail17trampoline_kernelINS0_14default_configENS1_29reduce_by_key_config_selectorIxjN6thrust23THRUST_200600_302600_NS4plusIjEEEEZZNS1_33reduce_by_key_impl_wrapped_configILNS1_25lookback_scan_determinismE0ES3_S9_NS6_6detail15normal_iteratorINS6_10device_ptrIxEEEENSD_INSE_IjEEEESG_SI_PmS8_NS6_8equal_toIxEEEE10hipError_tPvRmT2_T3_mT4_T5_T6_T7_T8_P12ihipStream_tbENKUlT_T0_E_clISt17integral_constantIbLb0EES12_IbLb1EEEEDaSY_SZ_EUlSY_E_NS1_11comp_targetILNS1_3genE9ELNS1_11target_archE1100ELNS1_3gpuE3ELNS1_3repE0EEENS1_30default_config_static_selectorELNS0_4arch9wavefront6targetE1EEEvT1_,"axG",@progbits,_ZN7rocprim17ROCPRIM_400000_NS6detail17trampoline_kernelINS0_14default_configENS1_29reduce_by_key_config_selectorIxjN6thrust23THRUST_200600_302600_NS4plusIjEEEEZZNS1_33reduce_by_key_impl_wrapped_configILNS1_25lookback_scan_determinismE0ES3_S9_NS6_6detail15normal_iteratorINS6_10device_ptrIxEEEENSD_INSE_IjEEEESG_SI_PmS8_NS6_8equal_toIxEEEE10hipError_tPvRmT2_T3_mT4_T5_T6_T7_T8_P12ihipStream_tbENKUlT_T0_E_clISt17integral_constantIbLb0EES12_IbLb1EEEEDaSY_SZ_EUlSY_E_NS1_11comp_targetILNS1_3genE9ELNS1_11target_archE1100ELNS1_3gpuE3ELNS1_3repE0EEENS1_30default_config_static_selectorELNS0_4arch9wavefront6targetE1EEEvT1_,comdat
	.protected	_ZN7rocprim17ROCPRIM_400000_NS6detail17trampoline_kernelINS0_14default_configENS1_29reduce_by_key_config_selectorIxjN6thrust23THRUST_200600_302600_NS4plusIjEEEEZZNS1_33reduce_by_key_impl_wrapped_configILNS1_25lookback_scan_determinismE0ES3_S9_NS6_6detail15normal_iteratorINS6_10device_ptrIxEEEENSD_INSE_IjEEEESG_SI_PmS8_NS6_8equal_toIxEEEE10hipError_tPvRmT2_T3_mT4_T5_T6_T7_T8_P12ihipStream_tbENKUlT_T0_E_clISt17integral_constantIbLb0EES12_IbLb1EEEEDaSY_SZ_EUlSY_E_NS1_11comp_targetILNS1_3genE9ELNS1_11target_archE1100ELNS1_3gpuE3ELNS1_3repE0EEENS1_30default_config_static_selectorELNS0_4arch9wavefront6targetE1EEEvT1_ ; -- Begin function _ZN7rocprim17ROCPRIM_400000_NS6detail17trampoline_kernelINS0_14default_configENS1_29reduce_by_key_config_selectorIxjN6thrust23THRUST_200600_302600_NS4plusIjEEEEZZNS1_33reduce_by_key_impl_wrapped_configILNS1_25lookback_scan_determinismE0ES3_S9_NS6_6detail15normal_iteratorINS6_10device_ptrIxEEEENSD_INSE_IjEEEESG_SI_PmS8_NS6_8equal_toIxEEEE10hipError_tPvRmT2_T3_mT4_T5_T6_T7_T8_P12ihipStream_tbENKUlT_T0_E_clISt17integral_constantIbLb0EES12_IbLb1EEEEDaSY_SZ_EUlSY_E_NS1_11comp_targetILNS1_3genE9ELNS1_11target_archE1100ELNS1_3gpuE3ELNS1_3repE0EEENS1_30default_config_static_selectorELNS0_4arch9wavefront6targetE1EEEvT1_
	.globl	_ZN7rocprim17ROCPRIM_400000_NS6detail17trampoline_kernelINS0_14default_configENS1_29reduce_by_key_config_selectorIxjN6thrust23THRUST_200600_302600_NS4plusIjEEEEZZNS1_33reduce_by_key_impl_wrapped_configILNS1_25lookback_scan_determinismE0ES3_S9_NS6_6detail15normal_iteratorINS6_10device_ptrIxEEEENSD_INSE_IjEEEESG_SI_PmS8_NS6_8equal_toIxEEEE10hipError_tPvRmT2_T3_mT4_T5_T6_T7_T8_P12ihipStream_tbENKUlT_T0_E_clISt17integral_constantIbLb0EES12_IbLb1EEEEDaSY_SZ_EUlSY_E_NS1_11comp_targetILNS1_3genE9ELNS1_11target_archE1100ELNS1_3gpuE3ELNS1_3repE0EEENS1_30default_config_static_selectorELNS0_4arch9wavefront6targetE1EEEvT1_
	.p2align	8
	.type	_ZN7rocprim17ROCPRIM_400000_NS6detail17trampoline_kernelINS0_14default_configENS1_29reduce_by_key_config_selectorIxjN6thrust23THRUST_200600_302600_NS4plusIjEEEEZZNS1_33reduce_by_key_impl_wrapped_configILNS1_25lookback_scan_determinismE0ES3_S9_NS6_6detail15normal_iteratorINS6_10device_ptrIxEEEENSD_INSE_IjEEEESG_SI_PmS8_NS6_8equal_toIxEEEE10hipError_tPvRmT2_T3_mT4_T5_T6_T7_T8_P12ihipStream_tbENKUlT_T0_E_clISt17integral_constantIbLb0EES12_IbLb1EEEEDaSY_SZ_EUlSY_E_NS1_11comp_targetILNS1_3genE9ELNS1_11target_archE1100ELNS1_3gpuE3ELNS1_3repE0EEENS1_30default_config_static_selectorELNS0_4arch9wavefront6targetE1EEEvT1_,@function
_ZN7rocprim17ROCPRIM_400000_NS6detail17trampoline_kernelINS0_14default_configENS1_29reduce_by_key_config_selectorIxjN6thrust23THRUST_200600_302600_NS4plusIjEEEEZZNS1_33reduce_by_key_impl_wrapped_configILNS1_25lookback_scan_determinismE0ES3_S9_NS6_6detail15normal_iteratorINS6_10device_ptrIxEEEENSD_INSE_IjEEEESG_SI_PmS8_NS6_8equal_toIxEEEE10hipError_tPvRmT2_T3_mT4_T5_T6_T7_T8_P12ihipStream_tbENKUlT_T0_E_clISt17integral_constantIbLb0EES12_IbLb1EEEEDaSY_SZ_EUlSY_E_NS1_11comp_targetILNS1_3genE9ELNS1_11target_archE1100ELNS1_3gpuE3ELNS1_3repE0EEENS1_30default_config_static_selectorELNS0_4arch9wavefront6targetE1EEEvT1_: ; @_ZN7rocprim17ROCPRIM_400000_NS6detail17trampoline_kernelINS0_14default_configENS1_29reduce_by_key_config_selectorIxjN6thrust23THRUST_200600_302600_NS4plusIjEEEEZZNS1_33reduce_by_key_impl_wrapped_configILNS1_25lookback_scan_determinismE0ES3_S9_NS6_6detail15normal_iteratorINS6_10device_ptrIxEEEENSD_INSE_IjEEEESG_SI_PmS8_NS6_8equal_toIxEEEE10hipError_tPvRmT2_T3_mT4_T5_T6_T7_T8_P12ihipStream_tbENKUlT_T0_E_clISt17integral_constantIbLb0EES12_IbLb1EEEEDaSY_SZ_EUlSY_E_NS1_11comp_targetILNS1_3genE9ELNS1_11target_archE1100ELNS1_3gpuE3ELNS1_3repE0EEENS1_30default_config_static_selectorELNS0_4arch9wavefront6targetE1EEEvT1_
; %bb.0:
	.section	.rodata,"a",@progbits
	.p2align	6, 0x0
	.amdhsa_kernel _ZN7rocprim17ROCPRIM_400000_NS6detail17trampoline_kernelINS0_14default_configENS1_29reduce_by_key_config_selectorIxjN6thrust23THRUST_200600_302600_NS4plusIjEEEEZZNS1_33reduce_by_key_impl_wrapped_configILNS1_25lookback_scan_determinismE0ES3_S9_NS6_6detail15normal_iteratorINS6_10device_ptrIxEEEENSD_INSE_IjEEEESG_SI_PmS8_NS6_8equal_toIxEEEE10hipError_tPvRmT2_T3_mT4_T5_T6_T7_T8_P12ihipStream_tbENKUlT_T0_E_clISt17integral_constantIbLb0EES12_IbLb1EEEEDaSY_SZ_EUlSY_E_NS1_11comp_targetILNS1_3genE9ELNS1_11target_archE1100ELNS1_3gpuE3ELNS1_3repE0EEENS1_30default_config_static_selectorELNS0_4arch9wavefront6targetE1EEEvT1_
		.amdhsa_group_segment_fixed_size 0
		.amdhsa_private_segment_fixed_size 0
		.amdhsa_kernarg_size 120
		.amdhsa_user_sgpr_count 6
		.amdhsa_user_sgpr_private_segment_buffer 1
		.amdhsa_user_sgpr_dispatch_ptr 0
		.amdhsa_user_sgpr_queue_ptr 0
		.amdhsa_user_sgpr_kernarg_segment_ptr 1
		.amdhsa_user_sgpr_dispatch_id 0
		.amdhsa_user_sgpr_flat_scratch_init 0
		.amdhsa_user_sgpr_kernarg_preload_length 0
		.amdhsa_user_sgpr_kernarg_preload_offset 0
		.amdhsa_user_sgpr_private_segment_size 0
		.amdhsa_uses_dynamic_stack 0
		.amdhsa_system_sgpr_private_segment_wavefront_offset 0
		.amdhsa_system_sgpr_workgroup_id_x 1
		.amdhsa_system_sgpr_workgroup_id_y 0
		.amdhsa_system_sgpr_workgroup_id_z 0
		.amdhsa_system_sgpr_workgroup_info 0
		.amdhsa_system_vgpr_workitem_id 0
		.amdhsa_next_free_vgpr 1
		.amdhsa_next_free_sgpr 0
		.amdhsa_accum_offset 4
		.amdhsa_reserve_vcc 0
		.amdhsa_reserve_flat_scratch 0
		.amdhsa_float_round_mode_32 0
		.amdhsa_float_round_mode_16_64 0
		.amdhsa_float_denorm_mode_32 3
		.amdhsa_float_denorm_mode_16_64 3
		.amdhsa_dx10_clamp 1
		.amdhsa_ieee_mode 1
		.amdhsa_fp16_overflow 0
		.amdhsa_tg_split 0
		.amdhsa_exception_fp_ieee_invalid_op 0
		.amdhsa_exception_fp_denorm_src 0
		.amdhsa_exception_fp_ieee_div_zero 0
		.amdhsa_exception_fp_ieee_overflow 0
		.amdhsa_exception_fp_ieee_underflow 0
		.amdhsa_exception_fp_ieee_inexact 0
		.amdhsa_exception_int_div_zero 0
	.end_amdhsa_kernel
	.section	.text._ZN7rocprim17ROCPRIM_400000_NS6detail17trampoline_kernelINS0_14default_configENS1_29reduce_by_key_config_selectorIxjN6thrust23THRUST_200600_302600_NS4plusIjEEEEZZNS1_33reduce_by_key_impl_wrapped_configILNS1_25lookback_scan_determinismE0ES3_S9_NS6_6detail15normal_iteratorINS6_10device_ptrIxEEEENSD_INSE_IjEEEESG_SI_PmS8_NS6_8equal_toIxEEEE10hipError_tPvRmT2_T3_mT4_T5_T6_T7_T8_P12ihipStream_tbENKUlT_T0_E_clISt17integral_constantIbLb0EES12_IbLb1EEEEDaSY_SZ_EUlSY_E_NS1_11comp_targetILNS1_3genE9ELNS1_11target_archE1100ELNS1_3gpuE3ELNS1_3repE0EEENS1_30default_config_static_selectorELNS0_4arch9wavefront6targetE1EEEvT1_,"axG",@progbits,_ZN7rocprim17ROCPRIM_400000_NS6detail17trampoline_kernelINS0_14default_configENS1_29reduce_by_key_config_selectorIxjN6thrust23THRUST_200600_302600_NS4plusIjEEEEZZNS1_33reduce_by_key_impl_wrapped_configILNS1_25lookback_scan_determinismE0ES3_S9_NS6_6detail15normal_iteratorINS6_10device_ptrIxEEEENSD_INSE_IjEEEESG_SI_PmS8_NS6_8equal_toIxEEEE10hipError_tPvRmT2_T3_mT4_T5_T6_T7_T8_P12ihipStream_tbENKUlT_T0_E_clISt17integral_constantIbLb0EES12_IbLb1EEEEDaSY_SZ_EUlSY_E_NS1_11comp_targetILNS1_3genE9ELNS1_11target_archE1100ELNS1_3gpuE3ELNS1_3repE0EEENS1_30default_config_static_selectorELNS0_4arch9wavefront6targetE1EEEvT1_,comdat
.Lfunc_end803:
	.size	_ZN7rocprim17ROCPRIM_400000_NS6detail17trampoline_kernelINS0_14default_configENS1_29reduce_by_key_config_selectorIxjN6thrust23THRUST_200600_302600_NS4plusIjEEEEZZNS1_33reduce_by_key_impl_wrapped_configILNS1_25lookback_scan_determinismE0ES3_S9_NS6_6detail15normal_iteratorINS6_10device_ptrIxEEEENSD_INSE_IjEEEESG_SI_PmS8_NS6_8equal_toIxEEEE10hipError_tPvRmT2_T3_mT4_T5_T6_T7_T8_P12ihipStream_tbENKUlT_T0_E_clISt17integral_constantIbLb0EES12_IbLb1EEEEDaSY_SZ_EUlSY_E_NS1_11comp_targetILNS1_3genE9ELNS1_11target_archE1100ELNS1_3gpuE3ELNS1_3repE0EEENS1_30default_config_static_selectorELNS0_4arch9wavefront6targetE1EEEvT1_, .Lfunc_end803-_ZN7rocprim17ROCPRIM_400000_NS6detail17trampoline_kernelINS0_14default_configENS1_29reduce_by_key_config_selectorIxjN6thrust23THRUST_200600_302600_NS4plusIjEEEEZZNS1_33reduce_by_key_impl_wrapped_configILNS1_25lookback_scan_determinismE0ES3_S9_NS6_6detail15normal_iteratorINS6_10device_ptrIxEEEENSD_INSE_IjEEEESG_SI_PmS8_NS6_8equal_toIxEEEE10hipError_tPvRmT2_T3_mT4_T5_T6_T7_T8_P12ihipStream_tbENKUlT_T0_E_clISt17integral_constantIbLb0EES12_IbLb1EEEEDaSY_SZ_EUlSY_E_NS1_11comp_targetILNS1_3genE9ELNS1_11target_archE1100ELNS1_3gpuE3ELNS1_3repE0EEENS1_30default_config_static_selectorELNS0_4arch9wavefront6targetE1EEEvT1_
                                        ; -- End function
	.section	.AMDGPU.csdata,"",@progbits
; Kernel info:
; codeLenInByte = 0
; NumSgprs: 4
; NumVgprs: 0
; NumAgprs: 0
; TotalNumVgprs: 0
; ScratchSize: 0
; MemoryBound: 0
; FloatMode: 240
; IeeeMode: 1
; LDSByteSize: 0 bytes/workgroup (compile time only)
; SGPRBlocks: 0
; VGPRBlocks: 0
; NumSGPRsForWavesPerEU: 4
; NumVGPRsForWavesPerEU: 1
; AccumOffset: 4
; Occupancy: 8
; WaveLimiterHint : 0
; COMPUTE_PGM_RSRC2:SCRATCH_EN: 0
; COMPUTE_PGM_RSRC2:USER_SGPR: 6
; COMPUTE_PGM_RSRC2:TRAP_HANDLER: 0
; COMPUTE_PGM_RSRC2:TGID_X_EN: 1
; COMPUTE_PGM_RSRC2:TGID_Y_EN: 0
; COMPUTE_PGM_RSRC2:TGID_Z_EN: 0
; COMPUTE_PGM_RSRC2:TIDIG_COMP_CNT: 0
; COMPUTE_PGM_RSRC3_GFX90A:ACCUM_OFFSET: 0
; COMPUTE_PGM_RSRC3_GFX90A:TG_SPLIT: 0
	.section	.text._ZN7rocprim17ROCPRIM_400000_NS6detail17trampoline_kernelINS0_14default_configENS1_29reduce_by_key_config_selectorIxjN6thrust23THRUST_200600_302600_NS4plusIjEEEEZZNS1_33reduce_by_key_impl_wrapped_configILNS1_25lookback_scan_determinismE0ES3_S9_NS6_6detail15normal_iteratorINS6_10device_ptrIxEEEENSD_INSE_IjEEEESG_SI_PmS8_NS6_8equal_toIxEEEE10hipError_tPvRmT2_T3_mT4_T5_T6_T7_T8_P12ihipStream_tbENKUlT_T0_E_clISt17integral_constantIbLb0EES12_IbLb1EEEEDaSY_SZ_EUlSY_E_NS1_11comp_targetILNS1_3genE8ELNS1_11target_archE1030ELNS1_3gpuE2ELNS1_3repE0EEENS1_30default_config_static_selectorELNS0_4arch9wavefront6targetE1EEEvT1_,"axG",@progbits,_ZN7rocprim17ROCPRIM_400000_NS6detail17trampoline_kernelINS0_14default_configENS1_29reduce_by_key_config_selectorIxjN6thrust23THRUST_200600_302600_NS4plusIjEEEEZZNS1_33reduce_by_key_impl_wrapped_configILNS1_25lookback_scan_determinismE0ES3_S9_NS6_6detail15normal_iteratorINS6_10device_ptrIxEEEENSD_INSE_IjEEEESG_SI_PmS8_NS6_8equal_toIxEEEE10hipError_tPvRmT2_T3_mT4_T5_T6_T7_T8_P12ihipStream_tbENKUlT_T0_E_clISt17integral_constantIbLb0EES12_IbLb1EEEEDaSY_SZ_EUlSY_E_NS1_11comp_targetILNS1_3genE8ELNS1_11target_archE1030ELNS1_3gpuE2ELNS1_3repE0EEENS1_30default_config_static_selectorELNS0_4arch9wavefront6targetE1EEEvT1_,comdat
	.protected	_ZN7rocprim17ROCPRIM_400000_NS6detail17trampoline_kernelINS0_14default_configENS1_29reduce_by_key_config_selectorIxjN6thrust23THRUST_200600_302600_NS4plusIjEEEEZZNS1_33reduce_by_key_impl_wrapped_configILNS1_25lookback_scan_determinismE0ES3_S9_NS6_6detail15normal_iteratorINS6_10device_ptrIxEEEENSD_INSE_IjEEEESG_SI_PmS8_NS6_8equal_toIxEEEE10hipError_tPvRmT2_T3_mT4_T5_T6_T7_T8_P12ihipStream_tbENKUlT_T0_E_clISt17integral_constantIbLb0EES12_IbLb1EEEEDaSY_SZ_EUlSY_E_NS1_11comp_targetILNS1_3genE8ELNS1_11target_archE1030ELNS1_3gpuE2ELNS1_3repE0EEENS1_30default_config_static_selectorELNS0_4arch9wavefront6targetE1EEEvT1_ ; -- Begin function _ZN7rocprim17ROCPRIM_400000_NS6detail17trampoline_kernelINS0_14default_configENS1_29reduce_by_key_config_selectorIxjN6thrust23THRUST_200600_302600_NS4plusIjEEEEZZNS1_33reduce_by_key_impl_wrapped_configILNS1_25lookback_scan_determinismE0ES3_S9_NS6_6detail15normal_iteratorINS6_10device_ptrIxEEEENSD_INSE_IjEEEESG_SI_PmS8_NS6_8equal_toIxEEEE10hipError_tPvRmT2_T3_mT4_T5_T6_T7_T8_P12ihipStream_tbENKUlT_T0_E_clISt17integral_constantIbLb0EES12_IbLb1EEEEDaSY_SZ_EUlSY_E_NS1_11comp_targetILNS1_3genE8ELNS1_11target_archE1030ELNS1_3gpuE2ELNS1_3repE0EEENS1_30default_config_static_selectorELNS0_4arch9wavefront6targetE1EEEvT1_
	.globl	_ZN7rocprim17ROCPRIM_400000_NS6detail17trampoline_kernelINS0_14default_configENS1_29reduce_by_key_config_selectorIxjN6thrust23THRUST_200600_302600_NS4plusIjEEEEZZNS1_33reduce_by_key_impl_wrapped_configILNS1_25lookback_scan_determinismE0ES3_S9_NS6_6detail15normal_iteratorINS6_10device_ptrIxEEEENSD_INSE_IjEEEESG_SI_PmS8_NS6_8equal_toIxEEEE10hipError_tPvRmT2_T3_mT4_T5_T6_T7_T8_P12ihipStream_tbENKUlT_T0_E_clISt17integral_constantIbLb0EES12_IbLb1EEEEDaSY_SZ_EUlSY_E_NS1_11comp_targetILNS1_3genE8ELNS1_11target_archE1030ELNS1_3gpuE2ELNS1_3repE0EEENS1_30default_config_static_selectorELNS0_4arch9wavefront6targetE1EEEvT1_
	.p2align	8
	.type	_ZN7rocprim17ROCPRIM_400000_NS6detail17trampoline_kernelINS0_14default_configENS1_29reduce_by_key_config_selectorIxjN6thrust23THRUST_200600_302600_NS4plusIjEEEEZZNS1_33reduce_by_key_impl_wrapped_configILNS1_25lookback_scan_determinismE0ES3_S9_NS6_6detail15normal_iteratorINS6_10device_ptrIxEEEENSD_INSE_IjEEEESG_SI_PmS8_NS6_8equal_toIxEEEE10hipError_tPvRmT2_T3_mT4_T5_T6_T7_T8_P12ihipStream_tbENKUlT_T0_E_clISt17integral_constantIbLb0EES12_IbLb1EEEEDaSY_SZ_EUlSY_E_NS1_11comp_targetILNS1_3genE8ELNS1_11target_archE1030ELNS1_3gpuE2ELNS1_3repE0EEENS1_30default_config_static_selectorELNS0_4arch9wavefront6targetE1EEEvT1_,@function
_ZN7rocprim17ROCPRIM_400000_NS6detail17trampoline_kernelINS0_14default_configENS1_29reduce_by_key_config_selectorIxjN6thrust23THRUST_200600_302600_NS4plusIjEEEEZZNS1_33reduce_by_key_impl_wrapped_configILNS1_25lookback_scan_determinismE0ES3_S9_NS6_6detail15normal_iteratorINS6_10device_ptrIxEEEENSD_INSE_IjEEEESG_SI_PmS8_NS6_8equal_toIxEEEE10hipError_tPvRmT2_T3_mT4_T5_T6_T7_T8_P12ihipStream_tbENKUlT_T0_E_clISt17integral_constantIbLb0EES12_IbLb1EEEEDaSY_SZ_EUlSY_E_NS1_11comp_targetILNS1_3genE8ELNS1_11target_archE1030ELNS1_3gpuE2ELNS1_3repE0EEENS1_30default_config_static_selectorELNS0_4arch9wavefront6targetE1EEEvT1_: ; @_ZN7rocprim17ROCPRIM_400000_NS6detail17trampoline_kernelINS0_14default_configENS1_29reduce_by_key_config_selectorIxjN6thrust23THRUST_200600_302600_NS4plusIjEEEEZZNS1_33reduce_by_key_impl_wrapped_configILNS1_25lookback_scan_determinismE0ES3_S9_NS6_6detail15normal_iteratorINS6_10device_ptrIxEEEENSD_INSE_IjEEEESG_SI_PmS8_NS6_8equal_toIxEEEE10hipError_tPvRmT2_T3_mT4_T5_T6_T7_T8_P12ihipStream_tbENKUlT_T0_E_clISt17integral_constantIbLb0EES12_IbLb1EEEEDaSY_SZ_EUlSY_E_NS1_11comp_targetILNS1_3genE8ELNS1_11target_archE1030ELNS1_3gpuE2ELNS1_3repE0EEENS1_30default_config_static_selectorELNS0_4arch9wavefront6targetE1EEEvT1_
; %bb.0:
	.section	.rodata,"a",@progbits
	.p2align	6, 0x0
	.amdhsa_kernel _ZN7rocprim17ROCPRIM_400000_NS6detail17trampoline_kernelINS0_14default_configENS1_29reduce_by_key_config_selectorIxjN6thrust23THRUST_200600_302600_NS4plusIjEEEEZZNS1_33reduce_by_key_impl_wrapped_configILNS1_25lookback_scan_determinismE0ES3_S9_NS6_6detail15normal_iteratorINS6_10device_ptrIxEEEENSD_INSE_IjEEEESG_SI_PmS8_NS6_8equal_toIxEEEE10hipError_tPvRmT2_T3_mT4_T5_T6_T7_T8_P12ihipStream_tbENKUlT_T0_E_clISt17integral_constantIbLb0EES12_IbLb1EEEEDaSY_SZ_EUlSY_E_NS1_11comp_targetILNS1_3genE8ELNS1_11target_archE1030ELNS1_3gpuE2ELNS1_3repE0EEENS1_30default_config_static_selectorELNS0_4arch9wavefront6targetE1EEEvT1_
		.amdhsa_group_segment_fixed_size 0
		.amdhsa_private_segment_fixed_size 0
		.amdhsa_kernarg_size 120
		.amdhsa_user_sgpr_count 6
		.amdhsa_user_sgpr_private_segment_buffer 1
		.amdhsa_user_sgpr_dispatch_ptr 0
		.amdhsa_user_sgpr_queue_ptr 0
		.amdhsa_user_sgpr_kernarg_segment_ptr 1
		.amdhsa_user_sgpr_dispatch_id 0
		.amdhsa_user_sgpr_flat_scratch_init 0
		.amdhsa_user_sgpr_kernarg_preload_length 0
		.amdhsa_user_sgpr_kernarg_preload_offset 0
		.amdhsa_user_sgpr_private_segment_size 0
		.amdhsa_uses_dynamic_stack 0
		.amdhsa_system_sgpr_private_segment_wavefront_offset 0
		.amdhsa_system_sgpr_workgroup_id_x 1
		.amdhsa_system_sgpr_workgroup_id_y 0
		.amdhsa_system_sgpr_workgroup_id_z 0
		.amdhsa_system_sgpr_workgroup_info 0
		.amdhsa_system_vgpr_workitem_id 0
		.amdhsa_next_free_vgpr 1
		.amdhsa_next_free_sgpr 0
		.amdhsa_accum_offset 4
		.amdhsa_reserve_vcc 0
		.amdhsa_reserve_flat_scratch 0
		.amdhsa_float_round_mode_32 0
		.amdhsa_float_round_mode_16_64 0
		.amdhsa_float_denorm_mode_32 3
		.amdhsa_float_denorm_mode_16_64 3
		.amdhsa_dx10_clamp 1
		.amdhsa_ieee_mode 1
		.amdhsa_fp16_overflow 0
		.amdhsa_tg_split 0
		.amdhsa_exception_fp_ieee_invalid_op 0
		.amdhsa_exception_fp_denorm_src 0
		.amdhsa_exception_fp_ieee_div_zero 0
		.amdhsa_exception_fp_ieee_overflow 0
		.amdhsa_exception_fp_ieee_underflow 0
		.amdhsa_exception_fp_ieee_inexact 0
		.amdhsa_exception_int_div_zero 0
	.end_amdhsa_kernel
	.section	.text._ZN7rocprim17ROCPRIM_400000_NS6detail17trampoline_kernelINS0_14default_configENS1_29reduce_by_key_config_selectorIxjN6thrust23THRUST_200600_302600_NS4plusIjEEEEZZNS1_33reduce_by_key_impl_wrapped_configILNS1_25lookback_scan_determinismE0ES3_S9_NS6_6detail15normal_iteratorINS6_10device_ptrIxEEEENSD_INSE_IjEEEESG_SI_PmS8_NS6_8equal_toIxEEEE10hipError_tPvRmT2_T3_mT4_T5_T6_T7_T8_P12ihipStream_tbENKUlT_T0_E_clISt17integral_constantIbLb0EES12_IbLb1EEEEDaSY_SZ_EUlSY_E_NS1_11comp_targetILNS1_3genE8ELNS1_11target_archE1030ELNS1_3gpuE2ELNS1_3repE0EEENS1_30default_config_static_selectorELNS0_4arch9wavefront6targetE1EEEvT1_,"axG",@progbits,_ZN7rocprim17ROCPRIM_400000_NS6detail17trampoline_kernelINS0_14default_configENS1_29reduce_by_key_config_selectorIxjN6thrust23THRUST_200600_302600_NS4plusIjEEEEZZNS1_33reduce_by_key_impl_wrapped_configILNS1_25lookback_scan_determinismE0ES3_S9_NS6_6detail15normal_iteratorINS6_10device_ptrIxEEEENSD_INSE_IjEEEESG_SI_PmS8_NS6_8equal_toIxEEEE10hipError_tPvRmT2_T3_mT4_T5_T6_T7_T8_P12ihipStream_tbENKUlT_T0_E_clISt17integral_constantIbLb0EES12_IbLb1EEEEDaSY_SZ_EUlSY_E_NS1_11comp_targetILNS1_3genE8ELNS1_11target_archE1030ELNS1_3gpuE2ELNS1_3repE0EEENS1_30default_config_static_selectorELNS0_4arch9wavefront6targetE1EEEvT1_,comdat
.Lfunc_end804:
	.size	_ZN7rocprim17ROCPRIM_400000_NS6detail17trampoline_kernelINS0_14default_configENS1_29reduce_by_key_config_selectorIxjN6thrust23THRUST_200600_302600_NS4plusIjEEEEZZNS1_33reduce_by_key_impl_wrapped_configILNS1_25lookback_scan_determinismE0ES3_S9_NS6_6detail15normal_iteratorINS6_10device_ptrIxEEEENSD_INSE_IjEEEESG_SI_PmS8_NS6_8equal_toIxEEEE10hipError_tPvRmT2_T3_mT4_T5_T6_T7_T8_P12ihipStream_tbENKUlT_T0_E_clISt17integral_constantIbLb0EES12_IbLb1EEEEDaSY_SZ_EUlSY_E_NS1_11comp_targetILNS1_3genE8ELNS1_11target_archE1030ELNS1_3gpuE2ELNS1_3repE0EEENS1_30default_config_static_selectorELNS0_4arch9wavefront6targetE1EEEvT1_, .Lfunc_end804-_ZN7rocprim17ROCPRIM_400000_NS6detail17trampoline_kernelINS0_14default_configENS1_29reduce_by_key_config_selectorIxjN6thrust23THRUST_200600_302600_NS4plusIjEEEEZZNS1_33reduce_by_key_impl_wrapped_configILNS1_25lookback_scan_determinismE0ES3_S9_NS6_6detail15normal_iteratorINS6_10device_ptrIxEEEENSD_INSE_IjEEEESG_SI_PmS8_NS6_8equal_toIxEEEE10hipError_tPvRmT2_T3_mT4_T5_T6_T7_T8_P12ihipStream_tbENKUlT_T0_E_clISt17integral_constantIbLb0EES12_IbLb1EEEEDaSY_SZ_EUlSY_E_NS1_11comp_targetILNS1_3genE8ELNS1_11target_archE1030ELNS1_3gpuE2ELNS1_3repE0EEENS1_30default_config_static_selectorELNS0_4arch9wavefront6targetE1EEEvT1_
                                        ; -- End function
	.section	.AMDGPU.csdata,"",@progbits
; Kernel info:
; codeLenInByte = 0
; NumSgprs: 4
; NumVgprs: 0
; NumAgprs: 0
; TotalNumVgprs: 0
; ScratchSize: 0
; MemoryBound: 0
; FloatMode: 240
; IeeeMode: 1
; LDSByteSize: 0 bytes/workgroup (compile time only)
; SGPRBlocks: 0
; VGPRBlocks: 0
; NumSGPRsForWavesPerEU: 4
; NumVGPRsForWavesPerEU: 1
; AccumOffset: 4
; Occupancy: 8
; WaveLimiterHint : 0
; COMPUTE_PGM_RSRC2:SCRATCH_EN: 0
; COMPUTE_PGM_RSRC2:USER_SGPR: 6
; COMPUTE_PGM_RSRC2:TRAP_HANDLER: 0
; COMPUTE_PGM_RSRC2:TGID_X_EN: 1
; COMPUTE_PGM_RSRC2:TGID_Y_EN: 0
; COMPUTE_PGM_RSRC2:TGID_Z_EN: 0
; COMPUTE_PGM_RSRC2:TIDIG_COMP_CNT: 0
; COMPUTE_PGM_RSRC3_GFX90A:ACCUM_OFFSET: 0
; COMPUTE_PGM_RSRC3_GFX90A:TG_SPLIT: 0
	.section	.text._ZN7rocprim17ROCPRIM_400000_NS6detail17trampoline_kernelINS0_14default_configENS1_29reduce_by_key_config_selectorIijN6thrust23THRUST_200600_302600_NS4plusIjEEEEZZNS1_33reduce_by_key_impl_wrapped_configILNS1_25lookback_scan_determinismE0ES3_S9_NS6_6detail15normal_iteratorINS6_10device_ptrIiEEEENSD_INSE_IjEEEESG_SI_PmS8_NS6_8equal_toIiEEEE10hipError_tPvRmT2_T3_mT4_T5_T6_T7_T8_P12ihipStream_tbENKUlT_T0_E_clISt17integral_constantIbLb0EES13_EEDaSY_SZ_EUlSY_E_NS1_11comp_targetILNS1_3genE0ELNS1_11target_archE4294967295ELNS1_3gpuE0ELNS1_3repE0EEENS1_30default_config_static_selectorELNS0_4arch9wavefront6targetE1EEEvT1_,"axG",@progbits,_ZN7rocprim17ROCPRIM_400000_NS6detail17trampoline_kernelINS0_14default_configENS1_29reduce_by_key_config_selectorIijN6thrust23THRUST_200600_302600_NS4plusIjEEEEZZNS1_33reduce_by_key_impl_wrapped_configILNS1_25lookback_scan_determinismE0ES3_S9_NS6_6detail15normal_iteratorINS6_10device_ptrIiEEEENSD_INSE_IjEEEESG_SI_PmS8_NS6_8equal_toIiEEEE10hipError_tPvRmT2_T3_mT4_T5_T6_T7_T8_P12ihipStream_tbENKUlT_T0_E_clISt17integral_constantIbLb0EES13_EEDaSY_SZ_EUlSY_E_NS1_11comp_targetILNS1_3genE0ELNS1_11target_archE4294967295ELNS1_3gpuE0ELNS1_3repE0EEENS1_30default_config_static_selectorELNS0_4arch9wavefront6targetE1EEEvT1_,comdat
	.protected	_ZN7rocprim17ROCPRIM_400000_NS6detail17trampoline_kernelINS0_14default_configENS1_29reduce_by_key_config_selectorIijN6thrust23THRUST_200600_302600_NS4plusIjEEEEZZNS1_33reduce_by_key_impl_wrapped_configILNS1_25lookback_scan_determinismE0ES3_S9_NS6_6detail15normal_iteratorINS6_10device_ptrIiEEEENSD_INSE_IjEEEESG_SI_PmS8_NS6_8equal_toIiEEEE10hipError_tPvRmT2_T3_mT4_T5_T6_T7_T8_P12ihipStream_tbENKUlT_T0_E_clISt17integral_constantIbLb0EES13_EEDaSY_SZ_EUlSY_E_NS1_11comp_targetILNS1_3genE0ELNS1_11target_archE4294967295ELNS1_3gpuE0ELNS1_3repE0EEENS1_30default_config_static_selectorELNS0_4arch9wavefront6targetE1EEEvT1_ ; -- Begin function _ZN7rocprim17ROCPRIM_400000_NS6detail17trampoline_kernelINS0_14default_configENS1_29reduce_by_key_config_selectorIijN6thrust23THRUST_200600_302600_NS4plusIjEEEEZZNS1_33reduce_by_key_impl_wrapped_configILNS1_25lookback_scan_determinismE0ES3_S9_NS6_6detail15normal_iteratorINS6_10device_ptrIiEEEENSD_INSE_IjEEEESG_SI_PmS8_NS6_8equal_toIiEEEE10hipError_tPvRmT2_T3_mT4_T5_T6_T7_T8_P12ihipStream_tbENKUlT_T0_E_clISt17integral_constantIbLb0EES13_EEDaSY_SZ_EUlSY_E_NS1_11comp_targetILNS1_3genE0ELNS1_11target_archE4294967295ELNS1_3gpuE0ELNS1_3repE0EEENS1_30default_config_static_selectorELNS0_4arch9wavefront6targetE1EEEvT1_
	.globl	_ZN7rocprim17ROCPRIM_400000_NS6detail17trampoline_kernelINS0_14default_configENS1_29reduce_by_key_config_selectorIijN6thrust23THRUST_200600_302600_NS4plusIjEEEEZZNS1_33reduce_by_key_impl_wrapped_configILNS1_25lookback_scan_determinismE0ES3_S9_NS6_6detail15normal_iteratorINS6_10device_ptrIiEEEENSD_INSE_IjEEEESG_SI_PmS8_NS6_8equal_toIiEEEE10hipError_tPvRmT2_T3_mT4_T5_T6_T7_T8_P12ihipStream_tbENKUlT_T0_E_clISt17integral_constantIbLb0EES13_EEDaSY_SZ_EUlSY_E_NS1_11comp_targetILNS1_3genE0ELNS1_11target_archE4294967295ELNS1_3gpuE0ELNS1_3repE0EEENS1_30default_config_static_selectorELNS0_4arch9wavefront6targetE1EEEvT1_
	.p2align	8
	.type	_ZN7rocprim17ROCPRIM_400000_NS6detail17trampoline_kernelINS0_14default_configENS1_29reduce_by_key_config_selectorIijN6thrust23THRUST_200600_302600_NS4plusIjEEEEZZNS1_33reduce_by_key_impl_wrapped_configILNS1_25lookback_scan_determinismE0ES3_S9_NS6_6detail15normal_iteratorINS6_10device_ptrIiEEEENSD_INSE_IjEEEESG_SI_PmS8_NS6_8equal_toIiEEEE10hipError_tPvRmT2_T3_mT4_T5_T6_T7_T8_P12ihipStream_tbENKUlT_T0_E_clISt17integral_constantIbLb0EES13_EEDaSY_SZ_EUlSY_E_NS1_11comp_targetILNS1_3genE0ELNS1_11target_archE4294967295ELNS1_3gpuE0ELNS1_3repE0EEENS1_30default_config_static_selectorELNS0_4arch9wavefront6targetE1EEEvT1_,@function
_ZN7rocprim17ROCPRIM_400000_NS6detail17trampoline_kernelINS0_14default_configENS1_29reduce_by_key_config_selectorIijN6thrust23THRUST_200600_302600_NS4plusIjEEEEZZNS1_33reduce_by_key_impl_wrapped_configILNS1_25lookback_scan_determinismE0ES3_S9_NS6_6detail15normal_iteratorINS6_10device_ptrIiEEEENSD_INSE_IjEEEESG_SI_PmS8_NS6_8equal_toIiEEEE10hipError_tPvRmT2_T3_mT4_T5_T6_T7_T8_P12ihipStream_tbENKUlT_T0_E_clISt17integral_constantIbLb0EES13_EEDaSY_SZ_EUlSY_E_NS1_11comp_targetILNS1_3genE0ELNS1_11target_archE4294967295ELNS1_3gpuE0ELNS1_3repE0EEENS1_30default_config_static_selectorELNS0_4arch9wavefront6targetE1EEEvT1_: ; @_ZN7rocprim17ROCPRIM_400000_NS6detail17trampoline_kernelINS0_14default_configENS1_29reduce_by_key_config_selectorIijN6thrust23THRUST_200600_302600_NS4plusIjEEEEZZNS1_33reduce_by_key_impl_wrapped_configILNS1_25lookback_scan_determinismE0ES3_S9_NS6_6detail15normal_iteratorINS6_10device_ptrIiEEEENSD_INSE_IjEEEESG_SI_PmS8_NS6_8equal_toIiEEEE10hipError_tPvRmT2_T3_mT4_T5_T6_T7_T8_P12ihipStream_tbENKUlT_T0_E_clISt17integral_constantIbLb0EES13_EEDaSY_SZ_EUlSY_E_NS1_11comp_targetILNS1_3genE0ELNS1_11target_archE4294967295ELNS1_3gpuE0ELNS1_3repE0EEENS1_30default_config_static_selectorELNS0_4arch9wavefront6targetE1EEEvT1_
; %bb.0:
	.section	.rodata,"a",@progbits
	.p2align	6, 0x0
	.amdhsa_kernel _ZN7rocprim17ROCPRIM_400000_NS6detail17trampoline_kernelINS0_14default_configENS1_29reduce_by_key_config_selectorIijN6thrust23THRUST_200600_302600_NS4plusIjEEEEZZNS1_33reduce_by_key_impl_wrapped_configILNS1_25lookback_scan_determinismE0ES3_S9_NS6_6detail15normal_iteratorINS6_10device_ptrIiEEEENSD_INSE_IjEEEESG_SI_PmS8_NS6_8equal_toIiEEEE10hipError_tPvRmT2_T3_mT4_T5_T6_T7_T8_P12ihipStream_tbENKUlT_T0_E_clISt17integral_constantIbLb0EES13_EEDaSY_SZ_EUlSY_E_NS1_11comp_targetILNS1_3genE0ELNS1_11target_archE4294967295ELNS1_3gpuE0ELNS1_3repE0EEENS1_30default_config_static_selectorELNS0_4arch9wavefront6targetE1EEEvT1_
		.amdhsa_group_segment_fixed_size 0
		.amdhsa_private_segment_fixed_size 0
		.amdhsa_kernarg_size 120
		.amdhsa_user_sgpr_count 6
		.amdhsa_user_sgpr_private_segment_buffer 1
		.amdhsa_user_sgpr_dispatch_ptr 0
		.amdhsa_user_sgpr_queue_ptr 0
		.amdhsa_user_sgpr_kernarg_segment_ptr 1
		.amdhsa_user_sgpr_dispatch_id 0
		.amdhsa_user_sgpr_flat_scratch_init 0
		.amdhsa_user_sgpr_kernarg_preload_length 0
		.amdhsa_user_sgpr_kernarg_preload_offset 0
		.amdhsa_user_sgpr_private_segment_size 0
		.amdhsa_uses_dynamic_stack 0
		.amdhsa_system_sgpr_private_segment_wavefront_offset 0
		.amdhsa_system_sgpr_workgroup_id_x 1
		.amdhsa_system_sgpr_workgroup_id_y 0
		.amdhsa_system_sgpr_workgroup_id_z 0
		.amdhsa_system_sgpr_workgroup_info 0
		.amdhsa_system_vgpr_workitem_id 0
		.amdhsa_next_free_vgpr 1
		.amdhsa_next_free_sgpr 0
		.amdhsa_accum_offset 4
		.amdhsa_reserve_vcc 0
		.amdhsa_reserve_flat_scratch 0
		.amdhsa_float_round_mode_32 0
		.amdhsa_float_round_mode_16_64 0
		.amdhsa_float_denorm_mode_32 3
		.amdhsa_float_denorm_mode_16_64 3
		.amdhsa_dx10_clamp 1
		.amdhsa_ieee_mode 1
		.amdhsa_fp16_overflow 0
		.amdhsa_tg_split 0
		.amdhsa_exception_fp_ieee_invalid_op 0
		.amdhsa_exception_fp_denorm_src 0
		.amdhsa_exception_fp_ieee_div_zero 0
		.amdhsa_exception_fp_ieee_overflow 0
		.amdhsa_exception_fp_ieee_underflow 0
		.amdhsa_exception_fp_ieee_inexact 0
		.amdhsa_exception_int_div_zero 0
	.end_amdhsa_kernel
	.section	.text._ZN7rocprim17ROCPRIM_400000_NS6detail17trampoline_kernelINS0_14default_configENS1_29reduce_by_key_config_selectorIijN6thrust23THRUST_200600_302600_NS4plusIjEEEEZZNS1_33reduce_by_key_impl_wrapped_configILNS1_25lookback_scan_determinismE0ES3_S9_NS6_6detail15normal_iteratorINS6_10device_ptrIiEEEENSD_INSE_IjEEEESG_SI_PmS8_NS6_8equal_toIiEEEE10hipError_tPvRmT2_T3_mT4_T5_T6_T7_T8_P12ihipStream_tbENKUlT_T0_E_clISt17integral_constantIbLb0EES13_EEDaSY_SZ_EUlSY_E_NS1_11comp_targetILNS1_3genE0ELNS1_11target_archE4294967295ELNS1_3gpuE0ELNS1_3repE0EEENS1_30default_config_static_selectorELNS0_4arch9wavefront6targetE1EEEvT1_,"axG",@progbits,_ZN7rocprim17ROCPRIM_400000_NS6detail17trampoline_kernelINS0_14default_configENS1_29reduce_by_key_config_selectorIijN6thrust23THRUST_200600_302600_NS4plusIjEEEEZZNS1_33reduce_by_key_impl_wrapped_configILNS1_25lookback_scan_determinismE0ES3_S9_NS6_6detail15normal_iteratorINS6_10device_ptrIiEEEENSD_INSE_IjEEEESG_SI_PmS8_NS6_8equal_toIiEEEE10hipError_tPvRmT2_T3_mT4_T5_T6_T7_T8_P12ihipStream_tbENKUlT_T0_E_clISt17integral_constantIbLb0EES13_EEDaSY_SZ_EUlSY_E_NS1_11comp_targetILNS1_3genE0ELNS1_11target_archE4294967295ELNS1_3gpuE0ELNS1_3repE0EEENS1_30default_config_static_selectorELNS0_4arch9wavefront6targetE1EEEvT1_,comdat
.Lfunc_end805:
	.size	_ZN7rocprim17ROCPRIM_400000_NS6detail17trampoline_kernelINS0_14default_configENS1_29reduce_by_key_config_selectorIijN6thrust23THRUST_200600_302600_NS4plusIjEEEEZZNS1_33reduce_by_key_impl_wrapped_configILNS1_25lookback_scan_determinismE0ES3_S9_NS6_6detail15normal_iteratorINS6_10device_ptrIiEEEENSD_INSE_IjEEEESG_SI_PmS8_NS6_8equal_toIiEEEE10hipError_tPvRmT2_T3_mT4_T5_T6_T7_T8_P12ihipStream_tbENKUlT_T0_E_clISt17integral_constantIbLb0EES13_EEDaSY_SZ_EUlSY_E_NS1_11comp_targetILNS1_3genE0ELNS1_11target_archE4294967295ELNS1_3gpuE0ELNS1_3repE0EEENS1_30default_config_static_selectorELNS0_4arch9wavefront6targetE1EEEvT1_, .Lfunc_end805-_ZN7rocprim17ROCPRIM_400000_NS6detail17trampoline_kernelINS0_14default_configENS1_29reduce_by_key_config_selectorIijN6thrust23THRUST_200600_302600_NS4plusIjEEEEZZNS1_33reduce_by_key_impl_wrapped_configILNS1_25lookback_scan_determinismE0ES3_S9_NS6_6detail15normal_iteratorINS6_10device_ptrIiEEEENSD_INSE_IjEEEESG_SI_PmS8_NS6_8equal_toIiEEEE10hipError_tPvRmT2_T3_mT4_T5_T6_T7_T8_P12ihipStream_tbENKUlT_T0_E_clISt17integral_constantIbLb0EES13_EEDaSY_SZ_EUlSY_E_NS1_11comp_targetILNS1_3genE0ELNS1_11target_archE4294967295ELNS1_3gpuE0ELNS1_3repE0EEENS1_30default_config_static_selectorELNS0_4arch9wavefront6targetE1EEEvT1_
                                        ; -- End function
	.section	.AMDGPU.csdata,"",@progbits
; Kernel info:
; codeLenInByte = 0
; NumSgprs: 4
; NumVgprs: 0
; NumAgprs: 0
; TotalNumVgprs: 0
; ScratchSize: 0
; MemoryBound: 0
; FloatMode: 240
; IeeeMode: 1
; LDSByteSize: 0 bytes/workgroup (compile time only)
; SGPRBlocks: 0
; VGPRBlocks: 0
; NumSGPRsForWavesPerEU: 4
; NumVGPRsForWavesPerEU: 1
; AccumOffset: 4
; Occupancy: 8
; WaveLimiterHint : 0
; COMPUTE_PGM_RSRC2:SCRATCH_EN: 0
; COMPUTE_PGM_RSRC2:USER_SGPR: 6
; COMPUTE_PGM_RSRC2:TRAP_HANDLER: 0
; COMPUTE_PGM_RSRC2:TGID_X_EN: 1
; COMPUTE_PGM_RSRC2:TGID_Y_EN: 0
; COMPUTE_PGM_RSRC2:TGID_Z_EN: 0
; COMPUTE_PGM_RSRC2:TIDIG_COMP_CNT: 0
; COMPUTE_PGM_RSRC3_GFX90A:ACCUM_OFFSET: 0
; COMPUTE_PGM_RSRC3_GFX90A:TG_SPLIT: 0
	.section	.text._ZN7rocprim17ROCPRIM_400000_NS6detail17trampoline_kernelINS0_14default_configENS1_29reduce_by_key_config_selectorIijN6thrust23THRUST_200600_302600_NS4plusIjEEEEZZNS1_33reduce_by_key_impl_wrapped_configILNS1_25lookback_scan_determinismE0ES3_S9_NS6_6detail15normal_iteratorINS6_10device_ptrIiEEEENSD_INSE_IjEEEESG_SI_PmS8_NS6_8equal_toIiEEEE10hipError_tPvRmT2_T3_mT4_T5_T6_T7_T8_P12ihipStream_tbENKUlT_T0_E_clISt17integral_constantIbLb0EES13_EEDaSY_SZ_EUlSY_E_NS1_11comp_targetILNS1_3genE5ELNS1_11target_archE942ELNS1_3gpuE9ELNS1_3repE0EEENS1_30default_config_static_selectorELNS0_4arch9wavefront6targetE1EEEvT1_,"axG",@progbits,_ZN7rocprim17ROCPRIM_400000_NS6detail17trampoline_kernelINS0_14default_configENS1_29reduce_by_key_config_selectorIijN6thrust23THRUST_200600_302600_NS4plusIjEEEEZZNS1_33reduce_by_key_impl_wrapped_configILNS1_25lookback_scan_determinismE0ES3_S9_NS6_6detail15normal_iteratorINS6_10device_ptrIiEEEENSD_INSE_IjEEEESG_SI_PmS8_NS6_8equal_toIiEEEE10hipError_tPvRmT2_T3_mT4_T5_T6_T7_T8_P12ihipStream_tbENKUlT_T0_E_clISt17integral_constantIbLb0EES13_EEDaSY_SZ_EUlSY_E_NS1_11comp_targetILNS1_3genE5ELNS1_11target_archE942ELNS1_3gpuE9ELNS1_3repE0EEENS1_30default_config_static_selectorELNS0_4arch9wavefront6targetE1EEEvT1_,comdat
	.protected	_ZN7rocprim17ROCPRIM_400000_NS6detail17trampoline_kernelINS0_14default_configENS1_29reduce_by_key_config_selectorIijN6thrust23THRUST_200600_302600_NS4plusIjEEEEZZNS1_33reduce_by_key_impl_wrapped_configILNS1_25lookback_scan_determinismE0ES3_S9_NS6_6detail15normal_iteratorINS6_10device_ptrIiEEEENSD_INSE_IjEEEESG_SI_PmS8_NS6_8equal_toIiEEEE10hipError_tPvRmT2_T3_mT4_T5_T6_T7_T8_P12ihipStream_tbENKUlT_T0_E_clISt17integral_constantIbLb0EES13_EEDaSY_SZ_EUlSY_E_NS1_11comp_targetILNS1_3genE5ELNS1_11target_archE942ELNS1_3gpuE9ELNS1_3repE0EEENS1_30default_config_static_selectorELNS0_4arch9wavefront6targetE1EEEvT1_ ; -- Begin function _ZN7rocprim17ROCPRIM_400000_NS6detail17trampoline_kernelINS0_14default_configENS1_29reduce_by_key_config_selectorIijN6thrust23THRUST_200600_302600_NS4plusIjEEEEZZNS1_33reduce_by_key_impl_wrapped_configILNS1_25lookback_scan_determinismE0ES3_S9_NS6_6detail15normal_iteratorINS6_10device_ptrIiEEEENSD_INSE_IjEEEESG_SI_PmS8_NS6_8equal_toIiEEEE10hipError_tPvRmT2_T3_mT4_T5_T6_T7_T8_P12ihipStream_tbENKUlT_T0_E_clISt17integral_constantIbLb0EES13_EEDaSY_SZ_EUlSY_E_NS1_11comp_targetILNS1_3genE5ELNS1_11target_archE942ELNS1_3gpuE9ELNS1_3repE0EEENS1_30default_config_static_selectorELNS0_4arch9wavefront6targetE1EEEvT1_
	.globl	_ZN7rocprim17ROCPRIM_400000_NS6detail17trampoline_kernelINS0_14default_configENS1_29reduce_by_key_config_selectorIijN6thrust23THRUST_200600_302600_NS4plusIjEEEEZZNS1_33reduce_by_key_impl_wrapped_configILNS1_25lookback_scan_determinismE0ES3_S9_NS6_6detail15normal_iteratorINS6_10device_ptrIiEEEENSD_INSE_IjEEEESG_SI_PmS8_NS6_8equal_toIiEEEE10hipError_tPvRmT2_T3_mT4_T5_T6_T7_T8_P12ihipStream_tbENKUlT_T0_E_clISt17integral_constantIbLb0EES13_EEDaSY_SZ_EUlSY_E_NS1_11comp_targetILNS1_3genE5ELNS1_11target_archE942ELNS1_3gpuE9ELNS1_3repE0EEENS1_30default_config_static_selectorELNS0_4arch9wavefront6targetE1EEEvT1_
	.p2align	8
	.type	_ZN7rocprim17ROCPRIM_400000_NS6detail17trampoline_kernelINS0_14default_configENS1_29reduce_by_key_config_selectorIijN6thrust23THRUST_200600_302600_NS4plusIjEEEEZZNS1_33reduce_by_key_impl_wrapped_configILNS1_25lookback_scan_determinismE0ES3_S9_NS6_6detail15normal_iteratorINS6_10device_ptrIiEEEENSD_INSE_IjEEEESG_SI_PmS8_NS6_8equal_toIiEEEE10hipError_tPvRmT2_T3_mT4_T5_T6_T7_T8_P12ihipStream_tbENKUlT_T0_E_clISt17integral_constantIbLb0EES13_EEDaSY_SZ_EUlSY_E_NS1_11comp_targetILNS1_3genE5ELNS1_11target_archE942ELNS1_3gpuE9ELNS1_3repE0EEENS1_30default_config_static_selectorELNS0_4arch9wavefront6targetE1EEEvT1_,@function
_ZN7rocprim17ROCPRIM_400000_NS6detail17trampoline_kernelINS0_14default_configENS1_29reduce_by_key_config_selectorIijN6thrust23THRUST_200600_302600_NS4plusIjEEEEZZNS1_33reduce_by_key_impl_wrapped_configILNS1_25lookback_scan_determinismE0ES3_S9_NS6_6detail15normal_iteratorINS6_10device_ptrIiEEEENSD_INSE_IjEEEESG_SI_PmS8_NS6_8equal_toIiEEEE10hipError_tPvRmT2_T3_mT4_T5_T6_T7_T8_P12ihipStream_tbENKUlT_T0_E_clISt17integral_constantIbLb0EES13_EEDaSY_SZ_EUlSY_E_NS1_11comp_targetILNS1_3genE5ELNS1_11target_archE942ELNS1_3gpuE9ELNS1_3repE0EEENS1_30default_config_static_selectorELNS0_4arch9wavefront6targetE1EEEvT1_: ; @_ZN7rocprim17ROCPRIM_400000_NS6detail17trampoline_kernelINS0_14default_configENS1_29reduce_by_key_config_selectorIijN6thrust23THRUST_200600_302600_NS4plusIjEEEEZZNS1_33reduce_by_key_impl_wrapped_configILNS1_25lookback_scan_determinismE0ES3_S9_NS6_6detail15normal_iteratorINS6_10device_ptrIiEEEENSD_INSE_IjEEEESG_SI_PmS8_NS6_8equal_toIiEEEE10hipError_tPvRmT2_T3_mT4_T5_T6_T7_T8_P12ihipStream_tbENKUlT_T0_E_clISt17integral_constantIbLb0EES13_EEDaSY_SZ_EUlSY_E_NS1_11comp_targetILNS1_3genE5ELNS1_11target_archE942ELNS1_3gpuE9ELNS1_3repE0EEENS1_30default_config_static_selectorELNS0_4arch9wavefront6targetE1EEEvT1_
; %bb.0:
	.section	.rodata,"a",@progbits
	.p2align	6, 0x0
	.amdhsa_kernel _ZN7rocprim17ROCPRIM_400000_NS6detail17trampoline_kernelINS0_14default_configENS1_29reduce_by_key_config_selectorIijN6thrust23THRUST_200600_302600_NS4plusIjEEEEZZNS1_33reduce_by_key_impl_wrapped_configILNS1_25lookback_scan_determinismE0ES3_S9_NS6_6detail15normal_iteratorINS6_10device_ptrIiEEEENSD_INSE_IjEEEESG_SI_PmS8_NS6_8equal_toIiEEEE10hipError_tPvRmT2_T3_mT4_T5_T6_T7_T8_P12ihipStream_tbENKUlT_T0_E_clISt17integral_constantIbLb0EES13_EEDaSY_SZ_EUlSY_E_NS1_11comp_targetILNS1_3genE5ELNS1_11target_archE942ELNS1_3gpuE9ELNS1_3repE0EEENS1_30default_config_static_selectorELNS0_4arch9wavefront6targetE1EEEvT1_
		.amdhsa_group_segment_fixed_size 0
		.amdhsa_private_segment_fixed_size 0
		.amdhsa_kernarg_size 120
		.amdhsa_user_sgpr_count 6
		.amdhsa_user_sgpr_private_segment_buffer 1
		.amdhsa_user_sgpr_dispatch_ptr 0
		.amdhsa_user_sgpr_queue_ptr 0
		.amdhsa_user_sgpr_kernarg_segment_ptr 1
		.amdhsa_user_sgpr_dispatch_id 0
		.amdhsa_user_sgpr_flat_scratch_init 0
		.amdhsa_user_sgpr_kernarg_preload_length 0
		.amdhsa_user_sgpr_kernarg_preload_offset 0
		.amdhsa_user_sgpr_private_segment_size 0
		.amdhsa_uses_dynamic_stack 0
		.amdhsa_system_sgpr_private_segment_wavefront_offset 0
		.amdhsa_system_sgpr_workgroup_id_x 1
		.amdhsa_system_sgpr_workgroup_id_y 0
		.amdhsa_system_sgpr_workgroup_id_z 0
		.amdhsa_system_sgpr_workgroup_info 0
		.amdhsa_system_vgpr_workitem_id 0
		.amdhsa_next_free_vgpr 1
		.amdhsa_next_free_sgpr 0
		.amdhsa_accum_offset 4
		.amdhsa_reserve_vcc 0
		.amdhsa_reserve_flat_scratch 0
		.amdhsa_float_round_mode_32 0
		.amdhsa_float_round_mode_16_64 0
		.amdhsa_float_denorm_mode_32 3
		.amdhsa_float_denorm_mode_16_64 3
		.amdhsa_dx10_clamp 1
		.amdhsa_ieee_mode 1
		.amdhsa_fp16_overflow 0
		.amdhsa_tg_split 0
		.amdhsa_exception_fp_ieee_invalid_op 0
		.amdhsa_exception_fp_denorm_src 0
		.amdhsa_exception_fp_ieee_div_zero 0
		.amdhsa_exception_fp_ieee_overflow 0
		.amdhsa_exception_fp_ieee_underflow 0
		.amdhsa_exception_fp_ieee_inexact 0
		.amdhsa_exception_int_div_zero 0
	.end_amdhsa_kernel
	.section	.text._ZN7rocprim17ROCPRIM_400000_NS6detail17trampoline_kernelINS0_14default_configENS1_29reduce_by_key_config_selectorIijN6thrust23THRUST_200600_302600_NS4plusIjEEEEZZNS1_33reduce_by_key_impl_wrapped_configILNS1_25lookback_scan_determinismE0ES3_S9_NS6_6detail15normal_iteratorINS6_10device_ptrIiEEEENSD_INSE_IjEEEESG_SI_PmS8_NS6_8equal_toIiEEEE10hipError_tPvRmT2_T3_mT4_T5_T6_T7_T8_P12ihipStream_tbENKUlT_T0_E_clISt17integral_constantIbLb0EES13_EEDaSY_SZ_EUlSY_E_NS1_11comp_targetILNS1_3genE5ELNS1_11target_archE942ELNS1_3gpuE9ELNS1_3repE0EEENS1_30default_config_static_selectorELNS0_4arch9wavefront6targetE1EEEvT1_,"axG",@progbits,_ZN7rocprim17ROCPRIM_400000_NS6detail17trampoline_kernelINS0_14default_configENS1_29reduce_by_key_config_selectorIijN6thrust23THRUST_200600_302600_NS4plusIjEEEEZZNS1_33reduce_by_key_impl_wrapped_configILNS1_25lookback_scan_determinismE0ES3_S9_NS6_6detail15normal_iteratorINS6_10device_ptrIiEEEENSD_INSE_IjEEEESG_SI_PmS8_NS6_8equal_toIiEEEE10hipError_tPvRmT2_T3_mT4_T5_T6_T7_T8_P12ihipStream_tbENKUlT_T0_E_clISt17integral_constantIbLb0EES13_EEDaSY_SZ_EUlSY_E_NS1_11comp_targetILNS1_3genE5ELNS1_11target_archE942ELNS1_3gpuE9ELNS1_3repE0EEENS1_30default_config_static_selectorELNS0_4arch9wavefront6targetE1EEEvT1_,comdat
.Lfunc_end806:
	.size	_ZN7rocprim17ROCPRIM_400000_NS6detail17trampoline_kernelINS0_14default_configENS1_29reduce_by_key_config_selectorIijN6thrust23THRUST_200600_302600_NS4plusIjEEEEZZNS1_33reduce_by_key_impl_wrapped_configILNS1_25lookback_scan_determinismE0ES3_S9_NS6_6detail15normal_iteratorINS6_10device_ptrIiEEEENSD_INSE_IjEEEESG_SI_PmS8_NS6_8equal_toIiEEEE10hipError_tPvRmT2_T3_mT4_T5_T6_T7_T8_P12ihipStream_tbENKUlT_T0_E_clISt17integral_constantIbLb0EES13_EEDaSY_SZ_EUlSY_E_NS1_11comp_targetILNS1_3genE5ELNS1_11target_archE942ELNS1_3gpuE9ELNS1_3repE0EEENS1_30default_config_static_selectorELNS0_4arch9wavefront6targetE1EEEvT1_, .Lfunc_end806-_ZN7rocprim17ROCPRIM_400000_NS6detail17trampoline_kernelINS0_14default_configENS1_29reduce_by_key_config_selectorIijN6thrust23THRUST_200600_302600_NS4plusIjEEEEZZNS1_33reduce_by_key_impl_wrapped_configILNS1_25lookback_scan_determinismE0ES3_S9_NS6_6detail15normal_iteratorINS6_10device_ptrIiEEEENSD_INSE_IjEEEESG_SI_PmS8_NS6_8equal_toIiEEEE10hipError_tPvRmT2_T3_mT4_T5_T6_T7_T8_P12ihipStream_tbENKUlT_T0_E_clISt17integral_constantIbLb0EES13_EEDaSY_SZ_EUlSY_E_NS1_11comp_targetILNS1_3genE5ELNS1_11target_archE942ELNS1_3gpuE9ELNS1_3repE0EEENS1_30default_config_static_selectorELNS0_4arch9wavefront6targetE1EEEvT1_
                                        ; -- End function
	.section	.AMDGPU.csdata,"",@progbits
; Kernel info:
; codeLenInByte = 0
; NumSgprs: 4
; NumVgprs: 0
; NumAgprs: 0
; TotalNumVgprs: 0
; ScratchSize: 0
; MemoryBound: 0
; FloatMode: 240
; IeeeMode: 1
; LDSByteSize: 0 bytes/workgroup (compile time only)
; SGPRBlocks: 0
; VGPRBlocks: 0
; NumSGPRsForWavesPerEU: 4
; NumVGPRsForWavesPerEU: 1
; AccumOffset: 4
; Occupancy: 8
; WaveLimiterHint : 0
; COMPUTE_PGM_RSRC2:SCRATCH_EN: 0
; COMPUTE_PGM_RSRC2:USER_SGPR: 6
; COMPUTE_PGM_RSRC2:TRAP_HANDLER: 0
; COMPUTE_PGM_RSRC2:TGID_X_EN: 1
; COMPUTE_PGM_RSRC2:TGID_Y_EN: 0
; COMPUTE_PGM_RSRC2:TGID_Z_EN: 0
; COMPUTE_PGM_RSRC2:TIDIG_COMP_CNT: 0
; COMPUTE_PGM_RSRC3_GFX90A:ACCUM_OFFSET: 0
; COMPUTE_PGM_RSRC3_GFX90A:TG_SPLIT: 0
	.section	.text._ZN7rocprim17ROCPRIM_400000_NS6detail17trampoline_kernelINS0_14default_configENS1_29reduce_by_key_config_selectorIijN6thrust23THRUST_200600_302600_NS4plusIjEEEEZZNS1_33reduce_by_key_impl_wrapped_configILNS1_25lookback_scan_determinismE0ES3_S9_NS6_6detail15normal_iteratorINS6_10device_ptrIiEEEENSD_INSE_IjEEEESG_SI_PmS8_NS6_8equal_toIiEEEE10hipError_tPvRmT2_T3_mT4_T5_T6_T7_T8_P12ihipStream_tbENKUlT_T0_E_clISt17integral_constantIbLb0EES13_EEDaSY_SZ_EUlSY_E_NS1_11comp_targetILNS1_3genE4ELNS1_11target_archE910ELNS1_3gpuE8ELNS1_3repE0EEENS1_30default_config_static_selectorELNS0_4arch9wavefront6targetE1EEEvT1_,"axG",@progbits,_ZN7rocprim17ROCPRIM_400000_NS6detail17trampoline_kernelINS0_14default_configENS1_29reduce_by_key_config_selectorIijN6thrust23THRUST_200600_302600_NS4plusIjEEEEZZNS1_33reduce_by_key_impl_wrapped_configILNS1_25lookback_scan_determinismE0ES3_S9_NS6_6detail15normal_iteratorINS6_10device_ptrIiEEEENSD_INSE_IjEEEESG_SI_PmS8_NS6_8equal_toIiEEEE10hipError_tPvRmT2_T3_mT4_T5_T6_T7_T8_P12ihipStream_tbENKUlT_T0_E_clISt17integral_constantIbLb0EES13_EEDaSY_SZ_EUlSY_E_NS1_11comp_targetILNS1_3genE4ELNS1_11target_archE910ELNS1_3gpuE8ELNS1_3repE0EEENS1_30default_config_static_selectorELNS0_4arch9wavefront6targetE1EEEvT1_,comdat
	.protected	_ZN7rocprim17ROCPRIM_400000_NS6detail17trampoline_kernelINS0_14default_configENS1_29reduce_by_key_config_selectorIijN6thrust23THRUST_200600_302600_NS4plusIjEEEEZZNS1_33reduce_by_key_impl_wrapped_configILNS1_25lookback_scan_determinismE0ES3_S9_NS6_6detail15normal_iteratorINS6_10device_ptrIiEEEENSD_INSE_IjEEEESG_SI_PmS8_NS6_8equal_toIiEEEE10hipError_tPvRmT2_T3_mT4_T5_T6_T7_T8_P12ihipStream_tbENKUlT_T0_E_clISt17integral_constantIbLb0EES13_EEDaSY_SZ_EUlSY_E_NS1_11comp_targetILNS1_3genE4ELNS1_11target_archE910ELNS1_3gpuE8ELNS1_3repE0EEENS1_30default_config_static_selectorELNS0_4arch9wavefront6targetE1EEEvT1_ ; -- Begin function _ZN7rocprim17ROCPRIM_400000_NS6detail17trampoline_kernelINS0_14default_configENS1_29reduce_by_key_config_selectorIijN6thrust23THRUST_200600_302600_NS4plusIjEEEEZZNS1_33reduce_by_key_impl_wrapped_configILNS1_25lookback_scan_determinismE0ES3_S9_NS6_6detail15normal_iteratorINS6_10device_ptrIiEEEENSD_INSE_IjEEEESG_SI_PmS8_NS6_8equal_toIiEEEE10hipError_tPvRmT2_T3_mT4_T5_T6_T7_T8_P12ihipStream_tbENKUlT_T0_E_clISt17integral_constantIbLb0EES13_EEDaSY_SZ_EUlSY_E_NS1_11comp_targetILNS1_3genE4ELNS1_11target_archE910ELNS1_3gpuE8ELNS1_3repE0EEENS1_30default_config_static_selectorELNS0_4arch9wavefront6targetE1EEEvT1_
	.globl	_ZN7rocprim17ROCPRIM_400000_NS6detail17trampoline_kernelINS0_14default_configENS1_29reduce_by_key_config_selectorIijN6thrust23THRUST_200600_302600_NS4plusIjEEEEZZNS1_33reduce_by_key_impl_wrapped_configILNS1_25lookback_scan_determinismE0ES3_S9_NS6_6detail15normal_iteratorINS6_10device_ptrIiEEEENSD_INSE_IjEEEESG_SI_PmS8_NS6_8equal_toIiEEEE10hipError_tPvRmT2_T3_mT4_T5_T6_T7_T8_P12ihipStream_tbENKUlT_T0_E_clISt17integral_constantIbLb0EES13_EEDaSY_SZ_EUlSY_E_NS1_11comp_targetILNS1_3genE4ELNS1_11target_archE910ELNS1_3gpuE8ELNS1_3repE0EEENS1_30default_config_static_selectorELNS0_4arch9wavefront6targetE1EEEvT1_
	.p2align	8
	.type	_ZN7rocprim17ROCPRIM_400000_NS6detail17trampoline_kernelINS0_14default_configENS1_29reduce_by_key_config_selectorIijN6thrust23THRUST_200600_302600_NS4plusIjEEEEZZNS1_33reduce_by_key_impl_wrapped_configILNS1_25lookback_scan_determinismE0ES3_S9_NS6_6detail15normal_iteratorINS6_10device_ptrIiEEEENSD_INSE_IjEEEESG_SI_PmS8_NS6_8equal_toIiEEEE10hipError_tPvRmT2_T3_mT4_T5_T6_T7_T8_P12ihipStream_tbENKUlT_T0_E_clISt17integral_constantIbLb0EES13_EEDaSY_SZ_EUlSY_E_NS1_11comp_targetILNS1_3genE4ELNS1_11target_archE910ELNS1_3gpuE8ELNS1_3repE0EEENS1_30default_config_static_selectorELNS0_4arch9wavefront6targetE1EEEvT1_,@function
_ZN7rocprim17ROCPRIM_400000_NS6detail17trampoline_kernelINS0_14default_configENS1_29reduce_by_key_config_selectorIijN6thrust23THRUST_200600_302600_NS4plusIjEEEEZZNS1_33reduce_by_key_impl_wrapped_configILNS1_25lookback_scan_determinismE0ES3_S9_NS6_6detail15normal_iteratorINS6_10device_ptrIiEEEENSD_INSE_IjEEEESG_SI_PmS8_NS6_8equal_toIiEEEE10hipError_tPvRmT2_T3_mT4_T5_T6_T7_T8_P12ihipStream_tbENKUlT_T0_E_clISt17integral_constantIbLb0EES13_EEDaSY_SZ_EUlSY_E_NS1_11comp_targetILNS1_3genE4ELNS1_11target_archE910ELNS1_3gpuE8ELNS1_3repE0EEENS1_30default_config_static_selectorELNS0_4arch9wavefront6targetE1EEEvT1_: ; @_ZN7rocprim17ROCPRIM_400000_NS6detail17trampoline_kernelINS0_14default_configENS1_29reduce_by_key_config_selectorIijN6thrust23THRUST_200600_302600_NS4plusIjEEEEZZNS1_33reduce_by_key_impl_wrapped_configILNS1_25lookback_scan_determinismE0ES3_S9_NS6_6detail15normal_iteratorINS6_10device_ptrIiEEEENSD_INSE_IjEEEESG_SI_PmS8_NS6_8equal_toIiEEEE10hipError_tPvRmT2_T3_mT4_T5_T6_T7_T8_P12ihipStream_tbENKUlT_T0_E_clISt17integral_constantIbLb0EES13_EEDaSY_SZ_EUlSY_E_NS1_11comp_targetILNS1_3genE4ELNS1_11target_archE910ELNS1_3gpuE8ELNS1_3repE0EEENS1_30default_config_static_selectorELNS0_4arch9wavefront6targetE1EEEvT1_
; %bb.0:
	s_load_dwordx8 s[36:43], s[4:5], 0x0
	s_load_dwordx4 s[52:55], s[4:5], 0x20
	s_load_dwordx8 s[44:51], s[4:5], 0x38
	s_load_dwordx2 s[60:61], s[4:5], 0x68
	s_load_dwordx4 s[56:59], s[4:5], 0x58
	s_waitcnt lgkmcnt(0)
	s_lshl_b64 s[0:1], s[38:39], 2
	s_add_u32 s2, s36, s0
	s_addc_u32 s3, s37, s1
	s_add_u32 s4, s40, s0
	s_addc_u32 s5, s41, s1
	s_mul_i32 s0, s48, s47
	s_mul_hi_u32 s1, s48, s46
	s_add_i32 s0, s1, s0
	s_mul_i32 s1, s49, s46
	s_add_i32 s8, s0, s1
	s_mul_i32 s0, s6, 0xf00
	s_mov_b32 s1, 0
	s_lshl_b64 s[0:1], s[0:1], 2
	s_add_u32 s7, s2, s0
	s_addc_u32 s62, s3, s1
	s_mul_i32 s9, s48, s46
	s_add_u32 s48, s4, s0
	s_addc_u32 s49, s5, s1
	s_add_u32 s38, s9, s6
	s_addc_u32 s39, s8, 0
	s_add_u32 s2, s50, -1
	s_addc_u32 s3, s51, -1
	s_cmp_eq_u64 s[38:39], s[2:3]
	s_cselect_b64 s[34:35], -1, 0
	s_cmp_lg_u64 s[38:39], s[2:3]
	s_mov_b64 s[0:1], -1
	s_cselect_b64 s[40:41], -1, 0
	s_mul_i32 s33, s2, 0xfffff100
	s_and_b64 vcc, exec, s[34:35]
	s_cbranch_vccnz .LBB807_2
; %bb.1:
	v_lshlrev_b32_e32 v24, 2, v0
	v_mov_b32_e32 v1, s62
	v_add_co_u32_e32 v2, vcc, s7, v24
	v_addc_co_u32_e32 v3, vcc, 0, v1, vcc
	v_add_co_u32_e32 v4, vcc, 0x1000, v2
	v_addc_co_u32_e32 v5, vcc, 0, v3, vcc
	flat_load_dword v1, v[2:3]
	flat_load_dword v8, v[2:3] offset:1024
	flat_load_dword v9, v[2:3] offset:2048
	;; [unrolled: 1-line block ×3, first 2 shown]
	flat_load_dword v11, v[4:5]
	flat_load_dword v12, v[4:5] offset:1024
	flat_load_dword v13, v[4:5] offset:2048
	;; [unrolled: 1-line block ×3, first 2 shown]
	v_add_co_u32_e32 v4, vcc, 0x2000, v2
	v_addc_co_u32_e32 v5, vcc, 0, v3, vcc
	v_add_co_u32_e32 v2, vcc, 0x3000, v2
	v_addc_co_u32_e32 v3, vcc, 0, v3, vcc
	flat_load_dword v15, v[4:5]
	flat_load_dword v16, v[4:5] offset:1024
	flat_load_dword v17, v[4:5] offset:2048
	;; [unrolled: 1-line block ×3, first 2 shown]
	flat_load_dword v19, v[2:3]
	flat_load_dword v20, v[2:3] offset:1024
	flat_load_dword v21, v[2:3] offset:2048
	v_mov_b32_e32 v3, s49
	v_add_co_u32_e32 v2, vcc, s48, v24
	s_movk_i32 s0, 0x1000
	v_addc_co_u32_e32 v3, vcc, 0, v3, vcc
	v_add_co_u32_e32 v4, vcc, s0, v2
	s_movk_i32 s1, 0x2000
	v_addc_co_u32_e32 v5, vcc, 0, v3, vcc
	;; [unrolled: 3-line block ×3, first 2 shown]
	v_mad_u32_u24 v36, v0, 56, v24
	v_add_co_u32_e32 v22, vcc, s2, v2
	v_addc_co_u32_e32 v23, vcc, 0, v3, vcc
	s_waitcnt vmcnt(0) lgkmcnt(0)
	ds_write2st64_b32 v24, v1, v8 offset1:4
	ds_write2st64_b32 v24, v9, v10 offset0:8 offset1:12
	ds_write2st64_b32 v24, v11, v12 offset0:16 offset1:20
	;; [unrolled: 1-line block ×6, first 2 shown]
	ds_write_b32 v24, v21 offset:14336
	s_waitcnt lgkmcnt(0)
	s_barrier
	ds_read2_b32 v[20:21], v36 offset1:1
	ds_read2_b32 v[18:19], v36 offset0:2 offset1:3
	ds_read2_b32 v[16:17], v36 offset0:4 offset1:5
	ds_read2_b32 v[14:15], v36 offset0:6 offset1:7
	ds_read2_b32 v[12:13], v36 offset0:8 offset1:9
	ds_read2_b32 v[10:11], v36 offset0:10 offset1:11
	ds_read2_b32 v[8:9], v36 offset0:12 offset1:13
	ds_read_b32 v1, v36 offset:56
	s_waitcnt lgkmcnt(0)
	s_barrier
	flat_load_dword v25, v[2:3]
	flat_load_dword v26, v[2:3] offset:1024
	flat_load_dword v27, v[2:3] offset:2048
	flat_load_dword v28, v[2:3] offset:3072
	flat_load_dword v29, v[4:5]
	flat_load_dword v32, v[4:5] offset:1024
	flat_load_dword v33, v[4:5] offset:2048
	flat_load_dword v34, v[4:5] offset:3072
	;; [unrolled: 4-line block ×3, first 2 shown]
	flat_load_dword v40, v[22:23]
	flat_load_dword v41, v[22:23] offset:1024
	flat_load_dword v42, v[22:23] offset:2048
	v_mov_b32_e32 v30, v20
	v_mov_b32_e32 v31, v18
	;; [unrolled: 1-line block ×7, first 2 shown]
	s_waitcnt vmcnt(0) lgkmcnt(0)
	ds_write2st64_b32 v24, v25, v26 offset1:4
	ds_write2st64_b32 v24, v27, v28 offset0:8 offset1:12
	ds_write2st64_b32 v24, v29, v32 offset0:16 offset1:20
	;; [unrolled: 1-line block ×6, first 2 shown]
	ds_write_b32 v24, v42 offset:14336
	s_waitcnt lgkmcnt(0)
	s_barrier
	s_add_i32 s33, s33, s56
	s_cbranch_execz .LBB807_3
	s_branch .LBB807_50
.LBB807_2:
                                        ; implicit-def: $vgpr1
                                        ; implicit-def: $vgpr8
                                        ; implicit-def: $vgpr10
                                        ; implicit-def: $vgpr12
                                        ; implicit-def: $vgpr14
                                        ; implicit-def: $vgpr16
                                        ; implicit-def: $vgpr18
                                        ; implicit-def: $vgpr20
                                        ; implicit-def: $vgpr36
                                        ; implicit-def: $vgpr2_vgpr3
                                        ; implicit-def: $vgpr4_vgpr5
                                        ; implicit-def: $vgpr30_vgpr31
                                        ; implicit-def: $vgpr6_vgpr7
	s_andn2_b64 vcc, exec, s[0:1]
	s_add_i32 s33, s33, s56
	s_cbranch_vccnz .LBB807_50
.LBB807_3:
	v_cmp_gt_u32_e32 vcc, s33, v0
                                        ; implicit-def: $vgpr1
	s_and_saveexec_b64 s[2:3], vcc
	s_cbranch_execz .LBB807_5
; %bb.4:
	v_lshlrev_b32_e32 v1, 2, v0
	v_mov_b32_e32 v3, s62
	v_add_co_u32_e64 v2, s[0:1], s7, v1
	v_addc_co_u32_e64 v3, s[0:1], 0, v3, s[0:1]
	flat_load_dword v1, v[2:3]
.LBB807_5:
	s_or_b64 exec, exec, s[2:3]
	v_or_b32_e32 v2, 0x100, v0
	v_cmp_gt_u32_e64 s[0:1], s33, v2
                                        ; implicit-def: $vgpr8
	s_and_saveexec_b64 s[4:5], s[0:1]
	s_cbranch_execz .LBB807_7
; %bb.6:
	v_lshlrev_b32_e32 v2, 2, v0
	v_mov_b32_e32 v3, s62
	v_add_co_u32_e64 v2, s[2:3], s7, v2
	v_addc_co_u32_e64 v3, s[2:3], 0, v3, s[2:3]
	flat_load_dword v8, v[2:3] offset:1024
.LBB807_7:
	s_or_b64 exec, exec, s[4:5]
	v_or_b32_e32 v2, 0x200, v0
	v_cmp_gt_u32_e64 s[2:3], s33, v2
                                        ; implicit-def: $vgpr9
	s_and_saveexec_b64 s[8:9], s[2:3]
	s_cbranch_execz .LBB807_9
; %bb.8:
	v_lshlrev_b32_e32 v2, 2, v0
	v_mov_b32_e32 v3, s62
	v_add_co_u32_e64 v2, s[4:5], s7, v2
	v_addc_co_u32_e64 v3, s[4:5], 0, v3, s[4:5]
	flat_load_dword v9, v[2:3] offset:2048
.LBB807_9:
	s_or_b64 exec, exec, s[8:9]
	v_or_b32_e32 v2, 0x300, v0
	v_cmp_gt_u32_e64 s[4:5], s33, v2
                                        ; implicit-def: $vgpr10
	s_and_saveexec_b64 s[10:11], s[4:5]
	s_cbranch_execz .LBB807_11
; %bb.10:
	v_lshlrev_b32_e32 v2, 2, v0
	v_mov_b32_e32 v3, s62
	v_add_co_u32_e64 v2, s[8:9], s7, v2
	v_addc_co_u32_e64 v3, s[8:9], 0, v3, s[8:9]
	flat_load_dword v10, v[2:3] offset:3072
.LBB807_11:
	s_or_b64 exec, exec, s[10:11]
	v_or_b32_e32 v2, 0x400, v0
	v_cmp_gt_u32_e64 s[28:29], s33, v2
	v_lshlrev_b32_e32 v2, 2, v2
                                        ; implicit-def: $vgpr11
	s_and_saveexec_b64 s[10:11], s[28:29]
	s_cbranch_execz .LBB807_13
; %bb.12:
	v_mov_b32_e32 v3, s62
	v_add_co_u32_e64 v4, s[8:9], s7, v2
	v_addc_co_u32_e64 v5, s[8:9], 0, v3, s[8:9]
	flat_load_dword v11, v[4:5]
.LBB807_13:
	s_or_b64 exec, exec, s[10:11]
	v_or_b32_e32 v3, 0x500, v0
	v_cmp_gt_u32_e64 s[8:9], s33, v3
	v_lshlrev_b32_e32 v3, 2, v3
                                        ; implicit-def: $vgpr12
	s_and_saveexec_b64 s[12:13], s[8:9]
	s_cbranch_execz .LBB807_15
; %bb.14:
	v_mov_b32_e32 v5, s62
	v_add_co_u32_e64 v4, s[10:11], s7, v3
	v_addc_co_u32_e64 v5, s[10:11], 0, v5, s[10:11]
	flat_load_dword v12, v[4:5]
.LBB807_15:
	s_or_b64 exec, exec, s[12:13]
	v_or_b32_e32 v4, 0x600, v0
	v_cmp_gt_u32_e64 s[10:11], s33, v4
	v_lshlrev_b32_e32 v4, 2, v4
                                        ; implicit-def: $vgpr13
	s_and_saveexec_b64 s[14:15], s[10:11]
	s_cbranch_execz .LBB807_17
; %bb.16:
	v_mov_b32_e32 v5, s62
	v_add_co_u32_e64 v6, s[12:13], s7, v4
	v_addc_co_u32_e64 v7, s[12:13], 0, v5, s[12:13]
	flat_load_dword v13, v[6:7]
.LBB807_17:
	s_or_b64 exec, exec, s[14:15]
	v_or_b32_e32 v5, 0x700, v0
	v_cmp_gt_u32_e64 s[12:13], s33, v5
	v_lshlrev_b32_e32 v5, 2, v5
                                        ; implicit-def: $vgpr14
	s_and_saveexec_b64 s[16:17], s[12:13]
	s_cbranch_execz .LBB807_19
; %bb.18:
	v_mov_b32_e32 v7, s62
	v_add_co_u32_e64 v6, s[14:15], s7, v5
	v_addc_co_u32_e64 v7, s[14:15], 0, v7, s[14:15]
	flat_load_dword v14, v[6:7]
.LBB807_19:
	s_or_b64 exec, exec, s[16:17]
	v_or_b32_e32 v6, 0x800, v0
	v_cmp_gt_u32_e64 s[14:15], s33, v6
	v_lshlrev_b32_e32 v6, 2, v6
                                        ; implicit-def: $vgpr15
	s_and_saveexec_b64 s[18:19], s[14:15]
	s_cbranch_execz .LBB807_21
; %bb.20:
	v_mov_b32_e32 v7, s62
	v_add_co_u32_e64 v16, s[16:17], s7, v6
	v_addc_co_u32_e64 v17, s[16:17], 0, v7, s[16:17]
	flat_load_dword v15, v[16:17]
.LBB807_21:
	s_or_b64 exec, exec, s[18:19]
	v_or_b32_e32 v7, 0x900, v0
	v_cmp_gt_u32_e64 s[16:17], s33, v7
	v_lshlrev_b32_e32 v7, 2, v7
                                        ; implicit-def: $vgpr16
	s_and_saveexec_b64 s[20:21], s[16:17]
	s_cbranch_execz .LBB807_23
; %bb.22:
	v_mov_b32_e32 v17, s62
	v_add_co_u32_e64 v16, s[18:19], s7, v7
	v_addc_co_u32_e64 v17, s[18:19], 0, v17, s[18:19]
	flat_load_dword v16, v[16:17]
.LBB807_23:
	s_or_b64 exec, exec, s[20:21]
	v_or_b32_e32 v17, 0xa00, v0
	v_cmp_gt_u32_e64 s[18:19], s33, v17
	v_lshlrev_b32_e32 v22, 2, v17
                                        ; implicit-def: $vgpr17
	s_and_saveexec_b64 s[22:23], s[18:19]
	s_cbranch_execz .LBB807_25
; %bb.24:
	v_mov_b32_e32 v17, s62
	v_add_co_u32_e64 v18, s[20:21], s7, v22
	v_addc_co_u32_e64 v19, s[20:21], 0, v17, s[20:21]
	flat_load_dword v17, v[18:19]
.LBB807_25:
	s_or_b64 exec, exec, s[22:23]
	v_or_b32_e32 v18, 0xb00, v0
	v_cmp_gt_u32_e64 s[20:21], s33, v18
	v_lshlrev_b32_e32 v24, 2, v18
                                        ; implicit-def: $vgpr18
	s_and_saveexec_b64 s[24:25], s[20:21]
	s_cbranch_execz .LBB807_27
; %bb.26:
	v_mov_b32_e32 v19, s62
	v_add_co_u32_e64 v18, s[22:23], s7, v24
	v_addc_co_u32_e64 v19, s[22:23], 0, v19, s[22:23]
	flat_load_dword v18, v[18:19]
.LBB807_27:
	s_or_b64 exec, exec, s[24:25]
	v_or_b32_e32 v19, 0xc00, v0
	v_cmp_gt_u32_e64 s[22:23], s33, v19
	v_lshlrev_b32_e32 v25, 2, v19
                                        ; implicit-def: $vgpr19
	s_and_saveexec_b64 s[26:27], s[22:23]
	s_cbranch_execz .LBB807_29
; %bb.28:
	v_mov_b32_e32 v19, s62
	v_add_co_u32_e64 v20, s[24:25], s7, v25
	v_addc_co_u32_e64 v21, s[24:25], 0, v19, s[24:25]
	flat_load_dword v19, v[20:21]
.LBB807_29:
	s_or_b64 exec, exec, s[26:27]
	v_or_b32_e32 v20, 0xd00, v0
	v_cmp_gt_u32_e64 s[24:25], s33, v20
	v_lshlrev_b32_e32 v26, 2, v20
                                        ; implicit-def: $vgpr20
	s_and_saveexec_b64 s[30:31], s[24:25]
	s_cbranch_execz .LBB807_31
; %bb.30:
	v_mov_b32_e32 v21, s62
	v_add_co_u32_e64 v20, s[26:27], s7, v26
	v_addc_co_u32_e64 v21, s[26:27], 0, v21, s[26:27]
	flat_load_dword v20, v[20:21]
.LBB807_31:
	s_or_b64 exec, exec, s[30:31]
	v_or_b32_e32 v21, 0xe00, v0
	v_cmp_gt_u32_e64 s[26:27], s33, v21
	v_lshlrev_b32_e32 v27, 2, v21
                                        ; implicit-def: $vgpr21
	s_and_saveexec_b64 s[36:37], s[26:27]
	s_cbranch_execz .LBB807_33
; %bb.32:
	v_mov_b32_e32 v21, s62
	v_add_co_u32_e64 v28, s[30:31], s7, v27
	v_addc_co_u32_e64 v29, s[30:31], 0, v21, s[30:31]
	flat_load_dword v21, v[28:29]
.LBB807_33:
	s_or_b64 exec, exec, s[36:37]
	v_lshlrev_b32_e32 v23, 2, v0
	v_mad_u32_u24 v36, v0, 56, v23
	s_waitcnt vmcnt(0) lgkmcnt(0)
	ds_write2st64_b32 v23, v1, v8 offset1:4
	ds_write2st64_b32 v23, v9, v10 offset0:8 offset1:12
	ds_write2st64_b32 v23, v11, v12 offset0:16 offset1:20
	;; [unrolled: 1-line block ×6, first 2 shown]
	ds_write_b32 v23, v21 offset:14336
	s_waitcnt lgkmcnt(0)
	s_barrier
	ds_read2_b32 v[20:21], v36 offset1:1
	ds_read2_b32 v[18:19], v36 offset0:2 offset1:3
	ds_read2_b32 v[16:17], v36 offset0:4 offset1:5
	;; [unrolled: 1-line block ×6, first 2 shown]
	ds_read_b32 v1, v36 offset:56
	s_waitcnt lgkmcnt(0)
	s_barrier
	s_waitcnt lgkmcnt(0)
                                        ; implicit-def: $vgpr28
	s_and_saveexec_b64 s[30:31], vcc
	s_cbranch_execnz .LBB807_57
; %bb.34:
	s_or_b64 exec, exec, s[30:31]
                                        ; implicit-def: $vgpr29
	s_and_saveexec_b64 s[30:31], s[0:1]
	s_cbranch_execnz .LBB807_58
.LBB807_35:
	s_or_b64 exec, exec, s[30:31]
                                        ; implicit-def: $vgpr30
	s_and_saveexec_b64 s[0:1], s[2:3]
	s_cbranch_execnz .LBB807_59
.LBB807_36:
	s_or_b64 exec, exec, s[0:1]
                                        ; implicit-def: $vgpr31
	s_and_saveexec_b64 s[0:1], s[4:5]
	s_cbranch_execnz .LBB807_60
.LBB807_37:
	s_or_b64 exec, exec, s[0:1]
                                        ; implicit-def: $vgpr32
	s_and_saveexec_b64 s[0:1], s[28:29]
	s_cbranch_execnz .LBB807_61
.LBB807_38:
	s_or_b64 exec, exec, s[0:1]
                                        ; implicit-def: $vgpr2
	s_and_saveexec_b64 s[0:1], s[8:9]
	s_cbranch_execnz .LBB807_62
.LBB807_39:
	s_or_b64 exec, exec, s[0:1]
                                        ; implicit-def: $vgpr3
	s_and_saveexec_b64 s[0:1], s[10:11]
	s_cbranch_execnz .LBB807_63
.LBB807_40:
	s_or_b64 exec, exec, s[0:1]
                                        ; implicit-def: $vgpr4
	s_and_saveexec_b64 s[0:1], s[12:13]
	s_cbranch_execnz .LBB807_64
.LBB807_41:
	s_or_b64 exec, exec, s[0:1]
                                        ; implicit-def: $vgpr5
	s_and_saveexec_b64 s[0:1], s[14:15]
	s_cbranch_execnz .LBB807_65
.LBB807_42:
	s_or_b64 exec, exec, s[0:1]
                                        ; implicit-def: $vgpr6
	s_and_saveexec_b64 s[0:1], s[16:17]
	s_cbranch_execnz .LBB807_66
.LBB807_43:
	s_or_b64 exec, exec, s[0:1]
                                        ; implicit-def: $vgpr7
	s_and_saveexec_b64 s[0:1], s[18:19]
	s_cbranch_execnz .LBB807_67
.LBB807_44:
	s_or_b64 exec, exec, s[0:1]
                                        ; implicit-def: $vgpr22
	s_and_saveexec_b64 s[0:1], s[20:21]
	s_cbranch_execnz .LBB807_68
.LBB807_45:
	s_or_b64 exec, exec, s[0:1]
                                        ; implicit-def: $vgpr24
	s_and_saveexec_b64 s[0:1], s[22:23]
	s_cbranch_execnz .LBB807_69
.LBB807_46:
	s_or_b64 exec, exec, s[0:1]
                                        ; implicit-def: $vgpr25
	s_and_saveexec_b64 s[0:1], s[24:25]
	s_cbranch_execnz .LBB807_70
.LBB807_47:
	s_or_b64 exec, exec, s[0:1]
                                        ; implicit-def: $vgpr26
	s_and_saveexec_b64 s[0:1], s[26:27]
	s_cbranch_execz .LBB807_49
.LBB807_48:
	v_mov_b32_e32 v33, s49
	v_add_co_u32_e32 v26, vcc, s48, v27
	v_addc_co_u32_e32 v27, vcc, 0, v33, vcc
	flat_load_dword v26, v[26:27]
.LBB807_49:
	s_or_b64 exec, exec, s[0:1]
	s_waitcnt vmcnt(0) lgkmcnt(0)
	ds_write2st64_b32 v23, v28, v29 offset1:4
	ds_write2st64_b32 v23, v30, v31 offset0:8 offset1:12
	ds_write2st64_b32 v23, v32, v2 offset0:16 offset1:20
	;; [unrolled: 1-line block ×6, first 2 shown]
	ds_write_b32 v23, v26 offset:14336
	v_mov_b32_e32 v30, v20
	v_mov_b32_e32 v31, v18
	;; [unrolled: 1-line block ×7, first 2 shown]
	s_waitcnt lgkmcnt(0)
	s_barrier
.LBB807_50:
	ds_read2_b32 v[40:41], v36 offset1:1
	ds_read2_b32 v[34:35], v36 offset0:2 offset1:3
	ds_read2_b32 v[32:33], v36 offset0:4 offset1:5
	;; [unrolled: 1-line block ×6, first 2 shown]
	ds_read_b32 v82, v36 offset:56
	s_cmp_eq_u64 s[38:39], 0
	s_cselect_b64 s[36:37], -1, 0
	s_cmp_lg_u64 s[38:39], 0
	s_mov_b64 s[48:49], 0
	s_cselect_b64 s[2:3], -1, 0
	s_and_b64 vcc, exec, s[40:41]
	s_waitcnt lgkmcnt(0)
	s_barrier
	s_cbranch_vccz .LBB807_56
; %bb.51:
	s_and_b64 vcc, exec, s[2:3]
	s_cbranch_vccz .LBB807_71
; %bb.52:
	v_mov_b32_e32 v7, s62
	v_add_co_u32_e64 v36, vcc, -4, s7
	v_addc_co_u32_e32 v37, vcc, -1, v7, vcc
	flat_load_dword v7, v[36:37]
	v_lshlrev_b32_e32 v36, 2, v0
	v_cmp_ne_u32_e32 vcc, 0, v0
	ds_write_b32 v36, v1
	s_waitcnt lgkmcnt(0)
	s_barrier
	s_and_saveexec_b64 s[0:1], vcc
	s_cbranch_execz .LBB807_54
; %bb.53:
	s_waitcnt vmcnt(0)
	v_add_u32_e32 v7, -4, v36
	ds_read_b32 v7, v7
.LBB807_54:
	s_or_b64 exec, exec, s[0:1]
	v_cmp_ne_u32_e32 vcc, v30, v21
	v_cndmask_b32_e64 v79, 0, 1, vcc
	v_cmp_ne_u32_e32 vcc, v31, v21
	v_cndmask_b32_e64 v78, 0, 1, vcc
	;; [unrolled: 2-line block ×14, first 2 shown]
	s_waitcnt vmcnt(0) lgkmcnt(0)
	v_cmp_ne_u32_e64 s[0:1], v7, v20
	s_mov_b64 s[48:49], -1
.LBB807_55:
                                        ; implicit-def: $sgpr8
	s_branch .LBB807_83
.LBB807_56:
                                        ; implicit-def: $sgpr0_sgpr1
                                        ; implicit-def: $vgpr66
                                        ; implicit-def: $vgpr67
                                        ; implicit-def: $vgpr68
                                        ; implicit-def: $vgpr69
                                        ; implicit-def: $vgpr70
                                        ; implicit-def: $vgpr71
                                        ; implicit-def: $vgpr72
                                        ; implicit-def: $vgpr73
                                        ; implicit-def: $vgpr74
                                        ; implicit-def: $vgpr75
                                        ; implicit-def: $vgpr76
                                        ; implicit-def: $vgpr77
                                        ; implicit-def: $vgpr78
                                        ; implicit-def: $vgpr79
                                        ; implicit-def: $sgpr8
	s_cbranch_execnz .LBB807_75
	s_branch .LBB807_83
.LBB807_57:
	v_mov_b32_e32 v29, s49
	v_add_co_u32_e32 v28, vcc, s48, v23
	v_addc_co_u32_e32 v29, vcc, 0, v29, vcc
	flat_load_dword v28, v[28:29]
	s_or_b64 exec, exec, s[30:31]
                                        ; implicit-def: $vgpr29
	s_and_saveexec_b64 s[30:31], s[0:1]
	s_cbranch_execz .LBB807_35
.LBB807_58:
	v_mov_b32_e32 v29, s49
	v_add_co_u32_e32 v30, vcc, s48, v23
	v_addc_co_u32_e32 v31, vcc, 0, v29, vcc
	flat_load_dword v29, v[30:31] offset:1024
	s_or_b64 exec, exec, s[30:31]
                                        ; implicit-def: $vgpr30
	s_and_saveexec_b64 s[0:1], s[2:3]
	s_cbranch_execz .LBB807_36
.LBB807_59:
	v_mov_b32_e32 v31, s49
	v_add_co_u32_e32 v30, vcc, s48, v23
	v_addc_co_u32_e32 v31, vcc, 0, v31, vcc
	flat_load_dword v30, v[30:31] offset:2048
	s_or_b64 exec, exec, s[0:1]
                                        ; implicit-def: $vgpr31
	s_and_saveexec_b64 s[0:1], s[4:5]
	s_cbranch_execz .LBB807_37
.LBB807_60:
	v_mov_b32_e32 v31, s49
	v_add_co_u32_e32 v32, vcc, s48, v23
	v_addc_co_u32_e32 v33, vcc, 0, v31, vcc
	flat_load_dword v31, v[32:33] offset:3072
	s_or_b64 exec, exec, s[0:1]
                                        ; implicit-def: $vgpr32
	s_and_saveexec_b64 s[0:1], s[28:29]
	s_cbranch_execz .LBB807_38
.LBB807_61:
	v_mov_b32_e32 v33, s49
	v_add_co_u32_e32 v32, vcc, s48, v2
	v_addc_co_u32_e32 v33, vcc, 0, v33, vcc
	flat_load_dword v32, v[32:33]
	s_or_b64 exec, exec, s[0:1]
                                        ; implicit-def: $vgpr2
	s_and_saveexec_b64 s[0:1], s[8:9]
	s_cbranch_execz .LBB807_39
.LBB807_62:
	v_mov_b32_e32 v33, s49
	v_add_co_u32_e32 v2, vcc, s48, v3
	v_addc_co_u32_e32 v3, vcc, 0, v33, vcc
	flat_load_dword v2, v[2:3]
	s_or_b64 exec, exec, s[0:1]
                                        ; implicit-def: $vgpr3
	s_and_saveexec_b64 s[0:1], s[10:11]
	s_cbranch_execz .LBB807_40
.LBB807_63:
	v_mov_b32_e32 v3, s49
	v_add_co_u32_e32 v34, vcc, s48, v4
	v_addc_co_u32_e32 v35, vcc, 0, v3, vcc
	flat_load_dword v3, v[34:35]
	s_or_b64 exec, exec, s[0:1]
                                        ; implicit-def: $vgpr4
	s_and_saveexec_b64 s[0:1], s[12:13]
	s_cbranch_execz .LBB807_41
.LBB807_64:
	v_mov_b32_e32 v33, s49
	v_add_co_u32_e32 v4, vcc, s48, v5
	v_addc_co_u32_e32 v5, vcc, 0, v33, vcc
	flat_load_dword v4, v[4:5]
	s_or_b64 exec, exec, s[0:1]
                                        ; implicit-def: $vgpr5
	s_and_saveexec_b64 s[0:1], s[14:15]
	s_cbranch_execz .LBB807_42
.LBB807_65:
	v_mov_b32_e32 v5, s49
	v_add_co_u32_e32 v34, vcc, s48, v6
	v_addc_co_u32_e32 v35, vcc, 0, v5, vcc
	flat_load_dword v5, v[34:35]
	s_or_b64 exec, exec, s[0:1]
                                        ; implicit-def: $vgpr6
	s_and_saveexec_b64 s[0:1], s[16:17]
	s_cbranch_execz .LBB807_43
.LBB807_66:
	v_mov_b32_e32 v33, s49
	v_add_co_u32_e32 v6, vcc, s48, v7
	v_addc_co_u32_e32 v7, vcc, 0, v33, vcc
	flat_load_dword v6, v[6:7]
	s_or_b64 exec, exec, s[0:1]
                                        ; implicit-def: $vgpr7
	s_and_saveexec_b64 s[0:1], s[18:19]
	s_cbranch_execz .LBB807_44
.LBB807_67:
	v_mov_b32_e32 v7, s49
	v_add_co_u32_e32 v34, vcc, s48, v22
	v_addc_co_u32_e32 v35, vcc, 0, v7, vcc
	flat_load_dword v7, v[34:35]
	s_or_b64 exec, exec, s[0:1]
                                        ; implicit-def: $vgpr22
	s_and_saveexec_b64 s[0:1], s[20:21]
	s_cbranch_execz .LBB807_45
.LBB807_68:
	v_mov_b32_e32 v22, s49
	v_add_co_u32_e32 v34, vcc, s48, v24
	v_addc_co_u32_e32 v35, vcc, 0, v22, vcc
	flat_load_dword v22, v[34:35]
	s_or_b64 exec, exec, s[0:1]
                                        ; implicit-def: $vgpr24
	s_and_saveexec_b64 s[0:1], s[22:23]
	s_cbranch_execz .LBB807_46
.LBB807_69:
	v_mov_b32_e32 v33, s49
	v_add_co_u32_e32 v24, vcc, s48, v25
	v_addc_co_u32_e32 v25, vcc, 0, v33, vcc
	flat_load_dword v24, v[24:25]
	s_or_b64 exec, exec, s[0:1]
                                        ; implicit-def: $vgpr25
	s_and_saveexec_b64 s[0:1], s[24:25]
	s_cbranch_execz .LBB807_47
.LBB807_70:
	v_mov_b32_e32 v25, s49
	v_add_co_u32_e32 v34, vcc, s48, v26
	v_addc_co_u32_e32 v35, vcc, 0, v25, vcc
	flat_load_dword v25, v[34:35]
	s_or_b64 exec, exec, s[0:1]
                                        ; implicit-def: $vgpr26
	s_and_saveexec_b64 s[0:1], s[26:27]
	s_cbranch_execnz .LBB807_48
	s_branch .LBB807_49
.LBB807_71:
                                        ; implicit-def: $sgpr0_sgpr1
                                        ; implicit-def: $vgpr66
                                        ; implicit-def: $vgpr67
                                        ; implicit-def: $vgpr68
                                        ; implicit-def: $vgpr69
                                        ; implicit-def: $vgpr70
                                        ; implicit-def: $vgpr71
                                        ; implicit-def: $vgpr72
                                        ; implicit-def: $vgpr73
                                        ; implicit-def: $vgpr74
                                        ; implicit-def: $vgpr75
                                        ; implicit-def: $vgpr76
                                        ; implicit-def: $vgpr77
                                        ; implicit-def: $vgpr78
                                        ; implicit-def: $vgpr79
	s_cbranch_execz .LBB807_55
; %bb.72:
	v_cmp_ne_u32_e32 vcc, v21, v30
	v_cndmask_b32_e64 v79, 0, 1, vcc
	v_cmp_ne_u32_e32 vcc, v21, v31
	v_cndmask_b32_e64 v78, 0, 1, vcc
	v_cmp_ne_u32_e32 vcc, v31, v19
	v_cndmask_b32_e64 v77, 0, 1, vcc
	v_cmp_ne_u32_e32 vcc, v4, v19
	v_cndmask_b32_e64 v76, 0, 1, vcc
	v_cmp_ne_u32_e32 vcc, v17, v4
	v_cndmask_b32_e64 v75, 0, 1, vcc
	v_cmp_ne_u32_e32 vcc, v17, v5
	v_cndmask_b32_e64 v74, 0, 1, vcc
	v_cmp_ne_u32_e32 vcc, v5, v15
	v_cndmask_b32_e64 v73, 0, 1, vcc
	v_cmp_ne_u32_e32 vcc, v2, v15
	v_cndmask_b32_e64 v72, 0, 1, vcc
	v_cmp_ne_u32_e32 vcc, v13, v2
	v_cndmask_b32_e64 v71, 0, 1, vcc
	v_cmp_ne_u32_e32 vcc, v13, v3
	v_cndmask_b32_e64 v70, 0, 1, vcc
	v_cmp_ne_u32_e32 vcc, v3, v11
	v_cndmask_b32_e64 v69, 0, 1, vcc
	v_cmp_ne_u32_e32 vcc, v6, v11
	v_cndmask_b32_e64 v68, 0, 1, vcc
	v_cmp_ne_u32_e32 vcc, v9, v6
	v_cndmask_b32_e64 v67, 0, 1, vcc
	v_cmp_ne_u32_e32 vcc, v9, v1
	v_lshlrev_b32_e32 v7, 2, v0
	v_cndmask_b32_e64 v66, 0, 1, vcc
	v_cmp_ne_u32_e32 vcc, 0, v0
	ds_write_b32 v7, v1
	s_waitcnt lgkmcnt(0)
	s_barrier
	s_waitcnt lgkmcnt(0)
                                        ; implicit-def: $sgpr0_sgpr1
	s_and_saveexec_b64 s[4:5], vcc
	s_xor_b64 s[4:5], exec, s[4:5]
	s_cbranch_execz .LBB807_74
; %bb.73:
	v_add_u32_e32 v2, -4, v7
	ds_read_b32 v2, v2
	s_or_b64 s[48:49], s[48:49], exec
	s_waitcnt lgkmcnt(0)
	v_cmp_ne_u32_e32 vcc, v2, v20
	s_and_b64 s[0:1], vcc, exec
.LBB807_74:
	s_or_b64 exec, exec, s[4:5]
	s_mov_b32 s8, 1
	s_branch .LBB807_83
.LBB807_75:
	s_mul_hi_u32 s1, s38, 0xfffff100
	s_mul_i32 s0, s39, 0xfffff100
	s_sub_i32 s1, s1, s38
	s_add_i32 s1, s1, s0
	s_mul_i32 s0, s38, 0xfffff100
	s_add_u32 s38, s0, s56
	s_addc_u32 s39, s1, s57
	s_and_b64 vcc, exec, s[2:3]
	v_cmp_ne_u32_e64 s[28:29], v9, v1
	v_cmp_ne_u32_e64 s[26:27], v8, v9
	;; [unrolled: 1-line block ×14, first 2 shown]
	v_mad_u32_u24 v2, v0, 15, 14
	v_mad_u32_u24 v56, v0, 15, 13
	;; [unrolled: 1-line block ×14, first 2 shown]
	v_cmp_ne_u32_e64 s[8:9], 0, v0
	s_cbranch_vccz .LBB807_80
; %bb.76:
	v_mov_b32_e32 v3, s62
	v_add_co_u32_e64 v58, vcc, -4, s7
	v_addc_co_u32_e32 v59, vcc, -1, v3, vcc
	flat_load_dword v60, v[58:59]
	v_mov_b32_e32 v3, 0
	v_cmp_gt_u64_e32 vcc, s[38:39], v[2:3]
	v_mov_b32_e32 v57, v3
	s_and_b64 s[28:29], vcc, s[28:29]
	v_cmp_gt_u64_e32 vcc, s[38:39], v[56:57]
	v_mov_b32_e32 v55, v3
	s_and_b64 s[26:27], vcc, s[26:27]
	;; [unrolled: 3-line block ×13, first 2 shown]
	v_cmp_gt_u64_e32 vcc, s[38:39], v[4:5]
	v_lshlrev_b32_e32 v59, 2, v0
	v_mul_u32_u24_e32 v58, 15, v0
	s_and_b64 s[0:1], vcc, s[0:1]
	ds_write_b32 v59, v1
	s_waitcnt lgkmcnt(0)
	s_barrier
	s_and_saveexec_b64 s[40:41], s[8:9]
	s_cbranch_execz .LBB807_78
; %bb.77:
	v_add_u32_e32 v5, -4, v59
	s_waitcnt vmcnt(0)
	ds_read_b32 v60, v5
.LBB807_78:
	s_or_b64 exec, exec, s[40:41]
	v_mov_b32_e32 v59, v3
	v_cndmask_b32_e64 v79, 0, 1, s[0:1]
	v_cmp_gt_u64_e32 vcc, s[38:39], v[58:59]
	s_waitcnt vmcnt(0) lgkmcnt(0)
	v_cmp_ne_u32_e64 s[0:1], v60, v20
	v_cndmask_b32_e64 v66, 0, 1, s[28:29]
	v_cndmask_b32_e64 v67, 0, 1, s[26:27]
	v_cndmask_b32_e64 v68, 0, 1, s[24:25]
	v_cndmask_b32_e64 v69, 0, 1, s[22:23]
	v_cndmask_b32_e64 v70, 0, 1, s[20:21]
	v_cndmask_b32_e64 v71, 0, 1, s[18:19]
	v_cndmask_b32_e64 v72, 0, 1, s[16:17]
	v_cndmask_b32_e64 v73, 0, 1, s[14:15]
	v_cndmask_b32_e64 v74, 0, 1, s[12:13]
	v_cndmask_b32_e64 v75, 0, 1, s[10:11]
	v_cndmask_b32_e64 v76, 0, 1, s[30:31]
	v_cndmask_b32_e64 v77, 0, 1, s[4:5]
	v_cndmask_b32_e64 v78, 0, 1, s[2:3]
	s_and_b64 s[0:1], vcc, s[0:1]
	s_mov_b64 s[48:49], -1
.LBB807_79:
                                        ; implicit-def: $sgpr8
	v_mov_b32_e32 v81, s8
	s_and_saveexec_b64 s[2:3], s[48:49]
	s_cbranch_execnz .LBB807_84
	s_branch .LBB807_85
.LBB807_80:
                                        ; implicit-def: $sgpr0_sgpr1
                                        ; implicit-def: $vgpr66
                                        ; implicit-def: $vgpr67
                                        ; implicit-def: $vgpr68
                                        ; implicit-def: $vgpr69
                                        ; implicit-def: $vgpr70
                                        ; implicit-def: $vgpr71
                                        ; implicit-def: $vgpr72
                                        ; implicit-def: $vgpr73
                                        ; implicit-def: $vgpr74
                                        ; implicit-def: $vgpr75
                                        ; implicit-def: $vgpr76
                                        ; implicit-def: $vgpr77
                                        ; implicit-def: $vgpr78
                                        ; implicit-def: $vgpr79
	s_cbranch_execz .LBB807_79
; %bb.81:
	v_mov_b32_e32 v3, 0
	v_cmp_gt_u64_e32 vcc, s[38:39], v[2:3]
	v_cmp_ne_u32_e64 s[0:1], v9, v1
	s_and_b64 s[0:1], vcc, s[0:1]
	v_mov_b32_e32 v57, v3
	v_cndmask_b32_e64 v66, 0, 1, s[0:1]
	v_cmp_gt_u64_e32 vcc, s[38:39], v[56:57]
	v_cmp_ne_u32_e64 s[0:1], v8, v9
	s_and_b64 s[0:1], vcc, s[0:1]
	v_mov_b32_e32 v55, v3
	v_cndmask_b32_e64 v67, 0, 1, s[0:1]
	;; [unrolled: 5-line block ×13, first 2 shown]
	v_cmp_gt_u64_e32 vcc, s[38:39], v[4:5]
	v_cmp_ne_u32_e64 s[0:1], v20, v21
	s_and_b64 s[0:1], vcc, s[0:1]
	v_lshlrev_b32_e32 v58, 2, v0
	s_mov_b32 s8, 1
	v_cndmask_b32_e64 v79, 0, 1, s[0:1]
	v_cmp_ne_u32_e32 vcc, 0, v0
	ds_write_b32 v58, v1
	s_waitcnt lgkmcnt(0)
	s_barrier
	s_waitcnt lgkmcnt(0)
                                        ; implicit-def: $sgpr0_sgpr1
	s_and_saveexec_b64 s[2:3], vcc
	s_cbranch_execz .LBB807_188
; %bb.82:
	v_add_u32_e32 v2, -4, v58
	ds_read_b32 v4, v2
	v_mul_u32_u24_e32 v2, 15, v0
	v_cmp_gt_u64_e32 vcc, s[38:39], v[2:3]
	s_or_b64 s[48:49], s[48:49], exec
	s_waitcnt lgkmcnt(0)
	v_cmp_ne_u32_e64 s[0:1], v4, v20
	s_and_b64 s[0:1], vcc, s[0:1]
	s_and_b64 s[0:1], s[0:1], exec
	s_or_b64 exec, exec, s[2:3]
.LBB807_83:
	v_mov_b32_e32 v81, s8
	s_and_saveexec_b64 s[2:3], s[48:49]
.LBB807_84:
	v_cndmask_b32_e64 v81, 0, 1, s[0:1]
.LBB807_85:
	s_or_b64 exec, exec, s[2:3]
	s_cmp_eq_u64 s[46:47], 0
	v_add3_u32 v2, v79, v81, v78
	s_cselect_b64 s[38:39], -1, 0
	s_cmp_lg_u32 s6, 0
	v_cmp_eq_u32_e64 s[24:25], 0, v79
	v_cmp_eq_u32_e64 s[22:23], 0, v78
	;; [unrolled: 1-line block ×3, first 2 shown]
	v_add3_u32 v86, v2, v77, v76
	v_cmp_eq_u32_e64 s[18:19], 0, v76
	v_cmp_eq_u32_e64 s[16:17], 0, v75
	;; [unrolled: 1-line block ×10, first 2 shown]
	v_cmp_eq_u32_e32 vcc, 0, v66
	v_mbcnt_lo_u32_b32 v85, -1, 0
	v_lshrrev_b32_e32 v83, 6, v0
	v_or_b32_e32 v84, 63, v0
	s_cbranch_scc0 .LBB807_112
; %bb.86:
	v_cndmask_b32_e64 v2, 0, v40, s[24:25]
	v_add_u32_e32 v2, v2, v41
	v_cndmask_b32_e64 v2, 0, v2, s[22:23]
	v_add_u32_e32 v2, v2, v34
	;; [unrolled: 2-line block ×11, first 2 shown]
	v_cndmask_b32_e64 v2, 0, v2, s[2:3]
	v_add3_u32 v3, v86, v75, v74
	v_add_u32_e32 v2, v2, v22
	v_add3_u32 v3, v3, v73, v72
	v_cndmask_b32_e64 v2, 0, v2, s[0:1]
	v_add3_u32 v3, v3, v71, v70
	v_add_u32_e32 v2, v2, v23
	v_add3_u32 v3, v3, v69, v68
	v_cndmask_b32_e32 v2, 0, v2, vcc
	v_add3_u32 v3, v3, v67, v66
	v_add_u32_e32 v2, v2, v82
	v_mbcnt_hi_u32_b32 v37, -1, v85
	v_and_b32_e32 v4, 15, v37
	v_mov_b32_dpp v6, v2 row_shr:1 row_mask:0xf bank_mask:0xf
	v_cmp_eq_u32_e32 vcc, 0, v3
	v_mov_b32_dpp v5, v3 row_shr:1 row_mask:0xf bank_mask:0xf
	v_cndmask_b32_e32 v6, 0, v6, vcc
	v_cmp_eq_u32_e32 vcc, 0, v4
	v_cndmask_b32_e64 v5, v5, 0, vcc
	v_add_u32_e32 v3, v5, v3
	v_cndmask_b32_e64 v5, v6, 0, vcc
	v_add_u32_e32 v2, v5, v2
	v_cmp_eq_u32_e32 vcc, 0, v3
	v_mov_b32_dpp v5, v3 row_shr:2 row_mask:0xf bank_mask:0xf
	v_cmp_lt_u32_e64 s[26:27], 1, v4
	v_mov_b32_dpp v6, v2 row_shr:2 row_mask:0xf bank_mask:0xf
	v_cndmask_b32_e64 v5, 0, v5, s[26:27]
	s_and_b64 vcc, s[26:27], vcc
	v_cndmask_b32_e32 v6, 0, v6, vcc
	v_add_u32_e32 v3, v3, v5
	v_add_u32_e32 v2, v6, v2
	v_cmp_eq_u32_e32 vcc, 0, v3
	v_mov_b32_dpp v5, v3 row_shr:4 row_mask:0xf bank_mask:0xf
	v_cmp_lt_u32_e64 s[26:27], 3, v4
	v_mov_b32_dpp v6, v2 row_shr:4 row_mask:0xf bank_mask:0xf
	v_cndmask_b32_e64 v5, 0, v5, s[26:27]
	s_and_b64 vcc, s[26:27], vcc
	v_cndmask_b32_e32 v6, 0, v6, vcc
	v_add_u32_e32 v3, v5, v3
	v_add_u32_e32 v2, v2, v6
	v_cmp_eq_u32_e32 vcc, 0, v3
	v_cmp_lt_u32_e64 s[26:27], 7, v4
	v_mov_b32_dpp v5, v3 row_shr:8 row_mask:0xf bank_mask:0xf
	v_mov_b32_dpp v6, v2 row_shr:8 row_mask:0xf bank_mask:0xf
	s_and_b64 vcc, s[26:27], vcc
	v_cndmask_b32_e64 v4, 0, v5, s[26:27]
	v_cndmask_b32_e32 v5, 0, v6, vcc
	v_add_u32_e32 v2, v5, v2
	v_add_u32_e32 v3, v4, v3
	v_bfe_i32 v6, v37, 4, 1
	v_mov_b32_dpp v5, v2 row_bcast:15 row_mask:0xf bank_mask:0xf
	v_mov_b32_dpp v4, v3 row_bcast:15 row_mask:0xf bank_mask:0xf
	v_cmp_eq_u32_e32 vcc, 0, v3
	v_cndmask_b32_e32 v5, 0, v5, vcc
	v_and_b32_e32 v4, v6, v4
	v_add_u32_e32 v3, v4, v3
	v_and_b32_e32 v4, v6, v5
	v_add_u32_e32 v4, v4, v2
	v_mov_b32_dpp v2, v3 row_bcast:31 row_mask:0xf bank_mask:0xf
	v_cmp_eq_u32_e32 vcc, 0, v3
	v_cmp_lt_u32_e64 s[26:27], 31, v37
	v_mov_b32_dpp v5, v4 row_bcast:31 row_mask:0xf bank_mask:0xf
	v_cndmask_b32_e64 v2, 0, v2, s[26:27]
	s_and_b64 vcc, s[26:27], vcc
	v_add_u32_e32 v2, v2, v3
	v_cndmask_b32_e32 v3, 0, v5, vcc
	v_add_u32_e32 v3, v3, v4
	v_cmp_eq_u32_e32 vcc, v84, v0
	v_lshlrev_b32_e32 v4, 3, v83
	s_and_saveexec_b64 s[26:27], vcc
	s_cbranch_execz .LBB807_88
; %bb.87:
	ds_write_b64 v4, v[2:3] offset:2064
.LBB807_88:
	s_or_b64 exec, exec, s[26:27]
	v_cmp_gt_u32_e32 vcc, 4, v0
	s_waitcnt lgkmcnt(0)
	s_barrier
	s_and_saveexec_b64 s[30:31], vcc
	s_cbranch_execz .LBB807_90
; %bb.89:
	v_lshlrev_b32_e32 v5, 3, v0
	ds_read_b64 v[6:7], v5 offset:2064
	v_and_b32_e32 v30, 3, v37
	v_cmp_lt_u32_e64 s[26:27], 1, v30
	s_waitcnt lgkmcnt(0)
	v_mov_b32_dpp v36, v7 row_shr:1 row_mask:0xf bank_mask:0xf
	v_cmp_eq_u32_e32 vcc, 0, v6
	v_mov_b32_dpp v31, v6 row_shr:1 row_mask:0xf bank_mask:0xf
	v_cndmask_b32_e32 v36, 0, v36, vcc
	v_cmp_eq_u32_e32 vcc, 0, v30
	v_cndmask_b32_e64 v31, v31, 0, vcc
	v_add_u32_e32 v6, v31, v6
	v_cndmask_b32_e64 v31, v36, 0, vcc
	v_add_u32_e32 v7, v31, v7
	v_cmp_eq_u32_e32 vcc, 0, v6
	v_mov_b32_dpp v31, v6 row_shr:2 row_mask:0xf bank_mask:0xf
	v_mov_b32_dpp v36, v7 row_shr:2 row_mask:0xf bank_mask:0xf
	v_cndmask_b32_e64 v30, 0, v31, s[26:27]
	s_and_b64 vcc, s[26:27], vcc
	v_add_u32_e32 v6, v30, v6
	v_cndmask_b32_e32 v30, 0, v36, vcc
	v_add_u32_e32 v7, v30, v7
	ds_write_b64 v5, v[6:7] offset:2064
.LBB807_90:
	s_or_b64 exec, exec, s[30:31]
	v_cmp_gt_u32_e32 vcc, 64, v0
	v_cmp_lt_u32_e64 s[26:27], 63, v0
	v_mov_b32_e32 v30, 0
	v_mov_b32_e32 v31, 0
	s_waitcnt lgkmcnt(0)
	s_barrier
	s_and_saveexec_b64 s[30:31], s[26:27]
	s_cbranch_execz .LBB807_92
; %bb.91:
	ds_read_b64 v[30:31], v4 offset:2056
	v_cmp_eq_u32_e64 s[26:27], 0, v2
	s_waitcnt lgkmcnt(0)
	v_add_u32_e32 v4, v30, v2
	v_cndmask_b32_e64 v2, 0, v31, s[26:27]
	v_add_u32_e32 v3, v2, v3
	v_mov_b32_e32 v2, v4
.LBB807_92:
	s_or_b64 exec, exec, s[30:31]
	v_add_u32_e32 v4, -1, v37
	v_and_b32_e32 v5, 64, v37
	v_cmp_lt_i32_e64 s[26:27], v4, v5
	v_cndmask_b32_e64 v4, v4, v37, s[26:27]
	v_lshlrev_b32_e32 v4, 2, v4
	ds_bpermute_b32 v44, v4, v2
	ds_bpermute_b32 v45, v4, v3
	v_cmp_eq_u32_e64 s[26:27], 0, v37
	s_and_saveexec_b64 s[40:41], vcc
	s_cbranch_execz .LBB807_111
; %bb.93:
	v_mov_b32_e32 v7, 0
	ds_read_b64 v[2:3], v7 offset:2088
	s_waitcnt lgkmcnt(0)
	v_readfirstlane_b32 s7, v2
	v_readfirstlane_b32 s48, v3
	s_and_saveexec_b64 s[30:31], s[26:27]
	s_cbranch_execz .LBB807_95
; %bb.94:
	s_add_i32 s46, s6, 64
	s_mov_b32 s47, 0
	s_lshl_b64 s[50:51], s[46:47], 4
	s_add_u32 s50, s44, s50
	s_addc_u32 s51, s45, s51
	s_and_b32 s57, s48, 0xff000000
	s_mov_b32 s56, s47
	s_and_b32 s63, s48, 0xff0000
	s_mov_b32 s62, s47
	s_or_b64 s[56:57], s[62:63], s[56:57]
	s_and_b32 s63, s48, 0xff00
	s_or_b64 s[56:57], s[56:57], s[62:63]
	s_and_b32 s63, s48, 0xff
	s_or_b64 s[46:47], s[56:57], s[62:63]
	v_mov_b32_e32 v4, s7
	v_mov_b32_e32 v5, s47
	;; [unrolled: 1-line block ×3, first 2 shown]
	v_pk_mov_b32 v[2:3], s[50:51], s[50:51] op_sel:[0,1]
	;;#ASMSTART
	global_store_dwordx4 v[2:3], v[4:7] off	
s_waitcnt vmcnt(0)
	;;#ASMEND
.LBB807_95:
	s_or_b64 exec, exec, s[30:31]
	v_xad_u32 v36, v37, -1, s6
	v_add_u32_e32 v6, 64, v36
	v_lshlrev_b64 v[2:3], 4, v[6:7]
	v_mov_b32_e32 v4, s45
	v_add_co_u32_e32 v38, vcc, s44, v2
	v_addc_co_u32_e32 v39, vcc, v4, v3, vcc
	;;#ASMSTART
	global_load_dwordx4 v[2:5], v[38:39] off glc	
s_waitcnt vmcnt(0)
	;;#ASMEND
	v_and_b32_e32 v5, 0xff, v3
	v_and_b32_e32 v6, 0xff00, v3
	;; [unrolled: 1-line block ×3, first 2 shown]
	v_or3_b32 v5, 0, v5, v6
	v_or3_b32 v2, v2, 0, 0
	v_and_b32_e32 v3, 0xff000000, v3
	v_or3_b32 v3, v5, v42, v3
	v_or3_b32 v2, v2, 0, 0
	v_cmp_eq_u16_sdwa s[46:47], v4, v7 src0_sel:BYTE_0 src1_sel:DWORD
	s_and_saveexec_b64 s[30:31], s[46:47]
	s_cbranch_execz .LBB807_99
; %bb.96:
	s_mov_b64 s[46:47], 0
	v_mov_b32_e32 v6, 0
.LBB807_97:                             ; =>This Inner Loop Header: Depth=1
	;;#ASMSTART
	global_load_dwordx4 v[2:5], v[38:39] off glc	
s_waitcnt vmcnt(0)
	;;#ASMEND
	v_cmp_ne_u16_sdwa s[50:51], v4, v6 src0_sel:BYTE_0 src1_sel:DWORD
	s_or_b64 s[46:47], s[50:51], s[46:47]
	s_andn2_b64 exec, exec, s[46:47]
	s_cbranch_execnz .LBB807_97
; %bb.98:
	s_or_b64 exec, exec, s[46:47]
.LBB807_99:
	s_or_b64 exec, exec, s[30:31]
	v_mov_b32_e32 v46, 2
	v_cmp_eq_u16_sdwa s[30:31], v4, v46 src0_sel:BYTE_0 src1_sel:DWORD
	v_lshlrev_b64 v[38:39], v37, -1
	v_and_b32_e32 v5, s31, v39
	v_and_b32_e32 v47, 63, v37
	v_or_b32_e32 v5, 0x80000000, v5
	v_cmp_ne_u32_e32 vcc, 63, v47
	v_and_b32_e32 v6, s30, v38
	v_ffbl_b32_e32 v5, v5
	v_addc_co_u32_e32 v7, vcc, 0, v37, vcc
	v_add_u32_e32 v5, 32, v5
	v_ffbl_b32_e32 v6, v6
	v_lshlrev_b32_e32 v48, 2, v7
	v_min_u32_e32 v5, v6, v5
	ds_bpermute_b32 v6, v48, v3
	v_cmp_eq_u32_e32 vcc, 0, v2
	v_cmp_lt_u32_e64 s[30:31], v47, v5
	ds_bpermute_b32 v7, v48, v2
	s_and_b64 vcc, s[30:31], vcc
	s_waitcnt lgkmcnt(1)
	v_cndmask_b32_e32 v6, 0, v6, vcc
	v_cmp_gt_u32_e32 vcc, 62, v47
	v_add_u32_e32 v3, v6, v3
	v_cndmask_b32_e64 v6, 0, 1, vcc
	v_lshlrev_b32_e32 v6, 1, v6
	v_add_lshl_u32 v49, v6, v37, 2
	s_waitcnt lgkmcnt(0)
	v_cndmask_b32_e64 v7, 0, v7, s[30:31]
	ds_bpermute_b32 v6, v49, v3
	v_add_u32_e32 v2, v7, v2
	ds_bpermute_b32 v7, v49, v2
	v_add_u32_e32 v50, 2, v47
	v_cmp_eq_u32_e32 vcc, 0, v2
	s_waitcnt lgkmcnt(1)
	v_cndmask_b32_e32 v6, 0, v6, vcc
	v_cmp_gt_u32_e32 vcc, v50, v5
	v_cndmask_b32_e64 v6, v6, 0, vcc
	v_add_u32_e32 v3, v6, v3
	s_waitcnt lgkmcnt(0)
	v_cndmask_b32_e64 v6, v7, 0, vcc
	v_cmp_gt_u32_e32 vcc, 60, v47
	v_cndmask_b32_e64 v7, 0, 1, vcc
	v_lshlrev_b32_e32 v7, 2, v7
	v_add_lshl_u32 v51, v7, v37, 2
	ds_bpermute_b32 v7, v51, v3
	v_add_u32_e32 v2, v2, v6
	ds_bpermute_b32 v6, v51, v2
	v_add_u32_e32 v52, 4, v47
	v_cmp_eq_u32_e32 vcc, 0, v2
	s_waitcnt lgkmcnt(1)
	v_cndmask_b32_e32 v7, 0, v7, vcc
	v_cmp_gt_u32_e32 vcc, v52, v5
	v_cndmask_b32_e64 v7, v7, 0, vcc
	s_waitcnt lgkmcnt(0)
	v_cndmask_b32_e64 v6, v6, 0, vcc
	v_cmp_gt_u32_e32 vcc, 56, v47
	v_add_u32_e32 v3, v3, v7
	v_cndmask_b32_e64 v7, 0, 1, vcc
	v_lshlrev_b32_e32 v7, 3, v7
	v_add_lshl_u32 v53, v7, v37, 2
	ds_bpermute_b32 v7, v53, v3
	v_add_u32_e32 v2, v2, v6
	ds_bpermute_b32 v6, v53, v2
	v_add_u32_e32 v54, 8, v47
	v_cmp_eq_u32_e32 vcc, 0, v2
	s_waitcnt lgkmcnt(1)
	v_cndmask_b32_e32 v7, 0, v7, vcc
	v_cmp_gt_u32_e32 vcc, v54, v5
	v_cndmask_b32_e64 v7, v7, 0, vcc
	s_waitcnt lgkmcnt(0)
	v_cndmask_b32_e64 v6, v6, 0, vcc
	v_cmp_gt_u32_e32 vcc, 48, v47
	v_add_u32_e32 v3, v3, v7
	;; [unrolled: 16-line block ×3, first 2 shown]
	v_cndmask_b32_e64 v7, 0, 1, vcc
	v_lshlrev_b32_e32 v7, 5, v7
	v_add_lshl_u32 v57, v7, v37, 2
	ds_bpermute_b32 v7, v57, v3
	v_add_u32_e32 v2, v2, v6
	ds_bpermute_b32 v6, v57, v2
	v_add_u32_e32 v58, 32, v47
	v_cmp_eq_u32_e32 vcc, 0, v2
	s_waitcnt lgkmcnt(1)
	v_cndmask_b32_e32 v7, 0, v7, vcc
	v_cmp_gt_u32_e32 vcc, v58, v5
	v_cndmask_b32_e64 v5, v7, 0, vcc
	v_add_u32_e32 v3, v5, v3
	s_waitcnt lgkmcnt(0)
	v_cndmask_b32_e64 v5, v6, 0, vcc
	v_add_u32_e32 v2, v5, v2
	v_mov_b32_e32 v37, 0
	s_branch .LBB807_101
.LBB807_100:                            ;   in Loop: Header=BB807_101 Depth=1
	s_or_b64 exec, exec, s[30:31]
	v_cmp_eq_u16_sdwa s[30:31], v4, v46 src0_sel:BYTE_0 src1_sel:DWORD
	v_and_b32_e32 v5, s31, v39
	v_or_b32_e32 v5, 0x80000000, v5
	v_and_b32_e32 v42, s30, v38
	v_ffbl_b32_e32 v5, v5
	v_add_u32_e32 v5, 32, v5
	v_ffbl_b32_e32 v42, v42
	v_min_u32_e32 v5, v42, v5
	ds_bpermute_b32 v42, v48, v3
	v_cmp_eq_u32_e32 vcc, 0, v2
	v_cmp_lt_u32_e64 s[30:31], v47, v5
	ds_bpermute_b32 v43, v48, v2
	s_and_b64 vcc, s[30:31], vcc
	s_waitcnt lgkmcnt(1)
	v_cndmask_b32_e32 v42, 0, v42, vcc
	v_add_u32_e32 v3, v42, v3
	ds_bpermute_b32 v42, v49, v3
	s_waitcnt lgkmcnt(1)
	v_cndmask_b32_e64 v43, 0, v43, s[30:31]
	v_add_u32_e32 v2, v43, v2
	v_cmp_eq_u32_e32 vcc, 0, v2
	ds_bpermute_b32 v43, v49, v2
	s_waitcnt lgkmcnt(1)
	v_cndmask_b32_e32 v42, 0, v42, vcc
	v_cmp_gt_u32_e32 vcc, v50, v5
	v_cndmask_b32_e64 v42, v42, 0, vcc
	v_add_u32_e32 v3, v42, v3
	ds_bpermute_b32 v42, v51, v3
	s_waitcnt lgkmcnt(1)
	v_cndmask_b32_e64 v43, v43, 0, vcc
	v_add_u32_e32 v2, v2, v43
	v_cmp_eq_u32_e32 vcc, 0, v2
	ds_bpermute_b32 v43, v51, v2
	s_waitcnt lgkmcnt(1)
	v_cndmask_b32_e32 v42, 0, v42, vcc
	v_cmp_gt_u32_e32 vcc, v52, v5
	v_cndmask_b32_e64 v42, v42, 0, vcc
	v_add_u32_e32 v3, v3, v42
	ds_bpermute_b32 v42, v53, v3
	s_waitcnt lgkmcnt(1)
	v_cndmask_b32_e64 v43, v43, 0, vcc
	v_add_u32_e32 v2, v2, v43
	ds_bpermute_b32 v43, v53, v2
	v_cmp_eq_u32_e32 vcc, 0, v2
	s_waitcnt lgkmcnt(1)
	v_cndmask_b32_e32 v42, 0, v42, vcc
	v_cmp_gt_u32_e32 vcc, v54, v5
	v_cndmask_b32_e64 v42, v42, 0, vcc
	v_add_u32_e32 v3, v3, v42
	ds_bpermute_b32 v42, v55, v3
	s_waitcnt lgkmcnt(1)
	v_cndmask_b32_e64 v43, v43, 0, vcc
	v_add_u32_e32 v2, v2, v43
	ds_bpermute_b32 v43, v55, v2
	v_cmp_eq_u32_e32 vcc, 0, v2
	;; [unrolled: 11-line block ×3, first 2 shown]
	s_waitcnt lgkmcnt(1)
	v_cndmask_b32_e32 v42, 0, v42, vcc
	v_cmp_gt_u32_e32 vcc, v58, v5
	v_cndmask_b32_e64 v5, v42, 0, vcc
	v_add_u32_e32 v3, v5, v3
	s_waitcnt lgkmcnt(0)
	v_cndmask_b32_e64 v5, v43, 0, vcc
	v_cmp_eq_u32_e32 vcc, 0, v6
	v_cndmask_b32_e32 v3, 0, v3, vcc
	v_subrev_u32_e32 v36, 64, v36
	v_add3_u32 v2, v2, v6, v5
	v_add_u32_e32 v3, v3, v7
.LBB807_101:                            ; =>This Loop Header: Depth=1
                                        ;     Child Loop BB807_104 Depth 2
	v_cmp_ne_u16_sdwa s[30:31], v4, v46 src0_sel:BYTE_0 src1_sel:DWORD
	v_mov_b32_e32 v7, v3
	v_cndmask_b32_e64 v3, 0, 1, s[30:31]
	;;#ASMSTART
	;;#ASMEND
	v_cmp_ne_u32_e32 vcc, 0, v3
	s_cmp_lg_u64 vcc, exec
	v_mov_b32_e32 v6, v2
	s_cbranch_scc1 .LBB807_106
; %bb.102:                              ;   in Loop: Header=BB807_101 Depth=1
	v_lshlrev_b64 v[2:3], 4, v[36:37]
	v_mov_b32_e32 v4, s45
	v_add_co_u32_e32 v42, vcc, s44, v2
	v_addc_co_u32_e32 v43, vcc, v4, v3, vcc
	;;#ASMSTART
	global_load_dwordx4 v[2:5], v[42:43] off glc	
s_waitcnt vmcnt(0)
	;;#ASMEND
	v_and_b32_e32 v5, 0xff, v3
	v_and_b32_e32 v59, 0xff00, v3
	;; [unrolled: 1-line block ×3, first 2 shown]
	v_or3_b32 v5, 0, v5, v59
	v_or3_b32 v2, v2, 0, 0
	v_and_b32_e32 v3, 0xff000000, v3
	v_or3_b32 v3, v5, v60, v3
	v_or3_b32 v2, v2, 0, 0
	v_cmp_eq_u16_sdwa s[46:47], v4, v37 src0_sel:BYTE_0 src1_sel:DWORD
	s_and_saveexec_b64 s[30:31], s[46:47]
	s_cbranch_execz .LBB807_100
; %bb.103:                              ;   in Loop: Header=BB807_101 Depth=1
	s_mov_b64 s[46:47], 0
.LBB807_104:                            ;   Parent Loop BB807_101 Depth=1
                                        ; =>  This Inner Loop Header: Depth=2
	;;#ASMSTART
	global_load_dwordx4 v[2:5], v[42:43] off glc	
s_waitcnt vmcnt(0)
	;;#ASMEND
	v_cmp_ne_u16_sdwa s[50:51], v4, v37 src0_sel:BYTE_0 src1_sel:DWORD
	s_or_b64 s[46:47], s[50:51], s[46:47]
	s_andn2_b64 exec, exec, s[46:47]
	s_cbranch_execnz .LBB807_104
; %bb.105:                              ;   in Loop: Header=BB807_101 Depth=1
	s_or_b64 exec, exec, s[46:47]
	s_branch .LBB807_100
.LBB807_106:                            ;   in Loop: Header=BB807_101 Depth=1
                                        ; implicit-def: $vgpr3
                                        ; implicit-def: $vgpr2
                                        ; implicit-def: $vgpr4
	s_cbranch_execz .LBB807_101
; %bb.107:
	s_and_saveexec_b64 s[30:31], s[26:27]
	s_cbranch_execz .LBB807_109
; %bb.108:
	s_cmp_eq_u32 s7, 0
	s_cselect_b64 vcc, -1, 0
	s_mov_b32 s47, 0
	v_cndmask_b32_e32 v2, 0, v7, vcc
	s_add_i32 s46, s6, 64
	v_add_u32_e32 v2, s48, v2
	s_lshl_b64 s[46:47], s[46:47], 4
	s_add_u32 s46, s44, s46
	v_and_b32_e32 v3, 0xff000000, v2
	v_and_b32_e32 v4, 0xff0000, v2
	s_addc_u32 s47, s45, s47
	v_or_b32_e32 v3, v4, v3
	v_and_b32_e32 v4, 0xff00, v2
	v_and_b32_e32 v2, 0xff, v2
	v_add_u32_e32 v36, s7, v6
	v_mov_b32_e32 v39, 0
	v_or3_b32 v37, v3, v4, v2
	v_mov_b32_e32 v38, 2
	v_pk_mov_b32 v[2:3], s[46:47], s[46:47] op_sel:[0,1]
	;;#ASMSTART
	global_store_dwordx4 v[2:3], v[36:39] off	
s_waitcnt vmcnt(0)
	;;#ASMEND
	v_mov_b32_e32 v4, s7
	v_mov_b32_e32 v5, s48
	ds_write_b128 v39, v[4:7] offset:2048
.LBB807_109:
	s_or_b64 exec, exec, s[30:31]
	v_cmp_eq_u32_e32 vcc, 0, v0
	s_and_b64 exec, exec, vcc
	s_cbranch_execz .LBB807_111
; %bb.110:
	v_mov_b32_e32 v2, 0
	ds_write_b64 v2, v[6:7] offset:2088
.LBB807_111:
	s_or_b64 exec, exec, s[40:41]
	v_mov_b32_e32 v4, 0
	s_waitcnt lgkmcnt(0)
	s_barrier
	ds_read_b64 v[2:3], v4 offset:2088
	v_cndmask_b32_e64 v6, v44, v30, s[26:27]
	v_cmp_eq_u32_e32 vcc, 0, v6
	v_cndmask_b32_e64 v5, v45, v31, s[26:27]
	s_waitcnt lgkmcnt(0)
	v_cndmask_b32_e32 v7, 0, v3, vcc
	v_add_u32_e32 v5, v7, v5
	v_cmp_eq_u32_e32 vcc, 0, v0
	v_cndmask_b32_e32 v65, v5, v3, vcc
	v_cndmask_b32_e64 v3, v6, 0, vcc
	v_cmp_eq_u32_e32 vcc, 0, v81
	v_add_u32_e32 v64, v2, v3
	v_cndmask_b32_e32 v2, 0, v65, vcc
	v_add_u32_e32 v63, v2, v40
	v_cndmask_b32_e64 v2, 0, v63, s[24:25]
	v_add_u32_e32 v61, v2, v41
	v_cndmask_b32_e64 v2, 0, v61, s[22:23]
	;; [unrolled: 2-line block ×8, first 2 shown]
	v_add_u32_e32 v62, v64, v81
	v_add_u32_e32 v47, v2, v26
	v_add_u32_e32 v60, v62, v79
	v_cndmask_b32_e64 v2, 0, v47, s[8:9]
	v_add_u32_e32 v58, v60, v78
	v_add_u32_e32 v45, v2, v27
	v_add_u32_e32 v56, v58, v77
	v_cndmask_b32_e64 v2, 0, v45, s[28:29]
	;; [unrolled: 4-line block ×3, first 2 shown]
	v_add_u32_e32 v50, v52, v74
	v_add_u32_e32 v39, v2, v25
	s_barrier
	ds_read_b128 v[2:5], v4 offset:2048
	v_add_u32_e32 v48, v50, v73
	v_add_u32_e32 v46, v48, v72
	;; [unrolled: 1-line block ×4, first 2 shown]
	v_cndmask_b32_e64 v6, 0, v39, s[2:3]
	v_add_u32_e32 v38, v42, v69
	v_add_u32_e32 v37, v6, v22
	s_waitcnt lgkmcnt(0)
	v_cmp_eq_u32_e32 vcc, 0, v2
	v_add_u32_e32 v36, v38, v68
	v_cndmask_b32_e64 v6, 0, v37, s[0:1]
	v_cndmask_b32_e32 v5, 0, v5, vcc
	v_add_u32_e32 v30, v36, v67
	v_add_u32_e32 v31, v6, v23
	;; [unrolled: 1-line block ×3, first 2 shown]
	s_branch .LBB807_124
.LBB807_112:
                                        ; implicit-def: $vgpr2
                                        ; implicit-def: $vgpr80
                                        ; implicit-def: $vgpr64_vgpr65
                                        ; implicit-def: $vgpr62_vgpr63
                                        ; implicit-def: $vgpr60_vgpr61
                                        ; implicit-def: $vgpr58_vgpr59
                                        ; implicit-def: $vgpr56_vgpr57
                                        ; implicit-def: $vgpr54_vgpr55
                                        ; implicit-def: $vgpr52_vgpr53
                                        ; implicit-def: $vgpr50_vgpr51
                                        ; implicit-def: $vgpr48_vgpr49
                                        ; implicit-def: $vgpr46_vgpr47
                                        ; implicit-def: $vgpr44_vgpr45
                                        ; implicit-def: $vgpr42_vgpr43
                                        ; implicit-def: $vgpr38_vgpr39
                                        ; implicit-def: $vgpr36_vgpr37
                                        ; implicit-def: $vgpr30_vgpr31
	s_cbranch_execz .LBB807_124
; %bb.113:
	s_and_b64 s[0:1], s[38:39], exec
	s_cselect_b32 s1, 0, s61
	s_cselect_b32 s0, 0, s60
	s_cmp_eq_u64 s[0:1], 0
	v_mov_b32_e32 v6, v40
	s_cbranch_scc1 .LBB807_115
; %bb.114:
	v_mov_b32_e32 v2, 0
	global_load_dword v6, v2, s[0:1]
.LBB807_115:
	v_cmp_eq_u32_e64 s[0:1], 0, v79
	v_cndmask_b32_e64 v2, 0, v40, s[0:1]
	v_add_u32_e32 v2, v2, v41
	v_cmp_eq_u32_e64 s[2:3], 0, v78
	v_cndmask_b32_e64 v2, 0, v2, s[2:3]
	v_add_u32_e32 v2, v2, v34
	;; [unrolled: 3-line block ×11, first 2 shown]
	v_cmp_eq_u32_e64 s[22:23], 0, v68
	v_cndmask_b32_e64 v2, 0, v2, s[22:23]
	v_add3_u32 v3, v86, v75, v74
	v_add_u32_e32 v2, v2, v22
	v_cmp_eq_u32_e32 vcc, 0, v67
	v_add3_u32 v3, v3, v73, v72
	v_cndmask_b32_e32 v2, 0, v2, vcc
	v_add3_u32 v3, v3, v71, v70
	v_add_u32_e32 v2, v2, v23
	v_cmp_eq_u32_e64 s[24:25], 0, v66
	v_add3_u32 v3, v3, v69, v68
	v_cndmask_b32_e64 v2, 0, v2, s[24:25]
	v_add3_u32 v3, v3, v67, v66
	v_add_u32_e32 v2, v2, v82
	v_mbcnt_hi_u32_b32 v7, -1, v85
	v_and_b32_e32 v4, 15, v7
	v_mov_b32_dpp v30, v2 row_shr:1 row_mask:0xf bank_mask:0xf
	v_cmp_eq_u32_e64 s[24:25], 0, v3
	v_mov_b32_dpp v5, v3 row_shr:1 row_mask:0xf bank_mask:0xf
	v_cndmask_b32_e64 v30, 0, v30, s[24:25]
	v_cmp_eq_u32_e64 s[24:25], 0, v4
	v_cndmask_b32_e64 v5, v5, 0, s[24:25]
	v_add_u32_e32 v3, v5, v3
	v_cndmask_b32_e64 v5, v30, 0, s[24:25]
	v_add_u32_e32 v2, v5, v2
	v_cmp_eq_u32_e64 s[24:25], 0, v3
	v_mov_b32_dpp v5, v3 row_shr:2 row_mask:0xf bank_mask:0xf
	v_cmp_lt_u32_e64 s[26:27], 1, v4
	v_mov_b32_dpp v30, v2 row_shr:2 row_mask:0xf bank_mask:0xf
	v_cndmask_b32_e64 v5, 0, v5, s[26:27]
	s_and_b64 s[24:25], s[26:27], s[24:25]
	v_cndmask_b32_e64 v30, 0, v30, s[24:25]
	v_add_u32_e32 v3, v3, v5
	v_add_u32_e32 v2, v30, v2
	v_cmp_eq_u32_e64 s[24:25], 0, v3
	v_mov_b32_dpp v5, v3 row_shr:4 row_mask:0xf bank_mask:0xf
	v_cmp_lt_u32_e64 s[26:27], 3, v4
	v_mov_b32_dpp v30, v2 row_shr:4 row_mask:0xf bank_mask:0xf
	v_cndmask_b32_e64 v5, 0, v5, s[26:27]
	s_and_b64 s[24:25], s[26:27], s[24:25]
	v_cndmask_b32_e64 v30, 0, v30, s[24:25]
	v_add_u32_e32 v3, v5, v3
	v_add_u32_e32 v2, v2, v30
	v_cmp_eq_u32_e64 s[24:25], 0, v3
	v_cmp_lt_u32_e64 s[26:27], 7, v4
	v_mov_b32_dpp v5, v3 row_shr:8 row_mask:0xf bank_mask:0xf
	v_mov_b32_dpp v30, v2 row_shr:8 row_mask:0xf bank_mask:0xf
	s_and_b64 s[24:25], s[26:27], s[24:25]
	v_cndmask_b32_e64 v4, 0, v5, s[26:27]
	v_cndmask_b32_e64 v5, 0, v30, s[24:25]
	v_add_u32_e32 v2, v5, v2
	v_add_u32_e32 v3, v4, v3
	v_bfe_i32 v30, v7, 4, 1
	v_mov_b32_dpp v5, v2 row_bcast:15 row_mask:0xf bank_mask:0xf
	v_mov_b32_dpp v4, v3 row_bcast:15 row_mask:0xf bank_mask:0xf
	v_cmp_eq_u32_e64 s[24:25], 0, v3
	v_cndmask_b32_e64 v5, 0, v5, s[24:25]
	v_and_b32_e32 v4, v30, v4
	v_add_u32_e32 v3, v4, v3
	v_and_b32_e32 v4, v30, v5
	v_add_u32_e32 v4, v4, v2
	v_mov_b32_dpp v2, v3 row_bcast:31 row_mask:0xf bank_mask:0xf
	v_cmp_eq_u32_e64 s[24:25], 0, v3
	v_cmp_lt_u32_e64 s[26:27], 31, v7
	v_mov_b32_dpp v5, v4 row_bcast:31 row_mask:0xf bank_mask:0xf
	v_cndmask_b32_e64 v2, 0, v2, s[26:27]
	s_and_b64 s[24:25], s[26:27], s[24:25]
	v_add_u32_e32 v2, v2, v3
	v_cndmask_b32_e64 v3, 0, v5, s[24:25]
	v_add_u32_e32 v3, v3, v4
	v_cmp_eq_u32_e64 s[24:25], v84, v0
	v_lshlrev_b32_e32 v5, 3, v83
	s_and_saveexec_b64 s[26:27], s[24:25]
	s_cbranch_execz .LBB807_117
; %bb.116:
	ds_write_b64 v5, v[2:3] offset:2064
.LBB807_117:
	s_or_b64 exec, exec, s[26:27]
	v_cmp_gt_u32_e64 s[24:25], 4, v0
	s_waitcnt lgkmcnt(0)
	s_barrier
	s_and_saveexec_b64 s[28:29], s[24:25]
	s_cbranch_execz .LBB807_119
; %bb.118:
	v_lshlrev_b32_e32 v4, 3, v0
	ds_read_b64 v[30:31], v4 offset:2064
	v_and_b32_e32 v36, 3, v7
	v_cmp_lt_u32_e64 s[26:27], 1, v36
	s_waitcnt lgkmcnt(0)
	v_mov_b32_dpp v38, v31 row_shr:1 row_mask:0xf bank_mask:0xf
	v_cmp_eq_u32_e64 s[24:25], 0, v30
	v_mov_b32_dpp v37, v30 row_shr:1 row_mask:0xf bank_mask:0xf
	v_cndmask_b32_e64 v38, 0, v38, s[24:25]
	v_cmp_eq_u32_e64 s[24:25], 0, v36
	v_cndmask_b32_e64 v37, v37, 0, s[24:25]
	v_add_u32_e32 v30, v37, v30
	v_cndmask_b32_e64 v37, v38, 0, s[24:25]
	v_add_u32_e32 v31, v37, v31
	v_cmp_eq_u32_e64 s[24:25], 0, v30
	v_mov_b32_dpp v37, v30 row_shr:2 row_mask:0xf bank_mask:0xf
	v_mov_b32_dpp v38, v31 row_shr:2 row_mask:0xf bank_mask:0xf
	v_cndmask_b32_e64 v36, 0, v37, s[26:27]
	s_and_b64 s[24:25], s[26:27], s[24:25]
	v_add_u32_e32 v30, v36, v30
	v_cndmask_b32_e64 v36, 0, v38, s[24:25]
	v_add_u32_e32 v31, v36, v31
	ds_write_b64 v4, v[30:31] offset:2064
.LBB807_119:
	s_or_b64 exec, exec, s[28:29]
	v_cmp_lt_u32_e64 s[24:25], 63, v0
	v_mov_b32_e32 v30, 0
	v_mov_b32_e32 v4, 0
	s_waitcnt vmcnt(0)
	v_mov_b32_e32 v31, v6
	s_waitcnt lgkmcnt(0)
	s_barrier
	s_and_saveexec_b64 s[26:27], s[24:25]
	s_cbranch_execz .LBB807_121
; %bb.120:
	ds_read_b64 v[4:5], v5 offset:2056
	s_waitcnt lgkmcnt(0)
	v_cmp_eq_u32_e64 s[24:25], 0, v4
	v_cndmask_b32_e64 v31, 0, v6, s[24:25]
	v_add_u32_e32 v31, v31, v5
.LBB807_121:
	s_or_b64 exec, exec, s[26:27]
	v_cmp_eq_u32_e64 s[24:25], 0, v2
	v_add_u32_e32 v5, v4, v2
	v_cndmask_b32_e64 v2, 0, v31, s[24:25]
	v_add_u32_e32 v2, v2, v3
	v_add_u32_e32 v3, -1, v7
	v_and_b32_e32 v36, 64, v7
	v_cmp_lt_i32_e64 s[24:25], v3, v36
	v_cndmask_b32_e64 v3, v3, v7, s[24:25]
	v_lshlrev_b32_e32 v3, 2, v3
	ds_bpermute_b32 v5, v3, v5
	ds_bpermute_b32 v2, v3, v2
	v_cmp_eq_u32_e64 s[24:25], 0, v7
	v_cmp_eq_u32_e64 s[26:27], 0, v81
	s_waitcnt lgkmcnt(1)
	v_cndmask_b32_e64 v3, v5, v4, s[24:25]
	s_waitcnt lgkmcnt(0)
	v_cndmask_b32_e64 v2, v2, v31, s[24:25]
	v_cmp_eq_u32_e64 s[24:25], 0, v0
	v_cndmask_b32_e64 v65, v2, v6, s[24:25]
	v_cndmask_b32_e64 v2, 0, v65, s[26:27]
	v_add_u32_e32 v63, v2, v40
	v_cndmask_b32_e64 v2, 0, v63, s[0:1]
	v_add_u32_e32 v61, v2, v41
	;; [unrolled: 2-line block ×8, first 2 shown]
	v_cndmask_b32_e64 v64, v3, 0, s[24:25]
	v_cndmask_b32_e64 v2, 0, v49, s[14:15]
	v_add_u32_e32 v62, v64, v81
	v_add_u32_e32 v47, v2, v26
	v_add_u32_e32 v60, v62, v79
	v_cndmask_b32_e64 v2, 0, v47, s[16:17]
	v_add_u32_e32 v58, v60, v78
	v_add_u32_e32 v45, v2, v27
	v_add_u32_e32 v56, v58, v77
	;; [unrolled: 4-line block ×3, first 2 shown]
	v_cndmask_b32_e64 v2, 0, v43, s[20:21]
	v_add_u32_e32 v50, v52, v74
	v_add_u32_e32 v39, v2, v25
	ds_read_b64 v[2:3], v30 offset:2088
	v_add_u32_e32 v48, v50, v73
	v_add_u32_e32 v46, v48, v72
	;; [unrolled: 1-line block ×3, first 2 shown]
	v_cndmask_b32_e64 v4, 0, v39, s[22:23]
	v_add_u32_e32 v42, v44, v70
	v_add_u32_e32 v37, v4, v22
	;; [unrolled: 1-line block ×3, first 2 shown]
	v_cndmask_b32_e32 v4, 0, v37, vcc
	s_waitcnt lgkmcnt(0)
	v_cmp_eq_u32_e32 vcc, 0, v2
	v_add_u32_e32 v36, v38, v68
	v_add_u32_e32 v31, v4, v23
	v_cndmask_b32_e32 v4, 0, v6, vcc
	v_add_u32_e32 v30, v36, v67
	v_add_u32_e32 v80, v4, v3
	s_and_saveexec_b64 s[0:1], s[24:25]
	s_cbranch_execz .LBB807_123
; %bb.122:
	s_add_u32 s2, s44, 0x400
	v_and_b32_e32 v3, 0xff000000, v80
	v_and_b32_e32 v4, 0xff0000, v80
	s_addc_u32 s3, s45, 0
	v_or_b32_e32 v3, v4, v3
	v_and_b32_e32 v4, 0xff00, v80
	v_and_b32_e32 v6, 0xff, v80
	v_mov_b32_e32 v5, 0
	v_or3_b32 v3, v3, v4, v6
	v_mov_b32_e32 v4, 2
	v_pk_mov_b32 v[6:7], s[2:3], s[2:3] op_sel:[0,1]
	;;#ASMSTART
	global_store_dwordx4 v[6:7], v[2:5] off	
s_waitcnt vmcnt(0)
	;;#ASMEND
.LBB807_123:
	s_or_b64 exec, exec, s[0:1]
	v_mov_b32_e32 v4, 0
.LBB807_124:
	s_and_b64 s[0:1], s[38:39], exec
	s_cselect_b32 s1, 0, s59
	s_cselect_b32 s0, 0, s58
	s_cmp_eq_u64 s[0:1], 0
	v_pk_mov_b32 v[6:7], 0, 0
	s_barrier
	s_cbranch_scc1 .LBB807_126
; %bb.125:
	v_mov_b32_e32 v3, 0
	global_load_dwordx2 v[6:7], v3, s[0:1]
.LBB807_126:
	s_waitcnt vmcnt(0)
	v_lshlrev_b64 v[22:23], 2, v[6:7]
	v_mov_b32_e32 v3, s43
	v_add_co_u32_e32 v26, vcc, s42, v22
	v_mov_b32_e32 v5, 0
	v_addc_co_u32_e32 v27, vcc, v3, v23, vcc
	v_lshlrev_b64 v[24:25], 2, v[4:5]
	v_add_co_u32_e32 v3, vcc, v26, v24
	v_addc_co_u32_e32 v5, vcc, v27, v25, vcc
	v_cmp_eq_u32_e32 vcc, 0, v81
	v_cndmask_b32_e64 v26, 1, 2, vcc
	v_cmp_eq_u32_e32 vcc, 0, v79
	v_cndmask_b32_e64 v27, 1, 2, vcc
	v_cmp_eq_u32_e32 vcc, 0, v78
	v_and_b32_e32 v26, v27, v26
	v_cndmask_b32_e64 v27, 1, 2, vcc
	v_cmp_eq_u32_e32 vcc, 0, v77
	v_and_b32_e32 v26, v26, v27
	;; [unrolled: 3-line block ×13, first 2 shown]
	v_cndmask_b32_e64 v27, 1, 2, vcc
	s_movk_i32 s30, 0x100
	v_and_b32_e32 v26, v26, v27
	v_cmp_gt_u32_e32 vcc, s30, v2
	v_cmp_ne_u32_e64 s[28:29], 0, v81
	v_cmp_ne_u32_e64 s[26:27], 0, v79
	;; [unrolled: 1-line block ×15, first 2 shown]
	s_mov_b64 s[38:39], -1
	v_cmp_gt_i16_e64 s[30:31], 2, v26
	s_cbranch_vccz .LBB807_133
; %bb.127:
	s_and_saveexec_b64 s[38:39], s[30:31]
	s_cbranch_execz .LBB807_132
; %bb.128:
	v_cmp_ne_u16_e32 vcc, 1, v26
	s_mov_b64 s[40:41], 0
	s_and_saveexec_b64 s[30:31], vcc
	s_xor_b64 s[30:31], exec, s[30:31]
	s_cbranch_execnz .LBB807_189
; %bb.129:
	s_andn2_saveexec_b64 s[30:31], s[30:31]
	s_cbranch_execnz .LBB807_205
.LBB807_130:
	s_or_b64 exec, exec, s[30:31]
	s_and_b64 exec, exec, s[40:41]
	s_cbranch_execz .LBB807_132
.LBB807_131:
	v_sub_u32_e32 v28, v30, v4
	v_mov_b32_e32 v29, 0
	v_lshlrev_b64 v[28:29], 2, v[28:29]
	v_add_co_u32_e32 v28, vcc, v3, v28
	v_addc_co_u32_e32 v29, vcc, v5, v29, vcc
	global_store_dword v[28:29], v1, off
.LBB807_132:
	s_or_b64 exec, exec, s[38:39]
	s_mov_b64 s[38:39], 0
.LBB807_133:
	s_and_b64 vcc, exec, s[38:39]
	s_cbranch_vccz .LBB807_155
; %bb.134:
	v_cmp_gt_i16_e32 vcc, 2, v26
	s_and_saveexec_b64 s[30:31], vcc
	s_cbranch_execz .LBB807_139
; %bb.135:
	v_cmp_ne_u16_e32 vcc, 1, v26
	s_mov_b64 s[40:41], 0
	s_and_saveexec_b64 s[38:39], vcc
	s_xor_b64 s[38:39], exec, s[38:39]
	s_cbranch_execnz .LBB807_206
; %bb.136:
	s_andn2_saveexec_b64 s[0:1], s[38:39]
	s_cbranch_execnz .LBB807_222
.LBB807_137:
	s_or_b64 exec, exec, s[0:1]
	s_and_b64 exec, exec, s[40:41]
	s_cbranch_execz .LBB807_139
.LBB807_138:
	v_sub_u32_e32 v8, v30, v4
	v_lshlrev_b32_e32 v8, 2, v8
	ds_write_b32 v8, v1
.LBB807_139:
	s_or_b64 exec, exec, s[30:31]
	v_cmp_lt_u32_e32 vcc, v0, v2
	s_waitcnt lgkmcnt(0)
	s_barrier
	s_and_saveexec_b64 s[2:3], vcc
	s_cbranch_execz .LBB807_154
; %bb.140:
	v_xad_u32 v1, v0, -1, v2
	s_movk_i32 s0, 0x1700
	v_cmp_gt_u32_e64 s[4:5], s0, v1
	s_movk_i32 s0, 0x16ff
	v_cmp_lt_u32_e32 vcc, s0, v1
	v_mov_b32_e32 v8, v0
	s_and_saveexec_b64 s[6:7], vcc
	s_cbranch_execz .LBB807_151
; %bb.141:
	v_sub_u32_e32 v8, v0, v2
	v_or_b32_e32 v8, 0xff, v8
	v_cmp_ge_u32_e32 vcc, v8, v0
	s_mov_b64 s[0:1], -1
	v_mov_b32_e32 v8, v0
	s_and_saveexec_b64 s[8:9], vcc
	s_cbranch_execz .LBB807_150
; %bb.142:
	v_lshrrev_b32_e32 v12, 8, v1
	v_add_u32_e32 v8, -1, v12
	v_or_b32_e32 v1, 0x100, v0
	v_lshrrev_b32_e32 v9, 1, v8
	v_add_u32_e32 v13, 1, v9
	v_cmp_lt_u32_e32 vcc, 13, v8
	v_mov_b32_e32 v16, 0
	v_pk_mov_b32 v[8:9], v[0:1], v[0:1] op_sel:[0,1]
	s_and_saveexec_b64 s[10:11], vcc
	s_cbranch_execz .LBB807_146
; %bb.143:
	v_and_b32_e32 v14, -8, v13
	v_lshlrev_b32_e32 v15, 2, v0
	s_mov_b32 s14, 0
	s_mov_b64 s[12:13], 0
	v_mov_b32_e32 v11, 0
	v_pk_mov_b32 v[8:9], v[0:1], v[0:1] op_sel:[0,1]
.LBB807_144:                            ; =>This Inner Loop Header: Depth=1
	v_mov_b32_e32 v10, v8
	v_add_u32_e32 v14, -8, v14
	v_lshlrev_b64 v[96:97], 2, v[10:11]
	v_mov_b32_e32 v10, v9
	ds_read2st64_b32 v[18:19], v15 offset1:4
	s_add_i32 s14, s14, 16
	v_cmp_eq_u32_e32 vcc, 0, v14
	v_lshlrev_b64 v[100:101], 2, v[10:11]
	v_add_u32_e32 v10, 0x200, v8
	s_or_b64 s[12:13], vcc, s[12:13]
	v_add_co_u32_e32 v100, vcc, v3, v100
	v_add_u32_e32 v16, 0x200, v9
	v_mov_b32_e32 v17, v11
	ds_read2st64_b32 v[20:21], v15 offset0:8 offset1:12
	ds_read2st64_b32 v[28:29], v15 offset0:16 offset1:20
	v_add_co_u32_e64 v96, s[0:1], v3, v96
	v_addc_co_u32_e32 v101, vcc, v5, v101, vcc
	v_lshlrev_b64 v[102:103], 2, v[10:11]
	v_lshlrev_b64 v[98:99], 2, v[16:17]
	v_addc_co_u32_e64 v97, s[0:1], v5, v97, s[0:1]
	v_add_u32_e32 v10, 0x400, v8
	v_add_co_u32_e32 v102, vcc, v3, v102
	v_add_u32_e32 v26, 0x400, v9
	v_mov_b32_e32 v27, v11
	ds_read2st64_b32 v[34:35], v15 offset0:24 offset1:28
	v_add_co_u32_e64 v98, s[0:1], v3, v98
	v_addc_co_u32_e32 v103, vcc, v5, v103, vcc
	v_lshlrev_b64 v[104:105], 2, v[10:11]
	ds_read2st64_b32 v[82:83], v15 offset0:32 offset1:36
	ds_read2st64_b32 v[86:87], v15 offset0:40 offset1:44
	;; [unrolled: 1-line block ×4, first 2 shown]
	v_lshlrev_b64 v[26:27], 2, v[26:27]
	v_addc_co_u32_e64 v99, s[0:1], v5, v99, s[0:1]
	v_add_u32_e32 v10, 0x600, v8
	s_waitcnt lgkmcnt(7)
	global_store_dword v[96:97], v18, off
	global_store_dword v[100:101], v19, off
	s_waitcnt lgkmcnt(6)
	global_store_dword v[102:103], v20, off
	global_store_dword v[98:99], v21, off
	v_add_co_u32_e32 v18, vcc, v3, v104
	v_add_u32_e32 v32, 0x600, v9
	v_mov_b32_e32 v33, v11
	v_add_co_u32_e64 v26, s[0:1], v3, v26
	v_addc_co_u32_e32 v19, vcc, v5, v105, vcc
	v_lshlrev_b64 v[20:21], 2, v[10:11]
	v_lshlrev_b64 v[32:33], 2, v[32:33]
	v_addc_co_u32_e64 v27, s[0:1], v5, v27, s[0:1]
	v_add_u32_e32 v10, 0x800, v8
	s_waitcnt lgkmcnt(5)
	global_store_dword v[18:19], v28, off
	global_store_dword v[26:27], v29, off
	v_add_co_u32_e32 v18, vcc, v3, v20
	v_add_u32_e32 v40, 0x800, v9
	v_mov_b32_e32 v41, v11
	v_add_co_u32_e64 v32, s[0:1], v3, v32
	v_addc_co_u32_e32 v19, vcc, v5, v21, vcc
	v_lshlrev_b64 v[20:21], 2, v[10:11]
	v_lshlrev_b64 v[40:41], 2, v[40:41]
	v_addc_co_u32_e64 v33, s[0:1], v5, v33, s[0:1]
	v_add_u32_e32 v10, 0xa00, v8
	;; [unrolled: 12-line block ×4, first 2 shown]
	s_waitcnt lgkmcnt(2)
	global_store_dword v[18:19], v86, off
	global_store_dword v[84:85], v87, off
	v_add_co_u32_e32 v18, vcc, v3, v20
	v_add_u32_e32 v92, 0xe00, v9
	v_mov_b32_e32 v93, v11
	v_add_co_u32_e64 v88, s[0:1], v3, v88
	v_addc_co_u32_e32 v19, vcc, v5, v21, vcc
	v_lshlrev_b64 v[20:21], 2, v[10:11]
	v_lshlrev_b64 v[92:93], 2, v[92:93]
	v_addc_co_u32_e64 v89, s[0:1], v5, v89, s[0:1]
	s_waitcnt lgkmcnt(1)
	global_store_dword v[18:19], v90, off
	global_store_dword v[88:89], v91, off
	v_add_co_u32_e32 v18, vcc, v3, v20
	v_add_u32_e32 v15, 0x4000, v15
	v_add_u32_e32 v9, 0x1000, v9
	v_mov_b32_e32 v16, s14
	v_add_co_u32_e64 v92, s[0:1], v3, v92
	v_add_u32_e32 v8, 0x1000, v8
	v_addc_co_u32_e32 v19, vcc, v5, v21, vcc
	v_addc_co_u32_e64 v93, s[0:1], v5, v93, s[0:1]
	s_waitcnt lgkmcnt(0)
	global_store_dword v[18:19], v94, off
	global_store_dword v[92:93], v95, off
	s_andn2_b64 exec, exec, s[12:13]
	s_cbranch_execnz .LBB807_144
; %bb.145:
	s_or_b64 exec, exec, s[12:13]
.LBB807_146:
	s_or_b64 exec, exec, s[10:11]
	v_and_b32_e32 v1, 7, v13
	v_cmp_ne_u32_e32 vcc, 0, v1
	s_and_saveexec_b64 s[10:11], vcc
	s_cbranch_execz .LBB807_149
; %bb.147:
	v_lshlrev_b32_e32 v10, 2, v0
	v_lshl_or_b32 v13, v16, 10, v10
	s_mov_b64 s[12:13], 0
	v_mov_b32_e32 v11, 0
.LBB807_148:                            ; =>This Inner Loop Header: Depth=1
	ds_read2st64_b32 v[14:15], v13 offset1:4
	v_mov_b32_e32 v10, v8
	v_add_u32_e32 v1, -1, v1
	v_lshlrev_b64 v[16:17], 2, v[10:11]
	v_mov_b32_e32 v10, v9
	v_cmp_eq_u32_e32 vcc, 0, v1
	v_add_co_u32_e64 v16, s[0:1], v3, v16
	v_lshlrev_b64 v[18:19], 2, v[10:11]
	v_add_u32_e32 v8, 0x200, v8
	v_add_u32_e32 v13, 0x800, v13
	;; [unrolled: 1-line block ×3, first 2 shown]
	v_addc_co_u32_e64 v17, s[0:1], v5, v17, s[0:1]
	s_or_b64 s[12:13], vcc, s[12:13]
	v_add_co_u32_e32 v18, vcc, v3, v18
	v_addc_co_u32_e32 v19, vcc, v5, v19, vcc
	s_waitcnt lgkmcnt(0)
	global_store_dword v[16:17], v14, off
	global_store_dword v[18:19], v15, off
	s_andn2_b64 exec, exec, s[12:13]
	s_cbranch_execnz .LBB807_148
.LBB807_149:
	s_or_b64 exec, exec, s[10:11]
	v_add_u32_e32 v1, 1, v12
	v_and_b32_e32 v9, 0x1fffffe, v1
	v_cmp_ne_u32_e32 vcc, v1, v9
	v_lshl_or_b32 v8, v9, 8, v0
	s_orn2_b64 s[0:1], vcc, exec
.LBB807_150:
	s_or_b64 exec, exec, s[8:9]
	s_andn2_b64 s[4:5], s[4:5], exec
	s_and_b64 s[0:1], s[0:1], exec
	s_or_b64 s[4:5], s[4:5], s[0:1]
.LBB807_151:
	s_or_b64 exec, exec, s[6:7]
	s_and_b64 exec, exec, s[4:5]
	s_cbranch_execz .LBB807_154
; %bb.152:
	v_lshlrev_b32_e32 v1, 2, v8
	s_mov_b64 s[0:1], 0
	v_mov_b32_e32 v9, 0
.LBB807_153:                            ; =>This Inner Loop Header: Depth=1
	v_lshlrev_b64 v[10:11], 2, v[8:9]
	ds_read_b32 v12, v1
	v_add_co_u32_e32 v10, vcc, v3, v10
	v_add_u32_e32 v8, 0x100, v8
	v_addc_co_u32_e32 v11, vcc, v5, v11, vcc
	v_cmp_ge_u32_e32 vcc, v8, v2
	v_add_u32_e32 v1, 0x400, v1
	s_or_b64 s[0:1], vcc, s[0:1]
	s_waitcnt lgkmcnt(0)
	global_store_dword v[10:11], v12, off
	s_andn2_b64 exec, exec, s[0:1]
	s_cbranch_execnz .LBB807_153
.LBB807_154:
	s_or_b64 exec, exec, s[2:3]
.LBB807_155:
	s_cmpk_lg_i32 s33, 0xf00
	s_cselect_b64 s[0:1], -1, 0
	s_and_b64 s[0:1], s[34:35], s[0:1]
	v_cmp_eq_u32_e32 vcc, 0, v0
	v_cndmask_b32_e64 v8, 0, 1, s[0:1]
	s_and_b64 s[0:1], vcc, s[36:37]
	v_cndmask_b32_e64 v5, v81, 0, s[0:1]
	s_mul_hi_u32 s0, s33, 0x88888889
	s_lshr_b32 s0, s0, 3
	v_mad_i32_i24 v9, v0, -15, s33
	v_cmp_eq_u32_e32 vcc, s0, v0
	v_cmp_ne_u32_e64 s[0:1], 0, v9
	v_cndmask_b32_e64 v10, 1, v5, s[0:1]
	v_cmp_ne_u32_e64 s[0:1], 1, v9
	v_cndmask_b32_e64 v11, 1, v79, s[0:1]
	;; [unrolled: 2-line block ×15, first 2 shown]
	s_and_b64 vcc, s[34:35], vcc
	v_cndmask_b32_e32 v28, v66, v9, vcc
	v_cndmask_b32_e32 v27, v67, v27, vcc
	;; [unrolled: 1-line block ×15, first 2 shown]
	v_mov_b32_e32 v5, s53
	v_add_co_u32_e32 v9, vcc, s52, v22
	v_addc_co_u32_e32 v12, vcc, v5, v23, vcc
	v_cndmask_b32_e64 v1, 0, 1, s[36:37]
	v_add_co_u32_e32 v5, vcc, v9, v24
	v_addc_co_u32_e32 v12, vcc, v12, v25, vcc
	v_lshlrev_b32_e32 v9, 2, v1
	v_add_co_u32_e32 v9, vcc, v9, v5
	v_addc_co_u32_e32 v14, vcc, 0, v12, vcc
	v_add_co_u32_e32 v13, vcc, -4, v9
	v_addc_co_u32_e32 v14, vcc, -1, v14, vcc
	v_cmp_eq_u32_e32 vcc, 0, v10
	v_cmp_ne_u32_e64 s[28:29], 0, v10
	v_cndmask_b32_e64 v10, 1, 2, vcc
	v_cmp_eq_u32_e32 vcc, 0, v11
	v_cmp_ne_u32_e64 s[26:27], 0, v11
	v_cndmask_b32_e64 v11, 1, 2, vcc
	v_cmp_eq_u32_e32 vcc, 0, v33
	v_and_b32_e32 v10, v11, v10
	v_cndmask_b32_e64 v11, 1, 2, vcc
	v_cmp_eq_u32_e32 vcc, 0, v32
	v_and_b32_e32 v10, v10, v11
	;; [unrolled: 3-line block ×11, first 2 shown]
	v_cndmask_b32_e64 v11, 1, 2, vcc
	v_cmp_eq_u32_e32 vcc, 0, v27
	v_sub_u32_e32 v3, v2, v1
	v_and_b32_e32 v10, v10, v11
	v_cndmask_b32_e64 v11, 1, 2, vcc
	v_cmp_eq_u32_e32 vcc, 0, v28
	v_add_u32_e32 v3, v3, v8
	v_and_b32_e32 v10, v10, v11
	v_cndmask_b32_e64 v11, 1, 2, vcc
	s_movk_i32 s30, 0x100
	v_and_b32_e32 v10, v10, v11
	v_cmp_gt_u32_e32 vcc, s30, v3
	v_add_u32_e32 v9, v4, v1
	v_cmp_ne_u32_e64 s[24:25], 0, v33
	v_cmp_ne_u32_e64 s[22:23], 0, v32
	;; [unrolled: 1-line block ×13, first 2 shown]
	s_mov_b64 s[36:37], -1
	v_cmp_gt_i16_e64 s[30:31], 2, v10
	s_barrier
	s_cbranch_vccz .LBB807_162
; %bb.156:
	s_and_saveexec_b64 s[36:37], s[30:31]
	s_cbranch_execz .LBB807_161
; %bb.157:
	v_cmp_ne_u16_e32 vcc, 1, v10
	s_mov_b64 s[38:39], 0
	s_and_saveexec_b64 s[30:31], vcc
	s_xor_b64 s[30:31], exec, s[30:31]
	s_cbranch_execnz .LBB807_223
; %bb.158:
	s_andn2_saveexec_b64 s[30:31], s[30:31]
	s_cbranch_execnz .LBB807_239
.LBB807_159:
	s_or_b64 exec, exec, s[30:31]
	s_and_b64 exec, exec, s[38:39]
	s_cbranch_execz .LBB807_161
.LBB807_160:
	v_sub_u32_e32 v16, v30, v9
	v_mov_b32_e32 v17, 0
	v_lshlrev_b64 v[16:17], 2, v[16:17]
	v_add_co_u32_e32 v16, vcc, v13, v16
	v_addc_co_u32_e32 v17, vcc, v14, v17, vcc
	global_store_dword v[16:17], v31, off
.LBB807_161:
	s_or_b64 exec, exec, s[36:37]
	s_mov_b64 s[36:37], 0
.LBB807_162:
	s_and_b64 vcc, exec, s[36:37]
	s_cbranch_vccz .LBB807_184
; %bb.163:
	v_cmp_gt_i16_e32 vcc, 2, v10
	s_and_saveexec_b64 s[30:31], vcc
	s_cbranch_execz .LBB807_168
; %bb.164:
	v_cmp_ne_u16_e32 vcc, 1, v10
	s_mov_b64 s[38:39], 0
	s_and_saveexec_b64 s[36:37], vcc
	s_xor_b64 s[36:37], exec, s[36:37]
	s_cbranch_execnz .LBB807_240
; %bb.165:
	s_andn2_saveexec_b64 s[0:1], s[36:37]
	s_cbranch_execnz .LBB807_256
.LBB807_166:
	s_or_b64 exec, exec, s[0:1]
	s_and_b64 exec, exec, s[38:39]
	s_cbranch_execz .LBB807_168
.LBB807_167:
	v_sub_u32_e32 v9, v30, v9
	v_lshlrev_b32_e32 v9, 2, v9
	ds_write_b32 v9, v31
.LBB807_168:
	s_or_b64 exec, exec, s[30:31]
	v_cmp_lt_u32_e32 vcc, v0, v3
	s_waitcnt lgkmcnt(0)
	s_barrier
	s_and_saveexec_b64 s[2:3], vcc
	s_cbranch_execz .LBB807_183
; %bb.169:
	v_add_u32_e32 v10, v2, v8
	v_xad_u32 v8, v0, -1, v10
	v_sub_u32_e32 v9, v8, v1
	s_movk_i32 s0, 0x1900
	v_cmp_gt_u32_e64 s[4:5], s0, v9
	s_movk_i32 s0, 0x18ff
	v_cmp_lt_u32_e32 vcc, s0, v9
	v_mov_b32_e32 v8, v0
	s_and_saveexec_b64 s[6:7], vcc
	s_cbranch_execz .LBB807_180
; %bb.170:
	v_sub_u32_e32 v8, v0, v10
	v_add_u32_e32 v1, v8, v1
	v_or_b32_e32 v1, 0xff, v1
	v_cmp_ge_u32_e32 vcc, v1, v0
	s_mov_b64 s[0:1], -1
	v_mov_b32_e32 v8, v0
	s_and_saveexec_b64 s[8:9], vcc
	s_cbranch_execz .LBB807_179
; %bb.171:
	v_lshrrev_b32_e32 v15, 8, v9
	v_add_u32_e32 v8, -1, v15
	v_or_b32_e32 v1, 0x100, v0
	v_lshrrev_b32_e32 v9, 1, v8
	v_add_u32_e32 v17, 1, v9
	v_cmp_lt_u32_e32 vcc, 13, v8
	v_mov_b32_e32 v20, 0
	v_lshlrev_b32_e32 v16, 2, v0
	v_pk_mov_b32 v[8:9], v[0:1], v[0:1] op_sel:[0,1]
	s_and_saveexec_b64 s[10:11], vcc
	s_cbranch_execz .LBB807_175
; %bb.172:
	v_and_b32_e32 v18, -8, v17
	s_mov_b32 s14, 0
	s_mov_b64 s[12:13], 0
	v_mov_b32_e32 v11, 0
	v_mov_b32_e32 v19, v16
	v_pk_mov_b32 v[8:9], v[0:1], v[0:1] op_sel:[0,1]
.LBB807_173:                            ; =>This Inner Loop Header: Depth=1
	v_mov_b32_e32 v10, v8
	v_add_u32_e32 v18, -8, v18
	v_lshlrev_b64 v[50:51], 2, v[10:11]
	v_mov_b32_e32 v10, v9
	ds_read2st64_b32 v[22:23], v19 offset1:4
	s_add_i32 s14, s14, 16
	v_cmp_eq_u32_e32 vcc, 0, v18
	v_lshlrev_b64 v[54:55], 2, v[10:11]
	v_add_u32_e32 v10, 0x200, v8
	s_or_b64 s[12:13], vcc, s[12:13]
	v_add_co_u32_e32 v54, vcc, v13, v54
	v_add_u32_e32 v20, 0x200, v9
	v_mov_b32_e32 v21, v11
	ds_read2st64_b32 v[24:25], v19 offset0:8 offset1:12
	ds_read2st64_b32 v[28:29], v19 offset0:16 offset1:20
	v_add_co_u32_e64 v50, s[0:1], v13, v50
	v_addc_co_u32_e32 v55, vcc, v14, v55, vcc
	v_lshlrev_b64 v[56:57], 2, v[10:11]
	v_lshlrev_b64 v[52:53], 2, v[20:21]
	v_addc_co_u32_e64 v51, s[0:1], v14, v51, s[0:1]
	v_add_u32_e32 v10, 0x400, v8
	v_add_co_u32_e32 v56, vcc, v13, v56
	v_add_u32_e32 v26, 0x400, v9
	v_mov_b32_e32 v27, v11
	ds_read2st64_b32 v[32:33], v19 offset0:24 offset1:28
	v_add_co_u32_e64 v52, s[0:1], v13, v52
	v_addc_co_u32_e32 v57, vcc, v14, v57, vcc
	v_lshlrev_b64 v[58:59], 2, v[10:11]
	ds_read2st64_b32 v[36:37], v19 offset0:32 offset1:36
	ds_read2st64_b32 v[40:41], v19 offset0:40 offset1:44
	;; [unrolled: 1-line block ×4, first 2 shown]
	v_lshlrev_b64 v[26:27], 2, v[26:27]
	v_addc_co_u32_e64 v53, s[0:1], v14, v53, s[0:1]
	v_add_u32_e32 v10, 0x600, v8
	s_waitcnt lgkmcnt(7)
	global_store_dword v[50:51], v22, off
	global_store_dword v[54:55], v23, off
	s_waitcnt lgkmcnt(6)
	global_store_dword v[56:57], v24, off
	global_store_dword v[52:53], v25, off
	v_add_co_u32_e32 v22, vcc, v13, v58
	v_add_u32_e32 v30, 0x600, v9
	v_mov_b32_e32 v31, v11
	v_add_co_u32_e64 v26, s[0:1], v13, v26
	v_addc_co_u32_e32 v23, vcc, v14, v59, vcc
	v_lshlrev_b64 v[24:25], 2, v[10:11]
	v_lshlrev_b64 v[30:31], 2, v[30:31]
	v_addc_co_u32_e64 v27, s[0:1], v14, v27, s[0:1]
	v_add_u32_e32 v10, 0x800, v8
	s_waitcnt lgkmcnt(5)
	global_store_dword v[22:23], v28, off
	global_store_dword v[26:27], v29, off
	v_add_co_u32_e32 v22, vcc, v13, v24
	v_add_u32_e32 v34, 0x800, v9
	v_mov_b32_e32 v35, v11
	v_add_co_u32_e64 v30, s[0:1], v13, v30
	v_addc_co_u32_e32 v23, vcc, v14, v25, vcc
	v_lshlrev_b64 v[24:25], 2, v[10:11]
	v_lshlrev_b64 v[34:35], 2, v[34:35]
	v_addc_co_u32_e64 v31, s[0:1], v14, v31, s[0:1]
	v_add_u32_e32 v10, 0xa00, v8
	;; [unrolled: 12-line block ×4, first 2 shown]
	s_waitcnt lgkmcnt(2)
	global_store_dword v[22:23], v40, off
	global_store_dword v[38:39], v41, off
	v_add_co_u32_e32 v22, vcc, v13, v24
	v_add_u32_e32 v46, 0xe00, v9
	v_mov_b32_e32 v47, v11
	v_add_co_u32_e64 v42, s[0:1], v13, v42
	v_addc_co_u32_e32 v23, vcc, v14, v25, vcc
	v_lshlrev_b64 v[24:25], 2, v[10:11]
	v_lshlrev_b64 v[46:47], 2, v[46:47]
	v_addc_co_u32_e64 v43, s[0:1], v14, v43, s[0:1]
	s_waitcnt lgkmcnt(1)
	global_store_dword v[22:23], v44, off
	global_store_dword v[42:43], v45, off
	v_add_co_u32_e32 v22, vcc, v13, v24
	v_add_u32_e32 v19, 0x4000, v19
	v_add_u32_e32 v9, 0x1000, v9
	v_mov_b32_e32 v20, s14
	v_add_co_u32_e64 v46, s[0:1], v13, v46
	v_add_u32_e32 v8, 0x1000, v8
	v_addc_co_u32_e32 v23, vcc, v14, v25, vcc
	v_addc_co_u32_e64 v47, s[0:1], v14, v47, s[0:1]
	s_waitcnt lgkmcnt(0)
	global_store_dword v[22:23], v48, off
	global_store_dword v[46:47], v49, off
	s_andn2_b64 exec, exec, s[12:13]
	s_cbranch_execnz .LBB807_173
; %bb.174:
	s_or_b64 exec, exec, s[12:13]
.LBB807_175:
	s_or_b64 exec, exec, s[10:11]
	v_and_b32_e32 v1, 7, v17
	v_cmp_ne_u32_e32 vcc, 0, v1
	s_and_saveexec_b64 s[10:11], vcc
	s_cbranch_execz .LBB807_178
; %bb.176:
	v_lshl_or_b32 v16, v20, 10, v16
	s_mov_b64 s[12:13], 0
	v_mov_b32_e32 v11, 0
.LBB807_177:                            ; =>This Inner Loop Header: Depth=1
	ds_read2st64_b32 v[18:19], v16 offset1:4
	v_mov_b32_e32 v10, v8
	v_add_u32_e32 v1, -1, v1
	v_lshlrev_b64 v[20:21], 2, v[10:11]
	v_mov_b32_e32 v10, v9
	v_cmp_eq_u32_e32 vcc, 0, v1
	v_add_co_u32_e64 v20, s[0:1], v13, v20
	v_lshlrev_b64 v[22:23], 2, v[10:11]
	v_add_u32_e32 v8, 0x200, v8
	v_add_u32_e32 v16, 0x800, v16
	;; [unrolled: 1-line block ×3, first 2 shown]
	v_addc_co_u32_e64 v21, s[0:1], v14, v21, s[0:1]
	s_or_b64 s[12:13], vcc, s[12:13]
	v_add_co_u32_e32 v22, vcc, v13, v22
	v_addc_co_u32_e32 v23, vcc, v14, v23, vcc
	s_waitcnt lgkmcnt(0)
	global_store_dword v[20:21], v18, off
	global_store_dword v[22:23], v19, off
	s_andn2_b64 exec, exec, s[12:13]
	s_cbranch_execnz .LBB807_177
.LBB807_178:
	s_or_b64 exec, exec, s[10:11]
	v_add_u32_e32 v1, 1, v15
	v_and_b32_e32 v9, 0x1fffffe, v1
	v_cmp_ne_u32_e32 vcc, v1, v9
	v_lshl_or_b32 v8, v9, 8, v0
	s_orn2_b64 s[0:1], vcc, exec
.LBB807_179:
	s_or_b64 exec, exec, s[8:9]
	s_andn2_b64 s[4:5], s[4:5], exec
	s_and_b64 s[0:1], s[0:1], exec
	s_or_b64 s[4:5], s[4:5], s[0:1]
.LBB807_180:
	s_or_b64 exec, exec, s[6:7]
	s_and_b64 exec, exec, s[4:5]
	s_cbranch_execz .LBB807_183
; %bb.181:
	v_lshlrev_b32_e32 v1, 2, v8
	s_mov_b64 s[0:1], 0
	v_mov_b32_e32 v9, 0
.LBB807_182:                            ; =>This Inner Loop Header: Depth=1
	v_lshlrev_b64 v[10:11], 2, v[8:9]
	ds_read_b32 v15, v1
	v_add_co_u32_e32 v10, vcc, v13, v10
	v_add_u32_e32 v8, 0x100, v8
	v_addc_co_u32_e32 v11, vcc, v14, v11, vcc
	v_cmp_ge_u32_e32 vcc, v8, v3
	v_add_u32_e32 v1, 0x400, v1
	s_or_b64 s[0:1], vcc, s[0:1]
	s_waitcnt lgkmcnt(0)
	global_store_dword v[10:11], v15, off
	s_andn2_b64 exec, exec, s[0:1]
	s_cbranch_execnz .LBB807_182
.LBB807_183:
	s_or_b64 exec, exec, s[2:3]
.LBB807_184:
	s_movk_i32 s0, 0xff
	v_cmp_eq_u32_e32 vcc, s0, v0
	s_and_b64 s[0:1], vcc, s[34:35]
	s_and_saveexec_b64 s[2:3], s[0:1]
	s_cbranch_execz .LBB807_187
; %bb.185:
	v_add_co_u32_e32 v0, vcc, v2, v4
	v_addc_co_u32_e64 v1, s[0:1], 0, 0, vcc
	v_add_co_u32_e32 v0, vcc, v0, v6
	v_mov_b32_e32 v3, 0
	v_addc_co_u32_e32 v1, vcc, v1, v7, vcc
	s_cmpk_lg_i32 s33, 0xf00
	global_store_dwordx2 v3, v[0:1], s[54:55]
	s_cbranch_scc1 .LBB807_187
; %bb.186:
	v_lshlrev_b64 v[0:1], 2, v[2:3]
	v_add_co_u32_e32 v0, vcc, v5, v0
	v_addc_co_u32_e32 v1, vcc, v12, v1, vcc
	global_store_dword v[0:1], v80, off offset:-4
.LBB807_187:
	s_endpgm
.LBB807_188:
	s_or_b64 exec, exec, s[2:3]
	v_mov_b32_e32 v81, s8
	s_and_saveexec_b64 s[2:3], s[48:49]
	s_cbranch_execnz .LBB807_84
	s_branch .LBB807_85
.LBB807_189:
	s_and_saveexec_b64 s[40:41], s[28:29]
	s_cbranch_execnz .LBB807_257
; %bb.190:
	s_or_b64 exec, exec, s[40:41]
	s_and_saveexec_b64 s[40:41], s[26:27]
	s_cbranch_execnz .LBB807_258
.LBB807_191:
	s_or_b64 exec, exec, s[40:41]
	s_and_saveexec_b64 s[40:41], s[24:25]
	s_cbranch_execnz .LBB807_259
.LBB807_192:
	s_or_b64 exec, exec, s[40:41]
	s_and_saveexec_b64 s[40:41], s[22:23]
	s_cbranch_execnz .LBB807_260
.LBB807_193:
	s_or_b64 exec, exec, s[40:41]
	s_and_saveexec_b64 s[40:41], s[20:21]
	s_cbranch_execnz .LBB807_261
.LBB807_194:
	s_or_b64 exec, exec, s[40:41]
	s_and_saveexec_b64 s[40:41], s[18:19]
	s_cbranch_execnz .LBB807_262
.LBB807_195:
	s_or_b64 exec, exec, s[40:41]
	s_and_saveexec_b64 s[40:41], s[16:17]
	s_cbranch_execnz .LBB807_263
.LBB807_196:
	s_or_b64 exec, exec, s[40:41]
	s_and_saveexec_b64 s[40:41], s[14:15]
	s_cbranch_execnz .LBB807_264
.LBB807_197:
	s_or_b64 exec, exec, s[40:41]
	s_and_saveexec_b64 s[40:41], s[12:13]
	s_cbranch_execnz .LBB807_265
.LBB807_198:
	s_or_b64 exec, exec, s[40:41]
	s_and_saveexec_b64 s[40:41], s[10:11]
	s_cbranch_execnz .LBB807_266
.LBB807_199:
	s_or_b64 exec, exec, s[40:41]
	s_and_saveexec_b64 s[40:41], s[8:9]
	s_cbranch_execnz .LBB807_267
.LBB807_200:
	s_or_b64 exec, exec, s[40:41]
	s_and_saveexec_b64 s[40:41], s[6:7]
	s_cbranch_execnz .LBB807_268
.LBB807_201:
	s_or_b64 exec, exec, s[40:41]
	s_and_saveexec_b64 s[40:41], s[4:5]
	s_cbranch_execnz .LBB807_269
.LBB807_202:
	s_or_b64 exec, exec, s[40:41]
	s_and_saveexec_b64 s[40:41], s[2:3]
	s_cbranch_execz .LBB807_204
.LBB807_203:
	v_sub_u32_e32 v28, v36, v4
	v_mov_b32_e32 v29, 0
	v_lshlrev_b64 v[28:29], 2, v[28:29]
	v_add_co_u32_e32 v28, vcc, v3, v28
	v_addc_co_u32_e32 v29, vcc, v5, v29, vcc
	global_store_dword v[28:29], v9, off
.LBB807_204:
	s_or_b64 exec, exec, s[40:41]
	s_and_b64 s[40:41], s[0:1], exec
	s_andn2_saveexec_b64 s[30:31], s[30:31]
	s_cbranch_execz .LBB807_130
.LBB807_205:
	v_sub_u32_e32 v28, v64, v4
	v_mov_b32_e32 v29, 0
	v_lshlrev_b64 v[32:33], 2, v[28:29]
	v_add_co_u32_e32 v32, vcc, v3, v32
	v_addc_co_u32_e32 v33, vcc, v5, v33, vcc
	v_sub_u32_e32 v28, v62, v4
	global_store_dword v[32:33], v20, off
	v_lshlrev_b64 v[32:33], 2, v[28:29]
	v_add_co_u32_e32 v32, vcc, v3, v32
	v_addc_co_u32_e32 v33, vcc, v5, v33, vcc
	v_sub_u32_e32 v28, v60, v4
	global_store_dword v[32:33], v21, off
	;; [unrolled: 5-line block ×12, first 2 shown]
	v_lshlrev_b64 v[32:33], 2, v[28:29]
	v_add_co_u32_e32 v32, vcc, v3, v32
	v_sub_u32_e32 v28, v36, v4
	v_addc_co_u32_e32 v33, vcc, v5, v33, vcc
	v_lshlrev_b64 v[28:29], 2, v[28:29]
	v_add_co_u32_e32 v28, vcc, v3, v28
	v_addc_co_u32_e32 v29, vcc, v5, v29, vcc
	s_or_b64 s[40:41], s[40:41], exec
	global_store_dword v[32:33], v8, off
	global_store_dword v[28:29], v9, off
	s_or_b64 exec, exec, s[30:31]
	s_and_b64 exec, exec, s[40:41]
	s_cbranch_execnz .LBB807_131
	s_branch .LBB807_132
.LBB807_206:
	s_and_saveexec_b64 s[40:41], s[28:29]
	s_cbranch_execnz .LBB807_270
; %bb.207:
	s_or_b64 exec, exec, s[40:41]
	s_and_saveexec_b64 s[28:29], s[26:27]
	s_cbranch_execnz .LBB807_271
.LBB807_208:
	s_or_b64 exec, exec, s[28:29]
	s_and_saveexec_b64 s[26:27], s[24:25]
	s_cbranch_execnz .LBB807_272
.LBB807_209:
	s_or_b64 exec, exec, s[26:27]
	s_and_saveexec_b64 s[24:25], s[22:23]
	s_cbranch_execnz .LBB807_273
.LBB807_210:
	s_or_b64 exec, exec, s[24:25]
	s_and_saveexec_b64 s[22:23], s[20:21]
	s_cbranch_execnz .LBB807_274
.LBB807_211:
	s_or_b64 exec, exec, s[22:23]
	s_and_saveexec_b64 s[20:21], s[18:19]
	s_cbranch_execnz .LBB807_275
.LBB807_212:
	s_or_b64 exec, exec, s[20:21]
	s_and_saveexec_b64 s[18:19], s[16:17]
	s_cbranch_execnz .LBB807_276
.LBB807_213:
	s_or_b64 exec, exec, s[18:19]
	s_and_saveexec_b64 s[16:17], s[14:15]
	s_cbranch_execnz .LBB807_277
.LBB807_214:
	s_or_b64 exec, exec, s[16:17]
	s_and_saveexec_b64 s[14:15], s[12:13]
	s_cbranch_execnz .LBB807_278
.LBB807_215:
	s_or_b64 exec, exec, s[14:15]
	s_and_saveexec_b64 s[12:13], s[10:11]
	s_cbranch_execnz .LBB807_279
.LBB807_216:
	s_or_b64 exec, exec, s[12:13]
	s_and_saveexec_b64 s[10:11], s[8:9]
	s_cbranch_execnz .LBB807_280
.LBB807_217:
	s_or_b64 exec, exec, s[10:11]
	s_and_saveexec_b64 s[8:9], s[6:7]
	s_cbranch_execnz .LBB807_281
.LBB807_218:
	s_or_b64 exec, exec, s[8:9]
	s_and_saveexec_b64 s[6:7], s[4:5]
	s_cbranch_execnz .LBB807_282
.LBB807_219:
	s_or_b64 exec, exec, s[6:7]
	s_and_saveexec_b64 s[4:5], s[2:3]
	s_cbranch_execz .LBB807_221
.LBB807_220:
	v_sub_u32_e32 v8, v36, v4
	v_lshlrev_b32_e32 v8, 2, v8
	ds_write_b32 v8, v9
.LBB807_221:
	s_or_b64 exec, exec, s[4:5]
	s_and_b64 s[40:41], s[0:1], exec
                                        ; implicit-def: $vgpr8
                                        ; implicit-def: $vgpr10
                                        ; implicit-def: $vgpr12
                                        ; implicit-def: $vgpr14
                                        ; implicit-def: $vgpr16
                                        ; implicit-def: $vgpr18
                                        ; implicit-def: $vgpr20
	s_andn2_saveexec_b64 s[0:1], s[38:39]
	s_cbranch_execz .LBB807_137
.LBB807_222:
	v_sub_u32_e32 v26, v64, v4
	v_lshlrev_b32_e32 v26, 2, v26
	ds_write_b32 v26, v20
	v_sub_u32_e32 v20, v62, v4
	v_lshlrev_b32_e32 v20, 2, v20
	ds_write_b32 v20, v21
	;; [unrolled: 3-line block ×13, first 2 shown]
	v_sub_u32_e32 v8, v36, v4
	v_lshlrev_b32_e32 v8, 2, v8
	s_or_b64 s[40:41], s[40:41], exec
	ds_write_b32 v8, v9
	s_or_b64 exec, exec, s[0:1]
	s_and_b64 exec, exec, s[40:41]
	s_cbranch_execnz .LBB807_138
	s_branch .LBB807_139
.LBB807_223:
	s_and_saveexec_b64 s[38:39], s[28:29]
	s_cbranch_execnz .LBB807_283
; %bb.224:
	s_or_b64 exec, exec, s[38:39]
	s_and_saveexec_b64 s[38:39], s[26:27]
	s_cbranch_execnz .LBB807_284
.LBB807_225:
	s_or_b64 exec, exec, s[38:39]
	s_and_saveexec_b64 s[38:39], s[24:25]
	s_cbranch_execnz .LBB807_285
.LBB807_226:
	s_or_b64 exec, exec, s[38:39]
	s_and_saveexec_b64 s[38:39], s[22:23]
	s_cbranch_execnz .LBB807_286
.LBB807_227:
	s_or_b64 exec, exec, s[38:39]
	s_and_saveexec_b64 s[38:39], s[20:21]
	s_cbranch_execnz .LBB807_287
.LBB807_228:
	s_or_b64 exec, exec, s[38:39]
	s_and_saveexec_b64 s[38:39], s[18:19]
	s_cbranch_execnz .LBB807_288
.LBB807_229:
	s_or_b64 exec, exec, s[38:39]
	s_and_saveexec_b64 s[38:39], s[16:17]
	s_cbranch_execnz .LBB807_289
.LBB807_230:
	s_or_b64 exec, exec, s[38:39]
	s_and_saveexec_b64 s[38:39], s[14:15]
	s_cbranch_execnz .LBB807_290
.LBB807_231:
	s_or_b64 exec, exec, s[38:39]
	s_and_saveexec_b64 s[38:39], s[12:13]
	s_cbranch_execnz .LBB807_291
.LBB807_232:
	s_or_b64 exec, exec, s[38:39]
	s_and_saveexec_b64 s[38:39], s[10:11]
	s_cbranch_execnz .LBB807_292
.LBB807_233:
	s_or_b64 exec, exec, s[38:39]
	s_and_saveexec_b64 s[38:39], s[8:9]
	s_cbranch_execnz .LBB807_293
.LBB807_234:
	s_or_b64 exec, exec, s[38:39]
	s_and_saveexec_b64 s[38:39], s[6:7]
	s_cbranch_execnz .LBB807_294
.LBB807_235:
	s_or_b64 exec, exec, s[38:39]
	s_and_saveexec_b64 s[38:39], s[4:5]
	s_cbranch_execnz .LBB807_295
.LBB807_236:
	s_or_b64 exec, exec, s[38:39]
	s_and_saveexec_b64 s[38:39], s[2:3]
	s_cbranch_execz .LBB807_238
.LBB807_237:
	v_sub_u32_e32 v16, v36, v9
	v_mov_b32_e32 v17, 0
	v_lshlrev_b64 v[16:17], 2, v[16:17]
	v_add_co_u32_e32 v16, vcc, v13, v16
	v_addc_co_u32_e32 v17, vcc, v14, v17, vcc
	global_store_dword v[16:17], v37, off
.LBB807_238:
	s_or_b64 exec, exec, s[38:39]
	s_and_b64 s[38:39], s[0:1], exec
	s_andn2_saveexec_b64 s[30:31], s[30:31]
	s_cbranch_execz .LBB807_159
.LBB807_239:
	v_sub_u32_e32 v16, v64, v9
	v_mov_b32_e32 v17, 0
	v_lshlrev_b64 v[18:19], 2, v[16:17]
	v_add_co_u32_e32 v18, vcc, v13, v18
	v_addc_co_u32_e32 v19, vcc, v14, v19, vcc
	v_sub_u32_e32 v16, v62, v9
	global_store_dword v[18:19], v65, off
	v_lshlrev_b64 v[18:19], 2, v[16:17]
	v_add_co_u32_e32 v18, vcc, v13, v18
	v_addc_co_u32_e32 v19, vcc, v14, v19, vcc
	v_sub_u32_e32 v16, v60, v9
	global_store_dword v[18:19], v63, off
	;; [unrolled: 5-line block ×12, first 2 shown]
	v_lshlrev_b64 v[18:19], 2, v[16:17]
	v_add_co_u32_e32 v18, vcc, v13, v18
	v_sub_u32_e32 v16, v36, v9
	v_addc_co_u32_e32 v19, vcc, v14, v19, vcc
	v_lshlrev_b64 v[16:17], 2, v[16:17]
	v_add_co_u32_e32 v16, vcc, v13, v16
	v_addc_co_u32_e32 v17, vcc, v14, v17, vcc
	s_or_b64 s[38:39], s[38:39], exec
	global_store_dword v[18:19], v39, off
	global_store_dword v[16:17], v37, off
	s_or_b64 exec, exec, s[30:31]
	s_and_b64 exec, exec, s[38:39]
	s_cbranch_execnz .LBB807_160
	s_branch .LBB807_161
.LBB807_240:
	s_and_saveexec_b64 s[38:39], s[28:29]
	s_cbranch_execnz .LBB807_296
; %bb.241:
	s_or_b64 exec, exec, s[38:39]
	s_and_saveexec_b64 s[28:29], s[26:27]
	s_cbranch_execnz .LBB807_297
.LBB807_242:
	s_or_b64 exec, exec, s[28:29]
	s_and_saveexec_b64 s[26:27], s[24:25]
	s_cbranch_execnz .LBB807_298
.LBB807_243:
	s_or_b64 exec, exec, s[26:27]
	s_and_saveexec_b64 s[24:25], s[22:23]
	s_cbranch_execnz .LBB807_299
.LBB807_244:
	s_or_b64 exec, exec, s[24:25]
	s_and_saveexec_b64 s[22:23], s[20:21]
	s_cbranch_execnz .LBB807_300
.LBB807_245:
	s_or_b64 exec, exec, s[22:23]
	s_and_saveexec_b64 s[20:21], s[18:19]
	s_cbranch_execnz .LBB807_301
.LBB807_246:
	s_or_b64 exec, exec, s[20:21]
	s_and_saveexec_b64 s[18:19], s[16:17]
	s_cbranch_execnz .LBB807_302
.LBB807_247:
	s_or_b64 exec, exec, s[18:19]
	s_and_saveexec_b64 s[16:17], s[14:15]
	s_cbranch_execnz .LBB807_303
.LBB807_248:
	s_or_b64 exec, exec, s[16:17]
	s_and_saveexec_b64 s[14:15], s[12:13]
	s_cbranch_execnz .LBB807_304
.LBB807_249:
	s_or_b64 exec, exec, s[14:15]
	s_and_saveexec_b64 s[12:13], s[10:11]
	s_cbranch_execnz .LBB807_305
.LBB807_250:
	s_or_b64 exec, exec, s[12:13]
	s_and_saveexec_b64 s[10:11], s[8:9]
	s_cbranch_execnz .LBB807_306
.LBB807_251:
	s_or_b64 exec, exec, s[10:11]
	s_and_saveexec_b64 s[8:9], s[6:7]
	s_cbranch_execnz .LBB807_307
.LBB807_252:
	s_or_b64 exec, exec, s[8:9]
	s_and_saveexec_b64 s[6:7], s[4:5]
	s_cbranch_execnz .LBB807_308
.LBB807_253:
	s_or_b64 exec, exec, s[6:7]
	s_and_saveexec_b64 s[4:5], s[2:3]
	s_cbranch_execz .LBB807_255
.LBB807_254:
	v_sub_u32_e32 v10, v36, v9
	v_lshlrev_b32_e32 v10, 2, v10
	ds_write_b32 v10, v37
.LBB807_255:
	s_or_b64 exec, exec, s[4:5]
	s_and_b64 s[38:39], s[0:1], exec
                                        ; implicit-def: $vgpr64_vgpr65
                                        ; implicit-def: $vgpr62_vgpr63
                                        ; implicit-def: $vgpr60_vgpr61
                                        ; implicit-def: $vgpr58_vgpr59
                                        ; implicit-def: $vgpr56_vgpr57
                                        ; implicit-def: $vgpr54_vgpr55
                                        ; implicit-def: $vgpr52_vgpr53
                                        ; implicit-def: $vgpr50_vgpr51
                                        ; implicit-def: $vgpr48_vgpr49
                                        ; implicit-def: $vgpr46_vgpr47
                                        ; implicit-def: $vgpr44_vgpr45
                                        ; implicit-def: $vgpr42_vgpr43
                                        ; implicit-def: $vgpr38_vgpr39
                                        ; implicit-def: $vgpr36_vgpr37
	s_andn2_saveexec_b64 s[0:1], s[36:37]
	s_cbranch_execz .LBB807_166
.LBB807_256:
	v_sub_u32_e32 v10, v64, v9
	v_lshlrev_b32_e32 v10, 2, v10
	ds_write_b32 v10, v65
	v_sub_u32_e32 v10, v62, v9
	v_lshlrev_b32_e32 v10, 2, v10
	ds_write_b32 v10, v63
	v_sub_u32_e32 v10, v60, v9
	v_lshlrev_b32_e32 v10, 2, v10
	ds_write_b32 v10, v61
	v_sub_u32_e32 v10, v58, v9
	v_lshlrev_b32_e32 v10, 2, v10
	ds_write_b32 v10, v59
	v_sub_u32_e32 v10, v56, v9
	v_lshlrev_b32_e32 v10, 2, v10
	ds_write_b32 v10, v57
	v_sub_u32_e32 v10, v54, v9
	v_lshlrev_b32_e32 v10, 2, v10
	ds_write_b32 v10, v55
	v_sub_u32_e32 v10, v52, v9
	v_lshlrev_b32_e32 v10, 2, v10
	ds_write_b32 v10, v53
	v_sub_u32_e32 v10, v50, v9
	v_lshlrev_b32_e32 v10, 2, v10
	ds_write_b32 v10, v51
	v_sub_u32_e32 v10, v48, v9
	v_lshlrev_b32_e32 v10, 2, v10
	ds_write_b32 v10, v49
	v_sub_u32_e32 v10, v46, v9
	v_lshlrev_b32_e32 v10, 2, v10
	ds_write_b32 v10, v47
	v_sub_u32_e32 v10, v44, v9
	v_lshlrev_b32_e32 v10, 2, v10
	ds_write_b32 v10, v45
	v_sub_u32_e32 v10, v42, v9
	v_lshlrev_b32_e32 v10, 2, v10
	ds_write_b32 v10, v43
	v_sub_u32_e32 v10, v38, v9
	v_lshlrev_b32_e32 v10, 2, v10
	ds_write_b32 v10, v39
	v_sub_u32_e32 v10, v36, v9
	v_lshlrev_b32_e32 v10, 2, v10
	s_or_b64 s[38:39], s[38:39], exec
	ds_write_b32 v10, v37
	s_or_b64 exec, exec, s[0:1]
	s_and_b64 exec, exec, s[38:39]
	s_cbranch_execnz .LBB807_167
	s_branch .LBB807_168
.LBB807_257:
	v_sub_u32_e32 v28, v64, v4
	v_mov_b32_e32 v29, 0
	v_lshlrev_b64 v[28:29], 2, v[28:29]
	v_add_co_u32_e32 v28, vcc, v3, v28
	v_addc_co_u32_e32 v29, vcc, v5, v29, vcc
	global_store_dword v[28:29], v20, off
	s_or_b64 exec, exec, s[40:41]
	s_and_saveexec_b64 s[40:41], s[26:27]
	s_cbranch_execz .LBB807_191
.LBB807_258:
	v_sub_u32_e32 v28, v62, v4
	v_mov_b32_e32 v29, 0
	v_lshlrev_b64 v[28:29], 2, v[28:29]
	v_add_co_u32_e32 v28, vcc, v3, v28
	v_addc_co_u32_e32 v29, vcc, v5, v29, vcc
	global_store_dword v[28:29], v21, off
	s_or_b64 exec, exec, s[40:41]
	s_and_saveexec_b64 s[40:41], s[24:25]
	s_cbranch_execz .LBB807_192
.LBB807_259:
	v_sub_u32_e32 v28, v60, v4
	v_mov_b32_e32 v29, 0
	v_lshlrev_b64 v[28:29], 2, v[28:29]
	v_add_co_u32_e32 v28, vcc, v3, v28
	v_addc_co_u32_e32 v29, vcc, v5, v29, vcc
	global_store_dword v[28:29], v18, off
	s_or_b64 exec, exec, s[40:41]
	s_and_saveexec_b64 s[40:41], s[22:23]
	s_cbranch_execz .LBB807_193
.LBB807_260:
	v_sub_u32_e32 v28, v58, v4
	v_mov_b32_e32 v29, 0
	v_lshlrev_b64 v[28:29], 2, v[28:29]
	v_add_co_u32_e32 v28, vcc, v3, v28
	v_addc_co_u32_e32 v29, vcc, v5, v29, vcc
	global_store_dword v[28:29], v19, off
	s_or_b64 exec, exec, s[40:41]
	s_and_saveexec_b64 s[40:41], s[20:21]
	s_cbranch_execz .LBB807_194
.LBB807_261:
	v_sub_u32_e32 v28, v56, v4
	v_mov_b32_e32 v29, 0
	v_lshlrev_b64 v[28:29], 2, v[28:29]
	v_add_co_u32_e32 v28, vcc, v3, v28
	v_addc_co_u32_e32 v29, vcc, v5, v29, vcc
	global_store_dword v[28:29], v16, off
	s_or_b64 exec, exec, s[40:41]
	s_and_saveexec_b64 s[40:41], s[18:19]
	s_cbranch_execz .LBB807_195
.LBB807_262:
	v_sub_u32_e32 v28, v54, v4
	v_mov_b32_e32 v29, 0
	v_lshlrev_b64 v[28:29], 2, v[28:29]
	v_add_co_u32_e32 v28, vcc, v3, v28
	v_addc_co_u32_e32 v29, vcc, v5, v29, vcc
	global_store_dword v[28:29], v17, off
	s_or_b64 exec, exec, s[40:41]
	s_and_saveexec_b64 s[40:41], s[16:17]
	s_cbranch_execz .LBB807_196
.LBB807_263:
	v_sub_u32_e32 v28, v52, v4
	v_mov_b32_e32 v29, 0
	v_lshlrev_b64 v[28:29], 2, v[28:29]
	v_add_co_u32_e32 v28, vcc, v3, v28
	v_addc_co_u32_e32 v29, vcc, v5, v29, vcc
	global_store_dword v[28:29], v14, off
	s_or_b64 exec, exec, s[40:41]
	s_and_saveexec_b64 s[40:41], s[14:15]
	s_cbranch_execz .LBB807_197
.LBB807_264:
	v_sub_u32_e32 v28, v50, v4
	v_mov_b32_e32 v29, 0
	v_lshlrev_b64 v[28:29], 2, v[28:29]
	v_add_co_u32_e32 v28, vcc, v3, v28
	v_addc_co_u32_e32 v29, vcc, v5, v29, vcc
	global_store_dword v[28:29], v15, off
	s_or_b64 exec, exec, s[40:41]
	s_and_saveexec_b64 s[40:41], s[12:13]
	s_cbranch_execz .LBB807_198
.LBB807_265:
	v_sub_u32_e32 v28, v48, v4
	v_mov_b32_e32 v29, 0
	v_lshlrev_b64 v[28:29], 2, v[28:29]
	v_add_co_u32_e32 v28, vcc, v3, v28
	v_addc_co_u32_e32 v29, vcc, v5, v29, vcc
	global_store_dword v[28:29], v12, off
	s_or_b64 exec, exec, s[40:41]
	s_and_saveexec_b64 s[40:41], s[10:11]
	s_cbranch_execz .LBB807_199
.LBB807_266:
	v_sub_u32_e32 v28, v46, v4
	v_mov_b32_e32 v29, 0
	v_lshlrev_b64 v[28:29], 2, v[28:29]
	v_add_co_u32_e32 v28, vcc, v3, v28
	v_addc_co_u32_e32 v29, vcc, v5, v29, vcc
	global_store_dword v[28:29], v13, off
	s_or_b64 exec, exec, s[40:41]
	s_and_saveexec_b64 s[40:41], s[8:9]
	s_cbranch_execz .LBB807_200
.LBB807_267:
	v_sub_u32_e32 v28, v44, v4
	v_mov_b32_e32 v29, 0
	v_lshlrev_b64 v[28:29], 2, v[28:29]
	v_add_co_u32_e32 v28, vcc, v3, v28
	v_addc_co_u32_e32 v29, vcc, v5, v29, vcc
	global_store_dword v[28:29], v10, off
	s_or_b64 exec, exec, s[40:41]
	s_and_saveexec_b64 s[40:41], s[6:7]
	s_cbranch_execz .LBB807_201
.LBB807_268:
	v_sub_u32_e32 v28, v42, v4
	v_mov_b32_e32 v29, 0
	v_lshlrev_b64 v[28:29], 2, v[28:29]
	v_add_co_u32_e32 v28, vcc, v3, v28
	v_addc_co_u32_e32 v29, vcc, v5, v29, vcc
	global_store_dword v[28:29], v11, off
	s_or_b64 exec, exec, s[40:41]
	s_and_saveexec_b64 s[40:41], s[4:5]
	s_cbranch_execz .LBB807_202
.LBB807_269:
	v_sub_u32_e32 v28, v38, v4
	v_mov_b32_e32 v29, 0
	v_lshlrev_b64 v[28:29], 2, v[28:29]
	v_add_co_u32_e32 v28, vcc, v3, v28
	v_addc_co_u32_e32 v29, vcc, v5, v29, vcc
	global_store_dword v[28:29], v8, off
	s_or_b64 exec, exec, s[40:41]
	s_and_saveexec_b64 s[40:41], s[2:3]
	s_cbranch_execnz .LBB807_203
	s_branch .LBB807_204
.LBB807_270:
	v_sub_u32_e32 v26, v64, v4
	v_lshlrev_b32_e32 v26, 2, v26
	ds_write_b32 v26, v20
	s_or_b64 exec, exec, s[40:41]
	s_and_saveexec_b64 s[28:29], s[26:27]
	s_cbranch_execz .LBB807_208
.LBB807_271:
	v_sub_u32_e32 v20, v62, v4
	v_lshlrev_b32_e32 v20, 2, v20
	ds_write_b32 v20, v21
	s_or_b64 exec, exec, s[28:29]
	s_and_saveexec_b64 s[26:27], s[24:25]
	s_cbranch_execz .LBB807_209
.LBB807_272:
	v_sub_u32_e32 v20, v60, v4
	v_lshlrev_b32_e32 v20, 2, v20
	ds_write_b32 v20, v18
	s_or_b64 exec, exec, s[26:27]
	s_and_saveexec_b64 s[24:25], s[22:23]
	s_cbranch_execz .LBB807_210
.LBB807_273:
	v_sub_u32_e32 v18, v58, v4
	v_lshlrev_b32_e32 v18, 2, v18
	ds_write_b32 v18, v19
	s_or_b64 exec, exec, s[24:25]
	s_and_saveexec_b64 s[22:23], s[20:21]
	s_cbranch_execz .LBB807_211
.LBB807_274:
	v_sub_u32_e32 v18, v56, v4
	v_lshlrev_b32_e32 v18, 2, v18
	ds_write_b32 v18, v16
	s_or_b64 exec, exec, s[22:23]
	s_and_saveexec_b64 s[20:21], s[18:19]
	s_cbranch_execz .LBB807_212
.LBB807_275:
	v_sub_u32_e32 v16, v54, v4
	v_lshlrev_b32_e32 v16, 2, v16
	ds_write_b32 v16, v17
	s_or_b64 exec, exec, s[20:21]
	s_and_saveexec_b64 s[18:19], s[16:17]
	s_cbranch_execz .LBB807_213
.LBB807_276:
	v_sub_u32_e32 v16, v52, v4
	v_lshlrev_b32_e32 v16, 2, v16
	ds_write_b32 v16, v14
	s_or_b64 exec, exec, s[18:19]
	s_and_saveexec_b64 s[16:17], s[14:15]
	s_cbranch_execz .LBB807_214
.LBB807_277:
	v_sub_u32_e32 v14, v50, v4
	v_lshlrev_b32_e32 v14, 2, v14
	ds_write_b32 v14, v15
	s_or_b64 exec, exec, s[16:17]
	s_and_saveexec_b64 s[14:15], s[12:13]
	s_cbranch_execz .LBB807_215
.LBB807_278:
	v_sub_u32_e32 v14, v48, v4
	v_lshlrev_b32_e32 v14, 2, v14
	ds_write_b32 v14, v12
	s_or_b64 exec, exec, s[14:15]
	s_and_saveexec_b64 s[12:13], s[10:11]
	s_cbranch_execz .LBB807_216
.LBB807_279:
	v_sub_u32_e32 v12, v46, v4
	v_lshlrev_b32_e32 v12, 2, v12
	ds_write_b32 v12, v13
	s_or_b64 exec, exec, s[12:13]
	s_and_saveexec_b64 s[10:11], s[8:9]
	s_cbranch_execz .LBB807_217
.LBB807_280:
	v_sub_u32_e32 v12, v44, v4
	v_lshlrev_b32_e32 v12, 2, v12
	ds_write_b32 v12, v10
	s_or_b64 exec, exec, s[10:11]
	s_and_saveexec_b64 s[8:9], s[6:7]
	s_cbranch_execz .LBB807_218
.LBB807_281:
	v_sub_u32_e32 v10, v42, v4
	v_lshlrev_b32_e32 v10, 2, v10
	ds_write_b32 v10, v11
	s_or_b64 exec, exec, s[8:9]
	s_and_saveexec_b64 s[6:7], s[4:5]
	s_cbranch_execz .LBB807_219
.LBB807_282:
	v_sub_u32_e32 v10, v38, v4
	v_lshlrev_b32_e32 v10, 2, v10
	ds_write_b32 v10, v8
	s_or_b64 exec, exec, s[6:7]
	s_and_saveexec_b64 s[4:5], s[2:3]
	s_cbranch_execnz .LBB807_220
	s_branch .LBB807_221
.LBB807_283:
	v_sub_u32_e32 v16, v64, v9
	v_mov_b32_e32 v17, 0
	v_lshlrev_b64 v[16:17], 2, v[16:17]
	v_add_co_u32_e32 v16, vcc, v13, v16
	v_addc_co_u32_e32 v17, vcc, v14, v17, vcc
	global_store_dword v[16:17], v65, off
	s_or_b64 exec, exec, s[38:39]
	s_and_saveexec_b64 s[38:39], s[26:27]
	s_cbranch_execz .LBB807_225
.LBB807_284:
	v_sub_u32_e32 v16, v62, v9
	v_mov_b32_e32 v17, 0
	v_lshlrev_b64 v[16:17], 2, v[16:17]
	v_add_co_u32_e32 v16, vcc, v13, v16
	v_addc_co_u32_e32 v17, vcc, v14, v17, vcc
	global_store_dword v[16:17], v63, off
	s_or_b64 exec, exec, s[38:39]
	s_and_saveexec_b64 s[38:39], s[24:25]
	s_cbranch_execz .LBB807_226
.LBB807_285:
	v_sub_u32_e32 v16, v60, v9
	v_mov_b32_e32 v17, 0
	v_lshlrev_b64 v[16:17], 2, v[16:17]
	v_add_co_u32_e32 v16, vcc, v13, v16
	v_addc_co_u32_e32 v17, vcc, v14, v17, vcc
	global_store_dword v[16:17], v61, off
	s_or_b64 exec, exec, s[38:39]
	s_and_saveexec_b64 s[38:39], s[22:23]
	s_cbranch_execz .LBB807_227
.LBB807_286:
	v_sub_u32_e32 v16, v58, v9
	v_mov_b32_e32 v17, 0
	v_lshlrev_b64 v[16:17], 2, v[16:17]
	v_add_co_u32_e32 v16, vcc, v13, v16
	v_addc_co_u32_e32 v17, vcc, v14, v17, vcc
	global_store_dword v[16:17], v59, off
	s_or_b64 exec, exec, s[38:39]
	s_and_saveexec_b64 s[38:39], s[20:21]
	s_cbranch_execz .LBB807_228
.LBB807_287:
	v_sub_u32_e32 v16, v56, v9
	v_mov_b32_e32 v17, 0
	v_lshlrev_b64 v[16:17], 2, v[16:17]
	v_add_co_u32_e32 v16, vcc, v13, v16
	v_addc_co_u32_e32 v17, vcc, v14, v17, vcc
	global_store_dword v[16:17], v57, off
	s_or_b64 exec, exec, s[38:39]
	s_and_saveexec_b64 s[38:39], s[18:19]
	s_cbranch_execz .LBB807_229
.LBB807_288:
	v_sub_u32_e32 v16, v54, v9
	v_mov_b32_e32 v17, 0
	v_lshlrev_b64 v[16:17], 2, v[16:17]
	v_add_co_u32_e32 v16, vcc, v13, v16
	v_addc_co_u32_e32 v17, vcc, v14, v17, vcc
	global_store_dword v[16:17], v55, off
	s_or_b64 exec, exec, s[38:39]
	s_and_saveexec_b64 s[38:39], s[16:17]
	s_cbranch_execz .LBB807_230
.LBB807_289:
	v_sub_u32_e32 v16, v52, v9
	v_mov_b32_e32 v17, 0
	v_lshlrev_b64 v[16:17], 2, v[16:17]
	v_add_co_u32_e32 v16, vcc, v13, v16
	v_addc_co_u32_e32 v17, vcc, v14, v17, vcc
	global_store_dword v[16:17], v53, off
	s_or_b64 exec, exec, s[38:39]
	s_and_saveexec_b64 s[38:39], s[14:15]
	s_cbranch_execz .LBB807_231
.LBB807_290:
	v_sub_u32_e32 v16, v50, v9
	v_mov_b32_e32 v17, 0
	v_lshlrev_b64 v[16:17], 2, v[16:17]
	v_add_co_u32_e32 v16, vcc, v13, v16
	v_addc_co_u32_e32 v17, vcc, v14, v17, vcc
	global_store_dword v[16:17], v51, off
	s_or_b64 exec, exec, s[38:39]
	s_and_saveexec_b64 s[38:39], s[12:13]
	s_cbranch_execz .LBB807_232
.LBB807_291:
	v_sub_u32_e32 v16, v48, v9
	v_mov_b32_e32 v17, 0
	v_lshlrev_b64 v[16:17], 2, v[16:17]
	v_add_co_u32_e32 v16, vcc, v13, v16
	v_addc_co_u32_e32 v17, vcc, v14, v17, vcc
	global_store_dword v[16:17], v49, off
	s_or_b64 exec, exec, s[38:39]
	s_and_saveexec_b64 s[38:39], s[10:11]
	s_cbranch_execz .LBB807_233
.LBB807_292:
	v_sub_u32_e32 v16, v46, v9
	v_mov_b32_e32 v17, 0
	v_lshlrev_b64 v[16:17], 2, v[16:17]
	v_add_co_u32_e32 v16, vcc, v13, v16
	v_addc_co_u32_e32 v17, vcc, v14, v17, vcc
	global_store_dword v[16:17], v47, off
	s_or_b64 exec, exec, s[38:39]
	s_and_saveexec_b64 s[38:39], s[8:9]
	s_cbranch_execz .LBB807_234
.LBB807_293:
	v_sub_u32_e32 v16, v44, v9
	v_mov_b32_e32 v17, 0
	v_lshlrev_b64 v[16:17], 2, v[16:17]
	v_add_co_u32_e32 v16, vcc, v13, v16
	v_addc_co_u32_e32 v17, vcc, v14, v17, vcc
	global_store_dword v[16:17], v45, off
	s_or_b64 exec, exec, s[38:39]
	s_and_saveexec_b64 s[38:39], s[6:7]
	s_cbranch_execz .LBB807_235
.LBB807_294:
	v_sub_u32_e32 v16, v42, v9
	v_mov_b32_e32 v17, 0
	v_lshlrev_b64 v[16:17], 2, v[16:17]
	v_add_co_u32_e32 v16, vcc, v13, v16
	v_addc_co_u32_e32 v17, vcc, v14, v17, vcc
	global_store_dword v[16:17], v43, off
	s_or_b64 exec, exec, s[38:39]
	s_and_saveexec_b64 s[38:39], s[4:5]
	s_cbranch_execz .LBB807_236
.LBB807_295:
	v_sub_u32_e32 v16, v38, v9
	v_mov_b32_e32 v17, 0
	v_lshlrev_b64 v[16:17], 2, v[16:17]
	v_add_co_u32_e32 v16, vcc, v13, v16
	v_addc_co_u32_e32 v17, vcc, v14, v17, vcc
	global_store_dword v[16:17], v39, off
	s_or_b64 exec, exec, s[38:39]
	s_and_saveexec_b64 s[38:39], s[2:3]
	s_cbranch_execnz .LBB807_237
	s_branch .LBB807_238
.LBB807_296:
	v_sub_u32_e32 v10, v64, v9
	v_lshlrev_b32_e32 v10, 2, v10
	ds_write_b32 v10, v65
	s_or_b64 exec, exec, s[38:39]
	s_and_saveexec_b64 s[28:29], s[26:27]
	s_cbranch_execz .LBB807_242
.LBB807_297:
	v_sub_u32_e32 v10, v62, v9
	v_lshlrev_b32_e32 v10, 2, v10
	ds_write_b32 v10, v63
	s_or_b64 exec, exec, s[28:29]
	s_and_saveexec_b64 s[26:27], s[24:25]
	s_cbranch_execz .LBB807_243
.LBB807_298:
	v_sub_u32_e32 v10, v60, v9
	v_lshlrev_b32_e32 v10, 2, v10
	ds_write_b32 v10, v61
	s_or_b64 exec, exec, s[26:27]
	s_and_saveexec_b64 s[24:25], s[22:23]
	s_cbranch_execz .LBB807_244
.LBB807_299:
	v_sub_u32_e32 v10, v58, v9
	v_lshlrev_b32_e32 v10, 2, v10
	ds_write_b32 v10, v59
	s_or_b64 exec, exec, s[24:25]
	s_and_saveexec_b64 s[22:23], s[20:21]
	s_cbranch_execz .LBB807_245
.LBB807_300:
	v_sub_u32_e32 v10, v56, v9
	v_lshlrev_b32_e32 v10, 2, v10
	ds_write_b32 v10, v57
	s_or_b64 exec, exec, s[22:23]
	s_and_saveexec_b64 s[20:21], s[18:19]
	s_cbranch_execz .LBB807_246
.LBB807_301:
	v_sub_u32_e32 v10, v54, v9
	v_lshlrev_b32_e32 v10, 2, v10
	ds_write_b32 v10, v55
	s_or_b64 exec, exec, s[20:21]
	s_and_saveexec_b64 s[18:19], s[16:17]
	s_cbranch_execz .LBB807_247
.LBB807_302:
	v_sub_u32_e32 v10, v52, v9
	v_lshlrev_b32_e32 v10, 2, v10
	ds_write_b32 v10, v53
	s_or_b64 exec, exec, s[18:19]
	s_and_saveexec_b64 s[16:17], s[14:15]
	s_cbranch_execz .LBB807_248
.LBB807_303:
	v_sub_u32_e32 v10, v50, v9
	v_lshlrev_b32_e32 v10, 2, v10
	ds_write_b32 v10, v51
	s_or_b64 exec, exec, s[16:17]
	s_and_saveexec_b64 s[14:15], s[12:13]
	s_cbranch_execz .LBB807_249
.LBB807_304:
	v_sub_u32_e32 v10, v48, v9
	v_lshlrev_b32_e32 v10, 2, v10
	ds_write_b32 v10, v49
	s_or_b64 exec, exec, s[14:15]
	s_and_saveexec_b64 s[12:13], s[10:11]
	s_cbranch_execz .LBB807_250
.LBB807_305:
	v_sub_u32_e32 v10, v46, v9
	v_lshlrev_b32_e32 v10, 2, v10
	ds_write_b32 v10, v47
	s_or_b64 exec, exec, s[12:13]
	s_and_saveexec_b64 s[10:11], s[8:9]
	s_cbranch_execz .LBB807_251
.LBB807_306:
	v_sub_u32_e32 v10, v44, v9
	v_lshlrev_b32_e32 v10, 2, v10
	ds_write_b32 v10, v45
	s_or_b64 exec, exec, s[10:11]
	s_and_saveexec_b64 s[8:9], s[6:7]
	s_cbranch_execz .LBB807_252
.LBB807_307:
	v_sub_u32_e32 v10, v42, v9
	v_lshlrev_b32_e32 v10, 2, v10
	ds_write_b32 v10, v43
	s_or_b64 exec, exec, s[8:9]
	s_and_saveexec_b64 s[6:7], s[4:5]
	s_cbranch_execz .LBB807_253
.LBB807_308:
	v_sub_u32_e32 v10, v38, v9
	v_lshlrev_b32_e32 v10, 2, v10
	ds_write_b32 v10, v39
	s_or_b64 exec, exec, s[6:7]
	s_and_saveexec_b64 s[4:5], s[2:3]
	s_cbranch_execnz .LBB807_254
	s_branch .LBB807_255
	.section	.rodata,"a",@progbits
	.p2align	6, 0x0
	.amdhsa_kernel _ZN7rocprim17ROCPRIM_400000_NS6detail17trampoline_kernelINS0_14default_configENS1_29reduce_by_key_config_selectorIijN6thrust23THRUST_200600_302600_NS4plusIjEEEEZZNS1_33reduce_by_key_impl_wrapped_configILNS1_25lookback_scan_determinismE0ES3_S9_NS6_6detail15normal_iteratorINS6_10device_ptrIiEEEENSD_INSE_IjEEEESG_SI_PmS8_NS6_8equal_toIiEEEE10hipError_tPvRmT2_T3_mT4_T5_T6_T7_T8_P12ihipStream_tbENKUlT_T0_E_clISt17integral_constantIbLb0EES13_EEDaSY_SZ_EUlSY_E_NS1_11comp_targetILNS1_3genE4ELNS1_11target_archE910ELNS1_3gpuE8ELNS1_3repE0EEENS1_30default_config_static_selectorELNS0_4arch9wavefront6targetE1EEEvT1_
		.amdhsa_group_segment_fixed_size 15360
		.amdhsa_private_segment_fixed_size 0
		.amdhsa_kernarg_size 120
		.amdhsa_user_sgpr_count 6
		.amdhsa_user_sgpr_private_segment_buffer 1
		.amdhsa_user_sgpr_dispatch_ptr 0
		.amdhsa_user_sgpr_queue_ptr 0
		.amdhsa_user_sgpr_kernarg_segment_ptr 1
		.amdhsa_user_sgpr_dispatch_id 0
		.amdhsa_user_sgpr_flat_scratch_init 0
		.amdhsa_user_sgpr_kernarg_preload_length 0
		.amdhsa_user_sgpr_kernarg_preload_offset 0
		.amdhsa_user_sgpr_private_segment_size 0
		.amdhsa_uses_dynamic_stack 0
		.amdhsa_system_sgpr_private_segment_wavefront_offset 0
		.amdhsa_system_sgpr_workgroup_id_x 1
		.amdhsa_system_sgpr_workgroup_id_y 0
		.amdhsa_system_sgpr_workgroup_id_z 0
		.amdhsa_system_sgpr_workgroup_info 0
		.amdhsa_system_vgpr_workitem_id 0
		.amdhsa_next_free_vgpr 106
		.amdhsa_next_free_sgpr 64
		.amdhsa_accum_offset 108
		.amdhsa_reserve_vcc 1
		.amdhsa_reserve_flat_scratch 0
		.amdhsa_float_round_mode_32 0
		.amdhsa_float_round_mode_16_64 0
		.amdhsa_float_denorm_mode_32 3
		.amdhsa_float_denorm_mode_16_64 3
		.amdhsa_dx10_clamp 1
		.amdhsa_ieee_mode 1
		.amdhsa_fp16_overflow 0
		.amdhsa_tg_split 0
		.amdhsa_exception_fp_ieee_invalid_op 0
		.amdhsa_exception_fp_denorm_src 0
		.amdhsa_exception_fp_ieee_div_zero 0
		.amdhsa_exception_fp_ieee_overflow 0
		.amdhsa_exception_fp_ieee_underflow 0
		.amdhsa_exception_fp_ieee_inexact 0
		.amdhsa_exception_int_div_zero 0
	.end_amdhsa_kernel
	.section	.text._ZN7rocprim17ROCPRIM_400000_NS6detail17trampoline_kernelINS0_14default_configENS1_29reduce_by_key_config_selectorIijN6thrust23THRUST_200600_302600_NS4plusIjEEEEZZNS1_33reduce_by_key_impl_wrapped_configILNS1_25lookback_scan_determinismE0ES3_S9_NS6_6detail15normal_iteratorINS6_10device_ptrIiEEEENSD_INSE_IjEEEESG_SI_PmS8_NS6_8equal_toIiEEEE10hipError_tPvRmT2_T3_mT4_T5_T6_T7_T8_P12ihipStream_tbENKUlT_T0_E_clISt17integral_constantIbLb0EES13_EEDaSY_SZ_EUlSY_E_NS1_11comp_targetILNS1_3genE4ELNS1_11target_archE910ELNS1_3gpuE8ELNS1_3repE0EEENS1_30default_config_static_selectorELNS0_4arch9wavefront6targetE1EEEvT1_,"axG",@progbits,_ZN7rocprim17ROCPRIM_400000_NS6detail17trampoline_kernelINS0_14default_configENS1_29reduce_by_key_config_selectorIijN6thrust23THRUST_200600_302600_NS4plusIjEEEEZZNS1_33reduce_by_key_impl_wrapped_configILNS1_25lookback_scan_determinismE0ES3_S9_NS6_6detail15normal_iteratorINS6_10device_ptrIiEEEENSD_INSE_IjEEEESG_SI_PmS8_NS6_8equal_toIiEEEE10hipError_tPvRmT2_T3_mT4_T5_T6_T7_T8_P12ihipStream_tbENKUlT_T0_E_clISt17integral_constantIbLb0EES13_EEDaSY_SZ_EUlSY_E_NS1_11comp_targetILNS1_3genE4ELNS1_11target_archE910ELNS1_3gpuE8ELNS1_3repE0EEENS1_30default_config_static_selectorELNS0_4arch9wavefront6targetE1EEEvT1_,comdat
.Lfunc_end807:
	.size	_ZN7rocprim17ROCPRIM_400000_NS6detail17trampoline_kernelINS0_14default_configENS1_29reduce_by_key_config_selectorIijN6thrust23THRUST_200600_302600_NS4plusIjEEEEZZNS1_33reduce_by_key_impl_wrapped_configILNS1_25lookback_scan_determinismE0ES3_S9_NS6_6detail15normal_iteratorINS6_10device_ptrIiEEEENSD_INSE_IjEEEESG_SI_PmS8_NS6_8equal_toIiEEEE10hipError_tPvRmT2_T3_mT4_T5_T6_T7_T8_P12ihipStream_tbENKUlT_T0_E_clISt17integral_constantIbLb0EES13_EEDaSY_SZ_EUlSY_E_NS1_11comp_targetILNS1_3genE4ELNS1_11target_archE910ELNS1_3gpuE8ELNS1_3repE0EEENS1_30default_config_static_selectorELNS0_4arch9wavefront6targetE1EEEvT1_, .Lfunc_end807-_ZN7rocprim17ROCPRIM_400000_NS6detail17trampoline_kernelINS0_14default_configENS1_29reduce_by_key_config_selectorIijN6thrust23THRUST_200600_302600_NS4plusIjEEEEZZNS1_33reduce_by_key_impl_wrapped_configILNS1_25lookback_scan_determinismE0ES3_S9_NS6_6detail15normal_iteratorINS6_10device_ptrIiEEEENSD_INSE_IjEEEESG_SI_PmS8_NS6_8equal_toIiEEEE10hipError_tPvRmT2_T3_mT4_T5_T6_T7_T8_P12ihipStream_tbENKUlT_T0_E_clISt17integral_constantIbLb0EES13_EEDaSY_SZ_EUlSY_E_NS1_11comp_targetILNS1_3genE4ELNS1_11target_archE910ELNS1_3gpuE8ELNS1_3repE0EEENS1_30default_config_static_selectorELNS0_4arch9wavefront6targetE1EEEvT1_
                                        ; -- End function
	.section	.AMDGPU.csdata,"",@progbits
; Kernel info:
; codeLenInByte = 17140
; NumSgprs: 68
; NumVgprs: 106
; NumAgprs: 0
; TotalNumVgprs: 106
; ScratchSize: 0
; MemoryBound: 0
; FloatMode: 240
; IeeeMode: 1
; LDSByteSize: 15360 bytes/workgroup (compile time only)
; SGPRBlocks: 8
; VGPRBlocks: 13
; NumSGPRsForWavesPerEU: 68
; NumVGPRsForWavesPerEU: 106
; AccumOffset: 108
; Occupancy: 4
; WaveLimiterHint : 1
; COMPUTE_PGM_RSRC2:SCRATCH_EN: 0
; COMPUTE_PGM_RSRC2:USER_SGPR: 6
; COMPUTE_PGM_RSRC2:TRAP_HANDLER: 0
; COMPUTE_PGM_RSRC2:TGID_X_EN: 1
; COMPUTE_PGM_RSRC2:TGID_Y_EN: 0
; COMPUTE_PGM_RSRC2:TGID_Z_EN: 0
; COMPUTE_PGM_RSRC2:TIDIG_COMP_CNT: 0
; COMPUTE_PGM_RSRC3_GFX90A:ACCUM_OFFSET: 26
; COMPUTE_PGM_RSRC3_GFX90A:TG_SPLIT: 0
	.section	.text._ZN7rocprim17ROCPRIM_400000_NS6detail17trampoline_kernelINS0_14default_configENS1_29reduce_by_key_config_selectorIijN6thrust23THRUST_200600_302600_NS4plusIjEEEEZZNS1_33reduce_by_key_impl_wrapped_configILNS1_25lookback_scan_determinismE0ES3_S9_NS6_6detail15normal_iteratorINS6_10device_ptrIiEEEENSD_INSE_IjEEEESG_SI_PmS8_NS6_8equal_toIiEEEE10hipError_tPvRmT2_T3_mT4_T5_T6_T7_T8_P12ihipStream_tbENKUlT_T0_E_clISt17integral_constantIbLb0EES13_EEDaSY_SZ_EUlSY_E_NS1_11comp_targetILNS1_3genE3ELNS1_11target_archE908ELNS1_3gpuE7ELNS1_3repE0EEENS1_30default_config_static_selectorELNS0_4arch9wavefront6targetE1EEEvT1_,"axG",@progbits,_ZN7rocprim17ROCPRIM_400000_NS6detail17trampoline_kernelINS0_14default_configENS1_29reduce_by_key_config_selectorIijN6thrust23THRUST_200600_302600_NS4plusIjEEEEZZNS1_33reduce_by_key_impl_wrapped_configILNS1_25lookback_scan_determinismE0ES3_S9_NS6_6detail15normal_iteratorINS6_10device_ptrIiEEEENSD_INSE_IjEEEESG_SI_PmS8_NS6_8equal_toIiEEEE10hipError_tPvRmT2_T3_mT4_T5_T6_T7_T8_P12ihipStream_tbENKUlT_T0_E_clISt17integral_constantIbLb0EES13_EEDaSY_SZ_EUlSY_E_NS1_11comp_targetILNS1_3genE3ELNS1_11target_archE908ELNS1_3gpuE7ELNS1_3repE0EEENS1_30default_config_static_selectorELNS0_4arch9wavefront6targetE1EEEvT1_,comdat
	.protected	_ZN7rocprim17ROCPRIM_400000_NS6detail17trampoline_kernelINS0_14default_configENS1_29reduce_by_key_config_selectorIijN6thrust23THRUST_200600_302600_NS4plusIjEEEEZZNS1_33reduce_by_key_impl_wrapped_configILNS1_25lookback_scan_determinismE0ES3_S9_NS6_6detail15normal_iteratorINS6_10device_ptrIiEEEENSD_INSE_IjEEEESG_SI_PmS8_NS6_8equal_toIiEEEE10hipError_tPvRmT2_T3_mT4_T5_T6_T7_T8_P12ihipStream_tbENKUlT_T0_E_clISt17integral_constantIbLb0EES13_EEDaSY_SZ_EUlSY_E_NS1_11comp_targetILNS1_3genE3ELNS1_11target_archE908ELNS1_3gpuE7ELNS1_3repE0EEENS1_30default_config_static_selectorELNS0_4arch9wavefront6targetE1EEEvT1_ ; -- Begin function _ZN7rocprim17ROCPRIM_400000_NS6detail17trampoline_kernelINS0_14default_configENS1_29reduce_by_key_config_selectorIijN6thrust23THRUST_200600_302600_NS4plusIjEEEEZZNS1_33reduce_by_key_impl_wrapped_configILNS1_25lookback_scan_determinismE0ES3_S9_NS6_6detail15normal_iteratorINS6_10device_ptrIiEEEENSD_INSE_IjEEEESG_SI_PmS8_NS6_8equal_toIiEEEE10hipError_tPvRmT2_T3_mT4_T5_T6_T7_T8_P12ihipStream_tbENKUlT_T0_E_clISt17integral_constantIbLb0EES13_EEDaSY_SZ_EUlSY_E_NS1_11comp_targetILNS1_3genE3ELNS1_11target_archE908ELNS1_3gpuE7ELNS1_3repE0EEENS1_30default_config_static_selectorELNS0_4arch9wavefront6targetE1EEEvT1_
	.globl	_ZN7rocprim17ROCPRIM_400000_NS6detail17trampoline_kernelINS0_14default_configENS1_29reduce_by_key_config_selectorIijN6thrust23THRUST_200600_302600_NS4plusIjEEEEZZNS1_33reduce_by_key_impl_wrapped_configILNS1_25lookback_scan_determinismE0ES3_S9_NS6_6detail15normal_iteratorINS6_10device_ptrIiEEEENSD_INSE_IjEEEESG_SI_PmS8_NS6_8equal_toIiEEEE10hipError_tPvRmT2_T3_mT4_T5_T6_T7_T8_P12ihipStream_tbENKUlT_T0_E_clISt17integral_constantIbLb0EES13_EEDaSY_SZ_EUlSY_E_NS1_11comp_targetILNS1_3genE3ELNS1_11target_archE908ELNS1_3gpuE7ELNS1_3repE0EEENS1_30default_config_static_selectorELNS0_4arch9wavefront6targetE1EEEvT1_
	.p2align	8
	.type	_ZN7rocprim17ROCPRIM_400000_NS6detail17trampoline_kernelINS0_14default_configENS1_29reduce_by_key_config_selectorIijN6thrust23THRUST_200600_302600_NS4plusIjEEEEZZNS1_33reduce_by_key_impl_wrapped_configILNS1_25lookback_scan_determinismE0ES3_S9_NS6_6detail15normal_iteratorINS6_10device_ptrIiEEEENSD_INSE_IjEEEESG_SI_PmS8_NS6_8equal_toIiEEEE10hipError_tPvRmT2_T3_mT4_T5_T6_T7_T8_P12ihipStream_tbENKUlT_T0_E_clISt17integral_constantIbLb0EES13_EEDaSY_SZ_EUlSY_E_NS1_11comp_targetILNS1_3genE3ELNS1_11target_archE908ELNS1_3gpuE7ELNS1_3repE0EEENS1_30default_config_static_selectorELNS0_4arch9wavefront6targetE1EEEvT1_,@function
_ZN7rocprim17ROCPRIM_400000_NS6detail17trampoline_kernelINS0_14default_configENS1_29reduce_by_key_config_selectorIijN6thrust23THRUST_200600_302600_NS4plusIjEEEEZZNS1_33reduce_by_key_impl_wrapped_configILNS1_25lookback_scan_determinismE0ES3_S9_NS6_6detail15normal_iteratorINS6_10device_ptrIiEEEENSD_INSE_IjEEEESG_SI_PmS8_NS6_8equal_toIiEEEE10hipError_tPvRmT2_T3_mT4_T5_T6_T7_T8_P12ihipStream_tbENKUlT_T0_E_clISt17integral_constantIbLb0EES13_EEDaSY_SZ_EUlSY_E_NS1_11comp_targetILNS1_3genE3ELNS1_11target_archE908ELNS1_3gpuE7ELNS1_3repE0EEENS1_30default_config_static_selectorELNS0_4arch9wavefront6targetE1EEEvT1_: ; @_ZN7rocprim17ROCPRIM_400000_NS6detail17trampoline_kernelINS0_14default_configENS1_29reduce_by_key_config_selectorIijN6thrust23THRUST_200600_302600_NS4plusIjEEEEZZNS1_33reduce_by_key_impl_wrapped_configILNS1_25lookback_scan_determinismE0ES3_S9_NS6_6detail15normal_iteratorINS6_10device_ptrIiEEEENSD_INSE_IjEEEESG_SI_PmS8_NS6_8equal_toIiEEEE10hipError_tPvRmT2_T3_mT4_T5_T6_T7_T8_P12ihipStream_tbENKUlT_T0_E_clISt17integral_constantIbLb0EES13_EEDaSY_SZ_EUlSY_E_NS1_11comp_targetILNS1_3genE3ELNS1_11target_archE908ELNS1_3gpuE7ELNS1_3repE0EEENS1_30default_config_static_selectorELNS0_4arch9wavefront6targetE1EEEvT1_
; %bb.0:
	.section	.rodata,"a",@progbits
	.p2align	6, 0x0
	.amdhsa_kernel _ZN7rocprim17ROCPRIM_400000_NS6detail17trampoline_kernelINS0_14default_configENS1_29reduce_by_key_config_selectorIijN6thrust23THRUST_200600_302600_NS4plusIjEEEEZZNS1_33reduce_by_key_impl_wrapped_configILNS1_25lookback_scan_determinismE0ES3_S9_NS6_6detail15normal_iteratorINS6_10device_ptrIiEEEENSD_INSE_IjEEEESG_SI_PmS8_NS6_8equal_toIiEEEE10hipError_tPvRmT2_T3_mT4_T5_T6_T7_T8_P12ihipStream_tbENKUlT_T0_E_clISt17integral_constantIbLb0EES13_EEDaSY_SZ_EUlSY_E_NS1_11comp_targetILNS1_3genE3ELNS1_11target_archE908ELNS1_3gpuE7ELNS1_3repE0EEENS1_30default_config_static_selectorELNS0_4arch9wavefront6targetE1EEEvT1_
		.amdhsa_group_segment_fixed_size 0
		.amdhsa_private_segment_fixed_size 0
		.amdhsa_kernarg_size 120
		.amdhsa_user_sgpr_count 6
		.amdhsa_user_sgpr_private_segment_buffer 1
		.amdhsa_user_sgpr_dispatch_ptr 0
		.amdhsa_user_sgpr_queue_ptr 0
		.amdhsa_user_sgpr_kernarg_segment_ptr 1
		.amdhsa_user_sgpr_dispatch_id 0
		.amdhsa_user_sgpr_flat_scratch_init 0
		.amdhsa_user_sgpr_kernarg_preload_length 0
		.amdhsa_user_sgpr_kernarg_preload_offset 0
		.amdhsa_user_sgpr_private_segment_size 0
		.amdhsa_uses_dynamic_stack 0
		.amdhsa_system_sgpr_private_segment_wavefront_offset 0
		.amdhsa_system_sgpr_workgroup_id_x 1
		.amdhsa_system_sgpr_workgroup_id_y 0
		.amdhsa_system_sgpr_workgroup_id_z 0
		.amdhsa_system_sgpr_workgroup_info 0
		.amdhsa_system_vgpr_workitem_id 0
		.amdhsa_next_free_vgpr 1
		.amdhsa_next_free_sgpr 0
		.amdhsa_accum_offset 4
		.amdhsa_reserve_vcc 0
		.amdhsa_reserve_flat_scratch 0
		.amdhsa_float_round_mode_32 0
		.amdhsa_float_round_mode_16_64 0
		.amdhsa_float_denorm_mode_32 3
		.amdhsa_float_denorm_mode_16_64 3
		.amdhsa_dx10_clamp 1
		.amdhsa_ieee_mode 1
		.amdhsa_fp16_overflow 0
		.amdhsa_tg_split 0
		.amdhsa_exception_fp_ieee_invalid_op 0
		.amdhsa_exception_fp_denorm_src 0
		.amdhsa_exception_fp_ieee_div_zero 0
		.amdhsa_exception_fp_ieee_overflow 0
		.amdhsa_exception_fp_ieee_underflow 0
		.amdhsa_exception_fp_ieee_inexact 0
		.amdhsa_exception_int_div_zero 0
	.end_amdhsa_kernel
	.section	.text._ZN7rocprim17ROCPRIM_400000_NS6detail17trampoline_kernelINS0_14default_configENS1_29reduce_by_key_config_selectorIijN6thrust23THRUST_200600_302600_NS4plusIjEEEEZZNS1_33reduce_by_key_impl_wrapped_configILNS1_25lookback_scan_determinismE0ES3_S9_NS6_6detail15normal_iteratorINS6_10device_ptrIiEEEENSD_INSE_IjEEEESG_SI_PmS8_NS6_8equal_toIiEEEE10hipError_tPvRmT2_T3_mT4_T5_T6_T7_T8_P12ihipStream_tbENKUlT_T0_E_clISt17integral_constantIbLb0EES13_EEDaSY_SZ_EUlSY_E_NS1_11comp_targetILNS1_3genE3ELNS1_11target_archE908ELNS1_3gpuE7ELNS1_3repE0EEENS1_30default_config_static_selectorELNS0_4arch9wavefront6targetE1EEEvT1_,"axG",@progbits,_ZN7rocprim17ROCPRIM_400000_NS6detail17trampoline_kernelINS0_14default_configENS1_29reduce_by_key_config_selectorIijN6thrust23THRUST_200600_302600_NS4plusIjEEEEZZNS1_33reduce_by_key_impl_wrapped_configILNS1_25lookback_scan_determinismE0ES3_S9_NS6_6detail15normal_iteratorINS6_10device_ptrIiEEEENSD_INSE_IjEEEESG_SI_PmS8_NS6_8equal_toIiEEEE10hipError_tPvRmT2_T3_mT4_T5_T6_T7_T8_P12ihipStream_tbENKUlT_T0_E_clISt17integral_constantIbLb0EES13_EEDaSY_SZ_EUlSY_E_NS1_11comp_targetILNS1_3genE3ELNS1_11target_archE908ELNS1_3gpuE7ELNS1_3repE0EEENS1_30default_config_static_selectorELNS0_4arch9wavefront6targetE1EEEvT1_,comdat
.Lfunc_end808:
	.size	_ZN7rocprim17ROCPRIM_400000_NS6detail17trampoline_kernelINS0_14default_configENS1_29reduce_by_key_config_selectorIijN6thrust23THRUST_200600_302600_NS4plusIjEEEEZZNS1_33reduce_by_key_impl_wrapped_configILNS1_25lookback_scan_determinismE0ES3_S9_NS6_6detail15normal_iteratorINS6_10device_ptrIiEEEENSD_INSE_IjEEEESG_SI_PmS8_NS6_8equal_toIiEEEE10hipError_tPvRmT2_T3_mT4_T5_T6_T7_T8_P12ihipStream_tbENKUlT_T0_E_clISt17integral_constantIbLb0EES13_EEDaSY_SZ_EUlSY_E_NS1_11comp_targetILNS1_3genE3ELNS1_11target_archE908ELNS1_3gpuE7ELNS1_3repE0EEENS1_30default_config_static_selectorELNS0_4arch9wavefront6targetE1EEEvT1_, .Lfunc_end808-_ZN7rocprim17ROCPRIM_400000_NS6detail17trampoline_kernelINS0_14default_configENS1_29reduce_by_key_config_selectorIijN6thrust23THRUST_200600_302600_NS4plusIjEEEEZZNS1_33reduce_by_key_impl_wrapped_configILNS1_25lookback_scan_determinismE0ES3_S9_NS6_6detail15normal_iteratorINS6_10device_ptrIiEEEENSD_INSE_IjEEEESG_SI_PmS8_NS6_8equal_toIiEEEE10hipError_tPvRmT2_T3_mT4_T5_T6_T7_T8_P12ihipStream_tbENKUlT_T0_E_clISt17integral_constantIbLb0EES13_EEDaSY_SZ_EUlSY_E_NS1_11comp_targetILNS1_3genE3ELNS1_11target_archE908ELNS1_3gpuE7ELNS1_3repE0EEENS1_30default_config_static_selectorELNS0_4arch9wavefront6targetE1EEEvT1_
                                        ; -- End function
	.section	.AMDGPU.csdata,"",@progbits
; Kernel info:
; codeLenInByte = 0
; NumSgprs: 4
; NumVgprs: 0
; NumAgprs: 0
; TotalNumVgprs: 0
; ScratchSize: 0
; MemoryBound: 0
; FloatMode: 240
; IeeeMode: 1
; LDSByteSize: 0 bytes/workgroup (compile time only)
; SGPRBlocks: 0
; VGPRBlocks: 0
; NumSGPRsForWavesPerEU: 4
; NumVGPRsForWavesPerEU: 1
; AccumOffset: 4
; Occupancy: 8
; WaveLimiterHint : 0
; COMPUTE_PGM_RSRC2:SCRATCH_EN: 0
; COMPUTE_PGM_RSRC2:USER_SGPR: 6
; COMPUTE_PGM_RSRC2:TRAP_HANDLER: 0
; COMPUTE_PGM_RSRC2:TGID_X_EN: 1
; COMPUTE_PGM_RSRC2:TGID_Y_EN: 0
; COMPUTE_PGM_RSRC2:TGID_Z_EN: 0
; COMPUTE_PGM_RSRC2:TIDIG_COMP_CNT: 0
; COMPUTE_PGM_RSRC3_GFX90A:ACCUM_OFFSET: 0
; COMPUTE_PGM_RSRC3_GFX90A:TG_SPLIT: 0
	.section	.text._ZN7rocprim17ROCPRIM_400000_NS6detail17trampoline_kernelINS0_14default_configENS1_29reduce_by_key_config_selectorIijN6thrust23THRUST_200600_302600_NS4plusIjEEEEZZNS1_33reduce_by_key_impl_wrapped_configILNS1_25lookback_scan_determinismE0ES3_S9_NS6_6detail15normal_iteratorINS6_10device_ptrIiEEEENSD_INSE_IjEEEESG_SI_PmS8_NS6_8equal_toIiEEEE10hipError_tPvRmT2_T3_mT4_T5_T6_T7_T8_P12ihipStream_tbENKUlT_T0_E_clISt17integral_constantIbLb0EES13_EEDaSY_SZ_EUlSY_E_NS1_11comp_targetILNS1_3genE2ELNS1_11target_archE906ELNS1_3gpuE6ELNS1_3repE0EEENS1_30default_config_static_selectorELNS0_4arch9wavefront6targetE1EEEvT1_,"axG",@progbits,_ZN7rocprim17ROCPRIM_400000_NS6detail17trampoline_kernelINS0_14default_configENS1_29reduce_by_key_config_selectorIijN6thrust23THRUST_200600_302600_NS4plusIjEEEEZZNS1_33reduce_by_key_impl_wrapped_configILNS1_25lookback_scan_determinismE0ES3_S9_NS6_6detail15normal_iteratorINS6_10device_ptrIiEEEENSD_INSE_IjEEEESG_SI_PmS8_NS6_8equal_toIiEEEE10hipError_tPvRmT2_T3_mT4_T5_T6_T7_T8_P12ihipStream_tbENKUlT_T0_E_clISt17integral_constantIbLb0EES13_EEDaSY_SZ_EUlSY_E_NS1_11comp_targetILNS1_3genE2ELNS1_11target_archE906ELNS1_3gpuE6ELNS1_3repE0EEENS1_30default_config_static_selectorELNS0_4arch9wavefront6targetE1EEEvT1_,comdat
	.protected	_ZN7rocprim17ROCPRIM_400000_NS6detail17trampoline_kernelINS0_14default_configENS1_29reduce_by_key_config_selectorIijN6thrust23THRUST_200600_302600_NS4plusIjEEEEZZNS1_33reduce_by_key_impl_wrapped_configILNS1_25lookback_scan_determinismE0ES3_S9_NS6_6detail15normal_iteratorINS6_10device_ptrIiEEEENSD_INSE_IjEEEESG_SI_PmS8_NS6_8equal_toIiEEEE10hipError_tPvRmT2_T3_mT4_T5_T6_T7_T8_P12ihipStream_tbENKUlT_T0_E_clISt17integral_constantIbLb0EES13_EEDaSY_SZ_EUlSY_E_NS1_11comp_targetILNS1_3genE2ELNS1_11target_archE906ELNS1_3gpuE6ELNS1_3repE0EEENS1_30default_config_static_selectorELNS0_4arch9wavefront6targetE1EEEvT1_ ; -- Begin function _ZN7rocprim17ROCPRIM_400000_NS6detail17trampoline_kernelINS0_14default_configENS1_29reduce_by_key_config_selectorIijN6thrust23THRUST_200600_302600_NS4plusIjEEEEZZNS1_33reduce_by_key_impl_wrapped_configILNS1_25lookback_scan_determinismE0ES3_S9_NS6_6detail15normal_iteratorINS6_10device_ptrIiEEEENSD_INSE_IjEEEESG_SI_PmS8_NS6_8equal_toIiEEEE10hipError_tPvRmT2_T3_mT4_T5_T6_T7_T8_P12ihipStream_tbENKUlT_T0_E_clISt17integral_constantIbLb0EES13_EEDaSY_SZ_EUlSY_E_NS1_11comp_targetILNS1_3genE2ELNS1_11target_archE906ELNS1_3gpuE6ELNS1_3repE0EEENS1_30default_config_static_selectorELNS0_4arch9wavefront6targetE1EEEvT1_
	.globl	_ZN7rocprim17ROCPRIM_400000_NS6detail17trampoline_kernelINS0_14default_configENS1_29reduce_by_key_config_selectorIijN6thrust23THRUST_200600_302600_NS4plusIjEEEEZZNS1_33reduce_by_key_impl_wrapped_configILNS1_25lookback_scan_determinismE0ES3_S9_NS6_6detail15normal_iteratorINS6_10device_ptrIiEEEENSD_INSE_IjEEEESG_SI_PmS8_NS6_8equal_toIiEEEE10hipError_tPvRmT2_T3_mT4_T5_T6_T7_T8_P12ihipStream_tbENKUlT_T0_E_clISt17integral_constantIbLb0EES13_EEDaSY_SZ_EUlSY_E_NS1_11comp_targetILNS1_3genE2ELNS1_11target_archE906ELNS1_3gpuE6ELNS1_3repE0EEENS1_30default_config_static_selectorELNS0_4arch9wavefront6targetE1EEEvT1_
	.p2align	8
	.type	_ZN7rocprim17ROCPRIM_400000_NS6detail17trampoline_kernelINS0_14default_configENS1_29reduce_by_key_config_selectorIijN6thrust23THRUST_200600_302600_NS4plusIjEEEEZZNS1_33reduce_by_key_impl_wrapped_configILNS1_25lookback_scan_determinismE0ES3_S9_NS6_6detail15normal_iteratorINS6_10device_ptrIiEEEENSD_INSE_IjEEEESG_SI_PmS8_NS6_8equal_toIiEEEE10hipError_tPvRmT2_T3_mT4_T5_T6_T7_T8_P12ihipStream_tbENKUlT_T0_E_clISt17integral_constantIbLb0EES13_EEDaSY_SZ_EUlSY_E_NS1_11comp_targetILNS1_3genE2ELNS1_11target_archE906ELNS1_3gpuE6ELNS1_3repE0EEENS1_30default_config_static_selectorELNS0_4arch9wavefront6targetE1EEEvT1_,@function
_ZN7rocprim17ROCPRIM_400000_NS6detail17trampoline_kernelINS0_14default_configENS1_29reduce_by_key_config_selectorIijN6thrust23THRUST_200600_302600_NS4plusIjEEEEZZNS1_33reduce_by_key_impl_wrapped_configILNS1_25lookback_scan_determinismE0ES3_S9_NS6_6detail15normal_iteratorINS6_10device_ptrIiEEEENSD_INSE_IjEEEESG_SI_PmS8_NS6_8equal_toIiEEEE10hipError_tPvRmT2_T3_mT4_T5_T6_T7_T8_P12ihipStream_tbENKUlT_T0_E_clISt17integral_constantIbLb0EES13_EEDaSY_SZ_EUlSY_E_NS1_11comp_targetILNS1_3genE2ELNS1_11target_archE906ELNS1_3gpuE6ELNS1_3repE0EEENS1_30default_config_static_selectorELNS0_4arch9wavefront6targetE1EEEvT1_: ; @_ZN7rocprim17ROCPRIM_400000_NS6detail17trampoline_kernelINS0_14default_configENS1_29reduce_by_key_config_selectorIijN6thrust23THRUST_200600_302600_NS4plusIjEEEEZZNS1_33reduce_by_key_impl_wrapped_configILNS1_25lookback_scan_determinismE0ES3_S9_NS6_6detail15normal_iteratorINS6_10device_ptrIiEEEENSD_INSE_IjEEEESG_SI_PmS8_NS6_8equal_toIiEEEE10hipError_tPvRmT2_T3_mT4_T5_T6_T7_T8_P12ihipStream_tbENKUlT_T0_E_clISt17integral_constantIbLb0EES13_EEDaSY_SZ_EUlSY_E_NS1_11comp_targetILNS1_3genE2ELNS1_11target_archE906ELNS1_3gpuE6ELNS1_3repE0EEENS1_30default_config_static_selectorELNS0_4arch9wavefront6targetE1EEEvT1_
; %bb.0:
	.section	.rodata,"a",@progbits
	.p2align	6, 0x0
	.amdhsa_kernel _ZN7rocprim17ROCPRIM_400000_NS6detail17trampoline_kernelINS0_14default_configENS1_29reduce_by_key_config_selectorIijN6thrust23THRUST_200600_302600_NS4plusIjEEEEZZNS1_33reduce_by_key_impl_wrapped_configILNS1_25lookback_scan_determinismE0ES3_S9_NS6_6detail15normal_iteratorINS6_10device_ptrIiEEEENSD_INSE_IjEEEESG_SI_PmS8_NS6_8equal_toIiEEEE10hipError_tPvRmT2_T3_mT4_T5_T6_T7_T8_P12ihipStream_tbENKUlT_T0_E_clISt17integral_constantIbLb0EES13_EEDaSY_SZ_EUlSY_E_NS1_11comp_targetILNS1_3genE2ELNS1_11target_archE906ELNS1_3gpuE6ELNS1_3repE0EEENS1_30default_config_static_selectorELNS0_4arch9wavefront6targetE1EEEvT1_
		.amdhsa_group_segment_fixed_size 0
		.amdhsa_private_segment_fixed_size 0
		.amdhsa_kernarg_size 120
		.amdhsa_user_sgpr_count 6
		.amdhsa_user_sgpr_private_segment_buffer 1
		.amdhsa_user_sgpr_dispatch_ptr 0
		.amdhsa_user_sgpr_queue_ptr 0
		.amdhsa_user_sgpr_kernarg_segment_ptr 1
		.amdhsa_user_sgpr_dispatch_id 0
		.amdhsa_user_sgpr_flat_scratch_init 0
		.amdhsa_user_sgpr_kernarg_preload_length 0
		.amdhsa_user_sgpr_kernarg_preload_offset 0
		.amdhsa_user_sgpr_private_segment_size 0
		.amdhsa_uses_dynamic_stack 0
		.amdhsa_system_sgpr_private_segment_wavefront_offset 0
		.amdhsa_system_sgpr_workgroup_id_x 1
		.amdhsa_system_sgpr_workgroup_id_y 0
		.amdhsa_system_sgpr_workgroup_id_z 0
		.amdhsa_system_sgpr_workgroup_info 0
		.amdhsa_system_vgpr_workitem_id 0
		.amdhsa_next_free_vgpr 1
		.amdhsa_next_free_sgpr 0
		.amdhsa_accum_offset 4
		.amdhsa_reserve_vcc 0
		.amdhsa_reserve_flat_scratch 0
		.amdhsa_float_round_mode_32 0
		.amdhsa_float_round_mode_16_64 0
		.amdhsa_float_denorm_mode_32 3
		.amdhsa_float_denorm_mode_16_64 3
		.amdhsa_dx10_clamp 1
		.amdhsa_ieee_mode 1
		.amdhsa_fp16_overflow 0
		.amdhsa_tg_split 0
		.amdhsa_exception_fp_ieee_invalid_op 0
		.amdhsa_exception_fp_denorm_src 0
		.amdhsa_exception_fp_ieee_div_zero 0
		.amdhsa_exception_fp_ieee_overflow 0
		.amdhsa_exception_fp_ieee_underflow 0
		.amdhsa_exception_fp_ieee_inexact 0
		.amdhsa_exception_int_div_zero 0
	.end_amdhsa_kernel
	.section	.text._ZN7rocprim17ROCPRIM_400000_NS6detail17trampoline_kernelINS0_14default_configENS1_29reduce_by_key_config_selectorIijN6thrust23THRUST_200600_302600_NS4plusIjEEEEZZNS1_33reduce_by_key_impl_wrapped_configILNS1_25lookback_scan_determinismE0ES3_S9_NS6_6detail15normal_iteratorINS6_10device_ptrIiEEEENSD_INSE_IjEEEESG_SI_PmS8_NS6_8equal_toIiEEEE10hipError_tPvRmT2_T3_mT4_T5_T6_T7_T8_P12ihipStream_tbENKUlT_T0_E_clISt17integral_constantIbLb0EES13_EEDaSY_SZ_EUlSY_E_NS1_11comp_targetILNS1_3genE2ELNS1_11target_archE906ELNS1_3gpuE6ELNS1_3repE0EEENS1_30default_config_static_selectorELNS0_4arch9wavefront6targetE1EEEvT1_,"axG",@progbits,_ZN7rocprim17ROCPRIM_400000_NS6detail17trampoline_kernelINS0_14default_configENS1_29reduce_by_key_config_selectorIijN6thrust23THRUST_200600_302600_NS4plusIjEEEEZZNS1_33reduce_by_key_impl_wrapped_configILNS1_25lookback_scan_determinismE0ES3_S9_NS6_6detail15normal_iteratorINS6_10device_ptrIiEEEENSD_INSE_IjEEEESG_SI_PmS8_NS6_8equal_toIiEEEE10hipError_tPvRmT2_T3_mT4_T5_T6_T7_T8_P12ihipStream_tbENKUlT_T0_E_clISt17integral_constantIbLb0EES13_EEDaSY_SZ_EUlSY_E_NS1_11comp_targetILNS1_3genE2ELNS1_11target_archE906ELNS1_3gpuE6ELNS1_3repE0EEENS1_30default_config_static_selectorELNS0_4arch9wavefront6targetE1EEEvT1_,comdat
.Lfunc_end809:
	.size	_ZN7rocprim17ROCPRIM_400000_NS6detail17trampoline_kernelINS0_14default_configENS1_29reduce_by_key_config_selectorIijN6thrust23THRUST_200600_302600_NS4plusIjEEEEZZNS1_33reduce_by_key_impl_wrapped_configILNS1_25lookback_scan_determinismE0ES3_S9_NS6_6detail15normal_iteratorINS6_10device_ptrIiEEEENSD_INSE_IjEEEESG_SI_PmS8_NS6_8equal_toIiEEEE10hipError_tPvRmT2_T3_mT4_T5_T6_T7_T8_P12ihipStream_tbENKUlT_T0_E_clISt17integral_constantIbLb0EES13_EEDaSY_SZ_EUlSY_E_NS1_11comp_targetILNS1_3genE2ELNS1_11target_archE906ELNS1_3gpuE6ELNS1_3repE0EEENS1_30default_config_static_selectorELNS0_4arch9wavefront6targetE1EEEvT1_, .Lfunc_end809-_ZN7rocprim17ROCPRIM_400000_NS6detail17trampoline_kernelINS0_14default_configENS1_29reduce_by_key_config_selectorIijN6thrust23THRUST_200600_302600_NS4plusIjEEEEZZNS1_33reduce_by_key_impl_wrapped_configILNS1_25lookback_scan_determinismE0ES3_S9_NS6_6detail15normal_iteratorINS6_10device_ptrIiEEEENSD_INSE_IjEEEESG_SI_PmS8_NS6_8equal_toIiEEEE10hipError_tPvRmT2_T3_mT4_T5_T6_T7_T8_P12ihipStream_tbENKUlT_T0_E_clISt17integral_constantIbLb0EES13_EEDaSY_SZ_EUlSY_E_NS1_11comp_targetILNS1_3genE2ELNS1_11target_archE906ELNS1_3gpuE6ELNS1_3repE0EEENS1_30default_config_static_selectorELNS0_4arch9wavefront6targetE1EEEvT1_
                                        ; -- End function
	.section	.AMDGPU.csdata,"",@progbits
; Kernel info:
; codeLenInByte = 0
; NumSgprs: 4
; NumVgprs: 0
; NumAgprs: 0
; TotalNumVgprs: 0
; ScratchSize: 0
; MemoryBound: 0
; FloatMode: 240
; IeeeMode: 1
; LDSByteSize: 0 bytes/workgroup (compile time only)
; SGPRBlocks: 0
; VGPRBlocks: 0
; NumSGPRsForWavesPerEU: 4
; NumVGPRsForWavesPerEU: 1
; AccumOffset: 4
; Occupancy: 8
; WaveLimiterHint : 0
; COMPUTE_PGM_RSRC2:SCRATCH_EN: 0
; COMPUTE_PGM_RSRC2:USER_SGPR: 6
; COMPUTE_PGM_RSRC2:TRAP_HANDLER: 0
; COMPUTE_PGM_RSRC2:TGID_X_EN: 1
; COMPUTE_PGM_RSRC2:TGID_Y_EN: 0
; COMPUTE_PGM_RSRC2:TGID_Z_EN: 0
; COMPUTE_PGM_RSRC2:TIDIG_COMP_CNT: 0
; COMPUTE_PGM_RSRC3_GFX90A:ACCUM_OFFSET: 0
; COMPUTE_PGM_RSRC3_GFX90A:TG_SPLIT: 0
	.section	.text._ZN7rocprim17ROCPRIM_400000_NS6detail17trampoline_kernelINS0_14default_configENS1_29reduce_by_key_config_selectorIijN6thrust23THRUST_200600_302600_NS4plusIjEEEEZZNS1_33reduce_by_key_impl_wrapped_configILNS1_25lookback_scan_determinismE0ES3_S9_NS6_6detail15normal_iteratorINS6_10device_ptrIiEEEENSD_INSE_IjEEEESG_SI_PmS8_NS6_8equal_toIiEEEE10hipError_tPvRmT2_T3_mT4_T5_T6_T7_T8_P12ihipStream_tbENKUlT_T0_E_clISt17integral_constantIbLb0EES13_EEDaSY_SZ_EUlSY_E_NS1_11comp_targetILNS1_3genE10ELNS1_11target_archE1201ELNS1_3gpuE5ELNS1_3repE0EEENS1_30default_config_static_selectorELNS0_4arch9wavefront6targetE1EEEvT1_,"axG",@progbits,_ZN7rocprim17ROCPRIM_400000_NS6detail17trampoline_kernelINS0_14default_configENS1_29reduce_by_key_config_selectorIijN6thrust23THRUST_200600_302600_NS4plusIjEEEEZZNS1_33reduce_by_key_impl_wrapped_configILNS1_25lookback_scan_determinismE0ES3_S9_NS6_6detail15normal_iteratorINS6_10device_ptrIiEEEENSD_INSE_IjEEEESG_SI_PmS8_NS6_8equal_toIiEEEE10hipError_tPvRmT2_T3_mT4_T5_T6_T7_T8_P12ihipStream_tbENKUlT_T0_E_clISt17integral_constantIbLb0EES13_EEDaSY_SZ_EUlSY_E_NS1_11comp_targetILNS1_3genE10ELNS1_11target_archE1201ELNS1_3gpuE5ELNS1_3repE0EEENS1_30default_config_static_selectorELNS0_4arch9wavefront6targetE1EEEvT1_,comdat
	.protected	_ZN7rocprim17ROCPRIM_400000_NS6detail17trampoline_kernelINS0_14default_configENS1_29reduce_by_key_config_selectorIijN6thrust23THRUST_200600_302600_NS4plusIjEEEEZZNS1_33reduce_by_key_impl_wrapped_configILNS1_25lookback_scan_determinismE0ES3_S9_NS6_6detail15normal_iteratorINS6_10device_ptrIiEEEENSD_INSE_IjEEEESG_SI_PmS8_NS6_8equal_toIiEEEE10hipError_tPvRmT2_T3_mT4_T5_T6_T7_T8_P12ihipStream_tbENKUlT_T0_E_clISt17integral_constantIbLb0EES13_EEDaSY_SZ_EUlSY_E_NS1_11comp_targetILNS1_3genE10ELNS1_11target_archE1201ELNS1_3gpuE5ELNS1_3repE0EEENS1_30default_config_static_selectorELNS0_4arch9wavefront6targetE1EEEvT1_ ; -- Begin function _ZN7rocprim17ROCPRIM_400000_NS6detail17trampoline_kernelINS0_14default_configENS1_29reduce_by_key_config_selectorIijN6thrust23THRUST_200600_302600_NS4plusIjEEEEZZNS1_33reduce_by_key_impl_wrapped_configILNS1_25lookback_scan_determinismE0ES3_S9_NS6_6detail15normal_iteratorINS6_10device_ptrIiEEEENSD_INSE_IjEEEESG_SI_PmS8_NS6_8equal_toIiEEEE10hipError_tPvRmT2_T3_mT4_T5_T6_T7_T8_P12ihipStream_tbENKUlT_T0_E_clISt17integral_constantIbLb0EES13_EEDaSY_SZ_EUlSY_E_NS1_11comp_targetILNS1_3genE10ELNS1_11target_archE1201ELNS1_3gpuE5ELNS1_3repE0EEENS1_30default_config_static_selectorELNS0_4arch9wavefront6targetE1EEEvT1_
	.globl	_ZN7rocprim17ROCPRIM_400000_NS6detail17trampoline_kernelINS0_14default_configENS1_29reduce_by_key_config_selectorIijN6thrust23THRUST_200600_302600_NS4plusIjEEEEZZNS1_33reduce_by_key_impl_wrapped_configILNS1_25lookback_scan_determinismE0ES3_S9_NS6_6detail15normal_iteratorINS6_10device_ptrIiEEEENSD_INSE_IjEEEESG_SI_PmS8_NS6_8equal_toIiEEEE10hipError_tPvRmT2_T3_mT4_T5_T6_T7_T8_P12ihipStream_tbENKUlT_T0_E_clISt17integral_constantIbLb0EES13_EEDaSY_SZ_EUlSY_E_NS1_11comp_targetILNS1_3genE10ELNS1_11target_archE1201ELNS1_3gpuE5ELNS1_3repE0EEENS1_30default_config_static_selectorELNS0_4arch9wavefront6targetE1EEEvT1_
	.p2align	8
	.type	_ZN7rocprim17ROCPRIM_400000_NS6detail17trampoline_kernelINS0_14default_configENS1_29reduce_by_key_config_selectorIijN6thrust23THRUST_200600_302600_NS4plusIjEEEEZZNS1_33reduce_by_key_impl_wrapped_configILNS1_25lookback_scan_determinismE0ES3_S9_NS6_6detail15normal_iteratorINS6_10device_ptrIiEEEENSD_INSE_IjEEEESG_SI_PmS8_NS6_8equal_toIiEEEE10hipError_tPvRmT2_T3_mT4_T5_T6_T7_T8_P12ihipStream_tbENKUlT_T0_E_clISt17integral_constantIbLb0EES13_EEDaSY_SZ_EUlSY_E_NS1_11comp_targetILNS1_3genE10ELNS1_11target_archE1201ELNS1_3gpuE5ELNS1_3repE0EEENS1_30default_config_static_selectorELNS0_4arch9wavefront6targetE1EEEvT1_,@function
_ZN7rocprim17ROCPRIM_400000_NS6detail17trampoline_kernelINS0_14default_configENS1_29reduce_by_key_config_selectorIijN6thrust23THRUST_200600_302600_NS4plusIjEEEEZZNS1_33reduce_by_key_impl_wrapped_configILNS1_25lookback_scan_determinismE0ES3_S9_NS6_6detail15normal_iteratorINS6_10device_ptrIiEEEENSD_INSE_IjEEEESG_SI_PmS8_NS6_8equal_toIiEEEE10hipError_tPvRmT2_T3_mT4_T5_T6_T7_T8_P12ihipStream_tbENKUlT_T0_E_clISt17integral_constantIbLb0EES13_EEDaSY_SZ_EUlSY_E_NS1_11comp_targetILNS1_3genE10ELNS1_11target_archE1201ELNS1_3gpuE5ELNS1_3repE0EEENS1_30default_config_static_selectorELNS0_4arch9wavefront6targetE1EEEvT1_: ; @_ZN7rocprim17ROCPRIM_400000_NS6detail17trampoline_kernelINS0_14default_configENS1_29reduce_by_key_config_selectorIijN6thrust23THRUST_200600_302600_NS4plusIjEEEEZZNS1_33reduce_by_key_impl_wrapped_configILNS1_25lookback_scan_determinismE0ES3_S9_NS6_6detail15normal_iteratorINS6_10device_ptrIiEEEENSD_INSE_IjEEEESG_SI_PmS8_NS6_8equal_toIiEEEE10hipError_tPvRmT2_T3_mT4_T5_T6_T7_T8_P12ihipStream_tbENKUlT_T0_E_clISt17integral_constantIbLb0EES13_EEDaSY_SZ_EUlSY_E_NS1_11comp_targetILNS1_3genE10ELNS1_11target_archE1201ELNS1_3gpuE5ELNS1_3repE0EEENS1_30default_config_static_selectorELNS0_4arch9wavefront6targetE1EEEvT1_
; %bb.0:
	.section	.rodata,"a",@progbits
	.p2align	6, 0x0
	.amdhsa_kernel _ZN7rocprim17ROCPRIM_400000_NS6detail17trampoline_kernelINS0_14default_configENS1_29reduce_by_key_config_selectorIijN6thrust23THRUST_200600_302600_NS4plusIjEEEEZZNS1_33reduce_by_key_impl_wrapped_configILNS1_25lookback_scan_determinismE0ES3_S9_NS6_6detail15normal_iteratorINS6_10device_ptrIiEEEENSD_INSE_IjEEEESG_SI_PmS8_NS6_8equal_toIiEEEE10hipError_tPvRmT2_T3_mT4_T5_T6_T7_T8_P12ihipStream_tbENKUlT_T0_E_clISt17integral_constantIbLb0EES13_EEDaSY_SZ_EUlSY_E_NS1_11comp_targetILNS1_3genE10ELNS1_11target_archE1201ELNS1_3gpuE5ELNS1_3repE0EEENS1_30default_config_static_selectorELNS0_4arch9wavefront6targetE1EEEvT1_
		.amdhsa_group_segment_fixed_size 0
		.amdhsa_private_segment_fixed_size 0
		.amdhsa_kernarg_size 120
		.amdhsa_user_sgpr_count 6
		.amdhsa_user_sgpr_private_segment_buffer 1
		.amdhsa_user_sgpr_dispatch_ptr 0
		.amdhsa_user_sgpr_queue_ptr 0
		.amdhsa_user_sgpr_kernarg_segment_ptr 1
		.amdhsa_user_sgpr_dispatch_id 0
		.amdhsa_user_sgpr_flat_scratch_init 0
		.amdhsa_user_sgpr_kernarg_preload_length 0
		.amdhsa_user_sgpr_kernarg_preload_offset 0
		.amdhsa_user_sgpr_private_segment_size 0
		.amdhsa_uses_dynamic_stack 0
		.amdhsa_system_sgpr_private_segment_wavefront_offset 0
		.amdhsa_system_sgpr_workgroup_id_x 1
		.amdhsa_system_sgpr_workgroup_id_y 0
		.amdhsa_system_sgpr_workgroup_id_z 0
		.amdhsa_system_sgpr_workgroup_info 0
		.amdhsa_system_vgpr_workitem_id 0
		.amdhsa_next_free_vgpr 1
		.amdhsa_next_free_sgpr 0
		.amdhsa_accum_offset 4
		.amdhsa_reserve_vcc 0
		.amdhsa_reserve_flat_scratch 0
		.amdhsa_float_round_mode_32 0
		.amdhsa_float_round_mode_16_64 0
		.amdhsa_float_denorm_mode_32 3
		.amdhsa_float_denorm_mode_16_64 3
		.amdhsa_dx10_clamp 1
		.amdhsa_ieee_mode 1
		.amdhsa_fp16_overflow 0
		.amdhsa_tg_split 0
		.amdhsa_exception_fp_ieee_invalid_op 0
		.amdhsa_exception_fp_denorm_src 0
		.amdhsa_exception_fp_ieee_div_zero 0
		.amdhsa_exception_fp_ieee_overflow 0
		.amdhsa_exception_fp_ieee_underflow 0
		.amdhsa_exception_fp_ieee_inexact 0
		.amdhsa_exception_int_div_zero 0
	.end_amdhsa_kernel
	.section	.text._ZN7rocprim17ROCPRIM_400000_NS6detail17trampoline_kernelINS0_14default_configENS1_29reduce_by_key_config_selectorIijN6thrust23THRUST_200600_302600_NS4plusIjEEEEZZNS1_33reduce_by_key_impl_wrapped_configILNS1_25lookback_scan_determinismE0ES3_S9_NS6_6detail15normal_iteratorINS6_10device_ptrIiEEEENSD_INSE_IjEEEESG_SI_PmS8_NS6_8equal_toIiEEEE10hipError_tPvRmT2_T3_mT4_T5_T6_T7_T8_P12ihipStream_tbENKUlT_T0_E_clISt17integral_constantIbLb0EES13_EEDaSY_SZ_EUlSY_E_NS1_11comp_targetILNS1_3genE10ELNS1_11target_archE1201ELNS1_3gpuE5ELNS1_3repE0EEENS1_30default_config_static_selectorELNS0_4arch9wavefront6targetE1EEEvT1_,"axG",@progbits,_ZN7rocprim17ROCPRIM_400000_NS6detail17trampoline_kernelINS0_14default_configENS1_29reduce_by_key_config_selectorIijN6thrust23THRUST_200600_302600_NS4plusIjEEEEZZNS1_33reduce_by_key_impl_wrapped_configILNS1_25lookback_scan_determinismE0ES3_S9_NS6_6detail15normal_iteratorINS6_10device_ptrIiEEEENSD_INSE_IjEEEESG_SI_PmS8_NS6_8equal_toIiEEEE10hipError_tPvRmT2_T3_mT4_T5_T6_T7_T8_P12ihipStream_tbENKUlT_T0_E_clISt17integral_constantIbLb0EES13_EEDaSY_SZ_EUlSY_E_NS1_11comp_targetILNS1_3genE10ELNS1_11target_archE1201ELNS1_3gpuE5ELNS1_3repE0EEENS1_30default_config_static_selectorELNS0_4arch9wavefront6targetE1EEEvT1_,comdat
.Lfunc_end810:
	.size	_ZN7rocprim17ROCPRIM_400000_NS6detail17trampoline_kernelINS0_14default_configENS1_29reduce_by_key_config_selectorIijN6thrust23THRUST_200600_302600_NS4plusIjEEEEZZNS1_33reduce_by_key_impl_wrapped_configILNS1_25lookback_scan_determinismE0ES3_S9_NS6_6detail15normal_iteratorINS6_10device_ptrIiEEEENSD_INSE_IjEEEESG_SI_PmS8_NS6_8equal_toIiEEEE10hipError_tPvRmT2_T3_mT4_T5_T6_T7_T8_P12ihipStream_tbENKUlT_T0_E_clISt17integral_constantIbLb0EES13_EEDaSY_SZ_EUlSY_E_NS1_11comp_targetILNS1_3genE10ELNS1_11target_archE1201ELNS1_3gpuE5ELNS1_3repE0EEENS1_30default_config_static_selectorELNS0_4arch9wavefront6targetE1EEEvT1_, .Lfunc_end810-_ZN7rocprim17ROCPRIM_400000_NS6detail17trampoline_kernelINS0_14default_configENS1_29reduce_by_key_config_selectorIijN6thrust23THRUST_200600_302600_NS4plusIjEEEEZZNS1_33reduce_by_key_impl_wrapped_configILNS1_25lookback_scan_determinismE0ES3_S9_NS6_6detail15normal_iteratorINS6_10device_ptrIiEEEENSD_INSE_IjEEEESG_SI_PmS8_NS6_8equal_toIiEEEE10hipError_tPvRmT2_T3_mT4_T5_T6_T7_T8_P12ihipStream_tbENKUlT_T0_E_clISt17integral_constantIbLb0EES13_EEDaSY_SZ_EUlSY_E_NS1_11comp_targetILNS1_3genE10ELNS1_11target_archE1201ELNS1_3gpuE5ELNS1_3repE0EEENS1_30default_config_static_selectorELNS0_4arch9wavefront6targetE1EEEvT1_
                                        ; -- End function
	.section	.AMDGPU.csdata,"",@progbits
; Kernel info:
; codeLenInByte = 0
; NumSgprs: 4
; NumVgprs: 0
; NumAgprs: 0
; TotalNumVgprs: 0
; ScratchSize: 0
; MemoryBound: 0
; FloatMode: 240
; IeeeMode: 1
; LDSByteSize: 0 bytes/workgroup (compile time only)
; SGPRBlocks: 0
; VGPRBlocks: 0
; NumSGPRsForWavesPerEU: 4
; NumVGPRsForWavesPerEU: 1
; AccumOffset: 4
; Occupancy: 8
; WaveLimiterHint : 0
; COMPUTE_PGM_RSRC2:SCRATCH_EN: 0
; COMPUTE_PGM_RSRC2:USER_SGPR: 6
; COMPUTE_PGM_RSRC2:TRAP_HANDLER: 0
; COMPUTE_PGM_RSRC2:TGID_X_EN: 1
; COMPUTE_PGM_RSRC2:TGID_Y_EN: 0
; COMPUTE_PGM_RSRC2:TGID_Z_EN: 0
; COMPUTE_PGM_RSRC2:TIDIG_COMP_CNT: 0
; COMPUTE_PGM_RSRC3_GFX90A:ACCUM_OFFSET: 0
; COMPUTE_PGM_RSRC3_GFX90A:TG_SPLIT: 0
	.section	.text._ZN7rocprim17ROCPRIM_400000_NS6detail17trampoline_kernelINS0_14default_configENS1_29reduce_by_key_config_selectorIijN6thrust23THRUST_200600_302600_NS4plusIjEEEEZZNS1_33reduce_by_key_impl_wrapped_configILNS1_25lookback_scan_determinismE0ES3_S9_NS6_6detail15normal_iteratorINS6_10device_ptrIiEEEENSD_INSE_IjEEEESG_SI_PmS8_NS6_8equal_toIiEEEE10hipError_tPvRmT2_T3_mT4_T5_T6_T7_T8_P12ihipStream_tbENKUlT_T0_E_clISt17integral_constantIbLb0EES13_EEDaSY_SZ_EUlSY_E_NS1_11comp_targetILNS1_3genE10ELNS1_11target_archE1200ELNS1_3gpuE4ELNS1_3repE0EEENS1_30default_config_static_selectorELNS0_4arch9wavefront6targetE1EEEvT1_,"axG",@progbits,_ZN7rocprim17ROCPRIM_400000_NS6detail17trampoline_kernelINS0_14default_configENS1_29reduce_by_key_config_selectorIijN6thrust23THRUST_200600_302600_NS4plusIjEEEEZZNS1_33reduce_by_key_impl_wrapped_configILNS1_25lookback_scan_determinismE0ES3_S9_NS6_6detail15normal_iteratorINS6_10device_ptrIiEEEENSD_INSE_IjEEEESG_SI_PmS8_NS6_8equal_toIiEEEE10hipError_tPvRmT2_T3_mT4_T5_T6_T7_T8_P12ihipStream_tbENKUlT_T0_E_clISt17integral_constantIbLb0EES13_EEDaSY_SZ_EUlSY_E_NS1_11comp_targetILNS1_3genE10ELNS1_11target_archE1200ELNS1_3gpuE4ELNS1_3repE0EEENS1_30default_config_static_selectorELNS0_4arch9wavefront6targetE1EEEvT1_,comdat
	.protected	_ZN7rocprim17ROCPRIM_400000_NS6detail17trampoline_kernelINS0_14default_configENS1_29reduce_by_key_config_selectorIijN6thrust23THRUST_200600_302600_NS4plusIjEEEEZZNS1_33reduce_by_key_impl_wrapped_configILNS1_25lookback_scan_determinismE0ES3_S9_NS6_6detail15normal_iteratorINS6_10device_ptrIiEEEENSD_INSE_IjEEEESG_SI_PmS8_NS6_8equal_toIiEEEE10hipError_tPvRmT2_T3_mT4_T5_T6_T7_T8_P12ihipStream_tbENKUlT_T0_E_clISt17integral_constantIbLb0EES13_EEDaSY_SZ_EUlSY_E_NS1_11comp_targetILNS1_3genE10ELNS1_11target_archE1200ELNS1_3gpuE4ELNS1_3repE0EEENS1_30default_config_static_selectorELNS0_4arch9wavefront6targetE1EEEvT1_ ; -- Begin function _ZN7rocprim17ROCPRIM_400000_NS6detail17trampoline_kernelINS0_14default_configENS1_29reduce_by_key_config_selectorIijN6thrust23THRUST_200600_302600_NS4plusIjEEEEZZNS1_33reduce_by_key_impl_wrapped_configILNS1_25lookback_scan_determinismE0ES3_S9_NS6_6detail15normal_iteratorINS6_10device_ptrIiEEEENSD_INSE_IjEEEESG_SI_PmS8_NS6_8equal_toIiEEEE10hipError_tPvRmT2_T3_mT4_T5_T6_T7_T8_P12ihipStream_tbENKUlT_T0_E_clISt17integral_constantIbLb0EES13_EEDaSY_SZ_EUlSY_E_NS1_11comp_targetILNS1_3genE10ELNS1_11target_archE1200ELNS1_3gpuE4ELNS1_3repE0EEENS1_30default_config_static_selectorELNS0_4arch9wavefront6targetE1EEEvT1_
	.globl	_ZN7rocprim17ROCPRIM_400000_NS6detail17trampoline_kernelINS0_14default_configENS1_29reduce_by_key_config_selectorIijN6thrust23THRUST_200600_302600_NS4plusIjEEEEZZNS1_33reduce_by_key_impl_wrapped_configILNS1_25lookback_scan_determinismE0ES3_S9_NS6_6detail15normal_iteratorINS6_10device_ptrIiEEEENSD_INSE_IjEEEESG_SI_PmS8_NS6_8equal_toIiEEEE10hipError_tPvRmT2_T3_mT4_T5_T6_T7_T8_P12ihipStream_tbENKUlT_T0_E_clISt17integral_constantIbLb0EES13_EEDaSY_SZ_EUlSY_E_NS1_11comp_targetILNS1_3genE10ELNS1_11target_archE1200ELNS1_3gpuE4ELNS1_3repE0EEENS1_30default_config_static_selectorELNS0_4arch9wavefront6targetE1EEEvT1_
	.p2align	8
	.type	_ZN7rocprim17ROCPRIM_400000_NS6detail17trampoline_kernelINS0_14default_configENS1_29reduce_by_key_config_selectorIijN6thrust23THRUST_200600_302600_NS4plusIjEEEEZZNS1_33reduce_by_key_impl_wrapped_configILNS1_25lookback_scan_determinismE0ES3_S9_NS6_6detail15normal_iteratorINS6_10device_ptrIiEEEENSD_INSE_IjEEEESG_SI_PmS8_NS6_8equal_toIiEEEE10hipError_tPvRmT2_T3_mT4_T5_T6_T7_T8_P12ihipStream_tbENKUlT_T0_E_clISt17integral_constantIbLb0EES13_EEDaSY_SZ_EUlSY_E_NS1_11comp_targetILNS1_3genE10ELNS1_11target_archE1200ELNS1_3gpuE4ELNS1_3repE0EEENS1_30default_config_static_selectorELNS0_4arch9wavefront6targetE1EEEvT1_,@function
_ZN7rocprim17ROCPRIM_400000_NS6detail17trampoline_kernelINS0_14default_configENS1_29reduce_by_key_config_selectorIijN6thrust23THRUST_200600_302600_NS4plusIjEEEEZZNS1_33reduce_by_key_impl_wrapped_configILNS1_25lookback_scan_determinismE0ES3_S9_NS6_6detail15normal_iteratorINS6_10device_ptrIiEEEENSD_INSE_IjEEEESG_SI_PmS8_NS6_8equal_toIiEEEE10hipError_tPvRmT2_T3_mT4_T5_T6_T7_T8_P12ihipStream_tbENKUlT_T0_E_clISt17integral_constantIbLb0EES13_EEDaSY_SZ_EUlSY_E_NS1_11comp_targetILNS1_3genE10ELNS1_11target_archE1200ELNS1_3gpuE4ELNS1_3repE0EEENS1_30default_config_static_selectorELNS0_4arch9wavefront6targetE1EEEvT1_: ; @_ZN7rocprim17ROCPRIM_400000_NS6detail17trampoline_kernelINS0_14default_configENS1_29reduce_by_key_config_selectorIijN6thrust23THRUST_200600_302600_NS4plusIjEEEEZZNS1_33reduce_by_key_impl_wrapped_configILNS1_25lookback_scan_determinismE0ES3_S9_NS6_6detail15normal_iteratorINS6_10device_ptrIiEEEENSD_INSE_IjEEEESG_SI_PmS8_NS6_8equal_toIiEEEE10hipError_tPvRmT2_T3_mT4_T5_T6_T7_T8_P12ihipStream_tbENKUlT_T0_E_clISt17integral_constantIbLb0EES13_EEDaSY_SZ_EUlSY_E_NS1_11comp_targetILNS1_3genE10ELNS1_11target_archE1200ELNS1_3gpuE4ELNS1_3repE0EEENS1_30default_config_static_selectorELNS0_4arch9wavefront6targetE1EEEvT1_
; %bb.0:
	.section	.rodata,"a",@progbits
	.p2align	6, 0x0
	.amdhsa_kernel _ZN7rocprim17ROCPRIM_400000_NS6detail17trampoline_kernelINS0_14default_configENS1_29reduce_by_key_config_selectorIijN6thrust23THRUST_200600_302600_NS4plusIjEEEEZZNS1_33reduce_by_key_impl_wrapped_configILNS1_25lookback_scan_determinismE0ES3_S9_NS6_6detail15normal_iteratorINS6_10device_ptrIiEEEENSD_INSE_IjEEEESG_SI_PmS8_NS6_8equal_toIiEEEE10hipError_tPvRmT2_T3_mT4_T5_T6_T7_T8_P12ihipStream_tbENKUlT_T0_E_clISt17integral_constantIbLb0EES13_EEDaSY_SZ_EUlSY_E_NS1_11comp_targetILNS1_3genE10ELNS1_11target_archE1200ELNS1_3gpuE4ELNS1_3repE0EEENS1_30default_config_static_selectorELNS0_4arch9wavefront6targetE1EEEvT1_
		.amdhsa_group_segment_fixed_size 0
		.amdhsa_private_segment_fixed_size 0
		.amdhsa_kernarg_size 120
		.amdhsa_user_sgpr_count 6
		.amdhsa_user_sgpr_private_segment_buffer 1
		.amdhsa_user_sgpr_dispatch_ptr 0
		.amdhsa_user_sgpr_queue_ptr 0
		.amdhsa_user_sgpr_kernarg_segment_ptr 1
		.amdhsa_user_sgpr_dispatch_id 0
		.amdhsa_user_sgpr_flat_scratch_init 0
		.amdhsa_user_sgpr_kernarg_preload_length 0
		.amdhsa_user_sgpr_kernarg_preload_offset 0
		.amdhsa_user_sgpr_private_segment_size 0
		.amdhsa_uses_dynamic_stack 0
		.amdhsa_system_sgpr_private_segment_wavefront_offset 0
		.amdhsa_system_sgpr_workgroup_id_x 1
		.amdhsa_system_sgpr_workgroup_id_y 0
		.amdhsa_system_sgpr_workgroup_id_z 0
		.amdhsa_system_sgpr_workgroup_info 0
		.amdhsa_system_vgpr_workitem_id 0
		.amdhsa_next_free_vgpr 1
		.amdhsa_next_free_sgpr 0
		.amdhsa_accum_offset 4
		.amdhsa_reserve_vcc 0
		.amdhsa_reserve_flat_scratch 0
		.amdhsa_float_round_mode_32 0
		.amdhsa_float_round_mode_16_64 0
		.amdhsa_float_denorm_mode_32 3
		.amdhsa_float_denorm_mode_16_64 3
		.amdhsa_dx10_clamp 1
		.amdhsa_ieee_mode 1
		.amdhsa_fp16_overflow 0
		.amdhsa_tg_split 0
		.amdhsa_exception_fp_ieee_invalid_op 0
		.amdhsa_exception_fp_denorm_src 0
		.amdhsa_exception_fp_ieee_div_zero 0
		.amdhsa_exception_fp_ieee_overflow 0
		.amdhsa_exception_fp_ieee_underflow 0
		.amdhsa_exception_fp_ieee_inexact 0
		.amdhsa_exception_int_div_zero 0
	.end_amdhsa_kernel
	.section	.text._ZN7rocprim17ROCPRIM_400000_NS6detail17trampoline_kernelINS0_14default_configENS1_29reduce_by_key_config_selectorIijN6thrust23THRUST_200600_302600_NS4plusIjEEEEZZNS1_33reduce_by_key_impl_wrapped_configILNS1_25lookback_scan_determinismE0ES3_S9_NS6_6detail15normal_iteratorINS6_10device_ptrIiEEEENSD_INSE_IjEEEESG_SI_PmS8_NS6_8equal_toIiEEEE10hipError_tPvRmT2_T3_mT4_T5_T6_T7_T8_P12ihipStream_tbENKUlT_T0_E_clISt17integral_constantIbLb0EES13_EEDaSY_SZ_EUlSY_E_NS1_11comp_targetILNS1_3genE10ELNS1_11target_archE1200ELNS1_3gpuE4ELNS1_3repE0EEENS1_30default_config_static_selectorELNS0_4arch9wavefront6targetE1EEEvT1_,"axG",@progbits,_ZN7rocprim17ROCPRIM_400000_NS6detail17trampoline_kernelINS0_14default_configENS1_29reduce_by_key_config_selectorIijN6thrust23THRUST_200600_302600_NS4plusIjEEEEZZNS1_33reduce_by_key_impl_wrapped_configILNS1_25lookback_scan_determinismE0ES3_S9_NS6_6detail15normal_iteratorINS6_10device_ptrIiEEEENSD_INSE_IjEEEESG_SI_PmS8_NS6_8equal_toIiEEEE10hipError_tPvRmT2_T3_mT4_T5_T6_T7_T8_P12ihipStream_tbENKUlT_T0_E_clISt17integral_constantIbLb0EES13_EEDaSY_SZ_EUlSY_E_NS1_11comp_targetILNS1_3genE10ELNS1_11target_archE1200ELNS1_3gpuE4ELNS1_3repE0EEENS1_30default_config_static_selectorELNS0_4arch9wavefront6targetE1EEEvT1_,comdat
.Lfunc_end811:
	.size	_ZN7rocprim17ROCPRIM_400000_NS6detail17trampoline_kernelINS0_14default_configENS1_29reduce_by_key_config_selectorIijN6thrust23THRUST_200600_302600_NS4plusIjEEEEZZNS1_33reduce_by_key_impl_wrapped_configILNS1_25lookback_scan_determinismE0ES3_S9_NS6_6detail15normal_iteratorINS6_10device_ptrIiEEEENSD_INSE_IjEEEESG_SI_PmS8_NS6_8equal_toIiEEEE10hipError_tPvRmT2_T3_mT4_T5_T6_T7_T8_P12ihipStream_tbENKUlT_T0_E_clISt17integral_constantIbLb0EES13_EEDaSY_SZ_EUlSY_E_NS1_11comp_targetILNS1_3genE10ELNS1_11target_archE1200ELNS1_3gpuE4ELNS1_3repE0EEENS1_30default_config_static_selectorELNS0_4arch9wavefront6targetE1EEEvT1_, .Lfunc_end811-_ZN7rocprim17ROCPRIM_400000_NS6detail17trampoline_kernelINS0_14default_configENS1_29reduce_by_key_config_selectorIijN6thrust23THRUST_200600_302600_NS4plusIjEEEEZZNS1_33reduce_by_key_impl_wrapped_configILNS1_25lookback_scan_determinismE0ES3_S9_NS6_6detail15normal_iteratorINS6_10device_ptrIiEEEENSD_INSE_IjEEEESG_SI_PmS8_NS6_8equal_toIiEEEE10hipError_tPvRmT2_T3_mT4_T5_T6_T7_T8_P12ihipStream_tbENKUlT_T0_E_clISt17integral_constantIbLb0EES13_EEDaSY_SZ_EUlSY_E_NS1_11comp_targetILNS1_3genE10ELNS1_11target_archE1200ELNS1_3gpuE4ELNS1_3repE0EEENS1_30default_config_static_selectorELNS0_4arch9wavefront6targetE1EEEvT1_
                                        ; -- End function
	.section	.AMDGPU.csdata,"",@progbits
; Kernel info:
; codeLenInByte = 0
; NumSgprs: 4
; NumVgprs: 0
; NumAgprs: 0
; TotalNumVgprs: 0
; ScratchSize: 0
; MemoryBound: 0
; FloatMode: 240
; IeeeMode: 1
; LDSByteSize: 0 bytes/workgroup (compile time only)
; SGPRBlocks: 0
; VGPRBlocks: 0
; NumSGPRsForWavesPerEU: 4
; NumVGPRsForWavesPerEU: 1
; AccumOffset: 4
; Occupancy: 8
; WaveLimiterHint : 0
; COMPUTE_PGM_RSRC2:SCRATCH_EN: 0
; COMPUTE_PGM_RSRC2:USER_SGPR: 6
; COMPUTE_PGM_RSRC2:TRAP_HANDLER: 0
; COMPUTE_PGM_RSRC2:TGID_X_EN: 1
; COMPUTE_PGM_RSRC2:TGID_Y_EN: 0
; COMPUTE_PGM_RSRC2:TGID_Z_EN: 0
; COMPUTE_PGM_RSRC2:TIDIG_COMP_CNT: 0
; COMPUTE_PGM_RSRC3_GFX90A:ACCUM_OFFSET: 0
; COMPUTE_PGM_RSRC3_GFX90A:TG_SPLIT: 0
	.section	.text._ZN7rocprim17ROCPRIM_400000_NS6detail17trampoline_kernelINS0_14default_configENS1_29reduce_by_key_config_selectorIijN6thrust23THRUST_200600_302600_NS4plusIjEEEEZZNS1_33reduce_by_key_impl_wrapped_configILNS1_25lookback_scan_determinismE0ES3_S9_NS6_6detail15normal_iteratorINS6_10device_ptrIiEEEENSD_INSE_IjEEEESG_SI_PmS8_NS6_8equal_toIiEEEE10hipError_tPvRmT2_T3_mT4_T5_T6_T7_T8_P12ihipStream_tbENKUlT_T0_E_clISt17integral_constantIbLb0EES13_EEDaSY_SZ_EUlSY_E_NS1_11comp_targetILNS1_3genE9ELNS1_11target_archE1100ELNS1_3gpuE3ELNS1_3repE0EEENS1_30default_config_static_selectorELNS0_4arch9wavefront6targetE1EEEvT1_,"axG",@progbits,_ZN7rocprim17ROCPRIM_400000_NS6detail17trampoline_kernelINS0_14default_configENS1_29reduce_by_key_config_selectorIijN6thrust23THRUST_200600_302600_NS4plusIjEEEEZZNS1_33reduce_by_key_impl_wrapped_configILNS1_25lookback_scan_determinismE0ES3_S9_NS6_6detail15normal_iteratorINS6_10device_ptrIiEEEENSD_INSE_IjEEEESG_SI_PmS8_NS6_8equal_toIiEEEE10hipError_tPvRmT2_T3_mT4_T5_T6_T7_T8_P12ihipStream_tbENKUlT_T0_E_clISt17integral_constantIbLb0EES13_EEDaSY_SZ_EUlSY_E_NS1_11comp_targetILNS1_3genE9ELNS1_11target_archE1100ELNS1_3gpuE3ELNS1_3repE0EEENS1_30default_config_static_selectorELNS0_4arch9wavefront6targetE1EEEvT1_,comdat
	.protected	_ZN7rocprim17ROCPRIM_400000_NS6detail17trampoline_kernelINS0_14default_configENS1_29reduce_by_key_config_selectorIijN6thrust23THRUST_200600_302600_NS4plusIjEEEEZZNS1_33reduce_by_key_impl_wrapped_configILNS1_25lookback_scan_determinismE0ES3_S9_NS6_6detail15normal_iteratorINS6_10device_ptrIiEEEENSD_INSE_IjEEEESG_SI_PmS8_NS6_8equal_toIiEEEE10hipError_tPvRmT2_T3_mT4_T5_T6_T7_T8_P12ihipStream_tbENKUlT_T0_E_clISt17integral_constantIbLb0EES13_EEDaSY_SZ_EUlSY_E_NS1_11comp_targetILNS1_3genE9ELNS1_11target_archE1100ELNS1_3gpuE3ELNS1_3repE0EEENS1_30default_config_static_selectorELNS0_4arch9wavefront6targetE1EEEvT1_ ; -- Begin function _ZN7rocprim17ROCPRIM_400000_NS6detail17trampoline_kernelINS0_14default_configENS1_29reduce_by_key_config_selectorIijN6thrust23THRUST_200600_302600_NS4plusIjEEEEZZNS1_33reduce_by_key_impl_wrapped_configILNS1_25lookback_scan_determinismE0ES3_S9_NS6_6detail15normal_iteratorINS6_10device_ptrIiEEEENSD_INSE_IjEEEESG_SI_PmS8_NS6_8equal_toIiEEEE10hipError_tPvRmT2_T3_mT4_T5_T6_T7_T8_P12ihipStream_tbENKUlT_T0_E_clISt17integral_constantIbLb0EES13_EEDaSY_SZ_EUlSY_E_NS1_11comp_targetILNS1_3genE9ELNS1_11target_archE1100ELNS1_3gpuE3ELNS1_3repE0EEENS1_30default_config_static_selectorELNS0_4arch9wavefront6targetE1EEEvT1_
	.globl	_ZN7rocprim17ROCPRIM_400000_NS6detail17trampoline_kernelINS0_14default_configENS1_29reduce_by_key_config_selectorIijN6thrust23THRUST_200600_302600_NS4plusIjEEEEZZNS1_33reduce_by_key_impl_wrapped_configILNS1_25lookback_scan_determinismE0ES3_S9_NS6_6detail15normal_iteratorINS6_10device_ptrIiEEEENSD_INSE_IjEEEESG_SI_PmS8_NS6_8equal_toIiEEEE10hipError_tPvRmT2_T3_mT4_T5_T6_T7_T8_P12ihipStream_tbENKUlT_T0_E_clISt17integral_constantIbLb0EES13_EEDaSY_SZ_EUlSY_E_NS1_11comp_targetILNS1_3genE9ELNS1_11target_archE1100ELNS1_3gpuE3ELNS1_3repE0EEENS1_30default_config_static_selectorELNS0_4arch9wavefront6targetE1EEEvT1_
	.p2align	8
	.type	_ZN7rocprim17ROCPRIM_400000_NS6detail17trampoline_kernelINS0_14default_configENS1_29reduce_by_key_config_selectorIijN6thrust23THRUST_200600_302600_NS4plusIjEEEEZZNS1_33reduce_by_key_impl_wrapped_configILNS1_25lookback_scan_determinismE0ES3_S9_NS6_6detail15normal_iteratorINS6_10device_ptrIiEEEENSD_INSE_IjEEEESG_SI_PmS8_NS6_8equal_toIiEEEE10hipError_tPvRmT2_T3_mT4_T5_T6_T7_T8_P12ihipStream_tbENKUlT_T0_E_clISt17integral_constantIbLb0EES13_EEDaSY_SZ_EUlSY_E_NS1_11comp_targetILNS1_3genE9ELNS1_11target_archE1100ELNS1_3gpuE3ELNS1_3repE0EEENS1_30default_config_static_selectorELNS0_4arch9wavefront6targetE1EEEvT1_,@function
_ZN7rocprim17ROCPRIM_400000_NS6detail17trampoline_kernelINS0_14default_configENS1_29reduce_by_key_config_selectorIijN6thrust23THRUST_200600_302600_NS4plusIjEEEEZZNS1_33reduce_by_key_impl_wrapped_configILNS1_25lookback_scan_determinismE0ES3_S9_NS6_6detail15normal_iteratorINS6_10device_ptrIiEEEENSD_INSE_IjEEEESG_SI_PmS8_NS6_8equal_toIiEEEE10hipError_tPvRmT2_T3_mT4_T5_T6_T7_T8_P12ihipStream_tbENKUlT_T0_E_clISt17integral_constantIbLb0EES13_EEDaSY_SZ_EUlSY_E_NS1_11comp_targetILNS1_3genE9ELNS1_11target_archE1100ELNS1_3gpuE3ELNS1_3repE0EEENS1_30default_config_static_selectorELNS0_4arch9wavefront6targetE1EEEvT1_: ; @_ZN7rocprim17ROCPRIM_400000_NS6detail17trampoline_kernelINS0_14default_configENS1_29reduce_by_key_config_selectorIijN6thrust23THRUST_200600_302600_NS4plusIjEEEEZZNS1_33reduce_by_key_impl_wrapped_configILNS1_25lookback_scan_determinismE0ES3_S9_NS6_6detail15normal_iteratorINS6_10device_ptrIiEEEENSD_INSE_IjEEEESG_SI_PmS8_NS6_8equal_toIiEEEE10hipError_tPvRmT2_T3_mT4_T5_T6_T7_T8_P12ihipStream_tbENKUlT_T0_E_clISt17integral_constantIbLb0EES13_EEDaSY_SZ_EUlSY_E_NS1_11comp_targetILNS1_3genE9ELNS1_11target_archE1100ELNS1_3gpuE3ELNS1_3repE0EEENS1_30default_config_static_selectorELNS0_4arch9wavefront6targetE1EEEvT1_
; %bb.0:
	.section	.rodata,"a",@progbits
	.p2align	6, 0x0
	.amdhsa_kernel _ZN7rocprim17ROCPRIM_400000_NS6detail17trampoline_kernelINS0_14default_configENS1_29reduce_by_key_config_selectorIijN6thrust23THRUST_200600_302600_NS4plusIjEEEEZZNS1_33reduce_by_key_impl_wrapped_configILNS1_25lookback_scan_determinismE0ES3_S9_NS6_6detail15normal_iteratorINS6_10device_ptrIiEEEENSD_INSE_IjEEEESG_SI_PmS8_NS6_8equal_toIiEEEE10hipError_tPvRmT2_T3_mT4_T5_T6_T7_T8_P12ihipStream_tbENKUlT_T0_E_clISt17integral_constantIbLb0EES13_EEDaSY_SZ_EUlSY_E_NS1_11comp_targetILNS1_3genE9ELNS1_11target_archE1100ELNS1_3gpuE3ELNS1_3repE0EEENS1_30default_config_static_selectorELNS0_4arch9wavefront6targetE1EEEvT1_
		.amdhsa_group_segment_fixed_size 0
		.amdhsa_private_segment_fixed_size 0
		.amdhsa_kernarg_size 120
		.amdhsa_user_sgpr_count 6
		.amdhsa_user_sgpr_private_segment_buffer 1
		.amdhsa_user_sgpr_dispatch_ptr 0
		.amdhsa_user_sgpr_queue_ptr 0
		.amdhsa_user_sgpr_kernarg_segment_ptr 1
		.amdhsa_user_sgpr_dispatch_id 0
		.amdhsa_user_sgpr_flat_scratch_init 0
		.amdhsa_user_sgpr_kernarg_preload_length 0
		.amdhsa_user_sgpr_kernarg_preload_offset 0
		.amdhsa_user_sgpr_private_segment_size 0
		.amdhsa_uses_dynamic_stack 0
		.amdhsa_system_sgpr_private_segment_wavefront_offset 0
		.amdhsa_system_sgpr_workgroup_id_x 1
		.amdhsa_system_sgpr_workgroup_id_y 0
		.amdhsa_system_sgpr_workgroup_id_z 0
		.amdhsa_system_sgpr_workgroup_info 0
		.amdhsa_system_vgpr_workitem_id 0
		.amdhsa_next_free_vgpr 1
		.amdhsa_next_free_sgpr 0
		.amdhsa_accum_offset 4
		.amdhsa_reserve_vcc 0
		.amdhsa_reserve_flat_scratch 0
		.amdhsa_float_round_mode_32 0
		.amdhsa_float_round_mode_16_64 0
		.amdhsa_float_denorm_mode_32 3
		.amdhsa_float_denorm_mode_16_64 3
		.amdhsa_dx10_clamp 1
		.amdhsa_ieee_mode 1
		.amdhsa_fp16_overflow 0
		.amdhsa_tg_split 0
		.amdhsa_exception_fp_ieee_invalid_op 0
		.amdhsa_exception_fp_denorm_src 0
		.amdhsa_exception_fp_ieee_div_zero 0
		.amdhsa_exception_fp_ieee_overflow 0
		.amdhsa_exception_fp_ieee_underflow 0
		.amdhsa_exception_fp_ieee_inexact 0
		.amdhsa_exception_int_div_zero 0
	.end_amdhsa_kernel
	.section	.text._ZN7rocprim17ROCPRIM_400000_NS6detail17trampoline_kernelINS0_14default_configENS1_29reduce_by_key_config_selectorIijN6thrust23THRUST_200600_302600_NS4plusIjEEEEZZNS1_33reduce_by_key_impl_wrapped_configILNS1_25lookback_scan_determinismE0ES3_S9_NS6_6detail15normal_iteratorINS6_10device_ptrIiEEEENSD_INSE_IjEEEESG_SI_PmS8_NS6_8equal_toIiEEEE10hipError_tPvRmT2_T3_mT4_T5_T6_T7_T8_P12ihipStream_tbENKUlT_T0_E_clISt17integral_constantIbLb0EES13_EEDaSY_SZ_EUlSY_E_NS1_11comp_targetILNS1_3genE9ELNS1_11target_archE1100ELNS1_3gpuE3ELNS1_3repE0EEENS1_30default_config_static_selectorELNS0_4arch9wavefront6targetE1EEEvT1_,"axG",@progbits,_ZN7rocprim17ROCPRIM_400000_NS6detail17trampoline_kernelINS0_14default_configENS1_29reduce_by_key_config_selectorIijN6thrust23THRUST_200600_302600_NS4plusIjEEEEZZNS1_33reduce_by_key_impl_wrapped_configILNS1_25lookback_scan_determinismE0ES3_S9_NS6_6detail15normal_iteratorINS6_10device_ptrIiEEEENSD_INSE_IjEEEESG_SI_PmS8_NS6_8equal_toIiEEEE10hipError_tPvRmT2_T3_mT4_T5_T6_T7_T8_P12ihipStream_tbENKUlT_T0_E_clISt17integral_constantIbLb0EES13_EEDaSY_SZ_EUlSY_E_NS1_11comp_targetILNS1_3genE9ELNS1_11target_archE1100ELNS1_3gpuE3ELNS1_3repE0EEENS1_30default_config_static_selectorELNS0_4arch9wavefront6targetE1EEEvT1_,comdat
.Lfunc_end812:
	.size	_ZN7rocprim17ROCPRIM_400000_NS6detail17trampoline_kernelINS0_14default_configENS1_29reduce_by_key_config_selectorIijN6thrust23THRUST_200600_302600_NS4plusIjEEEEZZNS1_33reduce_by_key_impl_wrapped_configILNS1_25lookback_scan_determinismE0ES3_S9_NS6_6detail15normal_iteratorINS6_10device_ptrIiEEEENSD_INSE_IjEEEESG_SI_PmS8_NS6_8equal_toIiEEEE10hipError_tPvRmT2_T3_mT4_T5_T6_T7_T8_P12ihipStream_tbENKUlT_T0_E_clISt17integral_constantIbLb0EES13_EEDaSY_SZ_EUlSY_E_NS1_11comp_targetILNS1_3genE9ELNS1_11target_archE1100ELNS1_3gpuE3ELNS1_3repE0EEENS1_30default_config_static_selectorELNS0_4arch9wavefront6targetE1EEEvT1_, .Lfunc_end812-_ZN7rocprim17ROCPRIM_400000_NS6detail17trampoline_kernelINS0_14default_configENS1_29reduce_by_key_config_selectorIijN6thrust23THRUST_200600_302600_NS4plusIjEEEEZZNS1_33reduce_by_key_impl_wrapped_configILNS1_25lookback_scan_determinismE0ES3_S9_NS6_6detail15normal_iteratorINS6_10device_ptrIiEEEENSD_INSE_IjEEEESG_SI_PmS8_NS6_8equal_toIiEEEE10hipError_tPvRmT2_T3_mT4_T5_T6_T7_T8_P12ihipStream_tbENKUlT_T0_E_clISt17integral_constantIbLb0EES13_EEDaSY_SZ_EUlSY_E_NS1_11comp_targetILNS1_3genE9ELNS1_11target_archE1100ELNS1_3gpuE3ELNS1_3repE0EEENS1_30default_config_static_selectorELNS0_4arch9wavefront6targetE1EEEvT1_
                                        ; -- End function
	.section	.AMDGPU.csdata,"",@progbits
; Kernel info:
; codeLenInByte = 0
; NumSgprs: 4
; NumVgprs: 0
; NumAgprs: 0
; TotalNumVgprs: 0
; ScratchSize: 0
; MemoryBound: 0
; FloatMode: 240
; IeeeMode: 1
; LDSByteSize: 0 bytes/workgroup (compile time only)
; SGPRBlocks: 0
; VGPRBlocks: 0
; NumSGPRsForWavesPerEU: 4
; NumVGPRsForWavesPerEU: 1
; AccumOffset: 4
; Occupancy: 8
; WaveLimiterHint : 0
; COMPUTE_PGM_RSRC2:SCRATCH_EN: 0
; COMPUTE_PGM_RSRC2:USER_SGPR: 6
; COMPUTE_PGM_RSRC2:TRAP_HANDLER: 0
; COMPUTE_PGM_RSRC2:TGID_X_EN: 1
; COMPUTE_PGM_RSRC2:TGID_Y_EN: 0
; COMPUTE_PGM_RSRC2:TGID_Z_EN: 0
; COMPUTE_PGM_RSRC2:TIDIG_COMP_CNT: 0
; COMPUTE_PGM_RSRC3_GFX90A:ACCUM_OFFSET: 0
; COMPUTE_PGM_RSRC3_GFX90A:TG_SPLIT: 0
	.section	.text._ZN7rocprim17ROCPRIM_400000_NS6detail17trampoline_kernelINS0_14default_configENS1_29reduce_by_key_config_selectorIijN6thrust23THRUST_200600_302600_NS4plusIjEEEEZZNS1_33reduce_by_key_impl_wrapped_configILNS1_25lookback_scan_determinismE0ES3_S9_NS6_6detail15normal_iteratorINS6_10device_ptrIiEEEENSD_INSE_IjEEEESG_SI_PmS8_NS6_8equal_toIiEEEE10hipError_tPvRmT2_T3_mT4_T5_T6_T7_T8_P12ihipStream_tbENKUlT_T0_E_clISt17integral_constantIbLb0EES13_EEDaSY_SZ_EUlSY_E_NS1_11comp_targetILNS1_3genE8ELNS1_11target_archE1030ELNS1_3gpuE2ELNS1_3repE0EEENS1_30default_config_static_selectorELNS0_4arch9wavefront6targetE1EEEvT1_,"axG",@progbits,_ZN7rocprim17ROCPRIM_400000_NS6detail17trampoline_kernelINS0_14default_configENS1_29reduce_by_key_config_selectorIijN6thrust23THRUST_200600_302600_NS4plusIjEEEEZZNS1_33reduce_by_key_impl_wrapped_configILNS1_25lookback_scan_determinismE0ES3_S9_NS6_6detail15normal_iteratorINS6_10device_ptrIiEEEENSD_INSE_IjEEEESG_SI_PmS8_NS6_8equal_toIiEEEE10hipError_tPvRmT2_T3_mT4_T5_T6_T7_T8_P12ihipStream_tbENKUlT_T0_E_clISt17integral_constantIbLb0EES13_EEDaSY_SZ_EUlSY_E_NS1_11comp_targetILNS1_3genE8ELNS1_11target_archE1030ELNS1_3gpuE2ELNS1_3repE0EEENS1_30default_config_static_selectorELNS0_4arch9wavefront6targetE1EEEvT1_,comdat
	.protected	_ZN7rocprim17ROCPRIM_400000_NS6detail17trampoline_kernelINS0_14default_configENS1_29reduce_by_key_config_selectorIijN6thrust23THRUST_200600_302600_NS4plusIjEEEEZZNS1_33reduce_by_key_impl_wrapped_configILNS1_25lookback_scan_determinismE0ES3_S9_NS6_6detail15normal_iteratorINS6_10device_ptrIiEEEENSD_INSE_IjEEEESG_SI_PmS8_NS6_8equal_toIiEEEE10hipError_tPvRmT2_T3_mT4_T5_T6_T7_T8_P12ihipStream_tbENKUlT_T0_E_clISt17integral_constantIbLb0EES13_EEDaSY_SZ_EUlSY_E_NS1_11comp_targetILNS1_3genE8ELNS1_11target_archE1030ELNS1_3gpuE2ELNS1_3repE0EEENS1_30default_config_static_selectorELNS0_4arch9wavefront6targetE1EEEvT1_ ; -- Begin function _ZN7rocprim17ROCPRIM_400000_NS6detail17trampoline_kernelINS0_14default_configENS1_29reduce_by_key_config_selectorIijN6thrust23THRUST_200600_302600_NS4plusIjEEEEZZNS1_33reduce_by_key_impl_wrapped_configILNS1_25lookback_scan_determinismE0ES3_S9_NS6_6detail15normal_iteratorINS6_10device_ptrIiEEEENSD_INSE_IjEEEESG_SI_PmS8_NS6_8equal_toIiEEEE10hipError_tPvRmT2_T3_mT4_T5_T6_T7_T8_P12ihipStream_tbENKUlT_T0_E_clISt17integral_constantIbLb0EES13_EEDaSY_SZ_EUlSY_E_NS1_11comp_targetILNS1_3genE8ELNS1_11target_archE1030ELNS1_3gpuE2ELNS1_3repE0EEENS1_30default_config_static_selectorELNS0_4arch9wavefront6targetE1EEEvT1_
	.globl	_ZN7rocprim17ROCPRIM_400000_NS6detail17trampoline_kernelINS0_14default_configENS1_29reduce_by_key_config_selectorIijN6thrust23THRUST_200600_302600_NS4plusIjEEEEZZNS1_33reduce_by_key_impl_wrapped_configILNS1_25lookback_scan_determinismE0ES3_S9_NS6_6detail15normal_iteratorINS6_10device_ptrIiEEEENSD_INSE_IjEEEESG_SI_PmS8_NS6_8equal_toIiEEEE10hipError_tPvRmT2_T3_mT4_T5_T6_T7_T8_P12ihipStream_tbENKUlT_T0_E_clISt17integral_constantIbLb0EES13_EEDaSY_SZ_EUlSY_E_NS1_11comp_targetILNS1_3genE8ELNS1_11target_archE1030ELNS1_3gpuE2ELNS1_3repE0EEENS1_30default_config_static_selectorELNS0_4arch9wavefront6targetE1EEEvT1_
	.p2align	8
	.type	_ZN7rocprim17ROCPRIM_400000_NS6detail17trampoline_kernelINS0_14default_configENS1_29reduce_by_key_config_selectorIijN6thrust23THRUST_200600_302600_NS4plusIjEEEEZZNS1_33reduce_by_key_impl_wrapped_configILNS1_25lookback_scan_determinismE0ES3_S9_NS6_6detail15normal_iteratorINS6_10device_ptrIiEEEENSD_INSE_IjEEEESG_SI_PmS8_NS6_8equal_toIiEEEE10hipError_tPvRmT2_T3_mT4_T5_T6_T7_T8_P12ihipStream_tbENKUlT_T0_E_clISt17integral_constantIbLb0EES13_EEDaSY_SZ_EUlSY_E_NS1_11comp_targetILNS1_3genE8ELNS1_11target_archE1030ELNS1_3gpuE2ELNS1_3repE0EEENS1_30default_config_static_selectorELNS0_4arch9wavefront6targetE1EEEvT1_,@function
_ZN7rocprim17ROCPRIM_400000_NS6detail17trampoline_kernelINS0_14default_configENS1_29reduce_by_key_config_selectorIijN6thrust23THRUST_200600_302600_NS4plusIjEEEEZZNS1_33reduce_by_key_impl_wrapped_configILNS1_25lookback_scan_determinismE0ES3_S9_NS6_6detail15normal_iteratorINS6_10device_ptrIiEEEENSD_INSE_IjEEEESG_SI_PmS8_NS6_8equal_toIiEEEE10hipError_tPvRmT2_T3_mT4_T5_T6_T7_T8_P12ihipStream_tbENKUlT_T0_E_clISt17integral_constantIbLb0EES13_EEDaSY_SZ_EUlSY_E_NS1_11comp_targetILNS1_3genE8ELNS1_11target_archE1030ELNS1_3gpuE2ELNS1_3repE0EEENS1_30default_config_static_selectorELNS0_4arch9wavefront6targetE1EEEvT1_: ; @_ZN7rocprim17ROCPRIM_400000_NS6detail17trampoline_kernelINS0_14default_configENS1_29reduce_by_key_config_selectorIijN6thrust23THRUST_200600_302600_NS4plusIjEEEEZZNS1_33reduce_by_key_impl_wrapped_configILNS1_25lookback_scan_determinismE0ES3_S9_NS6_6detail15normal_iteratorINS6_10device_ptrIiEEEENSD_INSE_IjEEEESG_SI_PmS8_NS6_8equal_toIiEEEE10hipError_tPvRmT2_T3_mT4_T5_T6_T7_T8_P12ihipStream_tbENKUlT_T0_E_clISt17integral_constantIbLb0EES13_EEDaSY_SZ_EUlSY_E_NS1_11comp_targetILNS1_3genE8ELNS1_11target_archE1030ELNS1_3gpuE2ELNS1_3repE0EEENS1_30default_config_static_selectorELNS0_4arch9wavefront6targetE1EEEvT1_
; %bb.0:
	.section	.rodata,"a",@progbits
	.p2align	6, 0x0
	.amdhsa_kernel _ZN7rocprim17ROCPRIM_400000_NS6detail17trampoline_kernelINS0_14default_configENS1_29reduce_by_key_config_selectorIijN6thrust23THRUST_200600_302600_NS4plusIjEEEEZZNS1_33reduce_by_key_impl_wrapped_configILNS1_25lookback_scan_determinismE0ES3_S9_NS6_6detail15normal_iteratorINS6_10device_ptrIiEEEENSD_INSE_IjEEEESG_SI_PmS8_NS6_8equal_toIiEEEE10hipError_tPvRmT2_T3_mT4_T5_T6_T7_T8_P12ihipStream_tbENKUlT_T0_E_clISt17integral_constantIbLb0EES13_EEDaSY_SZ_EUlSY_E_NS1_11comp_targetILNS1_3genE8ELNS1_11target_archE1030ELNS1_3gpuE2ELNS1_3repE0EEENS1_30default_config_static_selectorELNS0_4arch9wavefront6targetE1EEEvT1_
		.amdhsa_group_segment_fixed_size 0
		.amdhsa_private_segment_fixed_size 0
		.amdhsa_kernarg_size 120
		.amdhsa_user_sgpr_count 6
		.amdhsa_user_sgpr_private_segment_buffer 1
		.amdhsa_user_sgpr_dispatch_ptr 0
		.amdhsa_user_sgpr_queue_ptr 0
		.amdhsa_user_sgpr_kernarg_segment_ptr 1
		.amdhsa_user_sgpr_dispatch_id 0
		.amdhsa_user_sgpr_flat_scratch_init 0
		.amdhsa_user_sgpr_kernarg_preload_length 0
		.amdhsa_user_sgpr_kernarg_preload_offset 0
		.amdhsa_user_sgpr_private_segment_size 0
		.amdhsa_uses_dynamic_stack 0
		.amdhsa_system_sgpr_private_segment_wavefront_offset 0
		.amdhsa_system_sgpr_workgroup_id_x 1
		.amdhsa_system_sgpr_workgroup_id_y 0
		.amdhsa_system_sgpr_workgroup_id_z 0
		.amdhsa_system_sgpr_workgroup_info 0
		.amdhsa_system_vgpr_workitem_id 0
		.amdhsa_next_free_vgpr 1
		.amdhsa_next_free_sgpr 0
		.amdhsa_accum_offset 4
		.amdhsa_reserve_vcc 0
		.amdhsa_reserve_flat_scratch 0
		.amdhsa_float_round_mode_32 0
		.amdhsa_float_round_mode_16_64 0
		.amdhsa_float_denorm_mode_32 3
		.amdhsa_float_denorm_mode_16_64 3
		.amdhsa_dx10_clamp 1
		.amdhsa_ieee_mode 1
		.amdhsa_fp16_overflow 0
		.amdhsa_tg_split 0
		.amdhsa_exception_fp_ieee_invalid_op 0
		.amdhsa_exception_fp_denorm_src 0
		.amdhsa_exception_fp_ieee_div_zero 0
		.amdhsa_exception_fp_ieee_overflow 0
		.amdhsa_exception_fp_ieee_underflow 0
		.amdhsa_exception_fp_ieee_inexact 0
		.amdhsa_exception_int_div_zero 0
	.end_amdhsa_kernel
	.section	.text._ZN7rocprim17ROCPRIM_400000_NS6detail17trampoline_kernelINS0_14default_configENS1_29reduce_by_key_config_selectorIijN6thrust23THRUST_200600_302600_NS4plusIjEEEEZZNS1_33reduce_by_key_impl_wrapped_configILNS1_25lookback_scan_determinismE0ES3_S9_NS6_6detail15normal_iteratorINS6_10device_ptrIiEEEENSD_INSE_IjEEEESG_SI_PmS8_NS6_8equal_toIiEEEE10hipError_tPvRmT2_T3_mT4_T5_T6_T7_T8_P12ihipStream_tbENKUlT_T0_E_clISt17integral_constantIbLb0EES13_EEDaSY_SZ_EUlSY_E_NS1_11comp_targetILNS1_3genE8ELNS1_11target_archE1030ELNS1_3gpuE2ELNS1_3repE0EEENS1_30default_config_static_selectorELNS0_4arch9wavefront6targetE1EEEvT1_,"axG",@progbits,_ZN7rocprim17ROCPRIM_400000_NS6detail17trampoline_kernelINS0_14default_configENS1_29reduce_by_key_config_selectorIijN6thrust23THRUST_200600_302600_NS4plusIjEEEEZZNS1_33reduce_by_key_impl_wrapped_configILNS1_25lookback_scan_determinismE0ES3_S9_NS6_6detail15normal_iteratorINS6_10device_ptrIiEEEENSD_INSE_IjEEEESG_SI_PmS8_NS6_8equal_toIiEEEE10hipError_tPvRmT2_T3_mT4_T5_T6_T7_T8_P12ihipStream_tbENKUlT_T0_E_clISt17integral_constantIbLb0EES13_EEDaSY_SZ_EUlSY_E_NS1_11comp_targetILNS1_3genE8ELNS1_11target_archE1030ELNS1_3gpuE2ELNS1_3repE0EEENS1_30default_config_static_selectorELNS0_4arch9wavefront6targetE1EEEvT1_,comdat
.Lfunc_end813:
	.size	_ZN7rocprim17ROCPRIM_400000_NS6detail17trampoline_kernelINS0_14default_configENS1_29reduce_by_key_config_selectorIijN6thrust23THRUST_200600_302600_NS4plusIjEEEEZZNS1_33reduce_by_key_impl_wrapped_configILNS1_25lookback_scan_determinismE0ES3_S9_NS6_6detail15normal_iteratorINS6_10device_ptrIiEEEENSD_INSE_IjEEEESG_SI_PmS8_NS6_8equal_toIiEEEE10hipError_tPvRmT2_T3_mT4_T5_T6_T7_T8_P12ihipStream_tbENKUlT_T0_E_clISt17integral_constantIbLb0EES13_EEDaSY_SZ_EUlSY_E_NS1_11comp_targetILNS1_3genE8ELNS1_11target_archE1030ELNS1_3gpuE2ELNS1_3repE0EEENS1_30default_config_static_selectorELNS0_4arch9wavefront6targetE1EEEvT1_, .Lfunc_end813-_ZN7rocprim17ROCPRIM_400000_NS6detail17trampoline_kernelINS0_14default_configENS1_29reduce_by_key_config_selectorIijN6thrust23THRUST_200600_302600_NS4plusIjEEEEZZNS1_33reduce_by_key_impl_wrapped_configILNS1_25lookback_scan_determinismE0ES3_S9_NS6_6detail15normal_iteratorINS6_10device_ptrIiEEEENSD_INSE_IjEEEESG_SI_PmS8_NS6_8equal_toIiEEEE10hipError_tPvRmT2_T3_mT4_T5_T6_T7_T8_P12ihipStream_tbENKUlT_T0_E_clISt17integral_constantIbLb0EES13_EEDaSY_SZ_EUlSY_E_NS1_11comp_targetILNS1_3genE8ELNS1_11target_archE1030ELNS1_3gpuE2ELNS1_3repE0EEENS1_30default_config_static_selectorELNS0_4arch9wavefront6targetE1EEEvT1_
                                        ; -- End function
	.section	.AMDGPU.csdata,"",@progbits
; Kernel info:
; codeLenInByte = 0
; NumSgprs: 4
; NumVgprs: 0
; NumAgprs: 0
; TotalNumVgprs: 0
; ScratchSize: 0
; MemoryBound: 0
; FloatMode: 240
; IeeeMode: 1
; LDSByteSize: 0 bytes/workgroup (compile time only)
; SGPRBlocks: 0
; VGPRBlocks: 0
; NumSGPRsForWavesPerEU: 4
; NumVGPRsForWavesPerEU: 1
; AccumOffset: 4
; Occupancy: 8
; WaveLimiterHint : 0
; COMPUTE_PGM_RSRC2:SCRATCH_EN: 0
; COMPUTE_PGM_RSRC2:USER_SGPR: 6
; COMPUTE_PGM_RSRC2:TRAP_HANDLER: 0
; COMPUTE_PGM_RSRC2:TGID_X_EN: 1
; COMPUTE_PGM_RSRC2:TGID_Y_EN: 0
; COMPUTE_PGM_RSRC2:TGID_Z_EN: 0
; COMPUTE_PGM_RSRC2:TIDIG_COMP_CNT: 0
; COMPUTE_PGM_RSRC3_GFX90A:ACCUM_OFFSET: 0
; COMPUTE_PGM_RSRC3_GFX90A:TG_SPLIT: 0
	.section	.text._ZN7rocprim17ROCPRIM_400000_NS6detail17trampoline_kernelINS0_14default_configENS1_29reduce_by_key_config_selectorIijN6thrust23THRUST_200600_302600_NS4plusIjEEEEZZNS1_33reduce_by_key_impl_wrapped_configILNS1_25lookback_scan_determinismE0ES3_S9_NS6_6detail15normal_iteratorINS6_10device_ptrIiEEEENSD_INSE_IjEEEESG_SI_PmS8_NS6_8equal_toIiEEEE10hipError_tPvRmT2_T3_mT4_T5_T6_T7_T8_P12ihipStream_tbENKUlT_T0_E_clISt17integral_constantIbLb1EES13_EEDaSY_SZ_EUlSY_E_NS1_11comp_targetILNS1_3genE0ELNS1_11target_archE4294967295ELNS1_3gpuE0ELNS1_3repE0EEENS1_30default_config_static_selectorELNS0_4arch9wavefront6targetE1EEEvT1_,"axG",@progbits,_ZN7rocprim17ROCPRIM_400000_NS6detail17trampoline_kernelINS0_14default_configENS1_29reduce_by_key_config_selectorIijN6thrust23THRUST_200600_302600_NS4plusIjEEEEZZNS1_33reduce_by_key_impl_wrapped_configILNS1_25lookback_scan_determinismE0ES3_S9_NS6_6detail15normal_iteratorINS6_10device_ptrIiEEEENSD_INSE_IjEEEESG_SI_PmS8_NS6_8equal_toIiEEEE10hipError_tPvRmT2_T3_mT4_T5_T6_T7_T8_P12ihipStream_tbENKUlT_T0_E_clISt17integral_constantIbLb1EES13_EEDaSY_SZ_EUlSY_E_NS1_11comp_targetILNS1_3genE0ELNS1_11target_archE4294967295ELNS1_3gpuE0ELNS1_3repE0EEENS1_30default_config_static_selectorELNS0_4arch9wavefront6targetE1EEEvT1_,comdat
	.protected	_ZN7rocprim17ROCPRIM_400000_NS6detail17trampoline_kernelINS0_14default_configENS1_29reduce_by_key_config_selectorIijN6thrust23THRUST_200600_302600_NS4plusIjEEEEZZNS1_33reduce_by_key_impl_wrapped_configILNS1_25lookback_scan_determinismE0ES3_S9_NS6_6detail15normal_iteratorINS6_10device_ptrIiEEEENSD_INSE_IjEEEESG_SI_PmS8_NS6_8equal_toIiEEEE10hipError_tPvRmT2_T3_mT4_T5_T6_T7_T8_P12ihipStream_tbENKUlT_T0_E_clISt17integral_constantIbLb1EES13_EEDaSY_SZ_EUlSY_E_NS1_11comp_targetILNS1_3genE0ELNS1_11target_archE4294967295ELNS1_3gpuE0ELNS1_3repE0EEENS1_30default_config_static_selectorELNS0_4arch9wavefront6targetE1EEEvT1_ ; -- Begin function _ZN7rocprim17ROCPRIM_400000_NS6detail17trampoline_kernelINS0_14default_configENS1_29reduce_by_key_config_selectorIijN6thrust23THRUST_200600_302600_NS4plusIjEEEEZZNS1_33reduce_by_key_impl_wrapped_configILNS1_25lookback_scan_determinismE0ES3_S9_NS6_6detail15normal_iteratorINS6_10device_ptrIiEEEENSD_INSE_IjEEEESG_SI_PmS8_NS6_8equal_toIiEEEE10hipError_tPvRmT2_T3_mT4_T5_T6_T7_T8_P12ihipStream_tbENKUlT_T0_E_clISt17integral_constantIbLb1EES13_EEDaSY_SZ_EUlSY_E_NS1_11comp_targetILNS1_3genE0ELNS1_11target_archE4294967295ELNS1_3gpuE0ELNS1_3repE0EEENS1_30default_config_static_selectorELNS0_4arch9wavefront6targetE1EEEvT1_
	.globl	_ZN7rocprim17ROCPRIM_400000_NS6detail17trampoline_kernelINS0_14default_configENS1_29reduce_by_key_config_selectorIijN6thrust23THRUST_200600_302600_NS4plusIjEEEEZZNS1_33reduce_by_key_impl_wrapped_configILNS1_25lookback_scan_determinismE0ES3_S9_NS6_6detail15normal_iteratorINS6_10device_ptrIiEEEENSD_INSE_IjEEEESG_SI_PmS8_NS6_8equal_toIiEEEE10hipError_tPvRmT2_T3_mT4_T5_T6_T7_T8_P12ihipStream_tbENKUlT_T0_E_clISt17integral_constantIbLb1EES13_EEDaSY_SZ_EUlSY_E_NS1_11comp_targetILNS1_3genE0ELNS1_11target_archE4294967295ELNS1_3gpuE0ELNS1_3repE0EEENS1_30default_config_static_selectorELNS0_4arch9wavefront6targetE1EEEvT1_
	.p2align	8
	.type	_ZN7rocprim17ROCPRIM_400000_NS6detail17trampoline_kernelINS0_14default_configENS1_29reduce_by_key_config_selectorIijN6thrust23THRUST_200600_302600_NS4plusIjEEEEZZNS1_33reduce_by_key_impl_wrapped_configILNS1_25lookback_scan_determinismE0ES3_S9_NS6_6detail15normal_iteratorINS6_10device_ptrIiEEEENSD_INSE_IjEEEESG_SI_PmS8_NS6_8equal_toIiEEEE10hipError_tPvRmT2_T3_mT4_T5_T6_T7_T8_P12ihipStream_tbENKUlT_T0_E_clISt17integral_constantIbLb1EES13_EEDaSY_SZ_EUlSY_E_NS1_11comp_targetILNS1_3genE0ELNS1_11target_archE4294967295ELNS1_3gpuE0ELNS1_3repE0EEENS1_30default_config_static_selectorELNS0_4arch9wavefront6targetE1EEEvT1_,@function
_ZN7rocprim17ROCPRIM_400000_NS6detail17trampoline_kernelINS0_14default_configENS1_29reduce_by_key_config_selectorIijN6thrust23THRUST_200600_302600_NS4plusIjEEEEZZNS1_33reduce_by_key_impl_wrapped_configILNS1_25lookback_scan_determinismE0ES3_S9_NS6_6detail15normal_iteratorINS6_10device_ptrIiEEEENSD_INSE_IjEEEESG_SI_PmS8_NS6_8equal_toIiEEEE10hipError_tPvRmT2_T3_mT4_T5_T6_T7_T8_P12ihipStream_tbENKUlT_T0_E_clISt17integral_constantIbLb1EES13_EEDaSY_SZ_EUlSY_E_NS1_11comp_targetILNS1_3genE0ELNS1_11target_archE4294967295ELNS1_3gpuE0ELNS1_3repE0EEENS1_30default_config_static_selectorELNS0_4arch9wavefront6targetE1EEEvT1_: ; @_ZN7rocprim17ROCPRIM_400000_NS6detail17trampoline_kernelINS0_14default_configENS1_29reduce_by_key_config_selectorIijN6thrust23THRUST_200600_302600_NS4plusIjEEEEZZNS1_33reduce_by_key_impl_wrapped_configILNS1_25lookback_scan_determinismE0ES3_S9_NS6_6detail15normal_iteratorINS6_10device_ptrIiEEEENSD_INSE_IjEEEESG_SI_PmS8_NS6_8equal_toIiEEEE10hipError_tPvRmT2_T3_mT4_T5_T6_T7_T8_P12ihipStream_tbENKUlT_T0_E_clISt17integral_constantIbLb1EES13_EEDaSY_SZ_EUlSY_E_NS1_11comp_targetILNS1_3genE0ELNS1_11target_archE4294967295ELNS1_3gpuE0ELNS1_3repE0EEENS1_30default_config_static_selectorELNS0_4arch9wavefront6targetE1EEEvT1_
; %bb.0:
	.section	.rodata,"a",@progbits
	.p2align	6, 0x0
	.amdhsa_kernel _ZN7rocprim17ROCPRIM_400000_NS6detail17trampoline_kernelINS0_14default_configENS1_29reduce_by_key_config_selectorIijN6thrust23THRUST_200600_302600_NS4plusIjEEEEZZNS1_33reduce_by_key_impl_wrapped_configILNS1_25lookback_scan_determinismE0ES3_S9_NS6_6detail15normal_iteratorINS6_10device_ptrIiEEEENSD_INSE_IjEEEESG_SI_PmS8_NS6_8equal_toIiEEEE10hipError_tPvRmT2_T3_mT4_T5_T6_T7_T8_P12ihipStream_tbENKUlT_T0_E_clISt17integral_constantIbLb1EES13_EEDaSY_SZ_EUlSY_E_NS1_11comp_targetILNS1_3genE0ELNS1_11target_archE4294967295ELNS1_3gpuE0ELNS1_3repE0EEENS1_30default_config_static_selectorELNS0_4arch9wavefront6targetE1EEEvT1_
		.amdhsa_group_segment_fixed_size 0
		.amdhsa_private_segment_fixed_size 0
		.amdhsa_kernarg_size 120
		.amdhsa_user_sgpr_count 6
		.amdhsa_user_sgpr_private_segment_buffer 1
		.amdhsa_user_sgpr_dispatch_ptr 0
		.amdhsa_user_sgpr_queue_ptr 0
		.amdhsa_user_sgpr_kernarg_segment_ptr 1
		.amdhsa_user_sgpr_dispatch_id 0
		.amdhsa_user_sgpr_flat_scratch_init 0
		.amdhsa_user_sgpr_kernarg_preload_length 0
		.amdhsa_user_sgpr_kernarg_preload_offset 0
		.amdhsa_user_sgpr_private_segment_size 0
		.amdhsa_uses_dynamic_stack 0
		.amdhsa_system_sgpr_private_segment_wavefront_offset 0
		.amdhsa_system_sgpr_workgroup_id_x 1
		.amdhsa_system_sgpr_workgroup_id_y 0
		.amdhsa_system_sgpr_workgroup_id_z 0
		.amdhsa_system_sgpr_workgroup_info 0
		.amdhsa_system_vgpr_workitem_id 0
		.amdhsa_next_free_vgpr 1
		.amdhsa_next_free_sgpr 0
		.amdhsa_accum_offset 4
		.amdhsa_reserve_vcc 0
		.amdhsa_reserve_flat_scratch 0
		.amdhsa_float_round_mode_32 0
		.amdhsa_float_round_mode_16_64 0
		.amdhsa_float_denorm_mode_32 3
		.amdhsa_float_denorm_mode_16_64 3
		.amdhsa_dx10_clamp 1
		.amdhsa_ieee_mode 1
		.amdhsa_fp16_overflow 0
		.amdhsa_tg_split 0
		.amdhsa_exception_fp_ieee_invalid_op 0
		.amdhsa_exception_fp_denorm_src 0
		.amdhsa_exception_fp_ieee_div_zero 0
		.amdhsa_exception_fp_ieee_overflow 0
		.amdhsa_exception_fp_ieee_underflow 0
		.amdhsa_exception_fp_ieee_inexact 0
		.amdhsa_exception_int_div_zero 0
	.end_amdhsa_kernel
	.section	.text._ZN7rocprim17ROCPRIM_400000_NS6detail17trampoline_kernelINS0_14default_configENS1_29reduce_by_key_config_selectorIijN6thrust23THRUST_200600_302600_NS4plusIjEEEEZZNS1_33reduce_by_key_impl_wrapped_configILNS1_25lookback_scan_determinismE0ES3_S9_NS6_6detail15normal_iteratorINS6_10device_ptrIiEEEENSD_INSE_IjEEEESG_SI_PmS8_NS6_8equal_toIiEEEE10hipError_tPvRmT2_T3_mT4_T5_T6_T7_T8_P12ihipStream_tbENKUlT_T0_E_clISt17integral_constantIbLb1EES13_EEDaSY_SZ_EUlSY_E_NS1_11comp_targetILNS1_3genE0ELNS1_11target_archE4294967295ELNS1_3gpuE0ELNS1_3repE0EEENS1_30default_config_static_selectorELNS0_4arch9wavefront6targetE1EEEvT1_,"axG",@progbits,_ZN7rocprim17ROCPRIM_400000_NS6detail17trampoline_kernelINS0_14default_configENS1_29reduce_by_key_config_selectorIijN6thrust23THRUST_200600_302600_NS4plusIjEEEEZZNS1_33reduce_by_key_impl_wrapped_configILNS1_25lookback_scan_determinismE0ES3_S9_NS6_6detail15normal_iteratorINS6_10device_ptrIiEEEENSD_INSE_IjEEEESG_SI_PmS8_NS6_8equal_toIiEEEE10hipError_tPvRmT2_T3_mT4_T5_T6_T7_T8_P12ihipStream_tbENKUlT_T0_E_clISt17integral_constantIbLb1EES13_EEDaSY_SZ_EUlSY_E_NS1_11comp_targetILNS1_3genE0ELNS1_11target_archE4294967295ELNS1_3gpuE0ELNS1_3repE0EEENS1_30default_config_static_selectorELNS0_4arch9wavefront6targetE1EEEvT1_,comdat
.Lfunc_end814:
	.size	_ZN7rocprim17ROCPRIM_400000_NS6detail17trampoline_kernelINS0_14default_configENS1_29reduce_by_key_config_selectorIijN6thrust23THRUST_200600_302600_NS4plusIjEEEEZZNS1_33reduce_by_key_impl_wrapped_configILNS1_25lookback_scan_determinismE0ES3_S9_NS6_6detail15normal_iteratorINS6_10device_ptrIiEEEENSD_INSE_IjEEEESG_SI_PmS8_NS6_8equal_toIiEEEE10hipError_tPvRmT2_T3_mT4_T5_T6_T7_T8_P12ihipStream_tbENKUlT_T0_E_clISt17integral_constantIbLb1EES13_EEDaSY_SZ_EUlSY_E_NS1_11comp_targetILNS1_3genE0ELNS1_11target_archE4294967295ELNS1_3gpuE0ELNS1_3repE0EEENS1_30default_config_static_selectorELNS0_4arch9wavefront6targetE1EEEvT1_, .Lfunc_end814-_ZN7rocprim17ROCPRIM_400000_NS6detail17trampoline_kernelINS0_14default_configENS1_29reduce_by_key_config_selectorIijN6thrust23THRUST_200600_302600_NS4plusIjEEEEZZNS1_33reduce_by_key_impl_wrapped_configILNS1_25lookback_scan_determinismE0ES3_S9_NS6_6detail15normal_iteratorINS6_10device_ptrIiEEEENSD_INSE_IjEEEESG_SI_PmS8_NS6_8equal_toIiEEEE10hipError_tPvRmT2_T3_mT4_T5_T6_T7_T8_P12ihipStream_tbENKUlT_T0_E_clISt17integral_constantIbLb1EES13_EEDaSY_SZ_EUlSY_E_NS1_11comp_targetILNS1_3genE0ELNS1_11target_archE4294967295ELNS1_3gpuE0ELNS1_3repE0EEENS1_30default_config_static_selectorELNS0_4arch9wavefront6targetE1EEEvT1_
                                        ; -- End function
	.section	.AMDGPU.csdata,"",@progbits
; Kernel info:
; codeLenInByte = 0
; NumSgprs: 4
; NumVgprs: 0
; NumAgprs: 0
; TotalNumVgprs: 0
; ScratchSize: 0
; MemoryBound: 0
; FloatMode: 240
; IeeeMode: 1
; LDSByteSize: 0 bytes/workgroup (compile time only)
; SGPRBlocks: 0
; VGPRBlocks: 0
; NumSGPRsForWavesPerEU: 4
; NumVGPRsForWavesPerEU: 1
; AccumOffset: 4
; Occupancy: 8
; WaveLimiterHint : 0
; COMPUTE_PGM_RSRC2:SCRATCH_EN: 0
; COMPUTE_PGM_RSRC2:USER_SGPR: 6
; COMPUTE_PGM_RSRC2:TRAP_HANDLER: 0
; COMPUTE_PGM_RSRC2:TGID_X_EN: 1
; COMPUTE_PGM_RSRC2:TGID_Y_EN: 0
; COMPUTE_PGM_RSRC2:TGID_Z_EN: 0
; COMPUTE_PGM_RSRC2:TIDIG_COMP_CNT: 0
; COMPUTE_PGM_RSRC3_GFX90A:ACCUM_OFFSET: 0
; COMPUTE_PGM_RSRC3_GFX90A:TG_SPLIT: 0
	.section	.text._ZN7rocprim17ROCPRIM_400000_NS6detail17trampoline_kernelINS0_14default_configENS1_29reduce_by_key_config_selectorIijN6thrust23THRUST_200600_302600_NS4plusIjEEEEZZNS1_33reduce_by_key_impl_wrapped_configILNS1_25lookback_scan_determinismE0ES3_S9_NS6_6detail15normal_iteratorINS6_10device_ptrIiEEEENSD_INSE_IjEEEESG_SI_PmS8_NS6_8equal_toIiEEEE10hipError_tPvRmT2_T3_mT4_T5_T6_T7_T8_P12ihipStream_tbENKUlT_T0_E_clISt17integral_constantIbLb1EES13_EEDaSY_SZ_EUlSY_E_NS1_11comp_targetILNS1_3genE5ELNS1_11target_archE942ELNS1_3gpuE9ELNS1_3repE0EEENS1_30default_config_static_selectorELNS0_4arch9wavefront6targetE1EEEvT1_,"axG",@progbits,_ZN7rocprim17ROCPRIM_400000_NS6detail17trampoline_kernelINS0_14default_configENS1_29reduce_by_key_config_selectorIijN6thrust23THRUST_200600_302600_NS4plusIjEEEEZZNS1_33reduce_by_key_impl_wrapped_configILNS1_25lookback_scan_determinismE0ES3_S9_NS6_6detail15normal_iteratorINS6_10device_ptrIiEEEENSD_INSE_IjEEEESG_SI_PmS8_NS6_8equal_toIiEEEE10hipError_tPvRmT2_T3_mT4_T5_T6_T7_T8_P12ihipStream_tbENKUlT_T0_E_clISt17integral_constantIbLb1EES13_EEDaSY_SZ_EUlSY_E_NS1_11comp_targetILNS1_3genE5ELNS1_11target_archE942ELNS1_3gpuE9ELNS1_3repE0EEENS1_30default_config_static_selectorELNS0_4arch9wavefront6targetE1EEEvT1_,comdat
	.protected	_ZN7rocprim17ROCPRIM_400000_NS6detail17trampoline_kernelINS0_14default_configENS1_29reduce_by_key_config_selectorIijN6thrust23THRUST_200600_302600_NS4plusIjEEEEZZNS1_33reduce_by_key_impl_wrapped_configILNS1_25lookback_scan_determinismE0ES3_S9_NS6_6detail15normal_iteratorINS6_10device_ptrIiEEEENSD_INSE_IjEEEESG_SI_PmS8_NS6_8equal_toIiEEEE10hipError_tPvRmT2_T3_mT4_T5_T6_T7_T8_P12ihipStream_tbENKUlT_T0_E_clISt17integral_constantIbLb1EES13_EEDaSY_SZ_EUlSY_E_NS1_11comp_targetILNS1_3genE5ELNS1_11target_archE942ELNS1_3gpuE9ELNS1_3repE0EEENS1_30default_config_static_selectorELNS0_4arch9wavefront6targetE1EEEvT1_ ; -- Begin function _ZN7rocprim17ROCPRIM_400000_NS6detail17trampoline_kernelINS0_14default_configENS1_29reduce_by_key_config_selectorIijN6thrust23THRUST_200600_302600_NS4plusIjEEEEZZNS1_33reduce_by_key_impl_wrapped_configILNS1_25lookback_scan_determinismE0ES3_S9_NS6_6detail15normal_iteratorINS6_10device_ptrIiEEEENSD_INSE_IjEEEESG_SI_PmS8_NS6_8equal_toIiEEEE10hipError_tPvRmT2_T3_mT4_T5_T6_T7_T8_P12ihipStream_tbENKUlT_T0_E_clISt17integral_constantIbLb1EES13_EEDaSY_SZ_EUlSY_E_NS1_11comp_targetILNS1_3genE5ELNS1_11target_archE942ELNS1_3gpuE9ELNS1_3repE0EEENS1_30default_config_static_selectorELNS0_4arch9wavefront6targetE1EEEvT1_
	.globl	_ZN7rocprim17ROCPRIM_400000_NS6detail17trampoline_kernelINS0_14default_configENS1_29reduce_by_key_config_selectorIijN6thrust23THRUST_200600_302600_NS4plusIjEEEEZZNS1_33reduce_by_key_impl_wrapped_configILNS1_25lookback_scan_determinismE0ES3_S9_NS6_6detail15normal_iteratorINS6_10device_ptrIiEEEENSD_INSE_IjEEEESG_SI_PmS8_NS6_8equal_toIiEEEE10hipError_tPvRmT2_T3_mT4_T5_T6_T7_T8_P12ihipStream_tbENKUlT_T0_E_clISt17integral_constantIbLb1EES13_EEDaSY_SZ_EUlSY_E_NS1_11comp_targetILNS1_3genE5ELNS1_11target_archE942ELNS1_3gpuE9ELNS1_3repE0EEENS1_30default_config_static_selectorELNS0_4arch9wavefront6targetE1EEEvT1_
	.p2align	8
	.type	_ZN7rocprim17ROCPRIM_400000_NS6detail17trampoline_kernelINS0_14default_configENS1_29reduce_by_key_config_selectorIijN6thrust23THRUST_200600_302600_NS4plusIjEEEEZZNS1_33reduce_by_key_impl_wrapped_configILNS1_25lookback_scan_determinismE0ES3_S9_NS6_6detail15normal_iteratorINS6_10device_ptrIiEEEENSD_INSE_IjEEEESG_SI_PmS8_NS6_8equal_toIiEEEE10hipError_tPvRmT2_T3_mT4_T5_T6_T7_T8_P12ihipStream_tbENKUlT_T0_E_clISt17integral_constantIbLb1EES13_EEDaSY_SZ_EUlSY_E_NS1_11comp_targetILNS1_3genE5ELNS1_11target_archE942ELNS1_3gpuE9ELNS1_3repE0EEENS1_30default_config_static_selectorELNS0_4arch9wavefront6targetE1EEEvT1_,@function
_ZN7rocprim17ROCPRIM_400000_NS6detail17trampoline_kernelINS0_14default_configENS1_29reduce_by_key_config_selectorIijN6thrust23THRUST_200600_302600_NS4plusIjEEEEZZNS1_33reduce_by_key_impl_wrapped_configILNS1_25lookback_scan_determinismE0ES3_S9_NS6_6detail15normal_iteratorINS6_10device_ptrIiEEEENSD_INSE_IjEEEESG_SI_PmS8_NS6_8equal_toIiEEEE10hipError_tPvRmT2_T3_mT4_T5_T6_T7_T8_P12ihipStream_tbENKUlT_T0_E_clISt17integral_constantIbLb1EES13_EEDaSY_SZ_EUlSY_E_NS1_11comp_targetILNS1_3genE5ELNS1_11target_archE942ELNS1_3gpuE9ELNS1_3repE0EEENS1_30default_config_static_selectorELNS0_4arch9wavefront6targetE1EEEvT1_: ; @_ZN7rocprim17ROCPRIM_400000_NS6detail17trampoline_kernelINS0_14default_configENS1_29reduce_by_key_config_selectorIijN6thrust23THRUST_200600_302600_NS4plusIjEEEEZZNS1_33reduce_by_key_impl_wrapped_configILNS1_25lookback_scan_determinismE0ES3_S9_NS6_6detail15normal_iteratorINS6_10device_ptrIiEEEENSD_INSE_IjEEEESG_SI_PmS8_NS6_8equal_toIiEEEE10hipError_tPvRmT2_T3_mT4_T5_T6_T7_T8_P12ihipStream_tbENKUlT_T0_E_clISt17integral_constantIbLb1EES13_EEDaSY_SZ_EUlSY_E_NS1_11comp_targetILNS1_3genE5ELNS1_11target_archE942ELNS1_3gpuE9ELNS1_3repE0EEENS1_30default_config_static_selectorELNS0_4arch9wavefront6targetE1EEEvT1_
; %bb.0:
	.section	.rodata,"a",@progbits
	.p2align	6, 0x0
	.amdhsa_kernel _ZN7rocprim17ROCPRIM_400000_NS6detail17trampoline_kernelINS0_14default_configENS1_29reduce_by_key_config_selectorIijN6thrust23THRUST_200600_302600_NS4plusIjEEEEZZNS1_33reduce_by_key_impl_wrapped_configILNS1_25lookback_scan_determinismE0ES3_S9_NS6_6detail15normal_iteratorINS6_10device_ptrIiEEEENSD_INSE_IjEEEESG_SI_PmS8_NS6_8equal_toIiEEEE10hipError_tPvRmT2_T3_mT4_T5_T6_T7_T8_P12ihipStream_tbENKUlT_T0_E_clISt17integral_constantIbLb1EES13_EEDaSY_SZ_EUlSY_E_NS1_11comp_targetILNS1_3genE5ELNS1_11target_archE942ELNS1_3gpuE9ELNS1_3repE0EEENS1_30default_config_static_selectorELNS0_4arch9wavefront6targetE1EEEvT1_
		.amdhsa_group_segment_fixed_size 0
		.amdhsa_private_segment_fixed_size 0
		.amdhsa_kernarg_size 120
		.amdhsa_user_sgpr_count 6
		.amdhsa_user_sgpr_private_segment_buffer 1
		.amdhsa_user_sgpr_dispatch_ptr 0
		.amdhsa_user_sgpr_queue_ptr 0
		.amdhsa_user_sgpr_kernarg_segment_ptr 1
		.amdhsa_user_sgpr_dispatch_id 0
		.amdhsa_user_sgpr_flat_scratch_init 0
		.amdhsa_user_sgpr_kernarg_preload_length 0
		.amdhsa_user_sgpr_kernarg_preload_offset 0
		.amdhsa_user_sgpr_private_segment_size 0
		.amdhsa_uses_dynamic_stack 0
		.amdhsa_system_sgpr_private_segment_wavefront_offset 0
		.amdhsa_system_sgpr_workgroup_id_x 1
		.amdhsa_system_sgpr_workgroup_id_y 0
		.amdhsa_system_sgpr_workgroup_id_z 0
		.amdhsa_system_sgpr_workgroup_info 0
		.amdhsa_system_vgpr_workitem_id 0
		.amdhsa_next_free_vgpr 1
		.amdhsa_next_free_sgpr 0
		.amdhsa_accum_offset 4
		.amdhsa_reserve_vcc 0
		.amdhsa_reserve_flat_scratch 0
		.amdhsa_float_round_mode_32 0
		.amdhsa_float_round_mode_16_64 0
		.amdhsa_float_denorm_mode_32 3
		.amdhsa_float_denorm_mode_16_64 3
		.amdhsa_dx10_clamp 1
		.amdhsa_ieee_mode 1
		.amdhsa_fp16_overflow 0
		.amdhsa_tg_split 0
		.amdhsa_exception_fp_ieee_invalid_op 0
		.amdhsa_exception_fp_denorm_src 0
		.amdhsa_exception_fp_ieee_div_zero 0
		.amdhsa_exception_fp_ieee_overflow 0
		.amdhsa_exception_fp_ieee_underflow 0
		.amdhsa_exception_fp_ieee_inexact 0
		.amdhsa_exception_int_div_zero 0
	.end_amdhsa_kernel
	.section	.text._ZN7rocprim17ROCPRIM_400000_NS6detail17trampoline_kernelINS0_14default_configENS1_29reduce_by_key_config_selectorIijN6thrust23THRUST_200600_302600_NS4plusIjEEEEZZNS1_33reduce_by_key_impl_wrapped_configILNS1_25lookback_scan_determinismE0ES3_S9_NS6_6detail15normal_iteratorINS6_10device_ptrIiEEEENSD_INSE_IjEEEESG_SI_PmS8_NS6_8equal_toIiEEEE10hipError_tPvRmT2_T3_mT4_T5_T6_T7_T8_P12ihipStream_tbENKUlT_T0_E_clISt17integral_constantIbLb1EES13_EEDaSY_SZ_EUlSY_E_NS1_11comp_targetILNS1_3genE5ELNS1_11target_archE942ELNS1_3gpuE9ELNS1_3repE0EEENS1_30default_config_static_selectorELNS0_4arch9wavefront6targetE1EEEvT1_,"axG",@progbits,_ZN7rocprim17ROCPRIM_400000_NS6detail17trampoline_kernelINS0_14default_configENS1_29reduce_by_key_config_selectorIijN6thrust23THRUST_200600_302600_NS4plusIjEEEEZZNS1_33reduce_by_key_impl_wrapped_configILNS1_25lookback_scan_determinismE0ES3_S9_NS6_6detail15normal_iteratorINS6_10device_ptrIiEEEENSD_INSE_IjEEEESG_SI_PmS8_NS6_8equal_toIiEEEE10hipError_tPvRmT2_T3_mT4_T5_T6_T7_T8_P12ihipStream_tbENKUlT_T0_E_clISt17integral_constantIbLb1EES13_EEDaSY_SZ_EUlSY_E_NS1_11comp_targetILNS1_3genE5ELNS1_11target_archE942ELNS1_3gpuE9ELNS1_3repE0EEENS1_30default_config_static_selectorELNS0_4arch9wavefront6targetE1EEEvT1_,comdat
.Lfunc_end815:
	.size	_ZN7rocprim17ROCPRIM_400000_NS6detail17trampoline_kernelINS0_14default_configENS1_29reduce_by_key_config_selectorIijN6thrust23THRUST_200600_302600_NS4plusIjEEEEZZNS1_33reduce_by_key_impl_wrapped_configILNS1_25lookback_scan_determinismE0ES3_S9_NS6_6detail15normal_iteratorINS6_10device_ptrIiEEEENSD_INSE_IjEEEESG_SI_PmS8_NS6_8equal_toIiEEEE10hipError_tPvRmT2_T3_mT4_T5_T6_T7_T8_P12ihipStream_tbENKUlT_T0_E_clISt17integral_constantIbLb1EES13_EEDaSY_SZ_EUlSY_E_NS1_11comp_targetILNS1_3genE5ELNS1_11target_archE942ELNS1_3gpuE9ELNS1_3repE0EEENS1_30default_config_static_selectorELNS0_4arch9wavefront6targetE1EEEvT1_, .Lfunc_end815-_ZN7rocprim17ROCPRIM_400000_NS6detail17trampoline_kernelINS0_14default_configENS1_29reduce_by_key_config_selectorIijN6thrust23THRUST_200600_302600_NS4plusIjEEEEZZNS1_33reduce_by_key_impl_wrapped_configILNS1_25lookback_scan_determinismE0ES3_S9_NS6_6detail15normal_iteratorINS6_10device_ptrIiEEEENSD_INSE_IjEEEESG_SI_PmS8_NS6_8equal_toIiEEEE10hipError_tPvRmT2_T3_mT4_T5_T6_T7_T8_P12ihipStream_tbENKUlT_T0_E_clISt17integral_constantIbLb1EES13_EEDaSY_SZ_EUlSY_E_NS1_11comp_targetILNS1_3genE5ELNS1_11target_archE942ELNS1_3gpuE9ELNS1_3repE0EEENS1_30default_config_static_selectorELNS0_4arch9wavefront6targetE1EEEvT1_
                                        ; -- End function
	.section	.AMDGPU.csdata,"",@progbits
; Kernel info:
; codeLenInByte = 0
; NumSgprs: 4
; NumVgprs: 0
; NumAgprs: 0
; TotalNumVgprs: 0
; ScratchSize: 0
; MemoryBound: 0
; FloatMode: 240
; IeeeMode: 1
; LDSByteSize: 0 bytes/workgroup (compile time only)
; SGPRBlocks: 0
; VGPRBlocks: 0
; NumSGPRsForWavesPerEU: 4
; NumVGPRsForWavesPerEU: 1
; AccumOffset: 4
; Occupancy: 8
; WaveLimiterHint : 0
; COMPUTE_PGM_RSRC2:SCRATCH_EN: 0
; COMPUTE_PGM_RSRC2:USER_SGPR: 6
; COMPUTE_PGM_RSRC2:TRAP_HANDLER: 0
; COMPUTE_PGM_RSRC2:TGID_X_EN: 1
; COMPUTE_PGM_RSRC2:TGID_Y_EN: 0
; COMPUTE_PGM_RSRC2:TGID_Z_EN: 0
; COMPUTE_PGM_RSRC2:TIDIG_COMP_CNT: 0
; COMPUTE_PGM_RSRC3_GFX90A:ACCUM_OFFSET: 0
; COMPUTE_PGM_RSRC3_GFX90A:TG_SPLIT: 0
	.section	.text._ZN7rocprim17ROCPRIM_400000_NS6detail17trampoline_kernelINS0_14default_configENS1_29reduce_by_key_config_selectorIijN6thrust23THRUST_200600_302600_NS4plusIjEEEEZZNS1_33reduce_by_key_impl_wrapped_configILNS1_25lookback_scan_determinismE0ES3_S9_NS6_6detail15normal_iteratorINS6_10device_ptrIiEEEENSD_INSE_IjEEEESG_SI_PmS8_NS6_8equal_toIiEEEE10hipError_tPvRmT2_T3_mT4_T5_T6_T7_T8_P12ihipStream_tbENKUlT_T0_E_clISt17integral_constantIbLb1EES13_EEDaSY_SZ_EUlSY_E_NS1_11comp_targetILNS1_3genE4ELNS1_11target_archE910ELNS1_3gpuE8ELNS1_3repE0EEENS1_30default_config_static_selectorELNS0_4arch9wavefront6targetE1EEEvT1_,"axG",@progbits,_ZN7rocprim17ROCPRIM_400000_NS6detail17trampoline_kernelINS0_14default_configENS1_29reduce_by_key_config_selectorIijN6thrust23THRUST_200600_302600_NS4plusIjEEEEZZNS1_33reduce_by_key_impl_wrapped_configILNS1_25lookback_scan_determinismE0ES3_S9_NS6_6detail15normal_iteratorINS6_10device_ptrIiEEEENSD_INSE_IjEEEESG_SI_PmS8_NS6_8equal_toIiEEEE10hipError_tPvRmT2_T3_mT4_T5_T6_T7_T8_P12ihipStream_tbENKUlT_T0_E_clISt17integral_constantIbLb1EES13_EEDaSY_SZ_EUlSY_E_NS1_11comp_targetILNS1_3genE4ELNS1_11target_archE910ELNS1_3gpuE8ELNS1_3repE0EEENS1_30default_config_static_selectorELNS0_4arch9wavefront6targetE1EEEvT1_,comdat
	.protected	_ZN7rocprim17ROCPRIM_400000_NS6detail17trampoline_kernelINS0_14default_configENS1_29reduce_by_key_config_selectorIijN6thrust23THRUST_200600_302600_NS4plusIjEEEEZZNS1_33reduce_by_key_impl_wrapped_configILNS1_25lookback_scan_determinismE0ES3_S9_NS6_6detail15normal_iteratorINS6_10device_ptrIiEEEENSD_INSE_IjEEEESG_SI_PmS8_NS6_8equal_toIiEEEE10hipError_tPvRmT2_T3_mT4_T5_T6_T7_T8_P12ihipStream_tbENKUlT_T0_E_clISt17integral_constantIbLb1EES13_EEDaSY_SZ_EUlSY_E_NS1_11comp_targetILNS1_3genE4ELNS1_11target_archE910ELNS1_3gpuE8ELNS1_3repE0EEENS1_30default_config_static_selectorELNS0_4arch9wavefront6targetE1EEEvT1_ ; -- Begin function _ZN7rocprim17ROCPRIM_400000_NS6detail17trampoline_kernelINS0_14default_configENS1_29reduce_by_key_config_selectorIijN6thrust23THRUST_200600_302600_NS4plusIjEEEEZZNS1_33reduce_by_key_impl_wrapped_configILNS1_25lookback_scan_determinismE0ES3_S9_NS6_6detail15normal_iteratorINS6_10device_ptrIiEEEENSD_INSE_IjEEEESG_SI_PmS8_NS6_8equal_toIiEEEE10hipError_tPvRmT2_T3_mT4_T5_T6_T7_T8_P12ihipStream_tbENKUlT_T0_E_clISt17integral_constantIbLb1EES13_EEDaSY_SZ_EUlSY_E_NS1_11comp_targetILNS1_3genE4ELNS1_11target_archE910ELNS1_3gpuE8ELNS1_3repE0EEENS1_30default_config_static_selectorELNS0_4arch9wavefront6targetE1EEEvT1_
	.globl	_ZN7rocprim17ROCPRIM_400000_NS6detail17trampoline_kernelINS0_14default_configENS1_29reduce_by_key_config_selectorIijN6thrust23THRUST_200600_302600_NS4plusIjEEEEZZNS1_33reduce_by_key_impl_wrapped_configILNS1_25lookback_scan_determinismE0ES3_S9_NS6_6detail15normal_iteratorINS6_10device_ptrIiEEEENSD_INSE_IjEEEESG_SI_PmS8_NS6_8equal_toIiEEEE10hipError_tPvRmT2_T3_mT4_T5_T6_T7_T8_P12ihipStream_tbENKUlT_T0_E_clISt17integral_constantIbLb1EES13_EEDaSY_SZ_EUlSY_E_NS1_11comp_targetILNS1_3genE4ELNS1_11target_archE910ELNS1_3gpuE8ELNS1_3repE0EEENS1_30default_config_static_selectorELNS0_4arch9wavefront6targetE1EEEvT1_
	.p2align	8
	.type	_ZN7rocprim17ROCPRIM_400000_NS6detail17trampoline_kernelINS0_14default_configENS1_29reduce_by_key_config_selectorIijN6thrust23THRUST_200600_302600_NS4plusIjEEEEZZNS1_33reduce_by_key_impl_wrapped_configILNS1_25lookback_scan_determinismE0ES3_S9_NS6_6detail15normal_iteratorINS6_10device_ptrIiEEEENSD_INSE_IjEEEESG_SI_PmS8_NS6_8equal_toIiEEEE10hipError_tPvRmT2_T3_mT4_T5_T6_T7_T8_P12ihipStream_tbENKUlT_T0_E_clISt17integral_constantIbLb1EES13_EEDaSY_SZ_EUlSY_E_NS1_11comp_targetILNS1_3genE4ELNS1_11target_archE910ELNS1_3gpuE8ELNS1_3repE0EEENS1_30default_config_static_selectorELNS0_4arch9wavefront6targetE1EEEvT1_,@function
_ZN7rocprim17ROCPRIM_400000_NS6detail17trampoline_kernelINS0_14default_configENS1_29reduce_by_key_config_selectorIijN6thrust23THRUST_200600_302600_NS4plusIjEEEEZZNS1_33reduce_by_key_impl_wrapped_configILNS1_25lookback_scan_determinismE0ES3_S9_NS6_6detail15normal_iteratorINS6_10device_ptrIiEEEENSD_INSE_IjEEEESG_SI_PmS8_NS6_8equal_toIiEEEE10hipError_tPvRmT2_T3_mT4_T5_T6_T7_T8_P12ihipStream_tbENKUlT_T0_E_clISt17integral_constantIbLb1EES13_EEDaSY_SZ_EUlSY_E_NS1_11comp_targetILNS1_3genE4ELNS1_11target_archE910ELNS1_3gpuE8ELNS1_3repE0EEENS1_30default_config_static_selectorELNS0_4arch9wavefront6targetE1EEEvT1_: ; @_ZN7rocprim17ROCPRIM_400000_NS6detail17trampoline_kernelINS0_14default_configENS1_29reduce_by_key_config_selectorIijN6thrust23THRUST_200600_302600_NS4plusIjEEEEZZNS1_33reduce_by_key_impl_wrapped_configILNS1_25lookback_scan_determinismE0ES3_S9_NS6_6detail15normal_iteratorINS6_10device_ptrIiEEEENSD_INSE_IjEEEESG_SI_PmS8_NS6_8equal_toIiEEEE10hipError_tPvRmT2_T3_mT4_T5_T6_T7_T8_P12ihipStream_tbENKUlT_T0_E_clISt17integral_constantIbLb1EES13_EEDaSY_SZ_EUlSY_E_NS1_11comp_targetILNS1_3genE4ELNS1_11target_archE910ELNS1_3gpuE8ELNS1_3repE0EEENS1_30default_config_static_selectorELNS0_4arch9wavefront6targetE1EEEvT1_
; %bb.0:
	s_load_dwordx8 s[36:43], s[4:5], 0x0
	s_load_dwordx4 s[52:55], s[4:5], 0x20
	s_load_dwordx8 s[44:51], s[4:5], 0x38
	s_load_dwordx2 s[60:61], s[4:5], 0x68
	s_load_dwordx4 s[56:59], s[4:5], 0x58
	v_cmp_ne_u32_e64 s[2:3], 0, v0
	v_cmp_eq_u32_e64 s[0:1], 0, v0
	s_and_saveexec_b64 s[6:7], s[0:1]
	s_cbranch_execz .LBB816_4
; %bb.1:
	s_mov_b64 s[10:11], exec
	v_mbcnt_lo_u32_b32 v1, s10, 0
	v_mbcnt_hi_u32_b32 v1, s11, v1
	v_cmp_eq_u32_e32 vcc, 0, v1
                                        ; implicit-def: $vgpr2
	s_and_saveexec_b64 s[8:9], vcc
	s_cbranch_execz .LBB816_3
; %bb.2:
	s_load_dwordx2 s[4:5], s[4:5], 0x70
	s_bcnt1_i32_b64 s10, s[10:11]
	v_mov_b32_e32 v2, 0
	v_mov_b32_e32 v3, s10
	s_waitcnt lgkmcnt(0)
	global_atomic_add v2, v2, v3, s[4:5] glc
.LBB816_3:
	s_or_b64 exec, exec, s[8:9]
	s_waitcnt vmcnt(0)
	v_readfirstlane_b32 s4, v2
	v_add_u32_e32 v1, s4, v1
	v_mov_b32_e32 v2, 0
	ds_write_b32 v2, v1
.LBB816_4:
	s_or_b64 exec, exec, s[6:7]
	v_mov_b32_e32 v3, 0
	s_waitcnt lgkmcnt(0)
	s_lshl_b64 s[4:5], s[38:39], 2
	s_barrier
	ds_read_b32 v1, v3
	s_add_u32 s6, s36, s4
	s_addc_u32 s7, s37, s5
	s_add_u32 s4, s40, s4
	s_mul_i32 s8, s48, s47
	s_mul_hi_u32 s9, s48, s46
	s_addc_u32 s5, s41, s5
	s_add_i32 s8, s9, s8
	s_mul_i32 s9, s49, s46
	s_add_i32 s8, s8, s9
	s_mul_i32 s9, s48, s46
	s_waitcnt lgkmcnt(0)
	v_readfirstlane_b32 s62, v1
	s_movk_i32 s10, 0xf00
	v_mul_lo_u32 v2, v1, s10
	s_add_u32 s40, s9, s62
	v_lshlrev_b64 v[2:3], 2, v[2:3]
	s_addc_u32 s41, s8, 0
	v_mov_b32_e32 v1, s7
	v_add_co_u32_e32 v38, vcc, s6, v2
	s_add_u32 s6, s50, -1
	v_addc_co_u32_e32 v39, vcc, v1, v3, vcc
	s_addc_u32 s7, s51, -1
	v_mov_b32_e32 v1, s5
	v_add_co_u32_e32 v22, vcc, s4, v2
	s_cmp_eq_u64 s[40:41], s[6:7]
	v_addc_co_u32_e32 v23, vcc, v1, v3, vcc
	s_cselect_b64 s[36:37], -1, 0
	s_cmp_lg_u64 s[40:41], s[6:7]
	s_mov_b64 s[4:5], -1
	s_cselect_b64 s[48:49], -1, 0
	s_mul_i32 s33, s6, 0xfffff100
	s_and_b64 vcc, exec, s[36:37]
	s_barrier
	s_cbranch_vccnz .LBB816_6
; %bb.5:
	v_lshlrev_b32_e32 v26, 2, v0
	v_add_co_u32_e32 v2, vcc, v38, v26
	v_addc_co_u32_e32 v3, vcc, 0, v39, vcc
	v_add_co_u32_e32 v4, vcc, 0x1000, v2
	v_addc_co_u32_e32 v5, vcc, 0, v3, vcc
	flat_load_dword v1, v[2:3]
	flat_load_dword v8, v[2:3] offset:1024
	flat_load_dword v9, v[2:3] offset:2048
	;; [unrolled: 1-line block ×3, first 2 shown]
	flat_load_dword v11, v[4:5]
	flat_load_dword v12, v[4:5] offset:1024
	flat_load_dword v13, v[4:5] offset:2048
	;; [unrolled: 1-line block ×3, first 2 shown]
	v_add_co_u32_e32 v4, vcc, 0x2000, v2
	v_addc_co_u32_e32 v5, vcc, 0, v3, vcc
	v_add_co_u32_e32 v2, vcc, 0x3000, v2
	v_addc_co_u32_e32 v3, vcc, 0, v3, vcc
	flat_load_dword v15, v[4:5]
	flat_load_dword v16, v[4:5] offset:1024
	flat_load_dword v17, v[4:5] offset:2048
	;; [unrolled: 1-line block ×3, first 2 shown]
	flat_load_dword v19, v[2:3]
	flat_load_dword v20, v[2:3] offset:1024
	flat_load_dword v21, v[2:3] offset:2048
	v_add_co_u32_e32 v2, vcc, v22, v26
	s_movk_i32 s4, 0x1000
	v_addc_co_u32_e32 v3, vcc, 0, v23, vcc
	v_add_co_u32_e32 v4, vcc, s4, v2
	s_movk_i32 s5, 0x2000
	v_addc_co_u32_e32 v5, vcc, 0, v3, vcc
	;; [unrolled: 3-line block ×3, first 2 shown]
	v_mad_u32_u24 v40, v0, 56, v26
	v_add_co_u32_e32 v24, vcc, s6, v2
	v_addc_co_u32_e32 v25, vcc, 0, v3, vcc
	s_waitcnt vmcnt(0) lgkmcnt(0)
	ds_write2st64_b32 v26, v1, v8 offset1:4
	ds_write2st64_b32 v26, v9, v10 offset0:8 offset1:12
	ds_write2st64_b32 v26, v11, v12 offset0:16 offset1:20
	ds_write2st64_b32 v26, v13, v14 offset0:24 offset1:28
	ds_write2st64_b32 v26, v15, v16 offset0:32 offset1:36
	ds_write2st64_b32 v26, v17, v18 offset0:40 offset1:44
	ds_write2st64_b32 v26, v19, v20 offset0:48 offset1:52
	ds_write_b32 v26, v21 offset:14336
	s_waitcnt lgkmcnt(0)
	s_barrier
	ds_read2_b32 v[20:21], v40 offset1:1
	ds_read2_b32 v[18:19], v40 offset0:2 offset1:3
	ds_read2_b32 v[16:17], v40 offset0:4 offset1:5
	;; [unrolled: 1-line block ×6, first 2 shown]
	ds_read_b32 v1, v40 offset:56
	s_waitcnt lgkmcnt(0)
	s_barrier
	flat_load_dword v27, v[2:3]
	flat_load_dword v28, v[2:3] offset:1024
	flat_load_dword v29, v[2:3] offset:2048
	flat_load_dword v30, v[2:3] offset:3072
	flat_load_dword v31, v[4:5]
	flat_load_dword v32, v[4:5] offset:1024
	flat_load_dword v33, v[4:5] offset:2048
	flat_load_dword v34, v[4:5] offset:3072
	;; [unrolled: 4-line block ×3, first 2 shown]
	flat_load_dword v44, v[24:25]
	flat_load_dword v45, v[24:25] offset:1024
	flat_load_dword v46, v[24:25] offset:2048
	v_mov_b32_e32 v36, v20
	v_mov_b32_e32 v37, v18
	;; [unrolled: 1-line block ×7, first 2 shown]
	s_waitcnt vmcnt(0) lgkmcnt(0)
	ds_write2st64_b32 v26, v27, v28 offset1:4
	ds_write2st64_b32 v26, v29, v30 offset0:8 offset1:12
	ds_write2st64_b32 v26, v31, v32 offset0:16 offset1:20
	;; [unrolled: 1-line block ×6, first 2 shown]
	ds_write_b32 v26, v46 offset:14336
	s_waitcnt lgkmcnt(0)
	s_barrier
	s_add_i32 s33, s33, s56
	s_cbranch_execz .LBB816_7
	s_branch .LBB816_54
.LBB816_6:
                                        ; implicit-def: $vgpr1
                                        ; implicit-def: $vgpr8
                                        ; implicit-def: $vgpr10
                                        ; implicit-def: $vgpr12
                                        ; implicit-def: $vgpr14
                                        ; implicit-def: $vgpr16
                                        ; implicit-def: $vgpr18
                                        ; implicit-def: $vgpr20
                                        ; implicit-def: $vgpr40
                                        ; implicit-def: $vgpr2_vgpr3
                                        ; implicit-def: $vgpr4_vgpr5
                                        ; implicit-def: $vgpr36_vgpr37
                                        ; implicit-def: $vgpr6_vgpr7
	s_andn2_b64 vcc, exec, s[4:5]
	s_add_i32 s33, s33, s56
	s_cbranch_vccnz .LBB816_54
.LBB816_7:
	v_cmp_gt_u32_e32 vcc, s33, v0
                                        ; implicit-def: $vgpr1
	s_and_saveexec_b64 s[6:7], vcc
	s_cbranch_execz .LBB816_9
; %bb.8:
	v_lshlrev_b32_e32 v1, 2, v0
	v_add_co_u32_e64 v2, s[4:5], v38, v1
	v_addc_co_u32_e64 v3, s[4:5], 0, v39, s[4:5]
	flat_load_dword v1, v[2:3]
.LBB816_9:
	s_or_b64 exec, exec, s[6:7]
	v_or_b32_e32 v2, 0x100, v0
	v_cmp_gt_u32_e64 s[4:5], s33, v2
                                        ; implicit-def: $vgpr8
	s_and_saveexec_b64 s[8:9], s[4:5]
	s_cbranch_execz .LBB816_11
; %bb.10:
	v_lshlrev_b32_e32 v2, 2, v0
	v_add_co_u32_e64 v2, s[6:7], v38, v2
	v_addc_co_u32_e64 v3, s[6:7], 0, v39, s[6:7]
	flat_load_dword v8, v[2:3] offset:1024
.LBB816_11:
	s_or_b64 exec, exec, s[8:9]
	v_or_b32_e32 v2, 0x200, v0
	v_cmp_gt_u32_e64 s[6:7], s33, v2
                                        ; implicit-def: $vgpr9
	s_and_saveexec_b64 s[10:11], s[6:7]
	s_cbranch_execz .LBB816_13
; %bb.12:
	v_lshlrev_b32_e32 v2, 2, v0
	v_add_co_u32_e64 v2, s[8:9], v38, v2
	v_addc_co_u32_e64 v3, s[8:9], 0, v39, s[8:9]
	flat_load_dword v9, v[2:3] offset:2048
.LBB816_13:
	s_or_b64 exec, exec, s[10:11]
	v_or_b32_e32 v2, 0x300, v0
	v_cmp_gt_u32_e64 s[8:9], s33, v2
                                        ; implicit-def: $vgpr10
	s_and_saveexec_b64 s[12:13], s[8:9]
	s_cbranch_execz .LBB816_15
; %bb.14:
	v_lshlrev_b32_e32 v2, 2, v0
	v_add_co_u32_e64 v2, s[10:11], v38, v2
	v_addc_co_u32_e64 v3, s[10:11], 0, v39, s[10:11]
	flat_load_dword v10, v[2:3] offset:3072
.LBB816_15:
	s_or_b64 exec, exec, s[12:13]
	v_or_b32_e32 v2, 0x400, v0
	v_cmp_gt_u32_e64 s[10:11], s33, v2
                                        ; implicit-def: $vgpr11
	s_and_saveexec_b64 s[14:15], s[10:11]
	s_cbranch_execz .LBB816_17
; %bb.16:
	v_lshlrev_b32_e32 v3, 2, v2
	v_add_co_u32_e64 v4, s[12:13], v38, v3
	v_addc_co_u32_e64 v5, s[12:13], 0, v39, s[12:13]
	flat_load_dword v11, v[4:5]
.LBB816_17:
	s_or_b64 exec, exec, s[14:15]
	v_or_b32_e32 v3, 0x500, v0
	v_cmp_gt_u32_e64 s[12:13], s33, v3
                                        ; implicit-def: $vgpr12
	s_and_saveexec_b64 s[16:17], s[12:13]
	s_cbranch_execz .LBB816_19
; %bb.18:
	v_lshlrev_b32_e32 v4, 2, v3
	v_add_co_u32_e64 v4, s[14:15], v38, v4
	v_addc_co_u32_e64 v5, s[14:15], 0, v39, s[14:15]
	flat_load_dword v12, v[4:5]
.LBB816_19:
	s_or_b64 exec, exec, s[16:17]
	v_or_b32_e32 v4, 0x600, v0
	v_cmp_gt_u32_e64 s[14:15], s33, v4
                                        ; implicit-def: $vgpr13
	s_and_saveexec_b64 s[18:19], s[14:15]
	s_cbranch_execz .LBB816_21
; %bb.20:
	v_lshlrev_b32_e32 v5, 2, v4
	v_add_co_u32_e64 v6, s[16:17], v38, v5
	v_addc_co_u32_e64 v7, s[16:17], 0, v39, s[16:17]
	flat_load_dword v13, v[6:7]
.LBB816_21:
	s_or_b64 exec, exec, s[18:19]
	v_or_b32_e32 v5, 0x700, v0
	v_cmp_gt_u32_e64 s[16:17], s33, v5
                                        ; implicit-def: $vgpr14
	s_and_saveexec_b64 s[20:21], s[16:17]
	s_cbranch_execz .LBB816_23
; %bb.22:
	v_lshlrev_b32_e32 v6, 2, v5
	v_add_co_u32_e64 v6, s[18:19], v38, v6
	v_addc_co_u32_e64 v7, s[18:19], 0, v39, s[18:19]
	flat_load_dword v14, v[6:7]
.LBB816_23:
	s_or_b64 exec, exec, s[20:21]
	v_or_b32_e32 v6, 0x800, v0
	v_cmp_gt_u32_e64 s[18:19], s33, v6
                                        ; implicit-def: $vgpr15
	s_and_saveexec_b64 s[22:23], s[18:19]
	s_cbranch_execz .LBB816_25
; %bb.24:
	v_lshlrev_b32_e32 v7, 2, v6
	v_add_co_u32_e64 v16, s[20:21], v38, v7
	v_addc_co_u32_e64 v17, s[20:21], 0, v39, s[20:21]
	flat_load_dword v15, v[16:17]
.LBB816_25:
	s_or_b64 exec, exec, s[22:23]
	v_or_b32_e32 v24, 0x900, v0
	v_cmp_gt_u32_e64 s[20:21], s33, v24
                                        ; implicit-def: $vgpr16
	s_and_saveexec_b64 s[24:25], s[20:21]
	s_cbranch_execz .LBB816_27
; %bb.26:
	v_lshlrev_b32_e32 v7, 2, v24
	v_add_co_u32_e64 v16, s[22:23], v38, v7
	v_addc_co_u32_e64 v17, s[22:23], 0, v39, s[22:23]
	flat_load_dword v16, v[16:17]
.LBB816_27:
	s_or_b64 exec, exec, s[24:25]
	v_or_b32_e32 v25, 0xa00, v0
	v_cmp_gt_u32_e64 s[22:23], s33, v25
                                        ; implicit-def: $vgpr17
	s_and_saveexec_b64 s[26:27], s[22:23]
	s_cbranch_execz .LBB816_29
; %bb.28:
	v_lshlrev_b32_e32 v7, 2, v25
	v_add_co_u32_e64 v18, s[24:25], v38, v7
	v_addc_co_u32_e64 v19, s[24:25], 0, v39, s[24:25]
	flat_load_dword v17, v[18:19]
.LBB816_29:
	s_or_b64 exec, exec, s[26:27]
	v_or_b32_e32 v26, 0xb00, v0
	v_cmp_gt_u32_e64 s[24:25], s33, v26
                                        ; implicit-def: $vgpr18
	s_and_saveexec_b64 s[28:29], s[24:25]
	s_cbranch_execz .LBB816_31
; %bb.30:
	v_lshlrev_b32_e32 v7, 2, v26
	v_add_co_u32_e64 v18, s[26:27], v38, v7
	v_addc_co_u32_e64 v19, s[26:27], 0, v39, s[26:27]
	flat_load_dword v18, v[18:19]
.LBB816_31:
	s_or_b64 exec, exec, s[28:29]
	v_or_b32_e32 v27, 0xc00, v0
	v_cmp_gt_u32_e64 s[26:27], s33, v27
                                        ; implicit-def: $vgpr19
	s_and_saveexec_b64 s[30:31], s[26:27]
	s_cbranch_execz .LBB816_33
; %bb.32:
	v_lshlrev_b32_e32 v7, 2, v27
	v_add_co_u32_e64 v20, s[28:29], v38, v7
	v_addc_co_u32_e64 v21, s[28:29], 0, v39, s[28:29]
	flat_load_dword v19, v[20:21]
.LBB816_33:
	s_or_b64 exec, exec, s[30:31]
	v_or_b32_e32 v28, 0xd00, v0
	v_cmp_gt_u32_e64 s[28:29], s33, v28
                                        ; implicit-def: $vgpr20
	s_and_saveexec_b64 s[34:35], s[28:29]
	s_cbranch_execz .LBB816_35
; %bb.34:
	v_lshlrev_b32_e32 v7, 2, v28
	v_add_co_u32_e64 v20, s[30:31], v38, v7
	v_addc_co_u32_e64 v21, s[30:31], 0, v39, s[30:31]
	flat_load_dword v20, v[20:21]
.LBB816_35:
	s_or_b64 exec, exec, s[34:35]
	v_or_b32_e32 v29, 0xe00, v0
	v_cmp_gt_u32_e64 s[30:31], s33, v29
                                        ; implicit-def: $vgpr21
	s_and_saveexec_b64 s[38:39], s[30:31]
	s_cbranch_execz .LBB816_37
; %bb.36:
	v_lshlrev_b32_e32 v7, 2, v29
	v_add_co_u32_e64 v30, s[34:35], v38, v7
	v_addc_co_u32_e64 v31, s[34:35], 0, v39, s[34:35]
	flat_load_dword v21, v[30:31]
.LBB816_37:
	s_or_b64 exec, exec, s[38:39]
	v_lshlrev_b32_e32 v7, 2, v0
	v_mad_u32_u24 v40, v0, 56, v7
	s_waitcnt vmcnt(0) lgkmcnt(0)
	ds_write2st64_b32 v7, v1, v8 offset1:4
	ds_write2st64_b32 v7, v9, v10 offset0:8 offset1:12
	ds_write2st64_b32 v7, v11, v12 offset0:16 offset1:20
	;; [unrolled: 1-line block ×6, first 2 shown]
	ds_write_b32 v7, v21 offset:14336
	s_waitcnt lgkmcnt(0)
	s_barrier
	ds_read2_b32 v[20:21], v40 offset1:1
	ds_read2_b32 v[18:19], v40 offset0:2 offset1:3
	ds_read2_b32 v[16:17], v40 offset0:4 offset1:5
	;; [unrolled: 1-line block ×6, first 2 shown]
	ds_read_b32 v1, v40 offset:56
	s_waitcnt lgkmcnt(0)
	s_barrier
	s_waitcnt lgkmcnt(0)
                                        ; implicit-def: $vgpr30
	s_and_saveexec_b64 s[34:35], vcc
	s_cbranch_execnz .LBB816_61
; %bb.38:
	s_or_b64 exec, exec, s[34:35]
                                        ; implicit-def: $vgpr31
	s_and_saveexec_b64 s[34:35], s[4:5]
	s_cbranch_execnz .LBB816_62
.LBB816_39:
	s_or_b64 exec, exec, s[34:35]
                                        ; implicit-def: $vgpr32
	s_and_saveexec_b64 s[4:5], s[6:7]
	s_cbranch_execnz .LBB816_63
.LBB816_40:
	s_or_b64 exec, exec, s[4:5]
                                        ; implicit-def: $vgpr33
	s_and_saveexec_b64 s[4:5], s[8:9]
	s_cbranch_execnz .LBB816_64
.LBB816_41:
	s_or_b64 exec, exec, s[4:5]
                                        ; implicit-def: $vgpr34
	s_and_saveexec_b64 s[4:5], s[10:11]
	s_cbranch_execnz .LBB816_65
.LBB816_42:
	s_or_b64 exec, exec, s[4:5]
                                        ; implicit-def: $vgpr2
	s_and_saveexec_b64 s[4:5], s[12:13]
	s_cbranch_execnz .LBB816_66
.LBB816_43:
	s_or_b64 exec, exec, s[4:5]
                                        ; implicit-def: $vgpr3
	s_and_saveexec_b64 s[4:5], s[14:15]
	s_cbranch_execnz .LBB816_67
.LBB816_44:
	s_or_b64 exec, exec, s[4:5]
                                        ; implicit-def: $vgpr4
	s_and_saveexec_b64 s[4:5], s[16:17]
	s_cbranch_execnz .LBB816_68
.LBB816_45:
	s_or_b64 exec, exec, s[4:5]
                                        ; implicit-def: $vgpr5
	s_and_saveexec_b64 s[4:5], s[18:19]
	s_cbranch_execnz .LBB816_69
.LBB816_46:
	s_or_b64 exec, exec, s[4:5]
                                        ; implicit-def: $vgpr6
	s_and_saveexec_b64 s[4:5], s[20:21]
	s_cbranch_execnz .LBB816_70
.LBB816_47:
	s_or_b64 exec, exec, s[4:5]
                                        ; implicit-def: $vgpr24
	s_and_saveexec_b64 s[4:5], s[22:23]
	s_cbranch_execnz .LBB816_71
.LBB816_48:
	s_or_b64 exec, exec, s[4:5]
                                        ; implicit-def: $vgpr25
	s_and_saveexec_b64 s[4:5], s[24:25]
	s_cbranch_execnz .LBB816_72
.LBB816_49:
	s_or_b64 exec, exec, s[4:5]
                                        ; implicit-def: $vgpr26
	s_and_saveexec_b64 s[4:5], s[26:27]
	s_cbranch_execnz .LBB816_73
.LBB816_50:
	s_or_b64 exec, exec, s[4:5]
                                        ; implicit-def: $vgpr27
	s_and_saveexec_b64 s[4:5], s[28:29]
	s_cbranch_execnz .LBB816_74
.LBB816_51:
	s_or_b64 exec, exec, s[4:5]
                                        ; implicit-def: $vgpr28
	s_and_saveexec_b64 s[4:5], s[30:31]
	s_cbranch_execz .LBB816_53
.LBB816_52:
	v_lshlrev_b32_e32 v28, 2, v29
	v_add_co_u32_e32 v22, vcc, v22, v28
	v_addc_co_u32_e32 v23, vcc, 0, v23, vcc
	flat_load_dword v28, v[22:23]
.LBB816_53:
	s_or_b64 exec, exec, s[4:5]
	s_waitcnt vmcnt(0) lgkmcnt(0)
	ds_write2st64_b32 v7, v30, v31 offset1:4
	ds_write2st64_b32 v7, v32, v33 offset0:8 offset1:12
	ds_write2st64_b32 v7, v34, v2 offset0:16 offset1:20
	;; [unrolled: 1-line block ×6, first 2 shown]
	ds_write_b32 v7, v28 offset:14336
	v_mov_b32_e32 v36, v20
	v_mov_b32_e32 v37, v18
	;; [unrolled: 1-line block ×7, first 2 shown]
	s_waitcnt lgkmcnt(0)
	s_barrier
.LBB816_54:
	ds_read2_b32 v[34:35], v40 offset1:1
	ds_read2_b32 v[32:33], v40 offset0:2 offset1:3
	ds_read2_b32 v[30:31], v40 offset0:4 offset1:5
	;; [unrolled: 1-line block ×6, first 2 shown]
	ds_read_b32 v82, v40 offset:56
	s_cmp_eq_u64 s[40:41], 0
	s_cselect_b64 s[38:39], -1, 0
	s_cmp_lg_u64 s[40:41], 0
	s_mov_b64 s[6:7], 0
	s_cselect_b64 s[8:9], -1, 0
	s_and_b64 vcc, exec, s[48:49]
	s_waitcnt lgkmcnt(0)
	s_barrier
	s_cbranch_vccz .LBB816_60
; %bb.55:
	s_and_b64 vcc, exec, s[8:9]
	s_cbranch_vccz .LBB816_75
; %bb.56:
	v_add_co_u32_e32 v40, vcc, -4, v38
	v_addc_co_u32_e32 v41, vcc, -1, v39, vcc
	flat_load_dword v7, v[40:41]
	v_lshlrev_b32_e32 v40, 2, v0
	ds_write_b32 v40, v1
	s_waitcnt lgkmcnt(0)
	s_barrier
	s_and_saveexec_b64 s[4:5], s[2:3]
	s_cbranch_execz .LBB816_58
; %bb.57:
	s_waitcnt vmcnt(0)
	v_add_u32_e32 v7, -4, v40
	ds_read_b32 v7, v7
.LBB816_58:
	s_or_b64 exec, exec, s[4:5]
	v_cmp_ne_u32_e32 vcc, v36, v21
	v_cndmask_b32_e64 v79, 0, 1, vcc
	v_cmp_ne_u32_e32 vcc, v37, v21
	v_cndmask_b32_e64 v78, 0, 1, vcc
	;; [unrolled: 2-line block ×14, first 2 shown]
	s_waitcnt vmcnt(0) lgkmcnt(0)
	v_cmp_ne_u32_e64 s[4:5], v7, v20
	s_mov_b64 s[6:7], -1
.LBB816_59:
                                        ; implicit-def: $sgpr12
	s_branch .LBB816_87
.LBB816_60:
                                        ; implicit-def: $sgpr4_sgpr5
                                        ; implicit-def: $vgpr66
                                        ; implicit-def: $vgpr67
                                        ; implicit-def: $vgpr68
                                        ; implicit-def: $vgpr69
                                        ; implicit-def: $vgpr70
                                        ; implicit-def: $vgpr71
                                        ; implicit-def: $vgpr72
                                        ; implicit-def: $vgpr73
                                        ; implicit-def: $vgpr74
                                        ; implicit-def: $vgpr75
                                        ; implicit-def: $vgpr76
                                        ; implicit-def: $vgpr77
                                        ; implicit-def: $vgpr78
                                        ; implicit-def: $vgpr79
                                        ; implicit-def: $sgpr12
	s_cbranch_execnz .LBB816_79
	s_branch .LBB816_87
.LBB816_61:
	v_add_co_u32_e32 v30, vcc, v22, v7
	v_addc_co_u32_e32 v31, vcc, 0, v23, vcc
	flat_load_dword v30, v[30:31]
	s_or_b64 exec, exec, s[34:35]
                                        ; implicit-def: $vgpr31
	s_and_saveexec_b64 s[34:35], s[4:5]
	s_cbranch_execz .LBB816_39
.LBB816_62:
	v_add_co_u32_e32 v32, vcc, v22, v7
	v_addc_co_u32_e32 v33, vcc, 0, v23, vcc
	flat_load_dword v31, v[32:33] offset:1024
	s_or_b64 exec, exec, s[34:35]
                                        ; implicit-def: $vgpr32
	s_and_saveexec_b64 s[4:5], s[6:7]
	s_cbranch_execz .LBB816_40
.LBB816_63:
	v_add_co_u32_e32 v32, vcc, v22, v7
	v_addc_co_u32_e32 v33, vcc, 0, v23, vcc
	flat_load_dword v32, v[32:33] offset:2048
	s_or_b64 exec, exec, s[4:5]
                                        ; implicit-def: $vgpr33
	s_and_saveexec_b64 s[4:5], s[8:9]
	s_cbranch_execz .LBB816_41
.LBB816_64:
	v_add_co_u32_e32 v34, vcc, v22, v7
	v_addc_co_u32_e32 v35, vcc, 0, v23, vcc
	flat_load_dword v33, v[34:35] offset:3072
	s_or_b64 exec, exec, s[4:5]
                                        ; implicit-def: $vgpr34
	s_and_saveexec_b64 s[4:5], s[10:11]
	s_cbranch_execz .LBB816_42
.LBB816_65:
	v_lshlrev_b32_e32 v2, 2, v2
	v_add_co_u32_e32 v34, vcc, v22, v2
	v_addc_co_u32_e32 v35, vcc, 0, v23, vcc
	flat_load_dword v34, v[34:35]
	s_or_b64 exec, exec, s[4:5]
                                        ; implicit-def: $vgpr2
	s_and_saveexec_b64 s[4:5], s[12:13]
	s_cbranch_execz .LBB816_43
.LBB816_66:
	v_lshlrev_b32_e32 v2, 2, v3
	v_add_co_u32_e32 v2, vcc, v22, v2
	v_addc_co_u32_e32 v3, vcc, 0, v23, vcc
	flat_load_dword v2, v[2:3]
	s_or_b64 exec, exec, s[4:5]
                                        ; implicit-def: $vgpr3
	s_and_saveexec_b64 s[4:5], s[14:15]
	s_cbranch_execz .LBB816_44
.LBB816_67:
	v_lshlrev_b32_e32 v3, 2, v4
	v_add_co_u32_e32 v36, vcc, v22, v3
	v_addc_co_u32_e32 v37, vcc, 0, v23, vcc
	flat_load_dword v3, v[36:37]
	s_or_b64 exec, exec, s[4:5]
                                        ; implicit-def: $vgpr4
	s_and_saveexec_b64 s[4:5], s[16:17]
	s_cbranch_execz .LBB816_45
.LBB816_68:
	v_lshlrev_b32_e32 v4, 2, v5
	v_add_co_u32_e32 v4, vcc, v22, v4
	v_addc_co_u32_e32 v5, vcc, 0, v23, vcc
	flat_load_dword v4, v[4:5]
	s_or_b64 exec, exec, s[4:5]
                                        ; implicit-def: $vgpr5
	s_and_saveexec_b64 s[4:5], s[18:19]
	s_cbranch_execz .LBB816_46
.LBB816_69:
	v_lshlrev_b32_e32 v5, 2, v6
	v_add_co_u32_e32 v36, vcc, v22, v5
	v_addc_co_u32_e32 v37, vcc, 0, v23, vcc
	flat_load_dword v5, v[36:37]
	s_or_b64 exec, exec, s[4:5]
                                        ; implicit-def: $vgpr6
	s_and_saveexec_b64 s[4:5], s[20:21]
	s_cbranch_execz .LBB816_47
.LBB816_70:
	v_lshlrev_b32_e32 v6, 2, v24
	v_add_co_u32_e32 v36, vcc, v22, v6
	v_addc_co_u32_e32 v37, vcc, 0, v23, vcc
	flat_load_dword v6, v[36:37]
	s_or_b64 exec, exec, s[4:5]
                                        ; implicit-def: $vgpr24
	s_and_saveexec_b64 s[4:5], s[22:23]
	s_cbranch_execz .LBB816_48
.LBB816_71:
	v_lshlrev_b32_e32 v24, 2, v25
	v_add_co_u32_e32 v24, vcc, v22, v24
	v_addc_co_u32_e32 v25, vcc, 0, v23, vcc
	flat_load_dword v24, v[24:25]
	s_or_b64 exec, exec, s[4:5]
                                        ; implicit-def: $vgpr25
	s_and_saveexec_b64 s[4:5], s[24:25]
	s_cbranch_execz .LBB816_49
.LBB816_72:
	v_lshlrev_b32_e32 v25, 2, v26
	v_add_co_u32_e32 v36, vcc, v22, v25
	v_addc_co_u32_e32 v37, vcc, 0, v23, vcc
	flat_load_dword v25, v[36:37]
	s_or_b64 exec, exec, s[4:5]
                                        ; implicit-def: $vgpr26
	s_and_saveexec_b64 s[4:5], s[26:27]
	s_cbranch_execz .LBB816_50
.LBB816_73:
	v_lshlrev_b32_e32 v26, 2, v27
	v_add_co_u32_e32 v26, vcc, v22, v26
	v_addc_co_u32_e32 v27, vcc, 0, v23, vcc
	flat_load_dword v26, v[26:27]
	s_or_b64 exec, exec, s[4:5]
                                        ; implicit-def: $vgpr27
	s_and_saveexec_b64 s[4:5], s[28:29]
	s_cbranch_execz .LBB816_51
.LBB816_74:
	v_lshlrev_b32_e32 v27, 2, v28
	v_add_co_u32_e32 v36, vcc, v22, v27
	v_addc_co_u32_e32 v37, vcc, 0, v23, vcc
	flat_load_dword v27, v[36:37]
	s_or_b64 exec, exec, s[4:5]
                                        ; implicit-def: $vgpr28
	s_and_saveexec_b64 s[4:5], s[30:31]
	s_cbranch_execnz .LBB816_52
	s_branch .LBB816_53
.LBB816_75:
                                        ; implicit-def: $sgpr4_sgpr5
                                        ; implicit-def: $vgpr66
                                        ; implicit-def: $vgpr67
                                        ; implicit-def: $vgpr68
                                        ; implicit-def: $vgpr69
                                        ; implicit-def: $vgpr70
                                        ; implicit-def: $vgpr71
                                        ; implicit-def: $vgpr72
                                        ; implicit-def: $vgpr73
                                        ; implicit-def: $vgpr74
                                        ; implicit-def: $vgpr75
                                        ; implicit-def: $vgpr76
                                        ; implicit-def: $vgpr77
                                        ; implicit-def: $vgpr78
                                        ; implicit-def: $vgpr79
	s_cbranch_execz .LBB816_59
; %bb.76:
	v_cmp_ne_u32_e32 vcc, v21, v36
	v_cndmask_b32_e64 v79, 0, 1, vcc
	v_cmp_ne_u32_e32 vcc, v21, v37
	v_cndmask_b32_e64 v78, 0, 1, vcc
	;; [unrolled: 2-line block ×13, first 2 shown]
	v_cmp_ne_u32_e32 vcc, v9, v1
	v_lshlrev_b32_e32 v7, 2, v0
	v_cndmask_b32_e64 v66, 0, 1, vcc
	ds_write_b32 v7, v1
	s_waitcnt lgkmcnt(0)
	s_barrier
	s_waitcnt lgkmcnt(0)
                                        ; implicit-def: $sgpr4_sgpr5
	s_and_saveexec_b64 s[10:11], s[2:3]
	s_xor_b64 s[10:11], exec, s[10:11]
	s_cbranch_execz .LBB816_78
; %bb.77:
	v_add_u32_e32 v2, -4, v7
	ds_read_b32 v2, v2
	s_or_b64 s[6:7], s[6:7], exec
	s_waitcnt lgkmcnt(0)
	v_cmp_ne_u32_e32 vcc, v2, v20
	s_and_b64 s[4:5], vcc, exec
.LBB816_78:
	s_or_b64 exec, exec, s[10:11]
	s_mov_b32 s12, 1
	s_branch .LBB816_87
.LBB816_79:
	s_mul_hi_u32 s5, s40, 0xfffff100
	s_mul_i32 s4, s41, 0xfffff100
	s_sub_i32 s5, s5, s40
	s_add_i32 s5, s5, s4
	s_mul_i32 s4, s40, 0xfffff100
	s_add_u32 s10, s4, s56
	s_addc_u32 s11, s5, s57
	s_and_b64 vcc, exec, s[8:9]
	s_cbranch_vccz .LBB816_84
; %bb.80:
	v_add_co_u32_e32 v2, vcc, -4, v38
	v_addc_co_u32_e32 v3, vcc, -1, v39, vcc
	flat_load_dword v6, v[2:3]
	v_mad_u32_u24 v4, v0, 15, 14
	v_mov_b32_e32 v5, 0
	v_cmp_gt_u64_e32 vcc, s[10:11], v[4:5]
	v_cmp_ne_u32_e64 s[4:5], v9, v1
	v_mad_u32_u24 v4, v0, 15, 13
	s_and_b64 s[6:7], vcc, s[4:5]
	v_cmp_gt_u64_e32 vcc, s[10:11], v[4:5]
	v_cmp_ne_u32_e64 s[4:5], v8, v9
	v_mad_u32_u24 v4, v0, 15, 12
	s_and_b64 s[8:9], vcc, s[4:5]
	;; [unrolled: 4-line block ×13, first 2 shown]
	v_cmp_gt_u64_e32 vcc, s[10:11], v[4:5]
	v_cmp_ne_u32_e64 s[4:5], v20, v21
	v_lshlrev_b32_e32 v3, 2, v0
	v_mul_u32_u24_e32 v2, 15, v0
	s_and_b64 s[4:5], vcc, s[4:5]
	ds_write_b32 v3, v1
	s_waitcnt lgkmcnt(0)
	s_barrier
	s_and_saveexec_b64 s[40:41], s[2:3]
	s_cbranch_execz .LBB816_82
; %bb.81:
	v_add_u32_e32 v3, -4, v3
	s_waitcnt vmcnt(0)
	ds_read_b32 v6, v3
.LBB816_82:
	s_or_b64 exec, exec, s[40:41]
	v_mov_b32_e32 v3, v5
	v_cndmask_b32_e64 v79, 0, 1, s[4:5]
	v_cmp_gt_u64_e32 vcc, s[10:11], v[2:3]
	s_waitcnt vmcnt(0) lgkmcnt(0)
	v_cmp_ne_u32_e64 s[4:5], v6, v20
	v_cndmask_b32_e64 v66, 0, 1, s[6:7]
	v_cndmask_b32_e64 v67, 0, 1, s[8:9]
	v_cndmask_b32_e64 v68, 0, 1, s[12:13]
	v_cndmask_b32_e64 v69, 0, 1, s[14:15]
	v_cndmask_b32_e64 v70, 0, 1, s[16:17]
	v_cndmask_b32_e64 v71, 0, 1, s[18:19]
	v_cndmask_b32_e64 v72, 0, 1, s[20:21]
	v_cndmask_b32_e64 v73, 0, 1, s[22:23]
	v_cndmask_b32_e64 v74, 0, 1, s[24:25]
	v_cndmask_b32_e64 v75, 0, 1, s[26:27]
	v_cndmask_b32_e64 v76, 0, 1, s[28:29]
	v_cndmask_b32_e64 v77, 0, 1, s[30:31]
	v_cndmask_b32_e64 v78, 0, 1, s[34:35]
	s_and_b64 s[4:5], vcc, s[4:5]
	s_mov_b64 s[6:7], -1
.LBB816_83:
                                        ; implicit-def: $sgpr12
	v_mov_b32_e32 v81, s12
	s_and_saveexec_b64 s[2:3], s[6:7]
	s_cbranch_execnz .LBB816_88
	s_branch .LBB816_89
.LBB816_84:
                                        ; implicit-def: $sgpr4_sgpr5
                                        ; implicit-def: $vgpr66
                                        ; implicit-def: $vgpr67
                                        ; implicit-def: $vgpr68
                                        ; implicit-def: $vgpr69
                                        ; implicit-def: $vgpr70
                                        ; implicit-def: $vgpr71
                                        ; implicit-def: $vgpr72
                                        ; implicit-def: $vgpr73
                                        ; implicit-def: $vgpr74
                                        ; implicit-def: $vgpr75
                                        ; implicit-def: $vgpr76
                                        ; implicit-def: $vgpr77
                                        ; implicit-def: $vgpr78
                                        ; implicit-def: $vgpr79
	s_cbranch_execz .LBB816_83
; %bb.85:
	v_mad_u32_u24 v2, v0, 15, 14
	v_mov_b32_e32 v3, 0
	v_cmp_gt_u64_e32 vcc, s[10:11], v[2:3]
	v_cmp_ne_u32_e64 s[4:5], v9, v1
	s_and_b64 s[4:5], vcc, s[4:5]
	v_mad_u32_u24 v2, v0, 15, 13
	v_cndmask_b32_e64 v66, 0, 1, s[4:5]
	v_cmp_gt_u64_e32 vcc, s[10:11], v[2:3]
	v_cmp_ne_u32_e64 s[4:5], v8, v9
	s_and_b64 s[4:5], vcc, s[4:5]
	v_mad_u32_u24 v2, v0, 15, 12
	v_cndmask_b32_e64 v67, 0, 1, s[4:5]
	;; [unrolled: 5-line block ×13, first 2 shown]
	v_cmp_gt_u64_e32 vcc, s[10:11], v[2:3]
	v_cmp_ne_u32_e64 s[4:5], v20, v21
	s_and_b64 s[4:5], vcc, s[4:5]
	v_lshlrev_b32_e32 v4, 2, v0
	s_mov_b32 s12, 1
	v_cndmask_b32_e64 v79, 0, 1, s[4:5]
	ds_write_b32 v4, v1
	s_waitcnt lgkmcnt(0)
	s_barrier
	s_waitcnt lgkmcnt(0)
                                        ; implicit-def: $sgpr4_sgpr5
	s_and_saveexec_b64 s[8:9], s[2:3]
	s_cbranch_execz .LBB816_196
; %bb.86:
	v_add_u32_e32 v2, -4, v4
	ds_read_b32 v4, v2
	v_mul_u32_u24_e32 v2, 15, v0
	v_cmp_gt_u64_e32 vcc, s[10:11], v[2:3]
	s_or_b64 s[6:7], s[6:7], exec
	s_waitcnt lgkmcnt(0)
	v_cmp_ne_u32_e64 s[2:3], v4, v20
	s_and_b64 s[2:3], vcc, s[2:3]
	s_and_b64 s[4:5], s[2:3], exec
	s_or_b64 exec, exec, s[8:9]
.LBB816_87:
	v_mov_b32_e32 v81, s12
	s_and_saveexec_b64 s[2:3], s[6:7]
.LBB816_88:
	v_cndmask_b32_e64 v81, 0, 1, s[4:5]
.LBB816_89:
	s_or_b64 exec, exec, s[2:3]
	s_cmp_eq_u64 s[46:47], 0
	v_add3_u32 v2, v79, v81, v78
	s_cselect_b64 s[34:35], -1, 0
	s_cmp_lg_u32 s62, 0
	v_cmp_eq_u32_e64 s[26:27], 0, v79
	v_cmp_eq_u32_e64 s[24:25], 0, v78
	;; [unrolled: 1-line block ×3, first 2 shown]
	v_add3_u32 v86, v2, v77, v76
	v_cmp_eq_u32_e64 s[20:21], 0, v76
	v_cmp_eq_u32_e64 s[18:19], 0, v75
	v_cmp_eq_u32_e64 s[16:17], 0, v74
	v_cmp_eq_u32_e64 s[14:15], 0, v73
	v_cmp_eq_u32_e64 s[12:13], 0, v72
	v_cmp_eq_u32_e64 s[10:11], 0, v71
	v_cmp_eq_u32_e64 s[8:9], 0, v70
	v_cmp_eq_u32_e64 s[6:7], 0, v69
	v_cmp_eq_u32_e64 s[4:5], 0, v68
	v_cmp_eq_u32_e64 s[2:3], 0, v67
	v_cmp_eq_u32_e32 vcc, 0, v66
	v_mbcnt_lo_u32_b32 v85, -1, 0
	v_lshrrev_b32_e32 v83, 6, v0
	v_or_b32_e32 v84, 63, v0
	s_cbranch_scc0 .LBB816_120
; %bb.90:
	v_cndmask_b32_e64 v2, 0, v34, s[26:27]
	v_add_u32_e32 v2, v2, v35
	v_cndmask_b32_e64 v2, 0, v2, s[24:25]
	v_add_u32_e32 v2, v2, v32
	;; [unrolled: 2-line block ×11, first 2 shown]
	v_cndmask_b32_e64 v2, 0, v2, s[4:5]
	v_add3_u32 v3, v86, v75, v74
	v_add_u32_e32 v2, v2, v22
	v_add3_u32 v3, v3, v73, v72
	v_cndmask_b32_e64 v2, 0, v2, s[2:3]
	v_add3_u32 v3, v3, v71, v70
	v_add_u32_e32 v2, v2, v23
	v_add3_u32 v3, v3, v69, v68
	v_cndmask_b32_e32 v2, 0, v2, vcc
	v_add3_u32 v3, v3, v67, v66
	v_add_u32_e32 v2, v2, v82
	v_mbcnt_hi_u32_b32 v39, -1, v85
	v_and_b32_e32 v4, 15, v39
	v_mov_b32_dpp v6, v2 row_shr:1 row_mask:0xf bank_mask:0xf
	v_cmp_eq_u32_e32 vcc, 0, v3
	v_mov_b32_dpp v5, v3 row_shr:1 row_mask:0xf bank_mask:0xf
	v_cndmask_b32_e32 v6, 0, v6, vcc
	v_cmp_eq_u32_e32 vcc, 0, v4
	v_cndmask_b32_e64 v5, v5, 0, vcc
	v_add_u32_e32 v3, v5, v3
	v_cndmask_b32_e64 v5, v6, 0, vcc
	v_add_u32_e32 v2, v5, v2
	v_cmp_eq_u32_e32 vcc, 0, v3
	v_mov_b32_dpp v5, v3 row_shr:2 row_mask:0xf bank_mask:0xf
	v_cmp_lt_u32_e64 s[28:29], 1, v4
	v_mov_b32_dpp v6, v2 row_shr:2 row_mask:0xf bank_mask:0xf
	v_cndmask_b32_e64 v5, 0, v5, s[28:29]
	s_and_b64 vcc, s[28:29], vcc
	v_cndmask_b32_e32 v6, 0, v6, vcc
	v_add_u32_e32 v3, v3, v5
	v_add_u32_e32 v2, v6, v2
	v_cmp_eq_u32_e32 vcc, 0, v3
	v_mov_b32_dpp v5, v3 row_shr:4 row_mask:0xf bank_mask:0xf
	v_cmp_lt_u32_e64 s[28:29], 3, v4
	v_mov_b32_dpp v6, v2 row_shr:4 row_mask:0xf bank_mask:0xf
	v_cndmask_b32_e64 v5, 0, v5, s[28:29]
	s_and_b64 vcc, s[28:29], vcc
	v_cndmask_b32_e32 v6, 0, v6, vcc
	v_add_u32_e32 v3, v5, v3
	v_add_u32_e32 v2, v2, v6
	v_cmp_eq_u32_e32 vcc, 0, v3
	v_cmp_lt_u32_e64 s[28:29], 7, v4
	v_mov_b32_dpp v5, v3 row_shr:8 row_mask:0xf bank_mask:0xf
	v_mov_b32_dpp v6, v2 row_shr:8 row_mask:0xf bank_mask:0xf
	s_and_b64 vcc, s[28:29], vcc
	v_cndmask_b32_e64 v4, 0, v5, s[28:29]
	v_cndmask_b32_e32 v5, 0, v6, vcc
	v_add_u32_e32 v2, v5, v2
	v_add_u32_e32 v3, v4, v3
	v_bfe_i32 v6, v39, 4, 1
	v_mov_b32_dpp v5, v2 row_bcast:15 row_mask:0xf bank_mask:0xf
	v_mov_b32_dpp v4, v3 row_bcast:15 row_mask:0xf bank_mask:0xf
	v_cmp_eq_u32_e32 vcc, 0, v3
	v_cndmask_b32_e32 v5, 0, v5, vcc
	v_and_b32_e32 v4, v6, v4
	v_add_u32_e32 v3, v4, v3
	v_and_b32_e32 v4, v6, v5
	v_add_u32_e32 v4, v4, v2
	v_mov_b32_dpp v2, v3 row_bcast:31 row_mask:0xf bank_mask:0xf
	v_cmp_eq_u32_e32 vcc, 0, v3
	v_cmp_lt_u32_e64 s[28:29], 31, v39
	v_mov_b32_dpp v5, v4 row_bcast:31 row_mask:0xf bank_mask:0xf
	v_cndmask_b32_e64 v2, 0, v2, s[28:29]
	s_and_b64 vcc, s[28:29], vcc
	v_add_u32_e32 v2, v2, v3
	v_cndmask_b32_e32 v3, 0, v5, vcc
	v_add_u32_e32 v3, v3, v4
	v_cmp_eq_u32_e32 vcc, v84, v0
	v_lshlrev_b32_e32 v4, 3, v83
	s_and_saveexec_b64 s[28:29], vcc
	s_cbranch_execz .LBB816_92
; %bb.91:
	ds_write_b64 v4, v[2:3] offset:2064
.LBB816_92:
	s_or_b64 exec, exec, s[28:29]
	v_cmp_gt_u32_e32 vcc, 4, v0
	s_waitcnt lgkmcnt(0)
	s_barrier
	s_and_saveexec_b64 s[30:31], vcc
	s_cbranch_execz .LBB816_94
; %bb.93:
	v_lshlrev_b32_e32 v5, 3, v0
	ds_read_b64 v[6:7], v5 offset:2064
	v_and_b32_e32 v36, 3, v39
	v_cmp_lt_u32_e64 s[28:29], 1, v36
	s_waitcnt lgkmcnt(0)
	v_mov_b32_dpp v38, v7 row_shr:1 row_mask:0xf bank_mask:0xf
	v_cmp_eq_u32_e32 vcc, 0, v6
	v_mov_b32_dpp v37, v6 row_shr:1 row_mask:0xf bank_mask:0xf
	v_cndmask_b32_e32 v38, 0, v38, vcc
	v_cmp_eq_u32_e32 vcc, 0, v36
	v_cndmask_b32_e64 v37, v37, 0, vcc
	v_add_u32_e32 v6, v37, v6
	v_cndmask_b32_e64 v37, v38, 0, vcc
	v_add_u32_e32 v7, v37, v7
	v_cmp_eq_u32_e32 vcc, 0, v6
	v_mov_b32_dpp v37, v6 row_shr:2 row_mask:0xf bank_mask:0xf
	v_mov_b32_dpp v38, v7 row_shr:2 row_mask:0xf bank_mask:0xf
	v_cndmask_b32_e64 v36, 0, v37, s[28:29]
	s_and_b64 vcc, s[28:29], vcc
	v_add_u32_e32 v6, v36, v6
	v_cndmask_b32_e32 v36, 0, v38, vcc
	v_add_u32_e32 v7, v36, v7
	ds_write_b64 v5, v[6:7] offset:2064
.LBB816_94:
	s_or_b64 exec, exec, s[30:31]
	v_cmp_gt_u32_e32 vcc, 64, v0
	v_cmp_lt_u32_e64 s[28:29], 63, v0
	v_mov_b32_e32 v36, 0
	v_mov_b32_e32 v37, 0
	s_waitcnt lgkmcnt(0)
	s_barrier
	s_and_saveexec_b64 s[30:31], s[28:29]
	s_cbranch_execz .LBB816_96
; %bb.95:
	ds_read_b64 v[36:37], v4 offset:2056
	v_cmp_eq_u32_e64 s[28:29], 0, v2
	s_waitcnt lgkmcnt(0)
	v_add_u32_e32 v4, v36, v2
	v_cndmask_b32_e64 v2, 0, v37, s[28:29]
	v_add_u32_e32 v3, v2, v3
	v_mov_b32_e32 v2, v4
.LBB816_96:
	s_or_b64 exec, exec, s[30:31]
	v_add_u32_e32 v4, -1, v39
	v_and_b32_e32 v5, 64, v39
	v_cmp_lt_i32_e64 s[28:29], v4, v5
	v_cndmask_b32_e64 v4, v4, v39, s[28:29]
	v_lshlrev_b32_e32 v4, 2, v4
	ds_bpermute_b32 v44, v4, v2
	ds_bpermute_b32 v45, v4, v3
	v_cmp_eq_u32_e64 s[28:29], 0, v39
	s_and_saveexec_b64 s[40:41], vcc
	s_cbranch_execz .LBB816_119
; %bb.97:
	v_mov_b32_e32 v7, 0
	ds_read_b64 v[2:3], v7 offset:2088
	s_waitcnt lgkmcnt(0)
	v_readfirstlane_b32 s48, v2
	v_readfirstlane_b32 s49, v3
	s_and_saveexec_b64 s[30:31], s[28:29]
	s_cbranch_execz .LBB816_99
; %bb.98:
	s_add_i32 s46, s62, 64
	s_mov_b32 s47, 0
	s_lshl_b64 s[50:51], s[46:47], 4
	s_add_u32 s50, s44, s50
	s_addc_u32 s51, s45, s51
	s_and_b32 s57, s49, 0xff000000
	s_mov_b32 s56, s47
	s_and_b32 s65, s49, 0xff0000
	s_mov_b32 s64, s47
	s_or_b64 s[56:57], s[64:65], s[56:57]
	s_and_b32 s65, s49, 0xff00
	s_or_b64 s[56:57], s[56:57], s[64:65]
	s_and_b32 s65, s49, 0xff
	s_or_b64 s[46:47], s[56:57], s[64:65]
	v_mov_b32_e32 v4, s48
	v_mov_b32_e32 v5, s47
	;; [unrolled: 1-line block ×3, first 2 shown]
	v_pk_mov_b32 v[2:3], s[50:51], s[50:51] op_sel:[0,1]
	;;#ASMSTART
	global_store_dwordx4 v[2:3], v[4:7] off	
s_waitcnt vmcnt(0)
	;;#ASMEND
.LBB816_99:
	s_or_b64 exec, exec, s[30:31]
	v_xad_u32 v38, v39, -1, s62
	v_add_u32_e32 v6, 64, v38
	v_lshlrev_b64 v[2:3], 4, v[6:7]
	v_mov_b32_e32 v4, s45
	v_add_co_u32_e32 v40, vcc, s44, v2
	v_addc_co_u32_e32 v41, vcc, v4, v3, vcc
	;;#ASMSTART
	global_load_dwordx4 v[2:5], v[40:41] off glc	
s_waitcnt vmcnt(0)
	;;#ASMEND
	v_and_b32_e32 v5, 0xff, v3
	v_and_b32_e32 v6, 0xff00, v3
	;; [unrolled: 1-line block ×3, first 2 shown]
	v_or3_b32 v5, 0, v5, v6
	v_or3_b32 v2, v2, 0, 0
	v_and_b32_e32 v3, 0xff000000, v3
	v_or3_b32 v3, v5, v42, v3
	v_or3_b32 v2, v2, 0, 0
	v_cmp_eq_u16_sdwa s[46:47], v4, v7 src0_sel:BYTE_0 src1_sel:DWORD
	s_and_saveexec_b64 s[30:31], s[46:47]
	s_cbranch_execz .LBB816_105
; %bb.100:
	s_mov_b32 s50, 1
	s_mov_b64 s[46:47], 0
	v_mov_b32_e32 v6, 0
.LBB816_101:                            ; =>This Loop Header: Depth=1
                                        ;     Child Loop BB816_102 Depth 2
	s_max_u32 s51, s50, 1
.LBB816_102:                            ;   Parent Loop BB816_101 Depth=1
                                        ; =>  This Inner Loop Header: Depth=2
	s_add_i32 s51, s51, -1
	s_cmp_eq_u32 s51, 0
	s_sleep 1
	s_cbranch_scc0 .LBB816_102
; %bb.103:                              ;   in Loop: Header=BB816_101 Depth=1
	s_cmp_lt_u32 s50, 32
	s_cselect_b64 s[56:57], -1, 0
	s_cmp_lg_u64 s[56:57], 0
	s_addc_u32 s50, s50, 0
	;;#ASMSTART
	global_load_dwordx4 v[2:5], v[40:41] off glc	
s_waitcnt vmcnt(0)
	;;#ASMEND
	v_cmp_ne_u16_sdwa s[56:57], v4, v6 src0_sel:BYTE_0 src1_sel:DWORD
	s_or_b64 s[46:47], s[56:57], s[46:47]
	s_andn2_b64 exec, exec, s[46:47]
	s_cbranch_execnz .LBB816_101
; %bb.104:
	s_or_b64 exec, exec, s[46:47]
.LBB816_105:
	s_or_b64 exec, exec, s[30:31]
	v_mov_b32_e32 v46, 2
	v_cmp_eq_u16_sdwa s[30:31], v4, v46 src0_sel:BYTE_0 src1_sel:DWORD
	v_lshlrev_b64 v[40:41], v39, -1
	v_and_b32_e32 v5, s31, v41
	v_and_b32_e32 v47, 63, v39
	v_or_b32_e32 v5, 0x80000000, v5
	v_cmp_ne_u32_e32 vcc, 63, v47
	v_and_b32_e32 v6, s30, v40
	v_ffbl_b32_e32 v5, v5
	v_addc_co_u32_e32 v7, vcc, 0, v39, vcc
	v_add_u32_e32 v5, 32, v5
	v_ffbl_b32_e32 v6, v6
	v_lshlrev_b32_e32 v48, 2, v7
	v_min_u32_e32 v5, v6, v5
	ds_bpermute_b32 v6, v48, v3
	v_cmp_eq_u32_e32 vcc, 0, v2
	v_cmp_lt_u32_e64 s[30:31], v47, v5
	ds_bpermute_b32 v7, v48, v2
	s_and_b64 vcc, s[30:31], vcc
	s_waitcnt lgkmcnt(1)
	v_cndmask_b32_e32 v6, 0, v6, vcc
	v_cmp_gt_u32_e32 vcc, 62, v47
	v_add_u32_e32 v3, v6, v3
	v_cndmask_b32_e64 v6, 0, 1, vcc
	v_lshlrev_b32_e32 v6, 1, v6
	v_add_lshl_u32 v49, v6, v39, 2
	s_waitcnt lgkmcnt(0)
	v_cndmask_b32_e64 v7, 0, v7, s[30:31]
	ds_bpermute_b32 v6, v49, v3
	v_add_u32_e32 v2, v7, v2
	ds_bpermute_b32 v7, v49, v2
	v_add_u32_e32 v50, 2, v47
	v_cmp_eq_u32_e32 vcc, 0, v2
	s_waitcnt lgkmcnt(1)
	v_cndmask_b32_e32 v6, 0, v6, vcc
	v_cmp_gt_u32_e32 vcc, v50, v5
	v_cndmask_b32_e64 v6, v6, 0, vcc
	v_add_u32_e32 v3, v6, v3
	s_waitcnt lgkmcnt(0)
	v_cndmask_b32_e64 v6, v7, 0, vcc
	v_cmp_gt_u32_e32 vcc, 60, v47
	v_cndmask_b32_e64 v7, 0, 1, vcc
	v_lshlrev_b32_e32 v7, 2, v7
	v_add_lshl_u32 v51, v7, v39, 2
	ds_bpermute_b32 v7, v51, v3
	v_add_u32_e32 v2, v2, v6
	ds_bpermute_b32 v6, v51, v2
	v_add_u32_e32 v52, 4, v47
	v_cmp_eq_u32_e32 vcc, 0, v2
	s_waitcnt lgkmcnt(1)
	v_cndmask_b32_e32 v7, 0, v7, vcc
	v_cmp_gt_u32_e32 vcc, v52, v5
	v_cndmask_b32_e64 v7, v7, 0, vcc
	s_waitcnt lgkmcnt(0)
	v_cndmask_b32_e64 v6, v6, 0, vcc
	v_cmp_gt_u32_e32 vcc, 56, v47
	v_add_u32_e32 v3, v3, v7
	v_cndmask_b32_e64 v7, 0, 1, vcc
	v_lshlrev_b32_e32 v7, 3, v7
	v_add_lshl_u32 v53, v7, v39, 2
	ds_bpermute_b32 v7, v53, v3
	v_add_u32_e32 v2, v2, v6
	ds_bpermute_b32 v6, v53, v2
	v_add_u32_e32 v54, 8, v47
	v_cmp_eq_u32_e32 vcc, 0, v2
	s_waitcnt lgkmcnt(1)
	v_cndmask_b32_e32 v7, 0, v7, vcc
	v_cmp_gt_u32_e32 vcc, v54, v5
	v_cndmask_b32_e64 v7, v7, 0, vcc
	s_waitcnt lgkmcnt(0)
	v_cndmask_b32_e64 v6, v6, 0, vcc
	v_cmp_gt_u32_e32 vcc, 48, v47
	v_add_u32_e32 v3, v3, v7
	;; [unrolled: 16-line block ×3, first 2 shown]
	v_cndmask_b32_e64 v7, 0, 1, vcc
	v_lshlrev_b32_e32 v7, 5, v7
	v_add_lshl_u32 v57, v7, v39, 2
	ds_bpermute_b32 v7, v57, v3
	v_add_u32_e32 v2, v2, v6
	ds_bpermute_b32 v6, v57, v2
	v_add_u32_e32 v58, 32, v47
	v_cmp_eq_u32_e32 vcc, 0, v2
	s_waitcnt lgkmcnt(1)
	v_cndmask_b32_e32 v7, 0, v7, vcc
	v_cmp_gt_u32_e32 vcc, v58, v5
	v_cndmask_b32_e64 v5, v7, 0, vcc
	v_add_u32_e32 v3, v5, v3
	s_waitcnt lgkmcnt(0)
	v_cndmask_b32_e64 v5, v6, 0, vcc
	v_add_u32_e32 v2, v5, v2
	v_mov_b32_e32 v39, 0
	s_branch .LBB816_107
.LBB816_106:                            ;   in Loop: Header=BB816_107 Depth=1
	s_or_b64 exec, exec, s[30:31]
	v_cmp_eq_u16_sdwa s[30:31], v4, v46 src0_sel:BYTE_0 src1_sel:DWORD
	v_and_b32_e32 v5, s31, v41
	v_or_b32_e32 v5, 0x80000000, v5
	v_and_b32_e32 v42, s30, v40
	v_ffbl_b32_e32 v5, v5
	v_add_u32_e32 v5, 32, v5
	v_ffbl_b32_e32 v42, v42
	v_min_u32_e32 v5, v42, v5
	ds_bpermute_b32 v42, v48, v3
	v_cmp_eq_u32_e32 vcc, 0, v2
	v_cmp_lt_u32_e64 s[30:31], v47, v5
	ds_bpermute_b32 v43, v48, v2
	s_and_b64 vcc, s[30:31], vcc
	s_waitcnt lgkmcnt(1)
	v_cndmask_b32_e32 v42, 0, v42, vcc
	v_add_u32_e32 v3, v42, v3
	ds_bpermute_b32 v42, v49, v3
	s_waitcnt lgkmcnt(1)
	v_cndmask_b32_e64 v43, 0, v43, s[30:31]
	v_add_u32_e32 v2, v43, v2
	v_cmp_eq_u32_e32 vcc, 0, v2
	ds_bpermute_b32 v43, v49, v2
	s_waitcnt lgkmcnt(1)
	v_cndmask_b32_e32 v42, 0, v42, vcc
	v_cmp_gt_u32_e32 vcc, v50, v5
	v_cndmask_b32_e64 v42, v42, 0, vcc
	v_add_u32_e32 v3, v42, v3
	ds_bpermute_b32 v42, v51, v3
	s_waitcnt lgkmcnt(1)
	v_cndmask_b32_e64 v43, v43, 0, vcc
	v_add_u32_e32 v2, v2, v43
	v_cmp_eq_u32_e32 vcc, 0, v2
	ds_bpermute_b32 v43, v51, v2
	s_waitcnt lgkmcnt(1)
	v_cndmask_b32_e32 v42, 0, v42, vcc
	v_cmp_gt_u32_e32 vcc, v52, v5
	v_cndmask_b32_e64 v42, v42, 0, vcc
	v_add_u32_e32 v3, v3, v42
	ds_bpermute_b32 v42, v53, v3
	s_waitcnt lgkmcnt(1)
	v_cndmask_b32_e64 v43, v43, 0, vcc
	v_add_u32_e32 v2, v2, v43
	ds_bpermute_b32 v43, v53, v2
	v_cmp_eq_u32_e32 vcc, 0, v2
	s_waitcnt lgkmcnt(1)
	v_cndmask_b32_e32 v42, 0, v42, vcc
	v_cmp_gt_u32_e32 vcc, v54, v5
	v_cndmask_b32_e64 v42, v42, 0, vcc
	v_add_u32_e32 v3, v3, v42
	ds_bpermute_b32 v42, v55, v3
	s_waitcnt lgkmcnt(1)
	v_cndmask_b32_e64 v43, v43, 0, vcc
	v_add_u32_e32 v2, v2, v43
	ds_bpermute_b32 v43, v55, v2
	v_cmp_eq_u32_e32 vcc, 0, v2
	;; [unrolled: 11-line block ×3, first 2 shown]
	s_waitcnt lgkmcnt(1)
	v_cndmask_b32_e32 v42, 0, v42, vcc
	v_cmp_gt_u32_e32 vcc, v58, v5
	v_cndmask_b32_e64 v5, v42, 0, vcc
	v_add_u32_e32 v3, v5, v3
	s_waitcnt lgkmcnt(0)
	v_cndmask_b32_e64 v5, v43, 0, vcc
	v_cmp_eq_u32_e32 vcc, 0, v6
	v_cndmask_b32_e32 v3, 0, v3, vcc
	v_subrev_u32_e32 v38, 64, v38
	v_add3_u32 v2, v2, v6, v5
	v_add_u32_e32 v3, v3, v7
.LBB816_107:                            ; =>This Loop Header: Depth=1
                                        ;     Child Loop BB816_110 Depth 2
                                        ;       Child Loop BB816_111 Depth 3
	v_cmp_ne_u16_sdwa s[30:31], v4, v46 src0_sel:BYTE_0 src1_sel:DWORD
	v_mov_b32_e32 v7, v3
	v_cndmask_b32_e64 v3, 0, 1, s[30:31]
	;;#ASMSTART
	;;#ASMEND
	v_cmp_ne_u32_e32 vcc, 0, v3
	s_cmp_lg_u64 vcc, exec
	v_mov_b32_e32 v6, v2
	s_cbranch_scc1 .LBB816_114
; %bb.108:                              ;   in Loop: Header=BB816_107 Depth=1
	v_lshlrev_b64 v[2:3], 4, v[38:39]
	v_mov_b32_e32 v4, s45
	v_add_co_u32_e32 v42, vcc, s44, v2
	v_addc_co_u32_e32 v43, vcc, v4, v3, vcc
	;;#ASMSTART
	global_load_dwordx4 v[2:5], v[42:43] off glc	
s_waitcnt vmcnt(0)
	;;#ASMEND
	v_and_b32_e32 v5, 0xff, v3
	v_and_b32_e32 v59, 0xff00, v3
	;; [unrolled: 1-line block ×3, first 2 shown]
	v_or3_b32 v5, 0, v5, v59
	v_or3_b32 v2, v2, 0, 0
	v_and_b32_e32 v3, 0xff000000, v3
	v_or3_b32 v3, v5, v60, v3
	v_or3_b32 v2, v2, 0, 0
	v_cmp_eq_u16_sdwa s[46:47], v4, v39 src0_sel:BYTE_0 src1_sel:DWORD
	s_and_saveexec_b64 s[30:31], s[46:47]
	s_cbranch_execz .LBB816_106
; %bb.109:                              ;   in Loop: Header=BB816_107 Depth=1
	s_mov_b32 s50, 1
	s_mov_b64 s[46:47], 0
.LBB816_110:                            ;   Parent Loop BB816_107 Depth=1
                                        ; =>  This Loop Header: Depth=2
                                        ;       Child Loop BB816_111 Depth 3
	s_max_u32 s51, s50, 1
.LBB816_111:                            ;   Parent Loop BB816_107 Depth=1
                                        ;     Parent Loop BB816_110 Depth=2
                                        ; =>    This Inner Loop Header: Depth=3
	s_add_i32 s51, s51, -1
	s_cmp_eq_u32 s51, 0
	s_sleep 1
	s_cbranch_scc0 .LBB816_111
; %bb.112:                              ;   in Loop: Header=BB816_110 Depth=2
	s_cmp_lt_u32 s50, 32
	s_cselect_b64 s[56:57], -1, 0
	s_cmp_lg_u64 s[56:57], 0
	s_addc_u32 s50, s50, 0
	;;#ASMSTART
	global_load_dwordx4 v[2:5], v[42:43] off glc	
s_waitcnt vmcnt(0)
	;;#ASMEND
	v_cmp_ne_u16_sdwa s[56:57], v4, v39 src0_sel:BYTE_0 src1_sel:DWORD
	s_or_b64 s[46:47], s[56:57], s[46:47]
	s_andn2_b64 exec, exec, s[46:47]
	s_cbranch_execnz .LBB816_110
; %bb.113:                              ;   in Loop: Header=BB816_107 Depth=1
	s_or_b64 exec, exec, s[46:47]
	s_branch .LBB816_106
.LBB816_114:                            ;   in Loop: Header=BB816_107 Depth=1
                                        ; implicit-def: $vgpr3
                                        ; implicit-def: $vgpr2
                                        ; implicit-def: $vgpr4
	s_cbranch_execz .LBB816_107
; %bb.115:
	s_and_saveexec_b64 s[30:31], s[28:29]
	s_cbranch_execz .LBB816_117
; %bb.116:
	s_cmp_eq_u32 s48, 0
	s_cselect_b64 vcc, -1, 0
	s_mov_b32 s47, 0
	v_cndmask_b32_e32 v2, 0, v7, vcc
	s_add_i32 s46, s62, 64
	v_add_u32_e32 v2, s49, v2
	s_lshl_b64 s[46:47], s[46:47], 4
	s_add_u32 s46, s44, s46
	v_and_b32_e32 v3, 0xff000000, v2
	v_and_b32_e32 v4, 0xff0000, v2
	s_addc_u32 s47, s45, s47
	v_or_b32_e32 v3, v4, v3
	v_and_b32_e32 v4, 0xff00, v2
	v_and_b32_e32 v2, 0xff, v2
	v_add_u32_e32 v38, s48, v6
	v_mov_b32_e32 v41, 0
	v_or3_b32 v39, v3, v4, v2
	v_mov_b32_e32 v40, 2
	v_pk_mov_b32 v[2:3], s[46:47], s[46:47] op_sel:[0,1]
	;;#ASMSTART
	global_store_dwordx4 v[2:3], v[38:41] off	
s_waitcnt vmcnt(0)
	;;#ASMEND
	v_mov_b32_e32 v4, s48
	v_mov_b32_e32 v5, s49
	ds_write_b128 v41, v[4:7] offset:2048
.LBB816_117:
	s_or_b64 exec, exec, s[30:31]
	s_and_b64 exec, exec, s[0:1]
	s_cbranch_execz .LBB816_119
; %bb.118:
	v_mov_b32_e32 v2, 0
	ds_write_b64 v2, v[6:7] offset:2088
.LBB816_119:
	s_or_b64 exec, exec, s[40:41]
	v_mov_b32_e32 v4, 0
	s_waitcnt lgkmcnt(0)
	s_barrier
	ds_read_b64 v[2:3], v4 offset:2088
	v_cndmask_b32_e64 v6, v44, v36, s[28:29]
	v_cmp_eq_u32_e32 vcc, 0, v6
	v_cndmask_b32_e64 v5, v45, v37, s[28:29]
	s_waitcnt lgkmcnt(0)
	v_cndmask_b32_e32 v7, 0, v3, vcc
	v_add_u32_e32 v5, v7, v5
	v_cndmask_b32_e64 v65, v5, v3, s[0:1]
	v_cndmask_b32_e64 v3, v6, 0, s[0:1]
	v_cmp_eq_u32_e32 vcc, 0, v81
	v_add_u32_e32 v64, v2, v3
	v_cndmask_b32_e32 v2, 0, v65, vcc
	v_add_u32_e32 v63, v2, v34
	v_cndmask_b32_e64 v2, 0, v63, s[26:27]
	v_add_u32_e32 v61, v2, v35
	v_cndmask_b32_e64 v2, 0, v61, s[24:25]
	;; [unrolled: 2-line block ×8, first 2 shown]
	v_add_u32_e32 v62, v64, v81
	v_add_u32_e32 v47, v2, v26
	v_add_u32_e32 v60, v62, v79
	v_cndmask_b32_e64 v2, 0, v47, s[10:11]
	v_add_u32_e32 v58, v60, v78
	v_add_u32_e32 v45, v2, v27
	v_add_u32_e32 v56, v58, v77
	v_cndmask_b32_e64 v2, 0, v45, s[8:9]
	v_add_u32_e32 v54, v56, v76
	v_add_u32_e32 v43, v2, v24
	v_add_u32_e32 v52, v54, v75
	v_cndmask_b32_e64 v2, 0, v43, s[6:7]
	v_add_u32_e32 v50, v52, v74
	v_add_u32_e32 v41, v2, v25
	s_barrier
	ds_read_b128 v[2:5], v4 offset:2048
	v_add_u32_e32 v48, v50, v73
	v_add_u32_e32 v46, v48, v72
	;; [unrolled: 1-line block ×4, first 2 shown]
	v_cndmask_b32_e64 v6, 0, v41, s[4:5]
	v_add_u32_e32 v40, v42, v69
	v_add_u32_e32 v39, v6, v22
	s_waitcnt lgkmcnt(0)
	v_cmp_eq_u32_e32 vcc, 0, v2
	v_add_u32_e32 v38, v40, v68
	v_cndmask_b32_e64 v6, 0, v39, s[2:3]
	v_cndmask_b32_e32 v5, 0, v5, vcc
	v_add_u32_e32 v36, v38, v67
	v_add_u32_e32 v37, v6, v23
	;; [unrolled: 1-line block ×3, first 2 shown]
	s_branch .LBB816_132
.LBB816_120:
                                        ; implicit-def: $vgpr2
                                        ; implicit-def: $vgpr80
                                        ; implicit-def: $vgpr64_vgpr65
                                        ; implicit-def: $vgpr62_vgpr63
                                        ; implicit-def: $vgpr60_vgpr61
                                        ; implicit-def: $vgpr58_vgpr59
                                        ; implicit-def: $vgpr56_vgpr57
                                        ; implicit-def: $vgpr54_vgpr55
                                        ; implicit-def: $vgpr52_vgpr53
                                        ; implicit-def: $vgpr50_vgpr51
                                        ; implicit-def: $vgpr48_vgpr49
                                        ; implicit-def: $vgpr46_vgpr47
                                        ; implicit-def: $vgpr44_vgpr45
                                        ; implicit-def: $vgpr42_vgpr43
                                        ; implicit-def: $vgpr40_vgpr41
                                        ; implicit-def: $vgpr38_vgpr39
                                        ; implicit-def: $vgpr36_vgpr37
	s_cbranch_execz .LBB816_132
; %bb.121:
	s_and_b64 s[2:3], s[34:35], exec
	s_cselect_b32 s3, 0, s61
	s_cselect_b32 s2, 0, s60
	s_cmp_eq_u64 s[2:3], 0
	v_mov_b32_e32 v6, v34
	s_cbranch_scc1 .LBB816_123
; %bb.122:
	v_mov_b32_e32 v2, 0
	global_load_dword v6, v2, s[2:3]
.LBB816_123:
	v_cmp_eq_u32_e64 s[2:3], 0, v79
	v_cndmask_b32_e64 v2, 0, v34, s[2:3]
	v_add_u32_e32 v2, v2, v35
	v_cmp_eq_u32_e64 s[4:5], 0, v78
	v_cndmask_b32_e64 v2, 0, v2, s[4:5]
	v_add_u32_e32 v2, v2, v32
	;; [unrolled: 3-line block ×11, first 2 shown]
	v_cmp_eq_u32_e64 s[24:25], 0, v68
	v_cndmask_b32_e64 v2, 0, v2, s[24:25]
	v_add3_u32 v3, v86, v75, v74
	v_add_u32_e32 v2, v2, v22
	v_cmp_eq_u32_e32 vcc, 0, v67
	v_add3_u32 v3, v3, v73, v72
	v_cndmask_b32_e32 v2, 0, v2, vcc
	v_add3_u32 v3, v3, v71, v70
	v_add_u32_e32 v2, v2, v23
	v_cmp_eq_u32_e64 s[26:27], 0, v66
	v_add3_u32 v3, v3, v69, v68
	v_cndmask_b32_e64 v2, 0, v2, s[26:27]
	v_add3_u32 v3, v3, v67, v66
	v_add_u32_e32 v2, v2, v82
	v_mbcnt_hi_u32_b32 v7, -1, v85
	v_and_b32_e32 v4, 15, v7
	v_mov_b32_dpp v36, v2 row_shr:1 row_mask:0xf bank_mask:0xf
	v_cmp_eq_u32_e64 s[26:27], 0, v3
	v_mov_b32_dpp v5, v3 row_shr:1 row_mask:0xf bank_mask:0xf
	v_cndmask_b32_e64 v36, 0, v36, s[26:27]
	v_cmp_eq_u32_e64 s[26:27], 0, v4
	v_cndmask_b32_e64 v5, v5, 0, s[26:27]
	v_add_u32_e32 v3, v5, v3
	v_cndmask_b32_e64 v5, v36, 0, s[26:27]
	v_add_u32_e32 v2, v5, v2
	v_cmp_eq_u32_e64 s[26:27], 0, v3
	v_mov_b32_dpp v5, v3 row_shr:2 row_mask:0xf bank_mask:0xf
	v_cmp_lt_u32_e64 s[28:29], 1, v4
	v_mov_b32_dpp v36, v2 row_shr:2 row_mask:0xf bank_mask:0xf
	v_cndmask_b32_e64 v5, 0, v5, s[28:29]
	s_and_b64 s[26:27], s[28:29], s[26:27]
	v_cndmask_b32_e64 v36, 0, v36, s[26:27]
	v_add_u32_e32 v3, v3, v5
	v_add_u32_e32 v2, v36, v2
	v_cmp_eq_u32_e64 s[26:27], 0, v3
	v_mov_b32_dpp v5, v3 row_shr:4 row_mask:0xf bank_mask:0xf
	v_cmp_lt_u32_e64 s[28:29], 3, v4
	v_mov_b32_dpp v36, v2 row_shr:4 row_mask:0xf bank_mask:0xf
	v_cndmask_b32_e64 v5, 0, v5, s[28:29]
	s_and_b64 s[26:27], s[28:29], s[26:27]
	v_cndmask_b32_e64 v36, 0, v36, s[26:27]
	v_add_u32_e32 v3, v5, v3
	v_add_u32_e32 v2, v2, v36
	v_cmp_eq_u32_e64 s[26:27], 0, v3
	v_cmp_lt_u32_e64 s[28:29], 7, v4
	v_mov_b32_dpp v5, v3 row_shr:8 row_mask:0xf bank_mask:0xf
	v_mov_b32_dpp v36, v2 row_shr:8 row_mask:0xf bank_mask:0xf
	s_and_b64 s[26:27], s[28:29], s[26:27]
	v_cndmask_b32_e64 v4, 0, v5, s[28:29]
	v_cndmask_b32_e64 v5, 0, v36, s[26:27]
	v_add_u32_e32 v2, v5, v2
	v_add_u32_e32 v3, v4, v3
	v_bfe_i32 v36, v7, 4, 1
	v_mov_b32_dpp v5, v2 row_bcast:15 row_mask:0xf bank_mask:0xf
	v_mov_b32_dpp v4, v3 row_bcast:15 row_mask:0xf bank_mask:0xf
	v_cmp_eq_u32_e64 s[26:27], 0, v3
	v_cndmask_b32_e64 v5, 0, v5, s[26:27]
	v_and_b32_e32 v4, v36, v4
	v_add_u32_e32 v3, v4, v3
	v_and_b32_e32 v4, v36, v5
	v_add_u32_e32 v4, v4, v2
	v_mov_b32_dpp v2, v3 row_bcast:31 row_mask:0xf bank_mask:0xf
	v_cmp_eq_u32_e64 s[26:27], 0, v3
	v_cmp_lt_u32_e64 s[28:29], 31, v7
	v_mov_b32_dpp v5, v4 row_bcast:31 row_mask:0xf bank_mask:0xf
	v_cndmask_b32_e64 v2, 0, v2, s[28:29]
	s_and_b64 s[26:27], s[28:29], s[26:27]
	v_add_u32_e32 v2, v2, v3
	v_cndmask_b32_e64 v3, 0, v5, s[26:27]
	v_add_u32_e32 v3, v3, v4
	v_cmp_eq_u32_e64 s[26:27], v84, v0
	s_and_saveexec_b64 s[28:29], s[26:27]
	s_cbranch_execz .LBB816_125
; %bb.124:
	v_lshlrev_b32_e32 v4, 3, v83
	ds_write_b64 v4, v[2:3] offset:2064
.LBB816_125:
	s_or_b64 exec, exec, s[28:29]
	v_cmp_gt_u32_e64 s[26:27], 4, v0
	s_waitcnt lgkmcnt(0)
	s_barrier
	s_and_saveexec_b64 s[30:31], s[26:27]
	s_cbranch_execz .LBB816_127
; %bb.126:
	v_lshlrev_b32_e32 v36, 3, v0
	ds_read_b64 v[4:5], v36 offset:2064
	v_and_b32_e32 v37, 3, v7
	v_cmp_lt_u32_e64 s[28:29], 1, v37
	s_waitcnt lgkmcnt(0)
	v_mov_b32_dpp v39, v5 row_shr:1 row_mask:0xf bank_mask:0xf
	v_cmp_eq_u32_e64 s[26:27], 0, v4
	v_mov_b32_dpp v38, v4 row_shr:1 row_mask:0xf bank_mask:0xf
	v_cndmask_b32_e64 v39, 0, v39, s[26:27]
	v_cmp_eq_u32_e64 s[26:27], 0, v37
	v_cndmask_b32_e64 v38, v38, 0, s[26:27]
	v_add_u32_e32 v4, v38, v4
	v_cndmask_b32_e64 v38, v39, 0, s[26:27]
	v_add_u32_e32 v5, v38, v5
	v_cmp_eq_u32_e64 s[26:27], 0, v4
	v_mov_b32_dpp v38, v4 row_shr:2 row_mask:0xf bank_mask:0xf
	v_mov_b32_dpp v39, v5 row_shr:2 row_mask:0xf bank_mask:0xf
	v_cndmask_b32_e64 v37, 0, v38, s[28:29]
	s_and_b64 s[26:27], s[28:29], s[26:27]
	v_add_u32_e32 v4, v37, v4
	v_cndmask_b32_e64 v37, 0, v39, s[26:27]
	v_add_u32_e32 v5, v37, v5
	ds_write_b64 v36, v[4:5] offset:2064
.LBB816_127:
	s_or_b64 exec, exec, s[30:31]
	v_cmp_lt_u32_e64 s[26:27], 63, v0
	v_mov_b32_e32 v36, 0
	v_mov_b32_e32 v4, 0
	s_waitcnt vmcnt(0)
	v_mov_b32_e32 v5, v6
	s_waitcnt lgkmcnt(0)
	s_barrier
	s_and_saveexec_b64 s[28:29], s[26:27]
	s_cbranch_execz .LBB816_129
; %bb.128:
	v_lshlrev_b32_e32 v4, 3, v83
	ds_read_b64 v[4:5], v4 offset:2056
	s_waitcnt lgkmcnt(0)
	v_cmp_eq_u32_e64 s[26:27], 0, v4
	v_cndmask_b32_e64 v37, 0, v6, s[26:27]
	v_add_u32_e32 v5, v37, v5
.LBB816_129:
	s_or_b64 exec, exec, s[28:29]
	v_cmp_eq_u32_e64 s[26:27], 0, v2
	v_add_u32_e32 v37, v4, v2
	v_cndmask_b32_e64 v2, 0, v5, s[26:27]
	v_add_u32_e32 v2, v2, v3
	v_add_u32_e32 v3, -1, v7
	v_and_b32_e32 v38, 64, v7
	v_cmp_lt_i32_e64 s[26:27], v3, v38
	v_cndmask_b32_e64 v3, v3, v7, s[26:27]
	v_lshlrev_b32_e32 v3, 2, v3
	ds_bpermute_b32 v2, v3, v2
	ds_bpermute_b32 v37, v3, v37
	v_cmp_eq_u32_e64 s[26:27], 0, v7
	s_waitcnt lgkmcnt(1)
	v_cndmask_b32_e64 v2, v2, v5, s[26:27]
	s_waitcnt lgkmcnt(0)
	v_cndmask_b32_e64 v3, v37, v4, s[26:27]
	v_cndmask_b32_e64 v65, v2, v6, s[0:1]
	v_cmp_eq_u32_e64 s[26:27], 0, v81
	v_cndmask_b32_e64 v2, 0, v65, s[26:27]
	v_add_u32_e32 v63, v2, v34
	v_cndmask_b32_e64 v2, 0, v63, s[2:3]
	v_add_u32_e32 v61, v2, v35
	v_cndmask_b32_e64 v2, 0, v61, s[4:5]
	v_add_u32_e32 v59, v2, v32
	v_cndmask_b32_e64 v2, 0, v59, s[6:7]
	v_add_u32_e32 v57, v2, v33
	v_cndmask_b32_e64 v2, 0, v57, s[8:9]
	v_add_u32_e32 v55, v2, v30
	v_cndmask_b32_e64 v2, 0, v55, s[10:11]
	v_add_u32_e32 v53, v2, v31
	v_cndmask_b32_e64 v2, 0, v53, s[12:13]
	v_add_u32_e32 v51, v2, v28
	v_cndmask_b32_e64 v2, 0, v51, s[14:15]
	v_add_u32_e32 v49, v2, v29
	v_cndmask_b32_e64 v64, v3, 0, s[0:1]
	v_cndmask_b32_e64 v2, 0, v49, s[16:17]
	v_add_u32_e32 v62, v64, v81
	v_add_u32_e32 v47, v2, v26
	v_add_u32_e32 v60, v62, v79
	v_cndmask_b32_e64 v2, 0, v47, s[18:19]
	v_add_u32_e32 v58, v60, v78
	v_add_u32_e32 v45, v2, v27
	v_add_u32_e32 v56, v58, v77
	;; [unrolled: 4-line block ×3, first 2 shown]
	v_cndmask_b32_e64 v2, 0, v43, s[22:23]
	v_add_u32_e32 v50, v52, v74
	v_add_u32_e32 v41, v2, v25
	ds_read_b64 v[2:3], v36 offset:2088
	v_add_u32_e32 v48, v50, v73
	v_add_u32_e32 v46, v48, v72
	;; [unrolled: 1-line block ×3, first 2 shown]
	v_cndmask_b32_e64 v4, 0, v41, s[24:25]
	v_add_u32_e32 v42, v44, v70
	v_add_u32_e32 v39, v4, v22
	;; [unrolled: 1-line block ×3, first 2 shown]
	v_cndmask_b32_e32 v4, 0, v39, vcc
	s_waitcnt lgkmcnt(0)
	v_cmp_eq_u32_e32 vcc, 0, v2
	v_add_u32_e32 v38, v40, v68
	v_add_u32_e32 v37, v4, v23
	v_cndmask_b32_e32 v4, 0, v6, vcc
	v_add_u32_e32 v36, v38, v67
	v_add_u32_e32 v80, v4, v3
	s_and_saveexec_b64 s[2:3], s[0:1]
	s_cbranch_execz .LBB816_131
; %bb.130:
	s_add_u32 s4, s44, 0x400
	v_and_b32_e32 v3, 0xff000000, v80
	v_and_b32_e32 v4, 0xff0000, v80
	s_addc_u32 s5, s45, 0
	v_or_b32_e32 v3, v4, v3
	v_and_b32_e32 v4, 0xff00, v80
	v_and_b32_e32 v6, 0xff, v80
	v_mov_b32_e32 v5, 0
	v_or3_b32 v3, v3, v4, v6
	v_mov_b32_e32 v4, 2
	v_pk_mov_b32 v[6:7], s[4:5], s[4:5] op_sel:[0,1]
	;;#ASMSTART
	global_store_dwordx4 v[6:7], v[2:5] off	
s_waitcnt vmcnt(0)
	;;#ASMEND
.LBB816_131:
	s_or_b64 exec, exec, s[2:3]
	v_mov_b32_e32 v4, 0
.LBB816_132:
	s_and_b64 s[2:3], s[34:35], exec
	s_cselect_b32 s3, 0, s59
	s_cselect_b32 s2, 0, s58
	s_cmp_eq_u64 s[2:3], 0
	v_pk_mov_b32 v[6:7], 0, 0
	s_barrier
	s_cbranch_scc1 .LBB816_134
; %bb.133:
	v_mov_b32_e32 v3, 0
	global_load_dwordx2 v[6:7], v3, s[2:3]
.LBB816_134:
	s_waitcnt vmcnt(0)
	v_lshlrev_b64 v[22:23], 2, v[6:7]
	v_mov_b32_e32 v3, s43
	v_add_co_u32_e32 v26, vcc, s42, v22
	v_mov_b32_e32 v5, 0
	v_addc_co_u32_e32 v27, vcc, v3, v23, vcc
	v_lshlrev_b64 v[24:25], 2, v[4:5]
	v_add_co_u32_e32 v3, vcc, v26, v24
	v_addc_co_u32_e32 v5, vcc, v27, v25, vcc
	v_cmp_eq_u32_e32 vcc, 0, v81
	v_cndmask_b32_e64 v26, 1, 2, vcc
	v_cmp_eq_u32_e32 vcc, 0, v79
	v_cndmask_b32_e64 v27, 1, 2, vcc
	v_cmp_eq_u32_e32 vcc, 0, v78
	v_and_b32_e32 v26, v27, v26
	v_cndmask_b32_e64 v27, 1, 2, vcc
	v_cmp_eq_u32_e32 vcc, 0, v77
	v_and_b32_e32 v26, v26, v27
	;; [unrolled: 3-line block ×13, first 2 shown]
	v_cndmask_b32_e64 v27, 1, 2, vcc
	s_movk_i32 s34, 0x100
	v_and_b32_e32 v26, v26, v27
	v_cmp_gt_u32_e32 vcc, s34, v2
	v_cmp_ne_u32_e64 s[30:31], 0, v81
	v_cmp_ne_u32_e64 s[28:29], 0, v79
	;; [unrolled: 1-line block ×15, first 2 shown]
	s_mov_b64 s[40:41], -1
	v_cmp_gt_i16_e64 s[34:35], 2, v26
	s_cbranch_vccz .LBB816_141
; %bb.135:
	s_and_saveexec_b64 s[40:41], s[34:35]
	s_cbranch_execz .LBB816_140
; %bb.136:
	v_cmp_ne_u16_e32 vcc, 1, v26
	s_mov_b64 s[42:43], 0
	s_and_saveexec_b64 s[34:35], vcc
	s_xor_b64 s[34:35], exec, s[34:35]
	s_cbranch_execnz .LBB816_197
; %bb.137:
	s_andn2_saveexec_b64 s[34:35], s[34:35]
	s_cbranch_execnz .LBB816_213
.LBB816_138:
	s_or_b64 exec, exec, s[34:35]
	s_and_b64 exec, exec, s[42:43]
	s_cbranch_execz .LBB816_140
.LBB816_139:
	v_sub_u32_e32 v28, v36, v4
	v_mov_b32_e32 v29, 0
	v_lshlrev_b64 v[28:29], 2, v[28:29]
	v_add_co_u32_e32 v28, vcc, v3, v28
	v_addc_co_u32_e32 v29, vcc, v5, v29, vcc
	global_store_dword v[28:29], v1, off
.LBB816_140:
	s_or_b64 exec, exec, s[40:41]
	s_mov_b64 s[40:41], 0
.LBB816_141:
	s_and_b64 vcc, exec, s[40:41]
	s_cbranch_vccz .LBB816_163
; %bb.142:
	v_cmp_gt_i16_e32 vcc, 2, v26
	s_and_saveexec_b64 s[34:35], vcc
	s_cbranch_execz .LBB816_147
; %bb.143:
	v_cmp_ne_u16_e32 vcc, 1, v26
	s_mov_b64 s[42:43], 0
	s_and_saveexec_b64 s[40:41], vcc
	s_xor_b64 s[40:41], exec, s[40:41]
	s_cbranch_execnz .LBB816_214
; %bb.144:
	s_andn2_saveexec_b64 s[2:3], s[40:41]
	s_cbranch_execnz .LBB816_230
.LBB816_145:
	s_or_b64 exec, exec, s[2:3]
	s_and_b64 exec, exec, s[42:43]
	s_cbranch_execz .LBB816_147
.LBB816_146:
	v_sub_u32_e32 v8, v36, v4
	v_lshlrev_b32_e32 v8, 2, v8
	ds_write_b32 v8, v1
.LBB816_147:
	s_or_b64 exec, exec, s[34:35]
	v_cmp_lt_u32_e32 vcc, v0, v2
	s_waitcnt lgkmcnt(0)
	s_barrier
	s_and_saveexec_b64 s[4:5], vcc
	s_cbranch_execz .LBB816_162
; %bb.148:
	v_xad_u32 v1, v0, -1, v2
	s_movk_i32 s2, 0x1700
	v_cmp_gt_u32_e64 s[6:7], s2, v1
	s_movk_i32 s2, 0x16ff
	v_cmp_lt_u32_e32 vcc, s2, v1
	v_mov_b32_e32 v8, v0
	s_and_saveexec_b64 s[8:9], vcc
	s_cbranch_execz .LBB816_159
; %bb.149:
	v_sub_u32_e32 v8, v0, v2
	v_or_b32_e32 v8, 0xff, v8
	v_cmp_ge_u32_e32 vcc, v8, v0
	s_mov_b64 s[2:3], -1
	v_mov_b32_e32 v8, v0
	s_and_saveexec_b64 s[10:11], vcc
	s_cbranch_execz .LBB816_158
; %bb.150:
	v_lshrrev_b32_e32 v12, 8, v1
	v_add_u32_e32 v8, -1, v12
	v_or_b32_e32 v1, 0x100, v0
	v_lshrrev_b32_e32 v9, 1, v8
	v_add_u32_e32 v13, 1, v9
	v_cmp_lt_u32_e32 vcc, 13, v8
	v_mov_b32_e32 v16, 0
	v_pk_mov_b32 v[8:9], v[0:1], v[0:1] op_sel:[0,1]
	s_and_saveexec_b64 s[12:13], vcc
	s_cbranch_execz .LBB816_154
; %bb.151:
	v_and_b32_e32 v14, -8, v13
	v_lshlrev_b32_e32 v15, 2, v0
	s_mov_b32 s16, 0
	s_mov_b64 s[14:15], 0
	v_mov_b32_e32 v11, 0
	v_pk_mov_b32 v[8:9], v[0:1], v[0:1] op_sel:[0,1]
.LBB816_152:                            ; =>This Inner Loop Header: Depth=1
	v_mov_b32_e32 v10, v8
	v_add_u32_e32 v14, -8, v14
	v_lshlrev_b64 v[96:97], 2, v[10:11]
	v_mov_b32_e32 v10, v9
	ds_read2st64_b32 v[18:19], v15 offset1:4
	s_add_i32 s16, s16, 16
	v_cmp_eq_u32_e32 vcc, 0, v14
	v_lshlrev_b64 v[100:101], 2, v[10:11]
	v_add_u32_e32 v10, 0x200, v8
	s_or_b64 s[14:15], vcc, s[14:15]
	v_add_co_u32_e32 v100, vcc, v3, v100
	v_add_u32_e32 v16, 0x200, v9
	v_mov_b32_e32 v17, v11
	ds_read2st64_b32 v[20:21], v15 offset0:8 offset1:12
	ds_read2st64_b32 v[28:29], v15 offset0:16 offset1:20
	v_add_co_u32_e64 v96, s[2:3], v3, v96
	v_addc_co_u32_e32 v101, vcc, v5, v101, vcc
	v_lshlrev_b64 v[102:103], 2, v[10:11]
	v_lshlrev_b64 v[98:99], 2, v[16:17]
	v_addc_co_u32_e64 v97, s[2:3], v5, v97, s[2:3]
	v_add_u32_e32 v10, 0x400, v8
	v_add_co_u32_e32 v102, vcc, v3, v102
	v_add_u32_e32 v26, 0x400, v9
	v_mov_b32_e32 v27, v11
	ds_read2st64_b32 v[32:33], v15 offset0:24 offset1:28
	v_add_co_u32_e64 v98, s[2:3], v3, v98
	v_addc_co_u32_e32 v103, vcc, v5, v103, vcc
	v_lshlrev_b64 v[104:105], 2, v[10:11]
	ds_read2st64_b32 v[82:83], v15 offset0:32 offset1:36
	ds_read2st64_b32 v[86:87], v15 offset0:40 offset1:44
	;; [unrolled: 1-line block ×4, first 2 shown]
	v_lshlrev_b64 v[26:27], 2, v[26:27]
	v_addc_co_u32_e64 v99, s[2:3], v5, v99, s[2:3]
	v_add_u32_e32 v10, 0x600, v8
	s_waitcnt lgkmcnt(7)
	global_store_dword v[96:97], v18, off
	global_store_dword v[100:101], v19, off
	s_waitcnt lgkmcnt(6)
	global_store_dword v[102:103], v20, off
	global_store_dword v[98:99], v21, off
	v_add_co_u32_e32 v18, vcc, v3, v104
	v_add_u32_e32 v30, 0x600, v9
	v_mov_b32_e32 v31, v11
	v_add_co_u32_e64 v26, s[2:3], v3, v26
	v_addc_co_u32_e32 v19, vcc, v5, v105, vcc
	v_lshlrev_b64 v[20:21], 2, v[10:11]
	v_lshlrev_b64 v[30:31], 2, v[30:31]
	v_addc_co_u32_e64 v27, s[2:3], v5, v27, s[2:3]
	v_add_u32_e32 v10, 0x800, v8
	s_waitcnt lgkmcnt(5)
	global_store_dword v[18:19], v28, off
	global_store_dword v[26:27], v29, off
	v_add_co_u32_e32 v18, vcc, v3, v20
	v_add_u32_e32 v34, 0x800, v9
	v_mov_b32_e32 v35, v11
	v_add_co_u32_e64 v30, s[2:3], v3, v30
	v_addc_co_u32_e32 v19, vcc, v5, v21, vcc
	v_lshlrev_b64 v[20:21], 2, v[10:11]
	v_lshlrev_b64 v[34:35], 2, v[34:35]
	v_addc_co_u32_e64 v31, s[2:3], v5, v31, s[2:3]
	v_add_u32_e32 v10, 0xa00, v8
	;; [unrolled: 12-line block ×4, first 2 shown]
	s_waitcnt lgkmcnt(2)
	global_store_dword v[18:19], v86, off
	global_store_dword v[84:85], v87, off
	v_add_co_u32_e32 v18, vcc, v3, v20
	v_add_u32_e32 v92, 0xe00, v9
	v_mov_b32_e32 v93, v11
	v_add_co_u32_e64 v88, s[2:3], v3, v88
	v_addc_co_u32_e32 v19, vcc, v5, v21, vcc
	v_lshlrev_b64 v[20:21], 2, v[10:11]
	v_lshlrev_b64 v[92:93], 2, v[92:93]
	v_addc_co_u32_e64 v89, s[2:3], v5, v89, s[2:3]
	s_waitcnt lgkmcnt(1)
	global_store_dword v[18:19], v90, off
	global_store_dword v[88:89], v91, off
	v_add_co_u32_e32 v18, vcc, v3, v20
	v_add_u32_e32 v15, 0x4000, v15
	v_add_u32_e32 v9, 0x1000, v9
	v_mov_b32_e32 v16, s16
	v_add_co_u32_e64 v92, s[2:3], v3, v92
	v_add_u32_e32 v8, 0x1000, v8
	v_addc_co_u32_e32 v19, vcc, v5, v21, vcc
	v_addc_co_u32_e64 v93, s[2:3], v5, v93, s[2:3]
	s_waitcnt lgkmcnt(0)
	global_store_dword v[18:19], v94, off
	global_store_dword v[92:93], v95, off
	s_andn2_b64 exec, exec, s[14:15]
	s_cbranch_execnz .LBB816_152
; %bb.153:
	s_or_b64 exec, exec, s[14:15]
.LBB816_154:
	s_or_b64 exec, exec, s[12:13]
	v_and_b32_e32 v1, 7, v13
	v_cmp_ne_u32_e32 vcc, 0, v1
	s_and_saveexec_b64 s[12:13], vcc
	s_cbranch_execz .LBB816_157
; %bb.155:
	v_lshlrev_b32_e32 v10, 2, v0
	v_lshl_or_b32 v13, v16, 10, v10
	s_mov_b64 s[14:15], 0
	v_mov_b32_e32 v11, 0
.LBB816_156:                            ; =>This Inner Loop Header: Depth=1
	ds_read2st64_b32 v[14:15], v13 offset1:4
	v_mov_b32_e32 v10, v8
	v_add_u32_e32 v1, -1, v1
	v_lshlrev_b64 v[16:17], 2, v[10:11]
	v_mov_b32_e32 v10, v9
	v_cmp_eq_u32_e32 vcc, 0, v1
	v_add_co_u32_e64 v16, s[2:3], v3, v16
	v_lshlrev_b64 v[18:19], 2, v[10:11]
	v_add_u32_e32 v8, 0x200, v8
	v_add_u32_e32 v13, 0x800, v13
	;; [unrolled: 1-line block ×3, first 2 shown]
	v_addc_co_u32_e64 v17, s[2:3], v5, v17, s[2:3]
	s_or_b64 s[14:15], vcc, s[14:15]
	v_add_co_u32_e32 v18, vcc, v3, v18
	v_addc_co_u32_e32 v19, vcc, v5, v19, vcc
	s_waitcnt lgkmcnt(0)
	global_store_dword v[16:17], v14, off
	global_store_dword v[18:19], v15, off
	s_andn2_b64 exec, exec, s[14:15]
	s_cbranch_execnz .LBB816_156
.LBB816_157:
	s_or_b64 exec, exec, s[12:13]
	v_add_u32_e32 v1, 1, v12
	v_and_b32_e32 v9, 0x1fffffe, v1
	v_cmp_ne_u32_e32 vcc, v1, v9
	v_lshl_or_b32 v8, v9, 8, v0
	s_orn2_b64 s[2:3], vcc, exec
.LBB816_158:
	s_or_b64 exec, exec, s[10:11]
	s_andn2_b64 s[6:7], s[6:7], exec
	s_and_b64 s[2:3], s[2:3], exec
	s_or_b64 s[6:7], s[6:7], s[2:3]
.LBB816_159:
	s_or_b64 exec, exec, s[8:9]
	s_and_b64 exec, exec, s[6:7]
	s_cbranch_execz .LBB816_162
; %bb.160:
	v_lshlrev_b32_e32 v1, 2, v8
	s_mov_b64 s[2:3], 0
	v_mov_b32_e32 v9, 0
.LBB816_161:                            ; =>This Inner Loop Header: Depth=1
	v_lshlrev_b64 v[10:11], 2, v[8:9]
	ds_read_b32 v12, v1
	v_add_co_u32_e32 v10, vcc, v3, v10
	v_add_u32_e32 v8, 0x100, v8
	v_addc_co_u32_e32 v11, vcc, v5, v11, vcc
	v_cmp_ge_u32_e32 vcc, v8, v2
	v_add_u32_e32 v1, 0x400, v1
	s_or_b64 s[2:3], vcc, s[2:3]
	s_waitcnt lgkmcnt(0)
	global_store_dword v[10:11], v12, off
	s_andn2_b64 exec, exec, s[2:3]
	s_cbranch_execnz .LBB816_161
.LBB816_162:
	s_or_b64 exec, exec, s[4:5]
.LBB816_163:
	s_cmpk_lg_i32 s33, 0xf00
	s_cselect_b64 s[2:3], -1, 0
	s_and_b64 s[0:1], s[0:1], s[38:39]
	v_cndmask_b32_e64 v5, v81, 0, s[0:1]
	s_mul_hi_u32 s0, s33, 0x88888889
	s_lshr_b32 s0, s0, 3
	v_mad_i32_i24 v9, v0, -15, s33
	v_cmp_eq_u32_e32 vcc, s0, v0
	v_cmp_ne_u32_e64 s[0:1], 0, v9
	v_cndmask_b32_e64 v10, 1, v5, s[0:1]
	v_cmp_ne_u32_e64 s[0:1], 1, v9
	v_cndmask_b32_e64 v11, 1, v79, s[0:1]
	;; [unrolled: 2-line block ×15, first 2 shown]
	s_and_b64 vcc, vcc, s[36:37]
	v_cndmask_b32_e32 v28, v66, v9, vcc
	v_cndmask_b32_e32 v27, v67, v27, vcc
	;; [unrolled: 1-line block ×15, first 2 shown]
	v_mov_b32_e32 v5, s53
	v_add_co_u32_e32 v9, vcc, s52, v22
	v_addc_co_u32_e32 v12, vcc, v5, v23, vcc
	v_cndmask_b32_e64 v1, 0, 1, s[38:39]
	v_add_co_u32_e32 v5, vcc, v9, v24
	v_addc_co_u32_e32 v12, vcc, v12, v25, vcc
	v_lshlrev_b32_e32 v9, 2, v1
	v_add_co_u32_e32 v9, vcc, v9, v5
	v_addc_co_u32_e32 v14, vcc, 0, v12, vcc
	v_add_co_u32_e32 v13, vcc, -4, v9
	v_addc_co_u32_e32 v14, vcc, -1, v14, vcc
	v_cmp_eq_u32_e32 vcc, 0, v10
	v_cmp_ne_u32_e64 s[28:29], 0, v10
	v_cndmask_b32_e64 v10, 1, 2, vcc
	v_cmp_eq_u32_e32 vcc, 0, v11
	v_cmp_ne_u32_e64 s[26:27], 0, v11
	v_cndmask_b32_e64 v11, 1, 2, vcc
	v_cmp_eq_u32_e32 vcc, 0, v31
	v_and_b32_e32 v10, v11, v10
	v_cndmask_b32_e64 v11, 1, 2, vcc
	v_cmp_eq_u32_e32 vcc, 0, v30
	v_and_b32_e32 v10, v10, v11
	;; [unrolled: 3-line block ×10, first 2 shown]
	v_cndmask_b32_e64 v11, 1, 2, vcc
	v_cmp_eq_u32_e32 vcc, 0, v26
	s_and_b64 s[2:3], s[2:3], s[36:37]
	v_and_b32_e32 v10, v10, v11
	v_cndmask_b32_e64 v11, 1, 2, vcc
	v_cmp_eq_u32_e32 vcc, 0, v27
	v_sub_u32_e32 v3, v2, v1
	v_cndmask_b32_e64 v8, 0, 1, s[2:3]
	v_and_b32_e32 v10, v10, v11
	v_cndmask_b32_e64 v11, 1, 2, vcc
	v_cmp_eq_u32_e32 vcc, 0, v28
	v_add_u32_e32 v3, v3, v8
	v_and_b32_e32 v10, v10, v11
	v_cndmask_b32_e64 v11, 1, 2, vcc
	s_movk_i32 s30, 0x100
	v_and_b32_e32 v10, v10, v11
	v_cmp_gt_u32_e32 vcc, s30, v3
	v_add_u32_e32 v9, v4, v1
	v_cmp_ne_u32_e64 s[24:25], 0, v31
	v_cmp_ne_u32_e64 s[22:23], 0, v30
	;; [unrolled: 1-line block ×13, first 2 shown]
	s_mov_b64 s[34:35], -1
	v_cmp_gt_i16_e64 s[30:31], 2, v10
	s_barrier
	s_cbranch_vccz .LBB816_170
; %bb.164:
	s_and_saveexec_b64 s[34:35], s[30:31]
	s_cbranch_execz .LBB816_169
; %bb.165:
	v_cmp_ne_u16_e32 vcc, 1, v10
	s_mov_b64 s[38:39], 0
	s_and_saveexec_b64 s[30:31], vcc
	s_xor_b64 s[30:31], exec, s[30:31]
	s_cbranch_execnz .LBB816_231
; %bb.166:
	s_andn2_saveexec_b64 s[30:31], s[30:31]
	s_cbranch_execnz .LBB816_247
.LBB816_167:
	s_or_b64 exec, exec, s[30:31]
	s_and_b64 exec, exec, s[38:39]
	s_cbranch_execz .LBB816_169
.LBB816_168:
	v_sub_u32_e32 v16, v36, v9
	v_mov_b32_e32 v17, 0
	v_lshlrev_b64 v[16:17], 2, v[16:17]
	v_add_co_u32_e32 v16, vcc, v13, v16
	v_addc_co_u32_e32 v17, vcc, v14, v17, vcc
	global_store_dword v[16:17], v37, off
.LBB816_169:
	s_or_b64 exec, exec, s[34:35]
	s_mov_b64 s[34:35], 0
.LBB816_170:
	s_and_b64 vcc, exec, s[34:35]
	s_cbranch_vccz .LBB816_192
; %bb.171:
	v_cmp_gt_i16_e32 vcc, 2, v10
	s_and_saveexec_b64 s[30:31], vcc
	s_cbranch_execz .LBB816_176
; %bb.172:
	v_cmp_ne_u16_e32 vcc, 1, v10
	s_mov_b64 s[38:39], 0
	s_and_saveexec_b64 s[34:35], vcc
	s_xor_b64 s[34:35], exec, s[34:35]
	s_cbranch_execnz .LBB816_248
; %bb.173:
	s_andn2_saveexec_b64 s[0:1], s[34:35]
	s_cbranch_execnz .LBB816_264
.LBB816_174:
	s_or_b64 exec, exec, s[0:1]
	s_and_b64 exec, exec, s[38:39]
	s_cbranch_execz .LBB816_176
.LBB816_175:
	v_sub_u32_e32 v9, v36, v9
	v_lshlrev_b32_e32 v9, 2, v9
	ds_write_b32 v9, v37
.LBB816_176:
	s_or_b64 exec, exec, s[30:31]
	v_cmp_lt_u32_e32 vcc, v0, v3
	s_waitcnt lgkmcnt(0)
	s_barrier
	s_and_saveexec_b64 s[2:3], vcc
	s_cbranch_execz .LBB816_191
; %bb.177:
	v_add_u32_e32 v10, v2, v8
	v_xad_u32 v8, v0, -1, v10
	v_sub_u32_e32 v9, v8, v1
	s_movk_i32 s0, 0x1900
	v_cmp_gt_u32_e64 s[4:5], s0, v9
	s_movk_i32 s0, 0x18ff
	v_cmp_lt_u32_e32 vcc, s0, v9
	v_mov_b32_e32 v8, v0
	s_and_saveexec_b64 s[6:7], vcc
	s_cbranch_execz .LBB816_188
; %bb.178:
	v_sub_u32_e32 v8, v0, v10
	v_add_u32_e32 v1, v8, v1
	v_or_b32_e32 v1, 0xff, v1
	v_cmp_ge_u32_e32 vcc, v1, v0
	s_mov_b64 s[0:1], -1
	v_mov_b32_e32 v8, v0
	s_and_saveexec_b64 s[8:9], vcc
	s_cbranch_execz .LBB816_187
; %bb.179:
	v_lshrrev_b32_e32 v15, 8, v9
	v_add_u32_e32 v8, -1, v15
	v_or_b32_e32 v1, 0x100, v0
	v_lshrrev_b32_e32 v9, 1, v8
	v_add_u32_e32 v17, 1, v9
	v_cmp_lt_u32_e32 vcc, 13, v8
	v_mov_b32_e32 v20, 0
	v_lshlrev_b32_e32 v16, 2, v0
	v_pk_mov_b32 v[8:9], v[0:1], v[0:1] op_sel:[0,1]
	s_and_saveexec_b64 s[10:11], vcc
	s_cbranch_execz .LBB816_183
; %bb.180:
	v_and_b32_e32 v18, -8, v17
	s_mov_b32 s14, 0
	s_mov_b64 s[12:13], 0
	v_mov_b32_e32 v11, 0
	v_mov_b32_e32 v19, v16
	v_pk_mov_b32 v[8:9], v[0:1], v[0:1] op_sel:[0,1]
.LBB816_181:                            ; =>This Inner Loop Header: Depth=1
	v_mov_b32_e32 v10, v8
	v_add_u32_e32 v18, -8, v18
	v_lshlrev_b64 v[50:51], 2, v[10:11]
	v_mov_b32_e32 v10, v9
	ds_read2st64_b32 v[22:23], v19 offset1:4
	s_add_i32 s14, s14, 16
	v_cmp_eq_u32_e32 vcc, 0, v18
	v_lshlrev_b64 v[54:55], 2, v[10:11]
	v_add_u32_e32 v10, 0x200, v8
	s_or_b64 s[12:13], vcc, s[12:13]
	v_add_co_u32_e32 v54, vcc, v13, v54
	v_add_u32_e32 v20, 0x200, v9
	v_mov_b32_e32 v21, v11
	ds_read2st64_b32 v[24:25], v19 offset0:8 offset1:12
	ds_read2st64_b32 v[28:29], v19 offset0:16 offset1:20
	v_add_co_u32_e64 v50, s[0:1], v13, v50
	v_addc_co_u32_e32 v55, vcc, v14, v55, vcc
	v_lshlrev_b64 v[56:57], 2, v[10:11]
	v_lshlrev_b64 v[52:53], 2, v[20:21]
	v_addc_co_u32_e64 v51, s[0:1], v14, v51, s[0:1]
	v_add_u32_e32 v10, 0x400, v8
	v_add_co_u32_e32 v56, vcc, v13, v56
	v_add_u32_e32 v26, 0x400, v9
	v_mov_b32_e32 v27, v11
	ds_read2st64_b32 v[32:33], v19 offset0:24 offset1:28
	v_add_co_u32_e64 v52, s[0:1], v13, v52
	v_addc_co_u32_e32 v57, vcc, v14, v57, vcc
	v_lshlrev_b64 v[58:59], 2, v[10:11]
	ds_read2st64_b32 v[36:37], v19 offset0:32 offset1:36
	ds_read2st64_b32 v[40:41], v19 offset0:40 offset1:44
	;; [unrolled: 1-line block ×4, first 2 shown]
	v_lshlrev_b64 v[26:27], 2, v[26:27]
	v_addc_co_u32_e64 v53, s[0:1], v14, v53, s[0:1]
	v_add_u32_e32 v10, 0x600, v8
	s_waitcnt lgkmcnt(7)
	global_store_dword v[50:51], v22, off
	global_store_dword v[54:55], v23, off
	s_waitcnt lgkmcnt(6)
	global_store_dword v[56:57], v24, off
	global_store_dword v[52:53], v25, off
	v_add_co_u32_e32 v22, vcc, v13, v58
	v_add_u32_e32 v30, 0x600, v9
	v_mov_b32_e32 v31, v11
	v_add_co_u32_e64 v26, s[0:1], v13, v26
	v_addc_co_u32_e32 v23, vcc, v14, v59, vcc
	v_lshlrev_b64 v[24:25], 2, v[10:11]
	v_lshlrev_b64 v[30:31], 2, v[30:31]
	v_addc_co_u32_e64 v27, s[0:1], v14, v27, s[0:1]
	v_add_u32_e32 v10, 0x800, v8
	s_waitcnt lgkmcnt(5)
	global_store_dword v[22:23], v28, off
	global_store_dword v[26:27], v29, off
	v_add_co_u32_e32 v22, vcc, v13, v24
	v_add_u32_e32 v34, 0x800, v9
	v_mov_b32_e32 v35, v11
	v_add_co_u32_e64 v30, s[0:1], v13, v30
	v_addc_co_u32_e32 v23, vcc, v14, v25, vcc
	v_lshlrev_b64 v[24:25], 2, v[10:11]
	v_lshlrev_b64 v[34:35], 2, v[34:35]
	v_addc_co_u32_e64 v31, s[0:1], v14, v31, s[0:1]
	v_add_u32_e32 v10, 0xa00, v8
	s_waitcnt lgkmcnt(4)
	global_store_dword v[22:23], v32, off
	global_store_dword v[30:31], v33, off
	v_add_co_u32_e32 v22, vcc, v13, v24
	v_add_u32_e32 v38, 0xa00, v9
	v_mov_b32_e32 v39, v11
	v_add_co_u32_e64 v34, s[0:1], v13, v34
	v_addc_co_u32_e32 v23, vcc, v14, v25, vcc
	v_lshlrev_b64 v[24:25], 2, v[10:11]
	v_lshlrev_b64 v[38:39], 2, v[38:39]
	v_addc_co_u32_e64 v35, s[0:1], v14, v35, s[0:1]
	v_add_u32_e32 v10, 0xc00, v8
	s_waitcnt lgkmcnt(3)
	global_store_dword v[22:23], v36, off
	global_store_dword v[34:35], v37, off
	v_add_co_u32_e32 v22, vcc, v13, v24
	v_add_u32_e32 v42, 0xc00, v9
	v_mov_b32_e32 v43, v11
	v_add_co_u32_e64 v38, s[0:1], v13, v38
	v_addc_co_u32_e32 v23, vcc, v14, v25, vcc
	v_lshlrev_b64 v[24:25], 2, v[10:11]
	v_lshlrev_b64 v[42:43], 2, v[42:43]
	v_addc_co_u32_e64 v39, s[0:1], v14, v39, s[0:1]
	v_add_u32_e32 v10, 0xe00, v8
	s_waitcnt lgkmcnt(2)
	global_store_dword v[22:23], v40, off
	global_store_dword v[38:39], v41, off
	v_add_co_u32_e32 v22, vcc, v13, v24
	v_add_u32_e32 v46, 0xe00, v9
	v_mov_b32_e32 v47, v11
	v_add_co_u32_e64 v42, s[0:1], v13, v42
	v_addc_co_u32_e32 v23, vcc, v14, v25, vcc
	v_lshlrev_b64 v[24:25], 2, v[10:11]
	v_lshlrev_b64 v[46:47], 2, v[46:47]
	v_addc_co_u32_e64 v43, s[0:1], v14, v43, s[0:1]
	s_waitcnt lgkmcnt(1)
	global_store_dword v[22:23], v44, off
	global_store_dword v[42:43], v45, off
	v_add_co_u32_e32 v22, vcc, v13, v24
	v_add_u32_e32 v19, 0x4000, v19
	v_add_u32_e32 v9, 0x1000, v9
	v_mov_b32_e32 v20, s14
	v_add_co_u32_e64 v46, s[0:1], v13, v46
	v_add_u32_e32 v8, 0x1000, v8
	v_addc_co_u32_e32 v23, vcc, v14, v25, vcc
	v_addc_co_u32_e64 v47, s[0:1], v14, v47, s[0:1]
	s_waitcnt lgkmcnt(0)
	global_store_dword v[22:23], v48, off
	global_store_dword v[46:47], v49, off
	s_andn2_b64 exec, exec, s[12:13]
	s_cbranch_execnz .LBB816_181
; %bb.182:
	s_or_b64 exec, exec, s[12:13]
.LBB816_183:
	s_or_b64 exec, exec, s[10:11]
	v_and_b32_e32 v1, 7, v17
	v_cmp_ne_u32_e32 vcc, 0, v1
	s_and_saveexec_b64 s[10:11], vcc
	s_cbranch_execz .LBB816_186
; %bb.184:
	v_lshl_or_b32 v16, v20, 10, v16
	s_mov_b64 s[12:13], 0
	v_mov_b32_e32 v11, 0
.LBB816_185:                            ; =>This Inner Loop Header: Depth=1
	ds_read2st64_b32 v[18:19], v16 offset1:4
	v_mov_b32_e32 v10, v8
	v_add_u32_e32 v1, -1, v1
	v_lshlrev_b64 v[20:21], 2, v[10:11]
	v_mov_b32_e32 v10, v9
	v_cmp_eq_u32_e32 vcc, 0, v1
	v_add_co_u32_e64 v20, s[0:1], v13, v20
	v_lshlrev_b64 v[22:23], 2, v[10:11]
	v_add_u32_e32 v8, 0x200, v8
	v_add_u32_e32 v16, 0x800, v16
	;; [unrolled: 1-line block ×3, first 2 shown]
	v_addc_co_u32_e64 v21, s[0:1], v14, v21, s[0:1]
	s_or_b64 s[12:13], vcc, s[12:13]
	v_add_co_u32_e32 v22, vcc, v13, v22
	v_addc_co_u32_e32 v23, vcc, v14, v23, vcc
	s_waitcnt lgkmcnt(0)
	global_store_dword v[20:21], v18, off
	global_store_dword v[22:23], v19, off
	s_andn2_b64 exec, exec, s[12:13]
	s_cbranch_execnz .LBB816_185
.LBB816_186:
	s_or_b64 exec, exec, s[10:11]
	v_add_u32_e32 v1, 1, v15
	v_and_b32_e32 v9, 0x1fffffe, v1
	v_cmp_ne_u32_e32 vcc, v1, v9
	v_lshl_or_b32 v8, v9, 8, v0
	s_orn2_b64 s[0:1], vcc, exec
.LBB816_187:
	s_or_b64 exec, exec, s[8:9]
	s_andn2_b64 s[4:5], s[4:5], exec
	s_and_b64 s[0:1], s[0:1], exec
	s_or_b64 s[4:5], s[4:5], s[0:1]
.LBB816_188:
	s_or_b64 exec, exec, s[6:7]
	s_and_b64 exec, exec, s[4:5]
	s_cbranch_execz .LBB816_191
; %bb.189:
	v_lshlrev_b32_e32 v1, 2, v8
	s_mov_b64 s[0:1], 0
	v_mov_b32_e32 v9, 0
.LBB816_190:                            ; =>This Inner Loop Header: Depth=1
	v_lshlrev_b64 v[10:11], 2, v[8:9]
	ds_read_b32 v15, v1
	v_add_co_u32_e32 v10, vcc, v13, v10
	v_add_u32_e32 v8, 0x100, v8
	v_addc_co_u32_e32 v11, vcc, v14, v11, vcc
	v_cmp_ge_u32_e32 vcc, v8, v3
	v_add_u32_e32 v1, 0x400, v1
	s_or_b64 s[0:1], vcc, s[0:1]
	s_waitcnt lgkmcnt(0)
	global_store_dword v[10:11], v15, off
	s_andn2_b64 exec, exec, s[0:1]
	s_cbranch_execnz .LBB816_190
.LBB816_191:
	s_or_b64 exec, exec, s[2:3]
.LBB816_192:
	s_movk_i32 s0, 0xff
	v_cmp_eq_u32_e32 vcc, s0, v0
	s_and_b64 s[0:1], vcc, s[36:37]
	s_and_saveexec_b64 s[2:3], s[0:1]
	s_cbranch_execz .LBB816_195
; %bb.193:
	v_add_co_u32_e32 v0, vcc, v2, v4
	v_addc_co_u32_e64 v1, s[0:1], 0, 0, vcc
	v_add_co_u32_e32 v0, vcc, v0, v6
	v_mov_b32_e32 v3, 0
	v_addc_co_u32_e32 v1, vcc, v1, v7, vcc
	s_cmpk_lg_i32 s33, 0xf00
	global_store_dwordx2 v3, v[0:1], s[54:55]
	s_cbranch_scc1 .LBB816_195
; %bb.194:
	v_lshlrev_b64 v[0:1], 2, v[2:3]
	v_add_co_u32_e32 v0, vcc, v5, v0
	v_addc_co_u32_e32 v1, vcc, v12, v1, vcc
	global_store_dword v[0:1], v80, off offset:-4
.LBB816_195:
	s_endpgm
.LBB816_196:
	s_or_b64 exec, exec, s[8:9]
	v_mov_b32_e32 v81, s12
	s_and_saveexec_b64 s[2:3], s[6:7]
	s_cbranch_execnz .LBB816_88
	s_branch .LBB816_89
.LBB816_197:
	s_and_saveexec_b64 s[42:43], s[30:31]
	s_cbranch_execnz .LBB816_265
; %bb.198:
	s_or_b64 exec, exec, s[42:43]
	s_and_saveexec_b64 s[42:43], s[28:29]
	s_cbranch_execnz .LBB816_266
.LBB816_199:
	s_or_b64 exec, exec, s[42:43]
	s_and_saveexec_b64 s[42:43], s[26:27]
	s_cbranch_execnz .LBB816_267
.LBB816_200:
	s_or_b64 exec, exec, s[42:43]
	s_and_saveexec_b64 s[42:43], s[24:25]
	s_cbranch_execnz .LBB816_268
.LBB816_201:
	s_or_b64 exec, exec, s[42:43]
	s_and_saveexec_b64 s[42:43], s[22:23]
	s_cbranch_execnz .LBB816_269
.LBB816_202:
	s_or_b64 exec, exec, s[42:43]
	s_and_saveexec_b64 s[42:43], s[20:21]
	s_cbranch_execnz .LBB816_270
.LBB816_203:
	s_or_b64 exec, exec, s[42:43]
	s_and_saveexec_b64 s[42:43], s[18:19]
	s_cbranch_execnz .LBB816_271
.LBB816_204:
	s_or_b64 exec, exec, s[42:43]
	s_and_saveexec_b64 s[42:43], s[16:17]
	s_cbranch_execnz .LBB816_272
.LBB816_205:
	s_or_b64 exec, exec, s[42:43]
	s_and_saveexec_b64 s[42:43], s[14:15]
	s_cbranch_execnz .LBB816_273
.LBB816_206:
	s_or_b64 exec, exec, s[42:43]
	s_and_saveexec_b64 s[42:43], s[12:13]
	s_cbranch_execnz .LBB816_274
.LBB816_207:
	s_or_b64 exec, exec, s[42:43]
	s_and_saveexec_b64 s[42:43], s[10:11]
	s_cbranch_execnz .LBB816_275
.LBB816_208:
	s_or_b64 exec, exec, s[42:43]
	s_and_saveexec_b64 s[42:43], s[8:9]
	s_cbranch_execnz .LBB816_276
.LBB816_209:
	s_or_b64 exec, exec, s[42:43]
	s_and_saveexec_b64 s[42:43], s[6:7]
	s_cbranch_execnz .LBB816_277
.LBB816_210:
	s_or_b64 exec, exec, s[42:43]
	s_and_saveexec_b64 s[42:43], s[4:5]
	s_cbranch_execz .LBB816_212
.LBB816_211:
	v_sub_u32_e32 v28, v38, v4
	v_mov_b32_e32 v29, 0
	v_lshlrev_b64 v[28:29], 2, v[28:29]
	v_add_co_u32_e32 v28, vcc, v3, v28
	v_addc_co_u32_e32 v29, vcc, v5, v29, vcc
	global_store_dword v[28:29], v9, off
.LBB816_212:
	s_or_b64 exec, exec, s[42:43]
	s_and_b64 s[42:43], s[2:3], exec
	s_andn2_saveexec_b64 s[34:35], s[34:35]
	s_cbranch_execz .LBB816_138
.LBB816_213:
	v_sub_u32_e32 v28, v64, v4
	v_mov_b32_e32 v29, 0
	v_lshlrev_b64 v[30:31], 2, v[28:29]
	v_add_co_u32_e32 v30, vcc, v3, v30
	v_addc_co_u32_e32 v31, vcc, v5, v31, vcc
	v_sub_u32_e32 v28, v62, v4
	global_store_dword v[30:31], v20, off
	v_lshlrev_b64 v[30:31], 2, v[28:29]
	v_add_co_u32_e32 v30, vcc, v3, v30
	v_addc_co_u32_e32 v31, vcc, v5, v31, vcc
	v_sub_u32_e32 v28, v60, v4
	global_store_dword v[30:31], v21, off
	;; [unrolled: 5-line block ×12, first 2 shown]
	v_lshlrev_b64 v[30:31], 2, v[28:29]
	v_add_co_u32_e32 v30, vcc, v3, v30
	v_sub_u32_e32 v28, v38, v4
	v_addc_co_u32_e32 v31, vcc, v5, v31, vcc
	v_lshlrev_b64 v[28:29], 2, v[28:29]
	v_add_co_u32_e32 v28, vcc, v3, v28
	v_addc_co_u32_e32 v29, vcc, v5, v29, vcc
	s_or_b64 s[42:43], s[42:43], exec
	global_store_dword v[30:31], v8, off
	global_store_dword v[28:29], v9, off
	s_or_b64 exec, exec, s[34:35]
	s_and_b64 exec, exec, s[42:43]
	s_cbranch_execnz .LBB816_139
	s_branch .LBB816_140
.LBB816_214:
	s_and_saveexec_b64 s[42:43], s[30:31]
	s_cbranch_execnz .LBB816_278
; %bb.215:
	s_or_b64 exec, exec, s[42:43]
	s_and_saveexec_b64 s[30:31], s[28:29]
	s_cbranch_execnz .LBB816_279
.LBB816_216:
	s_or_b64 exec, exec, s[30:31]
	s_and_saveexec_b64 s[28:29], s[26:27]
	s_cbranch_execnz .LBB816_280
.LBB816_217:
	s_or_b64 exec, exec, s[28:29]
	s_and_saveexec_b64 s[26:27], s[24:25]
	s_cbranch_execnz .LBB816_281
.LBB816_218:
	s_or_b64 exec, exec, s[26:27]
	s_and_saveexec_b64 s[24:25], s[22:23]
	s_cbranch_execnz .LBB816_282
.LBB816_219:
	s_or_b64 exec, exec, s[24:25]
	s_and_saveexec_b64 s[22:23], s[20:21]
	s_cbranch_execnz .LBB816_283
.LBB816_220:
	s_or_b64 exec, exec, s[22:23]
	s_and_saveexec_b64 s[20:21], s[18:19]
	s_cbranch_execnz .LBB816_284
.LBB816_221:
	s_or_b64 exec, exec, s[20:21]
	s_and_saveexec_b64 s[18:19], s[16:17]
	s_cbranch_execnz .LBB816_285
.LBB816_222:
	s_or_b64 exec, exec, s[18:19]
	s_and_saveexec_b64 s[16:17], s[14:15]
	s_cbranch_execnz .LBB816_286
.LBB816_223:
	s_or_b64 exec, exec, s[16:17]
	s_and_saveexec_b64 s[14:15], s[12:13]
	s_cbranch_execnz .LBB816_287
.LBB816_224:
	s_or_b64 exec, exec, s[14:15]
	s_and_saveexec_b64 s[12:13], s[10:11]
	s_cbranch_execnz .LBB816_288
.LBB816_225:
	s_or_b64 exec, exec, s[12:13]
	s_and_saveexec_b64 s[10:11], s[8:9]
	s_cbranch_execnz .LBB816_289
.LBB816_226:
	s_or_b64 exec, exec, s[10:11]
	s_and_saveexec_b64 s[8:9], s[6:7]
	s_cbranch_execnz .LBB816_290
.LBB816_227:
	s_or_b64 exec, exec, s[8:9]
	s_and_saveexec_b64 s[6:7], s[4:5]
	s_cbranch_execz .LBB816_229
.LBB816_228:
	v_sub_u32_e32 v8, v38, v4
	v_lshlrev_b32_e32 v8, 2, v8
	ds_write_b32 v8, v9
.LBB816_229:
	s_or_b64 exec, exec, s[6:7]
	s_and_b64 s[42:43], s[2:3], exec
                                        ; implicit-def: $vgpr8
                                        ; implicit-def: $vgpr10
                                        ; implicit-def: $vgpr12
                                        ; implicit-def: $vgpr14
                                        ; implicit-def: $vgpr16
                                        ; implicit-def: $vgpr18
                                        ; implicit-def: $vgpr20
	s_andn2_saveexec_b64 s[2:3], s[40:41]
	s_cbranch_execz .LBB816_145
.LBB816_230:
	v_sub_u32_e32 v26, v64, v4
	v_lshlrev_b32_e32 v26, 2, v26
	ds_write_b32 v26, v20
	v_sub_u32_e32 v20, v62, v4
	v_lshlrev_b32_e32 v20, 2, v20
	ds_write_b32 v20, v21
	;; [unrolled: 3-line block ×13, first 2 shown]
	v_sub_u32_e32 v8, v38, v4
	v_lshlrev_b32_e32 v8, 2, v8
	s_or_b64 s[42:43], s[42:43], exec
	ds_write_b32 v8, v9
	s_or_b64 exec, exec, s[2:3]
	s_and_b64 exec, exec, s[42:43]
	s_cbranch_execnz .LBB816_146
	s_branch .LBB816_147
.LBB816_231:
	s_and_saveexec_b64 s[38:39], s[28:29]
	s_cbranch_execnz .LBB816_291
; %bb.232:
	s_or_b64 exec, exec, s[38:39]
	s_and_saveexec_b64 s[38:39], s[26:27]
	s_cbranch_execnz .LBB816_292
.LBB816_233:
	s_or_b64 exec, exec, s[38:39]
	s_and_saveexec_b64 s[38:39], s[24:25]
	s_cbranch_execnz .LBB816_293
.LBB816_234:
	s_or_b64 exec, exec, s[38:39]
	s_and_saveexec_b64 s[38:39], s[22:23]
	s_cbranch_execnz .LBB816_294
.LBB816_235:
	s_or_b64 exec, exec, s[38:39]
	s_and_saveexec_b64 s[38:39], s[20:21]
	s_cbranch_execnz .LBB816_295
.LBB816_236:
	s_or_b64 exec, exec, s[38:39]
	s_and_saveexec_b64 s[38:39], s[18:19]
	s_cbranch_execnz .LBB816_296
.LBB816_237:
	s_or_b64 exec, exec, s[38:39]
	s_and_saveexec_b64 s[38:39], s[16:17]
	s_cbranch_execnz .LBB816_297
.LBB816_238:
	s_or_b64 exec, exec, s[38:39]
	s_and_saveexec_b64 s[38:39], s[14:15]
	s_cbranch_execnz .LBB816_298
.LBB816_239:
	s_or_b64 exec, exec, s[38:39]
	s_and_saveexec_b64 s[38:39], s[12:13]
	s_cbranch_execnz .LBB816_299
.LBB816_240:
	s_or_b64 exec, exec, s[38:39]
	s_and_saveexec_b64 s[38:39], s[10:11]
	s_cbranch_execnz .LBB816_300
.LBB816_241:
	s_or_b64 exec, exec, s[38:39]
	s_and_saveexec_b64 s[38:39], s[8:9]
	s_cbranch_execnz .LBB816_301
.LBB816_242:
	s_or_b64 exec, exec, s[38:39]
	s_and_saveexec_b64 s[38:39], s[6:7]
	s_cbranch_execnz .LBB816_302
.LBB816_243:
	s_or_b64 exec, exec, s[38:39]
	s_and_saveexec_b64 s[38:39], s[4:5]
	s_cbranch_execnz .LBB816_303
.LBB816_244:
	s_or_b64 exec, exec, s[38:39]
	s_and_saveexec_b64 s[38:39], s[2:3]
	s_cbranch_execz .LBB816_246
.LBB816_245:
	v_sub_u32_e32 v16, v38, v9
	v_mov_b32_e32 v17, 0
	v_lshlrev_b64 v[16:17], 2, v[16:17]
	v_add_co_u32_e32 v16, vcc, v13, v16
	v_addc_co_u32_e32 v17, vcc, v14, v17, vcc
	global_store_dword v[16:17], v39, off
.LBB816_246:
	s_or_b64 exec, exec, s[38:39]
	s_and_b64 s[38:39], s[0:1], exec
	s_andn2_saveexec_b64 s[30:31], s[30:31]
	s_cbranch_execz .LBB816_167
.LBB816_247:
	v_sub_u32_e32 v16, v64, v9
	v_mov_b32_e32 v17, 0
	v_lshlrev_b64 v[18:19], 2, v[16:17]
	v_add_co_u32_e32 v18, vcc, v13, v18
	v_addc_co_u32_e32 v19, vcc, v14, v19, vcc
	v_sub_u32_e32 v16, v62, v9
	global_store_dword v[18:19], v65, off
	v_lshlrev_b64 v[18:19], 2, v[16:17]
	v_add_co_u32_e32 v18, vcc, v13, v18
	v_addc_co_u32_e32 v19, vcc, v14, v19, vcc
	v_sub_u32_e32 v16, v60, v9
	global_store_dword v[18:19], v63, off
	v_lshlrev_b64 v[18:19], 2, v[16:17]
	v_add_co_u32_e32 v18, vcc, v13, v18
	v_addc_co_u32_e32 v19, vcc, v14, v19, vcc
	v_sub_u32_e32 v16, v58, v9
	global_store_dword v[18:19], v61, off
	v_lshlrev_b64 v[18:19], 2, v[16:17]
	v_add_co_u32_e32 v18, vcc, v13, v18
	v_addc_co_u32_e32 v19, vcc, v14, v19, vcc
	v_sub_u32_e32 v16, v56, v9
	global_store_dword v[18:19], v59, off
	v_lshlrev_b64 v[18:19], 2, v[16:17]
	v_add_co_u32_e32 v18, vcc, v13, v18
	v_addc_co_u32_e32 v19, vcc, v14, v19, vcc
	v_sub_u32_e32 v16, v54, v9
	global_store_dword v[18:19], v57, off
	v_lshlrev_b64 v[18:19], 2, v[16:17]
	v_add_co_u32_e32 v18, vcc, v13, v18
	v_addc_co_u32_e32 v19, vcc, v14, v19, vcc
	v_sub_u32_e32 v16, v52, v9
	global_store_dword v[18:19], v55, off
	v_lshlrev_b64 v[18:19], 2, v[16:17]
	v_add_co_u32_e32 v18, vcc, v13, v18
	v_addc_co_u32_e32 v19, vcc, v14, v19, vcc
	v_sub_u32_e32 v16, v50, v9
	global_store_dword v[18:19], v53, off
	v_lshlrev_b64 v[18:19], 2, v[16:17]
	v_add_co_u32_e32 v18, vcc, v13, v18
	v_addc_co_u32_e32 v19, vcc, v14, v19, vcc
	v_sub_u32_e32 v16, v48, v9
	global_store_dword v[18:19], v51, off
	v_lshlrev_b64 v[18:19], 2, v[16:17]
	v_add_co_u32_e32 v18, vcc, v13, v18
	v_addc_co_u32_e32 v19, vcc, v14, v19, vcc
	v_sub_u32_e32 v16, v46, v9
	global_store_dword v[18:19], v49, off
	v_lshlrev_b64 v[18:19], 2, v[16:17]
	v_add_co_u32_e32 v18, vcc, v13, v18
	v_addc_co_u32_e32 v19, vcc, v14, v19, vcc
	v_sub_u32_e32 v16, v44, v9
	global_store_dword v[18:19], v47, off
	v_lshlrev_b64 v[18:19], 2, v[16:17]
	v_add_co_u32_e32 v18, vcc, v13, v18
	v_addc_co_u32_e32 v19, vcc, v14, v19, vcc
	v_sub_u32_e32 v16, v42, v9
	global_store_dword v[18:19], v45, off
	v_lshlrev_b64 v[18:19], 2, v[16:17]
	v_add_co_u32_e32 v18, vcc, v13, v18
	v_addc_co_u32_e32 v19, vcc, v14, v19, vcc
	v_sub_u32_e32 v16, v40, v9
	global_store_dword v[18:19], v43, off
	v_lshlrev_b64 v[18:19], 2, v[16:17]
	v_add_co_u32_e32 v18, vcc, v13, v18
	v_sub_u32_e32 v16, v38, v9
	v_addc_co_u32_e32 v19, vcc, v14, v19, vcc
	v_lshlrev_b64 v[16:17], 2, v[16:17]
	v_add_co_u32_e32 v16, vcc, v13, v16
	v_addc_co_u32_e32 v17, vcc, v14, v17, vcc
	s_or_b64 s[38:39], s[38:39], exec
	global_store_dword v[18:19], v41, off
	global_store_dword v[16:17], v39, off
	s_or_b64 exec, exec, s[30:31]
	s_and_b64 exec, exec, s[38:39]
	s_cbranch_execnz .LBB816_168
	s_branch .LBB816_169
.LBB816_248:
	s_and_saveexec_b64 s[38:39], s[28:29]
	s_cbranch_execnz .LBB816_304
; %bb.249:
	s_or_b64 exec, exec, s[38:39]
	s_and_saveexec_b64 s[28:29], s[26:27]
	s_cbranch_execnz .LBB816_305
.LBB816_250:
	s_or_b64 exec, exec, s[28:29]
	s_and_saveexec_b64 s[26:27], s[24:25]
	s_cbranch_execnz .LBB816_306
.LBB816_251:
	s_or_b64 exec, exec, s[26:27]
	s_and_saveexec_b64 s[24:25], s[22:23]
	s_cbranch_execnz .LBB816_307
.LBB816_252:
	s_or_b64 exec, exec, s[24:25]
	s_and_saveexec_b64 s[22:23], s[20:21]
	s_cbranch_execnz .LBB816_308
.LBB816_253:
	s_or_b64 exec, exec, s[22:23]
	s_and_saveexec_b64 s[20:21], s[18:19]
	s_cbranch_execnz .LBB816_309
.LBB816_254:
	s_or_b64 exec, exec, s[20:21]
	s_and_saveexec_b64 s[18:19], s[16:17]
	s_cbranch_execnz .LBB816_310
.LBB816_255:
	s_or_b64 exec, exec, s[18:19]
	s_and_saveexec_b64 s[16:17], s[14:15]
	s_cbranch_execnz .LBB816_311
.LBB816_256:
	s_or_b64 exec, exec, s[16:17]
	s_and_saveexec_b64 s[14:15], s[12:13]
	s_cbranch_execnz .LBB816_312
.LBB816_257:
	s_or_b64 exec, exec, s[14:15]
	s_and_saveexec_b64 s[12:13], s[10:11]
	s_cbranch_execnz .LBB816_313
.LBB816_258:
	s_or_b64 exec, exec, s[12:13]
	s_and_saveexec_b64 s[10:11], s[8:9]
	s_cbranch_execnz .LBB816_314
.LBB816_259:
	s_or_b64 exec, exec, s[10:11]
	s_and_saveexec_b64 s[8:9], s[6:7]
	s_cbranch_execnz .LBB816_315
.LBB816_260:
	s_or_b64 exec, exec, s[8:9]
	s_and_saveexec_b64 s[6:7], s[4:5]
	s_cbranch_execnz .LBB816_316
.LBB816_261:
	s_or_b64 exec, exec, s[6:7]
	s_and_saveexec_b64 s[4:5], s[2:3]
	s_cbranch_execz .LBB816_263
.LBB816_262:
	v_sub_u32_e32 v10, v38, v9
	v_lshlrev_b32_e32 v10, 2, v10
	ds_write_b32 v10, v39
.LBB816_263:
	s_or_b64 exec, exec, s[4:5]
	s_and_b64 s[38:39], s[0:1], exec
                                        ; implicit-def: $vgpr64_vgpr65
                                        ; implicit-def: $vgpr62_vgpr63
                                        ; implicit-def: $vgpr60_vgpr61
                                        ; implicit-def: $vgpr58_vgpr59
                                        ; implicit-def: $vgpr56_vgpr57
                                        ; implicit-def: $vgpr54_vgpr55
                                        ; implicit-def: $vgpr52_vgpr53
                                        ; implicit-def: $vgpr50_vgpr51
                                        ; implicit-def: $vgpr48_vgpr49
                                        ; implicit-def: $vgpr46_vgpr47
                                        ; implicit-def: $vgpr44_vgpr45
                                        ; implicit-def: $vgpr42_vgpr43
                                        ; implicit-def: $vgpr40_vgpr41
                                        ; implicit-def: $vgpr38_vgpr39
	s_andn2_saveexec_b64 s[0:1], s[34:35]
	s_cbranch_execz .LBB816_174
.LBB816_264:
	v_sub_u32_e32 v10, v64, v9
	v_lshlrev_b32_e32 v10, 2, v10
	ds_write_b32 v10, v65
	v_sub_u32_e32 v10, v62, v9
	v_lshlrev_b32_e32 v10, 2, v10
	ds_write_b32 v10, v63
	;; [unrolled: 3-line block ×13, first 2 shown]
	v_sub_u32_e32 v10, v38, v9
	v_lshlrev_b32_e32 v10, 2, v10
	s_or_b64 s[38:39], s[38:39], exec
	ds_write_b32 v10, v39
	s_or_b64 exec, exec, s[0:1]
	s_and_b64 exec, exec, s[38:39]
	s_cbranch_execnz .LBB816_175
	s_branch .LBB816_176
.LBB816_265:
	v_sub_u32_e32 v28, v64, v4
	v_mov_b32_e32 v29, 0
	v_lshlrev_b64 v[28:29], 2, v[28:29]
	v_add_co_u32_e32 v28, vcc, v3, v28
	v_addc_co_u32_e32 v29, vcc, v5, v29, vcc
	global_store_dword v[28:29], v20, off
	s_or_b64 exec, exec, s[42:43]
	s_and_saveexec_b64 s[42:43], s[28:29]
	s_cbranch_execz .LBB816_199
.LBB816_266:
	v_sub_u32_e32 v28, v62, v4
	v_mov_b32_e32 v29, 0
	v_lshlrev_b64 v[28:29], 2, v[28:29]
	v_add_co_u32_e32 v28, vcc, v3, v28
	v_addc_co_u32_e32 v29, vcc, v5, v29, vcc
	global_store_dword v[28:29], v21, off
	s_or_b64 exec, exec, s[42:43]
	s_and_saveexec_b64 s[42:43], s[26:27]
	s_cbranch_execz .LBB816_200
.LBB816_267:
	v_sub_u32_e32 v28, v60, v4
	v_mov_b32_e32 v29, 0
	v_lshlrev_b64 v[28:29], 2, v[28:29]
	v_add_co_u32_e32 v28, vcc, v3, v28
	v_addc_co_u32_e32 v29, vcc, v5, v29, vcc
	global_store_dword v[28:29], v18, off
	s_or_b64 exec, exec, s[42:43]
	s_and_saveexec_b64 s[42:43], s[24:25]
	s_cbranch_execz .LBB816_201
.LBB816_268:
	v_sub_u32_e32 v28, v58, v4
	v_mov_b32_e32 v29, 0
	v_lshlrev_b64 v[28:29], 2, v[28:29]
	v_add_co_u32_e32 v28, vcc, v3, v28
	v_addc_co_u32_e32 v29, vcc, v5, v29, vcc
	global_store_dword v[28:29], v19, off
	s_or_b64 exec, exec, s[42:43]
	s_and_saveexec_b64 s[42:43], s[22:23]
	s_cbranch_execz .LBB816_202
.LBB816_269:
	v_sub_u32_e32 v28, v56, v4
	v_mov_b32_e32 v29, 0
	v_lshlrev_b64 v[28:29], 2, v[28:29]
	v_add_co_u32_e32 v28, vcc, v3, v28
	v_addc_co_u32_e32 v29, vcc, v5, v29, vcc
	global_store_dword v[28:29], v16, off
	s_or_b64 exec, exec, s[42:43]
	s_and_saveexec_b64 s[42:43], s[20:21]
	s_cbranch_execz .LBB816_203
.LBB816_270:
	v_sub_u32_e32 v28, v54, v4
	v_mov_b32_e32 v29, 0
	v_lshlrev_b64 v[28:29], 2, v[28:29]
	v_add_co_u32_e32 v28, vcc, v3, v28
	v_addc_co_u32_e32 v29, vcc, v5, v29, vcc
	global_store_dword v[28:29], v17, off
	s_or_b64 exec, exec, s[42:43]
	s_and_saveexec_b64 s[42:43], s[18:19]
	s_cbranch_execz .LBB816_204
.LBB816_271:
	v_sub_u32_e32 v28, v52, v4
	v_mov_b32_e32 v29, 0
	v_lshlrev_b64 v[28:29], 2, v[28:29]
	v_add_co_u32_e32 v28, vcc, v3, v28
	v_addc_co_u32_e32 v29, vcc, v5, v29, vcc
	global_store_dword v[28:29], v14, off
	s_or_b64 exec, exec, s[42:43]
	s_and_saveexec_b64 s[42:43], s[16:17]
	s_cbranch_execz .LBB816_205
.LBB816_272:
	v_sub_u32_e32 v28, v50, v4
	v_mov_b32_e32 v29, 0
	v_lshlrev_b64 v[28:29], 2, v[28:29]
	v_add_co_u32_e32 v28, vcc, v3, v28
	v_addc_co_u32_e32 v29, vcc, v5, v29, vcc
	global_store_dword v[28:29], v15, off
	s_or_b64 exec, exec, s[42:43]
	s_and_saveexec_b64 s[42:43], s[14:15]
	s_cbranch_execz .LBB816_206
.LBB816_273:
	v_sub_u32_e32 v28, v48, v4
	v_mov_b32_e32 v29, 0
	v_lshlrev_b64 v[28:29], 2, v[28:29]
	v_add_co_u32_e32 v28, vcc, v3, v28
	v_addc_co_u32_e32 v29, vcc, v5, v29, vcc
	global_store_dword v[28:29], v12, off
	s_or_b64 exec, exec, s[42:43]
	s_and_saveexec_b64 s[42:43], s[12:13]
	s_cbranch_execz .LBB816_207
.LBB816_274:
	v_sub_u32_e32 v28, v46, v4
	v_mov_b32_e32 v29, 0
	v_lshlrev_b64 v[28:29], 2, v[28:29]
	v_add_co_u32_e32 v28, vcc, v3, v28
	v_addc_co_u32_e32 v29, vcc, v5, v29, vcc
	global_store_dword v[28:29], v13, off
	s_or_b64 exec, exec, s[42:43]
	s_and_saveexec_b64 s[42:43], s[10:11]
	s_cbranch_execz .LBB816_208
.LBB816_275:
	v_sub_u32_e32 v28, v44, v4
	v_mov_b32_e32 v29, 0
	v_lshlrev_b64 v[28:29], 2, v[28:29]
	v_add_co_u32_e32 v28, vcc, v3, v28
	v_addc_co_u32_e32 v29, vcc, v5, v29, vcc
	global_store_dword v[28:29], v10, off
	s_or_b64 exec, exec, s[42:43]
	s_and_saveexec_b64 s[42:43], s[8:9]
	s_cbranch_execz .LBB816_209
.LBB816_276:
	v_sub_u32_e32 v28, v42, v4
	v_mov_b32_e32 v29, 0
	v_lshlrev_b64 v[28:29], 2, v[28:29]
	v_add_co_u32_e32 v28, vcc, v3, v28
	v_addc_co_u32_e32 v29, vcc, v5, v29, vcc
	global_store_dword v[28:29], v11, off
	s_or_b64 exec, exec, s[42:43]
	s_and_saveexec_b64 s[42:43], s[6:7]
	s_cbranch_execz .LBB816_210
.LBB816_277:
	v_sub_u32_e32 v28, v40, v4
	v_mov_b32_e32 v29, 0
	v_lshlrev_b64 v[28:29], 2, v[28:29]
	v_add_co_u32_e32 v28, vcc, v3, v28
	v_addc_co_u32_e32 v29, vcc, v5, v29, vcc
	global_store_dword v[28:29], v8, off
	s_or_b64 exec, exec, s[42:43]
	s_and_saveexec_b64 s[42:43], s[4:5]
	s_cbranch_execnz .LBB816_211
	s_branch .LBB816_212
.LBB816_278:
	v_sub_u32_e32 v26, v64, v4
	v_lshlrev_b32_e32 v26, 2, v26
	ds_write_b32 v26, v20
	s_or_b64 exec, exec, s[42:43]
	s_and_saveexec_b64 s[30:31], s[28:29]
	s_cbranch_execz .LBB816_216
.LBB816_279:
	v_sub_u32_e32 v20, v62, v4
	v_lshlrev_b32_e32 v20, 2, v20
	ds_write_b32 v20, v21
	s_or_b64 exec, exec, s[30:31]
	s_and_saveexec_b64 s[28:29], s[26:27]
	s_cbranch_execz .LBB816_217
.LBB816_280:
	v_sub_u32_e32 v20, v60, v4
	v_lshlrev_b32_e32 v20, 2, v20
	ds_write_b32 v20, v18
	s_or_b64 exec, exec, s[28:29]
	s_and_saveexec_b64 s[26:27], s[24:25]
	s_cbranch_execz .LBB816_218
.LBB816_281:
	v_sub_u32_e32 v18, v58, v4
	v_lshlrev_b32_e32 v18, 2, v18
	ds_write_b32 v18, v19
	s_or_b64 exec, exec, s[26:27]
	s_and_saveexec_b64 s[24:25], s[22:23]
	s_cbranch_execz .LBB816_219
.LBB816_282:
	v_sub_u32_e32 v18, v56, v4
	v_lshlrev_b32_e32 v18, 2, v18
	ds_write_b32 v18, v16
	s_or_b64 exec, exec, s[24:25]
	s_and_saveexec_b64 s[22:23], s[20:21]
	s_cbranch_execz .LBB816_220
.LBB816_283:
	v_sub_u32_e32 v16, v54, v4
	v_lshlrev_b32_e32 v16, 2, v16
	ds_write_b32 v16, v17
	s_or_b64 exec, exec, s[22:23]
	s_and_saveexec_b64 s[20:21], s[18:19]
	s_cbranch_execz .LBB816_221
.LBB816_284:
	v_sub_u32_e32 v16, v52, v4
	v_lshlrev_b32_e32 v16, 2, v16
	ds_write_b32 v16, v14
	s_or_b64 exec, exec, s[20:21]
	s_and_saveexec_b64 s[18:19], s[16:17]
	s_cbranch_execz .LBB816_222
.LBB816_285:
	v_sub_u32_e32 v14, v50, v4
	v_lshlrev_b32_e32 v14, 2, v14
	ds_write_b32 v14, v15
	s_or_b64 exec, exec, s[18:19]
	s_and_saveexec_b64 s[16:17], s[14:15]
	s_cbranch_execz .LBB816_223
.LBB816_286:
	v_sub_u32_e32 v14, v48, v4
	v_lshlrev_b32_e32 v14, 2, v14
	ds_write_b32 v14, v12
	s_or_b64 exec, exec, s[16:17]
	s_and_saveexec_b64 s[14:15], s[12:13]
	s_cbranch_execz .LBB816_224
.LBB816_287:
	v_sub_u32_e32 v12, v46, v4
	v_lshlrev_b32_e32 v12, 2, v12
	ds_write_b32 v12, v13
	s_or_b64 exec, exec, s[14:15]
	s_and_saveexec_b64 s[12:13], s[10:11]
	s_cbranch_execz .LBB816_225
.LBB816_288:
	v_sub_u32_e32 v12, v44, v4
	v_lshlrev_b32_e32 v12, 2, v12
	ds_write_b32 v12, v10
	s_or_b64 exec, exec, s[12:13]
	s_and_saveexec_b64 s[10:11], s[8:9]
	s_cbranch_execz .LBB816_226
.LBB816_289:
	v_sub_u32_e32 v10, v42, v4
	v_lshlrev_b32_e32 v10, 2, v10
	ds_write_b32 v10, v11
	s_or_b64 exec, exec, s[10:11]
	s_and_saveexec_b64 s[8:9], s[6:7]
	s_cbranch_execz .LBB816_227
.LBB816_290:
	v_sub_u32_e32 v10, v40, v4
	v_lshlrev_b32_e32 v10, 2, v10
	ds_write_b32 v10, v8
	s_or_b64 exec, exec, s[8:9]
	s_and_saveexec_b64 s[6:7], s[4:5]
	s_cbranch_execnz .LBB816_228
	s_branch .LBB816_229
.LBB816_291:
	v_sub_u32_e32 v16, v64, v9
	v_mov_b32_e32 v17, 0
	v_lshlrev_b64 v[16:17], 2, v[16:17]
	v_add_co_u32_e32 v16, vcc, v13, v16
	v_addc_co_u32_e32 v17, vcc, v14, v17, vcc
	global_store_dword v[16:17], v65, off
	s_or_b64 exec, exec, s[38:39]
	s_and_saveexec_b64 s[38:39], s[26:27]
	s_cbranch_execz .LBB816_233
.LBB816_292:
	v_sub_u32_e32 v16, v62, v9
	v_mov_b32_e32 v17, 0
	v_lshlrev_b64 v[16:17], 2, v[16:17]
	v_add_co_u32_e32 v16, vcc, v13, v16
	v_addc_co_u32_e32 v17, vcc, v14, v17, vcc
	global_store_dword v[16:17], v63, off
	s_or_b64 exec, exec, s[38:39]
	s_and_saveexec_b64 s[38:39], s[24:25]
	s_cbranch_execz .LBB816_234
.LBB816_293:
	v_sub_u32_e32 v16, v60, v9
	v_mov_b32_e32 v17, 0
	v_lshlrev_b64 v[16:17], 2, v[16:17]
	v_add_co_u32_e32 v16, vcc, v13, v16
	v_addc_co_u32_e32 v17, vcc, v14, v17, vcc
	global_store_dword v[16:17], v61, off
	s_or_b64 exec, exec, s[38:39]
	s_and_saveexec_b64 s[38:39], s[22:23]
	s_cbranch_execz .LBB816_235
.LBB816_294:
	v_sub_u32_e32 v16, v58, v9
	v_mov_b32_e32 v17, 0
	v_lshlrev_b64 v[16:17], 2, v[16:17]
	v_add_co_u32_e32 v16, vcc, v13, v16
	v_addc_co_u32_e32 v17, vcc, v14, v17, vcc
	global_store_dword v[16:17], v59, off
	s_or_b64 exec, exec, s[38:39]
	s_and_saveexec_b64 s[38:39], s[20:21]
	s_cbranch_execz .LBB816_236
.LBB816_295:
	v_sub_u32_e32 v16, v56, v9
	v_mov_b32_e32 v17, 0
	v_lshlrev_b64 v[16:17], 2, v[16:17]
	v_add_co_u32_e32 v16, vcc, v13, v16
	v_addc_co_u32_e32 v17, vcc, v14, v17, vcc
	global_store_dword v[16:17], v57, off
	s_or_b64 exec, exec, s[38:39]
	s_and_saveexec_b64 s[38:39], s[18:19]
	s_cbranch_execz .LBB816_237
.LBB816_296:
	v_sub_u32_e32 v16, v54, v9
	v_mov_b32_e32 v17, 0
	v_lshlrev_b64 v[16:17], 2, v[16:17]
	v_add_co_u32_e32 v16, vcc, v13, v16
	v_addc_co_u32_e32 v17, vcc, v14, v17, vcc
	global_store_dword v[16:17], v55, off
	s_or_b64 exec, exec, s[38:39]
	s_and_saveexec_b64 s[38:39], s[16:17]
	s_cbranch_execz .LBB816_238
.LBB816_297:
	v_sub_u32_e32 v16, v52, v9
	v_mov_b32_e32 v17, 0
	v_lshlrev_b64 v[16:17], 2, v[16:17]
	v_add_co_u32_e32 v16, vcc, v13, v16
	v_addc_co_u32_e32 v17, vcc, v14, v17, vcc
	global_store_dword v[16:17], v53, off
	s_or_b64 exec, exec, s[38:39]
	s_and_saveexec_b64 s[38:39], s[14:15]
	s_cbranch_execz .LBB816_239
.LBB816_298:
	v_sub_u32_e32 v16, v50, v9
	v_mov_b32_e32 v17, 0
	v_lshlrev_b64 v[16:17], 2, v[16:17]
	v_add_co_u32_e32 v16, vcc, v13, v16
	v_addc_co_u32_e32 v17, vcc, v14, v17, vcc
	global_store_dword v[16:17], v51, off
	s_or_b64 exec, exec, s[38:39]
	s_and_saveexec_b64 s[38:39], s[12:13]
	s_cbranch_execz .LBB816_240
.LBB816_299:
	v_sub_u32_e32 v16, v48, v9
	v_mov_b32_e32 v17, 0
	v_lshlrev_b64 v[16:17], 2, v[16:17]
	v_add_co_u32_e32 v16, vcc, v13, v16
	v_addc_co_u32_e32 v17, vcc, v14, v17, vcc
	global_store_dword v[16:17], v49, off
	s_or_b64 exec, exec, s[38:39]
	s_and_saveexec_b64 s[38:39], s[10:11]
	s_cbranch_execz .LBB816_241
.LBB816_300:
	v_sub_u32_e32 v16, v46, v9
	v_mov_b32_e32 v17, 0
	v_lshlrev_b64 v[16:17], 2, v[16:17]
	v_add_co_u32_e32 v16, vcc, v13, v16
	v_addc_co_u32_e32 v17, vcc, v14, v17, vcc
	global_store_dword v[16:17], v47, off
	s_or_b64 exec, exec, s[38:39]
	s_and_saveexec_b64 s[38:39], s[8:9]
	s_cbranch_execz .LBB816_242
.LBB816_301:
	v_sub_u32_e32 v16, v44, v9
	v_mov_b32_e32 v17, 0
	v_lshlrev_b64 v[16:17], 2, v[16:17]
	v_add_co_u32_e32 v16, vcc, v13, v16
	v_addc_co_u32_e32 v17, vcc, v14, v17, vcc
	global_store_dword v[16:17], v45, off
	s_or_b64 exec, exec, s[38:39]
	s_and_saveexec_b64 s[38:39], s[6:7]
	s_cbranch_execz .LBB816_243
.LBB816_302:
	v_sub_u32_e32 v16, v42, v9
	v_mov_b32_e32 v17, 0
	v_lshlrev_b64 v[16:17], 2, v[16:17]
	v_add_co_u32_e32 v16, vcc, v13, v16
	v_addc_co_u32_e32 v17, vcc, v14, v17, vcc
	global_store_dword v[16:17], v43, off
	s_or_b64 exec, exec, s[38:39]
	s_and_saveexec_b64 s[38:39], s[4:5]
	s_cbranch_execz .LBB816_244
.LBB816_303:
	v_sub_u32_e32 v16, v40, v9
	v_mov_b32_e32 v17, 0
	v_lshlrev_b64 v[16:17], 2, v[16:17]
	v_add_co_u32_e32 v16, vcc, v13, v16
	v_addc_co_u32_e32 v17, vcc, v14, v17, vcc
	global_store_dword v[16:17], v41, off
	s_or_b64 exec, exec, s[38:39]
	s_and_saveexec_b64 s[38:39], s[2:3]
	s_cbranch_execnz .LBB816_245
	s_branch .LBB816_246
.LBB816_304:
	v_sub_u32_e32 v10, v64, v9
	v_lshlrev_b32_e32 v10, 2, v10
	ds_write_b32 v10, v65
	s_or_b64 exec, exec, s[38:39]
	s_and_saveexec_b64 s[28:29], s[26:27]
	s_cbranch_execz .LBB816_250
.LBB816_305:
	v_sub_u32_e32 v10, v62, v9
	v_lshlrev_b32_e32 v10, 2, v10
	ds_write_b32 v10, v63
	s_or_b64 exec, exec, s[28:29]
	s_and_saveexec_b64 s[26:27], s[24:25]
	s_cbranch_execz .LBB816_251
.LBB816_306:
	v_sub_u32_e32 v10, v60, v9
	v_lshlrev_b32_e32 v10, 2, v10
	ds_write_b32 v10, v61
	s_or_b64 exec, exec, s[26:27]
	s_and_saveexec_b64 s[24:25], s[22:23]
	s_cbranch_execz .LBB816_252
.LBB816_307:
	v_sub_u32_e32 v10, v58, v9
	v_lshlrev_b32_e32 v10, 2, v10
	ds_write_b32 v10, v59
	s_or_b64 exec, exec, s[24:25]
	s_and_saveexec_b64 s[22:23], s[20:21]
	s_cbranch_execz .LBB816_253
.LBB816_308:
	v_sub_u32_e32 v10, v56, v9
	v_lshlrev_b32_e32 v10, 2, v10
	ds_write_b32 v10, v57
	s_or_b64 exec, exec, s[22:23]
	s_and_saveexec_b64 s[20:21], s[18:19]
	s_cbranch_execz .LBB816_254
.LBB816_309:
	v_sub_u32_e32 v10, v54, v9
	v_lshlrev_b32_e32 v10, 2, v10
	ds_write_b32 v10, v55
	s_or_b64 exec, exec, s[20:21]
	s_and_saveexec_b64 s[18:19], s[16:17]
	s_cbranch_execz .LBB816_255
.LBB816_310:
	v_sub_u32_e32 v10, v52, v9
	v_lshlrev_b32_e32 v10, 2, v10
	ds_write_b32 v10, v53
	s_or_b64 exec, exec, s[18:19]
	s_and_saveexec_b64 s[16:17], s[14:15]
	s_cbranch_execz .LBB816_256
.LBB816_311:
	v_sub_u32_e32 v10, v50, v9
	v_lshlrev_b32_e32 v10, 2, v10
	ds_write_b32 v10, v51
	s_or_b64 exec, exec, s[16:17]
	s_and_saveexec_b64 s[14:15], s[12:13]
	s_cbranch_execz .LBB816_257
.LBB816_312:
	v_sub_u32_e32 v10, v48, v9
	v_lshlrev_b32_e32 v10, 2, v10
	ds_write_b32 v10, v49
	s_or_b64 exec, exec, s[14:15]
	s_and_saveexec_b64 s[12:13], s[10:11]
	s_cbranch_execz .LBB816_258
.LBB816_313:
	v_sub_u32_e32 v10, v46, v9
	v_lshlrev_b32_e32 v10, 2, v10
	ds_write_b32 v10, v47
	s_or_b64 exec, exec, s[12:13]
	s_and_saveexec_b64 s[10:11], s[8:9]
	s_cbranch_execz .LBB816_259
.LBB816_314:
	v_sub_u32_e32 v10, v44, v9
	v_lshlrev_b32_e32 v10, 2, v10
	ds_write_b32 v10, v45
	s_or_b64 exec, exec, s[10:11]
	s_and_saveexec_b64 s[8:9], s[6:7]
	s_cbranch_execz .LBB816_260
.LBB816_315:
	v_sub_u32_e32 v10, v42, v9
	v_lshlrev_b32_e32 v10, 2, v10
	ds_write_b32 v10, v43
	s_or_b64 exec, exec, s[8:9]
	s_and_saveexec_b64 s[6:7], s[4:5]
	s_cbranch_execz .LBB816_261
.LBB816_316:
	v_sub_u32_e32 v10, v40, v9
	v_lshlrev_b32_e32 v10, 2, v10
	ds_write_b32 v10, v41
	s_or_b64 exec, exec, s[6:7]
	s_and_saveexec_b64 s[4:5], s[2:3]
	s_cbranch_execnz .LBB816_262
	s_branch .LBB816_263
	.section	.rodata,"a",@progbits
	.p2align	6, 0x0
	.amdhsa_kernel _ZN7rocprim17ROCPRIM_400000_NS6detail17trampoline_kernelINS0_14default_configENS1_29reduce_by_key_config_selectorIijN6thrust23THRUST_200600_302600_NS4plusIjEEEEZZNS1_33reduce_by_key_impl_wrapped_configILNS1_25lookback_scan_determinismE0ES3_S9_NS6_6detail15normal_iteratorINS6_10device_ptrIiEEEENSD_INSE_IjEEEESG_SI_PmS8_NS6_8equal_toIiEEEE10hipError_tPvRmT2_T3_mT4_T5_T6_T7_T8_P12ihipStream_tbENKUlT_T0_E_clISt17integral_constantIbLb1EES13_EEDaSY_SZ_EUlSY_E_NS1_11comp_targetILNS1_3genE4ELNS1_11target_archE910ELNS1_3gpuE8ELNS1_3repE0EEENS1_30default_config_static_selectorELNS0_4arch9wavefront6targetE1EEEvT1_
		.amdhsa_group_segment_fixed_size 15360
		.amdhsa_private_segment_fixed_size 0
		.amdhsa_kernarg_size 120
		.amdhsa_user_sgpr_count 6
		.amdhsa_user_sgpr_private_segment_buffer 1
		.amdhsa_user_sgpr_dispatch_ptr 0
		.amdhsa_user_sgpr_queue_ptr 0
		.amdhsa_user_sgpr_kernarg_segment_ptr 1
		.amdhsa_user_sgpr_dispatch_id 0
		.amdhsa_user_sgpr_flat_scratch_init 0
		.amdhsa_user_sgpr_kernarg_preload_length 0
		.amdhsa_user_sgpr_kernarg_preload_offset 0
		.amdhsa_user_sgpr_private_segment_size 0
		.amdhsa_uses_dynamic_stack 0
		.amdhsa_system_sgpr_private_segment_wavefront_offset 0
		.amdhsa_system_sgpr_workgroup_id_x 1
		.amdhsa_system_sgpr_workgroup_id_y 0
		.amdhsa_system_sgpr_workgroup_id_z 0
		.amdhsa_system_sgpr_workgroup_info 0
		.amdhsa_system_vgpr_workitem_id 0
		.amdhsa_next_free_vgpr 106
		.amdhsa_next_free_sgpr 66
		.amdhsa_accum_offset 108
		.amdhsa_reserve_vcc 1
		.amdhsa_reserve_flat_scratch 0
		.amdhsa_float_round_mode_32 0
		.amdhsa_float_round_mode_16_64 0
		.amdhsa_float_denorm_mode_32 3
		.amdhsa_float_denorm_mode_16_64 3
		.amdhsa_dx10_clamp 1
		.amdhsa_ieee_mode 1
		.amdhsa_fp16_overflow 0
		.amdhsa_tg_split 0
		.amdhsa_exception_fp_ieee_invalid_op 0
		.amdhsa_exception_fp_denorm_src 0
		.amdhsa_exception_fp_ieee_div_zero 0
		.amdhsa_exception_fp_ieee_overflow 0
		.amdhsa_exception_fp_ieee_underflow 0
		.amdhsa_exception_fp_ieee_inexact 0
		.amdhsa_exception_int_div_zero 0
	.end_amdhsa_kernel
	.section	.text._ZN7rocprim17ROCPRIM_400000_NS6detail17trampoline_kernelINS0_14default_configENS1_29reduce_by_key_config_selectorIijN6thrust23THRUST_200600_302600_NS4plusIjEEEEZZNS1_33reduce_by_key_impl_wrapped_configILNS1_25lookback_scan_determinismE0ES3_S9_NS6_6detail15normal_iteratorINS6_10device_ptrIiEEEENSD_INSE_IjEEEESG_SI_PmS8_NS6_8equal_toIiEEEE10hipError_tPvRmT2_T3_mT4_T5_T6_T7_T8_P12ihipStream_tbENKUlT_T0_E_clISt17integral_constantIbLb1EES13_EEDaSY_SZ_EUlSY_E_NS1_11comp_targetILNS1_3genE4ELNS1_11target_archE910ELNS1_3gpuE8ELNS1_3repE0EEENS1_30default_config_static_selectorELNS0_4arch9wavefront6targetE1EEEvT1_,"axG",@progbits,_ZN7rocprim17ROCPRIM_400000_NS6detail17trampoline_kernelINS0_14default_configENS1_29reduce_by_key_config_selectorIijN6thrust23THRUST_200600_302600_NS4plusIjEEEEZZNS1_33reduce_by_key_impl_wrapped_configILNS1_25lookback_scan_determinismE0ES3_S9_NS6_6detail15normal_iteratorINS6_10device_ptrIiEEEENSD_INSE_IjEEEESG_SI_PmS8_NS6_8equal_toIiEEEE10hipError_tPvRmT2_T3_mT4_T5_T6_T7_T8_P12ihipStream_tbENKUlT_T0_E_clISt17integral_constantIbLb1EES13_EEDaSY_SZ_EUlSY_E_NS1_11comp_targetILNS1_3genE4ELNS1_11target_archE910ELNS1_3gpuE8ELNS1_3repE0EEENS1_30default_config_static_selectorELNS0_4arch9wavefront6targetE1EEEvT1_,comdat
.Lfunc_end816:
	.size	_ZN7rocprim17ROCPRIM_400000_NS6detail17trampoline_kernelINS0_14default_configENS1_29reduce_by_key_config_selectorIijN6thrust23THRUST_200600_302600_NS4plusIjEEEEZZNS1_33reduce_by_key_impl_wrapped_configILNS1_25lookback_scan_determinismE0ES3_S9_NS6_6detail15normal_iteratorINS6_10device_ptrIiEEEENSD_INSE_IjEEEESG_SI_PmS8_NS6_8equal_toIiEEEE10hipError_tPvRmT2_T3_mT4_T5_T6_T7_T8_P12ihipStream_tbENKUlT_T0_E_clISt17integral_constantIbLb1EES13_EEDaSY_SZ_EUlSY_E_NS1_11comp_targetILNS1_3genE4ELNS1_11target_archE910ELNS1_3gpuE8ELNS1_3repE0EEENS1_30default_config_static_selectorELNS0_4arch9wavefront6targetE1EEEvT1_, .Lfunc_end816-_ZN7rocprim17ROCPRIM_400000_NS6detail17trampoline_kernelINS0_14default_configENS1_29reduce_by_key_config_selectorIijN6thrust23THRUST_200600_302600_NS4plusIjEEEEZZNS1_33reduce_by_key_impl_wrapped_configILNS1_25lookback_scan_determinismE0ES3_S9_NS6_6detail15normal_iteratorINS6_10device_ptrIiEEEENSD_INSE_IjEEEESG_SI_PmS8_NS6_8equal_toIiEEEE10hipError_tPvRmT2_T3_mT4_T5_T6_T7_T8_P12ihipStream_tbENKUlT_T0_E_clISt17integral_constantIbLb1EES13_EEDaSY_SZ_EUlSY_E_NS1_11comp_targetILNS1_3genE4ELNS1_11target_archE910ELNS1_3gpuE8ELNS1_3repE0EEENS1_30default_config_static_selectorELNS0_4arch9wavefront6targetE1EEEvT1_
                                        ; -- End function
	.section	.AMDGPU.csdata,"",@progbits
; Kernel info:
; codeLenInByte = 17256
; NumSgprs: 70
; NumVgprs: 106
; NumAgprs: 0
; TotalNumVgprs: 106
; ScratchSize: 0
; MemoryBound: 0
; FloatMode: 240
; IeeeMode: 1
; LDSByteSize: 15360 bytes/workgroup (compile time only)
; SGPRBlocks: 8
; VGPRBlocks: 13
; NumSGPRsForWavesPerEU: 70
; NumVGPRsForWavesPerEU: 106
; AccumOffset: 108
; Occupancy: 4
; WaveLimiterHint : 1
; COMPUTE_PGM_RSRC2:SCRATCH_EN: 0
; COMPUTE_PGM_RSRC2:USER_SGPR: 6
; COMPUTE_PGM_RSRC2:TRAP_HANDLER: 0
; COMPUTE_PGM_RSRC2:TGID_X_EN: 1
; COMPUTE_PGM_RSRC2:TGID_Y_EN: 0
; COMPUTE_PGM_RSRC2:TGID_Z_EN: 0
; COMPUTE_PGM_RSRC2:TIDIG_COMP_CNT: 0
; COMPUTE_PGM_RSRC3_GFX90A:ACCUM_OFFSET: 26
; COMPUTE_PGM_RSRC3_GFX90A:TG_SPLIT: 0
	.section	.text._ZN7rocprim17ROCPRIM_400000_NS6detail17trampoline_kernelINS0_14default_configENS1_29reduce_by_key_config_selectorIijN6thrust23THRUST_200600_302600_NS4plusIjEEEEZZNS1_33reduce_by_key_impl_wrapped_configILNS1_25lookback_scan_determinismE0ES3_S9_NS6_6detail15normal_iteratorINS6_10device_ptrIiEEEENSD_INSE_IjEEEESG_SI_PmS8_NS6_8equal_toIiEEEE10hipError_tPvRmT2_T3_mT4_T5_T6_T7_T8_P12ihipStream_tbENKUlT_T0_E_clISt17integral_constantIbLb1EES13_EEDaSY_SZ_EUlSY_E_NS1_11comp_targetILNS1_3genE3ELNS1_11target_archE908ELNS1_3gpuE7ELNS1_3repE0EEENS1_30default_config_static_selectorELNS0_4arch9wavefront6targetE1EEEvT1_,"axG",@progbits,_ZN7rocprim17ROCPRIM_400000_NS6detail17trampoline_kernelINS0_14default_configENS1_29reduce_by_key_config_selectorIijN6thrust23THRUST_200600_302600_NS4plusIjEEEEZZNS1_33reduce_by_key_impl_wrapped_configILNS1_25lookback_scan_determinismE0ES3_S9_NS6_6detail15normal_iteratorINS6_10device_ptrIiEEEENSD_INSE_IjEEEESG_SI_PmS8_NS6_8equal_toIiEEEE10hipError_tPvRmT2_T3_mT4_T5_T6_T7_T8_P12ihipStream_tbENKUlT_T0_E_clISt17integral_constantIbLb1EES13_EEDaSY_SZ_EUlSY_E_NS1_11comp_targetILNS1_3genE3ELNS1_11target_archE908ELNS1_3gpuE7ELNS1_3repE0EEENS1_30default_config_static_selectorELNS0_4arch9wavefront6targetE1EEEvT1_,comdat
	.protected	_ZN7rocprim17ROCPRIM_400000_NS6detail17trampoline_kernelINS0_14default_configENS1_29reduce_by_key_config_selectorIijN6thrust23THRUST_200600_302600_NS4plusIjEEEEZZNS1_33reduce_by_key_impl_wrapped_configILNS1_25lookback_scan_determinismE0ES3_S9_NS6_6detail15normal_iteratorINS6_10device_ptrIiEEEENSD_INSE_IjEEEESG_SI_PmS8_NS6_8equal_toIiEEEE10hipError_tPvRmT2_T3_mT4_T5_T6_T7_T8_P12ihipStream_tbENKUlT_T0_E_clISt17integral_constantIbLb1EES13_EEDaSY_SZ_EUlSY_E_NS1_11comp_targetILNS1_3genE3ELNS1_11target_archE908ELNS1_3gpuE7ELNS1_3repE0EEENS1_30default_config_static_selectorELNS0_4arch9wavefront6targetE1EEEvT1_ ; -- Begin function _ZN7rocprim17ROCPRIM_400000_NS6detail17trampoline_kernelINS0_14default_configENS1_29reduce_by_key_config_selectorIijN6thrust23THRUST_200600_302600_NS4plusIjEEEEZZNS1_33reduce_by_key_impl_wrapped_configILNS1_25lookback_scan_determinismE0ES3_S9_NS6_6detail15normal_iteratorINS6_10device_ptrIiEEEENSD_INSE_IjEEEESG_SI_PmS8_NS6_8equal_toIiEEEE10hipError_tPvRmT2_T3_mT4_T5_T6_T7_T8_P12ihipStream_tbENKUlT_T0_E_clISt17integral_constantIbLb1EES13_EEDaSY_SZ_EUlSY_E_NS1_11comp_targetILNS1_3genE3ELNS1_11target_archE908ELNS1_3gpuE7ELNS1_3repE0EEENS1_30default_config_static_selectorELNS0_4arch9wavefront6targetE1EEEvT1_
	.globl	_ZN7rocprim17ROCPRIM_400000_NS6detail17trampoline_kernelINS0_14default_configENS1_29reduce_by_key_config_selectorIijN6thrust23THRUST_200600_302600_NS4plusIjEEEEZZNS1_33reduce_by_key_impl_wrapped_configILNS1_25lookback_scan_determinismE0ES3_S9_NS6_6detail15normal_iteratorINS6_10device_ptrIiEEEENSD_INSE_IjEEEESG_SI_PmS8_NS6_8equal_toIiEEEE10hipError_tPvRmT2_T3_mT4_T5_T6_T7_T8_P12ihipStream_tbENKUlT_T0_E_clISt17integral_constantIbLb1EES13_EEDaSY_SZ_EUlSY_E_NS1_11comp_targetILNS1_3genE3ELNS1_11target_archE908ELNS1_3gpuE7ELNS1_3repE0EEENS1_30default_config_static_selectorELNS0_4arch9wavefront6targetE1EEEvT1_
	.p2align	8
	.type	_ZN7rocprim17ROCPRIM_400000_NS6detail17trampoline_kernelINS0_14default_configENS1_29reduce_by_key_config_selectorIijN6thrust23THRUST_200600_302600_NS4plusIjEEEEZZNS1_33reduce_by_key_impl_wrapped_configILNS1_25lookback_scan_determinismE0ES3_S9_NS6_6detail15normal_iteratorINS6_10device_ptrIiEEEENSD_INSE_IjEEEESG_SI_PmS8_NS6_8equal_toIiEEEE10hipError_tPvRmT2_T3_mT4_T5_T6_T7_T8_P12ihipStream_tbENKUlT_T0_E_clISt17integral_constantIbLb1EES13_EEDaSY_SZ_EUlSY_E_NS1_11comp_targetILNS1_3genE3ELNS1_11target_archE908ELNS1_3gpuE7ELNS1_3repE0EEENS1_30default_config_static_selectorELNS0_4arch9wavefront6targetE1EEEvT1_,@function
_ZN7rocprim17ROCPRIM_400000_NS6detail17trampoline_kernelINS0_14default_configENS1_29reduce_by_key_config_selectorIijN6thrust23THRUST_200600_302600_NS4plusIjEEEEZZNS1_33reduce_by_key_impl_wrapped_configILNS1_25lookback_scan_determinismE0ES3_S9_NS6_6detail15normal_iteratorINS6_10device_ptrIiEEEENSD_INSE_IjEEEESG_SI_PmS8_NS6_8equal_toIiEEEE10hipError_tPvRmT2_T3_mT4_T5_T6_T7_T8_P12ihipStream_tbENKUlT_T0_E_clISt17integral_constantIbLb1EES13_EEDaSY_SZ_EUlSY_E_NS1_11comp_targetILNS1_3genE3ELNS1_11target_archE908ELNS1_3gpuE7ELNS1_3repE0EEENS1_30default_config_static_selectorELNS0_4arch9wavefront6targetE1EEEvT1_: ; @_ZN7rocprim17ROCPRIM_400000_NS6detail17trampoline_kernelINS0_14default_configENS1_29reduce_by_key_config_selectorIijN6thrust23THRUST_200600_302600_NS4plusIjEEEEZZNS1_33reduce_by_key_impl_wrapped_configILNS1_25lookback_scan_determinismE0ES3_S9_NS6_6detail15normal_iteratorINS6_10device_ptrIiEEEENSD_INSE_IjEEEESG_SI_PmS8_NS6_8equal_toIiEEEE10hipError_tPvRmT2_T3_mT4_T5_T6_T7_T8_P12ihipStream_tbENKUlT_T0_E_clISt17integral_constantIbLb1EES13_EEDaSY_SZ_EUlSY_E_NS1_11comp_targetILNS1_3genE3ELNS1_11target_archE908ELNS1_3gpuE7ELNS1_3repE0EEENS1_30default_config_static_selectorELNS0_4arch9wavefront6targetE1EEEvT1_
; %bb.0:
	.section	.rodata,"a",@progbits
	.p2align	6, 0x0
	.amdhsa_kernel _ZN7rocprim17ROCPRIM_400000_NS6detail17trampoline_kernelINS0_14default_configENS1_29reduce_by_key_config_selectorIijN6thrust23THRUST_200600_302600_NS4plusIjEEEEZZNS1_33reduce_by_key_impl_wrapped_configILNS1_25lookback_scan_determinismE0ES3_S9_NS6_6detail15normal_iteratorINS6_10device_ptrIiEEEENSD_INSE_IjEEEESG_SI_PmS8_NS6_8equal_toIiEEEE10hipError_tPvRmT2_T3_mT4_T5_T6_T7_T8_P12ihipStream_tbENKUlT_T0_E_clISt17integral_constantIbLb1EES13_EEDaSY_SZ_EUlSY_E_NS1_11comp_targetILNS1_3genE3ELNS1_11target_archE908ELNS1_3gpuE7ELNS1_3repE0EEENS1_30default_config_static_selectorELNS0_4arch9wavefront6targetE1EEEvT1_
		.amdhsa_group_segment_fixed_size 0
		.amdhsa_private_segment_fixed_size 0
		.amdhsa_kernarg_size 120
		.amdhsa_user_sgpr_count 6
		.amdhsa_user_sgpr_private_segment_buffer 1
		.amdhsa_user_sgpr_dispatch_ptr 0
		.amdhsa_user_sgpr_queue_ptr 0
		.amdhsa_user_sgpr_kernarg_segment_ptr 1
		.amdhsa_user_sgpr_dispatch_id 0
		.amdhsa_user_sgpr_flat_scratch_init 0
		.amdhsa_user_sgpr_kernarg_preload_length 0
		.amdhsa_user_sgpr_kernarg_preload_offset 0
		.amdhsa_user_sgpr_private_segment_size 0
		.amdhsa_uses_dynamic_stack 0
		.amdhsa_system_sgpr_private_segment_wavefront_offset 0
		.amdhsa_system_sgpr_workgroup_id_x 1
		.amdhsa_system_sgpr_workgroup_id_y 0
		.amdhsa_system_sgpr_workgroup_id_z 0
		.amdhsa_system_sgpr_workgroup_info 0
		.amdhsa_system_vgpr_workitem_id 0
		.amdhsa_next_free_vgpr 1
		.amdhsa_next_free_sgpr 0
		.amdhsa_accum_offset 4
		.amdhsa_reserve_vcc 0
		.amdhsa_reserve_flat_scratch 0
		.amdhsa_float_round_mode_32 0
		.amdhsa_float_round_mode_16_64 0
		.amdhsa_float_denorm_mode_32 3
		.amdhsa_float_denorm_mode_16_64 3
		.amdhsa_dx10_clamp 1
		.amdhsa_ieee_mode 1
		.amdhsa_fp16_overflow 0
		.amdhsa_tg_split 0
		.amdhsa_exception_fp_ieee_invalid_op 0
		.amdhsa_exception_fp_denorm_src 0
		.amdhsa_exception_fp_ieee_div_zero 0
		.amdhsa_exception_fp_ieee_overflow 0
		.amdhsa_exception_fp_ieee_underflow 0
		.amdhsa_exception_fp_ieee_inexact 0
		.amdhsa_exception_int_div_zero 0
	.end_amdhsa_kernel
	.section	.text._ZN7rocprim17ROCPRIM_400000_NS6detail17trampoline_kernelINS0_14default_configENS1_29reduce_by_key_config_selectorIijN6thrust23THRUST_200600_302600_NS4plusIjEEEEZZNS1_33reduce_by_key_impl_wrapped_configILNS1_25lookback_scan_determinismE0ES3_S9_NS6_6detail15normal_iteratorINS6_10device_ptrIiEEEENSD_INSE_IjEEEESG_SI_PmS8_NS6_8equal_toIiEEEE10hipError_tPvRmT2_T3_mT4_T5_T6_T7_T8_P12ihipStream_tbENKUlT_T0_E_clISt17integral_constantIbLb1EES13_EEDaSY_SZ_EUlSY_E_NS1_11comp_targetILNS1_3genE3ELNS1_11target_archE908ELNS1_3gpuE7ELNS1_3repE0EEENS1_30default_config_static_selectorELNS0_4arch9wavefront6targetE1EEEvT1_,"axG",@progbits,_ZN7rocprim17ROCPRIM_400000_NS6detail17trampoline_kernelINS0_14default_configENS1_29reduce_by_key_config_selectorIijN6thrust23THRUST_200600_302600_NS4plusIjEEEEZZNS1_33reduce_by_key_impl_wrapped_configILNS1_25lookback_scan_determinismE0ES3_S9_NS6_6detail15normal_iteratorINS6_10device_ptrIiEEEENSD_INSE_IjEEEESG_SI_PmS8_NS6_8equal_toIiEEEE10hipError_tPvRmT2_T3_mT4_T5_T6_T7_T8_P12ihipStream_tbENKUlT_T0_E_clISt17integral_constantIbLb1EES13_EEDaSY_SZ_EUlSY_E_NS1_11comp_targetILNS1_3genE3ELNS1_11target_archE908ELNS1_3gpuE7ELNS1_3repE0EEENS1_30default_config_static_selectorELNS0_4arch9wavefront6targetE1EEEvT1_,comdat
.Lfunc_end817:
	.size	_ZN7rocprim17ROCPRIM_400000_NS6detail17trampoline_kernelINS0_14default_configENS1_29reduce_by_key_config_selectorIijN6thrust23THRUST_200600_302600_NS4plusIjEEEEZZNS1_33reduce_by_key_impl_wrapped_configILNS1_25lookback_scan_determinismE0ES3_S9_NS6_6detail15normal_iteratorINS6_10device_ptrIiEEEENSD_INSE_IjEEEESG_SI_PmS8_NS6_8equal_toIiEEEE10hipError_tPvRmT2_T3_mT4_T5_T6_T7_T8_P12ihipStream_tbENKUlT_T0_E_clISt17integral_constantIbLb1EES13_EEDaSY_SZ_EUlSY_E_NS1_11comp_targetILNS1_3genE3ELNS1_11target_archE908ELNS1_3gpuE7ELNS1_3repE0EEENS1_30default_config_static_selectorELNS0_4arch9wavefront6targetE1EEEvT1_, .Lfunc_end817-_ZN7rocprim17ROCPRIM_400000_NS6detail17trampoline_kernelINS0_14default_configENS1_29reduce_by_key_config_selectorIijN6thrust23THRUST_200600_302600_NS4plusIjEEEEZZNS1_33reduce_by_key_impl_wrapped_configILNS1_25lookback_scan_determinismE0ES3_S9_NS6_6detail15normal_iteratorINS6_10device_ptrIiEEEENSD_INSE_IjEEEESG_SI_PmS8_NS6_8equal_toIiEEEE10hipError_tPvRmT2_T3_mT4_T5_T6_T7_T8_P12ihipStream_tbENKUlT_T0_E_clISt17integral_constantIbLb1EES13_EEDaSY_SZ_EUlSY_E_NS1_11comp_targetILNS1_3genE3ELNS1_11target_archE908ELNS1_3gpuE7ELNS1_3repE0EEENS1_30default_config_static_selectorELNS0_4arch9wavefront6targetE1EEEvT1_
                                        ; -- End function
	.section	.AMDGPU.csdata,"",@progbits
; Kernel info:
; codeLenInByte = 0
; NumSgprs: 4
; NumVgprs: 0
; NumAgprs: 0
; TotalNumVgprs: 0
; ScratchSize: 0
; MemoryBound: 0
; FloatMode: 240
; IeeeMode: 1
; LDSByteSize: 0 bytes/workgroup (compile time only)
; SGPRBlocks: 0
; VGPRBlocks: 0
; NumSGPRsForWavesPerEU: 4
; NumVGPRsForWavesPerEU: 1
; AccumOffset: 4
; Occupancy: 8
; WaveLimiterHint : 0
; COMPUTE_PGM_RSRC2:SCRATCH_EN: 0
; COMPUTE_PGM_RSRC2:USER_SGPR: 6
; COMPUTE_PGM_RSRC2:TRAP_HANDLER: 0
; COMPUTE_PGM_RSRC2:TGID_X_EN: 1
; COMPUTE_PGM_RSRC2:TGID_Y_EN: 0
; COMPUTE_PGM_RSRC2:TGID_Z_EN: 0
; COMPUTE_PGM_RSRC2:TIDIG_COMP_CNT: 0
; COMPUTE_PGM_RSRC3_GFX90A:ACCUM_OFFSET: 0
; COMPUTE_PGM_RSRC3_GFX90A:TG_SPLIT: 0
	.section	.text._ZN7rocprim17ROCPRIM_400000_NS6detail17trampoline_kernelINS0_14default_configENS1_29reduce_by_key_config_selectorIijN6thrust23THRUST_200600_302600_NS4plusIjEEEEZZNS1_33reduce_by_key_impl_wrapped_configILNS1_25lookback_scan_determinismE0ES3_S9_NS6_6detail15normal_iteratorINS6_10device_ptrIiEEEENSD_INSE_IjEEEESG_SI_PmS8_NS6_8equal_toIiEEEE10hipError_tPvRmT2_T3_mT4_T5_T6_T7_T8_P12ihipStream_tbENKUlT_T0_E_clISt17integral_constantIbLb1EES13_EEDaSY_SZ_EUlSY_E_NS1_11comp_targetILNS1_3genE2ELNS1_11target_archE906ELNS1_3gpuE6ELNS1_3repE0EEENS1_30default_config_static_selectorELNS0_4arch9wavefront6targetE1EEEvT1_,"axG",@progbits,_ZN7rocprim17ROCPRIM_400000_NS6detail17trampoline_kernelINS0_14default_configENS1_29reduce_by_key_config_selectorIijN6thrust23THRUST_200600_302600_NS4plusIjEEEEZZNS1_33reduce_by_key_impl_wrapped_configILNS1_25lookback_scan_determinismE0ES3_S9_NS6_6detail15normal_iteratorINS6_10device_ptrIiEEEENSD_INSE_IjEEEESG_SI_PmS8_NS6_8equal_toIiEEEE10hipError_tPvRmT2_T3_mT4_T5_T6_T7_T8_P12ihipStream_tbENKUlT_T0_E_clISt17integral_constantIbLb1EES13_EEDaSY_SZ_EUlSY_E_NS1_11comp_targetILNS1_3genE2ELNS1_11target_archE906ELNS1_3gpuE6ELNS1_3repE0EEENS1_30default_config_static_selectorELNS0_4arch9wavefront6targetE1EEEvT1_,comdat
	.protected	_ZN7rocprim17ROCPRIM_400000_NS6detail17trampoline_kernelINS0_14default_configENS1_29reduce_by_key_config_selectorIijN6thrust23THRUST_200600_302600_NS4plusIjEEEEZZNS1_33reduce_by_key_impl_wrapped_configILNS1_25lookback_scan_determinismE0ES3_S9_NS6_6detail15normal_iteratorINS6_10device_ptrIiEEEENSD_INSE_IjEEEESG_SI_PmS8_NS6_8equal_toIiEEEE10hipError_tPvRmT2_T3_mT4_T5_T6_T7_T8_P12ihipStream_tbENKUlT_T0_E_clISt17integral_constantIbLb1EES13_EEDaSY_SZ_EUlSY_E_NS1_11comp_targetILNS1_3genE2ELNS1_11target_archE906ELNS1_3gpuE6ELNS1_3repE0EEENS1_30default_config_static_selectorELNS0_4arch9wavefront6targetE1EEEvT1_ ; -- Begin function _ZN7rocprim17ROCPRIM_400000_NS6detail17trampoline_kernelINS0_14default_configENS1_29reduce_by_key_config_selectorIijN6thrust23THRUST_200600_302600_NS4plusIjEEEEZZNS1_33reduce_by_key_impl_wrapped_configILNS1_25lookback_scan_determinismE0ES3_S9_NS6_6detail15normal_iteratorINS6_10device_ptrIiEEEENSD_INSE_IjEEEESG_SI_PmS8_NS6_8equal_toIiEEEE10hipError_tPvRmT2_T3_mT4_T5_T6_T7_T8_P12ihipStream_tbENKUlT_T0_E_clISt17integral_constantIbLb1EES13_EEDaSY_SZ_EUlSY_E_NS1_11comp_targetILNS1_3genE2ELNS1_11target_archE906ELNS1_3gpuE6ELNS1_3repE0EEENS1_30default_config_static_selectorELNS0_4arch9wavefront6targetE1EEEvT1_
	.globl	_ZN7rocprim17ROCPRIM_400000_NS6detail17trampoline_kernelINS0_14default_configENS1_29reduce_by_key_config_selectorIijN6thrust23THRUST_200600_302600_NS4plusIjEEEEZZNS1_33reduce_by_key_impl_wrapped_configILNS1_25lookback_scan_determinismE0ES3_S9_NS6_6detail15normal_iteratorINS6_10device_ptrIiEEEENSD_INSE_IjEEEESG_SI_PmS8_NS6_8equal_toIiEEEE10hipError_tPvRmT2_T3_mT4_T5_T6_T7_T8_P12ihipStream_tbENKUlT_T0_E_clISt17integral_constantIbLb1EES13_EEDaSY_SZ_EUlSY_E_NS1_11comp_targetILNS1_3genE2ELNS1_11target_archE906ELNS1_3gpuE6ELNS1_3repE0EEENS1_30default_config_static_selectorELNS0_4arch9wavefront6targetE1EEEvT1_
	.p2align	8
	.type	_ZN7rocprim17ROCPRIM_400000_NS6detail17trampoline_kernelINS0_14default_configENS1_29reduce_by_key_config_selectorIijN6thrust23THRUST_200600_302600_NS4plusIjEEEEZZNS1_33reduce_by_key_impl_wrapped_configILNS1_25lookback_scan_determinismE0ES3_S9_NS6_6detail15normal_iteratorINS6_10device_ptrIiEEEENSD_INSE_IjEEEESG_SI_PmS8_NS6_8equal_toIiEEEE10hipError_tPvRmT2_T3_mT4_T5_T6_T7_T8_P12ihipStream_tbENKUlT_T0_E_clISt17integral_constantIbLb1EES13_EEDaSY_SZ_EUlSY_E_NS1_11comp_targetILNS1_3genE2ELNS1_11target_archE906ELNS1_3gpuE6ELNS1_3repE0EEENS1_30default_config_static_selectorELNS0_4arch9wavefront6targetE1EEEvT1_,@function
_ZN7rocprim17ROCPRIM_400000_NS6detail17trampoline_kernelINS0_14default_configENS1_29reduce_by_key_config_selectorIijN6thrust23THRUST_200600_302600_NS4plusIjEEEEZZNS1_33reduce_by_key_impl_wrapped_configILNS1_25lookback_scan_determinismE0ES3_S9_NS6_6detail15normal_iteratorINS6_10device_ptrIiEEEENSD_INSE_IjEEEESG_SI_PmS8_NS6_8equal_toIiEEEE10hipError_tPvRmT2_T3_mT4_T5_T6_T7_T8_P12ihipStream_tbENKUlT_T0_E_clISt17integral_constantIbLb1EES13_EEDaSY_SZ_EUlSY_E_NS1_11comp_targetILNS1_3genE2ELNS1_11target_archE906ELNS1_3gpuE6ELNS1_3repE0EEENS1_30default_config_static_selectorELNS0_4arch9wavefront6targetE1EEEvT1_: ; @_ZN7rocprim17ROCPRIM_400000_NS6detail17trampoline_kernelINS0_14default_configENS1_29reduce_by_key_config_selectorIijN6thrust23THRUST_200600_302600_NS4plusIjEEEEZZNS1_33reduce_by_key_impl_wrapped_configILNS1_25lookback_scan_determinismE0ES3_S9_NS6_6detail15normal_iteratorINS6_10device_ptrIiEEEENSD_INSE_IjEEEESG_SI_PmS8_NS6_8equal_toIiEEEE10hipError_tPvRmT2_T3_mT4_T5_T6_T7_T8_P12ihipStream_tbENKUlT_T0_E_clISt17integral_constantIbLb1EES13_EEDaSY_SZ_EUlSY_E_NS1_11comp_targetILNS1_3genE2ELNS1_11target_archE906ELNS1_3gpuE6ELNS1_3repE0EEENS1_30default_config_static_selectorELNS0_4arch9wavefront6targetE1EEEvT1_
; %bb.0:
	.section	.rodata,"a",@progbits
	.p2align	6, 0x0
	.amdhsa_kernel _ZN7rocprim17ROCPRIM_400000_NS6detail17trampoline_kernelINS0_14default_configENS1_29reduce_by_key_config_selectorIijN6thrust23THRUST_200600_302600_NS4plusIjEEEEZZNS1_33reduce_by_key_impl_wrapped_configILNS1_25lookback_scan_determinismE0ES3_S9_NS6_6detail15normal_iteratorINS6_10device_ptrIiEEEENSD_INSE_IjEEEESG_SI_PmS8_NS6_8equal_toIiEEEE10hipError_tPvRmT2_T3_mT4_T5_T6_T7_T8_P12ihipStream_tbENKUlT_T0_E_clISt17integral_constantIbLb1EES13_EEDaSY_SZ_EUlSY_E_NS1_11comp_targetILNS1_3genE2ELNS1_11target_archE906ELNS1_3gpuE6ELNS1_3repE0EEENS1_30default_config_static_selectorELNS0_4arch9wavefront6targetE1EEEvT1_
		.amdhsa_group_segment_fixed_size 0
		.amdhsa_private_segment_fixed_size 0
		.amdhsa_kernarg_size 120
		.amdhsa_user_sgpr_count 6
		.amdhsa_user_sgpr_private_segment_buffer 1
		.amdhsa_user_sgpr_dispatch_ptr 0
		.amdhsa_user_sgpr_queue_ptr 0
		.amdhsa_user_sgpr_kernarg_segment_ptr 1
		.amdhsa_user_sgpr_dispatch_id 0
		.amdhsa_user_sgpr_flat_scratch_init 0
		.amdhsa_user_sgpr_kernarg_preload_length 0
		.amdhsa_user_sgpr_kernarg_preload_offset 0
		.amdhsa_user_sgpr_private_segment_size 0
		.amdhsa_uses_dynamic_stack 0
		.amdhsa_system_sgpr_private_segment_wavefront_offset 0
		.amdhsa_system_sgpr_workgroup_id_x 1
		.amdhsa_system_sgpr_workgroup_id_y 0
		.amdhsa_system_sgpr_workgroup_id_z 0
		.amdhsa_system_sgpr_workgroup_info 0
		.amdhsa_system_vgpr_workitem_id 0
		.amdhsa_next_free_vgpr 1
		.amdhsa_next_free_sgpr 0
		.amdhsa_accum_offset 4
		.amdhsa_reserve_vcc 0
		.amdhsa_reserve_flat_scratch 0
		.amdhsa_float_round_mode_32 0
		.amdhsa_float_round_mode_16_64 0
		.amdhsa_float_denorm_mode_32 3
		.amdhsa_float_denorm_mode_16_64 3
		.amdhsa_dx10_clamp 1
		.amdhsa_ieee_mode 1
		.amdhsa_fp16_overflow 0
		.amdhsa_tg_split 0
		.amdhsa_exception_fp_ieee_invalid_op 0
		.amdhsa_exception_fp_denorm_src 0
		.amdhsa_exception_fp_ieee_div_zero 0
		.amdhsa_exception_fp_ieee_overflow 0
		.amdhsa_exception_fp_ieee_underflow 0
		.amdhsa_exception_fp_ieee_inexact 0
		.amdhsa_exception_int_div_zero 0
	.end_amdhsa_kernel
	.section	.text._ZN7rocprim17ROCPRIM_400000_NS6detail17trampoline_kernelINS0_14default_configENS1_29reduce_by_key_config_selectorIijN6thrust23THRUST_200600_302600_NS4plusIjEEEEZZNS1_33reduce_by_key_impl_wrapped_configILNS1_25lookback_scan_determinismE0ES3_S9_NS6_6detail15normal_iteratorINS6_10device_ptrIiEEEENSD_INSE_IjEEEESG_SI_PmS8_NS6_8equal_toIiEEEE10hipError_tPvRmT2_T3_mT4_T5_T6_T7_T8_P12ihipStream_tbENKUlT_T0_E_clISt17integral_constantIbLb1EES13_EEDaSY_SZ_EUlSY_E_NS1_11comp_targetILNS1_3genE2ELNS1_11target_archE906ELNS1_3gpuE6ELNS1_3repE0EEENS1_30default_config_static_selectorELNS0_4arch9wavefront6targetE1EEEvT1_,"axG",@progbits,_ZN7rocprim17ROCPRIM_400000_NS6detail17trampoline_kernelINS0_14default_configENS1_29reduce_by_key_config_selectorIijN6thrust23THRUST_200600_302600_NS4plusIjEEEEZZNS1_33reduce_by_key_impl_wrapped_configILNS1_25lookback_scan_determinismE0ES3_S9_NS6_6detail15normal_iteratorINS6_10device_ptrIiEEEENSD_INSE_IjEEEESG_SI_PmS8_NS6_8equal_toIiEEEE10hipError_tPvRmT2_T3_mT4_T5_T6_T7_T8_P12ihipStream_tbENKUlT_T0_E_clISt17integral_constantIbLb1EES13_EEDaSY_SZ_EUlSY_E_NS1_11comp_targetILNS1_3genE2ELNS1_11target_archE906ELNS1_3gpuE6ELNS1_3repE0EEENS1_30default_config_static_selectorELNS0_4arch9wavefront6targetE1EEEvT1_,comdat
.Lfunc_end818:
	.size	_ZN7rocprim17ROCPRIM_400000_NS6detail17trampoline_kernelINS0_14default_configENS1_29reduce_by_key_config_selectorIijN6thrust23THRUST_200600_302600_NS4plusIjEEEEZZNS1_33reduce_by_key_impl_wrapped_configILNS1_25lookback_scan_determinismE0ES3_S9_NS6_6detail15normal_iteratorINS6_10device_ptrIiEEEENSD_INSE_IjEEEESG_SI_PmS8_NS6_8equal_toIiEEEE10hipError_tPvRmT2_T3_mT4_T5_T6_T7_T8_P12ihipStream_tbENKUlT_T0_E_clISt17integral_constantIbLb1EES13_EEDaSY_SZ_EUlSY_E_NS1_11comp_targetILNS1_3genE2ELNS1_11target_archE906ELNS1_3gpuE6ELNS1_3repE0EEENS1_30default_config_static_selectorELNS0_4arch9wavefront6targetE1EEEvT1_, .Lfunc_end818-_ZN7rocprim17ROCPRIM_400000_NS6detail17trampoline_kernelINS0_14default_configENS1_29reduce_by_key_config_selectorIijN6thrust23THRUST_200600_302600_NS4plusIjEEEEZZNS1_33reduce_by_key_impl_wrapped_configILNS1_25lookback_scan_determinismE0ES3_S9_NS6_6detail15normal_iteratorINS6_10device_ptrIiEEEENSD_INSE_IjEEEESG_SI_PmS8_NS6_8equal_toIiEEEE10hipError_tPvRmT2_T3_mT4_T5_T6_T7_T8_P12ihipStream_tbENKUlT_T0_E_clISt17integral_constantIbLb1EES13_EEDaSY_SZ_EUlSY_E_NS1_11comp_targetILNS1_3genE2ELNS1_11target_archE906ELNS1_3gpuE6ELNS1_3repE0EEENS1_30default_config_static_selectorELNS0_4arch9wavefront6targetE1EEEvT1_
                                        ; -- End function
	.section	.AMDGPU.csdata,"",@progbits
; Kernel info:
; codeLenInByte = 0
; NumSgprs: 4
; NumVgprs: 0
; NumAgprs: 0
; TotalNumVgprs: 0
; ScratchSize: 0
; MemoryBound: 0
; FloatMode: 240
; IeeeMode: 1
; LDSByteSize: 0 bytes/workgroup (compile time only)
; SGPRBlocks: 0
; VGPRBlocks: 0
; NumSGPRsForWavesPerEU: 4
; NumVGPRsForWavesPerEU: 1
; AccumOffset: 4
; Occupancy: 8
; WaveLimiterHint : 0
; COMPUTE_PGM_RSRC2:SCRATCH_EN: 0
; COMPUTE_PGM_RSRC2:USER_SGPR: 6
; COMPUTE_PGM_RSRC2:TRAP_HANDLER: 0
; COMPUTE_PGM_RSRC2:TGID_X_EN: 1
; COMPUTE_PGM_RSRC2:TGID_Y_EN: 0
; COMPUTE_PGM_RSRC2:TGID_Z_EN: 0
; COMPUTE_PGM_RSRC2:TIDIG_COMP_CNT: 0
; COMPUTE_PGM_RSRC3_GFX90A:ACCUM_OFFSET: 0
; COMPUTE_PGM_RSRC3_GFX90A:TG_SPLIT: 0
	.section	.text._ZN7rocprim17ROCPRIM_400000_NS6detail17trampoline_kernelINS0_14default_configENS1_29reduce_by_key_config_selectorIijN6thrust23THRUST_200600_302600_NS4plusIjEEEEZZNS1_33reduce_by_key_impl_wrapped_configILNS1_25lookback_scan_determinismE0ES3_S9_NS6_6detail15normal_iteratorINS6_10device_ptrIiEEEENSD_INSE_IjEEEESG_SI_PmS8_NS6_8equal_toIiEEEE10hipError_tPvRmT2_T3_mT4_T5_T6_T7_T8_P12ihipStream_tbENKUlT_T0_E_clISt17integral_constantIbLb1EES13_EEDaSY_SZ_EUlSY_E_NS1_11comp_targetILNS1_3genE10ELNS1_11target_archE1201ELNS1_3gpuE5ELNS1_3repE0EEENS1_30default_config_static_selectorELNS0_4arch9wavefront6targetE1EEEvT1_,"axG",@progbits,_ZN7rocprim17ROCPRIM_400000_NS6detail17trampoline_kernelINS0_14default_configENS1_29reduce_by_key_config_selectorIijN6thrust23THRUST_200600_302600_NS4plusIjEEEEZZNS1_33reduce_by_key_impl_wrapped_configILNS1_25lookback_scan_determinismE0ES3_S9_NS6_6detail15normal_iteratorINS6_10device_ptrIiEEEENSD_INSE_IjEEEESG_SI_PmS8_NS6_8equal_toIiEEEE10hipError_tPvRmT2_T3_mT4_T5_T6_T7_T8_P12ihipStream_tbENKUlT_T0_E_clISt17integral_constantIbLb1EES13_EEDaSY_SZ_EUlSY_E_NS1_11comp_targetILNS1_3genE10ELNS1_11target_archE1201ELNS1_3gpuE5ELNS1_3repE0EEENS1_30default_config_static_selectorELNS0_4arch9wavefront6targetE1EEEvT1_,comdat
	.protected	_ZN7rocprim17ROCPRIM_400000_NS6detail17trampoline_kernelINS0_14default_configENS1_29reduce_by_key_config_selectorIijN6thrust23THRUST_200600_302600_NS4plusIjEEEEZZNS1_33reduce_by_key_impl_wrapped_configILNS1_25lookback_scan_determinismE0ES3_S9_NS6_6detail15normal_iteratorINS6_10device_ptrIiEEEENSD_INSE_IjEEEESG_SI_PmS8_NS6_8equal_toIiEEEE10hipError_tPvRmT2_T3_mT4_T5_T6_T7_T8_P12ihipStream_tbENKUlT_T0_E_clISt17integral_constantIbLb1EES13_EEDaSY_SZ_EUlSY_E_NS1_11comp_targetILNS1_3genE10ELNS1_11target_archE1201ELNS1_3gpuE5ELNS1_3repE0EEENS1_30default_config_static_selectorELNS0_4arch9wavefront6targetE1EEEvT1_ ; -- Begin function _ZN7rocprim17ROCPRIM_400000_NS6detail17trampoline_kernelINS0_14default_configENS1_29reduce_by_key_config_selectorIijN6thrust23THRUST_200600_302600_NS4plusIjEEEEZZNS1_33reduce_by_key_impl_wrapped_configILNS1_25lookback_scan_determinismE0ES3_S9_NS6_6detail15normal_iteratorINS6_10device_ptrIiEEEENSD_INSE_IjEEEESG_SI_PmS8_NS6_8equal_toIiEEEE10hipError_tPvRmT2_T3_mT4_T5_T6_T7_T8_P12ihipStream_tbENKUlT_T0_E_clISt17integral_constantIbLb1EES13_EEDaSY_SZ_EUlSY_E_NS1_11comp_targetILNS1_3genE10ELNS1_11target_archE1201ELNS1_3gpuE5ELNS1_3repE0EEENS1_30default_config_static_selectorELNS0_4arch9wavefront6targetE1EEEvT1_
	.globl	_ZN7rocprim17ROCPRIM_400000_NS6detail17trampoline_kernelINS0_14default_configENS1_29reduce_by_key_config_selectorIijN6thrust23THRUST_200600_302600_NS4plusIjEEEEZZNS1_33reduce_by_key_impl_wrapped_configILNS1_25lookback_scan_determinismE0ES3_S9_NS6_6detail15normal_iteratorINS6_10device_ptrIiEEEENSD_INSE_IjEEEESG_SI_PmS8_NS6_8equal_toIiEEEE10hipError_tPvRmT2_T3_mT4_T5_T6_T7_T8_P12ihipStream_tbENKUlT_T0_E_clISt17integral_constantIbLb1EES13_EEDaSY_SZ_EUlSY_E_NS1_11comp_targetILNS1_3genE10ELNS1_11target_archE1201ELNS1_3gpuE5ELNS1_3repE0EEENS1_30default_config_static_selectorELNS0_4arch9wavefront6targetE1EEEvT1_
	.p2align	8
	.type	_ZN7rocprim17ROCPRIM_400000_NS6detail17trampoline_kernelINS0_14default_configENS1_29reduce_by_key_config_selectorIijN6thrust23THRUST_200600_302600_NS4plusIjEEEEZZNS1_33reduce_by_key_impl_wrapped_configILNS1_25lookback_scan_determinismE0ES3_S9_NS6_6detail15normal_iteratorINS6_10device_ptrIiEEEENSD_INSE_IjEEEESG_SI_PmS8_NS6_8equal_toIiEEEE10hipError_tPvRmT2_T3_mT4_T5_T6_T7_T8_P12ihipStream_tbENKUlT_T0_E_clISt17integral_constantIbLb1EES13_EEDaSY_SZ_EUlSY_E_NS1_11comp_targetILNS1_3genE10ELNS1_11target_archE1201ELNS1_3gpuE5ELNS1_3repE0EEENS1_30default_config_static_selectorELNS0_4arch9wavefront6targetE1EEEvT1_,@function
_ZN7rocprim17ROCPRIM_400000_NS6detail17trampoline_kernelINS0_14default_configENS1_29reduce_by_key_config_selectorIijN6thrust23THRUST_200600_302600_NS4plusIjEEEEZZNS1_33reduce_by_key_impl_wrapped_configILNS1_25lookback_scan_determinismE0ES3_S9_NS6_6detail15normal_iteratorINS6_10device_ptrIiEEEENSD_INSE_IjEEEESG_SI_PmS8_NS6_8equal_toIiEEEE10hipError_tPvRmT2_T3_mT4_T5_T6_T7_T8_P12ihipStream_tbENKUlT_T0_E_clISt17integral_constantIbLb1EES13_EEDaSY_SZ_EUlSY_E_NS1_11comp_targetILNS1_3genE10ELNS1_11target_archE1201ELNS1_3gpuE5ELNS1_3repE0EEENS1_30default_config_static_selectorELNS0_4arch9wavefront6targetE1EEEvT1_: ; @_ZN7rocprim17ROCPRIM_400000_NS6detail17trampoline_kernelINS0_14default_configENS1_29reduce_by_key_config_selectorIijN6thrust23THRUST_200600_302600_NS4plusIjEEEEZZNS1_33reduce_by_key_impl_wrapped_configILNS1_25lookback_scan_determinismE0ES3_S9_NS6_6detail15normal_iteratorINS6_10device_ptrIiEEEENSD_INSE_IjEEEESG_SI_PmS8_NS6_8equal_toIiEEEE10hipError_tPvRmT2_T3_mT4_T5_T6_T7_T8_P12ihipStream_tbENKUlT_T0_E_clISt17integral_constantIbLb1EES13_EEDaSY_SZ_EUlSY_E_NS1_11comp_targetILNS1_3genE10ELNS1_11target_archE1201ELNS1_3gpuE5ELNS1_3repE0EEENS1_30default_config_static_selectorELNS0_4arch9wavefront6targetE1EEEvT1_
; %bb.0:
	.section	.rodata,"a",@progbits
	.p2align	6, 0x0
	.amdhsa_kernel _ZN7rocprim17ROCPRIM_400000_NS6detail17trampoline_kernelINS0_14default_configENS1_29reduce_by_key_config_selectorIijN6thrust23THRUST_200600_302600_NS4plusIjEEEEZZNS1_33reduce_by_key_impl_wrapped_configILNS1_25lookback_scan_determinismE0ES3_S9_NS6_6detail15normal_iteratorINS6_10device_ptrIiEEEENSD_INSE_IjEEEESG_SI_PmS8_NS6_8equal_toIiEEEE10hipError_tPvRmT2_T3_mT4_T5_T6_T7_T8_P12ihipStream_tbENKUlT_T0_E_clISt17integral_constantIbLb1EES13_EEDaSY_SZ_EUlSY_E_NS1_11comp_targetILNS1_3genE10ELNS1_11target_archE1201ELNS1_3gpuE5ELNS1_3repE0EEENS1_30default_config_static_selectorELNS0_4arch9wavefront6targetE1EEEvT1_
		.amdhsa_group_segment_fixed_size 0
		.amdhsa_private_segment_fixed_size 0
		.amdhsa_kernarg_size 120
		.amdhsa_user_sgpr_count 6
		.amdhsa_user_sgpr_private_segment_buffer 1
		.amdhsa_user_sgpr_dispatch_ptr 0
		.amdhsa_user_sgpr_queue_ptr 0
		.amdhsa_user_sgpr_kernarg_segment_ptr 1
		.amdhsa_user_sgpr_dispatch_id 0
		.amdhsa_user_sgpr_flat_scratch_init 0
		.amdhsa_user_sgpr_kernarg_preload_length 0
		.amdhsa_user_sgpr_kernarg_preload_offset 0
		.amdhsa_user_sgpr_private_segment_size 0
		.amdhsa_uses_dynamic_stack 0
		.amdhsa_system_sgpr_private_segment_wavefront_offset 0
		.amdhsa_system_sgpr_workgroup_id_x 1
		.amdhsa_system_sgpr_workgroup_id_y 0
		.amdhsa_system_sgpr_workgroup_id_z 0
		.amdhsa_system_sgpr_workgroup_info 0
		.amdhsa_system_vgpr_workitem_id 0
		.amdhsa_next_free_vgpr 1
		.amdhsa_next_free_sgpr 0
		.amdhsa_accum_offset 4
		.amdhsa_reserve_vcc 0
		.amdhsa_reserve_flat_scratch 0
		.amdhsa_float_round_mode_32 0
		.amdhsa_float_round_mode_16_64 0
		.amdhsa_float_denorm_mode_32 3
		.amdhsa_float_denorm_mode_16_64 3
		.amdhsa_dx10_clamp 1
		.amdhsa_ieee_mode 1
		.amdhsa_fp16_overflow 0
		.amdhsa_tg_split 0
		.amdhsa_exception_fp_ieee_invalid_op 0
		.amdhsa_exception_fp_denorm_src 0
		.amdhsa_exception_fp_ieee_div_zero 0
		.amdhsa_exception_fp_ieee_overflow 0
		.amdhsa_exception_fp_ieee_underflow 0
		.amdhsa_exception_fp_ieee_inexact 0
		.amdhsa_exception_int_div_zero 0
	.end_amdhsa_kernel
	.section	.text._ZN7rocprim17ROCPRIM_400000_NS6detail17trampoline_kernelINS0_14default_configENS1_29reduce_by_key_config_selectorIijN6thrust23THRUST_200600_302600_NS4plusIjEEEEZZNS1_33reduce_by_key_impl_wrapped_configILNS1_25lookback_scan_determinismE0ES3_S9_NS6_6detail15normal_iteratorINS6_10device_ptrIiEEEENSD_INSE_IjEEEESG_SI_PmS8_NS6_8equal_toIiEEEE10hipError_tPvRmT2_T3_mT4_T5_T6_T7_T8_P12ihipStream_tbENKUlT_T0_E_clISt17integral_constantIbLb1EES13_EEDaSY_SZ_EUlSY_E_NS1_11comp_targetILNS1_3genE10ELNS1_11target_archE1201ELNS1_3gpuE5ELNS1_3repE0EEENS1_30default_config_static_selectorELNS0_4arch9wavefront6targetE1EEEvT1_,"axG",@progbits,_ZN7rocprim17ROCPRIM_400000_NS6detail17trampoline_kernelINS0_14default_configENS1_29reduce_by_key_config_selectorIijN6thrust23THRUST_200600_302600_NS4plusIjEEEEZZNS1_33reduce_by_key_impl_wrapped_configILNS1_25lookback_scan_determinismE0ES3_S9_NS6_6detail15normal_iteratorINS6_10device_ptrIiEEEENSD_INSE_IjEEEESG_SI_PmS8_NS6_8equal_toIiEEEE10hipError_tPvRmT2_T3_mT4_T5_T6_T7_T8_P12ihipStream_tbENKUlT_T0_E_clISt17integral_constantIbLb1EES13_EEDaSY_SZ_EUlSY_E_NS1_11comp_targetILNS1_3genE10ELNS1_11target_archE1201ELNS1_3gpuE5ELNS1_3repE0EEENS1_30default_config_static_selectorELNS0_4arch9wavefront6targetE1EEEvT1_,comdat
.Lfunc_end819:
	.size	_ZN7rocprim17ROCPRIM_400000_NS6detail17trampoline_kernelINS0_14default_configENS1_29reduce_by_key_config_selectorIijN6thrust23THRUST_200600_302600_NS4plusIjEEEEZZNS1_33reduce_by_key_impl_wrapped_configILNS1_25lookback_scan_determinismE0ES3_S9_NS6_6detail15normal_iteratorINS6_10device_ptrIiEEEENSD_INSE_IjEEEESG_SI_PmS8_NS6_8equal_toIiEEEE10hipError_tPvRmT2_T3_mT4_T5_T6_T7_T8_P12ihipStream_tbENKUlT_T0_E_clISt17integral_constantIbLb1EES13_EEDaSY_SZ_EUlSY_E_NS1_11comp_targetILNS1_3genE10ELNS1_11target_archE1201ELNS1_3gpuE5ELNS1_3repE0EEENS1_30default_config_static_selectorELNS0_4arch9wavefront6targetE1EEEvT1_, .Lfunc_end819-_ZN7rocprim17ROCPRIM_400000_NS6detail17trampoline_kernelINS0_14default_configENS1_29reduce_by_key_config_selectorIijN6thrust23THRUST_200600_302600_NS4plusIjEEEEZZNS1_33reduce_by_key_impl_wrapped_configILNS1_25lookback_scan_determinismE0ES3_S9_NS6_6detail15normal_iteratorINS6_10device_ptrIiEEEENSD_INSE_IjEEEESG_SI_PmS8_NS6_8equal_toIiEEEE10hipError_tPvRmT2_T3_mT4_T5_T6_T7_T8_P12ihipStream_tbENKUlT_T0_E_clISt17integral_constantIbLb1EES13_EEDaSY_SZ_EUlSY_E_NS1_11comp_targetILNS1_3genE10ELNS1_11target_archE1201ELNS1_3gpuE5ELNS1_3repE0EEENS1_30default_config_static_selectorELNS0_4arch9wavefront6targetE1EEEvT1_
                                        ; -- End function
	.section	.AMDGPU.csdata,"",@progbits
; Kernel info:
; codeLenInByte = 0
; NumSgprs: 4
; NumVgprs: 0
; NumAgprs: 0
; TotalNumVgprs: 0
; ScratchSize: 0
; MemoryBound: 0
; FloatMode: 240
; IeeeMode: 1
; LDSByteSize: 0 bytes/workgroup (compile time only)
; SGPRBlocks: 0
; VGPRBlocks: 0
; NumSGPRsForWavesPerEU: 4
; NumVGPRsForWavesPerEU: 1
; AccumOffset: 4
; Occupancy: 8
; WaveLimiterHint : 0
; COMPUTE_PGM_RSRC2:SCRATCH_EN: 0
; COMPUTE_PGM_RSRC2:USER_SGPR: 6
; COMPUTE_PGM_RSRC2:TRAP_HANDLER: 0
; COMPUTE_PGM_RSRC2:TGID_X_EN: 1
; COMPUTE_PGM_RSRC2:TGID_Y_EN: 0
; COMPUTE_PGM_RSRC2:TGID_Z_EN: 0
; COMPUTE_PGM_RSRC2:TIDIG_COMP_CNT: 0
; COMPUTE_PGM_RSRC3_GFX90A:ACCUM_OFFSET: 0
; COMPUTE_PGM_RSRC3_GFX90A:TG_SPLIT: 0
	.section	.text._ZN7rocprim17ROCPRIM_400000_NS6detail17trampoline_kernelINS0_14default_configENS1_29reduce_by_key_config_selectorIijN6thrust23THRUST_200600_302600_NS4plusIjEEEEZZNS1_33reduce_by_key_impl_wrapped_configILNS1_25lookback_scan_determinismE0ES3_S9_NS6_6detail15normal_iteratorINS6_10device_ptrIiEEEENSD_INSE_IjEEEESG_SI_PmS8_NS6_8equal_toIiEEEE10hipError_tPvRmT2_T3_mT4_T5_T6_T7_T8_P12ihipStream_tbENKUlT_T0_E_clISt17integral_constantIbLb1EES13_EEDaSY_SZ_EUlSY_E_NS1_11comp_targetILNS1_3genE10ELNS1_11target_archE1200ELNS1_3gpuE4ELNS1_3repE0EEENS1_30default_config_static_selectorELNS0_4arch9wavefront6targetE1EEEvT1_,"axG",@progbits,_ZN7rocprim17ROCPRIM_400000_NS6detail17trampoline_kernelINS0_14default_configENS1_29reduce_by_key_config_selectorIijN6thrust23THRUST_200600_302600_NS4plusIjEEEEZZNS1_33reduce_by_key_impl_wrapped_configILNS1_25lookback_scan_determinismE0ES3_S9_NS6_6detail15normal_iteratorINS6_10device_ptrIiEEEENSD_INSE_IjEEEESG_SI_PmS8_NS6_8equal_toIiEEEE10hipError_tPvRmT2_T3_mT4_T5_T6_T7_T8_P12ihipStream_tbENKUlT_T0_E_clISt17integral_constantIbLb1EES13_EEDaSY_SZ_EUlSY_E_NS1_11comp_targetILNS1_3genE10ELNS1_11target_archE1200ELNS1_3gpuE4ELNS1_3repE0EEENS1_30default_config_static_selectorELNS0_4arch9wavefront6targetE1EEEvT1_,comdat
	.protected	_ZN7rocprim17ROCPRIM_400000_NS6detail17trampoline_kernelINS0_14default_configENS1_29reduce_by_key_config_selectorIijN6thrust23THRUST_200600_302600_NS4plusIjEEEEZZNS1_33reduce_by_key_impl_wrapped_configILNS1_25lookback_scan_determinismE0ES3_S9_NS6_6detail15normal_iteratorINS6_10device_ptrIiEEEENSD_INSE_IjEEEESG_SI_PmS8_NS6_8equal_toIiEEEE10hipError_tPvRmT2_T3_mT4_T5_T6_T7_T8_P12ihipStream_tbENKUlT_T0_E_clISt17integral_constantIbLb1EES13_EEDaSY_SZ_EUlSY_E_NS1_11comp_targetILNS1_3genE10ELNS1_11target_archE1200ELNS1_3gpuE4ELNS1_3repE0EEENS1_30default_config_static_selectorELNS0_4arch9wavefront6targetE1EEEvT1_ ; -- Begin function _ZN7rocprim17ROCPRIM_400000_NS6detail17trampoline_kernelINS0_14default_configENS1_29reduce_by_key_config_selectorIijN6thrust23THRUST_200600_302600_NS4plusIjEEEEZZNS1_33reduce_by_key_impl_wrapped_configILNS1_25lookback_scan_determinismE0ES3_S9_NS6_6detail15normal_iteratorINS6_10device_ptrIiEEEENSD_INSE_IjEEEESG_SI_PmS8_NS6_8equal_toIiEEEE10hipError_tPvRmT2_T3_mT4_T5_T6_T7_T8_P12ihipStream_tbENKUlT_T0_E_clISt17integral_constantIbLb1EES13_EEDaSY_SZ_EUlSY_E_NS1_11comp_targetILNS1_3genE10ELNS1_11target_archE1200ELNS1_3gpuE4ELNS1_3repE0EEENS1_30default_config_static_selectorELNS0_4arch9wavefront6targetE1EEEvT1_
	.globl	_ZN7rocprim17ROCPRIM_400000_NS6detail17trampoline_kernelINS0_14default_configENS1_29reduce_by_key_config_selectorIijN6thrust23THRUST_200600_302600_NS4plusIjEEEEZZNS1_33reduce_by_key_impl_wrapped_configILNS1_25lookback_scan_determinismE0ES3_S9_NS6_6detail15normal_iteratorINS6_10device_ptrIiEEEENSD_INSE_IjEEEESG_SI_PmS8_NS6_8equal_toIiEEEE10hipError_tPvRmT2_T3_mT4_T5_T6_T7_T8_P12ihipStream_tbENKUlT_T0_E_clISt17integral_constantIbLb1EES13_EEDaSY_SZ_EUlSY_E_NS1_11comp_targetILNS1_3genE10ELNS1_11target_archE1200ELNS1_3gpuE4ELNS1_3repE0EEENS1_30default_config_static_selectorELNS0_4arch9wavefront6targetE1EEEvT1_
	.p2align	8
	.type	_ZN7rocprim17ROCPRIM_400000_NS6detail17trampoline_kernelINS0_14default_configENS1_29reduce_by_key_config_selectorIijN6thrust23THRUST_200600_302600_NS4plusIjEEEEZZNS1_33reduce_by_key_impl_wrapped_configILNS1_25lookback_scan_determinismE0ES3_S9_NS6_6detail15normal_iteratorINS6_10device_ptrIiEEEENSD_INSE_IjEEEESG_SI_PmS8_NS6_8equal_toIiEEEE10hipError_tPvRmT2_T3_mT4_T5_T6_T7_T8_P12ihipStream_tbENKUlT_T0_E_clISt17integral_constantIbLb1EES13_EEDaSY_SZ_EUlSY_E_NS1_11comp_targetILNS1_3genE10ELNS1_11target_archE1200ELNS1_3gpuE4ELNS1_3repE0EEENS1_30default_config_static_selectorELNS0_4arch9wavefront6targetE1EEEvT1_,@function
_ZN7rocprim17ROCPRIM_400000_NS6detail17trampoline_kernelINS0_14default_configENS1_29reduce_by_key_config_selectorIijN6thrust23THRUST_200600_302600_NS4plusIjEEEEZZNS1_33reduce_by_key_impl_wrapped_configILNS1_25lookback_scan_determinismE0ES3_S9_NS6_6detail15normal_iteratorINS6_10device_ptrIiEEEENSD_INSE_IjEEEESG_SI_PmS8_NS6_8equal_toIiEEEE10hipError_tPvRmT2_T3_mT4_T5_T6_T7_T8_P12ihipStream_tbENKUlT_T0_E_clISt17integral_constantIbLb1EES13_EEDaSY_SZ_EUlSY_E_NS1_11comp_targetILNS1_3genE10ELNS1_11target_archE1200ELNS1_3gpuE4ELNS1_3repE0EEENS1_30default_config_static_selectorELNS0_4arch9wavefront6targetE1EEEvT1_: ; @_ZN7rocprim17ROCPRIM_400000_NS6detail17trampoline_kernelINS0_14default_configENS1_29reduce_by_key_config_selectorIijN6thrust23THRUST_200600_302600_NS4plusIjEEEEZZNS1_33reduce_by_key_impl_wrapped_configILNS1_25lookback_scan_determinismE0ES3_S9_NS6_6detail15normal_iteratorINS6_10device_ptrIiEEEENSD_INSE_IjEEEESG_SI_PmS8_NS6_8equal_toIiEEEE10hipError_tPvRmT2_T3_mT4_T5_T6_T7_T8_P12ihipStream_tbENKUlT_T0_E_clISt17integral_constantIbLb1EES13_EEDaSY_SZ_EUlSY_E_NS1_11comp_targetILNS1_3genE10ELNS1_11target_archE1200ELNS1_3gpuE4ELNS1_3repE0EEENS1_30default_config_static_selectorELNS0_4arch9wavefront6targetE1EEEvT1_
; %bb.0:
	.section	.rodata,"a",@progbits
	.p2align	6, 0x0
	.amdhsa_kernel _ZN7rocprim17ROCPRIM_400000_NS6detail17trampoline_kernelINS0_14default_configENS1_29reduce_by_key_config_selectorIijN6thrust23THRUST_200600_302600_NS4plusIjEEEEZZNS1_33reduce_by_key_impl_wrapped_configILNS1_25lookback_scan_determinismE0ES3_S9_NS6_6detail15normal_iteratorINS6_10device_ptrIiEEEENSD_INSE_IjEEEESG_SI_PmS8_NS6_8equal_toIiEEEE10hipError_tPvRmT2_T3_mT4_T5_T6_T7_T8_P12ihipStream_tbENKUlT_T0_E_clISt17integral_constantIbLb1EES13_EEDaSY_SZ_EUlSY_E_NS1_11comp_targetILNS1_3genE10ELNS1_11target_archE1200ELNS1_3gpuE4ELNS1_3repE0EEENS1_30default_config_static_selectorELNS0_4arch9wavefront6targetE1EEEvT1_
		.amdhsa_group_segment_fixed_size 0
		.amdhsa_private_segment_fixed_size 0
		.amdhsa_kernarg_size 120
		.amdhsa_user_sgpr_count 6
		.amdhsa_user_sgpr_private_segment_buffer 1
		.amdhsa_user_sgpr_dispatch_ptr 0
		.amdhsa_user_sgpr_queue_ptr 0
		.amdhsa_user_sgpr_kernarg_segment_ptr 1
		.amdhsa_user_sgpr_dispatch_id 0
		.amdhsa_user_sgpr_flat_scratch_init 0
		.amdhsa_user_sgpr_kernarg_preload_length 0
		.amdhsa_user_sgpr_kernarg_preload_offset 0
		.amdhsa_user_sgpr_private_segment_size 0
		.amdhsa_uses_dynamic_stack 0
		.amdhsa_system_sgpr_private_segment_wavefront_offset 0
		.amdhsa_system_sgpr_workgroup_id_x 1
		.amdhsa_system_sgpr_workgroup_id_y 0
		.amdhsa_system_sgpr_workgroup_id_z 0
		.amdhsa_system_sgpr_workgroup_info 0
		.amdhsa_system_vgpr_workitem_id 0
		.amdhsa_next_free_vgpr 1
		.amdhsa_next_free_sgpr 0
		.amdhsa_accum_offset 4
		.amdhsa_reserve_vcc 0
		.amdhsa_reserve_flat_scratch 0
		.amdhsa_float_round_mode_32 0
		.amdhsa_float_round_mode_16_64 0
		.amdhsa_float_denorm_mode_32 3
		.amdhsa_float_denorm_mode_16_64 3
		.amdhsa_dx10_clamp 1
		.amdhsa_ieee_mode 1
		.amdhsa_fp16_overflow 0
		.amdhsa_tg_split 0
		.amdhsa_exception_fp_ieee_invalid_op 0
		.amdhsa_exception_fp_denorm_src 0
		.amdhsa_exception_fp_ieee_div_zero 0
		.amdhsa_exception_fp_ieee_overflow 0
		.amdhsa_exception_fp_ieee_underflow 0
		.amdhsa_exception_fp_ieee_inexact 0
		.amdhsa_exception_int_div_zero 0
	.end_amdhsa_kernel
	.section	.text._ZN7rocprim17ROCPRIM_400000_NS6detail17trampoline_kernelINS0_14default_configENS1_29reduce_by_key_config_selectorIijN6thrust23THRUST_200600_302600_NS4plusIjEEEEZZNS1_33reduce_by_key_impl_wrapped_configILNS1_25lookback_scan_determinismE0ES3_S9_NS6_6detail15normal_iteratorINS6_10device_ptrIiEEEENSD_INSE_IjEEEESG_SI_PmS8_NS6_8equal_toIiEEEE10hipError_tPvRmT2_T3_mT4_T5_T6_T7_T8_P12ihipStream_tbENKUlT_T0_E_clISt17integral_constantIbLb1EES13_EEDaSY_SZ_EUlSY_E_NS1_11comp_targetILNS1_3genE10ELNS1_11target_archE1200ELNS1_3gpuE4ELNS1_3repE0EEENS1_30default_config_static_selectorELNS0_4arch9wavefront6targetE1EEEvT1_,"axG",@progbits,_ZN7rocprim17ROCPRIM_400000_NS6detail17trampoline_kernelINS0_14default_configENS1_29reduce_by_key_config_selectorIijN6thrust23THRUST_200600_302600_NS4plusIjEEEEZZNS1_33reduce_by_key_impl_wrapped_configILNS1_25lookback_scan_determinismE0ES3_S9_NS6_6detail15normal_iteratorINS6_10device_ptrIiEEEENSD_INSE_IjEEEESG_SI_PmS8_NS6_8equal_toIiEEEE10hipError_tPvRmT2_T3_mT4_T5_T6_T7_T8_P12ihipStream_tbENKUlT_T0_E_clISt17integral_constantIbLb1EES13_EEDaSY_SZ_EUlSY_E_NS1_11comp_targetILNS1_3genE10ELNS1_11target_archE1200ELNS1_3gpuE4ELNS1_3repE0EEENS1_30default_config_static_selectorELNS0_4arch9wavefront6targetE1EEEvT1_,comdat
.Lfunc_end820:
	.size	_ZN7rocprim17ROCPRIM_400000_NS6detail17trampoline_kernelINS0_14default_configENS1_29reduce_by_key_config_selectorIijN6thrust23THRUST_200600_302600_NS4plusIjEEEEZZNS1_33reduce_by_key_impl_wrapped_configILNS1_25lookback_scan_determinismE0ES3_S9_NS6_6detail15normal_iteratorINS6_10device_ptrIiEEEENSD_INSE_IjEEEESG_SI_PmS8_NS6_8equal_toIiEEEE10hipError_tPvRmT2_T3_mT4_T5_T6_T7_T8_P12ihipStream_tbENKUlT_T0_E_clISt17integral_constantIbLb1EES13_EEDaSY_SZ_EUlSY_E_NS1_11comp_targetILNS1_3genE10ELNS1_11target_archE1200ELNS1_3gpuE4ELNS1_3repE0EEENS1_30default_config_static_selectorELNS0_4arch9wavefront6targetE1EEEvT1_, .Lfunc_end820-_ZN7rocprim17ROCPRIM_400000_NS6detail17trampoline_kernelINS0_14default_configENS1_29reduce_by_key_config_selectorIijN6thrust23THRUST_200600_302600_NS4plusIjEEEEZZNS1_33reduce_by_key_impl_wrapped_configILNS1_25lookback_scan_determinismE0ES3_S9_NS6_6detail15normal_iteratorINS6_10device_ptrIiEEEENSD_INSE_IjEEEESG_SI_PmS8_NS6_8equal_toIiEEEE10hipError_tPvRmT2_T3_mT4_T5_T6_T7_T8_P12ihipStream_tbENKUlT_T0_E_clISt17integral_constantIbLb1EES13_EEDaSY_SZ_EUlSY_E_NS1_11comp_targetILNS1_3genE10ELNS1_11target_archE1200ELNS1_3gpuE4ELNS1_3repE0EEENS1_30default_config_static_selectorELNS0_4arch9wavefront6targetE1EEEvT1_
                                        ; -- End function
	.section	.AMDGPU.csdata,"",@progbits
; Kernel info:
; codeLenInByte = 0
; NumSgprs: 4
; NumVgprs: 0
; NumAgprs: 0
; TotalNumVgprs: 0
; ScratchSize: 0
; MemoryBound: 0
; FloatMode: 240
; IeeeMode: 1
; LDSByteSize: 0 bytes/workgroup (compile time only)
; SGPRBlocks: 0
; VGPRBlocks: 0
; NumSGPRsForWavesPerEU: 4
; NumVGPRsForWavesPerEU: 1
; AccumOffset: 4
; Occupancy: 8
; WaveLimiterHint : 0
; COMPUTE_PGM_RSRC2:SCRATCH_EN: 0
; COMPUTE_PGM_RSRC2:USER_SGPR: 6
; COMPUTE_PGM_RSRC2:TRAP_HANDLER: 0
; COMPUTE_PGM_RSRC2:TGID_X_EN: 1
; COMPUTE_PGM_RSRC2:TGID_Y_EN: 0
; COMPUTE_PGM_RSRC2:TGID_Z_EN: 0
; COMPUTE_PGM_RSRC2:TIDIG_COMP_CNT: 0
; COMPUTE_PGM_RSRC3_GFX90A:ACCUM_OFFSET: 0
; COMPUTE_PGM_RSRC3_GFX90A:TG_SPLIT: 0
	.section	.text._ZN7rocprim17ROCPRIM_400000_NS6detail17trampoline_kernelINS0_14default_configENS1_29reduce_by_key_config_selectorIijN6thrust23THRUST_200600_302600_NS4plusIjEEEEZZNS1_33reduce_by_key_impl_wrapped_configILNS1_25lookback_scan_determinismE0ES3_S9_NS6_6detail15normal_iteratorINS6_10device_ptrIiEEEENSD_INSE_IjEEEESG_SI_PmS8_NS6_8equal_toIiEEEE10hipError_tPvRmT2_T3_mT4_T5_T6_T7_T8_P12ihipStream_tbENKUlT_T0_E_clISt17integral_constantIbLb1EES13_EEDaSY_SZ_EUlSY_E_NS1_11comp_targetILNS1_3genE9ELNS1_11target_archE1100ELNS1_3gpuE3ELNS1_3repE0EEENS1_30default_config_static_selectorELNS0_4arch9wavefront6targetE1EEEvT1_,"axG",@progbits,_ZN7rocprim17ROCPRIM_400000_NS6detail17trampoline_kernelINS0_14default_configENS1_29reduce_by_key_config_selectorIijN6thrust23THRUST_200600_302600_NS4plusIjEEEEZZNS1_33reduce_by_key_impl_wrapped_configILNS1_25lookback_scan_determinismE0ES3_S9_NS6_6detail15normal_iteratorINS6_10device_ptrIiEEEENSD_INSE_IjEEEESG_SI_PmS8_NS6_8equal_toIiEEEE10hipError_tPvRmT2_T3_mT4_T5_T6_T7_T8_P12ihipStream_tbENKUlT_T0_E_clISt17integral_constantIbLb1EES13_EEDaSY_SZ_EUlSY_E_NS1_11comp_targetILNS1_3genE9ELNS1_11target_archE1100ELNS1_3gpuE3ELNS1_3repE0EEENS1_30default_config_static_selectorELNS0_4arch9wavefront6targetE1EEEvT1_,comdat
	.protected	_ZN7rocprim17ROCPRIM_400000_NS6detail17trampoline_kernelINS0_14default_configENS1_29reduce_by_key_config_selectorIijN6thrust23THRUST_200600_302600_NS4plusIjEEEEZZNS1_33reduce_by_key_impl_wrapped_configILNS1_25lookback_scan_determinismE0ES3_S9_NS6_6detail15normal_iteratorINS6_10device_ptrIiEEEENSD_INSE_IjEEEESG_SI_PmS8_NS6_8equal_toIiEEEE10hipError_tPvRmT2_T3_mT4_T5_T6_T7_T8_P12ihipStream_tbENKUlT_T0_E_clISt17integral_constantIbLb1EES13_EEDaSY_SZ_EUlSY_E_NS1_11comp_targetILNS1_3genE9ELNS1_11target_archE1100ELNS1_3gpuE3ELNS1_3repE0EEENS1_30default_config_static_selectorELNS0_4arch9wavefront6targetE1EEEvT1_ ; -- Begin function _ZN7rocprim17ROCPRIM_400000_NS6detail17trampoline_kernelINS0_14default_configENS1_29reduce_by_key_config_selectorIijN6thrust23THRUST_200600_302600_NS4plusIjEEEEZZNS1_33reduce_by_key_impl_wrapped_configILNS1_25lookback_scan_determinismE0ES3_S9_NS6_6detail15normal_iteratorINS6_10device_ptrIiEEEENSD_INSE_IjEEEESG_SI_PmS8_NS6_8equal_toIiEEEE10hipError_tPvRmT2_T3_mT4_T5_T6_T7_T8_P12ihipStream_tbENKUlT_T0_E_clISt17integral_constantIbLb1EES13_EEDaSY_SZ_EUlSY_E_NS1_11comp_targetILNS1_3genE9ELNS1_11target_archE1100ELNS1_3gpuE3ELNS1_3repE0EEENS1_30default_config_static_selectorELNS0_4arch9wavefront6targetE1EEEvT1_
	.globl	_ZN7rocprim17ROCPRIM_400000_NS6detail17trampoline_kernelINS0_14default_configENS1_29reduce_by_key_config_selectorIijN6thrust23THRUST_200600_302600_NS4plusIjEEEEZZNS1_33reduce_by_key_impl_wrapped_configILNS1_25lookback_scan_determinismE0ES3_S9_NS6_6detail15normal_iteratorINS6_10device_ptrIiEEEENSD_INSE_IjEEEESG_SI_PmS8_NS6_8equal_toIiEEEE10hipError_tPvRmT2_T3_mT4_T5_T6_T7_T8_P12ihipStream_tbENKUlT_T0_E_clISt17integral_constantIbLb1EES13_EEDaSY_SZ_EUlSY_E_NS1_11comp_targetILNS1_3genE9ELNS1_11target_archE1100ELNS1_3gpuE3ELNS1_3repE0EEENS1_30default_config_static_selectorELNS0_4arch9wavefront6targetE1EEEvT1_
	.p2align	8
	.type	_ZN7rocprim17ROCPRIM_400000_NS6detail17trampoline_kernelINS0_14default_configENS1_29reduce_by_key_config_selectorIijN6thrust23THRUST_200600_302600_NS4plusIjEEEEZZNS1_33reduce_by_key_impl_wrapped_configILNS1_25lookback_scan_determinismE0ES3_S9_NS6_6detail15normal_iteratorINS6_10device_ptrIiEEEENSD_INSE_IjEEEESG_SI_PmS8_NS6_8equal_toIiEEEE10hipError_tPvRmT2_T3_mT4_T5_T6_T7_T8_P12ihipStream_tbENKUlT_T0_E_clISt17integral_constantIbLb1EES13_EEDaSY_SZ_EUlSY_E_NS1_11comp_targetILNS1_3genE9ELNS1_11target_archE1100ELNS1_3gpuE3ELNS1_3repE0EEENS1_30default_config_static_selectorELNS0_4arch9wavefront6targetE1EEEvT1_,@function
_ZN7rocprim17ROCPRIM_400000_NS6detail17trampoline_kernelINS0_14default_configENS1_29reduce_by_key_config_selectorIijN6thrust23THRUST_200600_302600_NS4plusIjEEEEZZNS1_33reduce_by_key_impl_wrapped_configILNS1_25lookback_scan_determinismE0ES3_S9_NS6_6detail15normal_iteratorINS6_10device_ptrIiEEEENSD_INSE_IjEEEESG_SI_PmS8_NS6_8equal_toIiEEEE10hipError_tPvRmT2_T3_mT4_T5_T6_T7_T8_P12ihipStream_tbENKUlT_T0_E_clISt17integral_constantIbLb1EES13_EEDaSY_SZ_EUlSY_E_NS1_11comp_targetILNS1_3genE9ELNS1_11target_archE1100ELNS1_3gpuE3ELNS1_3repE0EEENS1_30default_config_static_selectorELNS0_4arch9wavefront6targetE1EEEvT1_: ; @_ZN7rocprim17ROCPRIM_400000_NS6detail17trampoline_kernelINS0_14default_configENS1_29reduce_by_key_config_selectorIijN6thrust23THRUST_200600_302600_NS4plusIjEEEEZZNS1_33reduce_by_key_impl_wrapped_configILNS1_25lookback_scan_determinismE0ES3_S9_NS6_6detail15normal_iteratorINS6_10device_ptrIiEEEENSD_INSE_IjEEEESG_SI_PmS8_NS6_8equal_toIiEEEE10hipError_tPvRmT2_T3_mT4_T5_T6_T7_T8_P12ihipStream_tbENKUlT_T0_E_clISt17integral_constantIbLb1EES13_EEDaSY_SZ_EUlSY_E_NS1_11comp_targetILNS1_3genE9ELNS1_11target_archE1100ELNS1_3gpuE3ELNS1_3repE0EEENS1_30default_config_static_selectorELNS0_4arch9wavefront6targetE1EEEvT1_
; %bb.0:
	.section	.rodata,"a",@progbits
	.p2align	6, 0x0
	.amdhsa_kernel _ZN7rocprim17ROCPRIM_400000_NS6detail17trampoline_kernelINS0_14default_configENS1_29reduce_by_key_config_selectorIijN6thrust23THRUST_200600_302600_NS4plusIjEEEEZZNS1_33reduce_by_key_impl_wrapped_configILNS1_25lookback_scan_determinismE0ES3_S9_NS6_6detail15normal_iteratorINS6_10device_ptrIiEEEENSD_INSE_IjEEEESG_SI_PmS8_NS6_8equal_toIiEEEE10hipError_tPvRmT2_T3_mT4_T5_T6_T7_T8_P12ihipStream_tbENKUlT_T0_E_clISt17integral_constantIbLb1EES13_EEDaSY_SZ_EUlSY_E_NS1_11comp_targetILNS1_3genE9ELNS1_11target_archE1100ELNS1_3gpuE3ELNS1_3repE0EEENS1_30default_config_static_selectorELNS0_4arch9wavefront6targetE1EEEvT1_
		.amdhsa_group_segment_fixed_size 0
		.amdhsa_private_segment_fixed_size 0
		.amdhsa_kernarg_size 120
		.amdhsa_user_sgpr_count 6
		.amdhsa_user_sgpr_private_segment_buffer 1
		.amdhsa_user_sgpr_dispatch_ptr 0
		.amdhsa_user_sgpr_queue_ptr 0
		.amdhsa_user_sgpr_kernarg_segment_ptr 1
		.amdhsa_user_sgpr_dispatch_id 0
		.amdhsa_user_sgpr_flat_scratch_init 0
		.amdhsa_user_sgpr_kernarg_preload_length 0
		.amdhsa_user_sgpr_kernarg_preload_offset 0
		.amdhsa_user_sgpr_private_segment_size 0
		.amdhsa_uses_dynamic_stack 0
		.amdhsa_system_sgpr_private_segment_wavefront_offset 0
		.amdhsa_system_sgpr_workgroup_id_x 1
		.amdhsa_system_sgpr_workgroup_id_y 0
		.amdhsa_system_sgpr_workgroup_id_z 0
		.amdhsa_system_sgpr_workgroup_info 0
		.amdhsa_system_vgpr_workitem_id 0
		.amdhsa_next_free_vgpr 1
		.amdhsa_next_free_sgpr 0
		.amdhsa_accum_offset 4
		.amdhsa_reserve_vcc 0
		.amdhsa_reserve_flat_scratch 0
		.amdhsa_float_round_mode_32 0
		.amdhsa_float_round_mode_16_64 0
		.amdhsa_float_denorm_mode_32 3
		.amdhsa_float_denorm_mode_16_64 3
		.amdhsa_dx10_clamp 1
		.amdhsa_ieee_mode 1
		.amdhsa_fp16_overflow 0
		.amdhsa_tg_split 0
		.amdhsa_exception_fp_ieee_invalid_op 0
		.amdhsa_exception_fp_denorm_src 0
		.amdhsa_exception_fp_ieee_div_zero 0
		.amdhsa_exception_fp_ieee_overflow 0
		.amdhsa_exception_fp_ieee_underflow 0
		.amdhsa_exception_fp_ieee_inexact 0
		.amdhsa_exception_int_div_zero 0
	.end_amdhsa_kernel
	.section	.text._ZN7rocprim17ROCPRIM_400000_NS6detail17trampoline_kernelINS0_14default_configENS1_29reduce_by_key_config_selectorIijN6thrust23THRUST_200600_302600_NS4plusIjEEEEZZNS1_33reduce_by_key_impl_wrapped_configILNS1_25lookback_scan_determinismE0ES3_S9_NS6_6detail15normal_iteratorINS6_10device_ptrIiEEEENSD_INSE_IjEEEESG_SI_PmS8_NS6_8equal_toIiEEEE10hipError_tPvRmT2_T3_mT4_T5_T6_T7_T8_P12ihipStream_tbENKUlT_T0_E_clISt17integral_constantIbLb1EES13_EEDaSY_SZ_EUlSY_E_NS1_11comp_targetILNS1_3genE9ELNS1_11target_archE1100ELNS1_3gpuE3ELNS1_3repE0EEENS1_30default_config_static_selectorELNS0_4arch9wavefront6targetE1EEEvT1_,"axG",@progbits,_ZN7rocprim17ROCPRIM_400000_NS6detail17trampoline_kernelINS0_14default_configENS1_29reduce_by_key_config_selectorIijN6thrust23THRUST_200600_302600_NS4plusIjEEEEZZNS1_33reduce_by_key_impl_wrapped_configILNS1_25lookback_scan_determinismE0ES3_S9_NS6_6detail15normal_iteratorINS6_10device_ptrIiEEEENSD_INSE_IjEEEESG_SI_PmS8_NS6_8equal_toIiEEEE10hipError_tPvRmT2_T3_mT4_T5_T6_T7_T8_P12ihipStream_tbENKUlT_T0_E_clISt17integral_constantIbLb1EES13_EEDaSY_SZ_EUlSY_E_NS1_11comp_targetILNS1_3genE9ELNS1_11target_archE1100ELNS1_3gpuE3ELNS1_3repE0EEENS1_30default_config_static_selectorELNS0_4arch9wavefront6targetE1EEEvT1_,comdat
.Lfunc_end821:
	.size	_ZN7rocprim17ROCPRIM_400000_NS6detail17trampoline_kernelINS0_14default_configENS1_29reduce_by_key_config_selectorIijN6thrust23THRUST_200600_302600_NS4plusIjEEEEZZNS1_33reduce_by_key_impl_wrapped_configILNS1_25lookback_scan_determinismE0ES3_S9_NS6_6detail15normal_iteratorINS6_10device_ptrIiEEEENSD_INSE_IjEEEESG_SI_PmS8_NS6_8equal_toIiEEEE10hipError_tPvRmT2_T3_mT4_T5_T6_T7_T8_P12ihipStream_tbENKUlT_T0_E_clISt17integral_constantIbLb1EES13_EEDaSY_SZ_EUlSY_E_NS1_11comp_targetILNS1_3genE9ELNS1_11target_archE1100ELNS1_3gpuE3ELNS1_3repE0EEENS1_30default_config_static_selectorELNS0_4arch9wavefront6targetE1EEEvT1_, .Lfunc_end821-_ZN7rocprim17ROCPRIM_400000_NS6detail17trampoline_kernelINS0_14default_configENS1_29reduce_by_key_config_selectorIijN6thrust23THRUST_200600_302600_NS4plusIjEEEEZZNS1_33reduce_by_key_impl_wrapped_configILNS1_25lookback_scan_determinismE0ES3_S9_NS6_6detail15normal_iteratorINS6_10device_ptrIiEEEENSD_INSE_IjEEEESG_SI_PmS8_NS6_8equal_toIiEEEE10hipError_tPvRmT2_T3_mT4_T5_T6_T7_T8_P12ihipStream_tbENKUlT_T0_E_clISt17integral_constantIbLb1EES13_EEDaSY_SZ_EUlSY_E_NS1_11comp_targetILNS1_3genE9ELNS1_11target_archE1100ELNS1_3gpuE3ELNS1_3repE0EEENS1_30default_config_static_selectorELNS0_4arch9wavefront6targetE1EEEvT1_
                                        ; -- End function
	.section	.AMDGPU.csdata,"",@progbits
; Kernel info:
; codeLenInByte = 0
; NumSgprs: 4
; NumVgprs: 0
; NumAgprs: 0
; TotalNumVgprs: 0
; ScratchSize: 0
; MemoryBound: 0
; FloatMode: 240
; IeeeMode: 1
; LDSByteSize: 0 bytes/workgroup (compile time only)
; SGPRBlocks: 0
; VGPRBlocks: 0
; NumSGPRsForWavesPerEU: 4
; NumVGPRsForWavesPerEU: 1
; AccumOffset: 4
; Occupancy: 8
; WaveLimiterHint : 0
; COMPUTE_PGM_RSRC2:SCRATCH_EN: 0
; COMPUTE_PGM_RSRC2:USER_SGPR: 6
; COMPUTE_PGM_RSRC2:TRAP_HANDLER: 0
; COMPUTE_PGM_RSRC2:TGID_X_EN: 1
; COMPUTE_PGM_RSRC2:TGID_Y_EN: 0
; COMPUTE_PGM_RSRC2:TGID_Z_EN: 0
; COMPUTE_PGM_RSRC2:TIDIG_COMP_CNT: 0
; COMPUTE_PGM_RSRC3_GFX90A:ACCUM_OFFSET: 0
; COMPUTE_PGM_RSRC3_GFX90A:TG_SPLIT: 0
	.section	.text._ZN7rocprim17ROCPRIM_400000_NS6detail17trampoline_kernelINS0_14default_configENS1_29reduce_by_key_config_selectorIijN6thrust23THRUST_200600_302600_NS4plusIjEEEEZZNS1_33reduce_by_key_impl_wrapped_configILNS1_25lookback_scan_determinismE0ES3_S9_NS6_6detail15normal_iteratorINS6_10device_ptrIiEEEENSD_INSE_IjEEEESG_SI_PmS8_NS6_8equal_toIiEEEE10hipError_tPvRmT2_T3_mT4_T5_T6_T7_T8_P12ihipStream_tbENKUlT_T0_E_clISt17integral_constantIbLb1EES13_EEDaSY_SZ_EUlSY_E_NS1_11comp_targetILNS1_3genE8ELNS1_11target_archE1030ELNS1_3gpuE2ELNS1_3repE0EEENS1_30default_config_static_selectorELNS0_4arch9wavefront6targetE1EEEvT1_,"axG",@progbits,_ZN7rocprim17ROCPRIM_400000_NS6detail17trampoline_kernelINS0_14default_configENS1_29reduce_by_key_config_selectorIijN6thrust23THRUST_200600_302600_NS4plusIjEEEEZZNS1_33reduce_by_key_impl_wrapped_configILNS1_25lookback_scan_determinismE0ES3_S9_NS6_6detail15normal_iteratorINS6_10device_ptrIiEEEENSD_INSE_IjEEEESG_SI_PmS8_NS6_8equal_toIiEEEE10hipError_tPvRmT2_T3_mT4_T5_T6_T7_T8_P12ihipStream_tbENKUlT_T0_E_clISt17integral_constantIbLb1EES13_EEDaSY_SZ_EUlSY_E_NS1_11comp_targetILNS1_3genE8ELNS1_11target_archE1030ELNS1_3gpuE2ELNS1_3repE0EEENS1_30default_config_static_selectorELNS0_4arch9wavefront6targetE1EEEvT1_,comdat
	.protected	_ZN7rocprim17ROCPRIM_400000_NS6detail17trampoline_kernelINS0_14default_configENS1_29reduce_by_key_config_selectorIijN6thrust23THRUST_200600_302600_NS4plusIjEEEEZZNS1_33reduce_by_key_impl_wrapped_configILNS1_25lookback_scan_determinismE0ES3_S9_NS6_6detail15normal_iteratorINS6_10device_ptrIiEEEENSD_INSE_IjEEEESG_SI_PmS8_NS6_8equal_toIiEEEE10hipError_tPvRmT2_T3_mT4_T5_T6_T7_T8_P12ihipStream_tbENKUlT_T0_E_clISt17integral_constantIbLb1EES13_EEDaSY_SZ_EUlSY_E_NS1_11comp_targetILNS1_3genE8ELNS1_11target_archE1030ELNS1_3gpuE2ELNS1_3repE0EEENS1_30default_config_static_selectorELNS0_4arch9wavefront6targetE1EEEvT1_ ; -- Begin function _ZN7rocprim17ROCPRIM_400000_NS6detail17trampoline_kernelINS0_14default_configENS1_29reduce_by_key_config_selectorIijN6thrust23THRUST_200600_302600_NS4plusIjEEEEZZNS1_33reduce_by_key_impl_wrapped_configILNS1_25lookback_scan_determinismE0ES3_S9_NS6_6detail15normal_iteratorINS6_10device_ptrIiEEEENSD_INSE_IjEEEESG_SI_PmS8_NS6_8equal_toIiEEEE10hipError_tPvRmT2_T3_mT4_T5_T6_T7_T8_P12ihipStream_tbENKUlT_T0_E_clISt17integral_constantIbLb1EES13_EEDaSY_SZ_EUlSY_E_NS1_11comp_targetILNS1_3genE8ELNS1_11target_archE1030ELNS1_3gpuE2ELNS1_3repE0EEENS1_30default_config_static_selectorELNS0_4arch9wavefront6targetE1EEEvT1_
	.globl	_ZN7rocprim17ROCPRIM_400000_NS6detail17trampoline_kernelINS0_14default_configENS1_29reduce_by_key_config_selectorIijN6thrust23THRUST_200600_302600_NS4plusIjEEEEZZNS1_33reduce_by_key_impl_wrapped_configILNS1_25lookback_scan_determinismE0ES3_S9_NS6_6detail15normal_iteratorINS6_10device_ptrIiEEEENSD_INSE_IjEEEESG_SI_PmS8_NS6_8equal_toIiEEEE10hipError_tPvRmT2_T3_mT4_T5_T6_T7_T8_P12ihipStream_tbENKUlT_T0_E_clISt17integral_constantIbLb1EES13_EEDaSY_SZ_EUlSY_E_NS1_11comp_targetILNS1_3genE8ELNS1_11target_archE1030ELNS1_3gpuE2ELNS1_3repE0EEENS1_30default_config_static_selectorELNS0_4arch9wavefront6targetE1EEEvT1_
	.p2align	8
	.type	_ZN7rocprim17ROCPRIM_400000_NS6detail17trampoline_kernelINS0_14default_configENS1_29reduce_by_key_config_selectorIijN6thrust23THRUST_200600_302600_NS4plusIjEEEEZZNS1_33reduce_by_key_impl_wrapped_configILNS1_25lookback_scan_determinismE0ES3_S9_NS6_6detail15normal_iteratorINS6_10device_ptrIiEEEENSD_INSE_IjEEEESG_SI_PmS8_NS6_8equal_toIiEEEE10hipError_tPvRmT2_T3_mT4_T5_T6_T7_T8_P12ihipStream_tbENKUlT_T0_E_clISt17integral_constantIbLb1EES13_EEDaSY_SZ_EUlSY_E_NS1_11comp_targetILNS1_3genE8ELNS1_11target_archE1030ELNS1_3gpuE2ELNS1_3repE0EEENS1_30default_config_static_selectorELNS0_4arch9wavefront6targetE1EEEvT1_,@function
_ZN7rocprim17ROCPRIM_400000_NS6detail17trampoline_kernelINS0_14default_configENS1_29reduce_by_key_config_selectorIijN6thrust23THRUST_200600_302600_NS4plusIjEEEEZZNS1_33reduce_by_key_impl_wrapped_configILNS1_25lookback_scan_determinismE0ES3_S9_NS6_6detail15normal_iteratorINS6_10device_ptrIiEEEENSD_INSE_IjEEEESG_SI_PmS8_NS6_8equal_toIiEEEE10hipError_tPvRmT2_T3_mT4_T5_T6_T7_T8_P12ihipStream_tbENKUlT_T0_E_clISt17integral_constantIbLb1EES13_EEDaSY_SZ_EUlSY_E_NS1_11comp_targetILNS1_3genE8ELNS1_11target_archE1030ELNS1_3gpuE2ELNS1_3repE0EEENS1_30default_config_static_selectorELNS0_4arch9wavefront6targetE1EEEvT1_: ; @_ZN7rocprim17ROCPRIM_400000_NS6detail17trampoline_kernelINS0_14default_configENS1_29reduce_by_key_config_selectorIijN6thrust23THRUST_200600_302600_NS4plusIjEEEEZZNS1_33reduce_by_key_impl_wrapped_configILNS1_25lookback_scan_determinismE0ES3_S9_NS6_6detail15normal_iteratorINS6_10device_ptrIiEEEENSD_INSE_IjEEEESG_SI_PmS8_NS6_8equal_toIiEEEE10hipError_tPvRmT2_T3_mT4_T5_T6_T7_T8_P12ihipStream_tbENKUlT_T0_E_clISt17integral_constantIbLb1EES13_EEDaSY_SZ_EUlSY_E_NS1_11comp_targetILNS1_3genE8ELNS1_11target_archE1030ELNS1_3gpuE2ELNS1_3repE0EEENS1_30default_config_static_selectorELNS0_4arch9wavefront6targetE1EEEvT1_
; %bb.0:
	.section	.rodata,"a",@progbits
	.p2align	6, 0x0
	.amdhsa_kernel _ZN7rocprim17ROCPRIM_400000_NS6detail17trampoline_kernelINS0_14default_configENS1_29reduce_by_key_config_selectorIijN6thrust23THRUST_200600_302600_NS4plusIjEEEEZZNS1_33reduce_by_key_impl_wrapped_configILNS1_25lookback_scan_determinismE0ES3_S9_NS6_6detail15normal_iteratorINS6_10device_ptrIiEEEENSD_INSE_IjEEEESG_SI_PmS8_NS6_8equal_toIiEEEE10hipError_tPvRmT2_T3_mT4_T5_T6_T7_T8_P12ihipStream_tbENKUlT_T0_E_clISt17integral_constantIbLb1EES13_EEDaSY_SZ_EUlSY_E_NS1_11comp_targetILNS1_3genE8ELNS1_11target_archE1030ELNS1_3gpuE2ELNS1_3repE0EEENS1_30default_config_static_selectorELNS0_4arch9wavefront6targetE1EEEvT1_
		.amdhsa_group_segment_fixed_size 0
		.amdhsa_private_segment_fixed_size 0
		.amdhsa_kernarg_size 120
		.amdhsa_user_sgpr_count 6
		.amdhsa_user_sgpr_private_segment_buffer 1
		.amdhsa_user_sgpr_dispatch_ptr 0
		.amdhsa_user_sgpr_queue_ptr 0
		.amdhsa_user_sgpr_kernarg_segment_ptr 1
		.amdhsa_user_sgpr_dispatch_id 0
		.amdhsa_user_sgpr_flat_scratch_init 0
		.amdhsa_user_sgpr_kernarg_preload_length 0
		.amdhsa_user_sgpr_kernarg_preload_offset 0
		.amdhsa_user_sgpr_private_segment_size 0
		.amdhsa_uses_dynamic_stack 0
		.amdhsa_system_sgpr_private_segment_wavefront_offset 0
		.amdhsa_system_sgpr_workgroup_id_x 1
		.amdhsa_system_sgpr_workgroup_id_y 0
		.amdhsa_system_sgpr_workgroup_id_z 0
		.amdhsa_system_sgpr_workgroup_info 0
		.amdhsa_system_vgpr_workitem_id 0
		.amdhsa_next_free_vgpr 1
		.amdhsa_next_free_sgpr 0
		.amdhsa_accum_offset 4
		.amdhsa_reserve_vcc 0
		.amdhsa_reserve_flat_scratch 0
		.amdhsa_float_round_mode_32 0
		.amdhsa_float_round_mode_16_64 0
		.amdhsa_float_denorm_mode_32 3
		.amdhsa_float_denorm_mode_16_64 3
		.amdhsa_dx10_clamp 1
		.amdhsa_ieee_mode 1
		.amdhsa_fp16_overflow 0
		.amdhsa_tg_split 0
		.amdhsa_exception_fp_ieee_invalid_op 0
		.amdhsa_exception_fp_denorm_src 0
		.amdhsa_exception_fp_ieee_div_zero 0
		.amdhsa_exception_fp_ieee_overflow 0
		.amdhsa_exception_fp_ieee_underflow 0
		.amdhsa_exception_fp_ieee_inexact 0
		.amdhsa_exception_int_div_zero 0
	.end_amdhsa_kernel
	.section	.text._ZN7rocprim17ROCPRIM_400000_NS6detail17trampoline_kernelINS0_14default_configENS1_29reduce_by_key_config_selectorIijN6thrust23THRUST_200600_302600_NS4plusIjEEEEZZNS1_33reduce_by_key_impl_wrapped_configILNS1_25lookback_scan_determinismE0ES3_S9_NS6_6detail15normal_iteratorINS6_10device_ptrIiEEEENSD_INSE_IjEEEESG_SI_PmS8_NS6_8equal_toIiEEEE10hipError_tPvRmT2_T3_mT4_T5_T6_T7_T8_P12ihipStream_tbENKUlT_T0_E_clISt17integral_constantIbLb1EES13_EEDaSY_SZ_EUlSY_E_NS1_11comp_targetILNS1_3genE8ELNS1_11target_archE1030ELNS1_3gpuE2ELNS1_3repE0EEENS1_30default_config_static_selectorELNS0_4arch9wavefront6targetE1EEEvT1_,"axG",@progbits,_ZN7rocprim17ROCPRIM_400000_NS6detail17trampoline_kernelINS0_14default_configENS1_29reduce_by_key_config_selectorIijN6thrust23THRUST_200600_302600_NS4plusIjEEEEZZNS1_33reduce_by_key_impl_wrapped_configILNS1_25lookback_scan_determinismE0ES3_S9_NS6_6detail15normal_iteratorINS6_10device_ptrIiEEEENSD_INSE_IjEEEESG_SI_PmS8_NS6_8equal_toIiEEEE10hipError_tPvRmT2_T3_mT4_T5_T6_T7_T8_P12ihipStream_tbENKUlT_T0_E_clISt17integral_constantIbLb1EES13_EEDaSY_SZ_EUlSY_E_NS1_11comp_targetILNS1_3genE8ELNS1_11target_archE1030ELNS1_3gpuE2ELNS1_3repE0EEENS1_30default_config_static_selectorELNS0_4arch9wavefront6targetE1EEEvT1_,comdat
.Lfunc_end822:
	.size	_ZN7rocprim17ROCPRIM_400000_NS6detail17trampoline_kernelINS0_14default_configENS1_29reduce_by_key_config_selectorIijN6thrust23THRUST_200600_302600_NS4plusIjEEEEZZNS1_33reduce_by_key_impl_wrapped_configILNS1_25lookback_scan_determinismE0ES3_S9_NS6_6detail15normal_iteratorINS6_10device_ptrIiEEEENSD_INSE_IjEEEESG_SI_PmS8_NS6_8equal_toIiEEEE10hipError_tPvRmT2_T3_mT4_T5_T6_T7_T8_P12ihipStream_tbENKUlT_T0_E_clISt17integral_constantIbLb1EES13_EEDaSY_SZ_EUlSY_E_NS1_11comp_targetILNS1_3genE8ELNS1_11target_archE1030ELNS1_3gpuE2ELNS1_3repE0EEENS1_30default_config_static_selectorELNS0_4arch9wavefront6targetE1EEEvT1_, .Lfunc_end822-_ZN7rocprim17ROCPRIM_400000_NS6detail17trampoline_kernelINS0_14default_configENS1_29reduce_by_key_config_selectorIijN6thrust23THRUST_200600_302600_NS4plusIjEEEEZZNS1_33reduce_by_key_impl_wrapped_configILNS1_25lookback_scan_determinismE0ES3_S9_NS6_6detail15normal_iteratorINS6_10device_ptrIiEEEENSD_INSE_IjEEEESG_SI_PmS8_NS6_8equal_toIiEEEE10hipError_tPvRmT2_T3_mT4_T5_T6_T7_T8_P12ihipStream_tbENKUlT_T0_E_clISt17integral_constantIbLb1EES13_EEDaSY_SZ_EUlSY_E_NS1_11comp_targetILNS1_3genE8ELNS1_11target_archE1030ELNS1_3gpuE2ELNS1_3repE0EEENS1_30default_config_static_selectorELNS0_4arch9wavefront6targetE1EEEvT1_
                                        ; -- End function
	.section	.AMDGPU.csdata,"",@progbits
; Kernel info:
; codeLenInByte = 0
; NumSgprs: 4
; NumVgprs: 0
; NumAgprs: 0
; TotalNumVgprs: 0
; ScratchSize: 0
; MemoryBound: 0
; FloatMode: 240
; IeeeMode: 1
; LDSByteSize: 0 bytes/workgroup (compile time only)
; SGPRBlocks: 0
; VGPRBlocks: 0
; NumSGPRsForWavesPerEU: 4
; NumVGPRsForWavesPerEU: 1
; AccumOffset: 4
; Occupancy: 8
; WaveLimiterHint : 0
; COMPUTE_PGM_RSRC2:SCRATCH_EN: 0
; COMPUTE_PGM_RSRC2:USER_SGPR: 6
; COMPUTE_PGM_RSRC2:TRAP_HANDLER: 0
; COMPUTE_PGM_RSRC2:TGID_X_EN: 1
; COMPUTE_PGM_RSRC2:TGID_Y_EN: 0
; COMPUTE_PGM_RSRC2:TGID_Z_EN: 0
; COMPUTE_PGM_RSRC2:TIDIG_COMP_CNT: 0
; COMPUTE_PGM_RSRC3_GFX90A:ACCUM_OFFSET: 0
; COMPUTE_PGM_RSRC3_GFX90A:TG_SPLIT: 0
	.section	.text._ZN7rocprim17ROCPRIM_400000_NS6detail17trampoline_kernelINS0_14default_configENS1_29reduce_by_key_config_selectorIijN6thrust23THRUST_200600_302600_NS4plusIjEEEEZZNS1_33reduce_by_key_impl_wrapped_configILNS1_25lookback_scan_determinismE0ES3_S9_NS6_6detail15normal_iteratorINS6_10device_ptrIiEEEENSD_INSE_IjEEEESG_SI_PmS8_NS6_8equal_toIiEEEE10hipError_tPvRmT2_T3_mT4_T5_T6_T7_T8_P12ihipStream_tbENKUlT_T0_E_clISt17integral_constantIbLb1EES12_IbLb0EEEEDaSY_SZ_EUlSY_E_NS1_11comp_targetILNS1_3genE0ELNS1_11target_archE4294967295ELNS1_3gpuE0ELNS1_3repE0EEENS1_30default_config_static_selectorELNS0_4arch9wavefront6targetE1EEEvT1_,"axG",@progbits,_ZN7rocprim17ROCPRIM_400000_NS6detail17trampoline_kernelINS0_14default_configENS1_29reduce_by_key_config_selectorIijN6thrust23THRUST_200600_302600_NS4plusIjEEEEZZNS1_33reduce_by_key_impl_wrapped_configILNS1_25lookback_scan_determinismE0ES3_S9_NS6_6detail15normal_iteratorINS6_10device_ptrIiEEEENSD_INSE_IjEEEESG_SI_PmS8_NS6_8equal_toIiEEEE10hipError_tPvRmT2_T3_mT4_T5_T6_T7_T8_P12ihipStream_tbENKUlT_T0_E_clISt17integral_constantIbLb1EES12_IbLb0EEEEDaSY_SZ_EUlSY_E_NS1_11comp_targetILNS1_3genE0ELNS1_11target_archE4294967295ELNS1_3gpuE0ELNS1_3repE0EEENS1_30default_config_static_selectorELNS0_4arch9wavefront6targetE1EEEvT1_,comdat
	.protected	_ZN7rocprim17ROCPRIM_400000_NS6detail17trampoline_kernelINS0_14default_configENS1_29reduce_by_key_config_selectorIijN6thrust23THRUST_200600_302600_NS4plusIjEEEEZZNS1_33reduce_by_key_impl_wrapped_configILNS1_25lookback_scan_determinismE0ES3_S9_NS6_6detail15normal_iteratorINS6_10device_ptrIiEEEENSD_INSE_IjEEEESG_SI_PmS8_NS6_8equal_toIiEEEE10hipError_tPvRmT2_T3_mT4_T5_T6_T7_T8_P12ihipStream_tbENKUlT_T0_E_clISt17integral_constantIbLb1EES12_IbLb0EEEEDaSY_SZ_EUlSY_E_NS1_11comp_targetILNS1_3genE0ELNS1_11target_archE4294967295ELNS1_3gpuE0ELNS1_3repE0EEENS1_30default_config_static_selectorELNS0_4arch9wavefront6targetE1EEEvT1_ ; -- Begin function _ZN7rocprim17ROCPRIM_400000_NS6detail17trampoline_kernelINS0_14default_configENS1_29reduce_by_key_config_selectorIijN6thrust23THRUST_200600_302600_NS4plusIjEEEEZZNS1_33reduce_by_key_impl_wrapped_configILNS1_25lookback_scan_determinismE0ES3_S9_NS6_6detail15normal_iteratorINS6_10device_ptrIiEEEENSD_INSE_IjEEEESG_SI_PmS8_NS6_8equal_toIiEEEE10hipError_tPvRmT2_T3_mT4_T5_T6_T7_T8_P12ihipStream_tbENKUlT_T0_E_clISt17integral_constantIbLb1EES12_IbLb0EEEEDaSY_SZ_EUlSY_E_NS1_11comp_targetILNS1_3genE0ELNS1_11target_archE4294967295ELNS1_3gpuE0ELNS1_3repE0EEENS1_30default_config_static_selectorELNS0_4arch9wavefront6targetE1EEEvT1_
	.globl	_ZN7rocprim17ROCPRIM_400000_NS6detail17trampoline_kernelINS0_14default_configENS1_29reduce_by_key_config_selectorIijN6thrust23THRUST_200600_302600_NS4plusIjEEEEZZNS1_33reduce_by_key_impl_wrapped_configILNS1_25lookback_scan_determinismE0ES3_S9_NS6_6detail15normal_iteratorINS6_10device_ptrIiEEEENSD_INSE_IjEEEESG_SI_PmS8_NS6_8equal_toIiEEEE10hipError_tPvRmT2_T3_mT4_T5_T6_T7_T8_P12ihipStream_tbENKUlT_T0_E_clISt17integral_constantIbLb1EES12_IbLb0EEEEDaSY_SZ_EUlSY_E_NS1_11comp_targetILNS1_3genE0ELNS1_11target_archE4294967295ELNS1_3gpuE0ELNS1_3repE0EEENS1_30default_config_static_selectorELNS0_4arch9wavefront6targetE1EEEvT1_
	.p2align	8
	.type	_ZN7rocprim17ROCPRIM_400000_NS6detail17trampoline_kernelINS0_14default_configENS1_29reduce_by_key_config_selectorIijN6thrust23THRUST_200600_302600_NS4plusIjEEEEZZNS1_33reduce_by_key_impl_wrapped_configILNS1_25lookback_scan_determinismE0ES3_S9_NS6_6detail15normal_iteratorINS6_10device_ptrIiEEEENSD_INSE_IjEEEESG_SI_PmS8_NS6_8equal_toIiEEEE10hipError_tPvRmT2_T3_mT4_T5_T6_T7_T8_P12ihipStream_tbENKUlT_T0_E_clISt17integral_constantIbLb1EES12_IbLb0EEEEDaSY_SZ_EUlSY_E_NS1_11comp_targetILNS1_3genE0ELNS1_11target_archE4294967295ELNS1_3gpuE0ELNS1_3repE0EEENS1_30default_config_static_selectorELNS0_4arch9wavefront6targetE1EEEvT1_,@function
_ZN7rocprim17ROCPRIM_400000_NS6detail17trampoline_kernelINS0_14default_configENS1_29reduce_by_key_config_selectorIijN6thrust23THRUST_200600_302600_NS4plusIjEEEEZZNS1_33reduce_by_key_impl_wrapped_configILNS1_25lookback_scan_determinismE0ES3_S9_NS6_6detail15normal_iteratorINS6_10device_ptrIiEEEENSD_INSE_IjEEEESG_SI_PmS8_NS6_8equal_toIiEEEE10hipError_tPvRmT2_T3_mT4_T5_T6_T7_T8_P12ihipStream_tbENKUlT_T0_E_clISt17integral_constantIbLb1EES12_IbLb0EEEEDaSY_SZ_EUlSY_E_NS1_11comp_targetILNS1_3genE0ELNS1_11target_archE4294967295ELNS1_3gpuE0ELNS1_3repE0EEENS1_30default_config_static_selectorELNS0_4arch9wavefront6targetE1EEEvT1_: ; @_ZN7rocprim17ROCPRIM_400000_NS6detail17trampoline_kernelINS0_14default_configENS1_29reduce_by_key_config_selectorIijN6thrust23THRUST_200600_302600_NS4plusIjEEEEZZNS1_33reduce_by_key_impl_wrapped_configILNS1_25lookback_scan_determinismE0ES3_S9_NS6_6detail15normal_iteratorINS6_10device_ptrIiEEEENSD_INSE_IjEEEESG_SI_PmS8_NS6_8equal_toIiEEEE10hipError_tPvRmT2_T3_mT4_T5_T6_T7_T8_P12ihipStream_tbENKUlT_T0_E_clISt17integral_constantIbLb1EES12_IbLb0EEEEDaSY_SZ_EUlSY_E_NS1_11comp_targetILNS1_3genE0ELNS1_11target_archE4294967295ELNS1_3gpuE0ELNS1_3repE0EEENS1_30default_config_static_selectorELNS0_4arch9wavefront6targetE1EEEvT1_
; %bb.0:
	.section	.rodata,"a",@progbits
	.p2align	6, 0x0
	.amdhsa_kernel _ZN7rocprim17ROCPRIM_400000_NS6detail17trampoline_kernelINS0_14default_configENS1_29reduce_by_key_config_selectorIijN6thrust23THRUST_200600_302600_NS4plusIjEEEEZZNS1_33reduce_by_key_impl_wrapped_configILNS1_25lookback_scan_determinismE0ES3_S9_NS6_6detail15normal_iteratorINS6_10device_ptrIiEEEENSD_INSE_IjEEEESG_SI_PmS8_NS6_8equal_toIiEEEE10hipError_tPvRmT2_T3_mT4_T5_T6_T7_T8_P12ihipStream_tbENKUlT_T0_E_clISt17integral_constantIbLb1EES12_IbLb0EEEEDaSY_SZ_EUlSY_E_NS1_11comp_targetILNS1_3genE0ELNS1_11target_archE4294967295ELNS1_3gpuE0ELNS1_3repE0EEENS1_30default_config_static_selectorELNS0_4arch9wavefront6targetE1EEEvT1_
		.amdhsa_group_segment_fixed_size 0
		.amdhsa_private_segment_fixed_size 0
		.amdhsa_kernarg_size 120
		.amdhsa_user_sgpr_count 6
		.amdhsa_user_sgpr_private_segment_buffer 1
		.amdhsa_user_sgpr_dispatch_ptr 0
		.amdhsa_user_sgpr_queue_ptr 0
		.amdhsa_user_sgpr_kernarg_segment_ptr 1
		.amdhsa_user_sgpr_dispatch_id 0
		.amdhsa_user_sgpr_flat_scratch_init 0
		.amdhsa_user_sgpr_kernarg_preload_length 0
		.amdhsa_user_sgpr_kernarg_preload_offset 0
		.amdhsa_user_sgpr_private_segment_size 0
		.amdhsa_uses_dynamic_stack 0
		.amdhsa_system_sgpr_private_segment_wavefront_offset 0
		.amdhsa_system_sgpr_workgroup_id_x 1
		.amdhsa_system_sgpr_workgroup_id_y 0
		.amdhsa_system_sgpr_workgroup_id_z 0
		.amdhsa_system_sgpr_workgroup_info 0
		.amdhsa_system_vgpr_workitem_id 0
		.amdhsa_next_free_vgpr 1
		.amdhsa_next_free_sgpr 0
		.amdhsa_accum_offset 4
		.amdhsa_reserve_vcc 0
		.amdhsa_reserve_flat_scratch 0
		.amdhsa_float_round_mode_32 0
		.amdhsa_float_round_mode_16_64 0
		.amdhsa_float_denorm_mode_32 3
		.amdhsa_float_denorm_mode_16_64 3
		.amdhsa_dx10_clamp 1
		.amdhsa_ieee_mode 1
		.amdhsa_fp16_overflow 0
		.amdhsa_tg_split 0
		.amdhsa_exception_fp_ieee_invalid_op 0
		.amdhsa_exception_fp_denorm_src 0
		.amdhsa_exception_fp_ieee_div_zero 0
		.amdhsa_exception_fp_ieee_overflow 0
		.amdhsa_exception_fp_ieee_underflow 0
		.amdhsa_exception_fp_ieee_inexact 0
		.amdhsa_exception_int_div_zero 0
	.end_amdhsa_kernel
	.section	.text._ZN7rocprim17ROCPRIM_400000_NS6detail17trampoline_kernelINS0_14default_configENS1_29reduce_by_key_config_selectorIijN6thrust23THRUST_200600_302600_NS4plusIjEEEEZZNS1_33reduce_by_key_impl_wrapped_configILNS1_25lookback_scan_determinismE0ES3_S9_NS6_6detail15normal_iteratorINS6_10device_ptrIiEEEENSD_INSE_IjEEEESG_SI_PmS8_NS6_8equal_toIiEEEE10hipError_tPvRmT2_T3_mT4_T5_T6_T7_T8_P12ihipStream_tbENKUlT_T0_E_clISt17integral_constantIbLb1EES12_IbLb0EEEEDaSY_SZ_EUlSY_E_NS1_11comp_targetILNS1_3genE0ELNS1_11target_archE4294967295ELNS1_3gpuE0ELNS1_3repE0EEENS1_30default_config_static_selectorELNS0_4arch9wavefront6targetE1EEEvT1_,"axG",@progbits,_ZN7rocprim17ROCPRIM_400000_NS6detail17trampoline_kernelINS0_14default_configENS1_29reduce_by_key_config_selectorIijN6thrust23THRUST_200600_302600_NS4plusIjEEEEZZNS1_33reduce_by_key_impl_wrapped_configILNS1_25lookback_scan_determinismE0ES3_S9_NS6_6detail15normal_iteratorINS6_10device_ptrIiEEEENSD_INSE_IjEEEESG_SI_PmS8_NS6_8equal_toIiEEEE10hipError_tPvRmT2_T3_mT4_T5_T6_T7_T8_P12ihipStream_tbENKUlT_T0_E_clISt17integral_constantIbLb1EES12_IbLb0EEEEDaSY_SZ_EUlSY_E_NS1_11comp_targetILNS1_3genE0ELNS1_11target_archE4294967295ELNS1_3gpuE0ELNS1_3repE0EEENS1_30default_config_static_selectorELNS0_4arch9wavefront6targetE1EEEvT1_,comdat
.Lfunc_end823:
	.size	_ZN7rocprim17ROCPRIM_400000_NS6detail17trampoline_kernelINS0_14default_configENS1_29reduce_by_key_config_selectorIijN6thrust23THRUST_200600_302600_NS4plusIjEEEEZZNS1_33reduce_by_key_impl_wrapped_configILNS1_25lookback_scan_determinismE0ES3_S9_NS6_6detail15normal_iteratorINS6_10device_ptrIiEEEENSD_INSE_IjEEEESG_SI_PmS8_NS6_8equal_toIiEEEE10hipError_tPvRmT2_T3_mT4_T5_T6_T7_T8_P12ihipStream_tbENKUlT_T0_E_clISt17integral_constantIbLb1EES12_IbLb0EEEEDaSY_SZ_EUlSY_E_NS1_11comp_targetILNS1_3genE0ELNS1_11target_archE4294967295ELNS1_3gpuE0ELNS1_3repE0EEENS1_30default_config_static_selectorELNS0_4arch9wavefront6targetE1EEEvT1_, .Lfunc_end823-_ZN7rocprim17ROCPRIM_400000_NS6detail17trampoline_kernelINS0_14default_configENS1_29reduce_by_key_config_selectorIijN6thrust23THRUST_200600_302600_NS4plusIjEEEEZZNS1_33reduce_by_key_impl_wrapped_configILNS1_25lookback_scan_determinismE0ES3_S9_NS6_6detail15normal_iteratorINS6_10device_ptrIiEEEENSD_INSE_IjEEEESG_SI_PmS8_NS6_8equal_toIiEEEE10hipError_tPvRmT2_T3_mT4_T5_T6_T7_T8_P12ihipStream_tbENKUlT_T0_E_clISt17integral_constantIbLb1EES12_IbLb0EEEEDaSY_SZ_EUlSY_E_NS1_11comp_targetILNS1_3genE0ELNS1_11target_archE4294967295ELNS1_3gpuE0ELNS1_3repE0EEENS1_30default_config_static_selectorELNS0_4arch9wavefront6targetE1EEEvT1_
                                        ; -- End function
	.section	.AMDGPU.csdata,"",@progbits
; Kernel info:
; codeLenInByte = 0
; NumSgprs: 4
; NumVgprs: 0
; NumAgprs: 0
; TotalNumVgprs: 0
; ScratchSize: 0
; MemoryBound: 0
; FloatMode: 240
; IeeeMode: 1
; LDSByteSize: 0 bytes/workgroup (compile time only)
; SGPRBlocks: 0
; VGPRBlocks: 0
; NumSGPRsForWavesPerEU: 4
; NumVGPRsForWavesPerEU: 1
; AccumOffset: 4
; Occupancy: 8
; WaveLimiterHint : 0
; COMPUTE_PGM_RSRC2:SCRATCH_EN: 0
; COMPUTE_PGM_RSRC2:USER_SGPR: 6
; COMPUTE_PGM_RSRC2:TRAP_HANDLER: 0
; COMPUTE_PGM_RSRC2:TGID_X_EN: 1
; COMPUTE_PGM_RSRC2:TGID_Y_EN: 0
; COMPUTE_PGM_RSRC2:TGID_Z_EN: 0
; COMPUTE_PGM_RSRC2:TIDIG_COMP_CNT: 0
; COMPUTE_PGM_RSRC3_GFX90A:ACCUM_OFFSET: 0
; COMPUTE_PGM_RSRC3_GFX90A:TG_SPLIT: 0
	.section	.text._ZN7rocprim17ROCPRIM_400000_NS6detail17trampoline_kernelINS0_14default_configENS1_29reduce_by_key_config_selectorIijN6thrust23THRUST_200600_302600_NS4plusIjEEEEZZNS1_33reduce_by_key_impl_wrapped_configILNS1_25lookback_scan_determinismE0ES3_S9_NS6_6detail15normal_iteratorINS6_10device_ptrIiEEEENSD_INSE_IjEEEESG_SI_PmS8_NS6_8equal_toIiEEEE10hipError_tPvRmT2_T3_mT4_T5_T6_T7_T8_P12ihipStream_tbENKUlT_T0_E_clISt17integral_constantIbLb1EES12_IbLb0EEEEDaSY_SZ_EUlSY_E_NS1_11comp_targetILNS1_3genE5ELNS1_11target_archE942ELNS1_3gpuE9ELNS1_3repE0EEENS1_30default_config_static_selectorELNS0_4arch9wavefront6targetE1EEEvT1_,"axG",@progbits,_ZN7rocprim17ROCPRIM_400000_NS6detail17trampoline_kernelINS0_14default_configENS1_29reduce_by_key_config_selectorIijN6thrust23THRUST_200600_302600_NS4plusIjEEEEZZNS1_33reduce_by_key_impl_wrapped_configILNS1_25lookback_scan_determinismE0ES3_S9_NS6_6detail15normal_iteratorINS6_10device_ptrIiEEEENSD_INSE_IjEEEESG_SI_PmS8_NS6_8equal_toIiEEEE10hipError_tPvRmT2_T3_mT4_T5_T6_T7_T8_P12ihipStream_tbENKUlT_T0_E_clISt17integral_constantIbLb1EES12_IbLb0EEEEDaSY_SZ_EUlSY_E_NS1_11comp_targetILNS1_3genE5ELNS1_11target_archE942ELNS1_3gpuE9ELNS1_3repE0EEENS1_30default_config_static_selectorELNS0_4arch9wavefront6targetE1EEEvT1_,comdat
	.protected	_ZN7rocprim17ROCPRIM_400000_NS6detail17trampoline_kernelINS0_14default_configENS1_29reduce_by_key_config_selectorIijN6thrust23THRUST_200600_302600_NS4plusIjEEEEZZNS1_33reduce_by_key_impl_wrapped_configILNS1_25lookback_scan_determinismE0ES3_S9_NS6_6detail15normal_iteratorINS6_10device_ptrIiEEEENSD_INSE_IjEEEESG_SI_PmS8_NS6_8equal_toIiEEEE10hipError_tPvRmT2_T3_mT4_T5_T6_T7_T8_P12ihipStream_tbENKUlT_T0_E_clISt17integral_constantIbLb1EES12_IbLb0EEEEDaSY_SZ_EUlSY_E_NS1_11comp_targetILNS1_3genE5ELNS1_11target_archE942ELNS1_3gpuE9ELNS1_3repE0EEENS1_30default_config_static_selectorELNS0_4arch9wavefront6targetE1EEEvT1_ ; -- Begin function _ZN7rocprim17ROCPRIM_400000_NS6detail17trampoline_kernelINS0_14default_configENS1_29reduce_by_key_config_selectorIijN6thrust23THRUST_200600_302600_NS4plusIjEEEEZZNS1_33reduce_by_key_impl_wrapped_configILNS1_25lookback_scan_determinismE0ES3_S9_NS6_6detail15normal_iteratorINS6_10device_ptrIiEEEENSD_INSE_IjEEEESG_SI_PmS8_NS6_8equal_toIiEEEE10hipError_tPvRmT2_T3_mT4_T5_T6_T7_T8_P12ihipStream_tbENKUlT_T0_E_clISt17integral_constantIbLb1EES12_IbLb0EEEEDaSY_SZ_EUlSY_E_NS1_11comp_targetILNS1_3genE5ELNS1_11target_archE942ELNS1_3gpuE9ELNS1_3repE0EEENS1_30default_config_static_selectorELNS0_4arch9wavefront6targetE1EEEvT1_
	.globl	_ZN7rocprim17ROCPRIM_400000_NS6detail17trampoline_kernelINS0_14default_configENS1_29reduce_by_key_config_selectorIijN6thrust23THRUST_200600_302600_NS4plusIjEEEEZZNS1_33reduce_by_key_impl_wrapped_configILNS1_25lookback_scan_determinismE0ES3_S9_NS6_6detail15normal_iteratorINS6_10device_ptrIiEEEENSD_INSE_IjEEEESG_SI_PmS8_NS6_8equal_toIiEEEE10hipError_tPvRmT2_T3_mT4_T5_T6_T7_T8_P12ihipStream_tbENKUlT_T0_E_clISt17integral_constantIbLb1EES12_IbLb0EEEEDaSY_SZ_EUlSY_E_NS1_11comp_targetILNS1_3genE5ELNS1_11target_archE942ELNS1_3gpuE9ELNS1_3repE0EEENS1_30default_config_static_selectorELNS0_4arch9wavefront6targetE1EEEvT1_
	.p2align	8
	.type	_ZN7rocprim17ROCPRIM_400000_NS6detail17trampoline_kernelINS0_14default_configENS1_29reduce_by_key_config_selectorIijN6thrust23THRUST_200600_302600_NS4plusIjEEEEZZNS1_33reduce_by_key_impl_wrapped_configILNS1_25lookback_scan_determinismE0ES3_S9_NS6_6detail15normal_iteratorINS6_10device_ptrIiEEEENSD_INSE_IjEEEESG_SI_PmS8_NS6_8equal_toIiEEEE10hipError_tPvRmT2_T3_mT4_T5_T6_T7_T8_P12ihipStream_tbENKUlT_T0_E_clISt17integral_constantIbLb1EES12_IbLb0EEEEDaSY_SZ_EUlSY_E_NS1_11comp_targetILNS1_3genE5ELNS1_11target_archE942ELNS1_3gpuE9ELNS1_3repE0EEENS1_30default_config_static_selectorELNS0_4arch9wavefront6targetE1EEEvT1_,@function
_ZN7rocprim17ROCPRIM_400000_NS6detail17trampoline_kernelINS0_14default_configENS1_29reduce_by_key_config_selectorIijN6thrust23THRUST_200600_302600_NS4plusIjEEEEZZNS1_33reduce_by_key_impl_wrapped_configILNS1_25lookback_scan_determinismE0ES3_S9_NS6_6detail15normal_iteratorINS6_10device_ptrIiEEEENSD_INSE_IjEEEESG_SI_PmS8_NS6_8equal_toIiEEEE10hipError_tPvRmT2_T3_mT4_T5_T6_T7_T8_P12ihipStream_tbENKUlT_T0_E_clISt17integral_constantIbLb1EES12_IbLb0EEEEDaSY_SZ_EUlSY_E_NS1_11comp_targetILNS1_3genE5ELNS1_11target_archE942ELNS1_3gpuE9ELNS1_3repE0EEENS1_30default_config_static_selectorELNS0_4arch9wavefront6targetE1EEEvT1_: ; @_ZN7rocprim17ROCPRIM_400000_NS6detail17trampoline_kernelINS0_14default_configENS1_29reduce_by_key_config_selectorIijN6thrust23THRUST_200600_302600_NS4plusIjEEEEZZNS1_33reduce_by_key_impl_wrapped_configILNS1_25lookback_scan_determinismE0ES3_S9_NS6_6detail15normal_iteratorINS6_10device_ptrIiEEEENSD_INSE_IjEEEESG_SI_PmS8_NS6_8equal_toIiEEEE10hipError_tPvRmT2_T3_mT4_T5_T6_T7_T8_P12ihipStream_tbENKUlT_T0_E_clISt17integral_constantIbLb1EES12_IbLb0EEEEDaSY_SZ_EUlSY_E_NS1_11comp_targetILNS1_3genE5ELNS1_11target_archE942ELNS1_3gpuE9ELNS1_3repE0EEENS1_30default_config_static_selectorELNS0_4arch9wavefront6targetE1EEEvT1_
; %bb.0:
	.section	.rodata,"a",@progbits
	.p2align	6, 0x0
	.amdhsa_kernel _ZN7rocprim17ROCPRIM_400000_NS6detail17trampoline_kernelINS0_14default_configENS1_29reduce_by_key_config_selectorIijN6thrust23THRUST_200600_302600_NS4plusIjEEEEZZNS1_33reduce_by_key_impl_wrapped_configILNS1_25lookback_scan_determinismE0ES3_S9_NS6_6detail15normal_iteratorINS6_10device_ptrIiEEEENSD_INSE_IjEEEESG_SI_PmS8_NS6_8equal_toIiEEEE10hipError_tPvRmT2_T3_mT4_T5_T6_T7_T8_P12ihipStream_tbENKUlT_T0_E_clISt17integral_constantIbLb1EES12_IbLb0EEEEDaSY_SZ_EUlSY_E_NS1_11comp_targetILNS1_3genE5ELNS1_11target_archE942ELNS1_3gpuE9ELNS1_3repE0EEENS1_30default_config_static_selectorELNS0_4arch9wavefront6targetE1EEEvT1_
		.amdhsa_group_segment_fixed_size 0
		.amdhsa_private_segment_fixed_size 0
		.amdhsa_kernarg_size 120
		.amdhsa_user_sgpr_count 6
		.amdhsa_user_sgpr_private_segment_buffer 1
		.amdhsa_user_sgpr_dispatch_ptr 0
		.amdhsa_user_sgpr_queue_ptr 0
		.amdhsa_user_sgpr_kernarg_segment_ptr 1
		.amdhsa_user_sgpr_dispatch_id 0
		.amdhsa_user_sgpr_flat_scratch_init 0
		.amdhsa_user_sgpr_kernarg_preload_length 0
		.amdhsa_user_sgpr_kernarg_preload_offset 0
		.amdhsa_user_sgpr_private_segment_size 0
		.amdhsa_uses_dynamic_stack 0
		.amdhsa_system_sgpr_private_segment_wavefront_offset 0
		.amdhsa_system_sgpr_workgroup_id_x 1
		.amdhsa_system_sgpr_workgroup_id_y 0
		.amdhsa_system_sgpr_workgroup_id_z 0
		.amdhsa_system_sgpr_workgroup_info 0
		.amdhsa_system_vgpr_workitem_id 0
		.amdhsa_next_free_vgpr 1
		.amdhsa_next_free_sgpr 0
		.amdhsa_accum_offset 4
		.amdhsa_reserve_vcc 0
		.amdhsa_reserve_flat_scratch 0
		.amdhsa_float_round_mode_32 0
		.amdhsa_float_round_mode_16_64 0
		.amdhsa_float_denorm_mode_32 3
		.amdhsa_float_denorm_mode_16_64 3
		.amdhsa_dx10_clamp 1
		.amdhsa_ieee_mode 1
		.amdhsa_fp16_overflow 0
		.amdhsa_tg_split 0
		.amdhsa_exception_fp_ieee_invalid_op 0
		.amdhsa_exception_fp_denorm_src 0
		.amdhsa_exception_fp_ieee_div_zero 0
		.amdhsa_exception_fp_ieee_overflow 0
		.amdhsa_exception_fp_ieee_underflow 0
		.amdhsa_exception_fp_ieee_inexact 0
		.amdhsa_exception_int_div_zero 0
	.end_amdhsa_kernel
	.section	.text._ZN7rocprim17ROCPRIM_400000_NS6detail17trampoline_kernelINS0_14default_configENS1_29reduce_by_key_config_selectorIijN6thrust23THRUST_200600_302600_NS4plusIjEEEEZZNS1_33reduce_by_key_impl_wrapped_configILNS1_25lookback_scan_determinismE0ES3_S9_NS6_6detail15normal_iteratorINS6_10device_ptrIiEEEENSD_INSE_IjEEEESG_SI_PmS8_NS6_8equal_toIiEEEE10hipError_tPvRmT2_T3_mT4_T5_T6_T7_T8_P12ihipStream_tbENKUlT_T0_E_clISt17integral_constantIbLb1EES12_IbLb0EEEEDaSY_SZ_EUlSY_E_NS1_11comp_targetILNS1_3genE5ELNS1_11target_archE942ELNS1_3gpuE9ELNS1_3repE0EEENS1_30default_config_static_selectorELNS0_4arch9wavefront6targetE1EEEvT1_,"axG",@progbits,_ZN7rocprim17ROCPRIM_400000_NS6detail17trampoline_kernelINS0_14default_configENS1_29reduce_by_key_config_selectorIijN6thrust23THRUST_200600_302600_NS4plusIjEEEEZZNS1_33reduce_by_key_impl_wrapped_configILNS1_25lookback_scan_determinismE0ES3_S9_NS6_6detail15normal_iteratorINS6_10device_ptrIiEEEENSD_INSE_IjEEEESG_SI_PmS8_NS6_8equal_toIiEEEE10hipError_tPvRmT2_T3_mT4_T5_T6_T7_T8_P12ihipStream_tbENKUlT_T0_E_clISt17integral_constantIbLb1EES12_IbLb0EEEEDaSY_SZ_EUlSY_E_NS1_11comp_targetILNS1_3genE5ELNS1_11target_archE942ELNS1_3gpuE9ELNS1_3repE0EEENS1_30default_config_static_selectorELNS0_4arch9wavefront6targetE1EEEvT1_,comdat
.Lfunc_end824:
	.size	_ZN7rocprim17ROCPRIM_400000_NS6detail17trampoline_kernelINS0_14default_configENS1_29reduce_by_key_config_selectorIijN6thrust23THRUST_200600_302600_NS4plusIjEEEEZZNS1_33reduce_by_key_impl_wrapped_configILNS1_25lookback_scan_determinismE0ES3_S9_NS6_6detail15normal_iteratorINS6_10device_ptrIiEEEENSD_INSE_IjEEEESG_SI_PmS8_NS6_8equal_toIiEEEE10hipError_tPvRmT2_T3_mT4_T5_T6_T7_T8_P12ihipStream_tbENKUlT_T0_E_clISt17integral_constantIbLb1EES12_IbLb0EEEEDaSY_SZ_EUlSY_E_NS1_11comp_targetILNS1_3genE5ELNS1_11target_archE942ELNS1_3gpuE9ELNS1_3repE0EEENS1_30default_config_static_selectorELNS0_4arch9wavefront6targetE1EEEvT1_, .Lfunc_end824-_ZN7rocprim17ROCPRIM_400000_NS6detail17trampoline_kernelINS0_14default_configENS1_29reduce_by_key_config_selectorIijN6thrust23THRUST_200600_302600_NS4plusIjEEEEZZNS1_33reduce_by_key_impl_wrapped_configILNS1_25lookback_scan_determinismE0ES3_S9_NS6_6detail15normal_iteratorINS6_10device_ptrIiEEEENSD_INSE_IjEEEESG_SI_PmS8_NS6_8equal_toIiEEEE10hipError_tPvRmT2_T3_mT4_T5_T6_T7_T8_P12ihipStream_tbENKUlT_T0_E_clISt17integral_constantIbLb1EES12_IbLb0EEEEDaSY_SZ_EUlSY_E_NS1_11comp_targetILNS1_3genE5ELNS1_11target_archE942ELNS1_3gpuE9ELNS1_3repE0EEENS1_30default_config_static_selectorELNS0_4arch9wavefront6targetE1EEEvT1_
                                        ; -- End function
	.section	.AMDGPU.csdata,"",@progbits
; Kernel info:
; codeLenInByte = 0
; NumSgprs: 4
; NumVgprs: 0
; NumAgprs: 0
; TotalNumVgprs: 0
; ScratchSize: 0
; MemoryBound: 0
; FloatMode: 240
; IeeeMode: 1
; LDSByteSize: 0 bytes/workgroup (compile time only)
; SGPRBlocks: 0
; VGPRBlocks: 0
; NumSGPRsForWavesPerEU: 4
; NumVGPRsForWavesPerEU: 1
; AccumOffset: 4
; Occupancy: 8
; WaveLimiterHint : 0
; COMPUTE_PGM_RSRC2:SCRATCH_EN: 0
; COMPUTE_PGM_RSRC2:USER_SGPR: 6
; COMPUTE_PGM_RSRC2:TRAP_HANDLER: 0
; COMPUTE_PGM_RSRC2:TGID_X_EN: 1
; COMPUTE_PGM_RSRC2:TGID_Y_EN: 0
; COMPUTE_PGM_RSRC2:TGID_Z_EN: 0
; COMPUTE_PGM_RSRC2:TIDIG_COMP_CNT: 0
; COMPUTE_PGM_RSRC3_GFX90A:ACCUM_OFFSET: 0
; COMPUTE_PGM_RSRC3_GFX90A:TG_SPLIT: 0
	.section	.text._ZN7rocprim17ROCPRIM_400000_NS6detail17trampoline_kernelINS0_14default_configENS1_29reduce_by_key_config_selectorIijN6thrust23THRUST_200600_302600_NS4plusIjEEEEZZNS1_33reduce_by_key_impl_wrapped_configILNS1_25lookback_scan_determinismE0ES3_S9_NS6_6detail15normal_iteratorINS6_10device_ptrIiEEEENSD_INSE_IjEEEESG_SI_PmS8_NS6_8equal_toIiEEEE10hipError_tPvRmT2_T3_mT4_T5_T6_T7_T8_P12ihipStream_tbENKUlT_T0_E_clISt17integral_constantIbLb1EES12_IbLb0EEEEDaSY_SZ_EUlSY_E_NS1_11comp_targetILNS1_3genE4ELNS1_11target_archE910ELNS1_3gpuE8ELNS1_3repE0EEENS1_30default_config_static_selectorELNS0_4arch9wavefront6targetE1EEEvT1_,"axG",@progbits,_ZN7rocprim17ROCPRIM_400000_NS6detail17trampoline_kernelINS0_14default_configENS1_29reduce_by_key_config_selectorIijN6thrust23THRUST_200600_302600_NS4plusIjEEEEZZNS1_33reduce_by_key_impl_wrapped_configILNS1_25lookback_scan_determinismE0ES3_S9_NS6_6detail15normal_iteratorINS6_10device_ptrIiEEEENSD_INSE_IjEEEESG_SI_PmS8_NS6_8equal_toIiEEEE10hipError_tPvRmT2_T3_mT4_T5_T6_T7_T8_P12ihipStream_tbENKUlT_T0_E_clISt17integral_constantIbLb1EES12_IbLb0EEEEDaSY_SZ_EUlSY_E_NS1_11comp_targetILNS1_3genE4ELNS1_11target_archE910ELNS1_3gpuE8ELNS1_3repE0EEENS1_30default_config_static_selectorELNS0_4arch9wavefront6targetE1EEEvT1_,comdat
	.protected	_ZN7rocprim17ROCPRIM_400000_NS6detail17trampoline_kernelINS0_14default_configENS1_29reduce_by_key_config_selectorIijN6thrust23THRUST_200600_302600_NS4plusIjEEEEZZNS1_33reduce_by_key_impl_wrapped_configILNS1_25lookback_scan_determinismE0ES3_S9_NS6_6detail15normal_iteratorINS6_10device_ptrIiEEEENSD_INSE_IjEEEESG_SI_PmS8_NS6_8equal_toIiEEEE10hipError_tPvRmT2_T3_mT4_T5_T6_T7_T8_P12ihipStream_tbENKUlT_T0_E_clISt17integral_constantIbLb1EES12_IbLb0EEEEDaSY_SZ_EUlSY_E_NS1_11comp_targetILNS1_3genE4ELNS1_11target_archE910ELNS1_3gpuE8ELNS1_3repE0EEENS1_30default_config_static_selectorELNS0_4arch9wavefront6targetE1EEEvT1_ ; -- Begin function _ZN7rocprim17ROCPRIM_400000_NS6detail17trampoline_kernelINS0_14default_configENS1_29reduce_by_key_config_selectorIijN6thrust23THRUST_200600_302600_NS4plusIjEEEEZZNS1_33reduce_by_key_impl_wrapped_configILNS1_25lookback_scan_determinismE0ES3_S9_NS6_6detail15normal_iteratorINS6_10device_ptrIiEEEENSD_INSE_IjEEEESG_SI_PmS8_NS6_8equal_toIiEEEE10hipError_tPvRmT2_T3_mT4_T5_T6_T7_T8_P12ihipStream_tbENKUlT_T0_E_clISt17integral_constantIbLb1EES12_IbLb0EEEEDaSY_SZ_EUlSY_E_NS1_11comp_targetILNS1_3genE4ELNS1_11target_archE910ELNS1_3gpuE8ELNS1_3repE0EEENS1_30default_config_static_selectorELNS0_4arch9wavefront6targetE1EEEvT1_
	.globl	_ZN7rocprim17ROCPRIM_400000_NS6detail17trampoline_kernelINS0_14default_configENS1_29reduce_by_key_config_selectorIijN6thrust23THRUST_200600_302600_NS4plusIjEEEEZZNS1_33reduce_by_key_impl_wrapped_configILNS1_25lookback_scan_determinismE0ES3_S9_NS6_6detail15normal_iteratorINS6_10device_ptrIiEEEENSD_INSE_IjEEEESG_SI_PmS8_NS6_8equal_toIiEEEE10hipError_tPvRmT2_T3_mT4_T5_T6_T7_T8_P12ihipStream_tbENKUlT_T0_E_clISt17integral_constantIbLb1EES12_IbLb0EEEEDaSY_SZ_EUlSY_E_NS1_11comp_targetILNS1_3genE4ELNS1_11target_archE910ELNS1_3gpuE8ELNS1_3repE0EEENS1_30default_config_static_selectorELNS0_4arch9wavefront6targetE1EEEvT1_
	.p2align	8
	.type	_ZN7rocprim17ROCPRIM_400000_NS6detail17trampoline_kernelINS0_14default_configENS1_29reduce_by_key_config_selectorIijN6thrust23THRUST_200600_302600_NS4plusIjEEEEZZNS1_33reduce_by_key_impl_wrapped_configILNS1_25lookback_scan_determinismE0ES3_S9_NS6_6detail15normal_iteratorINS6_10device_ptrIiEEEENSD_INSE_IjEEEESG_SI_PmS8_NS6_8equal_toIiEEEE10hipError_tPvRmT2_T3_mT4_T5_T6_T7_T8_P12ihipStream_tbENKUlT_T0_E_clISt17integral_constantIbLb1EES12_IbLb0EEEEDaSY_SZ_EUlSY_E_NS1_11comp_targetILNS1_3genE4ELNS1_11target_archE910ELNS1_3gpuE8ELNS1_3repE0EEENS1_30default_config_static_selectorELNS0_4arch9wavefront6targetE1EEEvT1_,@function
_ZN7rocprim17ROCPRIM_400000_NS6detail17trampoline_kernelINS0_14default_configENS1_29reduce_by_key_config_selectorIijN6thrust23THRUST_200600_302600_NS4plusIjEEEEZZNS1_33reduce_by_key_impl_wrapped_configILNS1_25lookback_scan_determinismE0ES3_S9_NS6_6detail15normal_iteratorINS6_10device_ptrIiEEEENSD_INSE_IjEEEESG_SI_PmS8_NS6_8equal_toIiEEEE10hipError_tPvRmT2_T3_mT4_T5_T6_T7_T8_P12ihipStream_tbENKUlT_T0_E_clISt17integral_constantIbLb1EES12_IbLb0EEEEDaSY_SZ_EUlSY_E_NS1_11comp_targetILNS1_3genE4ELNS1_11target_archE910ELNS1_3gpuE8ELNS1_3repE0EEENS1_30default_config_static_selectorELNS0_4arch9wavefront6targetE1EEEvT1_: ; @_ZN7rocprim17ROCPRIM_400000_NS6detail17trampoline_kernelINS0_14default_configENS1_29reduce_by_key_config_selectorIijN6thrust23THRUST_200600_302600_NS4plusIjEEEEZZNS1_33reduce_by_key_impl_wrapped_configILNS1_25lookback_scan_determinismE0ES3_S9_NS6_6detail15normal_iteratorINS6_10device_ptrIiEEEENSD_INSE_IjEEEESG_SI_PmS8_NS6_8equal_toIiEEEE10hipError_tPvRmT2_T3_mT4_T5_T6_T7_T8_P12ihipStream_tbENKUlT_T0_E_clISt17integral_constantIbLb1EES12_IbLb0EEEEDaSY_SZ_EUlSY_E_NS1_11comp_targetILNS1_3genE4ELNS1_11target_archE910ELNS1_3gpuE8ELNS1_3repE0EEENS1_30default_config_static_selectorELNS0_4arch9wavefront6targetE1EEEvT1_
; %bb.0:
	s_load_dwordx8 s[36:43], s[4:5], 0x0
	s_load_dwordx4 s[52:55], s[4:5], 0x20
	s_load_dwordx8 s[44:51], s[4:5], 0x38
	s_load_dwordx2 s[60:61], s[4:5], 0x68
	s_load_dwordx4 s[56:59], s[4:5], 0x58
	s_waitcnt lgkmcnt(0)
	s_lshl_b64 s[0:1], s[38:39], 2
	s_add_u32 s2, s36, s0
	s_addc_u32 s3, s37, s1
	s_add_u32 s4, s40, s0
	s_addc_u32 s5, s41, s1
	s_mul_i32 s0, s48, s47
	s_mul_hi_u32 s1, s48, s46
	s_add_i32 s0, s1, s0
	s_mul_i32 s1, s49, s46
	s_add_i32 s8, s0, s1
	s_mul_i32 s0, s6, 0xf00
	s_mov_b32 s1, 0
	s_lshl_b64 s[0:1], s[0:1], 2
	s_add_u32 s7, s2, s0
	s_mul_i32 s9, s48, s46
	s_addc_u32 s48, s3, s1
	s_add_u32 s49, s4, s0
	s_addc_u32 s62, s5, s1
	s_add_u32 s38, s9, s6
	s_addc_u32 s39, s8, 0
	s_add_u32 s2, s50, -1
	s_addc_u32 s3, s51, -1
	s_cmp_eq_u64 s[38:39], s[2:3]
	s_cselect_b64 s[34:35], -1, 0
	s_cmp_lg_u64 s[38:39], s[2:3]
	s_mov_b64 s[0:1], -1
	s_cselect_b64 s[40:41], -1, 0
	s_mul_i32 s33, s2, 0xfffff100
	s_and_b64 vcc, exec, s[34:35]
	s_cbranch_vccnz .LBB825_2
; %bb.1:
	v_lshlrev_b32_e32 v24, 2, v0
	v_mov_b32_e32 v1, s48
	v_add_co_u32_e32 v2, vcc, s7, v24
	v_addc_co_u32_e32 v3, vcc, 0, v1, vcc
	v_add_co_u32_e32 v4, vcc, 0x1000, v2
	v_addc_co_u32_e32 v5, vcc, 0, v3, vcc
	flat_load_dword v1, v[2:3]
	flat_load_dword v8, v[2:3] offset:1024
	flat_load_dword v9, v[2:3] offset:2048
	flat_load_dword v10, v[2:3] offset:3072
	flat_load_dword v11, v[4:5]
	flat_load_dword v12, v[4:5] offset:1024
	flat_load_dword v13, v[4:5] offset:2048
	;; [unrolled: 1-line block ×3, first 2 shown]
	v_add_co_u32_e32 v4, vcc, 0x2000, v2
	v_addc_co_u32_e32 v5, vcc, 0, v3, vcc
	v_add_co_u32_e32 v2, vcc, 0x3000, v2
	v_addc_co_u32_e32 v3, vcc, 0, v3, vcc
	flat_load_dword v15, v[4:5]
	flat_load_dword v16, v[4:5] offset:1024
	flat_load_dword v17, v[4:5] offset:2048
	;; [unrolled: 1-line block ×3, first 2 shown]
	flat_load_dword v19, v[2:3]
	flat_load_dword v20, v[2:3] offset:1024
	flat_load_dword v21, v[2:3] offset:2048
	v_mov_b32_e32 v3, s62
	v_add_co_u32_e32 v2, vcc, s49, v24
	s_movk_i32 s0, 0x1000
	v_addc_co_u32_e32 v3, vcc, 0, v3, vcc
	v_add_co_u32_e32 v4, vcc, s0, v2
	s_movk_i32 s1, 0x2000
	v_addc_co_u32_e32 v5, vcc, 0, v3, vcc
	;; [unrolled: 3-line block ×3, first 2 shown]
	v_mad_u32_u24 v38, v0, 56, v24
	v_add_co_u32_e32 v22, vcc, s2, v2
	v_addc_co_u32_e32 v23, vcc, 0, v3, vcc
	s_waitcnt vmcnt(0) lgkmcnt(0)
	ds_write2st64_b32 v24, v1, v8 offset1:4
	ds_write2st64_b32 v24, v9, v10 offset0:8 offset1:12
	ds_write2st64_b32 v24, v11, v12 offset0:16 offset1:20
	;; [unrolled: 1-line block ×6, first 2 shown]
	ds_write_b32 v24, v21 offset:14336
	s_waitcnt lgkmcnt(0)
	s_barrier
	ds_read2_b32 v[20:21], v38 offset1:1
	ds_read2_b32 v[18:19], v38 offset0:2 offset1:3
	ds_read2_b32 v[16:17], v38 offset0:4 offset1:5
	;; [unrolled: 1-line block ×6, first 2 shown]
	ds_read_b32 v1, v38 offset:56
	s_waitcnt lgkmcnt(0)
	s_barrier
	flat_load_dword v25, v[2:3]
	flat_load_dword v26, v[2:3] offset:1024
	flat_load_dword v27, v[2:3] offset:2048
	flat_load_dword v28, v[2:3] offset:3072
	flat_load_dword v29, v[4:5]
	flat_load_dword v30, v[4:5] offset:1024
	flat_load_dword v31, v[4:5] offset:2048
	flat_load_dword v32, v[4:5] offset:3072
	;; [unrolled: 4-line block ×3, first 2 shown]
	flat_load_dword v40, v[22:23]
	flat_load_dword v41, v[22:23] offset:1024
	flat_load_dword v42, v[22:23] offset:2048
	v_mov_b32_e32 v36, v20
	v_mov_b32_e32 v37, v18
	;; [unrolled: 1-line block ×7, first 2 shown]
	s_waitcnt vmcnt(0) lgkmcnt(0)
	ds_write2st64_b32 v24, v25, v26 offset1:4
	ds_write2st64_b32 v24, v27, v28 offset0:8 offset1:12
	ds_write2st64_b32 v24, v29, v30 offset0:16 offset1:20
	;; [unrolled: 1-line block ×6, first 2 shown]
	ds_write_b32 v24, v42 offset:14336
	s_waitcnt lgkmcnt(0)
	s_barrier
	s_add_i32 s33, s33, s56
	s_cbranch_execz .LBB825_3
	s_branch .LBB825_50
.LBB825_2:
                                        ; implicit-def: $vgpr1
                                        ; implicit-def: $vgpr8
                                        ; implicit-def: $vgpr10
                                        ; implicit-def: $vgpr12
                                        ; implicit-def: $vgpr14
                                        ; implicit-def: $vgpr16
                                        ; implicit-def: $vgpr18
                                        ; implicit-def: $vgpr20
                                        ; implicit-def: $vgpr38
                                        ; implicit-def: $vgpr2_vgpr3
                                        ; implicit-def: $vgpr4_vgpr5
                                        ; implicit-def: $vgpr36_vgpr37
                                        ; implicit-def: $vgpr6_vgpr7
	s_andn2_b64 vcc, exec, s[0:1]
	s_add_i32 s33, s33, s56
	s_cbranch_vccnz .LBB825_50
.LBB825_3:
	v_cmp_gt_u32_e32 vcc, s33, v0
                                        ; implicit-def: $vgpr1
	s_and_saveexec_b64 s[2:3], vcc
	s_cbranch_execz .LBB825_5
; %bb.4:
	v_lshlrev_b32_e32 v1, 2, v0
	v_mov_b32_e32 v3, s48
	v_add_co_u32_e64 v2, s[0:1], s7, v1
	v_addc_co_u32_e64 v3, s[0:1], 0, v3, s[0:1]
	flat_load_dword v1, v[2:3]
.LBB825_5:
	s_or_b64 exec, exec, s[2:3]
	v_or_b32_e32 v2, 0x100, v0
	v_cmp_gt_u32_e64 s[0:1], s33, v2
                                        ; implicit-def: $vgpr8
	s_and_saveexec_b64 s[4:5], s[0:1]
	s_cbranch_execz .LBB825_7
; %bb.6:
	v_lshlrev_b32_e32 v2, 2, v0
	v_mov_b32_e32 v3, s48
	v_add_co_u32_e64 v2, s[2:3], s7, v2
	v_addc_co_u32_e64 v3, s[2:3], 0, v3, s[2:3]
	flat_load_dword v8, v[2:3] offset:1024
.LBB825_7:
	s_or_b64 exec, exec, s[4:5]
	v_or_b32_e32 v2, 0x200, v0
	v_cmp_gt_u32_e64 s[2:3], s33, v2
                                        ; implicit-def: $vgpr9
	s_and_saveexec_b64 s[8:9], s[2:3]
	s_cbranch_execz .LBB825_9
; %bb.8:
	v_lshlrev_b32_e32 v2, 2, v0
	v_mov_b32_e32 v3, s48
	v_add_co_u32_e64 v2, s[4:5], s7, v2
	v_addc_co_u32_e64 v3, s[4:5], 0, v3, s[4:5]
	flat_load_dword v9, v[2:3] offset:2048
.LBB825_9:
	s_or_b64 exec, exec, s[8:9]
	v_or_b32_e32 v2, 0x300, v0
	v_cmp_gt_u32_e64 s[4:5], s33, v2
                                        ; implicit-def: $vgpr10
	s_and_saveexec_b64 s[10:11], s[4:5]
	s_cbranch_execz .LBB825_11
; %bb.10:
	v_lshlrev_b32_e32 v2, 2, v0
	v_mov_b32_e32 v3, s48
	v_add_co_u32_e64 v2, s[8:9], s7, v2
	v_addc_co_u32_e64 v3, s[8:9], 0, v3, s[8:9]
	flat_load_dword v10, v[2:3] offset:3072
.LBB825_11:
	s_or_b64 exec, exec, s[10:11]
	v_or_b32_e32 v2, 0x400, v0
	v_cmp_gt_u32_e64 s[28:29], s33, v2
                                        ; implicit-def: $vgpr11
	s_and_saveexec_b64 s[10:11], s[28:29]
	s_cbranch_execz .LBB825_13
; %bb.12:
	v_lshlrev_b32_e32 v3, 2, v2
	v_mov_b32_e32 v5, s48
	v_add_co_u32_e64 v4, s[8:9], s7, v3
	v_addc_co_u32_e64 v5, s[8:9], 0, v5, s[8:9]
	flat_load_dword v11, v[4:5]
.LBB825_13:
	s_or_b64 exec, exec, s[10:11]
	v_or_b32_e32 v3, 0x500, v0
	v_cmp_gt_u32_e64 s[8:9], s33, v3
                                        ; implicit-def: $vgpr12
	s_and_saveexec_b64 s[12:13], s[8:9]
	s_cbranch_execz .LBB825_15
; %bb.14:
	v_lshlrev_b32_e32 v4, 2, v3
	v_mov_b32_e32 v5, s48
	v_add_co_u32_e64 v4, s[10:11], s7, v4
	v_addc_co_u32_e64 v5, s[10:11], 0, v5, s[10:11]
	flat_load_dword v12, v[4:5]
.LBB825_15:
	s_or_b64 exec, exec, s[12:13]
	v_or_b32_e32 v4, 0x600, v0
	v_cmp_gt_u32_e64 s[10:11], s33, v4
                                        ; implicit-def: $vgpr13
	s_and_saveexec_b64 s[14:15], s[10:11]
	s_cbranch_execz .LBB825_17
; %bb.16:
	v_lshlrev_b32_e32 v5, 2, v4
	v_mov_b32_e32 v7, s48
	v_add_co_u32_e64 v6, s[12:13], s7, v5
	v_addc_co_u32_e64 v7, s[12:13], 0, v7, s[12:13]
	flat_load_dword v13, v[6:7]
.LBB825_17:
	s_or_b64 exec, exec, s[14:15]
	v_or_b32_e32 v5, 0x700, v0
	v_cmp_gt_u32_e64 s[12:13], s33, v5
                                        ; implicit-def: $vgpr14
	s_and_saveexec_b64 s[16:17], s[12:13]
	s_cbranch_execz .LBB825_19
; %bb.18:
	v_lshlrev_b32_e32 v6, 2, v5
	v_mov_b32_e32 v7, s48
	v_add_co_u32_e64 v6, s[14:15], s7, v6
	v_addc_co_u32_e64 v7, s[14:15], 0, v7, s[14:15]
	flat_load_dword v14, v[6:7]
.LBB825_19:
	s_or_b64 exec, exec, s[16:17]
	v_or_b32_e32 v6, 0x800, v0
	v_cmp_gt_u32_e64 s[14:15], s33, v6
                                        ; implicit-def: $vgpr15
	s_and_saveexec_b64 s[18:19], s[14:15]
	s_cbranch_execz .LBB825_21
; %bb.20:
	v_lshlrev_b32_e32 v7, 2, v6
	v_mov_b32_e32 v15, s48
	v_add_co_u32_e64 v16, s[16:17], s7, v7
	v_addc_co_u32_e64 v17, s[16:17], 0, v15, s[16:17]
	flat_load_dword v15, v[16:17]
.LBB825_21:
	s_or_b64 exec, exec, s[18:19]
	v_or_b32_e32 v22, 0x900, v0
	v_cmp_gt_u32_e64 s[16:17], s33, v22
                                        ; implicit-def: $vgpr16
	s_and_saveexec_b64 s[20:21], s[16:17]
	s_cbranch_execz .LBB825_23
; %bb.22:
	v_lshlrev_b32_e32 v7, 2, v22
	v_mov_b32_e32 v17, s48
	v_add_co_u32_e64 v16, s[18:19], s7, v7
	v_addc_co_u32_e64 v17, s[18:19], 0, v17, s[18:19]
	flat_load_dword v16, v[16:17]
.LBB825_23:
	s_or_b64 exec, exec, s[20:21]
	v_or_b32_e32 v23, 0xa00, v0
	v_cmp_gt_u32_e64 s[18:19], s33, v23
                                        ; implicit-def: $vgpr17
	s_and_saveexec_b64 s[22:23], s[18:19]
	s_cbranch_execz .LBB825_25
; %bb.24:
	v_lshlrev_b32_e32 v7, 2, v23
	v_mov_b32_e32 v17, s48
	v_add_co_u32_e64 v18, s[20:21], s7, v7
	v_addc_co_u32_e64 v19, s[20:21], 0, v17, s[20:21]
	flat_load_dword v17, v[18:19]
.LBB825_25:
	s_or_b64 exec, exec, s[22:23]
	v_or_b32_e32 v24, 0xb00, v0
	v_cmp_gt_u32_e64 s[20:21], s33, v24
                                        ; implicit-def: $vgpr18
	s_and_saveexec_b64 s[24:25], s[20:21]
	s_cbranch_execz .LBB825_27
; %bb.26:
	v_lshlrev_b32_e32 v7, 2, v24
	v_mov_b32_e32 v19, s48
	v_add_co_u32_e64 v18, s[22:23], s7, v7
	v_addc_co_u32_e64 v19, s[22:23], 0, v19, s[22:23]
	flat_load_dword v18, v[18:19]
.LBB825_27:
	s_or_b64 exec, exec, s[24:25]
	v_or_b32_e32 v25, 0xc00, v0
	v_cmp_gt_u32_e64 s[22:23], s33, v25
                                        ; implicit-def: $vgpr19
	s_and_saveexec_b64 s[26:27], s[22:23]
	s_cbranch_execz .LBB825_29
; %bb.28:
	v_lshlrev_b32_e32 v7, 2, v25
	v_mov_b32_e32 v19, s48
	v_add_co_u32_e64 v20, s[24:25], s7, v7
	v_addc_co_u32_e64 v21, s[24:25], 0, v19, s[24:25]
	flat_load_dword v19, v[20:21]
.LBB825_29:
	s_or_b64 exec, exec, s[26:27]
	v_or_b32_e32 v26, 0xd00, v0
	v_cmp_gt_u32_e64 s[24:25], s33, v26
                                        ; implicit-def: $vgpr20
	s_and_saveexec_b64 s[30:31], s[24:25]
	s_cbranch_execz .LBB825_31
; %bb.30:
	v_lshlrev_b32_e32 v7, 2, v26
	v_mov_b32_e32 v21, s48
	v_add_co_u32_e64 v20, s[26:27], s7, v7
	v_addc_co_u32_e64 v21, s[26:27], 0, v21, s[26:27]
	flat_load_dword v20, v[20:21]
.LBB825_31:
	s_or_b64 exec, exec, s[30:31]
	v_or_b32_e32 v27, 0xe00, v0
	v_cmp_gt_u32_e64 s[26:27], s33, v27
                                        ; implicit-def: $vgpr21
	s_and_saveexec_b64 s[36:37], s[26:27]
	s_cbranch_execz .LBB825_33
; %bb.32:
	v_lshlrev_b32_e32 v7, 2, v27
	v_mov_b32_e32 v21, s48
	v_add_co_u32_e64 v28, s[30:31], s7, v7
	v_addc_co_u32_e64 v29, s[30:31], 0, v21, s[30:31]
	flat_load_dword v21, v[28:29]
.LBB825_33:
	s_or_b64 exec, exec, s[36:37]
	v_lshlrev_b32_e32 v7, 2, v0
	v_mad_u32_u24 v38, v0, 56, v7
	s_waitcnt vmcnt(0) lgkmcnt(0)
	ds_write2st64_b32 v7, v1, v8 offset1:4
	ds_write2st64_b32 v7, v9, v10 offset0:8 offset1:12
	ds_write2st64_b32 v7, v11, v12 offset0:16 offset1:20
	;; [unrolled: 1-line block ×6, first 2 shown]
	ds_write_b32 v7, v21 offset:14336
	s_waitcnt lgkmcnt(0)
	s_barrier
	ds_read2_b32 v[20:21], v38 offset1:1
	ds_read2_b32 v[18:19], v38 offset0:2 offset1:3
	ds_read2_b32 v[16:17], v38 offset0:4 offset1:5
	;; [unrolled: 1-line block ×6, first 2 shown]
	ds_read_b32 v1, v38 offset:56
	s_waitcnt lgkmcnt(0)
	s_barrier
	s_waitcnt lgkmcnt(0)
                                        ; implicit-def: $vgpr28
	s_and_saveexec_b64 s[30:31], vcc
	s_cbranch_execnz .LBB825_57
; %bb.34:
	s_or_b64 exec, exec, s[30:31]
                                        ; implicit-def: $vgpr29
	s_and_saveexec_b64 s[30:31], s[0:1]
	s_cbranch_execnz .LBB825_58
.LBB825_35:
	s_or_b64 exec, exec, s[30:31]
                                        ; implicit-def: $vgpr30
	s_and_saveexec_b64 s[0:1], s[2:3]
	s_cbranch_execnz .LBB825_59
.LBB825_36:
	s_or_b64 exec, exec, s[0:1]
                                        ; implicit-def: $vgpr31
	s_and_saveexec_b64 s[0:1], s[4:5]
	s_cbranch_execnz .LBB825_60
.LBB825_37:
	s_or_b64 exec, exec, s[0:1]
                                        ; implicit-def: $vgpr32
	s_and_saveexec_b64 s[0:1], s[28:29]
	s_cbranch_execnz .LBB825_61
.LBB825_38:
	s_or_b64 exec, exec, s[0:1]
                                        ; implicit-def: $vgpr2
	s_and_saveexec_b64 s[0:1], s[8:9]
	s_cbranch_execnz .LBB825_62
.LBB825_39:
	s_or_b64 exec, exec, s[0:1]
                                        ; implicit-def: $vgpr3
	s_and_saveexec_b64 s[0:1], s[10:11]
	s_cbranch_execnz .LBB825_63
.LBB825_40:
	s_or_b64 exec, exec, s[0:1]
                                        ; implicit-def: $vgpr4
	s_and_saveexec_b64 s[0:1], s[12:13]
	s_cbranch_execnz .LBB825_64
.LBB825_41:
	s_or_b64 exec, exec, s[0:1]
                                        ; implicit-def: $vgpr5
	s_and_saveexec_b64 s[0:1], s[14:15]
	s_cbranch_execnz .LBB825_65
.LBB825_42:
	s_or_b64 exec, exec, s[0:1]
                                        ; implicit-def: $vgpr6
	s_and_saveexec_b64 s[0:1], s[16:17]
	s_cbranch_execnz .LBB825_66
.LBB825_43:
	s_or_b64 exec, exec, s[0:1]
                                        ; implicit-def: $vgpr22
	s_and_saveexec_b64 s[0:1], s[18:19]
	s_cbranch_execnz .LBB825_67
.LBB825_44:
	s_or_b64 exec, exec, s[0:1]
                                        ; implicit-def: $vgpr23
	s_and_saveexec_b64 s[0:1], s[20:21]
	s_cbranch_execnz .LBB825_68
.LBB825_45:
	s_or_b64 exec, exec, s[0:1]
                                        ; implicit-def: $vgpr24
	s_and_saveexec_b64 s[0:1], s[22:23]
	s_cbranch_execnz .LBB825_69
.LBB825_46:
	s_or_b64 exec, exec, s[0:1]
                                        ; implicit-def: $vgpr25
	s_and_saveexec_b64 s[0:1], s[24:25]
	s_cbranch_execnz .LBB825_70
.LBB825_47:
	s_or_b64 exec, exec, s[0:1]
                                        ; implicit-def: $vgpr26
	s_and_saveexec_b64 s[0:1], s[26:27]
	s_cbranch_execz .LBB825_49
.LBB825_48:
	v_lshlrev_b32_e32 v26, 2, v27
	v_mov_b32_e32 v27, s62
	v_add_co_u32_e32 v26, vcc, s49, v26
	v_addc_co_u32_e32 v27, vcc, 0, v27, vcc
	flat_load_dword v26, v[26:27]
.LBB825_49:
	s_or_b64 exec, exec, s[0:1]
	s_waitcnt vmcnt(0) lgkmcnt(0)
	ds_write2st64_b32 v7, v28, v29 offset1:4
	ds_write2st64_b32 v7, v30, v31 offset0:8 offset1:12
	ds_write2st64_b32 v7, v32, v2 offset0:16 offset1:20
	ds_write2st64_b32 v7, v3, v4 offset0:24 offset1:28
	ds_write2st64_b32 v7, v5, v6 offset0:32 offset1:36
	ds_write2st64_b32 v7, v22, v23 offset0:40 offset1:44
	ds_write2st64_b32 v7, v24, v25 offset0:48 offset1:52
	ds_write_b32 v7, v26 offset:14336
	v_mov_b32_e32 v36, v20
	v_mov_b32_e32 v37, v18
	;; [unrolled: 1-line block ×7, first 2 shown]
	s_waitcnt lgkmcnt(0)
	s_barrier
.LBB825_50:
	ds_read2_b32 v[34:35], v38 offset1:1
	ds_read2_b32 v[32:33], v38 offset0:2 offset1:3
	ds_read2_b32 v[30:31], v38 offset0:4 offset1:5
	;; [unrolled: 1-line block ×6, first 2 shown]
	ds_read_b32 v82, v38 offset:56
	s_cmp_eq_u64 s[38:39], 0
	s_cselect_b64 s[36:37], -1, 0
	s_cmp_lg_u64 s[38:39], 0
	s_mov_b64 s[2:3], 0
	s_cselect_b64 s[4:5], -1, 0
	s_and_b64 vcc, exec, s[40:41]
	s_waitcnt lgkmcnt(0)
	s_barrier
	s_cbranch_vccz .LBB825_56
; %bb.51:
	s_and_b64 vcc, exec, s[4:5]
	s_cbranch_vccz .LBB825_71
; %bb.52:
	v_mov_b32_e32 v7, s48
	v_add_co_u32_e64 v38, vcc, -4, s7
	v_addc_co_u32_e32 v39, vcc, -1, v7, vcc
	flat_load_dword v7, v[38:39]
	v_lshlrev_b32_e32 v38, 2, v0
	v_cmp_ne_u32_e32 vcc, 0, v0
	ds_write_b32 v38, v1
	s_waitcnt lgkmcnt(0)
	s_barrier
	s_and_saveexec_b64 s[0:1], vcc
	s_cbranch_execz .LBB825_54
; %bb.53:
	s_waitcnt vmcnt(0)
	v_add_u32_e32 v7, -4, v38
	ds_read_b32 v7, v7
.LBB825_54:
	s_or_b64 exec, exec, s[0:1]
	v_cmp_ne_u32_e32 vcc, v36, v21
	v_cndmask_b32_e64 v79, 0, 1, vcc
	v_cmp_ne_u32_e32 vcc, v37, v21
	v_cndmask_b32_e64 v78, 0, 1, vcc
	;; [unrolled: 2-line block ×14, first 2 shown]
	s_waitcnt vmcnt(0) lgkmcnt(0)
	v_cmp_ne_u32_e64 s[0:1], v7, v20
	s_mov_b64 s[2:3], -1
.LBB825_55:
                                        ; implicit-def: $sgpr10
	s_branch .LBB825_83
.LBB825_56:
                                        ; implicit-def: $sgpr0_sgpr1
                                        ; implicit-def: $vgpr66
                                        ; implicit-def: $vgpr67
                                        ; implicit-def: $vgpr68
                                        ; implicit-def: $vgpr69
                                        ; implicit-def: $vgpr70
                                        ; implicit-def: $vgpr71
                                        ; implicit-def: $vgpr72
                                        ; implicit-def: $vgpr73
                                        ; implicit-def: $vgpr74
                                        ; implicit-def: $vgpr75
                                        ; implicit-def: $vgpr76
                                        ; implicit-def: $vgpr77
                                        ; implicit-def: $vgpr78
                                        ; implicit-def: $vgpr79
                                        ; implicit-def: $sgpr10
	s_cbranch_execnz .LBB825_75
	s_branch .LBB825_83
.LBB825_57:
	v_mov_b32_e32 v29, s62
	v_add_co_u32_e32 v28, vcc, s49, v7
	v_addc_co_u32_e32 v29, vcc, 0, v29, vcc
	flat_load_dword v28, v[28:29]
	s_or_b64 exec, exec, s[30:31]
                                        ; implicit-def: $vgpr29
	s_and_saveexec_b64 s[30:31], s[0:1]
	s_cbranch_execz .LBB825_35
.LBB825_58:
	v_mov_b32_e32 v29, s62
	v_add_co_u32_e32 v30, vcc, s49, v7
	v_addc_co_u32_e32 v31, vcc, 0, v29, vcc
	flat_load_dword v29, v[30:31] offset:1024
	s_or_b64 exec, exec, s[30:31]
                                        ; implicit-def: $vgpr30
	s_and_saveexec_b64 s[0:1], s[2:3]
	s_cbranch_execz .LBB825_36
.LBB825_59:
	v_mov_b32_e32 v31, s62
	v_add_co_u32_e32 v30, vcc, s49, v7
	v_addc_co_u32_e32 v31, vcc, 0, v31, vcc
	flat_load_dword v30, v[30:31] offset:2048
	s_or_b64 exec, exec, s[0:1]
                                        ; implicit-def: $vgpr31
	s_and_saveexec_b64 s[0:1], s[4:5]
	s_cbranch_execz .LBB825_37
.LBB825_60:
	v_mov_b32_e32 v31, s62
	v_add_co_u32_e32 v32, vcc, s49, v7
	v_addc_co_u32_e32 v33, vcc, 0, v31, vcc
	flat_load_dword v31, v[32:33] offset:3072
	s_or_b64 exec, exec, s[0:1]
                                        ; implicit-def: $vgpr32
	s_and_saveexec_b64 s[0:1], s[28:29]
	s_cbranch_execz .LBB825_38
.LBB825_61:
	v_lshlrev_b32_e32 v2, 2, v2
	v_mov_b32_e32 v33, s62
	v_add_co_u32_e32 v32, vcc, s49, v2
	v_addc_co_u32_e32 v33, vcc, 0, v33, vcc
	flat_load_dword v32, v[32:33]
	s_or_b64 exec, exec, s[0:1]
                                        ; implicit-def: $vgpr2
	s_and_saveexec_b64 s[0:1], s[8:9]
	s_cbranch_execz .LBB825_39
.LBB825_62:
	v_lshlrev_b32_e32 v2, 2, v3
	v_mov_b32_e32 v3, s62
	v_add_co_u32_e32 v2, vcc, s49, v2
	v_addc_co_u32_e32 v3, vcc, 0, v3, vcc
	flat_load_dword v2, v[2:3]
	s_or_b64 exec, exec, s[0:1]
                                        ; implicit-def: $vgpr3
	s_and_saveexec_b64 s[0:1], s[10:11]
	s_cbranch_execz .LBB825_40
.LBB825_63:
	v_lshlrev_b32_e32 v3, 2, v4
	v_mov_b32_e32 v4, s62
	v_add_co_u32_e32 v34, vcc, s49, v3
	v_addc_co_u32_e32 v35, vcc, 0, v4, vcc
	flat_load_dword v3, v[34:35]
	s_or_b64 exec, exec, s[0:1]
                                        ; implicit-def: $vgpr4
	s_and_saveexec_b64 s[0:1], s[12:13]
	s_cbranch_execz .LBB825_41
.LBB825_64:
	v_lshlrev_b32_e32 v4, 2, v5
	v_mov_b32_e32 v5, s62
	v_add_co_u32_e32 v4, vcc, s49, v4
	v_addc_co_u32_e32 v5, vcc, 0, v5, vcc
	flat_load_dword v4, v[4:5]
	s_or_b64 exec, exec, s[0:1]
                                        ; implicit-def: $vgpr5
	s_and_saveexec_b64 s[0:1], s[14:15]
	s_cbranch_execz .LBB825_42
.LBB825_65:
	v_lshlrev_b32_e32 v5, 2, v6
	v_mov_b32_e32 v6, s62
	v_add_co_u32_e32 v34, vcc, s49, v5
	v_addc_co_u32_e32 v35, vcc, 0, v6, vcc
	flat_load_dword v5, v[34:35]
	s_or_b64 exec, exec, s[0:1]
                                        ; implicit-def: $vgpr6
	s_and_saveexec_b64 s[0:1], s[16:17]
	s_cbranch_execz .LBB825_43
.LBB825_66:
	v_lshlrev_b32_e32 v6, 2, v22
	v_mov_b32_e32 v22, s62
	v_add_co_u32_e32 v34, vcc, s49, v6
	v_addc_co_u32_e32 v35, vcc, 0, v22, vcc
	flat_load_dword v6, v[34:35]
	s_or_b64 exec, exec, s[0:1]
                                        ; implicit-def: $vgpr22
	s_and_saveexec_b64 s[0:1], s[18:19]
	s_cbranch_execz .LBB825_44
.LBB825_67:
	v_lshlrev_b32_e32 v22, 2, v23
	v_mov_b32_e32 v23, s62
	v_add_co_u32_e32 v22, vcc, s49, v22
	v_addc_co_u32_e32 v23, vcc, 0, v23, vcc
	flat_load_dword v22, v[22:23]
	s_or_b64 exec, exec, s[0:1]
                                        ; implicit-def: $vgpr23
	s_and_saveexec_b64 s[0:1], s[20:21]
	s_cbranch_execz .LBB825_45
.LBB825_68:
	v_lshlrev_b32_e32 v23, 2, v24
	v_mov_b32_e32 v24, s62
	v_add_co_u32_e32 v34, vcc, s49, v23
	v_addc_co_u32_e32 v35, vcc, 0, v24, vcc
	flat_load_dword v23, v[34:35]
	s_or_b64 exec, exec, s[0:1]
                                        ; implicit-def: $vgpr24
	s_and_saveexec_b64 s[0:1], s[22:23]
	s_cbranch_execz .LBB825_46
.LBB825_69:
	v_lshlrev_b32_e32 v24, 2, v25
	v_mov_b32_e32 v25, s62
	v_add_co_u32_e32 v24, vcc, s49, v24
	v_addc_co_u32_e32 v25, vcc, 0, v25, vcc
	flat_load_dword v24, v[24:25]
	s_or_b64 exec, exec, s[0:1]
                                        ; implicit-def: $vgpr25
	s_and_saveexec_b64 s[0:1], s[24:25]
	s_cbranch_execz .LBB825_47
.LBB825_70:
	v_lshlrev_b32_e32 v25, 2, v26
	v_mov_b32_e32 v26, s62
	v_add_co_u32_e32 v34, vcc, s49, v25
	v_addc_co_u32_e32 v35, vcc, 0, v26, vcc
	flat_load_dword v25, v[34:35]
	s_or_b64 exec, exec, s[0:1]
                                        ; implicit-def: $vgpr26
	s_and_saveexec_b64 s[0:1], s[26:27]
	s_cbranch_execnz .LBB825_48
	s_branch .LBB825_49
.LBB825_71:
                                        ; implicit-def: $sgpr0_sgpr1
                                        ; implicit-def: $vgpr66
                                        ; implicit-def: $vgpr67
                                        ; implicit-def: $vgpr68
                                        ; implicit-def: $vgpr69
                                        ; implicit-def: $vgpr70
                                        ; implicit-def: $vgpr71
                                        ; implicit-def: $vgpr72
                                        ; implicit-def: $vgpr73
                                        ; implicit-def: $vgpr74
                                        ; implicit-def: $vgpr75
                                        ; implicit-def: $vgpr76
                                        ; implicit-def: $vgpr77
                                        ; implicit-def: $vgpr78
                                        ; implicit-def: $vgpr79
	s_cbranch_execz .LBB825_55
; %bb.72:
	v_cmp_ne_u32_e32 vcc, v21, v36
	v_cndmask_b32_e64 v79, 0, 1, vcc
	v_cmp_ne_u32_e32 vcc, v21, v37
	v_cndmask_b32_e64 v78, 0, 1, vcc
	;; [unrolled: 2-line block ×13, first 2 shown]
	v_cmp_ne_u32_e32 vcc, v9, v1
	v_lshlrev_b32_e32 v7, 2, v0
	v_cndmask_b32_e64 v66, 0, 1, vcc
	v_cmp_ne_u32_e32 vcc, 0, v0
	ds_write_b32 v7, v1
	s_waitcnt lgkmcnt(0)
	s_barrier
	s_waitcnt lgkmcnt(0)
                                        ; implicit-def: $sgpr0_sgpr1
	s_and_saveexec_b64 s[8:9], vcc
	s_xor_b64 s[8:9], exec, s[8:9]
	s_cbranch_execz .LBB825_74
; %bb.73:
	v_add_u32_e32 v2, -4, v7
	ds_read_b32 v2, v2
	s_or_b64 s[2:3], s[2:3], exec
	s_waitcnt lgkmcnt(0)
	v_cmp_ne_u32_e32 vcc, v2, v20
	s_and_b64 s[0:1], vcc, exec
.LBB825_74:
	s_or_b64 exec, exec, s[8:9]
	s_mov_b32 s10, 1
	s_branch .LBB825_83
.LBB825_75:
	s_mul_hi_u32 s1, s38, 0xfffff100
	s_mul_i32 s0, s39, 0xfffff100
	s_sub_i32 s1, s1, s38
	s_add_i32 s1, s1, s0
	s_mul_i32 s0, s38, 0xfffff100
	s_add_u32 s8, s0, s56
	s_addc_u32 s9, s1, s57
	s_and_b64 vcc, exec, s[4:5]
	s_cbranch_vccz .LBB825_80
; %bb.76:
	v_mov_b32_e32 v3, s48
	v_add_co_u32_e64 v2, vcc, -4, s7
	v_addc_co_u32_e32 v3, vcc, -1, v3, vcc
	flat_load_dword v6, v[2:3]
	v_mad_u32_u24 v4, v0, 15, 14
	v_mov_b32_e32 v5, 0
	v_cmp_gt_u64_e32 vcc, s[8:9], v[4:5]
	v_cmp_ne_u32_e64 s[0:1], v9, v1
	v_mad_u32_u24 v4, v0, 15, 13
	s_and_b64 s[2:3], vcc, s[0:1]
	v_cmp_gt_u64_e32 vcc, s[8:9], v[4:5]
	v_cmp_ne_u32_e64 s[0:1], v8, v9
	v_mad_u32_u24 v4, v0, 15, 12
	s_and_b64 s[4:5], vcc, s[0:1]
	;; [unrolled: 4-line block ×13, first 2 shown]
	v_cmp_gt_u64_e32 vcc, s[8:9], v[4:5]
	v_cmp_ne_u32_e64 s[0:1], v20, v21
	v_lshlrev_b32_e32 v3, 2, v0
	v_mul_u32_u24_e32 v2, 15, v0
	s_and_b64 s[0:1], vcc, s[0:1]
	v_cmp_ne_u32_e32 vcc, 0, v0
	ds_write_b32 v3, v1
	s_waitcnt lgkmcnt(0)
	s_barrier
	s_and_saveexec_b64 s[38:39], vcc
	s_cbranch_execz .LBB825_78
; %bb.77:
	v_add_u32_e32 v3, -4, v3
	s_waitcnt vmcnt(0)
	ds_read_b32 v6, v3
.LBB825_78:
	s_or_b64 exec, exec, s[38:39]
	v_mov_b32_e32 v3, v5
	v_cndmask_b32_e64 v79, 0, 1, s[0:1]
	v_cmp_gt_u64_e32 vcc, s[8:9], v[2:3]
	s_waitcnt vmcnt(0) lgkmcnt(0)
	v_cmp_ne_u32_e64 s[0:1], v6, v20
	v_cndmask_b32_e64 v66, 0, 1, s[2:3]
	v_cndmask_b32_e64 v67, 0, 1, s[4:5]
	;; [unrolled: 1-line block ×13, first 2 shown]
	s_and_b64 s[0:1], vcc, s[0:1]
	s_mov_b64 s[2:3], -1
.LBB825_79:
                                        ; implicit-def: $sgpr10
	v_mov_b32_e32 v81, s10
	s_and_saveexec_b64 s[4:5], s[2:3]
	s_cbranch_execnz .LBB825_84
	s_branch .LBB825_85
.LBB825_80:
                                        ; implicit-def: $sgpr0_sgpr1
                                        ; implicit-def: $vgpr66
                                        ; implicit-def: $vgpr67
                                        ; implicit-def: $vgpr68
                                        ; implicit-def: $vgpr69
                                        ; implicit-def: $vgpr70
                                        ; implicit-def: $vgpr71
                                        ; implicit-def: $vgpr72
                                        ; implicit-def: $vgpr73
                                        ; implicit-def: $vgpr74
                                        ; implicit-def: $vgpr75
                                        ; implicit-def: $vgpr76
                                        ; implicit-def: $vgpr77
                                        ; implicit-def: $vgpr78
                                        ; implicit-def: $vgpr79
	s_cbranch_execz .LBB825_79
; %bb.81:
	v_mad_u32_u24 v2, v0, 15, 14
	v_mov_b32_e32 v3, 0
	v_cmp_gt_u64_e32 vcc, s[8:9], v[2:3]
	v_cmp_ne_u32_e64 s[0:1], v9, v1
	s_and_b64 s[0:1], vcc, s[0:1]
	v_mad_u32_u24 v2, v0, 15, 13
	v_cndmask_b32_e64 v66, 0, 1, s[0:1]
	v_cmp_gt_u64_e32 vcc, s[8:9], v[2:3]
	v_cmp_ne_u32_e64 s[0:1], v8, v9
	s_and_b64 s[0:1], vcc, s[0:1]
	v_mad_u32_u24 v2, v0, 15, 12
	v_cndmask_b32_e64 v67, 0, 1, s[0:1]
	;; [unrolled: 5-line block ×13, first 2 shown]
	v_cmp_gt_u64_e32 vcc, s[8:9], v[2:3]
	v_cmp_ne_u32_e64 s[0:1], v20, v21
	s_and_b64 s[0:1], vcc, s[0:1]
	v_lshlrev_b32_e32 v4, 2, v0
	s_mov_b32 s10, 1
	v_cndmask_b32_e64 v79, 0, 1, s[0:1]
	v_cmp_ne_u32_e32 vcc, 0, v0
	ds_write_b32 v4, v1
	s_waitcnt lgkmcnt(0)
	s_barrier
	s_waitcnt lgkmcnt(0)
                                        ; implicit-def: $sgpr0_sgpr1
	s_and_saveexec_b64 s[4:5], vcc
	s_cbranch_execz .LBB825_192
; %bb.82:
	v_add_u32_e32 v2, -4, v4
	ds_read_b32 v4, v2
	v_mul_u32_u24_e32 v2, 15, v0
	v_cmp_gt_u64_e32 vcc, s[8:9], v[2:3]
	s_or_b64 s[2:3], s[2:3], exec
	s_waitcnt lgkmcnt(0)
	v_cmp_ne_u32_e64 s[0:1], v4, v20
	s_and_b64 s[0:1], vcc, s[0:1]
	s_and_b64 s[0:1], s[0:1], exec
	s_or_b64 exec, exec, s[4:5]
.LBB825_83:
	v_mov_b32_e32 v81, s10
	s_and_saveexec_b64 s[4:5], s[2:3]
.LBB825_84:
	v_cndmask_b32_e64 v81, 0, 1, s[0:1]
.LBB825_85:
	s_or_b64 exec, exec, s[4:5]
	s_cmp_eq_u64 s[46:47], 0
	v_add3_u32 v2, v79, v81, v78
	s_cselect_b64 s[38:39], -1, 0
	s_cmp_lg_u32 s6, 0
	v_cmp_eq_u32_e64 s[24:25], 0, v79
	v_cmp_eq_u32_e64 s[22:23], 0, v78
	;; [unrolled: 1-line block ×3, first 2 shown]
	v_add3_u32 v86, v2, v77, v76
	v_cmp_eq_u32_e64 s[18:19], 0, v76
	v_cmp_eq_u32_e64 s[16:17], 0, v75
	;; [unrolled: 1-line block ×10, first 2 shown]
	v_cmp_eq_u32_e32 vcc, 0, v66
	v_mbcnt_lo_u32_b32 v85, -1, 0
	v_lshrrev_b32_e32 v83, 6, v0
	v_or_b32_e32 v84, 63, v0
	s_cbranch_scc0 .LBB825_116
; %bb.86:
	v_cndmask_b32_e64 v2, 0, v34, s[24:25]
	v_add_u32_e32 v2, v2, v35
	v_cndmask_b32_e64 v2, 0, v2, s[22:23]
	v_add_u32_e32 v2, v2, v32
	;; [unrolled: 2-line block ×11, first 2 shown]
	v_cndmask_b32_e64 v2, 0, v2, s[2:3]
	v_add3_u32 v3, v86, v75, v74
	v_add_u32_e32 v2, v2, v22
	v_add3_u32 v3, v3, v73, v72
	v_cndmask_b32_e64 v2, 0, v2, s[0:1]
	v_add3_u32 v3, v3, v71, v70
	v_add_u32_e32 v2, v2, v23
	v_add3_u32 v3, v3, v69, v68
	v_cndmask_b32_e32 v2, 0, v2, vcc
	v_add3_u32 v3, v3, v67, v66
	v_add_u32_e32 v2, v2, v82
	v_mbcnt_hi_u32_b32 v39, -1, v85
	v_and_b32_e32 v4, 15, v39
	v_mov_b32_dpp v6, v2 row_shr:1 row_mask:0xf bank_mask:0xf
	v_cmp_eq_u32_e32 vcc, 0, v3
	v_mov_b32_dpp v5, v3 row_shr:1 row_mask:0xf bank_mask:0xf
	v_cndmask_b32_e32 v6, 0, v6, vcc
	v_cmp_eq_u32_e32 vcc, 0, v4
	v_cndmask_b32_e64 v5, v5, 0, vcc
	v_add_u32_e32 v3, v5, v3
	v_cndmask_b32_e64 v5, v6, 0, vcc
	v_add_u32_e32 v2, v5, v2
	v_cmp_eq_u32_e32 vcc, 0, v3
	v_mov_b32_dpp v5, v3 row_shr:2 row_mask:0xf bank_mask:0xf
	v_cmp_lt_u32_e64 s[26:27], 1, v4
	v_mov_b32_dpp v6, v2 row_shr:2 row_mask:0xf bank_mask:0xf
	v_cndmask_b32_e64 v5, 0, v5, s[26:27]
	s_and_b64 vcc, s[26:27], vcc
	v_cndmask_b32_e32 v6, 0, v6, vcc
	v_add_u32_e32 v3, v3, v5
	v_add_u32_e32 v2, v6, v2
	v_cmp_eq_u32_e32 vcc, 0, v3
	v_mov_b32_dpp v5, v3 row_shr:4 row_mask:0xf bank_mask:0xf
	v_cmp_lt_u32_e64 s[26:27], 3, v4
	v_mov_b32_dpp v6, v2 row_shr:4 row_mask:0xf bank_mask:0xf
	v_cndmask_b32_e64 v5, 0, v5, s[26:27]
	s_and_b64 vcc, s[26:27], vcc
	v_cndmask_b32_e32 v6, 0, v6, vcc
	v_add_u32_e32 v3, v5, v3
	v_add_u32_e32 v2, v2, v6
	v_cmp_eq_u32_e32 vcc, 0, v3
	v_cmp_lt_u32_e64 s[26:27], 7, v4
	v_mov_b32_dpp v5, v3 row_shr:8 row_mask:0xf bank_mask:0xf
	v_mov_b32_dpp v6, v2 row_shr:8 row_mask:0xf bank_mask:0xf
	s_and_b64 vcc, s[26:27], vcc
	v_cndmask_b32_e64 v4, 0, v5, s[26:27]
	v_cndmask_b32_e32 v5, 0, v6, vcc
	v_add_u32_e32 v2, v5, v2
	v_add_u32_e32 v3, v4, v3
	v_bfe_i32 v6, v39, 4, 1
	v_mov_b32_dpp v5, v2 row_bcast:15 row_mask:0xf bank_mask:0xf
	v_mov_b32_dpp v4, v3 row_bcast:15 row_mask:0xf bank_mask:0xf
	v_cmp_eq_u32_e32 vcc, 0, v3
	v_cndmask_b32_e32 v5, 0, v5, vcc
	v_and_b32_e32 v4, v6, v4
	v_add_u32_e32 v3, v4, v3
	v_and_b32_e32 v4, v6, v5
	v_add_u32_e32 v4, v4, v2
	v_mov_b32_dpp v2, v3 row_bcast:31 row_mask:0xf bank_mask:0xf
	v_cmp_eq_u32_e32 vcc, 0, v3
	v_cmp_lt_u32_e64 s[26:27], 31, v39
	v_mov_b32_dpp v5, v4 row_bcast:31 row_mask:0xf bank_mask:0xf
	v_cndmask_b32_e64 v2, 0, v2, s[26:27]
	s_and_b64 vcc, s[26:27], vcc
	v_add_u32_e32 v2, v2, v3
	v_cndmask_b32_e32 v3, 0, v5, vcc
	v_add_u32_e32 v3, v3, v4
	v_cmp_eq_u32_e32 vcc, v84, v0
	v_lshlrev_b32_e32 v4, 3, v83
	s_and_saveexec_b64 s[26:27], vcc
	s_cbranch_execz .LBB825_88
; %bb.87:
	ds_write_b64 v4, v[2:3] offset:2064
.LBB825_88:
	s_or_b64 exec, exec, s[26:27]
	v_cmp_gt_u32_e32 vcc, 4, v0
	s_waitcnt lgkmcnt(0)
	s_barrier
	s_and_saveexec_b64 s[30:31], vcc
	s_cbranch_execz .LBB825_90
; %bb.89:
	v_lshlrev_b32_e32 v5, 3, v0
	ds_read_b64 v[6:7], v5 offset:2064
	v_and_b32_e32 v36, 3, v39
	v_cmp_lt_u32_e64 s[26:27], 1, v36
	s_waitcnt lgkmcnt(0)
	v_mov_b32_dpp v38, v7 row_shr:1 row_mask:0xf bank_mask:0xf
	v_cmp_eq_u32_e32 vcc, 0, v6
	v_mov_b32_dpp v37, v6 row_shr:1 row_mask:0xf bank_mask:0xf
	v_cndmask_b32_e32 v38, 0, v38, vcc
	v_cmp_eq_u32_e32 vcc, 0, v36
	v_cndmask_b32_e64 v37, v37, 0, vcc
	v_add_u32_e32 v6, v37, v6
	v_cndmask_b32_e64 v37, v38, 0, vcc
	v_add_u32_e32 v7, v37, v7
	v_cmp_eq_u32_e32 vcc, 0, v6
	v_mov_b32_dpp v37, v6 row_shr:2 row_mask:0xf bank_mask:0xf
	v_mov_b32_dpp v38, v7 row_shr:2 row_mask:0xf bank_mask:0xf
	v_cndmask_b32_e64 v36, 0, v37, s[26:27]
	s_and_b64 vcc, s[26:27], vcc
	v_add_u32_e32 v6, v36, v6
	v_cndmask_b32_e32 v36, 0, v38, vcc
	v_add_u32_e32 v7, v36, v7
	ds_write_b64 v5, v[6:7] offset:2064
.LBB825_90:
	s_or_b64 exec, exec, s[30:31]
	v_cmp_gt_u32_e32 vcc, 64, v0
	v_cmp_lt_u32_e64 s[26:27], 63, v0
	v_mov_b32_e32 v36, 0
	v_mov_b32_e32 v37, 0
	s_waitcnt lgkmcnt(0)
	s_barrier
	s_and_saveexec_b64 s[30:31], s[26:27]
	s_cbranch_execz .LBB825_92
; %bb.91:
	ds_read_b64 v[36:37], v4 offset:2056
	v_cmp_eq_u32_e64 s[26:27], 0, v2
	s_waitcnt lgkmcnt(0)
	v_add_u32_e32 v4, v36, v2
	v_cndmask_b32_e64 v2, 0, v37, s[26:27]
	v_add_u32_e32 v3, v2, v3
	v_mov_b32_e32 v2, v4
.LBB825_92:
	s_or_b64 exec, exec, s[30:31]
	v_add_u32_e32 v4, -1, v39
	v_and_b32_e32 v5, 64, v39
	v_cmp_lt_i32_e64 s[26:27], v4, v5
	v_cndmask_b32_e64 v4, v4, v39, s[26:27]
	v_lshlrev_b32_e32 v4, 2, v4
	ds_bpermute_b32 v44, v4, v2
	ds_bpermute_b32 v45, v4, v3
	v_cmp_eq_u32_e64 s[26:27], 0, v39
	s_and_saveexec_b64 s[40:41], vcc
	s_cbranch_execz .LBB825_115
; %bb.93:
	v_mov_b32_e32 v7, 0
	ds_read_b64 v[2:3], v7 offset:2088
	s_waitcnt lgkmcnt(0)
	v_readfirstlane_b32 s7, v2
	v_readfirstlane_b32 s48, v3
	s_and_saveexec_b64 s[30:31], s[26:27]
	s_cbranch_execz .LBB825_95
; %bb.94:
	s_add_i32 s46, s6, 64
	s_mov_b32 s47, 0
	s_lshl_b64 s[50:51], s[46:47], 4
	s_add_u32 s50, s44, s50
	s_addc_u32 s51, s45, s51
	s_and_b32 s57, s48, 0xff000000
	s_mov_b32 s56, s47
	s_and_b32 s63, s48, 0xff0000
	s_mov_b32 s62, s47
	s_or_b64 s[56:57], s[62:63], s[56:57]
	s_and_b32 s63, s48, 0xff00
	s_or_b64 s[56:57], s[56:57], s[62:63]
	s_and_b32 s63, s48, 0xff
	s_or_b64 s[46:47], s[56:57], s[62:63]
	v_mov_b32_e32 v4, s7
	v_mov_b32_e32 v5, s47
	;; [unrolled: 1-line block ×3, first 2 shown]
	v_pk_mov_b32 v[2:3], s[50:51], s[50:51] op_sel:[0,1]
	;;#ASMSTART
	global_store_dwordx4 v[2:3], v[4:7] off	
s_waitcnt vmcnt(0)
	;;#ASMEND
.LBB825_95:
	s_or_b64 exec, exec, s[30:31]
	v_xad_u32 v38, v39, -1, s6
	v_add_u32_e32 v6, 64, v38
	v_lshlrev_b64 v[2:3], 4, v[6:7]
	v_mov_b32_e32 v4, s45
	v_add_co_u32_e32 v40, vcc, s44, v2
	v_addc_co_u32_e32 v41, vcc, v4, v3, vcc
	;;#ASMSTART
	global_load_dwordx4 v[2:5], v[40:41] off glc	
s_waitcnt vmcnt(0)
	;;#ASMEND
	v_and_b32_e32 v5, 0xff, v3
	v_and_b32_e32 v6, 0xff00, v3
	;; [unrolled: 1-line block ×3, first 2 shown]
	v_or3_b32 v5, 0, v5, v6
	v_or3_b32 v2, v2, 0, 0
	v_and_b32_e32 v3, 0xff000000, v3
	v_or3_b32 v3, v5, v42, v3
	v_or3_b32 v2, v2, 0, 0
	v_cmp_eq_u16_sdwa s[46:47], v4, v7 src0_sel:BYTE_0 src1_sel:DWORD
	s_and_saveexec_b64 s[30:31], s[46:47]
	s_cbranch_execz .LBB825_101
; %bb.96:
	s_mov_b32 s49, 1
	s_mov_b64 s[46:47], 0
	v_mov_b32_e32 v6, 0
.LBB825_97:                             ; =>This Loop Header: Depth=1
                                        ;     Child Loop BB825_98 Depth 2
	s_max_u32 s50, s49, 1
.LBB825_98:                             ;   Parent Loop BB825_97 Depth=1
                                        ; =>  This Inner Loop Header: Depth=2
	s_add_i32 s50, s50, -1
	s_cmp_eq_u32 s50, 0
	s_sleep 1
	s_cbranch_scc0 .LBB825_98
; %bb.99:                               ;   in Loop: Header=BB825_97 Depth=1
	s_cmp_lt_u32 s49, 32
	s_cselect_b64 s[50:51], -1, 0
	s_cmp_lg_u64 s[50:51], 0
	s_addc_u32 s49, s49, 0
	;;#ASMSTART
	global_load_dwordx4 v[2:5], v[40:41] off glc	
s_waitcnt vmcnt(0)
	;;#ASMEND
	v_cmp_ne_u16_sdwa s[50:51], v4, v6 src0_sel:BYTE_0 src1_sel:DWORD
	s_or_b64 s[46:47], s[50:51], s[46:47]
	s_andn2_b64 exec, exec, s[46:47]
	s_cbranch_execnz .LBB825_97
; %bb.100:
	s_or_b64 exec, exec, s[46:47]
.LBB825_101:
	s_or_b64 exec, exec, s[30:31]
	v_mov_b32_e32 v46, 2
	v_cmp_eq_u16_sdwa s[30:31], v4, v46 src0_sel:BYTE_0 src1_sel:DWORD
	v_lshlrev_b64 v[40:41], v39, -1
	v_and_b32_e32 v5, s31, v41
	v_and_b32_e32 v47, 63, v39
	v_or_b32_e32 v5, 0x80000000, v5
	v_cmp_ne_u32_e32 vcc, 63, v47
	v_and_b32_e32 v6, s30, v40
	v_ffbl_b32_e32 v5, v5
	v_addc_co_u32_e32 v7, vcc, 0, v39, vcc
	v_add_u32_e32 v5, 32, v5
	v_ffbl_b32_e32 v6, v6
	v_lshlrev_b32_e32 v48, 2, v7
	v_min_u32_e32 v5, v6, v5
	ds_bpermute_b32 v6, v48, v3
	v_cmp_eq_u32_e32 vcc, 0, v2
	v_cmp_lt_u32_e64 s[30:31], v47, v5
	ds_bpermute_b32 v7, v48, v2
	s_and_b64 vcc, s[30:31], vcc
	s_waitcnt lgkmcnt(1)
	v_cndmask_b32_e32 v6, 0, v6, vcc
	v_cmp_gt_u32_e32 vcc, 62, v47
	v_add_u32_e32 v3, v6, v3
	v_cndmask_b32_e64 v6, 0, 1, vcc
	v_lshlrev_b32_e32 v6, 1, v6
	v_add_lshl_u32 v49, v6, v39, 2
	s_waitcnt lgkmcnt(0)
	v_cndmask_b32_e64 v7, 0, v7, s[30:31]
	ds_bpermute_b32 v6, v49, v3
	v_add_u32_e32 v2, v7, v2
	ds_bpermute_b32 v7, v49, v2
	v_add_u32_e32 v50, 2, v47
	v_cmp_eq_u32_e32 vcc, 0, v2
	s_waitcnt lgkmcnt(1)
	v_cndmask_b32_e32 v6, 0, v6, vcc
	v_cmp_gt_u32_e32 vcc, v50, v5
	v_cndmask_b32_e64 v6, v6, 0, vcc
	v_add_u32_e32 v3, v6, v3
	s_waitcnt lgkmcnt(0)
	v_cndmask_b32_e64 v6, v7, 0, vcc
	v_cmp_gt_u32_e32 vcc, 60, v47
	v_cndmask_b32_e64 v7, 0, 1, vcc
	v_lshlrev_b32_e32 v7, 2, v7
	v_add_lshl_u32 v51, v7, v39, 2
	ds_bpermute_b32 v7, v51, v3
	v_add_u32_e32 v2, v2, v6
	ds_bpermute_b32 v6, v51, v2
	v_add_u32_e32 v52, 4, v47
	v_cmp_eq_u32_e32 vcc, 0, v2
	s_waitcnt lgkmcnt(1)
	v_cndmask_b32_e32 v7, 0, v7, vcc
	v_cmp_gt_u32_e32 vcc, v52, v5
	v_cndmask_b32_e64 v7, v7, 0, vcc
	s_waitcnt lgkmcnt(0)
	v_cndmask_b32_e64 v6, v6, 0, vcc
	v_cmp_gt_u32_e32 vcc, 56, v47
	v_add_u32_e32 v3, v3, v7
	v_cndmask_b32_e64 v7, 0, 1, vcc
	v_lshlrev_b32_e32 v7, 3, v7
	v_add_lshl_u32 v53, v7, v39, 2
	ds_bpermute_b32 v7, v53, v3
	v_add_u32_e32 v2, v2, v6
	ds_bpermute_b32 v6, v53, v2
	v_add_u32_e32 v54, 8, v47
	v_cmp_eq_u32_e32 vcc, 0, v2
	s_waitcnt lgkmcnt(1)
	v_cndmask_b32_e32 v7, 0, v7, vcc
	v_cmp_gt_u32_e32 vcc, v54, v5
	v_cndmask_b32_e64 v7, v7, 0, vcc
	s_waitcnt lgkmcnt(0)
	v_cndmask_b32_e64 v6, v6, 0, vcc
	v_cmp_gt_u32_e32 vcc, 48, v47
	v_add_u32_e32 v3, v3, v7
	;; [unrolled: 16-line block ×3, first 2 shown]
	v_cndmask_b32_e64 v7, 0, 1, vcc
	v_lshlrev_b32_e32 v7, 5, v7
	v_add_lshl_u32 v57, v7, v39, 2
	ds_bpermute_b32 v7, v57, v3
	v_add_u32_e32 v2, v2, v6
	ds_bpermute_b32 v6, v57, v2
	v_add_u32_e32 v58, 32, v47
	v_cmp_eq_u32_e32 vcc, 0, v2
	s_waitcnt lgkmcnt(1)
	v_cndmask_b32_e32 v7, 0, v7, vcc
	v_cmp_gt_u32_e32 vcc, v58, v5
	v_cndmask_b32_e64 v5, v7, 0, vcc
	v_add_u32_e32 v3, v5, v3
	s_waitcnt lgkmcnt(0)
	v_cndmask_b32_e64 v5, v6, 0, vcc
	v_add_u32_e32 v2, v5, v2
	v_mov_b32_e32 v39, 0
	s_branch .LBB825_103
.LBB825_102:                            ;   in Loop: Header=BB825_103 Depth=1
	s_or_b64 exec, exec, s[30:31]
	v_cmp_eq_u16_sdwa s[30:31], v4, v46 src0_sel:BYTE_0 src1_sel:DWORD
	v_and_b32_e32 v5, s31, v41
	v_or_b32_e32 v5, 0x80000000, v5
	v_and_b32_e32 v42, s30, v40
	v_ffbl_b32_e32 v5, v5
	v_add_u32_e32 v5, 32, v5
	v_ffbl_b32_e32 v42, v42
	v_min_u32_e32 v5, v42, v5
	ds_bpermute_b32 v42, v48, v3
	v_cmp_eq_u32_e32 vcc, 0, v2
	v_cmp_lt_u32_e64 s[30:31], v47, v5
	ds_bpermute_b32 v43, v48, v2
	s_and_b64 vcc, s[30:31], vcc
	s_waitcnt lgkmcnt(1)
	v_cndmask_b32_e32 v42, 0, v42, vcc
	v_add_u32_e32 v3, v42, v3
	ds_bpermute_b32 v42, v49, v3
	s_waitcnt lgkmcnt(1)
	v_cndmask_b32_e64 v43, 0, v43, s[30:31]
	v_add_u32_e32 v2, v43, v2
	v_cmp_eq_u32_e32 vcc, 0, v2
	ds_bpermute_b32 v43, v49, v2
	s_waitcnt lgkmcnt(1)
	v_cndmask_b32_e32 v42, 0, v42, vcc
	v_cmp_gt_u32_e32 vcc, v50, v5
	v_cndmask_b32_e64 v42, v42, 0, vcc
	v_add_u32_e32 v3, v42, v3
	ds_bpermute_b32 v42, v51, v3
	s_waitcnt lgkmcnt(1)
	v_cndmask_b32_e64 v43, v43, 0, vcc
	v_add_u32_e32 v2, v2, v43
	v_cmp_eq_u32_e32 vcc, 0, v2
	ds_bpermute_b32 v43, v51, v2
	s_waitcnt lgkmcnt(1)
	v_cndmask_b32_e32 v42, 0, v42, vcc
	v_cmp_gt_u32_e32 vcc, v52, v5
	v_cndmask_b32_e64 v42, v42, 0, vcc
	v_add_u32_e32 v3, v3, v42
	ds_bpermute_b32 v42, v53, v3
	s_waitcnt lgkmcnt(1)
	v_cndmask_b32_e64 v43, v43, 0, vcc
	v_add_u32_e32 v2, v2, v43
	ds_bpermute_b32 v43, v53, v2
	v_cmp_eq_u32_e32 vcc, 0, v2
	s_waitcnt lgkmcnt(1)
	v_cndmask_b32_e32 v42, 0, v42, vcc
	v_cmp_gt_u32_e32 vcc, v54, v5
	v_cndmask_b32_e64 v42, v42, 0, vcc
	v_add_u32_e32 v3, v3, v42
	ds_bpermute_b32 v42, v55, v3
	s_waitcnt lgkmcnt(1)
	v_cndmask_b32_e64 v43, v43, 0, vcc
	v_add_u32_e32 v2, v2, v43
	ds_bpermute_b32 v43, v55, v2
	v_cmp_eq_u32_e32 vcc, 0, v2
	;; [unrolled: 11-line block ×3, first 2 shown]
	s_waitcnt lgkmcnt(1)
	v_cndmask_b32_e32 v42, 0, v42, vcc
	v_cmp_gt_u32_e32 vcc, v58, v5
	v_cndmask_b32_e64 v5, v42, 0, vcc
	v_add_u32_e32 v3, v5, v3
	s_waitcnt lgkmcnt(0)
	v_cndmask_b32_e64 v5, v43, 0, vcc
	v_cmp_eq_u32_e32 vcc, 0, v6
	v_cndmask_b32_e32 v3, 0, v3, vcc
	v_subrev_u32_e32 v38, 64, v38
	v_add3_u32 v2, v2, v6, v5
	v_add_u32_e32 v3, v3, v7
.LBB825_103:                            ; =>This Loop Header: Depth=1
                                        ;     Child Loop BB825_106 Depth 2
                                        ;       Child Loop BB825_107 Depth 3
	v_cmp_ne_u16_sdwa s[30:31], v4, v46 src0_sel:BYTE_0 src1_sel:DWORD
	v_mov_b32_e32 v7, v3
	v_cndmask_b32_e64 v3, 0, 1, s[30:31]
	;;#ASMSTART
	;;#ASMEND
	v_cmp_ne_u32_e32 vcc, 0, v3
	s_cmp_lg_u64 vcc, exec
	v_mov_b32_e32 v6, v2
	s_cbranch_scc1 .LBB825_110
; %bb.104:                              ;   in Loop: Header=BB825_103 Depth=1
	v_lshlrev_b64 v[2:3], 4, v[38:39]
	v_mov_b32_e32 v4, s45
	v_add_co_u32_e32 v42, vcc, s44, v2
	v_addc_co_u32_e32 v43, vcc, v4, v3, vcc
	;;#ASMSTART
	global_load_dwordx4 v[2:5], v[42:43] off glc	
s_waitcnt vmcnt(0)
	;;#ASMEND
	v_and_b32_e32 v5, 0xff, v3
	v_and_b32_e32 v59, 0xff00, v3
	;; [unrolled: 1-line block ×3, first 2 shown]
	v_or3_b32 v5, 0, v5, v59
	v_or3_b32 v2, v2, 0, 0
	v_and_b32_e32 v3, 0xff000000, v3
	v_or3_b32 v3, v5, v60, v3
	v_or3_b32 v2, v2, 0, 0
	v_cmp_eq_u16_sdwa s[46:47], v4, v39 src0_sel:BYTE_0 src1_sel:DWORD
	s_and_saveexec_b64 s[30:31], s[46:47]
	s_cbranch_execz .LBB825_102
; %bb.105:                              ;   in Loop: Header=BB825_103 Depth=1
	s_mov_b32 s49, 1
	s_mov_b64 s[46:47], 0
.LBB825_106:                            ;   Parent Loop BB825_103 Depth=1
                                        ; =>  This Loop Header: Depth=2
                                        ;       Child Loop BB825_107 Depth 3
	s_max_u32 s50, s49, 1
.LBB825_107:                            ;   Parent Loop BB825_103 Depth=1
                                        ;     Parent Loop BB825_106 Depth=2
                                        ; =>    This Inner Loop Header: Depth=3
	s_add_i32 s50, s50, -1
	s_cmp_eq_u32 s50, 0
	s_sleep 1
	s_cbranch_scc0 .LBB825_107
; %bb.108:                              ;   in Loop: Header=BB825_106 Depth=2
	s_cmp_lt_u32 s49, 32
	s_cselect_b64 s[50:51], -1, 0
	s_cmp_lg_u64 s[50:51], 0
	s_addc_u32 s49, s49, 0
	;;#ASMSTART
	global_load_dwordx4 v[2:5], v[42:43] off glc	
s_waitcnt vmcnt(0)
	;;#ASMEND
	v_cmp_ne_u16_sdwa s[50:51], v4, v39 src0_sel:BYTE_0 src1_sel:DWORD
	s_or_b64 s[46:47], s[50:51], s[46:47]
	s_andn2_b64 exec, exec, s[46:47]
	s_cbranch_execnz .LBB825_106
; %bb.109:                              ;   in Loop: Header=BB825_103 Depth=1
	s_or_b64 exec, exec, s[46:47]
	s_branch .LBB825_102
.LBB825_110:                            ;   in Loop: Header=BB825_103 Depth=1
                                        ; implicit-def: $vgpr3
                                        ; implicit-def: $vgpr2
                                        ; implicit-def: $vgpr4
	s_cbranch_execz .LBB825_103
; %bb.111:
	s_and_saveexec_b64 s[30:31], s[26:27]
	s_cbranch_execz .LBB825_113
; %bb.112:
	s_cmp_eq_u32 s7, 0
	s_cselect_b64 vcc, -1, 0
	s_mov_b32 s47, 0
	v_cndmask_b32_e32 v2, 0, v7, vcc
	s_add_i32 s46, s6, 64
	v_add_u32_e32 v2, s48, v2
	s_lshl_b64 s[46:47], s[46:47], 4
	s_add_u32 s46, s44, s46
	v_and_b32_e32 v3, 0xff000000, v2
	v_and_b32_e32 v4, 0xff0000, v2
	s_addc_u32 s47, s45, s47
	v_or_b32_e32 v3, v4, v3
	v_and_b32_e32 v4, 0xff00, v2
	v_and_b32_e32 v2, 0xff, v2
	v_add_u32_e32 v38, s7, v6
	v_mov_b32_e32 v41, 0
	v_or3_b32 v39, v3, v4, v2
	v_mov_b32_e32 v40, 2
	v_pk_mov_b32 v[2:3], s[46:47], s[46:47] op_sel:[0,1]
	;;#ASMSTART
	global_store_dwordx4 v[2:3], v[38:41] off	
s_waitcnt vmcnt(0)
	;;#ASMEND
	v_mov_b32_e32 v4, s7
	v_mov_b32_e32 v5, s48
	ds_write_b128 v41, v[4:7] offset:2048
.LBB825_113:
	s_or_b64 exec, exec, s[30:31]
	v_cmp_eq_u32_e32 vcc, 0, v0
	s_and_b64 exec, exec, vcc
	s_cbranch_execz .LBB825_115
; %bb.114:
	v_mov_b32_e32 v2, 0
	ds_write_b64 v2, v[6:7] offset:2088
.LBB825_115:
	s_or_b64 exec, exec, s[40:41]
	v_mov_b32_e32 v4, 0
	s_waitcnt lgkmcnt(0)
	s_barrier
	ds_read_b64 v[2:3], v4 offset:2088
	v_cndmask_b32_e64 v6, v44, v36, s[26:27]
	v_cmp_eq_u32_e32 vcc, 0, v6
	v_cndmask_b32_e64 v5, v45, v37, s[26:27]
	s_waitcnt lgkmcnt(0)
	v_cndmask_b32_e32 v7, 0, v3, vcc
	v_add_u32_e32 v5, v7, v5
	v_cmp_eq_u32_e32 vcc, 0, v0
	v_cndmask_b32_e32 v65, v5, v3, vcc
	v_cndmask_b32_e64 v3, v6, 0, vcc
	v_cmp_eq_u32_e32 vcc, 0, v81
	v_add_u32_e32 v64, v2, v3
	v_cndmask_b32_e32 v2, 0, v65, vcc
	v_add_u32_e32 v63, v2, v34
	v_cndmask_b32_e64 v2, 0, v63, s[24:25]
	v_add_u32_e32 v61, v2, v35
	v_cndmask_b32_e64 v2, 0, v61, s[22:23]
	v_add_u32_e32 v59, v2, v32
	v_cndmask_b32_e64 v2, 0, v59, s[20:21]
	v_add_u32_e32 v57, v2, v33
	v_cndmask_b32_e64 v2, 0, v57, s[18:19]
	v_add_u32_e32 v55, v2, v30
	v_cndmask_b32_e64 v2, 0, v55, s[16:17]
	v_add_u32_e32 v53, v2, v31
	v_cndmask_b32_e64 v2, 0, v53, s[14:15]
	v_add_u32_e32 v51, v2, v28
	v_cndmask_b32_e64 v2, 0, v51, s[12:13]
	v_add_u32_e32 v49, v2, v29
	v_cndmask_b32_e64 v2, 0, v49, s[10:11]
	v_add_u32_e32 v62, v64, v81
	v_add_u32_e32 v47, v2, v26
	v_add_u32_e32 v60, v62, v79
	v_cndmask_b32_e64 v2, 0, v47, s[8:9]
	v_add_u32_e32 v58, v60, v78
	v_add_u32_e32 v45, v2, v27
	v_add_u32_e32 v56, v58, v77
	v_cndmask_b32_e64 v2, 0, v45, s[28:29]
	;; [unrolled: 4-line block ×3, first 2 shown]
	v_add_u32_e32 v50, v52, v74
	v_add_u32_e32 v41, v2, v25
	s_barrier
	ds_read_b128 v[2:5], v4 offset:2048
	v_add_u32_e32 v48, v50, v73
	v_add_u32_e32 v46, v48, v72
	;; [unrolled: 1-line block ×4, first 2 shown]
	v_cndmask_b32_e64 v6, 0, v41, s[2:3]
	v_add_u32_e32 v40, v42, v69
	v_add_u32_e32 v39, v6, v22
	s_waitcnt lgkmcnt(0)
	v_cmp_eq_u32_e32 vcc, 0, v2
	v_add_u32_e32 v38, v40, v68
	v_cndmask_b32_e64 v6, 0, v39, s[0:1]
	v_cndmask_b32_e32 v5, 0, v5, vcc
	v_add_u32_e32 v36, v38, v67
	v_add_u32_e32 v37, v6, v23
	;; [unrolled: 1-line block ×3, first 2 shown]
	s_branch .LBB825_128
.LBB825_116:
                                        ; implicit-def: $vgpr2
                                        ; implicit-def: $vgpr80
                                        ; implicit-def: $vgpr64_vgpr65
                                        ; implicit-def: $vgpr62_vgpr63
                                        ; implicit-def: $vgpr60_vgpr61
                                        ; implicit-def: $vgpr58_vgpr59
                                        ; implicit-def: $vgpr56_vgpr57
                                        ; implicit-def: $vgpr54_vgpr55
                                        ; implicit-def: $vgpr52_vgpr53
                                        ; implicit-def: $vgpr50_vgpr51
                                        ; implicit-def: $vgpr48_vgpr49
                                        ; implicit-def: $vgpr46_vgpr47
                                        ; implicit-def: $vgpr44_vgpr45
                                        ; implicit-def: $vgpr42_vgpr43
                                        ; implicit-def: $vgpr40_vgpr41
                                        ; implicit-def: $vgpr38_vgpr39
                                        ; implicit-def: $vgpr36_vgpr37
	s_cbranch_execz .LBB825_128
; %bb.117:
	s_and_b64 s[0:1], s[38:39], exec
	s_cselect_b32 s1, 0, s61
	s_cselect_b32 s0, 0, s60
	s_cmp_eq_u64 s[0:1], 0
	v_mov_b32_e32 v6, v34
	s_cbranch_scc1 .LBB825_119
; %bb.118:
	v_mov_b32_e32 v2, 0
	global_load_dword v6, v2, s[0:1]
.LBB825_119:
	v_cmp_eq_u32_e64 s[0:1], 0, v79
	v_cndmask_b32_e64 v2, 0, v34, s[0:1]
	v_add_u32_e32 v2, v2, v35
	v_cmp_eq_u32_e64 s[2:3], 0, v78
	v_cndmask_b32_e64 v2, 0, v2, s[2:3]
	v_add_u32_e32 v2, v2, v32
	;; [unrolled: 3-line block ×11, first 2 shown]
	v_cmp_eq_u32_e64 s[22:23], 0, v68
	v_cndmask_b32_e64 v2, 0, v2, s[22:23]
	v_add3_u32 v3, v86, v75, v74
	v_add_u32_e32 v2, v2, v22
	v_cmp_eq_u32_e32 vcc, 0, v67
	v_add3_u32 v3, v3, v73, v72
	v_cndmask_b32_e32 v2, 0, v2, vcc
	v_add3_u32 v3, v3, v71, v70
	v_add_u32_e32 v2, v2, v23
	v_cmp_eq_u32_e64 s[24:25], 0, v66
	v_add3_u32 v3, v3, v69, v68
	v_cndmask_b32_e64 v2, 0, v2, s[24:25]
	v_add3_u32 v3, v3, v67, v66
	v_add_u32_e32 v2, v2, v82
	v_mbcnt_hi_u32_b32 v7, -1, v85
	v_and_b32_e32 v4, 15, v7
	v_mov_b32_dpp v36, v2 row_shr:1 row_mask:0xf bank_mask:0xf
	v_cmp_eq_u32_e64 s[24:25], 0, v3
	v_mov_b32_dpp v5, v3 row_shr:1 row_mask:0xf bank_mask:0xf
	v_cndmask_b32_e64 v36, 0, v36, s[24:25]
	v_cmp_eq_u32_e64 s[24:25], 0, v4
	v_cndmask_b32_e64 v5, v5, 0, s[24:25]
	v_add_u32_e32 v3, v5, v3
	v_cndmask_b32_e64 v5, v36, 0, s[24:25]
	v_add_u32_e32 v2, v5, v2
	v_cmp_eq_u32_e64 s[24:25], 0, v3
	v_mov_b32_dpp v5, v3 row_shr:2 row_mask:0xf bank_mask:0xf
	v_cmp_lt_u32_e64 s[26:27], 1, v4
	v_mov_b32_dpp v36, v2 row_shr:2 row_mask:0xf bank_mask:0xf
	v_cndmask_b32_e64 v5, 0, v5, s[26:27]
	s_and_b64 s[24:25], s[26:27], s[24:25]
	v_cndmask_b32_e64 v36, 0, v36, s[24:25]
	v_add_u32_e32 v3, v3, v5
	v_add_u32_e32 v2, v36, v2
	v_cmp_eq_u32_e64 s[24:25], 0, v3
	v_mov_b32_dpp v5, v3 row_shr:4 row_mask:0xf bank_mask:0xf
	v_cmp_lt_u32_e64 s[26:27], 3, v4
	v_mov_b32_dpp v36, v2 row_shr:4 row_mask:0xf bank_mask:0xf
	v_cndmask_b32_e64 v5, 0, v5, s[26:27]
	s_and_b64 s[24:25], s[26:27], s[24:25]
	v_cndmask_b32_e64 v36, 0, v36, s[24:25]
	v_add_u32_e32 v3, v5, v3
	v_add_u32_e32 v2, v2, v36
	v_cmp_eq_u32_e64 s[24:25], 0, v3
	v_cmp_lt_u32_e64 s[26:27], 7, v4
	v_mov_b32_dpp v5, v3 row_shr:8 row_mask:0xf bank_mask:0xf
	v_mov_b32_dpp v36, v2 row_shr:8 row_mask:0xf bank_mask:0xf
	s_and_b64 s[24:25], s[26:27], s[24:25]
	v_cndmask_b32_e64 v4, 0, v5, s[26:27]
	v_cndmask_b32_e64 v5, 0, v36, s[24:25]
	v_add_u32_e32 v2, v5, v2
	v_add_u32_e32 v3, v4, v3
	v_bfe_i32 v36, v7, 4, 1
	v_mov_b32_dpp v5, v2 row_bcast:15 row_mask:0xf bank_mask:0xf
	v_mov_b32_dpp v4, v3 row_bcast:15 row_mask:0xf bank_mask:0xf
	v_cmp_eq_u32_e64 s[24:25], 0, v3
	v_cndmask_b32_e64 v5, 0, v5, s[24:25]
	v_and_b32_e32 v4, v36, v4
	v_add_u32_e32 v3, v4, v3
	v_and_b32_e32 v4, v36, v5
	v_add_u32_e32 v4, v4, v2
	v_mov_b32_dpp v2, v3 row_bcast:31 row_mask:0xf bank_mask:0xf
	v_cmp_eq_u32_e64 s[24:25], 0, v3
	v_cmp_lt_u32_e64 s[26:27], 31, v7
	v_mov_b32_dpp v5, v4 row_bcast:31 row_mask:0xf bank_mask:0xf
	v_cndmask_b32_e64 v2, 0, v2, s[26:27]
	s_and_b64 s[24:25], s[26:27], s[24:25]
	v_add_u32_e32 v2, v2, v3
	v_cndmask_b32_e64 v3, 0, v5, s[24:25]
	v_add_u32_e32 v3, v3, v4
	v_cmp_eq_u32_e64 s[24:25], v84, v0
	s_and_saveexec_b64 s[26:27], s[24:25]
	s_cbranch_execz .LBB825_121
; %bb.120:
	v_lshlrev_b32_e32 v4, 3, v83
	ds_write_b64 v4, v[2:3] offset:2064
.LBB825_121:
	s_or_b64 exec, exec, s[26:27]
	v_cmp_gt_u32_e64 s[24:25], 4, v0
	s_waitcnt lgkmcnt(0)
	s_barrier
	s_and_saveexec_b64 s[28:29], s[24:25]
	s_cbranch_execz .LBB825_123
; %bb.122:
	v_lshlrev_b32_e32 v36, 3, v0
	ds_read_b64 v[4:5], v36 offset:2064
	v_and_b32_e32 v37, 3, v7
	v_cmp_lt_u32_e64 s[26:27], 1, v37
	s_waitcnt lgkmcnt(0)
	v_mov_b32_dpp v39, v5 row_shr:1 row_mask:0xf bank_mask:0xf
	v_cmp_eq_u32_e64 s[24:25], 0, v4
	v_mov_b32_dpp v38, v4 row_shr:1 row_mask:0xf bank_mask:0xf
	v_cndmask_b32_e64 v39, 0, v39, s[24:25]
	v_cmp_eq_u32_e64 s[24:25], 0, v37
	v_cndmask_b32_e64 v38, v38, 0, s[24:25]
	v_add_u32_e32 v4, v38, v4
	v_cndmask_b32_e64 v38, v39, 0, s[24:25]
	v_add_u32_e32 v5, v38, v5
	v_cmp_eq_u32_e64 s[24:25], 0, v4
	v_mov_b32_dpp v38, v4 row_shr:2 row_mask:0xf bank_mask:0xf
	v_mov_b32_dpp v39, v5 row_shr:2 row_mask:0xf bank_mask:0xf
	v_cndmask_b32_e64 v37, 0, v38, s[26:27]
	s_and_b64 s[24:25], s[26:27], s[24:25]
	v_add_u32_e32 v4, v37, v4
	v_cndmask_b32_e64 v37, 0, v39, s[24:25]
	v_add_u32_e32 v5, v37, v5
	ds_write_b64 v36, v[4:5] offset:2064
.LBB825_123:
	s_or_b64 exec, exec, s[28:29]
	v_cmp_lt_u32_e64 s[24:25], 63, v0
	v_mov_b32_e32 v36, 0
	v_mov_b32_e32 v4, 0
	s_waitcnt vmcnt(0)
	v_mov_b32_e32 v5, v6
	s_waitcnt lgkmcnt(0)
	s_barrier
	s_and_saveexec_b64 s[26:27], s[24:25]
	s_cbranch_execz .LBB825_125
; %bb.124:
	v_lshlrev_b32_e32 v4, 3, v83
	ds_read_b64 v[4:5], v4 offset:2056
	s_waitcnt lgkmcnt(0)
	v_cmp_eq_u32_e64 s[24:25], 0, v4
	v_cndmask_b32_e64 v37, 0, v6, s[24:25]
	v_add_u32_e32 v5, v37, v5
.LBB825_125:
	s_or_b64 exec, exec, s[26:27]
	v_cmp_eq_u32_e64 s[24:25], 0, v2
	v_add_u32_e32 v37, v4, v2
	v_cndmask_b32_e64 v2, 0, v5, s[24:25]
	v_add_u32_e32 v2, v2, v3
	v_add_u32_e32 v3, -1, v7
	v_and_b32_e32 v38, 64, v7
	v_cmp_lt_i32_e64 s[24:25], v3, v38
	v_cndmask_b32_e64 v3, v3, v7, s[24:25]
	v_lshlrev_b32_e32 v3, 2, v3
	ds_bpermute_b32 v37, v3, v37
	ds_bpermute_b32 v2, v3, v2
	v_cmp_eq_u32_e64 s[24:25], 0, v7
	v_cmp_eq_u32_e64 s[26:27], 0, v81
	s_waitcnt lgkmcnt(1)
	v_cndmask_b32_e64 v3, v37, v4, s[24:25]
	s_waitcnt lgkmcnt(0)
	v_cndmask_b32_e64 v2, v2, v5, s[24:25]
	v_cmp_eq_u32_e64 s[24:25], 0, v0
	v_cndmask_b32_e64 v65, v2, v6, s[24:25]
	v_cndmask_b32_e64 v2, 0, v65, s[26:27]
	v_add_u32_e32 v63, v2, v34
	v_cndmask_b32_e64 v2, 0, v63, s[0:1]
	v_add_u32_e32 v61, v2, v35
	;; [unrolled: 2-line block ×8, first 2 shown]
	v_cndmask_b32_e64 v64, v3, 0, s[24:25]
	v_cndmask_b32_e64 v2, 0, v49, s[14:15]
	v_add_u32_e32 v62, v64, v81
	v_add_u32_e32 v47, v2, v26
	v_add_u32_e32 v60, v62, v79
	v_cndmask_b32_e64 v2, 0, v47, s[16:17]
	v_add_u32_e32 v58, v60, v78
	v_add_u32_e32 v45, v2, v27
	v_add_u32_e32 v56, v58, v77
	;; [unrolled: 4-line block ×3, first 2 shown]
	v_cndmask_b32_e64 v2, 0, v43, s[20:21]
	v_add_u32_e32 v50, v52, v74
	v_add_u32_e32 v41, v2, v25
	ds_read_b64 v[2:3], v36 offset:2088
	v_add_u32_e32 v48, v50, v73
	v_add_u32_e32 v46, v48, v72
	;; [unrolled: 1-line block ×3, first 2 shown]
	v_cndmask_b32_e64 v4, 0, v41, s[22:23]
	v_add_u32_e32 v42, v44, v70
	v_add_u32_e32 v39, v4, v22
	;; [unrolled: 1-line block ×3, first 2 shown]
	v_cndmask_b32_e32 v4, 0, v39, vcc
	s_waitcnt lgkmcnt(0)
	v_cmp_eq_u32_e32 vcc, 0, v2
	v_add_u32_e32 v38, v40, v68
	v_add_u32_e32 v37, v4, v23
	v_cndmask_b32_e32 v4, 0, v6, vcc
	v_add_u32_e32 v36, v38, v67
	v_add_u32_e32 v80, v4, v3
	s_and_saveexec_b64 s[0:1], s[24:25]
	s_cbranch_execz .LBB825_127
; %bb.126:
	s_add_u32 s2, s44, 0x400
	v_and_b32_e32 v3, 0xff000000, v80
	v_and_b32_e32 v4, 0xff0000, v80
	s_addc_u32 s3, s45, 0
	v_or_b32_e32 v3, v4, v3
	v_and_b32_e32 v4, 0xff00, v80
	v_and_b32_e32 v6, 0xff, v80
	v_mov_b32_e32 v5, 0
	v_or3_b32 v3, v3, v4, v6
	v_mov_b32_e32 v4, 2
	v_pk_mov_b32 v[6:7], s[2:3], s[2:3] op_sel:[0,1]
	;;#ASMSTART
	global_store_dwordx4 v[6:7], v[2:5] off	
s_waitcnt vmcnt(0)
	;;#ASMEND
.LBB825_127:
	s_or_b64 exec, exec, s[0:1]
	v_mov_b32_e32 v4, 0
.LBB825_128:
	s_and_b64 s[0:1], s[38:39], exec
	s_cselect_b32 s1, 0, s59
	s_cselect_b32 s0, 0, s58
	s_cmp_eq_u64 s[0:1], 0
	v_pk_mov_b32 v[6:7], 0, 0
	s_barrier
	s_cbranch_scc1 .LBB825_130
; %bb.129:
	v_mov_b32_e32 v3, 0
	global_load_dwordx2 v[6:7], v3, s[0:1]
.LBB825_130:
	s_waitcnt vmcnt(0)
	v_lshlrev_b64 v[22:23], 2, v[6:7]
	v_mov_b32_e32 v3, s43
	v_add_co_u32_e32 v26, vcc, s42, v22
	v_mov_b32_e32 v5, 0
	v_addc_co_u32_e32 v27, vcc, v3, v23, vcc
	v_lshlrev_b64 v[24:25], 2, v[4:5]
	v_add_co_u32_e32 v3, vcc, v26, v24
	v_addc_co_u32_e32 v5, vcc, v27, v25, vcc
	v_cmp_eq_u32_e32 vcc, 0, v81
	v_cndmask_b32_e64 v26, 1, 2, vcc
	v_cmp_eq_u32_e32 vcc, 0, v79
	v_cndmask_b32_e64 v27, 1, 2, vcc
	v_cmp_eq_u32_e32 vcc, 0, v78
	v_and_b32_e32 v26, v27, v26
	v_cndmask_b32_e64 v27, 1, 2, vcc
	v_cmp_eq_u32_e32 vcc, 0, v77
	v_and_b32_e32 v26, v26, v27
	;; [unrolled: 3-line block ×13, first 2 shown]
	v_cndmask_b32_e64 v27, 1, 2, vcc
	s_movk_i32 s30, 0x100
	v_and_b32_e32 v26, v26, v27
	v_cmp_gt_u32_e32 vcc, s30, v2
	v_cmp_ne_u32_e64 s[28:29], 0, v81
	v_cmp_ne_u32_e64 s[26:27], 0, v79
	;; [unrolled: 1-line block ×15, first 2 shown]
	s_mov_b64 s[38:39], -1
	v_cmp_gt_i16_e64 s[30:31], 2, v26
	s_cbranch_vccz .LBB825_137
; %bb.131:
	s_and_saveexec_b64 s[38:39], s[30:31]
	s_cbranch_execz .LBB825_136
; %bb.132:
	v_cmp_ne_u16_e32 vcc, 1, v26
	s_mov_b64 s[40:41], 0
	s_and_saveexec_b64 s[30:31], vcc
	s_xor_b64 s[30:31], exec, s[30:31]
	s_cbranch_execnz .LBB825_193
; %bb.133:
	s_andn2_saveexec_b64 s[30:31], s[30:31]
	s_cbranch_execnz .LBB825_209
.LBB825_134:
	s_or_b64 exec, exec, s[30:31]
	s_and_b64 exec, exec, s[40:41]
	s_cbranch_execz .LBB825_136
.LBB825_135:
	v_sub_u32_e32 v28, v36, v4
	v_mov_b32_e32 v29, 0
	v_lshlrev_b64 v[28:29], 2, v[28:29]
	v_add_co_u32_e32 v28, vcc, v3, v28
	v_addc_co_u32_e32 v29, vcc, v5, v29, vcc
	global_store_dword v[28:29], v1, off
.LBB825_136:
	s_or_b64 exec, exec, s[38:39]
	s_mov_b64 s[38:39], 0
.LBB825_137:
	s_and_b64 vcc, exec, s[38:39]
	s_cbranch_vccz .LBB825_159
; %bb.138:
	v_cmp_gt_i16_e32 vcc, 2, v26
	s_and_saveexec_b64 s[30:31], vcc
	s_cbranch_execz .LBB825_143
; %bb.139:
	v_cmp_ne_u16_e32 vcc, 1, v26
	s_mov_b64 s[40:41], 0
	s_and_saveexec_b64 s[38:39], vcc
	s_xor_b64 s[38:39], exec, s[38:39]
	s_cbranch_execnz .LBB825_210
; %bb.140:
	s_andn2_saveexec_b64 s[0:1], s[38:39]
	s_cbranch_execnz .LBB825_226
.LBB825_141:
	s_or_b64 exec, exec, s[0:1]
	s_and_b64 exec, exec, s[40:41]
	s_cbranch_execz .LBB825_143
.LBB825_142:
	v_sub_u32_e32 v8, v36, v4
	v_lshlrev_b32_e32 v8, 2, v8
	ds_write_b32 v8, v1
.LBB825_143:
	s_or_b64 exec, exec, s[30:31]
	v_cmp_lt_u32_e32 vcc, v0, v2
	s_waitcnt lgkmcnt(0)
	s_barrier
	s_and_saveexec_b64 s[2:3], vcc
	s_cbranch_execz .LBB825_158
; %bb.144:
	v_xad_u32 v1, v0, -1, v2
	s_movk_i32 s0, 0x1700
	v_cmp_gt_u32_e64 s[4:5], s0, v1
	s_movk_i32 s0, 0x16ff
	v_cmp_lt_u32_e32 vcc, s0, v1
	v_mov_b32_e32 v8, v0
	s_and_saveexec_b64 s[6:7], vcc
	s_cbranch_execz .LBB825_155
; %bb.145:
	v_sub_u32_e32 v8, v0, v2
	v_or_b32_e32 v8, 0xff, v8
	v_cmp_ge_u32_e32 vcc, v8, v0
	s_mov_b64 s[0:1], -1
	v_mov_b32_e32 v8, v0
	s_and_saveexec_b64 s[8:9], vcc
	s_cbranch_execz .LBB825_154
; %bb.146:
	v_lshrrev_b32_e32 v12, 8, v1
	v_add_u32_e32 v8, -1, v12
	v_or_b32_e32 v1, 0x100, v0
	v_lshrrev_b32_e32 v9, 1, v8
	v_add_u32_e32 v13, 1, v9
	v_cmp_lt_u32_e32 vcc, 13, v8
	v_mov_b32_e32 v16, 0
	v_pk_mov_b32 v[8:9], v[0:1], v[0:1] op_sel:[0,1]
	s_and_saveexec_b64 s[10:11], vcc
	s_cbranch_execz .LBB825_150
; %bb.147:
	v_and_b32_e32 v14, -8, v13
	v_lshlrev_b32_e32 v15, 2, v0
	s_mov_b32 s14, 0
	s_mov_b64 s[12:13], 0
	v_mov_b32_e32 v11, 0
	v_pk_mov_b32 v[8:9], v[0:1], v[0:1] op_sel:[0,1]
.LBB825_148:                            ; =>This Inner Loop Header: Depth=1
	v_mov_b32_e32 v10, v8
	v_add_u32_e32 v14, -8, v14
	v_lshlrev_b64 v[96:97], 2, v[10:11]
	v_mov_b32_e32 v10, v9
	ds_read2st64_b32 v[18:19], v15 offset1:4
	s_add_i32 s14, s14, 16
	v_cmp_eq_u32_e32 vcc, 0, v14
	v_lshlrev_b64 v[100:101], 2, v[10:11]
	v_add_u32_e32 v10, 0x200, v8
	s_or_b64 s[12:13], vcc, s[12:13]
	v_add_co_u32_e32 v100, vcc, v3, v100
	v_add_u32_e32 v16, 0x200, v9
	v_mov_b32_e32 v17, v11
	ds_read2st64_b32 v[20:21], v15 offset0:8 offset1:12
	ds_read2st64_b32 v[28:29], v15 offset0:16 offset1:20
	v_add_co_u32_e64 v96, s[0:1], v3, v96
	v_addc_co_u32_e32 v101, vcc, v5, v101, vcc
	v_lshlrev_b64 v[102:103], 2, v[10:11]
	v_lshlrev_b64 v[98:99], 2, v[16:17]
	v_addc_co_u32_e64 v97, s[0:1], v5, v97, s[0:1]
	v_add_u32_e32 v10, 0x400, v8
	v_add_co_u32_e32 v102, vcc, v3, v102
	v_add_u32_e32 v26, 0x400, v9
	v_mov_b32_e32 v27, v11
	ds_read2st64_b32 v[32:33], v15 offset0:24 offset1:28
	v_add_co_u32_e64 v98, s[0:1], v3, v98
	v_addc_co_u32_e32 v103, vcc, v5, v103, vcc
	v_lshlrev_b64 v[104:105], 2, v[10:11]
	ds_read2st64_b32 v[82:83], v15 offset0:32 offset1:36
	ds_read2st64_b32 v[86:87], v15 offset0:40 offset1:44
	;; [unrolled: 1-line block ×4, first 2 shown]
	v_lshlrev_b64 v[26:27], 2, v[26:27]
	v_addc_co_u32_e64 v99, s[0:1], v5, v99, s[0:1]
	v_add_u32_e32 v10, 0x600, v8
	s_waitcnt lgkmcnt(7)
	global_store_dword v[96:97], v18, off
	global_store_dword v[100:101], v19, off
	s_waitcnt lgkmcnt(6)
	global_store_dword v[102:103], v20, off
	global_store_dword v[98:99], v21, off
	v_add_co_u32_e32 v18, vcc, v3, v104
	v_add_u32_e32 v30, 0x600, v9
	v_mov_b32_e32 v31, v11
	v_add_co_u32_e64 v26, s[0:1], v3, v26
	v_addc_co_u32_e32 v19, vcc, v5, v105, vcc
	v_lshlrev_b64 v[20:21], 2, v[10:11]
	v_lshlrev_b64 v[30:31], 2, v[30:31]
	v_addc_co_u32_e64 v27, s[0:1], v5, v27, s[0:1]
	v_add_u32_e32 v10, 0x800, v8
	s_waitcnt lgkmcnt(5)
	global_store_dword v[18:19], v28, off
	global_store_dword v[26:27], v29, off
	v_add_co_u32_e32 v18, vcc, v3, v20
	v_add_u32_e32 v34, 0x800, v9
	v_mov_b32_e32 v35, v11
	v_add_co_u32_e64 v30, s[0:1], v3, v30
	v_addc_co_u32_e32 v19, vcc, v5, v21, vcc
	v_lshlrev_b64 v[20:21], 2, v[10:11]
	v_lshlrev_b64 v[34:35], 2, v[34:35]
	v_addc_co_u32_e64 v31, s[0:1], v5, v31, s[0:1]
	v_add_u32_e32 v10, 0xa00, v8
	;; [unrolled: 12-line block ×4, first 2 shown]
	s_waitcnt lgkmcnt(2)
	global_store_dword v[18:19], v86, off
	global_store_dword v[84:85], v87, off
	v_add_co_u32_e32 v18, vcc, v3, v20
	v_add_u32_e32 v92, 0xe00, v9
	v_mov_b32_e32 v93, v11
	v_add_co_u32_e64 v88, s[0:1], v3, v88
	v_addc_co_u32_e32 v19, vcc, v5, v21, vcc
	v_lshlrev_b64 v[20:21], 2, v[10:11]
	v_lshlrev_b64 v[92:93], 2, v[92:93]
	v_addc_co_u32_e64 v89, s[0:1], v5, v89, s[0:1]
	s_waitcnt lgkmcnt(1)
	global_store_dword v[18:19], v90, off
	global_store_dword v[88:89], v91, off
	v_add_co_u32_e32 v18, vcc, v3, v20
	v_add_u32_e32 v15, 0x4000, v15
	v_add_u32_e32 v9, 0x1000, v9
	v_mov_b32_e32 v16, s14
	v_add_co_u32_e64 v92, s[0:1], v3, v92
	v_add_u32_e32 v8, 0x1000, v8
	v_addc_co_u32_e32 v19, vcc, v5, v21, vcc
	v_addc_co_u32_e64 v93, s[0:1], v5, v93, s[0:1]
	s_waitcnt lgkmcnt(0)
	global_store_dword v[18:19], v94, off
	global_store_dword v[92:93], v95, off
	s_andn2_b64 exec, exec, s[12:13]
	s_cbranch_execnz .LBB825_148
; %bb.149:
	s_or_b64 exec, exec, s[12:13]
.LBB825_150:
	s_or_b64 exec, exec, s[10:11]
	v_and_b32_e32 v1, 7, v13
	v_cmp_ne_u32_e32 vcc, 0, v1
	s_and_saveexec_b64 s[10:11], vcc
	s_cbranch_execz .LBB825_153
; %bb.151:
	v_lshlrev_b32_e32 v10, 2, v0
	v_lshl_or_b32 v13, v16, 10, v10
	s_mov_b64 s[12:13], 0
	v_mov_b32_e32 v11, 0
.LBB825_152:                            ; =>This Inner Loop Header: Depth=1
	ds_read2st64_b32 v[14:15], v13 offset1:4
	v_mov_b32_e32 v10, v8
	v_add_u32_e32 v1, -1, v1
	v_lshlrev_b64 v[16:17], 2, v[10:11]
	v_mov_b32_e32 v10, v9
	v_cmp_eq_u32_e32 vcc, 0, v1
	v_add_co_u32_e64 v16, s[0:1], v3, v16
	v_lshlrev_b64 v[18:19], 2, v[10:11]
	v_add_u32_e32 v8, 0x200, v8
	v_add_u32_e32 v13, 0x800, v13
	;; [unrolled: 1-line block ×3, first 2 shown]
	v_addc_co_u32_e64 v17, s[0:1], v5, v17, s[0:1]
	s_or_b64 s[12:13], vcc, s[12:13]
	v_add_co_u32_e32 v18, vcc, v3, v18
	v_addc_co_u32_e32 v19, vcc, v5, v19, vcc
	s_waitcnt lgkmcnt(0)
	global_store_dword v[16:17], v14, off
	global_store_dword v[18:19], v15, off
	s_andn2_b64 exec, exec, s[12:13]
	s_cbranch_execnz .LBB825_152
.LBB825_153:
	s_or_b64 exec, exec, s[10:11]
	v_add_u32_e32 v1, 1, v12
	v_and_b32_e32 v9, 0x1fffffe, v1
	v_cmp_ne_u32_e32 vcc, v1, v9
	v_lshl_or_b32 v8, v9, 8, v0
	s_orn2_b64 s[0:1], vcc, exec
.LBB825_154:
	s_or_b64 exec, exec, s[8:9]
	s_andn2_b64 s[4:5], s[4:5], exec
	s_and_b64 s[0:1], s[0:1], exec
	s_or_b64 s[4:5], s[4:5], s[0:1]
.LBB825_155:
	s_or_b64 exec, exec, s[6:7]
	s_and_b64 exec, exec, s[4:5]
	s_cbranch_execz .LBB825_158
; %bb.156:
	v_lshlrev_b32_e32 v1, 2, v8
	s_mov_b64 s[0:1], 0
	v_mov_b32_e32 v9, 0
.LBB825_157:                            ; =>This Inner Loop Header: Depth=1
	v_lshlrev_b64 v[10:11], 2, v[8:9]
	ds_read_b32 v12, v1
	v_add_co_u32_e32 v10, vcc, v3, v10
	v_add_u32_e32 v8, 0x100, v8
	v_addc_co_u32_e32 v11, vcc, v5, v11, vcc
	v_cmp_ge_u32_e32 vcc, v8, v2
	v_add_u32_e32 v1, 0x400, v1
	s_or_b64 s[0:1], vcc, s[0:1]
	s_waitcnt lgkmcnt(0)
	global_store_dword v[10:11], v12, off
	s_andn2_b64 exec, exec, s[0:1]
	s_cbranch_execnz .LBB825_157
.LBB825_158:
	s_or_b64 exec, exec, s[2:3]
.LBB825_159:
	s_cmpk_lg_i32 s33, 0xf00
	s_cselect_b64 s[0:1], -1, 0
	s_and_b64 s[0:1], s[34:35], s[0:1]
	v_cmp_eq_u32_e32 vcc, 0, v0
	v_cndmask_b32_e64 v8, 0, 1, s[0:1]
	s_and_b64 s[0:1], vcc, s[36:37]
	v_cndmask_b32_e64 v5, v81, 0, s[0:1]
	s_mul_hi_u32 s0, s33, 0x88888889
	s_lshr_b32 s0, s0, 3
	v_mad_i32_i24 v9, v0, -15, s33
	v_cmp_eq_u32_e32 vcc, s0, v0
	v_cmp_ne_u32_e64 s[0:1], 0, v9
	v_cndmask_b32_e64 v10, 1, v5, s[0:1]
	v_cmp_ne_u32_e64 s[0:1], 1, v9
	v_cndmask_b32_e64 v11, 1, v79, s[0:1]
	;; [unrolled: 2-line block ×15, first 2 shown]
	s_and_b64 vcc, s[34:35], vcc
	v_cndmask_b32_e32 v28, v66, v9, vcc
	v_cndmask_b32_e32 v27, v67, v27, vcc
	;; [unrolled: 1-line block ×15, first 2 shown]
	v_mov_b32_e32 v5, s53
	v_add_co_u32_e32 v9, vcc, s52, v22
	v_addc_co_u32_e32 v12, vcc, v5, v23, vcc
	v_cndmask_b32_e64 v1, 0, 1, s[36:37]
	v_add_co_u32_e32 v5, vcc, v9, v24
	v_addc_co_u32_e32 v12, vcc, v12, v25, vcc
	v_lshlrev_b32_e32 v9, 2, v1
	v_add_co_u32_e32 v9, vcc, v9, v5
	v_addc_co_u32_e32 v14, vcc, 0, v12, vcc
	v_add_co_u32_e32 v13, vcc, -4, v9
	v_addc_co_u32_e32 v14, vcc, -1, v14, vcc
	v_cmp_eq_u32_e32 vcc, 0, v10
	v_cmp_ne_u32_e64 s[28:29], 0, v10
	v_cndmask_b32_e64 v10, 1, 2, vcc
	v_cmp_eq_u32_e32 vcc, 0, v11
	v_cmp_ne_u32_e64 s[26:27], 0, v11
	v_cndmask_b32_e64 v11, 1, 2, vcc
	v_cmp_eq_u32_e32 vcc, 0, v31
	v_and_b32_e32 v10, v11, v10
	v_cndmask_b32_e64 v11, 1, 2, vcc
	v_cmp_eq_u32_e32 vcc, 0, v30
	v_and_b32_e32 v10, v10, v11
	;; [unrolled: 3-line block ×11, first 2 shown]
	v_cndmask_b32_e64 v11, 1, 2, vcc
	v_cmp_eq_u32_e32 vcc, 0, v27
	v_sub_u32_e32 v3, v2, v1
	v_and_b32_e32 v10, v10, v11
	v_cndmask_b32_e64 v11, 1, 2, vcc
	v_cmp_eq_u32_e32 vcc, 0, v28
	v_add_u32_e32 v3, v3, v8
	v_and_b32_e32 v10, v10, v11
	v_cndmask_b32_e64 v11, 1, 2, vcc
	s_movk_i32 s30, 0x100
	v_and_b32_e32 v10, v10, v11
	v_cmp_gt_u32_e32 vcc, s30, v3
	v_add_u32_e32 v9, v4, v1
	v_cmp_ne_u32_e64 s[24:25], 0, v31
	v_cmp_ne_u32_e64 s[22:23], 0, v30
	;; [unrolled: 1-line block ×13, first 2 shown]
	s_mov_b64 s[36:37], -1
	v_cmp_gt_i16_e64 s[30:31], 2, v10
	s_barrier
	s_cbranch_vccz .LBB825_166
; %bb.160:
	s_and_saveexec_b64 s[36:37], s[30:31]
	s_cbranch_execz .LBB825_165
; %bb.161:
	v_cmp_ne_u16_e32 vcc, 1, v10
	s_mov_b64 s[38:39], 0
	s_and_saveexec_b64 s[30:31], vcc
	s_xor_b64 s[30:31], exec, s[30:31]
	s_cbranch_execnz .LBB825_227
; %bb.162:
	s_andn2_saveexec_b64 s[30:31], s[30:31]
	s_cbranch_execnz .LBB825_243
.LBB825_163:
	s_or_b64 exec, exec, s[30:31]
	s_and_b64 exec, exec, s[38:39]
	s_cbranch_execz .LBB825_165
.LBB825_164:
	v_sub_u32_e32 v16, v36, v9
	v_mov_b32_e32 v17, 0
	v_lshlrev_b64 v[16:17], 2, v[16:17]
	v_add_co_u32_e32 v16, vcc, v13, v16
	v_addc_co_u32_e32 v17, vcc, v14, v17, vcc
	global_store_dword v[16:17], v37, off
.LBB825_165:
	s_or_b64 exec, exec, s[36:37]
	s_mov_b64 s[36:37], 0
.LBB825_166:
	s_and_b64 vcc, exec, s[36:37]
	s_cbranch_vccz .LBB825_188
; %bb.167:
	v_cmp_gt_i16_e32 vcc, 2, v10
	s_and_saveexec_b64 s[30:31], vcc
	s_cbranch_execz .LBB825_172
; %bb.168:
	v_cmp_ne_u16_e32 vcc, 1, v10
	s_mov_b64 s[38:39], 0
	s_and_saveexec_b64 s[36:37], vcc
	s_xor_b64 s[36:37], exec, s[36:37]
	s_cbranch_execnz .LBB825_244
; %bb.169:
	s_andn2_saveexec_b64 s[0:1], s[36:37]
	s_cbranch_execnz .LBB825_260
.LBB825_170:
	s_or_b64 exec, exec, s[0:1]
	s_and_b64 exec, exec, s[38:39]
	s_cbranch_execz .LBB825_172
.LBB825_171:
	v_sub_u32_e32 v9, v36, v9
	v_lshlrev_b32_e32 v9, 2, v9
	ds_write_b32 v9, v37
.LBB825_172:
	s_or_b64 exec, exec, s[30:31]
	v_cmp_lt_u32_e32 vcc, v0, v3
	s_waitcnt lgkmcnt(0)
	s_barrier
	s_and_saveexec_b64 s[2:3], vcc
	s_cbranch_execz .LBB825_187
; %bb.173:
	v_add_u32_e32 v10, v2, v8
	v_xad_u32 v8, v0, -1, v10
	v_sub_u32_e32 v9, v8, v1
	s_movk_i32 s0, 0x1900
	v_cmp_gt_u32_e64 s[4:5], s0, v9
	s_movk_i32 s0, 0x18ff
	v_cmp_lt_u32_e32 vcc, s0, v9
	v_mov_b32_e32 v8, v0
	s_and_saveexec_b64 s[6:7], vcc
	s_cbranch_execz .LBB825_184
; %bb.174:
	v_sub_u32_e32 v8, v0, v10
	v_add_u32_e32 v1, v8, v1
	v_or_b32_e32 v1, 0xff, v1
	v_cmp_ge_u32_e32 vcc, v1, v0
	s_mov_b64 s[0:1], -1
	v_mov_b32_e32 v8, v0
	s_and_saveexec_b64 s[8:9], vcc
	s_cbranch_execz .LBB825_183
; %bb.175:
	v_lshrrev_b32_e32 v15, 8, v9
	v_add_u32_e32 v8, -1, v15
	v_or_b32_e32 v1, 0x100, v0
	v_lshrrev_b32_e32 v9, 1, v8
	v_add_u32_e32 v17, 1, v9
	v_cmp_lt_u32_e32 vcc, 13, v8
	v_mov_b32_e32 v20, 0
	v_lshlrev_b32_e32 v16, 2, v0
	v_pk_mov_b32 v[8:9], v[0:1], v[0:1] op_sel:[0,1]
	s_and_saveexec_b64 s[10:11], vcc
	s_cbranch_execz .LBB825_179
; %bb.176:
	v_and_b32_e32 v18, -8, v17
	s_mov_b32 s14, 0
	s_mov_b64 s[12:13], 0
	v_mov_b32_e32 v11, 0
	v_mov_b32_e32 v19, v16
	v_pk_mov_b32 v[8:9], v[0:1], v[0:1] op_sel:[0,1]
.LBB825_177:                            ; =>This Inner Loop Header: Depth=1
	v_mov_b32_e32 v10, v8
	v_add_u32_e32 v18, -8, v18
	v_lshlrev_b64 v[50:51], 2, v[10:11]
	v_mov_b32_e32 v10, v9
	ds_read2st64_b32 v[22:23], v19 offset1:4
	s_add_i32 s14, s14, 16
	v_cmp_eq_u32_e32 vcc, 0, v18
	v_lshlrev_b64 v[54:55], 2, v[10:11]
	v_add_u32_e32 v10, 0x200, v8
	s_or_b64 s[12:13], vcc, s[12:13]
	v_add_co_u32_e32 v54, vcc, v13, v54
	v_add_u32_e32 v20, 0x200, v9
	v_mov_b32_e32 v21, v11
	ds_read2st64_b32 v[24:25], v19 offset0:8 offset1:12
	ds_read2st64_b32 v[28:29], v19 offset0:16 offset1:20
	v_add_co_u32_e64 v50, s[0:1], v13, v50
	v_addc_co_u32_e32 v55, vcc, v14, v55, vcc
	v_lshlrev_b64 v[56:57], 2, v[10:11]
	v_lshlrev_b64 v[52:53], 2, v[20:21]
	v_addc_co_u32_e64 v51, s[0:1], v14, v51, s[0:1]
	v_add_u32_e32 v10, 0x400, v8
	v_add_co_u32_e32 v56, vcc, v13, v56
	v_add_u32_e32 v26, 0x400, v9
	v_mov_b32_e32 v27, v11
	ds_read2st64_b32 v[32:33], v19 offset0:24 offset1:28
	v_add_co_u32_e64 v52, s[0:1], v13, v52
	v_addc_co_u32_e32 v57, vcc, v14, v57, vcc
	v_lshlrev_b64 v[58:59], 2, v[10:11]
	ds_read2st64_b32 v[36:37], v19 offset0:32 offset1:36
	ds_read2st64_b32 v[40:41], v19 offset0:40 offset1:44
	;; [unrolled: 1-line block ×4, first 2 shown]
	v_lshlrev_b64 v[26:27], 2, v[26:27]
	v_addc_co_u32_e64 v53, s[0:1], v14, v53, s[0:1]
	v_add_u32_e32 v10, 0x600, v8
	s_waitcnt lgkmcnt(7)
	global_store_dword v[50:51], v22, off
	global_store_dword v[54:55], v23, off
	s_waitcnt lgkmcnt(6)
	global_store_dword v[56:57], v24, off
	global_store_dword v[52:53], v25, off
	v_add_co_u32_e32 v22, vcc, v13, v58
	v_add_u32_e32 v30, 0x600, v9
	v_mov_b32_e32 v31, v11
	v_add_co_u32_e64 v26, s[0:1], v13, v26
	v_addc_co_u32_e32 v23, vcc, v14, v59, vcc
	v_lshlrev_b64 v[24:25], 2, v[10:11]
	v_lshlrev_b64 v[30:31], 2, v[30:31]
	v_addc_co_u32_e64 v27, s[0:1], v14, v27, s[0:1]
	v_add_u32_e32 v10, 0x800, v8
	s_waitcnt lgkmcnt(5)
	global_store_dword v[22:23], v28, off
	global_store_dword v[26:27], v29, off
	v_add_co_u32_e32 v22, vcc, v13, v24
	v_add_u32_e32 v34, 0x800, v9
	v_mov_b32_e32 v35, v11
	v_add_co_u32_e64 v30, s[0:1], v13, v30
	v_addc_co_u32_e32 v23, vcc, v14, v25, vcc
	v_lshlrev_b64 v[24:25], 2, v[10:11]
	v_lshlrev_b64 v[34:35], 2, v[34:35]
	v_addc_co_u32_e64 v31, s[0:1], v14, v31, s[0:1]
	v_add_u32_e32 v10, 0xa00, v8
	;; [unrolled: 12-line block ×4, first 2 shown]
	s_waitcnt lgkmcnt(2)
	global_store_dword v[22:23], v40, off
	global_store_dword v[38:39], v41, off
	v_add_co_u32_e32 v22, vcc, v13, v24
	v_add_u32_e32 v46, 0xe00, v9
	v_mov_b32_e32 v47, v11
	v_add_co_u32_e64 v42, s[0:1], v13, v42
	v_addc_co_u32_e32 v23, vcc, v14, v25, vcc
	v_lshlrev_b64 v[24:25], 2, v[10:11]
	v_lshlrev_b64 v[46:47], 2, v[46:47]
	v_addc_co_u32_e64 v43, s[0:1], v14, v43, s[0:1]
	s_waitcnt lgkmcnt(1)
	global_store_dword v[22:23], v44, off
	global_store_dword v[42:43], v45, off
	v_add_co_u32_e32 v22, vcc, v13, v24
	v_add_u32_e32 v19, 0x4000, v19
	v_add_u32_e32 v9, 0x1000, v9
	v_mov_b32_e32 v20, s14
	v_add_co_u32_e64 v46, s[0:1], v13, v46
	v_add_u32_e32 v8, 0x1000, v8
	v_addc_co_u32_e32 v23, vcc, v14, v25, vcc
	v_addc_co_u32_e64 v47, s[0:1], v14, v47, s[0:1]
	s_waitcnt lgkmcnt(0)
	global_store_dword v[22:23], v48, off
	global_store_dword v[46:47], v49, off
	s_andn2_b64 exec, exec, s[12:13]
	s_cbranch_execnz .LBB825_177
; %bb.178:
	s_or_b64 exec, exec, s[12:13]
.LBB825_179:
	s_or_b64 exec, exec, s[10:11]
	v_and_b32_e32 v1, 7, v17
	v_cmp_ne_u32_e32 vcc, 0, v1
	s_and_saveexec_b64 s[10:11], vcc
	s_cbranch_execz .LBB825_182
; %bb.180:
	v_lshl_or_b32 v16, v20, 10, v16
	s_mov_b64 s[12:13], 0
	v_mov_b32_e32 v11, 0
.LBB825_181:                            ; =>This Inner Loop Header: Depth=1
	ds_read2st64_b32 v[18:19], v16 offset1:4
	v_mov_b32_e32 v10, v8
	v_add_u32_e32 v1, -1, v1
	v_lshlrev_b64 v[20:21], 2, v[10:11]
	v_mov_b32_e32 v10, v9
	v_cmp_eq_u32_e32 vcc, 0, v1
	v_add_co_u32_e64 v20, s[0:1], v13, v20
	v_lshlrev_b64 v[22:23], 2, v[10:11]
	v_add_u32_e32 v8, 0x200, v8
	v_add_u32_e32 v16, 0x800, v16
	;; [unrolled: 1-line block ×3, first 2 shown]
	v_addc_co_u32_e64 v21, s[0:1], v14, v21, s[0:1]
	s_or_b64 s[12:13], vcc, s[12:13]
	v_add_co_u32_e32 v22, vcc, v13, v22
	v_addc_co_u32_e32 v23, vcc, v14, v23, vcc
	s_waitcnt lgkmcnt(0)
	global_store_dword v[20:21], v18, off
	global_store_dword v[22:23], v19, off
	s_andn2_b64 exec, exec, s[12:13]
	s_cbranch_execnz .LBB825_181
.LBB825_182:
	s_or_b64 exec, exec, s[10:11]
	v_add_u32_e32 v1, 1, v15
	v_and_b32_e32 v9, 0x1fffffe, v1
	v_cmp_ne_u32_e32 vcc, v1, v9
	v_lshl_or_b32 v8, v9, 8, v0
	s_orn2_b64 s[0:1], vcc, exec
.LBB825_183:
	s_or_b64 exec, exec, s[8:9]
	s_andn2_b64 s[4:5], s[4:5], exec
	s_and_b64 s[0:1], s[0:1], exec
	s_or_b64 s[4:5], s[4:5], s[0:1]
.LBB825_184:
	s_or_b64 exec, exec, s[6:7]
	s_and_b64 exec, exec, s[4:5]
	s_cbranch_execz .LBB825_187
; %bb.185:
	v_lshlrev_b32_e32 v1, 2, v8
	s_mov_b64 s[0:1], 0
	v_mov_b32_e32 v9, 0
.LBB825_186:                            ; =>This Inner Loop Header: Depth=1
	v_lshlrev_b64 v[10:11], 2, v[8:9]
	ds_read_b32 v15, v1
	v_add_co_u32_e32 v10, vcc, v13, v10
	v_add_u32_e32 v8, 0x100, v8
	v_addc_co_u32_e32 v11, vcc, v14, v11, vcc
	v_cmp_ge_u32_e32 vcc, v8, v3
	v_add_u32_e32 v1, 0x400, v1
	s_or_b64 s[0:1], vcc, s[0:1]
	s_waitcnt lgkmcnt(0)
	global_store_dword v[10:11], v15, off
	s_andn2_b64 exec, exec, s[0:1]
	s_cbranch_execnz .LBB825_186
.LBB825_187:
	s_or_b64 exec, exec, s[2:3]
.LBB825_188:
	s_movk_i32 s0, 0xff
	v_cmp_eq_u32_e32 vcc, s0, v0
	s_and_b64 s[0:1], vcc, s[34:35]
	s_and_saveexec_b64 s[2:3], s[0:1]
	s_cbranch_execz .LBB825_191
; %bb.189:
	v_add_co_u32_e32 v0, vcc, v2, v4
	v_addc_co_u32_e64 v1, s[0:1], 0, 0, vcc
	v_add_co_u32_e32 v0, vcc, v0, v6
	v_mov_b32_e32 v3, 0
	v_addc_co_u32_e32 v1, vcc, v1, v7, vcc
	s_cmpk_lg_i32 s33, 0xf00
	global_store_dwordx2 v3, v[0:1], s[54:55]
	s_cbranch_scc1 .LBB825_191
; %bb.190:
	v_lshlrev_b64 v[0:1], 2, v[2:3]
	v_add_co_u32_e32 v0, vcc, v5, v0
	v_addc_co_u32_e32 v1, vcc, v12, v1, vcc
	global_store_dword v[0:1], v80, off offset:-4
.LBB825_191:
	s_endpgm
.LBB825_192:
	s_or_b64 exec, exec, s[4:5]
	v_mov_b32_e32 v81, s10
	s_and_saveexec_b64 s[4:5], s[2:3]
	s_cbranch_execnz .LBB825_84
	s_branch .LBB825_85
.LBB825_193:
	s_and_saveexec_b64 s[40:41], s[28:29]
	s_cbranch_execnz .LBB825_261
; %bb.194:
	s_or_b64 exec, exec, s[40:41]
	s_and_saveexec_b64 s[40:41], s[26:27]
	s_cbranch_execnz .LBB825_262
.LBB825_195:
	s_or_b64 exec, exec, s[40:41]
	s_and_saveexec_b64 s[40:41], s[24:25]
	s_cbranch_execnz .LBB825_263
.LBB825_196:
	s_or_b64 exec, exec, s[40:41]
	s_and_saveexec_b64 s[40:41], s[22:23]
	s_cbranch_execnz .LBB825_264
.LBB825_197:
	s_or_b64 exec, exec, s[40:41]
	s_and_saveexec_b64 s[40:41], s[20:21]
	s_cbranch_execnz .LBB825_265
.LBB825_198:
	s_or_b64 exec, exec, s[40:41]
	s_and_saveexec_b64 s[40:41], s[18:19]
	s_cbranch_execnz .LBB825_266
.LBB825_199:
	s_or_b64 exec, exec, s[40:41]
	s_and_saveexec_b64 s[40:41], s[16:17]
	s_cbranch_execnz .LBB825_267
.LBB825_200:
	s_or_b64 exec, exec, s[40:41]
	s_and_saveexec_b64 s[40:41], s[14:15]
	s_cbranch_execnz .LBB825_268
.LBB825_201:
	s_or_b64 exec, exec, s[40:41]
	s_and_saveexec_b64 s[40:41], s[12:13]
	s_cbranch_execnz .LBB825_269
.LBB825_202:
	s_or_b64 exec, exec, s[40:41]
	s_and_saveexec_b64 s[40:41], s[10:11]
	s_cbranch_execnz .LBB825_270
.LBB825_203:
	s_or_b64 exec, exec, s[40:41]
	s_and_saveexec_b64 s[40:41], s[8:9]
	s_cbranch_execnz .LBB825_271
.LBB825_204:
	s_or_b64 exec, exec, s[40:41]
	s_and_saveexec_b64 s[40:41], s[6:7]
	s_cbranch_execnz .LBB825_272
.LBB825_205:
	s_or_b64 exec, exec, s[40:41]
	s_and_saveexec_b64 s[40:41], s[4:5]
	s_cbranch_execnz .LBB825_273
.LBB825_206:
	s_or_b64 exec, exec, s[40:41]
	s_and_saveexec_b64 s[40:41], s[2:3]
	s_cbranch_execz .LBB825_208
.LBB825_207:
	v_sub_u32_e32 v28, v38, v4
	v_mov_b32_e32 v29, 0
	v_lshlrev_b64 v[28:29], 2, v[28:29]
	v_add_co_u32_e32 v28, vcc, v3, v28
	v_addc_co_u32_e32 v29, vcc, v5, v29, vcc
	global_store_dword v[28:29], v9, off
.LBB825_208:
	s_or_b64 exec, exec, s[40:41]
	s_and_b64 s[40:41], s[0:1], exec
	s_andn2_saveexec_b64 s[30:31], s[30:31]
	s_cbranch_execz .LBB825_134
.LBB825_209:
	v_sub_u32_e32 v28, v64, v4
	v_mov_b32_e32 v29, 0
	v_lshlrev_b64 v[30:31], 2, v[28:29]
	v_add_co_u32_e32 v30, vcc, v3, v30
	v_addc_co_u32_e32 v31, vcc, v5, v31, vcc
	v_sub_u32_e32 v28, v62, v4
	global_store_dword v[30:31], v20, off
	v_lshlrev_b64 v[30:31], 2, v[28:29]
	v_add_co_u32_e32 v30, vcc, v3, v30
	v_addc_co_u32_e32 v31, vcc, v5, v31, vcc
	v_sub_u32_e32 v28, v60, v4
	global_store_dword v[30:31], v21, off
	v_lshlrev_b64 v[30:31], 2, v[28:29]
	v_add_co_u32_e32 v30, vcc, v3, v30
	v_addc_co_u32_e32 v31, vcc, v5, v31, vcc
	v_sub_u32_e32 v28, v58, v4
	global_store_dword v[30:31], v18, off
	v_lshlrev_b64 v[30:31], 2, v[28:29]
	v_add_co_u32_e32 v30, vcc, v3, v30
	v_addc_co_u32_e32 v31, vcc, v5, v31, vcc
	v_sub_u32_e32 v28, v56, v4
	global_store_dword v[30:31], v19, off
	v_lshlrev_b64 v[30:31], 2, v[28:29]
	v_add_co_u32_e32 v30, vcc, v3, v30
	v_addc_co_u32_e32 v31, vcc, v5, v31, vcc
	v_sub_u32_e32 v28, v54, v4
	global_store_dword v[30:31], v16, off
	v_lshlrev_b64 v[30:31], 2, v[28:29]
	v_add_co_u32_e32 v30, vcc, v3, v30
	v_addc_co_u32_e32 v31, vcc, v5, v31, vcc
	v_sub_u32_e32 v28, v52, v4
	global_store_dword v[30:31], v17, off
	v_lshlrev_b64 v[30:31], 2, v[28:29]
	v_add_co_u32_e32 v30, vcc, v3, v30
	v_addc_co_u32_e32 v31, vcc, v5, v31, vcc
	v_sub_u32_e32 v28, v50, v4
	global_store_dword v[30:31], v14, off
	v_lshlrev_b64 v[30:31], 2, v[28:29]
	v_add_co_u32_e32 v30, vcc, v3, v30
	v_addc_co_u32_e32 v31, vcc, v5, v31, vcc
	v_sub_u32_e32 v28, v48, v4
	global_store_dword v[30:31], v15, off
	v_lshlrev_b64 v[30:31], 2, v[28:29]
	v_add_co_u32_e32 v30, vcc, v3, v30
	v_addc_co_u32_e32 v31, vcc, v5, v31, vcc
	v_sub_u32_e32 v28, v46, v4
	global_store_dword v[30:31], v12, off
	v_lshlrev_b64 v[30:31], 2, v[28:29]
	v_add_co_u32_e32 v30, vcc, v3, v30
	v_addc_co_u32_e32 v31, vcc, v5, v31, vcc
	v_sub_u32_e32 v28, v44, v4
	global_store_dword v[30:31], v13, off
	v_lshlrev_b64 v[30:31], 2, v[28:29]
	v_add_co_u32_e32 v30, vcc, v3, v30
	v_addc_co_u32_e32 v31, vcc, v5, v31, vcc
	v_sub_u32_e32 v28, v42, v4
	global_store_dword v[30:31], v10, off
	v_lshlrev_b64 v[30:31], 2, v[28:29]
	v_add_co_u32_e32 v30, vcc, v3, v30
	v_addc_co_u32_e32 v31, vcc, v5, v31, vcc
	v_sub_u32_e32 v28, v40, v4
	global_store_dword v[30:31], v11, off
	v_lshlrev_b64 v[30:31], 2, v[28:29]
	v_add_co_u32_e32 v30, vcc, v3, v30
	v_sub_u32_e32 v28, v38, v4
	v_addc_co_u32_e32 v31, vcc, v5, v31, vcc
	v_lshlrev_b64 v[28:29], 2, v[28:29]
	v_add_co_u32_e32 v28, vcc, v3, v28
	v_addc_co_u32_e32 v29, vcc, v5, v29, vcc
	s_or_b64 s[40:41], s[40:41], exec
	global_store_dword v[30:31], v8, off
	global_store_dword v[28:29], v9, off
	s_or_b64 exec, exec, s[30:31]
	s_and_b64 exec, exec, s[40:41]
	s_cbranch_execnz .LBB825_135
	s_branch .LBB825_136
.LBB825_210:
	s_and_saveexec_b64 s[40:41], s[28:29]
	s_cbranch_execnz .LBB825_274
; %bb.211:
	s_or_b64 exec, exec, s[40:41]
	s_and_saveexec_b64 s[28:29], s[26:27]
	s_cbranch_execnz .LBB825_275
.LBB825_212:
	s_or_b64 exec, exec, s[28:29]
	s_and_saveexec_b64 s[26:27], s[24:25]
	s_cbranch_execnz .LBB825_276
.LBB825_213:
	s_or_b64 exec, exec, s[26:27]
	s_and_saveexec_b64 s[24:25], s[22:23]
	s_cbranch_execnz .LBB825_277
.LBB825_214:
	s_or_b64 exec, exec, s[24:25]
	s_and_saveexec_b64 s[22:23], s[20:21]
	s_cbranch_execnz .LBB825_278
.LBB825_215:
	s_or_b64 exec, exec, s[22:23]
	s_and_saveexec_b64 s[20:21], s[18:19]
	s_cbranch_execnz .LBB825_279
.LBB825_216:
	s_or_b64 exec, exec, s[20:21]
	s_and_saveexec_b64 s[18:19], s[16:17]
	s_cbranch_execnz .LBB825_280
.LBB825_217:
	s_or_b64 exec, exec, s[18:19]
	s_and_saveexec_b64 s[16:17], s[14:15]
	s_cbranch_execnz .LBB825_281
.LBB825_218:
	s_or_b64 exec, exec, s[16:17]
	s_and_saveexec_b64 s[14:15], s[12:13]
	s_cbranch_execnz .LBB825_282
.LBB825_219:
	s_or_b64 exec, exec, s[14:15]
	s_and_saveexec_b64 s[12:13], s[10:11]
	s_cbranch_execnz .LBB825_283
.LBB825_220:
	s_or_b64 exec, exec, s[12:13]
	s_and_saveexec_b64 s[10:11], s[8:9]
	s_cbranch_execnz .LBB825_284
.LBB825_221:
	s_or_b64 exec, exec, s[10:11]
	s_and_saveexec_b64 s[8:9], s[6:7]
	s_cbranch_execnz .LBB825_285
.LBB825_222:
	s_or_b64 exec, exec, s[8:9]
	s_and_saveexec_b64 s[6:7], s[4:5]
	s_cbranch_execnz .LBB825_286
.LBB825_223:
	s_or_b64 exec, exec, s[6:7]
	s_and_saveexec_b64 s[4:5], s[2:3]
	s_cbranch_execz .LBB825_225
.LBB825_224:
	v_sub_u32_e32 v8, v38, v4
	v_lshlrev_b32_e32 v8, 2, v8
	ds_write_b32 v8, v9
.LBB825_225:
	s_or_b64 exec, exec, s[4:5]
	s_and_b64 s[40:41], s[0:1], exec
                                        ; implicit-def: $vgpr8
                                        ; implicit-def: $vgpr10
                                        ; implicit-def: $vgpr12
                                        ; implicit-def: $vgpr14
                                        ; implicit-def: $vgpr16
                                        ; implicit-def: $vgpr18
                                        ; implicit-def: $vgpr20
	s_andn2_saveexec_b64 s[0:1], s[38:39]
	s_cbranch_execz .LBB825_141
.LBB825_226:
	v_sub_u32_e32 v26, v64, v4
	v_lshlrev_b32_e32 v26, 2, v26
	ds_write_b32 v26, v20
	v_sub_u32_e32 v20, v62, v4
	v_lshlrev_b32_e32 v20, 2, v20
	ds_write_b32 v20, v21
	;; [unrolled: 3-line block ×13, first 2 shown]
	v_sub_u32_e32 v8, v38, v4
	v_lshlrev_b32_e32 v8, 2, v8
	s_or_b64 s[40:41], s[40:41], exec
	ds_write_b32 v8, v9
	s_or_b64 exec, exec, s[0:1]
	s_and_b64 exec, exec, s[40:41]
	s_cbranch_execnz .LBB825_142
	s_branch .LBB825_143
.LBB825_227:
	s_and_saveexec_b64 s[38:39], s[28:29]
	s_cbranch_execnz .LBB825_287
; %bb.228:
	s_or_b64 exec, exec, s[38:39]
	s_and_saveexec_b64 s[38:39], s[26:27]
	s_cbranch_execnz .LBB825_288
.LBB825_229:
	s_or_b64 exec, exec, s[38:39]
	s_and_saveexec_b64 s[38:39], s[24:25]
	s_cbranch_execnz .LBB825_289
.LBB825_230:
	s_or_b64 exec, exec, s[38:39]
	s_and_saveexec_b64 s[38:39], s[22:23]
	s_cbranch_execnz .LBB825_290
.LBB825_231:
	s_or_b64 exec, exec, s[38:39]
	s_and_saveexec_b64 s[38:39], s[20:21]
	s_cbranch_execnz .LBB825_291
.LBB825_232:
	s_or_b64 exec, exec, s[38:39]
	s_and_saveexec_b64 s[38:39], s[18:19]
	s_cbranch_execnz .LBB825_292
.LBB825_233:
	s_or_b64 exec, exec, s[38:39]
	s_and_saveexec_b64 s[38:39], s[16:17]
	s_cbranch_execnz .LBB825_293
.LBB825_234:
	s_or_b64 exec, exec, s[38:39]
	s_and_saveexec_b64 s[38:39], s[14:15]
	s_cbranch_execnz .LBB825_294
.LBB825_235:
	s_or_b64 exec, exec, s[38:39]
	s_and_saveexec_b64 s[38:39], s[12:13]
	s_cbranch_execnz .LBB825_295
.LBB825_236:
	s_or_b64 exec, exec, s[38:39]
	s_and_saveexec_b64 s[38:39], s[10:11]
	s_cbranch_execnz .LBB825_296
.LBB825_237:
	s_or_b64 exec, exec, s[38:39]
	s_and_saveexec_b64 s[38:39], s[8:9]
	s_cbranch_execnz .LBB825_297
.LBB825_238:
	s_or_b64 exec, exec, s[38:39]
	s_and_saveexec_b64 s[38:39], s[6:7]
	s_cbranch_execnz .LBB825_298
.LBB825_239:
	s_or_b64 exec, exec, s[38:39]
	s_and_saveexec_b64 s[38:39], s[4:5]
	s_cbranch_execnz .LBB825_299
.LBB825_240:
	s_or_b64 exec, exec, s[38:39]
	s_and_saveexec_b64 s[38:39], s[2:3]
	s_cbranch_execz .LBB825_242
.LBB825_241:
	v_sub_u32_e32 v16, v38, v9
	v_mov_b32_e32 v17, 0
	v_lshlrev_b64 v[16:17], 2, v[16:17]
	v_add_co_u32_e32 v16, vcc, v13, v16
	v_addc_co_u32_e32 v17, vcc, v14, v17, vcc
	global_store_dword v[16:17], v39, off
.LBB825_242:
	s_or_b64 exec, exec, s[38:39]
	s_and_b64 s[38:39], s[0:1], exec
	s_andn2_saveexec_b64 s[30:31], s[30:31]
	s_cbranch_execz .LBB825_163
.LBB825_243:
	v_sub_u32_e32 v16, v64, v9
	v_mov_b32_e32 v17, 0
	v_lshlrev_b64 v[18:19], 2, v[16:17]
	v_add_co_u32_e32 v18, vcc, v13, v18
	v_addc_co_u32_e32 v19, vcc, v14, v19, vcc
	v_sub_u32_e32 v16, v62, v9
	global_store_dword v[18:19], v65, off
	v_lshlrev_b64 v[18:19], 2, v[16:17]
	v_add_co_u32_e32 v18, vcc, v13, v18
	v_addc_co_u32_e32 v19, vcc, v14, v19, vcc
	v_sub_u32_e32 v16, v60, v9
	global_store_dword v[18:19], v63, off
	;; [unrolled: 5-line block ×12, first 2 shown]
	v_lshlrev_b64 v[18:19], 2, v[16:17]
	v_add_co_u32_e32 v18, vcc, v13, v18
	v_sub_u32_e32 v16, v38, v9
	v_addc_co_u32_e32 v19, vcc, v14, v19, vcc
	v_lshlrev_b64 v[16:17], 2, v[16:17]
	v_add_co_u32_e32 v16, vcc, v13, v16
	v_addc_co_u32_e32 v17, vcc, v14, v17, vcc
	s_or_b64 s[38:39], s[38:39], exec
	global_store_dword v[18:19], v41, off
	global_store_dword v[16:17], v39, off
	s_or_b64 exec, exec, s[30:31]
	s_and_b64 exec, exec, s[38:39]
	s_cbranch_execnz .LBB825_164
	s_branch .LBB825_165
.LBB825_244:
	s_and_saveexec_b64 s[38:39], s[28:29]
	s_cbranch_execnz .LBB825_300
; %bb.245:
	s_or_b64 exec, exec, s[38:39]
	s_and_saveexec_b64 s[28:29], s[26:27]
	s_cbranch_execnz .LBB825_301
.LBB825_246:
	s_or_b64 exec, exec, s[28:29]
	s_and_saveexec_b64 s[26:27], s[24:25]
	s_cbranch_execnz .LBB825_302
.LBB825_247:
	s_or_b64 exec, exec, s[26:27]
	s_and_saveexec_b64 s[24:25], s[22:23]
	s_cbranch_execnz .LBB825_303
.LBB825_248:
	s_or_b64 exec, exec, s[24:25]
	s_and_saveexec_b64 s[22:23], s[20:21]
	s_cbranch_execnz .LBB825_304
.LBB825_249:
	s_or_b64 exec, exec, s[22:23]
	s_and_saveexec_b64 s[20:21], s[18:19]
	s_cbranch_execnz .LBB825_305
.LBB825_250:
	s_or_b64 exec, exec, s[20:21]
	s_and_saveexec_b64 s[18:19], s[16:17]
	s_cbranch_execnz .LBB825_306
.LBB825_251:
	s_or_b64 exec, exec, s[18:19]
	s_and_saveexec_b64 s[16:17], s[14:15]
	s_cbranch_execnz .LBB825_307
.LBB825_252:
	s_or_b64 exec, exec, s[16:17]
	s_and_saveexec_b64 s[14:15], s[12:13]
	s_cbranch_execnz .LBB825_308
.LBB825_253:
	s_or_b64 exec, exec, s[14:15]
	s_and_saveexec_b64 s[12:13], s[10:11]
	s_cbranch_execnz .LBB825_309
.LBB825_254:
	s_or_b64 exec, exec, s[12:13]
	s_and_saveexec_b64 s[10:11], s[8:9]
	s_cbranch_execnz .LBB825_310
.LBB825_255:
	s_or_b64 exec, exec, s[10:11]
	s_and_saveexec_b64 s[8:9], s[6:7]
	s_cbranch_execnz .LBB825_311
.LBB825_256:
	s_or_b64 exec, exec, s[8:9]
	s_and_saveexec_b64 s[6:7], s[4:5]
	s_cbranch_execnz .LBB825_312
.LBB825_257:
	s_or_b64 exec, exec, s[6:7]
	s_and_saveexec_b64 s[4:5], s[2:3]
	s_cbranch_execz .LBB825_259
.LBB825_258:
	v_sub_u32_e32 v10, v38, v9
	v_lshlrev_b32_e32 v10, 2, v10
	ds_write_b32 v10, v39
.LBB825_259:
	s_or_b64 exec, exec, s[4:5]
	s_and_b64 s[38:39], s[0:1], exec
                                        ; implicit-def: $vgpr64_vgpr65
                                        ; implicit-def: $vgpr62_vgpr63
                                        ; implicit-def: $vgpr60_vgpr61
                                        ; implicit-def: $vgpr58_vgpr59
                                        ; implicit-def: $vgpr56_vgpr57
                                        ; implicit-def: $vgpr54_vgpr55
                                        ; implicit-def: $vgpr52_vgpr53
                                        ; implicit-def: $vgpr50_vgpr51
                                        ; implicit-def: $vgpr48_vgpr49
                                        ; implicit-def: $vgpr46_vgpr47
                                        ; implicit-def: $vgpr44_vgpr45
                                        ; implicit-def: $vgpr42_vgpr43
                                        ; implicit-def: $vgpr40_vgpr41
                                        ; implicit-def: $vgpr38_vgpr39
	s_andn2_saveexec_b64 s[0:1], s[36:37]
	s_cbranch_execz .LBB825_170
.LBB825_260:
	v_sub_u32_e32 v10, v64, v9
	v_lshlrev_b32_e32 v10, 2, v10
	ds_write_b32 v10, v65
	v_sub_u32_e32 v10, v62, v9
	v_lshlrev_b32_e32 v10, 2, v10
	ds_write_b32 v10, v63
	;; [unrolled: 3-line block ×13, first 2 shown]
	v_sub_u32_e32 v10, v38, v9
	v_lshlrev_b32_e32 v10, 2, v10
	s_or_b64 s[38:39], s[38:39], exec
	ds_write_b32 v10, v39
	s_or_b64 exec, exec, s[0:1]
	s_and_b64 exec, exec, s[38:39]
	s_cbranch_execnz .LBB825_171
	s_branch .LBB825_172
.LBB825_261:
	v_sub_u32_e32 v28, v64, v4
	v_mov_b32_e32 v29, 0
	v_lshlrev_b64 v[28:29], 2, v[28:29]
	v_add_co_u32_e32 v28, vcc, v3, v28
	v_addc_co_u32_e32 v29, vcc, v5, v29, vcc
	global_store_dword v[28:29], v20, off
	s_or_b64 exec, exec, s[40:41]
	s_and_saveexec_b64 s[40:41], s[26:27]
	s_cbranch_execz .LBB825_195
.LBB825_262:
	v_sub_u32_e32 v28, v62, v4
	v_mov_b32_e32 v29, 0
	v_lshlrev_b64 v[28:29], 2, v[28:29]
	v_add_co_u32_e32 v28, vcc, v3, v28
	v_addc_co_u32_e32 v29, vcc, v5, v29, vcc
	global_store_dword v[28:29], v21, off
	s_or_b64 exec, exec, s[40:41]
	s_and_saveexec_b64 s[40:41], s[24:25]
	s_cbranch_execz .LBB825_196
.LBB825_263:
	v_sub_u32_e32 v28, v60, v4
	v_mov_b32_e32 v29, 0
	v_lshlrev_b64 v[28:29], 2, v[28:29]
	v_add_co_u32_e32 v28, vcc, v3, v28
	v_addc_co_u32_e32 v29, vcc, v5, v29, vcc
	global_store_dword v[28:29], v18, off
	s_or_b64 exec, exec, s[40:41]
	s_and_saveexec_b64 s[40:41], s[22:23]
	s_cbranch_execz .LBB825_197
.LBB825_264:
	v_sub_u32_e32 v28, v58, v4
	v_mov_b32_e32 v29, 0
	v_lshlrev_b64 v[28:29], 2, v[28:29]
	v_add_co_u32_e32 v28, vcc, v3, v28
	v_addc_co_u32_e32 v29, vcc, v5, v29, vcc
	global_store_dword v[28:29], v19, off
	s_or_b64 exec, exec, s[40:41]
	s_and_saveexec_b64 s[40:41], s[20:21]
	s_cbranch_execz .LBB825_198
.LBB825_265:
	v_sub_u32_e32 v28, v56, v4
	v_mov_b32_e32 v29, 0
	v_lshlrev_b64 v[28:29], 2, v[28:29]
	v_add_co_u32_e32 v28, vcc, v3, v28
	v_addc_co_u32_e32 v29, vcc, v5, v29, vcc
	global_store_dword v[28:29], v16, off
	s_or_b64 exec, exec, s[40:41]
	s_and_saveexec_b64 s[40:41], s[18:19]
	s_cbranch_execz .LBB825_199
.LBB825_266:
	v_sub_u32_e32 v28, v54, v4
	v_mov_b32_e32 v29, 0
	v_lshlrev_b64 v[28:29], 2, v[28:29]
	v_add_co_u32_e32 v28, vcc, v3, v28
	v_addc_co_u32_e32 v29, vcc, v5, v29, vcc
	global_store_dword v[28:29], v17, off
	s_or_b64 exec, exec, s[40:41]
	s_and_saveexec_b64 s[40:41], s[16:17]
	s_cbranch_execz .LBB825_200
.LBB825_267:
	v_sub_u32_e32 v28, v52, v4
	v_mov_b32_e32 v29, 0
	v_lshlrev_b64 v[28:29], 2, v[28:29]
	v_add_co_u32_e32 v28, vcc, v3, v28
	v_addc_co_u32_e32 v29, vcc, v5, v29, vcc
	global_store_dword v[28:29], v14, off
	s_or_b64 exec, exec, s[40:41]
	s_and_saveexec_b64 s[40:41], s[14:15]
	s_cbranch_execz .LBB825_201
.LBB825_268:
	v_sub_u32_e32 v28, v50, v4
	v_mov_b32_e32 v29, 0
	v_lshlrev_b64 v[28:29], 2, v[28:29]
	v_add_co_u32_e32 v28, vcc, v3, v28
	v_addc_co_u32_e32 v29, vcc, v5, v29, vcc
	global_store_dword v[28:29], v15, off
	s_or_b64 exec, exec, s[40:41]
	s_and_saveexec_b64 s[40:41], s[12:13]
	s_cbranch_execz .LBB825_202
.LBB825_269:
	v_sub_u32_e32 v28, v48, v4
	v_mov_b32_e32 v29, 0
	v_lshlrev_b64 v[28:29], 2, v[28:29]
	v_add_co_u32_e32 v28, vcc, v3, v28
	v_addc_co_u32_e32 v29, vcc, v5, v29, vcc
	global_store_dword v[28:29], v12, off
	s_or_b64 exec, exec, s[40:41]
	s_and_saveexec_b64 s[40:41], s[10:11]
	s_cbranch_execz .LBB825_203
.LBB825_270:
	v_sub_u32_e32 v28, v46, v4
	v_mov_b32_e32 v29, 0
	v_lshlrev_b64 v[28:29], 2, v[28:29]
	v_add_co_u32_e32 v28, vcc, v3, v28
	v_addc_co_u32_e32 v29, vcc, v5, v29, vcc
	global_store_dword v[28:29], v13, off
	s_or_b64 exec, exec, s[40:41]
	s_and_saveexec_b64 s[40:41], s[8:9]
	s_cbranch_execz .LBB825_204
.LBB825_271:
	v_sub_u32_e32 v28, v44, v4
	v_mov_b32_e32 v29, 0
	v_lshlrev_b64 v[28:29], 2, v[28:29]
	v_add_co_u32_e32 v28, vcc, v3, v28
	v_addc_co_u32_e32 v29, vcc, v5, v29, vcc
	global_store_dword v[28:29], v10, off
	s_or_b64 exec, exec, s[40:41]
	s_and_saveexec_b64 s[40:41], s[6:7]
	s_cbranch_execz .LBB825_205
.LBB825_272:
	v_sub_u32_e32 v28, v42, v4
	v_mov_b32_e32 v29, 0
	v_lshlrev_b64 v[28:29], 2, v[28:29]
	v_add_co_u32_e32 v28, vcc, v3, v28
	v_addc_co_u32_e32 v29, vcc, v5, v29, vcc
	global_store_dword v[28:29], v11, off
	s_or_b64 exec, exec, s[40:41]
	s_and_saveexec_b64 s[40:41], s[4:5]
	s_cbranch_execz .LBB825_206
.LBB825_273:
	v_sub_u32_e32 v28, v40, v4
	v_mov_b32_e32 v29, 0
	v_lshlrev_b64 v[28:29], 2, v[28:29]
	v_add_co_u32_e32 v28, vcc, v3, v28
	v_addc_co_u32_e32 v29, vcc, v5, v29, vcc
	global_store_dword v[28:29], v8, off
	s_or_b64 exec, exec, s[40:41]
	s_and_saveexec_b64 s[40:41], s[2:3]
	s_cbranch_execnz .LBB825_207
	s_branch .LBB825_208
.LBB825_274:
	v_sub_u32_e32 v26, v64, v4
	v_lshlrev_b32_e32 v26, 2, v26
	ds_write_b32 v26, v20
	s_or_b64 exec, exec, s[40:41]
	s_and_saveexec_b64 s[28:29], s[26:27]
	s_cbranch_execz .LBB825_212
.LBB825_275:
	v_sub_u32_e32 v20, v62, v4
	v_lshlrev_b32_e32 v20, 2, v20
	ds_write_b32 v20, v21
	s_or_b64 exec, exec, s[28:29]
	s_and_saveexec_b64 s[26:27], s[24:25]
	s_cbranch_execz .LBB825_213
.LBB825_276:
	v_sub_u32_e32 v20, v60, v4
	v_lshlrev_b32_e32 v20, 2, v20
	ds_write_b32 v20, v18
	s_or_b64 exec, exec, s[26:27]
	s_and_saveexec_b64 s[24:25], s[22:23]
	s_cbranch_execz .LBB825_214
.LBB825_277:
	v_sub_u32_e32 v18, v58, v4
	v_lshlrev_b32_e32 v18, 2, v18
	ds_write_b32 v18, v19
	s_or_b64 exec, exec, s[24:25]
	s_and_saveexec_b64 s[22:23], s[20:21]
	s_cbranch_execz .LBB825_215
.LBB825_278:
	v_sub_u32_e32 v18, v56, v4
	v_lshlrev_b32_e32 v18, 2, v18
	ds_write_b32 v18, v16
	s_or_b64 exec, exec, s[22:23]
	s_and_saveexec_b64 s[20:21], s[18:19]
	s_cbranch_execz .LBB825_216
.LBB825_279:
	v_sub_u32_e32 v16, v54, v4
	v_lshlrev_b32_e32 v16, 2, v16
	ds_write_b32 v16, v17
	s_or_b64 exec, exec, s[20:21]
	s_and_saveexec_b64 s[18:19], s[16:17]
	s_cbranch_execz .LBB825_217
.LBB825_280:
	v_sub_u32_e32 v16, v52, v4
	v_lshlrev_b32_e32 v16, 2, v16
	ds_write_b32 v16, v14
	s_or_b64 exec, exec, s[18:19]
	s_and_saveexec_b64 s[16:17], s[14:15]
	s_cbranch_execz .LBB825_218
.LBB825_281:
	v_sub_u32_e32 v14, v50, v4
	v_lshlrev_b32_e32 v14, 2, v14
	ds_write_b32 v14, v15
	s_or_b64 exec, exec, s[16:17]
	s_and_saveexec_b64 s[14:15], s[12:13]
	s_cbranch_execz .LBB825_219
.LBB825_282:
	v_sub_u32_e32 v14, v48, v4
	v_lshlrev_b32_e32 v14, 2, v14
	ds_write_b32 v14, v12
	s_or_b64 exec, exec, s[14:15]
	s_and_saveexec_b64 s[12:13], s[10:11]
	s_cbranch_execz .LBB825_220
.LBB825_283:
	v_sub_u32_e32 v12, v46, v4
	v_lshlrev_b32_e32 v12, 2, v12
	ds_write_b32 v12, v13
	s_or_b64 exec, exec, s[12:13]
	s_and_saveexec_b64 s[10:11], s[8:9]
	s_cbranch_execz .LBB825_221
.LBB825_284:
	v_sub_u32_e32 v12, v44, v4
	v_lshlrev_b32_e32 v12, 2, v12
	ds_write_b32 v12, v10
	s_or_b64 exec, exec, s[10:11]
	s_and_saveexec_b64 s[8:9], s[6:7]
	s_cbranch_execz .LBB825_222
.LBB825_285:
	v_sub_u32_e32 v10, v42, v4
	v_lshlrev_b32_e32 v10, 2, v10
	ds_write_b32 v10, v11
	s_or_b64 exec, exec, s[8:9]
	s_and_saveexec_b64 s[6:7], s[4:5]
	s_cbranch_execz .LBB825_223
.LBB825_286:
	v_sub_u32_e32 v10, v40, v4
	v_lshlrev_b32_e32 v10, 2, v10
	ds_write_b32 v10, v8
	s_or_b64 exec, exec, s[6:7]
	s_and_saveexec_b64 s[4:5], s[2:3]
	s_cbranch_execnz .LBB825_224
	s_branch .LBB825_225
.LBB825_287:
	v_sub_u32_e32 v16, v64, v9
	v_mov_b32_e32 v17, 0
	v_lshlrev_b64 v[16:17], 2, v[16:17]
	v_add_co_u32_e32 v16, vcc, v13, v16
	v_addc_co_u32_e32 v17, vcc, v14, v17, vcc
	global_store_dword v[16:17], v65, off
	s_or_b64 exec, exec, s[38:39]
	s_and_saveexec_b64 s[38:39], s[26:27]
	s_cbranch_execz .LBB825_229
.LBB825_288:
	v_sub_u32_e32 v16, v62, v9
	v_mov_b32_e32 v17, 0
	v_lshlrev_b64 v[16:17], 2, v[16:17]
	v_add_co_u32_e32 v16, vcc, v13, v16
	v_addc_co_u32_e32 v17, vcc, v14, v17, vcc
	global_store_dword v[16:17], v63, off
	s_or_b64 exec, exec, s[38:39]
	s_and_saveexec_b64 s[38:39], s[24:25]
	s_cbranch_execz .LBB825_230
.LBB825_289:
	v_sub_u32_e32 v16, v60, v9
	v_mov_b32_e32 v17, 0
	v_lshlrev_b64 v[16:17], 2, v[16:17]
	v_add_co_u32_e32 v16, vcc, v13, v16
	v_addc_co_u32_e32 v17, vcc, v14, v17, vcc
	global_store_dword v[16:17], v61, off
	s_or_b64 exec, exec, s[38:39]
	s_and_saveexec_b64 s[38:39], s[22:23]
	s_cbranch_execz .LBB825_231
.LBB825_290:
	v_sub_u32_e32 v16, v58, v9
	v_mov_b32_e32 v17, 0
	v_lshlrev_b64 v[16:17], 2, v[16:17]
	v_add_co_u32_e32 v16, vcc, v13, v16
	v_addc_co_u32_e32 v17, vcc, v14, v17, vcc
	global_store_dword v[16:17], v59, off
	s_or_b64 exec, exec, s[38:39]
	s_and_saveexec_b64 s[38:39], s[20:21]
	s_cbranch_execz .LBB825_232
.LBB825_291:
	v_sub_u32_e32 v16, v56, v9
	v_mov_b32_e32 v17, 0
	v_lshlrev_b64 v[16:17], 2, v[16:17]
	v_add_co_u32_e32 v16, vcc, v13, v16
	v_addc_co_u32_e32 v17, vcc, v14, v17, vcc
	global_store_dword v[16:17], v57, off
	s_or_b64 exec, exec, s[38:39]
	s_and_saveexec_b64 s[38:39], s[18:19]
	s_cbranch_execz .LBB825_233
.LBB825_292:
	v_sub_u32_e32 v16, v54, v9
	v_mov_b32_e32 v17, 0
	v_lshlrev_b64 v[16:17], 2, v[16:17]
	v_add_co_u32_e32 v16, vcc, v13, v16
	v_addc_co_u32_e32 v17, vcc, v14, v17, vcc
	global_store_dword v[16:17], v55, off
	s_or_b64 exec, exec, s[38:39]
	s_and_saveexec_b64 s[38:39], s[16:17]
	s_cbranch_execz .LBB825_234
.LBB825_293:
	v_sub_u32_e32 v16, v52, v9
	v_mov_b32_e32 v17, 0
	v_lshlrev_b64 v[16:17], 2, v[16:17]
	v_add_co_u32_e32 v16, vcc, v13, v16
	v_addc_co_u32_e32 v17, vcc, v14, v17, vcc
	global_store_dword v[16:17], v53, off
	s_or_b64 exec, exec, s[38:39]
	s_and_saveexec_b64 s[38:39], s[14:15]
	s_cbranch_execz .LBB825_235
.LBB825_294:
	v_sub_u32_e32 v16, v50, v9
	v_mov_b32_e32 v17, 0
	v_lshlrev_b64 v[16:17], 2, v[16:17]
	v_add_co_u32_e32 v16, vcc, v13, v16
	v_addc_co_u32_e32 v17, vcc, v14, v17, vcc
	global_store_dword v[16:17], v51, off
	s_or_b64 exec, exec, s[38:39]
	s_and_saveexec_b64 s[38:39], s[12:13]
	s_cbranch_execz .LBB825_236
.LBB825_295:
	v_sub_u32_e32 v16, v48, v9
	v_mov_b32_e32 v17, 0
	v_lshlrev_b64 v[16:17], 2, v[16:17]
	v_add_co_u32_e32 v16, vcc, v13, v16
	v_addc_co_u32_e32 v17, vcc, v14, v17, vcc
	global_store_dword v[16:17], v49, off
	s_or_b64 exec, exec, s[38:39]
	s_and_saveexec_b64 s[38:39], s[10:11]
	s_cbranch_execz .LBB825_237
.LBB825_296:
	v_sub_u32_e32 v16, v46, v9
	v_mov_b32_e32 v17, 0
	v_lshlrev_b64 v[16:17], 2, v[16:17]
	v_add_co_u32_e32 v16, vcc, v13, v16
	v_addc_co_u32_e32 v17, vcc, v14, v17, vcc
	global_store_dword v[16:17], v47, off
	s_or_b64 exec, exec, s[38:39]
	s_and_saveexec_b64 s[38:39], s[8:9]
	s_cbranch_execz .LBB825_238
.LBB825_297:
	v_sub_u32_e32 v16, v44, v9
	v_mov_b32_e32 v17, 0
	v_lshlrev_b64 v[16:17], 2, v[16:17]
	v_add_co_u32_e32 v16, vcc, v13, v16
	v_addc_co_u32_e32 v17, vcc, v14, v17, vcc
	global_store_dword v[16:17], v45, off
	s_or_b64 exec, exec, s[38:39]
	s_and_saveexec_b64 s[38:39], s[6:7]
	s_cbranch_execz .LBB825_239
.LBB825_298:
	v_sub_u32_e32 v16, v42, v9
	v_mov_b32_e32 v17, 0
	v_lshlrev_b64 v[16:17], 2, v[16:17]
	v_add_co_u32_e32 v16, vcc, v13, v16
	v_addc_co_u32_e32 v17, vcc, v14, v17, vcc
	global_store_dword v[16:17], v43, off
	s_or_b64 exec, exec, s[38:39]
	s_and_saveexec_b64 s[38:39], s[4:5]
	s_cbranch_execz .LBB825_240
.LBB825_299:
	v_sub_u32_e32 v16, v40, v9
	v_mov_b32_e32 v17, 0
	v_lshlrev_b64 v[16:17], 2, v[16:17]
	v_add_co_u32_e32 v16, vcc, v13, v16
	v_addc_co_u32_e32 v17, vcc, v14, v17, vcc
	global_store_dword v[16:17], v41, off
	s_or_b64 exec, exec, s[38:39]
	s_and_saveexec_b64 s[38:39], s[2:3]
	s_cbranch_execnz .LBB825_241
	s_branch .LBB825_242
.LBB825_300:
	v_sub_u32_e32 v10, v64, v9
	v_lshlrev_b32_e32 v10, 2, v10
	ds_write_b32 v10, v65
	s_or_b64 exec, exec, s[38:39]
	s_and_saveexec_b64 s[28:29], s[26:27]
	s_cbranch_execz .LBB825_246
.LBB825_301:
	v_sub_u32_e32 v10, v62, v9
	v_lshlrev_b32_e32 v10, 2, v10
	ds_write_b32 v10, v63
	s_or_b64 exec, exec, s[28:29]
	s_and_saveexec_b64 s[26:27], s[24:25]
	s_cbranch_execz .LBB825_247
.LBB825_302:
	v_sub_u32_e32 v10, v60, v9
	v_lshlrev_b32_e32 v10, 2, v10
	ds_write_b32 v10, v61
	s_or_b64 exec, exec, s[26:27]
	s_and_saveexec_b64 s[24:25], s[22:23]
	s_cbranch_execz .LBB825_248
.LBB825_303:
	v_sub_u32_e32 v10, v58, v9
	v_lshlrev_b32_e32 v10, 2, v10
	ds_write_b32 v10, v59
	s_or_b64 exec, exec, s[24:25]
	s_and_saveexec_b64 s[22:23], s[20:21]
	s_cbranch_execz .LBB825_249
.LBB825_304:
	v_sub_u32_e32 v10, v56, v9
	v_lshlrev_b32_e32 v10, 2, v10
	ds_write_b32 v10, v57
	s_or_b64 exec, exec, s[22:23]
	s_and_saveexec_b64 s[20:21], s[18:19]
	s_cbranch_execz .LBB825_250
.LBB825_305:
	v_sub_u32_e32 v10, v54, v9
	v_lshlrev_b32_e32 v10, 2, v10
	ds_write_b32 v10, v55
	s_or_b64 exec, exec, s[20:21]
	s_and_saveexec_b64 s[18:19], s[16:17]
	s_cbranch_execz .LBB825_251
.LBB825_306:
	v_sub_u32_e32 v10, v52, v9
	v_lshlrev_b32_e32 v10, 2, v10
	ds_write_b32 v10, v53
	s_or_b64 exec, exec, s[18:19]
	s_and_saveexec_b64 s[16:17], s[14:15]
	s_cbranch_execz .LBB825_252
.LBB825_307:
	v_sub_u32_e32 v10, v50, v9
	v_lshlrev_b32_e32 v10, 2, v10
	ds_write_b32 v10, v51
	s_or_b64 exec, exec, s[16:17]
	s_and_saveexec_b64 s[14:15], s[12:13]
	s_cbranch_execz .LBB825_253
.LBB825_308:
	v_sub_u32_e32 v10, v48, v9
	v_lshlrev_b32_e32 v10, 2, v10
	ds_write_b32 v10, v49
	s_or_b64 exec, exec, s[14:15]
	s_and_saveexec_b64 s[12:13], s[10:11]
	s_cbranch_execz .LBB825_254
.LBB825_309:
	v_sub_u32_e32 v10, v46, v9
	v_lshlrev_b32_e32 v10, 2, v10
	ds_write_b32 v10, v47
	s_or_b64 exec, exec, s[12:13]
	s_and_saveexec_b64 s[10:11], s[8:9]
	s_cbranch_execz .LBB825_255
.LBB825_310:
	v_sub_u32_e32 v10, v44, v9
	v_lshlrev_b32_e32 v10, 2, v10
	ds_write_b32 v10, v45
	s_or_b64 exec, exec, s[10:11]
	s_and_saveexec_b64 s[8:9], s[6:7]
	s_cbranch_execz .LBB825_256
.LBB825_311:
	v_sub_u32_e32 v10, v42, v9
	v_lshlrev_b32_e32 v10, 2, v10
	ds_write_b32 v10, v43
	s_or_b64 exec, exec, s[8:9]
	s_and_saveexec_b64 s[6:7], s[4:5]
	s_cbranch_execz .LBB825_257
.LBB825_312:
	v_sub_u32_e32 v10, v40, v9
	v_lshlrev_b32_e32 v10, 2, v10
	ds_write_b32 v10, v41
	s_or_b64 exec, exec, s[6:7]
	s_and_saveexec_b64 s[4:5], s[2:3]
	s_cbranch_execnz .LBB825_258
	s_branch .LBB825_259
	.section	.rodata,"a",@progbits
	.p2align	6, 0x0
	.amdhsa_kernel _ZN7rocprim17ROCPRIM_400000_NS6detail17trampoline_kernelINS0_14default_configENS1_29reduce_by_key_config_selectorIijN6thrust23THRUST_200600_302600_NS4plusIjEEEEZZNS1_33reduce_by_key_impl_wrapped_configILNS1_25lookback_scan_determinismE0ES3_S9_NS6_6detail15normal_iteratorINS6_10device_ptrIiEEEENSD_INSE_IjEEEESG_SI_PmS8_NS6_8equal_toIiEEEE10hipError_tPvRmT2_T3_mT4_T5_T6_T7_T8_P12ihipStream_tbENKUlT_T0_E_clISt17integral_constantIbLb1EES12_IbLb0EEEEDaSY_SZ_EUlSY_E_NS1_11comp_targetILNS1_3genE4ELNS1_11target_archE910ELNS1_3gpuE8ELNS1_3repE0EEENS1_30default_config_static_selectorELNS0_4arch9wavefront6targetE1EEEvT1_
		.amdhsa_group_segment_fixed_size 15360
		.amdhsa_private_segment_fixed_size 0
		.amdhsa_kernarg_size 120
		.amdhsa_user_sgpr_count 6
		.amdhsa_user_sgpr_private_segment_buffer 1
		.amdhsa_user_sgpr_dispatch_ptr 0
		.amdhsa_user_sgpr_queue_ptr 0
		.amdhsa_user_sgpr_kernarg_segment_ptr 1
		.amdhsa_user_sgpr_dispatch_id 0
		.amdhsa_user_sgpr_flat_scratch_init 0
		.amdhsa_user_sgpr_kernarg_preload_length 0
		.amdhsa_user_sgpr_kernarg_preload_offset 0
		.amdhsa_user_sgpr_private_segment_size 0
		.amdhsa_uses_dynamic_stack 0
		.amdhsa_system_sgpr_private_segment_wavefront_offset 0
		.amdhsa_system_sgpr_workgroup_id_x 1
		.amdhsa_system_sgpr_workgroup_id_y 0
		.amdhsa_system_sgpr_workgroup_id_z 0
		.amdhsa_system_sgpr_workgroup_info 0
		.amdhsa_system_vgpr_workitem_id 0
		.amdhsa_next_free_vgpr 106
		.amdhsa_next_free_sgpr 64
		.amdhsa_accum_offset 108
		.amdhsa_reserve_vcc 1
		.amdhsa_reserve_flat_scratch 0
		.amdhsa_float_round_mode_32 0
		.amdhsa_float_round_mode_16_64 0
		.amdhsa_float_denorm_mode_32 3
		.amdhsa_float_denorm_mode_16_64 3
		.amdhsa_dx10_clamp 1
		.amdhsa_ieee_mode 1
		.amdhsa_fp16_overflow 0
		.amdhsa_tg_split 0
		.amdhsa_exception_fp_ieee_invalid_op 0
		.amdhsa_exception_fp_denorm_src 0
		.amdhsa_exception_fp_ieee_div_zero 0
		.amdhsa_exception_fp_ieee_overflow 0
		.amdhsa_exception_fp_ieee_underflow 0
		.amdhsa_exception_fp_ieee_inexact 0
		.amdhsa_exception_int_div_zero 0
	.end_amdhsa_kernel
	.section	.text._ZN7rocprim17ROCPRIM_400000_NS6detail17trampoline_kernelINS0_14default_configENS1_29reduce_by_key_config_selectorIijN6thrust23THRUST_200600_302600_NS4plusIjEEEEZZNS1_33reduce_by_key_impl_wrapped_configILNS1_25lookback_scan_determinismE0ES3_S9_NS6_6detail15normal_iteratorINS6_10device_ptrIiEEEENSD_INSE_IjEEEESG_SI_PmS8_NS6_8equal_toIiEEEE10hipError_tPvRmT2_T3_mT4_T5_T6_T7_T8_P12ihipStream_tbENKUlT_T0_E_clISt17integral_constantIbLb1EES12_IbLb0EEEEDaSY_SZ_EUlSY_E_NS1_11comp_targetILNS1_3genE4ELNS1_11target_archE910ELNS1_3gpuE8ELNS1_3repE0EEENS1_30default_config_static_selectorELNS0_4arch9wavefront6targetE1EEEvT1_,"axG",@progbits,_ZN7rocprim17ROCPRIM_400000_NS6detail17trampoline_kernelINS0_14default_configENS1_29reduce_by_key_config_selectorIijN6thrust23THRUST_200600_302600_NS4plusIjEEEEZZNS1_33reduce_by_key_impl_wrapped_configILNS1_25lookback_scan_determinismE0ES3_S9_NS6_6detail15normal_iteratorINS6_10device_ptrIiEEEENSD_INSE_IjEEEESG_SI_PmS8_NS6_8equal_toIiEEEE10hipError_tPvRmT2_T3_mT4_T5_T6_T7_T8_P12ihipStream_tbENKUlT_T0_E_clISt17integral_constantIbLb1EES12_IbLb0EEEEDaSY_SZ_EUlSY_E_NS1_11comp_targetILNS1_3genE4ELNS1_11target_archE910ELNS1_3gpuE8ELNS1_3repE0EEENS1_30default_config_static_selectorELNS0_4arch9wavefront6targetE1EEEvT1_,comdat
.Lfunc_end825:
	.size	_ZN7rocprim17ROCPRIM_400000_NS6detail17trampoline_kernelINS0_14default_configENS1_29reduce_by_key_config_selectorIijN6thrust23THRUST_200600_302600_NS4plusIjEEEEZZNS1_33reduce_by_key_impl_wrapped_configILNS1_25lookback_scan_determinismE0ES3_S9_NS6_6detail15normal_iteratorINS6_10device_ptrIiEEEENSD_INSE_IjEEEESG_SI_PmS8_NS6_8equal_toIiEEEE10hipError_tPvRmT2_T3_mT4_T5_T6_T7_T8_P12ihipStream_tbENKUlT_T0_E_clISt17integral_constantIbLb1EES12_IbLb0EEEEDaSY_SZ_EUlSY_E_NS1_11comp_targetILNS1_3genE4ELNS1_11target_archE910ELNS1_3gpuE8ELNS1_3repE0EEENS1_30default_config_static_selectorELNS0_4arch9wavefront6targetE1EEEvT1_, .Lfunc_end825-_ZN7rocprim17ROCPRIM_400000_NS6detail17trampoline_kernelINS0_14default_configENS1_29reduce_by_key_config_selectorIijN6thrust23THRUST_200600_302600_NS4plusIjEEEEZZNS1_33reduce_by_key_impl_wrapped_configILNS1_25lookback_scan_determinismE0ES3_S9_NS6_6detail15normal_iteratorINS6_10device_ptrIiEEEENSD_INSE_IjEEEESG_SI_PmS8_NS6_8equal_toIiEEEE10hipError_tPvRmT2_T3_mT4_T5_T6_T7_T8_P12ihipStream_tbENKUlT_T0_E_clISt17integral_constantIbLb1EES12_IbLb0EEEEDaSY_SZ_EUlSY_E_NS1_11comp_targetILNS1_3genE4ELNS1_11target_archE910ELNS1_3gpuE8ELNS1_3repE0EEENS1_30default_config_static_selectorELNS0_4arch9wavefront6targetE1EEEvT1_
                                        ; -- End function
	.section	.AMDGPU.csdata,"",@progbits
; Kernel info:
; codeLenInByte = 17272
; NumSgprs: 68
; NumVgprs: 106
; NumAgprs: 0
; TotalNumVgprs: 106
; ScratchSize: 0
; MemoryBound: 0
; FloatMode: 240
; IeeeMode: 1
; LDSByteSize: 15360 bytes/workgroup (compile time only)
; SGPRBlocks: 8
; VGPRBlocks: 13
; NumSGPRsForWavesPerEU: 68
; NumVGPRsForWavesPerEU: 106
; AccumOffset: 108
; Occupancy: 4
; WaveLimiterHint : 1
; COMPUTE_PGM_RSRC2:SCRATCH_EN: 0
; COMPUTE_PGM_RSRC2:USER_SGPR: 6
; COMPUTE_PGM_RSRC2:TRAP_HANDLER: 0
; COMPUTE_PGM_RSRC2:TGID_X_EN: 1
; COMPUTE_PGM_RSRC2:TGID_Y_EN: 0
; COMPUTE_PGM_RSRC2:TGID_Z_EN: 0
; COMPUTE_PGM_RSRC2:TIDIG_COMP_CNT: 0
; COMPUTE_PGM_RSRC3_GFX90A:ACCUM_OFFSET: 26
; COMPUTE_PGM_RSRC3_GFX90A:TG_SPLIT: 0
	.section	.text._ZN7rocprim17ROCPRIM_400000_NS6detail17trampoline_kernelINS0_14default_configENS1_29reduce_by_key_config_selectorIijN6thrust23THRUST_200600_302600_NS4plusIjEEEEZZNS1_33reduce_by_key_impl_wrapped_configILNS1_25lookback_scan_determinismE0ES3_S9_NS6_6detail15normal_iteratorINS6_10device_ptrIiEEEENSD_INSE_IjEEEESG_SI_PmS8_NS6_8equal_toIiEEEE10hipError_tPvRmT2_T3_mT4_T5_T6_T7_T8_P12ihipStream_tbENKUlT_T0_E_clISt17integral_constantIbLb1EES12_IbLb0EEEEDaSY_SZ_EUlSY_E_NS1_11comp_targetILNS1_3genE3ELNS1_11target_archE908ELNS1_3gpuE7ELNS1_3repE0EEENS1_30default_config_static_selectorELNS0_4arch9wavefront6targetE1EEEvT1_,"axG",@progbits,_ZN7rocprim17ROCPRIM_400000_NS6detail17trampoline_kernelINS0_14default_configENS1_29reduce_by_key_config_selectorIijN6thrust23THRUST_200600_302600_NS4plusIjEEEEZZNS1_33reduce_by_key_impl_wrapped_configILNS1_25lookback_scan_determinismE0ES3_S9_NS6_6detail15normal_iteratorINS6_10device_ptrIiEEEENSD_INSE_IjEEEESG_SI_PmS8_NS6_8equal_toIiEEEE10hipError_tPvRmT2_T3_mT4_T5_T6_T7_T8_P12ihipStream_tbENKUlT_T0_E_clISt17integral_constantIbLb1EES12_IbLb0EEEEDaSY_SZ_EUlSY_E_NS1_11comp_targetILNS1_3genE3ELNS1_11target_archE908ELNS1_3gpuE7ELNS1_3repE0EEENS1_30default_config_static_selectorELNS0_4arch9wavefront6targetE1EEEvT1_,comdat
	.protected	_ZN7rocprim17ROCPRIM_400000_NS6detail17trampoline_kernelINS0_14default_configENS1_29reduce_by_key_config_selectorIijN6thrust23THRUST_200600_302600_NS4plusIjEEEEZZNS1_33reduce_by_key_impl_wrapped_configILNS1_25lookback_scan_determinismE0ES3_S9_NS6_6detail15normal_iteratorINS6_10device_ptrIiEEEENSD_INSE_IjEEEESG_SI_PmS8_NS6_8equal_toIiEEEE10hipError_tPvRmT2_T3_mT4_T5_T6_T7_T8_P12ihipStream_tbENKUlT_T0_E_clISt17integral_constantIbLb1EES12_IbLb0EEEEDaSY_SZ_EUlSY_E_NS1_11comp_targetILNS1_3genE3ELNS1_11target_archE908ELNS1_3gpuE7ELNS1_3repE0EEENS1_30default_config_static_selectorELNS0_4arch9wavefront6targetE1EEEvT1_ ; -- Begin function _ZN7rocprim17ROCPRIM_400000_NS6detail17trampoline_kernelINS0_14default_configENS1_29reduce_by_key_config_selectorIijN6thrust23THRUST_200600_302600_NS4plusIjEEEEZZNS1_33reduce_by_key_impl_wrapped_configILNS1_25lookback_scan_determinismE0ES3_S9_NS6_6detail15normal_iteratorINS6_10device_ptrIiEEEENSD_INSE_IjEEEESG_SI_PmS8_NS6_8equal_toIiEEEE10hipError_tPvRmT2_T3_mT4_T5_T6_T7_T8_P12ihipStream_tbENKUlT_T0_E_clISt17integral_constantIbLb1EES12_IbLb0EEEEDaSY_SZ_EUlSY_E_NS1_11comp_targetILNS1_3genE3ELNS1_11target_archE908ELNS1_3gpuE7ELNS1_3repE0EEENS1_30default_config_static_selectorELNS0_4arch9wavefront6targetE1EEEvT1_
	.globl	_ZN7rocprim17ROCPRIM_400000_NS6detail17trampoline_kernelINS0_14default_configENS1_29reduce_by_key_config_selectorIijN6thrust23THRUST_200600_302600_NS4plusIjEEEEZZNS1_33reduce_by_key_impl_wrapped_configILNS1_25lookback_scan_determinismE0ES3_S9_NS6_6detail15normal_iteratorINS6_10device_ptrIiEEEENSD_INSE_IjEEEESG_SI_PmS8_NS6_8equal_toIiEEEE10hipError_tPvRmT2_T3_mT4_T5_T6_T7_T8_P12ihipStream_tbENKUlT_T0_E_clISt17integral_constantIbLb1EES12_IbLb0EEEEDaSY_SZ_EUlSY_E_NS1_11comp_targetILNS1_3genE3ELNS1_11target_archE908ELNS1_3gpuE7ELNS1_3repE0EEENS1_30default_config_static_selectorELNS0_4arch9wavefront6targetE1EEEvT1_
	.p2align	8
	.type	_ZN7rocprim17ROCPRIM_400000_NS6detail17trampoline_kernelINS0_14default_configENS1_29reduce_by_key_config_selectorIijN6thrust23THRUST_200600_302600_NS4plusIjEEEEZZNS1_33reduce_by_key_impl_wrapped_configILNS1_25lookback_scan_determinismE0ES3_S9_NS6_6detail15normal_iteratorINS6_10device_ptrIiEEEENSD_INSE_IjEEEESG_SI_PmS8_NS6_8equal_toIiEEEE10hipError_tPvRmT2_T3_mT4_T5_T6_T7_T8_P12ihipStream_tbENKUlT_T0_E_clISt17integral_constantIbLb1EES12_IbLb0EEEEDaSY_SZ_EUlSY_E_NS1_11comp_targetILNS1_3genE3ELNS1_11target_archE908ELNS1_3gpuE7ELNS1_3repE0EEENS1_30default_config_static_selectorELNS0_4arch9wavefront6targetE1EEEvT1_,@function
_ZN7rocprim17ROCPRIM_400000_NS6detail17trampoline_kernelINS0_14default_configENS1_29reduce_by_key_config_selectorIijN6thrust23THRUST_200600_302600_NS4plusIjEEEEZZNS1_33reduce_by_key_impl_wrapped_configILNS1_25lookback_scan_determinismE0ES3_S9_NS6_6detail15normal_iteratorINS6_10device_ptrIiEEEENSD_INSE_IjEEEESG_SI_PmS8_NS6_8equal_toIiEEEE10hipError_tPvRmT2_T3_mT4_T5_T6_T7_T8_P12ihipStream_tbENKUlT_T0_E_clISt17integral_constantIbLb1EES12_IbLb0EEEEDaSY_SZ_EUlSY_E_NS1_11comp_targetILNS1_3genE3ELNS1_11target_archE908ELNS1_3gpuE7ELNS1_3repE0EEENS1_30default_config_static_selectorELNS0_4arch9wavefront6targetE1EEEvT1_: ; @_ZN7rocprim17ROCPRIM_400000_NS6detail17trampoline_kernelINS0_14default_configENS1_29reduce_by_key_config_selectorIijN6thrust23THRUST_200600_302600_NS4plusIjEEEEZZNS1_33reduce_by_key_impl_wrapped_configILNS1_25lookback_scan_determinismE0ES3_S9_NS6_6detail15normal_iteratorINS6_10device_ptrIiEEEENSD_INSE_IjEEEESG_SI_PmS8_NS6_8equal_toIiEEEE10hipError_tPvRmT2_T3_mT4_T5_T6_T7_T8_P12ihipStream_tbENKUlT_T0_E_clISt17integral_constantIbLb1EES12_IbLb0EEEEDaSY_SZ_EUlSY_E_NS1_11comp_targetILNS1_3genE3ELNS1_11target_archE908ELNS1_3gpuE7ELNS1_3repE0EEENS1_30default_config_static_selectorELNS0_4arch9wavefront6targetE1EEEvT1_
; %bb.0:
	.section	.rodata,"a",@progbits
	.p2align	6, 0x0
	.amdhsa_kernel _ZN7rocprim17ROCPRIM_400000_NS6detail17trampoline_kernelINS0_14default_configENS1_29reduce_by_key_config_selectorIijN6thrust23THRUST_200600_302600_NS4plusIjEEEEZZNS1_33reduce_by_key_impl_wrapped_configILNS1_25lookback_scan_determinismE0ES3_S9_NS6_6detail15normal_iteratorINS6_10device_ptrIiEEEENSD_INSE_IjEEEESG_SI_PmS8_NS6_8equal_toIiEEEE10hipError_tPvRmT2_T3_mT4_T5_T6_T7_T8_P12ihipStream_tbENKUlT_T0_E_clISt17integral_constantIbLb1EES12_IbLb0EEEEDaSY_SZ_EUlSY_E_NS1_11comp_targetILNS1_3genE3ELNS1_11target_archE908ELNS1_3gpuE7ELNS1_3repE0EEENS1_30default_config_static_selectorELNS0_4arch9wavefront6targetE1EEEvT1_
		.amdhsa_group_segment_fixed_size 0
		.amdhsa_private_segment_fixed_size 0
		.amdhsa_kernarg_size 120
		.amdhsa_user_sgpr_count 6
		.amdhsa_user_sgpr_private_segment_buffer 1
		.amdhsa_user_sgpr_dispatch_ptr 0
		.amdhsa_user_sgpr_queue_ptr 0
		.amdhsa_user_sgpr_kernarg_segment_ptr 1
		.amdhsa_user_sgpr_dispatch_id 0
		.amdhsa_user_sgpr_flat_scratch_init 0
		.amdhsa_user_sgpr_kernarg_preload_length 0
		.amdhsa_user_sgpr_kernarg_preload_offset 0
		.amdhsa_user_sgpr_private_segment_size 0
		.amdhsa_uses_dynamic_stack 0
		.amdhsa_system_sgpr_private_segment_wavefront_offset 0
		.amdhsa_system_sgpr_workgroup_id_x 1
		.amdhsa_system_sgpr_workgroup_id_y 0
		.amdhsa_system_sgpr_workgroup_id_z 0
		.amdhsa_system_sgpr_workgroup_info 0
		.amdhsa_system_vgpr_workitem_id 0
		.amdhsa_next_free_vgpr 1
		.amdhsa_next_free_sgpr 0
		.amdhsa_accum_offset 4
		.amdhsa_reserve_vcc 0
		.amdhsa_reserve_flat_scratch 0
		.amdhsa_float_round_mode_32 0
		.amdhsa_float_round_mode_16_64 0
		.amdhsa_float_denorm_mode_32 3
		.amdhsa_float_denorm_mode_16_64 3
		.amdhsa_dx10_clamp 1
		.amdhsa_ieee_mode 1
		.amdhsa_fp16_overflow 0
		.amdhsa_tg_split 0
		.amdhsa_exception_fp_ieee_invalid_op 0
		.amdhsa_exception_fp_denorm_src 0
		.amdhsa_exception_fp_ieee_div_zero 0
		.amdhsa_exception_fp_ieee_overflow 0
		.amdhsa_exception_fp_ieee_underflow 0
		.amdhsa_exception_fp_ieee_inexact 0
		.amdhsa_exception_int_div_zero 0
	.end_amdhsa_kernel
	.section	.text._ZN7rocprim17ROCPRIM_400000_NS6detail17trampoline_kernelINS0_14default_configENS1_29reduce_by_key_config_selectorIijN6thrust23THRUST_200600_302600_NS4plusIjEEEEZZNS1_33reduce_by_key_impl_wrapped_configILNS1_25lookback_scan_determinismE0ES3_S9_NS6_6detail15normal_iteratorINS6_10device_ptrIiEEEENSD_INSE_IjEEEESG_SI_PmS8_NS6_8equal_toIiEEEE10hipError_tPvRmT2_T3_mT4_T5_T6_T7_T8_P12ihipStream_tbENKUlT_T0_E_clISt17integral_constantIbLb1EES12_IbLb0EEEEDaSY_SZ_EUlSY_E_NS1_11comp_targetILNS1_3genE3ELNS1_11target_archE908ELNS1_3gpuE7ELNS1_3repE0EEENS1_30default_config_static_selectorELNS0_4arch9wavefront6targetE1EEEvT1_,"axG",@progbits,_ZN7rocprim17ROCPRIM_400000_NS6detail17trampoline_kernelINS0_14default_configENS1_29reduce_by_key_config_selectorIijN6thrust23THRUST_200600_302600_NS4plusIjEEEEZZNS1_33reduce_by_key_impl_wrapped_configILNS1_25lookback_scan_determinismE0ES3_S9_NS6_6detail15normal_iteratorINS6_10device_ptrIiEEEENSD_INSE_IjEEEESG_SI_PmS8_NS6_8equal_toIiEEEE10hipError_tPvRmT2_T3_mT4_T5_T6_T7_T8_P12ihipStream_tbENKUlT_T0_E_clISt17integral_constantIbLb1EES12_IbLb0EEEEDaSY_SZ_EUlSY_E_NS1_11comp_targetILNS1_3genE3ELNS1_11target_archE908ELNS1_3gpuE7ELNS1_3repE0EEENS1_30default_config_static_selectorELNS0_4arch9wavefront6targetE1EEEvT1_,comdat
.Lfunc_end826:
	.size	_ZN7rocprim17ROCPRIM_400000_NS6detail17trampoline_kernelINS0_14default_configENS1_29reduce_by_key_config_selectorIijN6thrust23THRUST_200600_302600_NS4plusIjEEEEZZNS1_33reduce_by_key_impl_wrapped_configILNS1_25lookback_scan_determinismE0ES3_S9_NS6_6detail15normal_iteratorINS6_10device_ptrIiEEEENSD_INSE_IjEEEESG_SI_PmS8_NS6_8equal_toIiEEEE10hipError_tPvRmT2_T3_mT4_T5_T6_T7_T8_P12ihipStream_tbENKUlT_T0_E_clISt17integral_constantIbLb1EES12_IbLb0EEEEDaSY_SZ_EUlSY_E_NS1_11comp_targetILNS1_3genE3ELNS1_11target_archE908ELNS1_3gpuE7ELNS1_3repE0EEENS1_30default_config_static_selectorELNS0_4arch9wavefront6targetE1EEEvT1_, .Lfunc_end826-_ZN7rocprim17ROCPRIM_400000_NS6detail17trampoline_kernelINS0_14default_configENS1_29reduce_by_key_config_selectorIijN6thrust23THRUST_200600_302600_NS4plusIjEEEEZZNS1_33reduce_by_key_impl_wrapped_configILNS1_25lookback_scan_determinismE0ES3_S9_NS6_6detail15normal_iteratorINS6_10device_ptrIiEEEENSD_INSE_IjEEEESG_SI_PmS8_NS6_8equal_toIiEEEE10hipError_tPvRmT2_T3_mT4_T5_T6_T7_T8_P12ihipStream_tbENKUlT_T0_E_clISt17integral_constantIbLb1EES12_IbLb0EEEEDaSY_SZ_EUlSY_E_NS1_11comp_targetILNS1_3genE3ELNS1_11target_archE908ELNS1_3gpuE7ELNS1_3repE0EEENS1_30default_config_static_selectorELNS0_4arch9wavefront6targetE1EEEvT1_
                                        ; -- End function
	.section	.AMDGPU.csdata,"",@progbits
; Kernel info:
; codeLenInByte = 0
; NumSgprs: 4
; NumVgprs: 0
; NumAgprs: 0
; TotalNumVgprs: 0
; ScratchSize: 0
; MemoryBound: 0
; FloatMode: 240
; IeeeMode: 1
; LDSByteSize: 0 bytes/workgroup (compile time only)
; SGPRBlocks: 0
; VGPRBlocks: 0
; NumSGPRsForWavesPerEU: 4
; NumVGPRsForWavesPerEU: 1
; AccumOffset: 4
; Occupancy: 8
; WaveLimiterHint : 0
; COMPUTE_PGM_RSRC2:SCRATCH_EN: 0
; COMPUTE_PGM_RSRC2:USER_SGPR: 6
; COMPUTE_PGM_RSRC2:TRAP_HANDLER: 0
; COMPUTE_PGM_RSRC2:TGID_X_EN: 1
; COMPUTE_PGM_RSRC2:TGID_Y_EN: 0
; COMPUTE_PGM_RSRC2:TGID_Z_EN: 0
; COMPUTE_PGM_RSRC2:TIDIG_COMP_CNT: 0
; COMPUTE_PGM_RSRC3_GFX90A:ACCUM_OFFSET: 0
; COMPUTE_PGM_RSRC3_GFX90A:TG_SPLIT: 0
	.section	.text._ZN7rocprim17ROCPRIM_400000_NS6detail17trampoline_kernelINS0_14default_configENS1_29reduce_by_key_config_selectorIijN6thrust23THRUST_200600_302600_NS4plusIjEEEEZZNS1_33reduce_by_key_impl_wrapped_configILNS1_25lookback_scan_determinismE0ES3_S9_NS6_6detail15normal_iteratorINS6_10device_ptrIiEEEENSD_INSE_IjEEEESG_SI_PmS8_NS6_8equal_toIiEEEE10hipError_tPvRmT2_T3_mT4_T5_T6_T7_T8_P12ihipStream_tbENKUlT_T0_E_clISt17integral_constantIbLb1EES12_IbLb0EEEEDaSY_SZ_EUlSY_E_NS1_11comp_targetILNS1_3genE2ELNS1_11target_archE906ELNS1_3gpuE6ELNS1_3repE0EEENS1_30default_config_static_selectorELNS0_4arch9wavefront6targetE1EEEvT1_,"axG",@progbits,_ZN7rocprim17ROCPRIM_400000_NS6detail17trampoline_kernelINS0_14default_configENS1_29reduce_by_key_config_selectorIijN6thrust23THRUST_200600_302600_NS4plusIjEEEEZZNS1_33reduce_by_key_impl_wrapped_configILNS1_25lookback_scan_determinismE0ES3_S9_NS6_6detail15normal_iteratorINS6_10device_ptrIiEEEENSD_INSE_IjEEEESG_SI_PmS8_NS6_8equal_toIiEEEE10hipError_tPvRmT2_T3_mT4_T5_T6_T7_T8_P12ihipStream_tbENKUlT_T0_E_clISt17integral_constantIbLb1EES12_IbLb0EEEEDaSY_SZ_EUlSY_E_NS1_11comp_targetILNS1_3genE2ELNS1_11target_archE906ELNS1_3gpuE6ELNS1_3repE0EEENS1_30default_config_static_selectorELNS0_4arch9wavefront6targetE1EEEvT1_,comdat
	.protected	_ZN7rocprim17ROCPRIM_400000_NS6detail17trampoline_kernelINS0_14default_configENS1_29reduce_by_key_config_selectorIijN6thrust23THRUST_200600_302600_NS4plusIjEEEEZZNS1_33reduce_by_key_impl_wrapped_configILNS1_25lookback_scan_determinismE0ES3_S9_NS6_6detail15normal_iteratorINS6_10device_ptrIiEEEENSD_INSE_IjEEEESG_SI_PmS8_NS6_8equal_toIiEEEE10hipError_tPvRmT2_T3_mT4_T5_T6_T7_T8_P12ihipStream_tbENKUlT_T0_E_clISt17integral_constantIbLb1EES12_IbLb0EEEEDaSY_SZ_EUlSY_E_NS1_11comp_targetILNS1_3genE2ELNS1_11target_archE906ELNS1_3gpuE6ELNS1_3repE0EEENS1_30default_config_static_selectorELNS0_4arch9wavefront6targetE1EEEvT1_ ; -- Begin function _ZN7rocprim17ROCPRIM_400000_NS6detail17trampoline_kernelINS0_14default_configENS1_29reduce_by_key_config_selectorIijN6thrust23THRUST_200600_302600_NS4plusIjEEEEZZNS1_33reduce_by_key_impl_wrapped_configILNS1_25lookback_scan_determinismE0ES3_S9_NS6_6detail15normal_iteratorINS6_10device_ptrIiEEEENSD_INSE_IjEEEESG_SI_PmS8_NS6_8equal_toIiEEEE10hipError_tPvRmT2_T3_mT4_T5_T6_T7_T8_P12ihipStream_tbENKUlT_T0_E_clISt17integral_constantIbLb1EES12_IbLb0EEEEDaSY_SZ_EUlSY_E_NS1_11comp_targetILNS1_3genE2ELNS1_11target_archE906ELNS1_3gpuE6ELNS1_3repE0EEENS1_30default_config_static_selectorELNS0_4arch9wavefront6targetE1EEEvT1_
	.globl	_ZN7rocprim17ROCPRIM_400000_NS6detail17trampoline_kernelINS0_14default_configENS1_29reduce_by_key_config_selectorIijN6thrust23THRUST_200600_302600_NS4plusIjEEEEZZNS1_33reduce_by_key_impl_wrapped_configILNS1_25lookback_scan_determinismE0ES3_S9_NS6_6detail15normal_iteratorINS6_10device_ptrIiEEEENSD_INSE_IjEEEESG_SI_PmS8_NS6_8equal_toIiEEEE10hipError_tPvRmT2_T3_mT4_T5_T6_T7_T8_P12ihipStream_tbENKUlT_T0_E_clISt17integral_constantIbLb1EES12_IbLb0EEEEDaSY_SZ_EUlSY_E_NS1_11comp_targetILNS1_3genE2ELNS1_11target_archE906ELNS1_3gpuE6ELNS1_3repE0EEENS1_30default_config_static_selectorELNS0_4arch9wavefront6targetE1EEEvT1_
	.p2align	8
	.type	_ZN7rocprim17ROCPRIM_400000_NS6detail17trampoline_kernelINS0_14default_configENS1_29reduce_by_key_config_selectorIijN6thrust23THRUST_200600_302600_NS4plusIjEEEEZZNS1_33reduce_by_key_impl_wrapped_configILNS1_25lookback_scan_determinismE0ES3_S9_NS6_6detail15normal_iteratorINS6_10device_ptrIiEEEENSD_INSE_IjEEEESG_SI_PmS8_NS6_8equal_toIiEEEE10hipError_tPvRmT2_T3_mT4_T5_T6_T7_T8_P12ihipStream_tbENKUlT_T0_E_clISt17integral_constantIbLb1EES12_IbLb0EEEEDaSY_SZ_EUlSY_E_NS1_11comp_targetILNS1_3genE2ELNS1_11target_archE906ELNS1_3gpuE6ELNS1_3repE0EEENS1_30default_config_static_selectorELNS0_4arch9wavefront6targetE1EEEvT1_,@function
_ZN7rocprim17ROCPRIM_400000_NS6detail17trampoline_kernelINS0_14default_configENS1_29reduce_by_key_config_selectorIijN6thrust23THRUST_200600_302600_NS4plusIjEEEEZZNS1_33reduce_by_key_impl_wrapped_configILNS1_25lookback_scan_determinismE0ES3_S9_NS6_6detail15normal_iteratorINS6_10device_ptrIiEEEENSD_INSE_IjEEEESG_SI_PmS8_NS6_8equal_toIiEEEE10hipError_tPvRmT2_T3_mT4_T5_T6_T7_T8_P12ihipStream_tbENKUlT_T0_E_clISt17integral_constantIbLb1EES12_IbLb0EEEEDaSY_SZ_EUlSY_E_NS1_11comp_targetILNS1_3genE2ELNS1_11target_archE906ELNS1_3gpuE6ELNS1_3repE0EEENS1_30default_config_static_selectorELNS0_4arch9wavefront6targetE1EEEvT1_: ; @_ZN7rocprim17ROCPRIM_400000_NS6detail17trampoline_kernelINS0_14default_configENS1_29reduce_by_key_config_selectorIijN6thrust23THRUST_200600_302600_NS4plusIjEEEEZZNS1_33reduce_by_key_impl_wrapped_configILNS1_25lookback_scan_determinismE0ES3_S9_NS6_6detail15normal_iteratorINS6_10device_ptrIiEEEENSD_INSE_IjEEEESG_SI_PmS8_NS6_8equal_toIiEEEE10hipError_tPvRmT2_T3_mT4_T5_T6_T7_T8_P12ihipStream_tbENKUlT_T0_E_clISt17integral_constantIbLb1EES12_IbLb0EEEEDaSY_SZ_EUlSY_E_NS1_11comp_targetILNS1_3genE2ELNS1_11target_archE906ELNS1_3gpuE6ELNS1_3repE0EEENS1_30default_config_static_selectorELNS0_4arch9wavefront6targetE1EEEvT1_
; %bb.0:
	.section	.rodata,"a",@progbits
	.p2align	6, 0x0
	.amdhsa_kernel _ZN7rocprim17ROCPRIM_400000_NS6detail17trampoline_kernelINS0_14default_configENS1_29reduce_by_key_config_selectorIijN6thrust23THRUST_200600_302600_NS4plusIjEEEEZZNS1_33reduce_by_key_impl_wrapped_configILNS1_25lookback_scan_determinismE0ES3_S9_NS6_6detail15normal_iteratorINS6_10device_ptrIiEEEENSD_INSE_IjEEEESG_SI_PmS8_NS6_8equal_toIiEEEE10hipError_tPvRmT2_T3_mT4_T5_T6_T7_T8_P12ihipStream_tbENKUlT_T0_E_clISt17integral_constantIbLb1EES12_IbLb0EEEEDaSY_SZ_EUlSY_E_NS1_11comp_targetILNS1_3genE2ELNS1_11target_archE906ELNS1_3gpuE6ELNS1_3repE0EEENS1_30default_config_static_selectorELNS0_4arch9wavefront6targetE1EEEvT1_
		.amdhsa_group_segment_fixed_size 0
		.amdhsa_private_segment_fixed_size 0
		.amdhsa_kernarg_size 120
		.amdhsa_user_sgpr_count 6
		.amdhsa_user_sgpr_private_segment_buffer 1
		.amdhsa_user_sgpr_dispatch_ptr 0
		.amdhsa_user_sgpr_queue_ptr 0
		.amdhsa_user_sgpr_kernarg_segment_ptr 1
		.amdhsa_user_sgpr_dispatch_id 0
		.amdhsa_user_sgpr_flat_scratch_init 0
		.amdhsa_user_sgpr_kernarg_preload_length 0
		.amdhsa_user_sgpr_kernarg_preload_offset 0
		.amdhsa_user_sgpr_private_segment_size 0
		.amdhsa_uses_dynamic_stack 0
		.amdhsa_system_sgpr_private_segment_wavefront_offset 0
		.amdhsa_system_sgpr_workgroup_id_x 1
		.amdhsa_system_sgpr_workgroup_id_y 0
		.amdhsa_system_sgpr_workgroup_id_z 0
		.amdhsa_system_sgpr_workgroup_info 0
		.amdhsa_system_vgpr_workitem_id 0
		.amdhsa_next_free_vgpr 1
		.amdhsa_next_free_sgpr 0
		.amdhsa_accum_offset 4
		.amdhsa_reserve_vcc 0
		.amdhsa_reserve_flat_scratch 0
		.amdhsa_float_round_mode_32 0
		.amdhsa_float_round_mode_16_64 0
		.amdhsa_float_denorm_mode_32 3
		.amdhsa_float_denorm_mode_16_64 3
		.amdhsa_dx10_clamp 1
		.amdhsa_ieee_mode 1
		.amdhsa_fp16_overflow 0
		.amdhsa_tg_split 0
		.amdhsa_exception_fp_ieee_invalid_op 0
		.amdhsa_exception_fp_denorm_src 0
		.amdhsa_exception_fp_ieee_div_zero 0
		.amdhsa_exception_fp_ieee_overflow 0
		.amdhsa_exception_fp_ieee_underflow 0
		.amdhsa_exception_fp_ieee_inexact 0
		.amdhsa_exception_int_div_zero 0
	.end_amdhsa_kernel
	.section	.text._ZN7rocprim17ROCPRIM_400000_NS6detail17trampoline_kernelINS0_14default_configENS1_29reduce_by_key_config_selectorIijN6thrust23THRUST_200600_302600_NS4plusIjEEEEZZNS1_33reduce_by_key_impl_wrapped_configILNS1_25lookback_scan_determinismE0ES3_S9_NS6_6detail15normal_iteratorINS6_10device_ptrIiEEEENSD_INSE_IjEEEESG_SI_PmS8_NS6_8equal_toIiEEEE10hipError_tPvRmT2_T3_mT4_T5_T6_T7_T8_P12ihipStream_tbENKUlT_T0_E_clISt17integral_constantIbLb1EES12_IbLb0EEEEDaSY_SZ_EUlSY_E_NS1_11comp_targetILNS1_3genE2ELNS1_11target_archE906ELNS1_3gpuE6ELNS1_3repE0EEENS1_30default_config_static_selectorELNS0_4arch9wavefront6targetE1EEEvT1_,"axG",@progbits,_ZN7rocprim17ROCPRIM_400000_NS6detail17trampoline_kernelINS0_14default_configENS1_29reduce_by_key_config_selectorIijN6thrust23THRUST_200600_302600_NS4plusIjEEEEZZNS1_33reduce_by_key_impl_wrapped_configILNS1_25lookback_scan_determinismE0ES3_S9_NS6_6detail15normal_iteratorINS6_10device_ptrIiEEEENSD_INSE_IjEEEESG_SI_PmS8_NS6_8equal_toIiEEEE10hipError_tPvRmT2_T3_mT4_T5_T6_T7_T8_P12ihipStream_tbENKUlT_T0_E_clISt17integral_constantIbLb1EES12_IbLb0EEEEDaSY_SZ_EUlSY_E_NS1_11comp_targetILNS1_3genE2ELNS1_11target_archE906ELNS1_3gpuE6ELNS1_3repE0EEENS1_30default_config_static_selectorELNS0_4arch9wavefront6targetE1EEEvT1_,comdat
.Lfunc_end827:
	.size	_ZN7rocprim17ROCPRIM_400000_NS6detail17trampoline_kernelINS0_14default_configENS1_29reduce_by_key_config_selectorIijN6thrust23THRUST_200600_302600_NS4plusIjEEEEZZNS1_33reduce_by_key_impl_wrapped_configILNS1_25lookback_scan_determinismE0ES3_S9_NS6_6detail15normal_iteratorINS6_10device_ptrIiEEEENSD_INSE_IjEEEESG_SI_PmS8_NS6_8equal_toIiEEEE10hipError_tPvRmT2_T3_mT4_T5_T6_T7_T8_P12ihipStream_tbENKUlT_T0_E_clISt17integral_constantIbLb1EES12_IbLb0EEEEDaSY_SZ_EUlSY_E_NS1_11comp_targetILNS1_3genE2ELNS1_11target_archE906ELNS1_3gpuE6ELNS1_3repE0EEENS1_30default_config_static_selectorELNS0_4arch9wavefront6targetE1EEEvT1_, .Lfunc_end827-_ZN7rocprim17ROCPRIM_400000_NS6detail17trampoline_kernelINS0_14default_configENS1_29reduce_by_key_config_selectorIijN6thrust23THRUST_200600_302600_NS4plusIjEEEEZZNS1_33reduce_by_key_impl_wrapped_configILNS1_25lookback_scan_determinismE0ES3_S9_NS6_6detail15normal_iteratorINS6_10device_ptrIiEEEENSD_INSE_IjEEEESG_SI_PmS8_NS6_8equal_toIiEEEE10hipError_tPvRmT2_T3_mT4_T5_T6_T7_T8_P12ihipStream_tbENKUlT_T0_E_clISt17integral_constantIbLb1EES12_IbLb0EEEEDaSY_SZ_EUlSY_E_NS1_11comp_targetILNS1_3genE2ELNS1_11target_archE906ELNS1_3gpuE6ELNS1_3repE0EEENS1_30default_config_static_selectorELNS0_4arch9wavefront6targetE1EEEvT1_
                                        ; -- End function
	.section	.AMDGPU.csdata,"",@progbits
; Kernel info:
; codeLenInByte = 0
; NumSgprs: 4
; NumVgprs: 0
; NumAgprs: 0
; TotalNumVgprs: 0
; ScratchSize: 0
; MemoryBound: 0
; FloatMode: 240
; IeeeMode: 1
; LDSByteSize: 0 bytes/workgroup (compile time only)
; SGPRBlocks: 0
; VGPRBlocks: 0
; NumSGPRsForWavesPerEU: 4
; NumVGPRsForWavesPerEU: 1
; AccumOffset: 4
; Occupancy: 8
; WaveLimiterHint : 0
; COMPUTE_PGM_RSRC2:SCRATCH_EN: 0
; COMPUTE_PGM_RSRC2:USER_SGPR: 6
; COMPUTE_PGM_RSRC2:TRAP_HANDLER: 0
; COMPUTE_PGM_RSRC2:TGID_X_EN: 1
; COMPUTE_PGM_RSRC2:TGID_Y_EN: 0
; COMPUTE_PGM_RSRC2:TGID_Z_EN: 0
; COMPUTE_PGM_RSRC2:TIDIG_COMP_CNT: 0
; COMPUTE_PGM_RSRC3_GFX90A:ACCUM_OFFSET: 0
; COMPUTE_PGM_RSRC3_GFX90A:TG_SPLIT: 0
	.section	.text._ZN7rocprim17ROCPRIM_400000_NS6detail17trampoline_kernelINS0_14default_configENS1_29reduce_by_key_config_selectorIijN6thrust23THRUST_200600_302600_NS4plusIjEEEEZZNS1_33reduce_by_key_impl_wrapped_configILNS1_25lookback_scan_determinismE0ES3_S9_NS6_6detail15normal_iteratorINS6_10device_ptrIiEEEENSD_INSE_IjEEEESG_SI_PmS8_NS6_8equal_toIiEEEE10hipError_tPvRmT2_T3_mT4_T5_T6_T7_T8_P12ihipStream_tbENKUlT_T0_E_clISt17integral_constantIbLb1EES12_IbLb0EEEEDaSY_SZ_EUlSY_E_NS1_11comp_targetILNS1_3genE10ELNS1_11target_archE1201ELNS1_3gpuE5ELNS1_3repE0EEENS1_30default_config_static_selectorELNS0_4arch9wavefront6targetE1EEEvT1_,"axG",@progbits,_ZN7rocprim17ROCPRIM_400000_NS6detail17trampoline_kernelINS0_14default_configENS1_29reduce_by_key_config_selectorIijN6thrust23THRUST_200600_302600_NS4plusIjEEEEZZNS1_33reduce_by_key_impl_wrapped_configILNS1_25lookback_scan_determinismE0ES3_S9_NS6_6detail15normal_iteratorINS6_10device_ptrIiEEEENSD_INSE_IjEEEESG_SI_PmS8_NS6_8equal_toIiEEEE10hipError_tPvRmT2_T3_mT4_T5_T6_T7_T8_P12ihipStream_tbENKUlT_T0_E_clISt17integral_constantIbLb1EES12_IbLb0EEEEDaSY_SZ_EUlSY_E_NS1_11comp_targetILNS1_3genE10ELNS1_11target_archE1201ELNS1_3gpuE5ELNS1_3repE0EEENS1_30default_config_static_selectorELNS0_4arch9wavefront6targetE1EEEvT1_,comdat
	.protected	_ZN7rocprim17ROCPRIM_400000_NS6detail17trampoline_kernelINS0_14default_configENS1_29reduce_by_key_config_selectorIijN6thrust23THRUST_200600_302600_NS4plusIjEEEEZZNS1_33reduce_by_key_impl_wrapped_configILNS1_25lookback_scan_determinismE0ES3_S9_NS6_6detail15normal_iteratorINS6_10device_ptrIiEEEENSD_INSE_IjEEEESG_SI_PmS8_NS6_8equal_toIiEEEE10hipError_tPvRmT2_T3_mT4_T5_T6_T7_T8_P12ihipStream_tbENKUlT_T0_E_clISt17integral_constantIbLb1EES12_IbLb0EEEEDaSY_SZ_EUlSY_E_NS1_11comp_targetILNS1_3genE10ELNS1_11target_archE1201ELNS1_3gpuE5ELNS1_3repE0EEENS1_30default_config_static_selectorELNS0_4arch9wavefront6targetE1EEEvT1_ ; -- Begin function _ZN7rocprim17ROCPRIM_400000_NS6detail17trampoline_kernelINS0_14default_configENS1_29reduce_by_key_config_selectorIijN6thrust23THRUST_200600_302600_NS4plusIjEEEEZZNS1_33reduce_by_key_impl_wrapped_configILNS1_25lookback_scan_determinismE0ES3_S9_NS6_6detail15normal_iteratorINS6_10device_ptrIiEEEENSD_INSE_IjEEEESG_SI_PmS8_NS6_8equal_toIiEEEE10hipError_tPvRmT2_T3_mT4_T5_T6_T7_T8_P12ihipStream_tbENKUlT_T0_E_clISt17integral_constantIbLb1EES12_IbLb0EEEEDaSY_SZ_EUlSY_E_NS1_11comp_targetILNS1_3genE10ELNS1_11target_archE1201ELNS1_3gpuE5ELNS1_3repE0EEENS1_30default_config_static_selectorELNS0_4arch9wavefront6targetE1EEEvT1_
	.globl	_ZN7rocprim17ROCPRIM_400000_NS6detail17trampoline_kernelINS0_14default_configENS1_29reduce_by_key_config_selectorIijN6thrust23THRUST_200600_302600_NS4plusIjEEEEZZNS1_33reduce_by_key_impl_wrapped_configILNS1_25lookback_scan_determinismE0ES3_S9_NS6_6detail15normal_iteratorINS6_10device_ptrIiEEEENSD_INSE_IjEEEESG_SI_PmS8_NS6_8equal_toIiEEEE10hipError_tPvRmT2_T3_mT4_T5_T6_T7_T8_P12ihipStream_tbENKUlT_T0_E_clISt17integral_constantIbLb1EES12_IbLb0EEEEDaSY_SZ_EUlSY_E_NS1_11comp_targetILNS1_3genE10ELNS1_11target_archE1201ELNS1_3gpuE5ELNS1_3repE0EEENS1_30default_config_static_selectorELNS0_4arch9wavefront6targetE1EEEvT1_
	.p2align	8
	.type	_ZN7rocprim17ROCPRIM_400000_NS6detail17trampoline_kernelINS0_14default_configENS1_29reduce_by_key_config_selectorIijN6thrust23THRUST_200600_302600_NS4plusIjEEEEZZNS1_33reduce_by_key_impl_wrapped_configILNS1_25lookback_scan_determinismE0ES3_S9_NS6_6detail15normal_iteratorINS6_10device_ptrIiEEEENSD_INSE_IjEEEESG_SI_PmS8_NS6_8equal_toIiEEEE10hipError_tPvRmT2_T3_mT4_T5_T6_T7_T8_P12ihipStream_tbENKUlT_T0_E_clISt17integral_constantIbLb1EES12_IbLb0EEEEDaSY_SZ_EUlSY_E_NS1_11comp_targetILNS1_3genE10ELNS1_11target_archE1201ELNS1_3gpuE5ELNS1_3repE0EEENS1_30default_config_static_selectorELNS0_4arch9wavefront6targetE1EEEvT1_,@function
_ZN7rocprim17ROCPRIM_400000_NS6detail17trampoline_kernelINS0_14default_configENS1_29reduce_by_key_config_selectorIijN6thrust23THRUST_200600_302600_NS4plusIjEEEEZZNS1_33reduce_by_key_impl_wrapped_configILNS1_25lookback_scan_determinismE0ES3_S9_NS6_6detail15normal_iteratorINS6_10device_ptrIiEEEENSD_INSE_IjEEEESG_SI_PmS8_NS6_8equal_toIiEEEE10hipError_tPvRmT2_T3_mT4_T5_T6_T7_T8_P12ihipStream_tbENKUlT_T0_E_clISt17integral_constantIbLb1EES12_IbLb0EEEEDaSY_SZ_EUlSY_E_NS1_11comp_targetILNS1_3genE10ELNS1_11target_archE1201ELNS1_3gpuE5ELNS1_3repE0EEENS1_30default_config_static_selectorELNS0_4arch9wavefront6targetE1EEEvT1_: ; @_ZN7rocprim17ROCPRIM_400000_NS6detail17trampoline_kernelINS0_14default_configENS1_29reduce_by_key_config_selectorIijN6thrust23THRUST_200600_302600_NS4plusIjEEEEZZNS1_33reduce_by_key_impl_wrapped_configILNS1_25lookback_scan_determinismE0ES3_S9_NS6_6detail15normal_iteratorINS6_10device_ptrIiEEEENSD_INSE_IjEEEESG_SI_PmS8_NS6_8equal_toIiEEEE10hipError_tPvRmT2_T3_mT4_T5_T6_T7_T8_P12ihipStream_tbENKUlT_T0_E_clISt17integral_constantIbLb1EES12_IbLb0EEEEDaSY_SZ_EUlSY_E_NS1_11comp_targetILNS1_3genE10ELNS1_11target_archE1201ELNS1_3gpuE5ELNS1_3repE0EEENS1_30default_config_static_selectorELNS0_4arch9wavefront6targetE1EEEvT1_
; %bb.0:
	.section	.rodata,"a",@progbits
	.p2align	6, 0x0
	.amdhsa_kernel _ZN7rocprim17ROCPRIM_400000_NS6detail17trampoline_kernelINS0_14default_configENS1_29reduce_by_key_config_selectorIijN6thrust23THRUST_200600_302600_NS4plusIjEEEEZZNS1_33reduce_by_key_impl_wrapped_configILNS1_25lookback_scan_determinismE0ES3_S9_NS6_6detail15normal_iteratorINS6_10device_ptrIiEEEENSD_INSE_IjEEEESG_SI_PmS8_NS6_8equal_toIiEEEE10hipError_tPvRmT2_T3_mT4_T5_T6_T7_T8_P12ihipStream_tbENKUlT_T0_E_clISt17integral_constantIbLb1EES12_IbLb0EEEEDaSY_SZ_EUlSY_E_NS1_11comp_targetILNS1_3genE10ELNS1_11target_archE1201ELNS1_3gpuE5ELNS1_3repE0EEENS1_30default_config_static_selectorELNS0_4arch9wavefront6targetE1EEEvT1_
		.amdhsa_group_segment_fixed_size 0
		.amdhsa_private_segment_fixed_size 0
		.amdhsa_kernarg_size 120
		.amdhsa_user_sgpr_count 6
		.amdhsa_user_sgpr_private_segment_buffer 1
		.amdhsa_user_sgpr_dispatch_ptr 0
		.amdhsa_user_sgpr_queue_ptr 0
		.amdhsa_user_sgpr_kernarg_segment_ptr 1
		.amdhsa_user_sgpr_dispatch_id 0
		.amdhsa_user_sgpr_flat_scratch_init 0
		.amdhsa_user_sgpr_kernarg_preload_length 0
		.amdhsa_user_sgpr_kernarg_preload_offset 0
		.amdhsa_user_sgpr_private_segment_size 0
		.amdhsa_uses_dynamic_stack 0
		.amdhsa_system_sgpr_private_segment_wavefront_offset 0
		.amdhsa_system_sgpr_workgroup_id_x 1
		.amdhsa_system_sgpr_workgroup_id_y 0
		.amdhsa_system_sgpr_workgroup_id_z 0
		.amdhsa_system_sgpr_workgroup_info 0
		.amdhsa_system_vgpr_workitem_id 0
		.amdhsa_next_free_vgpr 1
		.amdhsa_next_free_sgpr 0
		.amdhsa_accum_offset 4
		.amdhsa_reserve_vcc 0
		.amdhsa_reserve_flat_scratch 0
		.amdhsa_float_round_mode_32 0
		.amdhsa_float_round_mode_16_64 0
		.amdhsa_float_denorm_mode_32 3
		.amdhsa_float_denorm_mode_16_64 3
		.amdhsa_dx10_clamp 1
		.amdhsa_ieee_mode 1
		.amdhsa_fp16_overflow 0
		.amdhsa_tg_split 0
		.amdhsa_exception_fp_ieee_invalid_op 0
		.amdhsa_exception_fp_denorm_src 0
		.amdhsa_exception_fp_ieee_div_zero 0
		.amdhsa_exception_fp_ieee_overflow 0
		.amdhsa_exception_fp_ieee_underflow 0
		.amdhsa_exception_fp_ieee_inexact 0
		.amdhsa_exception_int_div_zero 0
	.end_amdhsa_kernel
	.section	.text._ZN7rocprim17ROCPRIM_400000_NS6detail17trampoline_kernelINS0_14default_configENS1_29reduce_by_key_config_selectorIijN6thrust23THRUST_200600_302600_NS4plusIjEEEEZZNS1_33reduce_by_key_impl_wrapped_configILNS1_25lookback_scan_determinismE0ES3_S9_NS6_6detail15normal_iteratorINS6_10device_ptrIiEEEENSD_INSE_IjEEEESG_SI_PmS8_NS6_8equal_toIiEEEE10hipError_tPvRmT2_T3_mT4_T5_T6_T7_T8_P12ihipStream_tbENKUlT_T0_E_clISt17integral_constantIbLb1EES12_IbLb0EEEEDaSY_SZ_EUlSY_E_NS1_11comp_targetILNS1_3genE10ELNS1_11target_archE1201ELNS1_3gpuE5ELNS1_3repE0EEENS1_30default_config_static_selectorELNS0_4arch9wavefront6targetE1EEEvT1_,"axG",@progbits,_ZN7rocprim17ROCPRIM_400000_NS6detail17trampoline_kernelINS0_14default_configENS1_29reduce_by_key_config_selectorIijN6thrust23THRUST_200600_302600_NS4plusIjEEEEZZNS1_33reduce_by_key_impl_wrapped_configILNS1_25lookback_scan_determinismE0ES3_S9_NS6_6detail15normal_iteratorINS6_10device_ptrIiEEEENSD_INSE_IjEEEESG_SI_PmS8_NS6_8equal_toIiEEEE10hipError_tPvRmT2_T3_mT4_T5_T6_T7_T8_P12ihipStream_tbENKUlT_T0_E_clISt17integral_constantIbLb1EES12_IbLb0EEEEDaSY_SZ_EUlSY_E_NS1_11comp_targetILNS1_3genE10ELNS1_11target_archE1201ELNS1_3gpuE5ELNS1_3repE0EEENS1_30default_config_static_selectorELNS0_4arch9wavefront6targetE1EEEvT1_,comdat
.Lfunc_end828:
	.size	_ZN7rocprim17ROCPRIM_400000_NS6detail17trampoline_kernelINS0_14default_configENS1_29reduce_by_key_config_selectorIijN6thrust23THRUST_200600_302600_NS4plusIjEEEEZZNS1_33reduce_by_key_impl_wrapped_configILNS1_25lookback_scan_determinismE0ES3_S9_NS6_6detail15normal_iteratorINS6_10device_ptrIiEEEENSD_INSE_IjEEEESG_SI_PmS8_NS6_8equal_toIiEEEE10hipError_tPvRmT2_T3_mT4_T5_T6_T7_T8_P12ihipStream_tbENKUlT_T0_E_clISt17integral_constantIbLb1EES12_IbLb0EEEEDaSY_SZ_EUlSY_E_NS1_11comp_targetILNS1_3genE10ELNS1_11target_archE1201ELNS1_3gpuE5ELNS1_3repE0EEENS1_30default_config_static_selectorELNS0_4arch9wavefront6targetE1EEEvT1_, .Lfunc_end828-_ZN7rocprim17ROCPRIM_400000_NS6detail17trampoline_kernelINS0_14default_configENS1_29reduce_by_key_config_selectorIijN6thrust23THRUST_200600_302600_NS4plusIjEEEEZZNS1_33reduce_by_key_impl_wrapped_configILNS1_25lookback_scan_determinismE0ES3_S9_NS6_6detail15normal_iteratorINS6_10device_ptrIiEEEENSD_INSE_IjEEEESG_SI_PmS8_NS6_8equal_toIiEEEE10hipError_tPvRmT2_T3_mT4_T5_T6_T7_T8_P12ihipStream_tbENKUlT_T0_E_clISt17integral_constantIbLb1EES12_IbLb0EEEEDaSY_SZ_EUlSY_E_NS1_11comp_targetILNS1_3genE10ELNS1_11target_archE1201ELNS1_3gpuE5ELNS1_3repE0EEENS1_30default_config_static_selectorELNS0_4arch9wavefront6targetE1EEEvT1_
                                        ; -- End function
	.section	.AMDGPU.csdata,"",@progbits
; Kernel info:
; codeLenInByte = 0
; NumSgprs: 4
; NumVgprs: 0
; NumAgprs: 0
; TotalNumVgprs: 0
; ScratchSize: 0
; MemoryBound: 0
; FloatMode: 240
; IeeeMode: 1
; LDSByteSize: 0 bytes/workgroup (compile time only)
; SGPRBlocks: 0
; VGPRBlocks: 0
; NumSGPRsForWavesPerEU: 4
; NumVGPRsForWavesPerEU: 1
; AccumOffset: 4
; Occupancy: 8
; WaveLimiterHint : 0
; COMPUTE_PGM_RSRC2:SCRATCH_EN: 0
; COMPUTE_PGM_RSRC2:USER_SGPR: 6
; COMPUTE_PGM_RSRC2:TRAP_HANDLER: 0
; COMPUTE_PGM_RSRC2:TGID_X_EN: 1
; COMPUTE_PGM_RSRC2:TGID_Y_EN: 0
; COMPUTE_PGM_RSRC2:TGID_Z_EN: 0
; COMPUTE_PGM_RSRC2:TIDIG_COMP_CNT: 0
; COMPUTE_PGM_RSRC3_GFX90A:ACCUM_OFFSET: 0
; COMPUTE_PGM_RSRC3_GFX90A:TG_SPLIT: 0
	.section	.text._ZN7rocprim17ROCPRIM_400000_NS6detail17trampoline_kernelINS0_14default_configENS1_29reduce_by_key_config_selectorIijN6thrust23THRUST_200600_302600_NS4plusIjEEEEZZNS1_33reduce_by_key_impl_wrapped_configILNS1_25lookback_scan_determinismE0ES3_S9_NS6_6detail15normal_iteratorINS6_10device_ptrIiEEEENSD_INSE_IjEEEESG_SI_PmS8_NS6_8equal_toIiEEEE10hipError_tPvRmT2_T3_mT4_T5_T6_T7_T8_P12ihipStream_tbENKUlT_T0_E_clISt17integral_constantIbLb1EES12_IbLb0EEEEDaSY_SZ_EUlSY_E_NS1_11comp_targetILNS1_3genE10ELNS1_11target_archE1200ELNS1_3gpuE4ELNS1_3repE0EEENS1_30default_config_static_selectorELNS0_4arch9wavefront6targetE1EEEvT1_,"axG",@progbits,_ZN7rocprim17ROCPRIM_400000_NS6detail17trampoline_kernelINS0_14default_configENS1_29reduce_by_key_config_selectorIijN6thrust23THRUST_200600_302600_NS4plusIjEEEEZZNS1_33reduce_by_key_impl_wrapped_configILNS1_25lookback_scan_determinismE0ES3_S9_NS6_6detail15normal_iteratorINS6_10device_ptrIiEEEENSD_INSE_IjEEEESG_SI_PmS8_NS6_8equal_toIiEEEE10hipError_tPvRmT2_T3_mT4_T5_T6_T7_T8_P12ihipStream_tbENKUlT_T0_E_clISt17integral_constantIbLb1EES12_IbLb0EEEEDaSY_SZ_EUlSY_E_NS1_11comp_targetILNS1_3genE10ELNS1_11target_archE1200ELNS1_3gpuE4ELNS1_3repE0EEENS1_30default_config_static_selectorELNS0_4arch9wavefront6targetE1EEEvT1_,comdat
	.protected	_ZN7rocprim17ROCPRIM_400000_NS6detail17trampoline_kernelINS0_14default_configENS1_29reduce_by_key_config_selectorIijN6thrust23THRUST_200600_302600_NS4plusIjEEEEZZNS1_33reduce_by_key_impl_wrapped_configILNS1_25lookback_scan_determinismE0ES3_S9_NS6_6detail15normal_iteratorINS6_10device_ptrIiEEEENSD_INSE_IjEEEESG_SI_PmS8_NS6_8equal_toIiEEEE10hipError_tPvRmT2_T3_mT4_T5_T6_T7_T8_P12ihipStream_tbENKUlT_T0_E_clISt17integral_constantIbLb1EES12_IbLb0EEEEDaSY_SZ_EUlSY_E_NS1_11comp_targetILNS1_3genE10ELNS1_11target_archE1200ELNS1_3gpuE4ELNS1_3repE0EEENS1_30default_config_static_selectorELNS0_4arch9wavefront6targetE1EEEvT1_ ; -- Begin function _ZN7rocprim17ROCPRIM_400000_NS6detail17trampoline_kernelINS0_14default_configENS1_29reduce_by_key_config_selectorIijN6thrust23THRUST_200600_302600_NS4plusIjEEEEZZNS1_33reduce_by_key_impl_wrapped_configILNS1_25lookback_scan_determinismE0ES3_S9_NS6_6detail15normal_iteratorINS6_10device_ptrIiEEEENSD_INSE_IjEEEESG_SI_PmS8_NS6_8equal_toIiEEEE10hipError_tPvRmT2_T3_mT4_T5_T6_T7_T8_P12ihipStream_tbENKUlT_T0_E_clISt17integral_constantIbLb1EES12_IbLb0EEEEDaSY_SZ_EUlSY_E_NS1_11comp_targetILNS1_3genE10ELNS1_11target_archE1200ELNS1_3gpuE4ELNS1_3repE0EEENS1_30default_config_static_selectorELNS0_4arch9wavefront6targetE1EEEvT1_
	.globl	_ZN7rocprim17ROCPRIM_400000_NS6detail17trampoline_kernelINS0_14default_configENS1_29reduce_by_key_config_selectorIijN6thrust23THRUST_200600_302600_NS4plusIjEEEEZZNS1_33reduce_by_key_impl_wrapped_configILNS1_25lookback_scan_determinismE0ES3_S9_NS6_6detail15normal_iteratorINS6_10device_ptrIiEEEENSD_INSE_IjEEEESG_SI_PmS8_NS6_8equal_toIiEEEE10hipError_tPvRmT2_T3_mT4_T5_T6_T7_T8_P12ihipStream_tbENKUlT_T0_E_clISt17integral_constantIbLb1EES12_IbLb0EEEEDaSY_SZ_EUlSY_E_NS1_11comp_targetILNS1_3genE10ELNS1_11target_archE1200ELNS1_3gpuE4ELNS1_3repE0EEENS1_30default_config_static_selectorELNS0_4arch9wavefront6targetE1EEEvT1_
	.p2align	8
	.type	_ZN7rocprim17ROCPRIM_400000_NS6detail17trampoline_kernelINS0_14default_configENS1_29reduce_by_key_config_selectorIijN6thrust23THRUST_200600_302600_NS4plusIjEEEEZZNS1_33reduce_by_key_impl_wrapped_configILNS1_25lookback_scan_determinismE0ES3_S9_NS6_6detail15normal_iteratorINS6_10device_ptrIiEEEENSD_INSE_IjEEEESG_SI_PmS8_NS6_8equal_toIiEEEE10hipError_tPvRmT2_T3_mT4_T5_T6_T7_T8_P12ihipStream_tbENKUlT_T0_E_clISt17integral_constantIbLb1EES12_IbLb0EEEEDaSY_SZ_EUlSY_E_NS1_11comp_targetILNS1_3genE10ELNS1_11target_archE1200ELNS1_3gpuE4ELNS1_3repE0EEENS1_30default_config_static_selectorELNS0_4arch9wavefront6targetE1EEEvT1_,@function
_ZN7rocprim17ROCPRIM_400000_NS6detail17trampoline_kernelINS0_14default_configENS1_29reduce_by_key_config_selectorIijN6thrust23THRUST_200600_302600_NS4plusIjEEEEZZNS1_33reduce_by_key_impl_wrapped_configILNS1_25lookback_scan_determinismE0ES3_S9_NS6_6detail15normal_iteratorINS6_10device_ptrIiEEEENSD_INSE_IjEEEESG_SI_PmS8_NS6_8equal_toIiEEEE10hipError_tPvRmT2_T3_mT4_T5_T6_T7_T8_P12ihipStream_tbENKUlT_T0_E_clISt17integral_constantIbLb1EES12_IbLb0EEEEDaSY_SZ_EUlSY_E_NS1_11comp_targetILNS1_3genE10ELNS1_11target_archE1200ELNS1_3gpuE4ELNS1_3repE0EEENS1_30default_config_static_selectorELNS0_4arch9wavefront6targetE1EEEvT1_: ; @_ZN7rocprim17ROCPRIM_400000_NS6detail17trampoline_kernelINS0_14default_configENS1_29reduce_by_key_config_selectorIijN6thrust23THRUST_200600_302600_NS4plusIjEEEEZZNS1_33reduce_by_key_impl_wrapped_configILNS1_25lookback_scan_determinismE0ES3_S9_NS6_6detail15normal_iteratorINS6_10device_ptrIiEEEENSD_INSE_IjEEEESG_SI_PmS8_NS6_8equal_toIiEEEE10hipError_tPvRmT2_T3_mT4_T5_T6_T7_T8_P12ihipStream_tbENKUlT_T0_E_clISt17integral_constantIbLb1EES12_IbLb0EEEEDaSY_SZ_EUlSY_E_NS1_11comp_targetILNS1_3genE10ELNS1_11target_archE1200ELNS1_3gpuE4ELNS1_3repE0EEENS1_30default_config_static_selectorELNS0_4arch9wavefront6targetE1EEEvT1_
; %bb.0:
	.section	.rodata,"a",@progbits
	.p2align	6, 0x0
	.amdhsa_kernel _ZN7rocprim17ROCPRIM_400000_NS6detail17trampoline_kernelINS0_14default_configENS1_29reduce_by_key_config_selectorIijN6thrust23THRUST_200600_302600_NS4plusIjEEEEZZNS1_33reduce_by_key_impl_wrapped_configILNS1_25lookback_scan_determinismE0ES3_S9_NS6_6detail15normal_iteratorINS6_10device_ptrIiEEEENSD_INSE_IjEEEESG_SI_PmS8_NS6_8equal_toIiEEEE10hipError_tPvRmT2_T3_mT4_T5_T6_T7_T8_P12ihipStream_tbENKUlT_T0_E_clISt17integral_constantIbLb1EES12_IbLb0EEEEDaSY_SZ_EUlSY_E_NS1_11comp_targetILNS1_3genE10ELNS1_11target_archE1200ELNS1_3gpuE4ELNS1_3repE0EEENS1_30default_config_static_selectorELNS0_4arch9wavefront6targetE1EEEvT1_
		.amdhsa_group_segment_fixed_size 0
		.amdhsa_private_segment_fixed_size 0
		.amdhsa_kernarg_size 120
		.amdhsa_user_sgpr_count 6
		.amdhsa_user_sgpr_private_segment_buffer 1
		.amdhsa_user_sgpr_dispatch_ptr 0
		.amdhsa_user_sgpr_queue_ptr 0
		.amdhsa_user_sgpr_kernarg_segment_ptr 1
		.amdhsa_user_sgpr_dispatch_id 0
		.amdhsa_user_sgpr_flat_scratch_init 0
		.amdhsa_user_sgpr_kernarg_preload_length 0
		.amdhsa_user_sgpr_kernarg_preload_offset 0
		.amdhsa_user_sgpr_private_segment_size 0
		.amdhsa_uses_dynamic_stack 0
		.amdhsa_system_sgpr_private_segment_wavefront_offset 0
		.amdhsa_system_sgpr_workgroup_id_x 1
		.amdhsa_system_sgpr_workgroup_id_y 0
		.amdhsa_system_sgpr_workgroup_id_z 0
		.amdhsa_system_sgpr_workgroup_info 0
		.amdhsa_system_vgpr_workitem_id 0
		.amdhsa_next_free_vgpr 1
		.amdhsa_next_free_sgpr 0
		.amdhsa_accum_offset 4
		.amdhsa_reserve_vcc 0
		.amdhsa_reserve_flat_scratch 0
		.amdhsa_float_round_mode_32 0
		.amdhsa_float_round_mode_16_64 0
		.amdhsa_float_denorm_mode_32 3
		.amdhsa_float_denorm_mode_16_64 3
		.amdhsa_dx10_clamp 1
		.amdhsa_ieee_mode 1
		.amdhsa_fp16_overflow 0
		.amdhsa_tg_split 0
		.amdhsa_exception_fp_ieee_invalid_op 0
		.amdhsa_exception_fp_denorm_src 0
		.amdhsa_exception_fp_ieee_div_zero 0
		.amdhsa_exception_fp_ieee_overflow 0
		.amdhsa_exception_fp_ieee_underflow 0
		.amdhsa_exception_fp_ieee_inexact 0
		.amdhsa_exception_int_div_zero 0
	.end_amdhsa_kernel
	.section	.text._ZN7rocprim17ROCPRIM_400000_NS6detail17trampoline_kernelINS0_14default_configENS1_29reduce_by_key_config_selectorIijN6thrust23THRUST_200600_302600_NS4plusIjEEEEZZNS1_33reduce_by_key_impl_wrapped_configILNS1_25lookback_scan_determinismE0ES3_S9_NS6_6detail15normal_iteratorINS6_10device_ptrIiEEEENSD_INSE_IjEEEESG_SI_PmS8_NS6_8equal_toIiEEEE10hipError_tPvRmT2_T3_mT4_T5_T6_T7_T8_P12ihipStream_tbENKUlT_T0_E_clISt17integral_constantIbLb1EES12_IbLb0EEEEDaSY_SZ_EUlSY_E_NS1_11comp_targetILNS1_3genE10ELNS1_11target_archE1200ELNS1_3gpuE4ELNS1_3repE0EEENS1_30default_config_static_selectorELNS0_4arch9wavefront6targetE1EEEvT1_,"axG",@progbits,_ZN7rocprim17ROCPRIM_400000_NS6detail17trampoline_kernelINS0_14default_configENS1_29reduce_by_key_config_selectorIijN6thrust23THRUST_200600_302600_NS4plusIjEEEEZZNS1_33reduce_by_key_impl_wrapped_configILNS1_25lookback_scan_determinismE0ES3_S9_NS6_6detail15normal_iteratorINS6_10device_ptrIiEEEENSD_INSE_IjEEEESG_SI_PmS8_NS6_8equal_toIiEEEE10hipError_tPvRmT2_T3_mT4_T5_T6_T7_T8_P12ihipStream_tbENKUlT_T0_E_clISt17integral_constantIbLb1EES12_IbLb0EEEEDaSY_SZ_EUlSY_E_NS1_11comp_targetILNS1_3genE10ELNS1_11target_archE1200ELNS1_3gpuE4ELNS1_3repE0EEENS1_30default_config_static_selectorELNS0_4arch9wavefront6targetE1EEEvT1_,comdat
.Lfunc_end829:
	.size	_ZN7rocprim17ROCPRIM_400000_NS6detail17trampoline_kernelINS0_14default_configENS1_29reduce_by_key_config_selectorIijN6thrust23THRUST_200600_302600_NS4plusIjEEEEZZNS1_33reduce_by_key_impl_wrapped_configILNS1_25lookback_scan_determinismE0ES3_S9_NS6_6detail15normal_iteratorINS6_10device_ptrIiEEEENSD_INSE_IjEEEESG_SI_PmS8_NS6_8equal_toIiEEEE10hipError_tPvRmT2_T3_mT4_T5_T6_T7_T8_P12ihipStream_tbENKUlT_T0_E_clISt17integral_constantIbLb1EES12_IbLb0EEEEDaSY_SZ_EUlSY_E_NS1_11comp_targetILNS1_3genE10ELNS1_11target_archE1200ELNS1_3gpuE4ELNS1_3repE0EEENS1_30default_config_static_selectorELNS0_4arch9wavefront6targetE1EEEvT1_, .Lfunc_end829-_ZN7rocprim17ROCPRIM_400000_NS6detail17trampoline_kernelINS0_14default_configENS1_29reduce_by_key_config_selectorIijN6thrust23THRUST_200600_302600_NS4plusIjEEEEZZNS1_33reduce_by_key_impl_wrapped_configILNS1_25lookback_scan_determinismE0ES3_S9_NS6_6detail15normal_iteratorINS6_10device_ptrIiEEEENSD_INSE_IjEEEESG_SI_PmS8_NS6_8equal_toIiEEEE10hipError_tPvRmT2_T3_mT4_T5_T6_T7_T8_P12ihipStream_tbENKUlT_T0_E_clISt17integral_constantIbLb1EES12_IbLb0EEEEDaSY_SZ_EUlSY_E_NS1_11comp_targetILNS1_3genE10ELNS1_11target_archE1200ELNS1_3gpuE4ELNS1_3repE0EEENS1_30default_config_static_selectorELNS0_4arch9wavefront6targetE1EEEvT1_
                                        ; -- End function
	.section	.AMDGPU.csdata,"",@progbits
; Kernel info:
; codeLenInByte = 0
; NumSgprs: 4
; NumVgprs: 0
; NumAgprs: 0
; TotalNumVgprs: 0
; ScratchSize: 0
; MemoryBound: 0
; FloatMode: 240
; IeeeMode: 1
; LDSByteSize: 0 bytes/workgroup (compile time only)
; SGPRBlocks: 0
; VGPRBlocks: 0
; NumSGPRsForWavesPerEU: 4
; NumVGPRsForWavesPerEU: 1
; AccumOffset: 4
; Occupancy: 8
; WaveLimiterHint : 0
; COMPUTE_PGM_RSRC2:SCRATCH_EN: 0
; COMPUTE_PGM_RSRC2:USER_SGPR: 6
; COMPUTE_PGM_RSRC2:TRAP_HANDLER: 0
; COMPUTE_PGM_RSRC2:TGID_X_EN: 1
; COMPUTE_PGM_RSRC2:TGID_Y_EN: 0
; COMPUTE_PGM_RSRC2:TGID_Z_EN: 0
; COMPUTE_PGM_RSRC2:TIDIG_COMP_CNT: 0
; COMPUTE_PGM_RSRC3_GFX90A:ACCUM_OFFSET: 0
; COMPUTE_PGM_RSRC3_GFX90A:TG_SPLIT: 0
	.section	.text._ZN7rocprim17ROCPRIM_400000_NS6detail17trampoline_kernelINS0_14default_configENS1_29reduce_by_key_config_selectorIijN6thrust23THRUST_200600_302600_NS4plusIjEEEEZZNS1_33reduce_by_key_impl_wrapped_configILNS1_25lookback_scan_determinismE0ES3_S9_NS6_6detail15normal_iteratorINS6_10device_ptrIiEEEENSD_INSE_IjEEEESG_SI_PmS8_NS6_8equal_toIiEEEE10hipError_tPvRmT2_T3_mT4_T5_T6_T7_T8_P12ihipStream_tbENKUlT_T0_E_clISt17integral_constantIbLb1EES12_IbLb0EEEEDaSY_SZ_EUlSY_E_NS1_11comp_targetILNS1_3genE9ELNS1_11target_archE1100ELNS1_3gpuE3ELNS1_3repE0EEENS1_30default_config_static_selectorELNS0_4arch9wavefront6targetE1EEEvT1_,"axG",@progbits,_ZN7rocprim17ROCPRIM_400000_NS6detail17trampoline_kernelINS0_14default_configENS1_29reduce_by_key_config_selectorIijN6thrust23THRUST_200600_302600_NS4plusIjEEEEZZNS1_33reduce_by_key_impl_wrapped_configILNS1_25lookback_scan_determinismE0ES3_S9_NS6_6detail15normal_iteratorINS6_10device_ptrIiEEEENSD_INSE_IjEEEESG_SI_PmS8_NS6_8equal_toIiEEEE10hipError_tPvRmT2_T3_mT4_T5_T6_T7_T8_P12ihipStream_tbENKUlT_T0_E_clISt17integral_constantIbLb1EES12_IbLb0EEEEDaSY_SZ_EUlSY_E_NS1_11comp_targetILNS1_3genE9ELNS1_11target_archE1100ELNS1_3gpuE3ELNS1_3repE0EEENS1_30default_config_static_selectorELNS0_4arch9wavefront6targetE1EEEvT1_,comdat
	.protected	_ZN7rocprim17ROCPRIM_400000_NS6detail17trampoline_kernelINS0_14default_configENS1_29reduce_by_key_config_selectorIijN6thrust23THRUST_200600_302600_NS4plusIjEEEEZZNS1_33reduce_by_key_impl_wrapped_configILNS1_25lookback_scan_determinismE0ES3_S9_NS6_6detail15normal_iteratorINS6_10device_ptrIiEEEENSD_INSE_IjEEEESG_SI_PmS8_NS6_8equal_toIiEEEE10hipError_tPvRmT2_T3_mT4_T5_T6_T7_T8_P12ihipStream_tbENKUlT_T0_E_clISt17integral_constantIbLb1EES12_IbLb0EEEEDaSY_SZ_EUlSY_E_NS1_11comp_targetILNS1_3genE9ELNS1_11target_archE1100ELNS1_3gpuE3ELNS1_3repE0EEENS1_30default_config_static_selectorELNS0_4arch9wavefront6targetE1EEEvT1_ ; -- Begin function _ZN7rocprim17ROCPRIM_400000_NS6detail17trampoline_kernelINS0_14default_configENS1_29reduce_by_key_config_selectorIijN6thrust23THRUST_200600_302600_NS4plusIjEEEEZZNS1_33reduce_by_key_impl_wrapped_configILNS1_25lookback_scan_determinismE0ES3_S9_NS6_6detail15normal_iteratorINS6_10device_ptrIiEEEENSD_INSE_IjEEEESG_SI_PmS8_NS6_8equal_toIiEEEE10hipError_tPvRmT2_T3_mT4_T5_T6_T7_T8_P12ihipStream_tbENKUlT_T0_E_clISt17integral_constantIbLb1EES12_IbLb0EEEEDaSY_SZ_EUlSY_E_NS1_11comp_targetILNS1_3genE9ELNS1_11target_archE1100ELNS1_3gpuE3ELNS1_3repE0EEENS1_30default_config_static_selectorELNS0_4arch9wavefront6targetE1EEEvT1_
	.globl	_ZN7rocprim17ROCPRIM_400000_NS6detail17trampoline_kernelINS0_14default_configENS1_29reduce_by_key_config_selectorIijN6thrust23THRUST_200600_302600_NS4plusIjEEEEZZNS1_33reduce_by_key_impl_wrapped_configILNS1_25lookback_scan_determinismE0ES3_S9_NS6_6detail15normal_iteratorINS6_10device_ptrIiEEEENSD_INSE_IjEEEESG_SI_PmS8_NS6_8equal_toIiEEEE10hipError_tPvRmT2_T3_mT4_T5_T6_T7_T8_P12ihipStream_tbENKUlT_T0_E_clISt17integral_constantIbLb1EES12_IbLb0EEEEDaSY_SZ_EUlSY_E_NS1_11comp_targetILNS1_3genE9ELNS1_11target_archE1100ELNS1_3gpuE3ELNS1_3repE0EEENS1_30default_config_static_selectorELNS0_4arch9wavefront6targetE1EEEvT1_
	.p2align	8
	.type	_ZN7rocprim17ROCPRIM_400000_NS6detail17trampoline_kernelINS0_14default_configENS1_29reduce_by_key_config_selectorIijN6thrust23THRUST_200600_302600_NS4plusIjEEEEZZNS1_33reduce_by_key_impl_wrapped_configILNS1_25lookback_scan_determinismE0ES3_S9_NS6_6detail15normal_iteratorINS6_10device_ptrIiEEEENSD_INSE_IjEEEESG_SI_PmS8_NS6_8equal_toIiEEEE10hipError_tPvRmT2_T3_mT4_T5_T6_T7_T8_P12ihipStream_tbENKUlT_T0_E_clISt17integral_constantIbLb1EES12_IbLb0EEEEDaSY_SZ_EUlSY_E_NS1_11comp_targetILNS1_3genE9ELNS1_11target_archE1100ELNS1_3gpuE3ELNS1_3repE0EEENS1_30default_config_static_selectorELNS0_4arch9wavefront6targetE1EEEvT1_,@function
_ZN7rocprim17ROCPRIM_400000_NS6detail17trampoline_kernelINS0_14default_configENS1_29reduce_by_key_config_selectorIijN6thrust23THRUST_200600_302600_NS4plusIjEEEEZZNS1_33reduce_by_key_impl_wrapped_configILNS1_25lookback_scan_determinismE0ES3_S9_NS6_6detail15normal_iteratorINS6_10device_ptrIiEEEENSD_INSE_IjEEEESG_SI_PmS8_NS6_8equal_toIiEEEE10hipError_tPvRmT2_T3_mT4_T5_T6_T7_T8_P12ihipStream_tbENKUlT_T0_E_clISt17integral_constantIbLb1EES12_IbLb0EEEEDaSY_SZ_EUlSY_E_NS1_11comp_targetILNS1_3genE9ELNS1_11target_archE1100ELNS1_3gpuE3ELNS1_3repE0EEENS1_30default_config_static_selectorELNS0_4arch9wavefront6targetE1EEEvT1_: ; @_ZN7rocprim17ROCPRIM_400000_NS6detail17trampoline_kernelINS0_14default_configENS1_29reduce_by_key_config_selectorIijN6thrust23THRUST_200600_302600_NS4plusIjEEEEZZNS1_33reduce_by_key_impl_wrapped_configILNS1_25lookback_scan_determinismE0ES3_S9_NS6_6detail15normal_iteratorINS6_10device_ptrIiEEEENSD_INSE_IjEEEESG_SI_PmS8_NS6_8equal_toIiEEEE10hipError_tPvRmT2_T3_mT4_T5_T6_T7_T8_P12ihipStream_tbENKUlT_T0_E_clISt17integral_constantIbLb1EES12_IbLb0EEEEDaSY_SZ_EUlSY_E_NS1_11comp_targetILNS1_3genE9ELNS1_11target_archE1100ELNS1_3gpuE3ELNS1_3repE0EEENS1_30default_config_static_selectorELNS0_4arch9wavefront6targetE1EEEvT1_
; %bb.0:
	.section	.rodata,"a",@progbits
	.p2align	6, 0x0
	.amdhsa_kernel _ZN7rocprim17ROCPRIM_400000_NS6detail17trampoline_kernelINS0_14default_configENS1_29reduce_by_key_config_selectorIijN6thrust23THRUST_200600_302600_NS4plusIjEEEEZZNS1_33reduce_by_key_impl_wrapped_configILNS1_25lookback_scan_determinismE0ES3_S9_NS6_6detail15normal_iteratorINS6_10device_ptrIiEEEENSD_INSE_IjEEEESG_SI_PmS8_NS6_8equal_toIiEEEE10hipError_tPvRmT2_T3_mT4_T5_T6_T7_T8_P12ihipStream_tbENKUlT_T0_E_clISt17integral_constantIbLb1EES12_IbLb0EEEEDaSY_SZ_EUlSY_E_NS1_11comp_targetILNS1_3genE9ELNS1_11target_archE1100ELNS1_3gpuE3ELNS1_3repE0EEENS1_30default_config_static_selectorELNS0_4arch9wavefront6targetE1EEEvT1_
		.amdhsa_group_segment_fixed_size 0
		.amdhsa_private_segment_fixed_size 0
		.amdhsa_kernarg_size 120
		.amdhsa_user_sgpr_count 6
		.amdhsa_user_sgpr_private_segment_buffer 1
		.amdhsa_user_sgpr_dispatch_ptr 0
		.amdhsa_user_sgpr_queue_ptr 0
		.amdhsa_user_sgpr_kernarg_segment_ptr 1
		.amdhsa_user_sgpr_dispatch_id 0
		.amdhsa_user_sgpr_flat_scratch_init 0
		.amdhsa_user_sgpr_kernarg_preload_length 0
		.amdhsa_user_sgpr_kernarg_preload_offset 0
		.amdhsa_user_sgpr_private_segment_size 0
		.amdhsa_uses_dynamic_stack 0
		.amdhsa_system_sgpr_private_segment_wavefront_offset 0
		.amdhsa_system_sgpr_workgroup_id_x 1
		.amdhsa_system_sgpr_workgroup_id_y 0
		.amdhsa_system_sgpr_workgroup_id_z 0
		.amdhsa_system_sgpr_workgroup_info 0
		.amdhsa_system_vgpr_workitem_id 0
		.amdhsa_next_free_vgpr 1
		.amdhsa_next_free_sgpr 0
		.amdhsa_accum_offset 4
		.amdhsa_reserve_vcc 0
		.amdhsa_reserve_flat_scratch 0
		.amdhsa_float_round_mode_32 0
		.amdhsa_float_round_mode_16_64 0
		.amdhsa_float_denorm_mode_32 3
		.amdhsa_float_denorm_mode_16_64 3
		.amdhsa_dx10_clamp 1
		.amdhsa_ieee_mode 1
		.amdhsa_fp16_overflow 0
		.amdhsa_tg_split 0
		.amdhsa_exception_fp_ieee_invalid_op 0
		.amdhsa_exception_fp_denorm_src 0
		.amdhsa_exception_fp_ieee_div_zero 0
		.amdhsa_exception_fp_ieee_overflow 0
		.amdhsa_exception_fp_ieee_underflow 0
		.amdhsa_exception_fp_ieee_inexact 0
		.amdhsa_exception_int_div_zero 0
	.end_amdhsa_kernel
	.section	.text._ZN7rocprim17ROCPRIM_400000_NS6detail17trampoline_kernelINS0_14default_configENS1_29reduce_by_key_config_selectorIijN6thrust23THRUST_200600_302600_NS4plusIjEEEEZZNS1_33reduce_by_key_impl_wrapped_configILNS1_25lookback_scan_determinismE0ES3_S9_NS6_6detail15normal_iteratorINS6_10device_ptrIiEEEENSD_INSE_IjEEEESG_SI_PmS8_NS6_8equal_toIiEEEE10hipError_tPvRmT2_T3_mT4_T5_T6_T7_T8_P12ihipStream_tbENKUlT_T0_E_clISt17integral_constantIbLb1EES12_IbLb0EEEEDaSY_SZ_EUlSY_E_NS1_11comp_targetILNS1_3genE9ELNS1_11target_archE1100ELNS1_3gpuE3ELNS1_3repE0EEENS1_30default_config_static_selectorELNS0_4arch9wavefront6targetE1EEEvT1_,"axG",@progbits,_ZN7rocprim17ROCPRIM_400000_NS6detail17trampoline_kernelINS0_14default_configENS1_29reduce_by_key_config_selectorIijN6thrust23THRUST_200600_302600_NS4plusIjEEEEZZNS1_33reduce_by_key_impl_wrapped_configILNS1_25lookback_scan_determinismE0ES3_S9_NS6_6detail15normal_iteratorINS6_10device_ptrIiEEEENSD_INSE_IjEEEESG_SI_PmS8_NS6_8equal_toIiEEEE10hipError_tPvRmT2_T3_mT4_T5_T6_T7_T8_P12ihipStream_tbENKUlT_T0_E_clISt17integral_constantIbLb1EES12_IbLb0EEEEDaSY_SZ_EUlSY_E_NS1_11comp_targetILNS1_3genE9ELNS1_11target_archE1100ELNS1_3gpuE3ELNS1_3repE0EEENS1_30default_config_static_selectorELNS0_4arch9wavefront6targetE1EEEvT1_,comdat
.Lfunc_end830:
	.size	_ZN7rocprim17ROCPRIM_400000_NS6detail17trampoline_kernelINS0_14default_configENS1_29reduce_by_key_config_selectorIijN6thrust23THRUST_200600_302600_NS4plusIjEEEEZZNS1_33reduce_by_key_impl_wrapped_configILNS1_25lookback_scan_determinismE0ES3_S9_NS6_6detail15normal_iteratorINS6_10device_ptrIiEEEENSD_INSE_IjEEEESG_SI_PmS8_NS6_8equal_toIiEEEE10hipError_tPvRmT2_T3_mT4_T5_T6_T7_T8_P12ihipStream_tbENKUlT_T0_E_clISt17integral_constantIbLb1EES12_IbLb0EEEEDaSY_SZ_EUlSY_E_NS1_11comp_targetILNS1_3genE9ELNS1_11target_archE1100ELNS1_3gpuE3ELNS1_3repE0EEENS1_30default_config_static_selectorELNS0_4arch9wavefront6targetE1EEEvT1_, .Lfunc_end830-_ZN7rocprim17ROCPRIM_400000_NS6detail17trampoline_kernelINS0_14default_configENS1_29reduce_by_key_config_selectorIijN6thrust23THRUST_200600_302600_NS4plusIjEEEEZZNS1_33reduce_by_key_impl_wrapped_configILNS1_25lookback_scan_determinismE0ES3_S9_NS6_6detail15normal_iteratorINS6_10device_ptrIiEEEENSD_INSE_IjEEEESG_SI_PmS8_NS6_8equal_toIiEEEE10hipError_tPvRmT2_T3_mT4_T5_T6_T7_T8_P12ihipStream_tbENKUlT_T0_E_clISt17integral_constantIbLb1EES12_IbLb0EEEEDaSY_SZ_EUlSY_E_NS1_11comp_targetILNS1_3genE9ELNS1_11target_archE1100ELNS1_3gpuE3ELNS1_3repE0EEENS1_30default_config_static_selectorELNS0_4arch9wavefront6targetE1EEEvT1_
                                        ; -- End function
	.section	.AMDGPU.csdata,"",@progbits
; Kernel info:
; codeLenInByte = 0
; NumSgprs: 4
; NumVgprs: 0
; NumAgprs: 0
; TotalNumVgprs: 0
; ScratchSize: 0
; MemoryBound: 0
; FloatMode: 240
; IeeeMode: 1
; LDSByteSize: 0 bytes/workgroup (compile time only)
; SGPRBlocks: 0
; VGPRBlocks: 0
; NumSGPRsForWavesPerEU: 4
; NumVGPRsForWavesPerEU: 1
; AccumOffset: 4
; Occupancy: 8
; WaveLimiterHint : 0
; COMPUTE_PGM_RSRC2:SCRATCH_EN: 0
; COMPUTE_PGM_RSRC2:USER_SGPR: 6
; COMPUTE_PGM_RSRC2:TRAP_HANDLER: 0
; COMPUTE_PGM_RSRC2:TGID_X_EN: 1
; COMPUTE_PGM_RSRC2:TGID_Y_EN: 0
; COMPUTE_PGM_RSRC2:TGID_Z_EN: 0
; COMPUTE_PGM_RSRC2:TIDIG_COMP_CNT: 0
; COMPUTE_PGM_RSRC3_GFX90A:ACCUM_OFFSET: 0
; COMPUTE_PGM_RSRC3_GFX90A:TG_SPLIT: 0
	.section	.text._ZN7rocprim17ROCPRIM_400000_NS6detail17trampoline_kernelINS0_14default_configENS1_29reduce_by_key_config_selectorIijN6thrust23THRUST_200600_302600_NS4plusIjEEEEZZNS1_33reduce_by_key_impl_wrapped_configILNS1_25lookback_scan_determinismE0ES3_S9_NS6_6detail15normal_iteratorINS6_10device_ptrIiEEEENSD_INSE_IjEEEESG_SI_PmS8_NS6_8equal_toIiEEEE10hipError_tPvRmT2_T3_mT4_T5_T6_T7_T8_P12ihipStream_tbENKUlT_T0_E_clISt17integral_constantIbLb1EES12_IbLb0EEEEDaSY_SZ_EUlSY_E_NS1_11comp_targetILNS1_3genE8ELNS1_11target_archE1030ELNS1_3gpuE2ELNS1_3repE0EEENS1_30default_config_static_selectorELNS0_4arch9wavefront6targetE1EEEvT1_,"axG",@progbits,_ZN7rocprim17ROCPRIM_400000_NS6detail17trampoline_kernelINS0_14default_configENS1_29reduce_by_key_config_selectorIijN6thrust23THRUST_200600_302600_NS4plusIjEEEEZZNS1_33reduce_by_key_impl_wrapped_configILNS1_25lookback_scan_determinismE0ES3_S9_NS6_6detail15normal_iteratorINS6_10device_ptrIiEEEENSD_INSE_IjEEEESG_SI_PmS8_NS6_8equal_toIiEEEE10hipError_tPvRmT2_T3_mT4_T5_T6_T7_T8_P12ihipStream_tbENKUlT_T0_E_clISt17integral_constantIbLb1EES12_IbLb0EEEEDaSY_SZ_EUlSY_E_NS1_11comp_targetILNS1_3genE8ELNS1_11target_archE1030ELNS1_3gpuE2ELNS1_3repE0EEENS1_30default_config_static_selectorELNS0_4arch9wavefront6targetE1EEEvT1_,comdat
	.protected	_ZN7rocprim17ROCPRIM_400000_NS6detail17trampoline_kernelINS0_14default_configENS1_29reduce_by_key_config_selectorIijN6thrust23THRUST_200600_302600_NS4plusIjEEEEZZNS1_33reduce_by_key_impl_wrapped_configILNS1_25lookback_scan_determinismE0ES3_S9_NS6_6detail15normal_iteratorINS6_10device_ptrIiEEEENSD_INSE_IjEEEESG_SI_PmS8_NS6_8equal_toIiEEEE10hipError_tPvRmT2_T3_mT4_T5_T6_T7_T8_P12ihipStream_tbENKUlT_T0_E_clISt17integral_constantIbLb1EES12_IbLb0EEEEDaSY_SZ_EUlSY_E_NS1_11comp_targetILNS1_3genE8ELNS1_11target_archE1030ELNS1_3gpuE2ELNS1_3repE0EEENS1_30default_config_static_selectorELNS0_4arch9wavefront6targetE1EEEvT1_ ; -- Begin function _ZN7rocprim17ROCPRIM_400000_NS6detail17trampoline_kernelINS0_14default_configENS1_29reduce_by_key_config_selectorIijN6thrust23THRUST_200600_302600_NS4plusIjEEEEZZNS1_33reduce_by_key_impl_wrapped_configILNS1_25lookback_scan_determinismE0ES3_S9_NS6_6detail15normal_iteratorINS6_10device_ptrIiEEEENSD_INSE_IjEEEESG_SI_PmS8_NS6_8equal_toIiEEEE10hipError_tPvRmT2_T3_mT4_T5_T6_T7_T8_P12ihipStream_tbENKUlT_T0_E_clISt17integral_constantIbLb1EES12_IbLb0EEEEDaSY_SZ_EUlSY_E_NS1_11comp_targetILNS1_3genE8ELNS1_11target_archE1030ELNS1_3gpuE2ELNS1_3repE0EEENS1_30default_config_static_selectorELNS0_4arch9wavefront6targetE1EEEvT1_
	.globl	_ZN7rocprim17ROCPRIM_400000_NS6detail17trampoline_kernelINS0_14default_configENS1_29reduce_by_key_config_selectorIijN6thrust23THRUST_200600_302600_NS4plusIjEEEEZZNS1_33reduce_by_key_impl_wrapped_configILNS1_25lookback_scan_determinismE0ES3_S9_NS6_6detail15normal_iteratorINS6_10device_ptrIiEEEENSD_INSE_IjEEEESG_SI_PmS8_NS6_8equal_toIiEEEE10hipError_tPvRmT2_T3_mT4_T5_T6_T7_T8_P12ihipStream_tbENKUlT_T0_E_clISt17integral_constantIbLb1EES12_IbLb0EEEEDaSY_SZ_EUlSY_E_NS1_11comp_targetILNS1_3genE8ELNS1_11target_archE1030ELNS1_3gpuE2ELNS1_3repE0EEENS1_30default_config_static_selectorELNS0_4arch9wavefront6targetE1EEEvT1_
	.p2align	8
	.type	_ZN7rocprim17ROCPRIM_400000_NS6detail17trampoline_kernelINS0_14default_configENS1_29reduce_by_key_config_selectorIijN6thrust23THRUST_200600_302600_NS4plusIjEEEEZZNS1_33reduce_by_key_impl_wrapped_configILNS1_25lookback_scan_determinismE0ES3_S9_NS6_6detail15normal_iteratorINS6_10device_ptrIiEEEENSD_INSE_IjEEEESG_SI_PmS8_NS6_8equal_toIiEEEE10hipError_tPvRmT2_T3_mT4_T5_T6_T7_T8_P12ihipStream_tbENKUlT_T0_E_clISt17integral_constantIbLb1EES12_IbLb0EEEEDaSY_SZ_EUlSY_E_NS1_11comp_targetILNS1_3genE8ELNS1_11target_archE1030ELNS1_3gpuE2ELNS1_3repE0EEENS1_30default_config_static_selectorELNS0_4arch9wavefront6targetE1EEEvT1_,@function
_ZN7rocprim17ROCPRIM_400000_NS6detail17trampoline_kernelINS0_14default_configENS1_29reduce_by_key_config_selectorIijN6thrust23THRUST_200600_302600_NS4plusIjEEEEZZNS1_33reduce_by_key_impl_wrapped_configILNS1_25lookback_scan_determinismE0ES3_S9_NS6_6detail15normal_iteratorINS6_10device_ptrIiEEEENSD_INSE_IjEEEESG_SI_PmS8_NS6_8equal_toIiEEEE10hipError_tPvRmT2_T3_mT4_T5_T6_T7_T8_P12ihipStream_tbENKUlT_T0_E_clISt17integral_constantIbLb1EES12_IbLb0EEEEDaSY_SZ_EUlSY_E_NS1_11comp_targetILNS1_3genE8ELNS1_11target_archE1030ELNS1_3gpuE2ELNS1_3repE0EEENS1_30default_config_static_selectorELNS0_4arch9wavefront6targetE1EEEvT1_: ; @_ZN7rocprim17ROCPRIM_400000_NS6detail17trampoline_kernelINS0_14default_configENS1_29reduce_by_key_config_selectorIijN6thrust23THRUST_200600_302600_NS4plusIjEEEEZZNS1_33reduce_by_key_impl_wrapped_configILNS1_25lookback_scan_determinismE0ES3_S9_NS6_6detail15normal_iteratorINS6_10device_ptrIiEEEENSD_INSE_IjEEEESG_SI_PmS8_NS6_8equal_toIiEEEE10hipError_tPvRmT2_T3_mT4_T5_T6_T7_T8_P12ihipStream_tbENKUlT_T0_E_clISt17integral_constantIbLb1EES12_IbLb0EEEEDaSY_SZ_EUlSY_E_NS1_11comp_targetILNS1_3genE8ELNS1_11target_archE1030ELNS1_3gpuE2ELNS1_3repE0EEENS1_30default_config_static_selectorELNS0_4arch9wavefront6targetE1EEEvT1_
; %bb.0:
	.section	.rodata,"a",@progbits
	.p2align	6, 0x0
	.amdhsa_kernel _ZN7rocprim17ROCPRIM_400000_NS6detail17trampoline_kernelINS0_14default_configENS1_29reduce_by_key_config_selectorIijN6thrust23THRUST_200600_302600_NS4plusIjEEEEZZNS1_33reduce_by_key_impl_wrapped_configILNS1_25lookback_scan_determinismE0ES3_S9_NS6_6detail15normal_iteratorINS6_10device_ptrIiEEEENSD_INSE_IjEEEESG_SI_PmS8_NS6_8equal_toIiEEEE10hipError_tPvRmT2_T3_mT4_T5_T6_T7_T8_P12ihipStream_tbENKUlT_T0_E_clISt17integral_constantIbLb1EES12_IbLb0EEEEDaSY_SZ_EUlSY_E_NS1_11comp_targetILNS1_3genE8ELNS1_11target_archE1030ELNS1_3gpuE2ELNS1_3repE0EEENS1_30default_config_static_selectorELNS0_4arch9wavefront6targetE1EEEvT1_
		.amdhsa_group_segment_fixed_size 0
		.amdhsa_private_segment_fixed_size 0
		.amdhsa_kernarg_size 120
		.amdhsa_user_sgpr_count 6
		.amdhsa_user_sgpr_private_segment_buffer 1
		.amdhsa_user_sgpr_dispatch_ptr 0
		.amdhsa_user_sgpr_queue_ptr 0
		.amdhsa_user_sgpr_kernarg_segment_ptr 1
		.amdhsa_user_sgpr_dispatch_id 0
		.amdhsa_user_sgpr_flat_scratch_init 0
		.amdhsa_user_sgpr_kernarg_preload_length 0
		.amdhsa_user_sgpr_kernarg_preload_offset 0
		.amdhsa_user_sgpr_private_segment_size 0
		.amdhsa_uses_dynamic_stack 0
		.amdhsa_system_sgpr_private_segment_wavefront_offset 0
		.amdhsa_system_sgpr_workgroup_id_x 1
		.amdhsa_system_sgpr_workgroup_id_y 0
		.amdhsa_system_sgpr_workgroup_id_z 0
		.amdhsa_system_sgpr_workgroup_info 0
		.amdhsa_system_vgpr_workitem_id 0
		.amdhsa_next_free_vgpr 1
		.amdhsa_next_free_sgpr 0
		.amdhsa_accum_offset 4
		.amdhsa_reserve_vcc 0
		.amdhsa_reserve_flat_scratch 0
		.amdhsa_float_round_mode_32 0
		.amdhsa_float_round_mode_16_64 0
		.amdhsa_float_denorm_mode_32 3
		.amdhsa_float_denorm_mode_16_64 3
		.amdhsa_dx10_clamp 1
		.amdhsa_ieee_mode 1
		.amdhsa_fp16_overflow 0
		.amdhsa_tg_split 0
		.amdhsa_exception_fp_ieee_invalid_op 0
		.amdhsa_exception_fp_denorm_src 0
		.amdhsa_exception_fp_ieee_div_zero 0
		.amdhsa_exception_fp_ieee_overflow 0
		.amdhsa_exception_fp_ieee_underflow 0
		.amdhsa_exception_fp_ieee_inexact 0
		.amdhsa_exception_int_div_zero 0
	.end_amdhsa_kernel
	.section	.text._ZN7rocprim17ROCPRIM_400000_NS6detail17trampoline_kernelINS0_14default_configENS1_29reduce_by_key_config_selectorIijN6thrust23THRUST_200600_302600_NS4plusIjEEEEZZNS1_33reduce_by_key_impl_wrapped_configILNS1_25lookback_scan_determinismE0ES3_S9_NS6_6detail15normal_iteratorINS6_10device_ptrIiEEEENSD_INSE_IjEEEESG_SI_PmS8_NS6_8equal_toIiEEEE10hipError_tPvRmT2_T3_mT4_T5_T6_T7_T8_P12ihipStream_tbENKUlT_T0_E_clISt17integral_constantIbLb1EES12_IbLb0EEEEDaSY_SZ_EUlSY_E_NS1_11comp_targetILNS1_3genE8ELNS1_11target_archE1030ELNS1_3gpuE2ELNS1_3repE0EEENS1_30default_config_static_selectorELNS0_4arch9wavefront6targetE1EEEvT1_,"axG",@progbits,_ZN7rocprim17ROCPRIM_400000_NS6detail17trampoline_kernelINS0_14default_configENS1_29reduce_by_key_config_selectorIijN6thrust23THRUST_200600_302600_NS4plusIjEEEEZZNS1_33reduce_by_key_impl_wrapped_configILNS1_25lookback_scan_determinismE0ES3_S9_NS6_6detail15normal_iteratorINS6_10device_ptrIiEEEENSD_INSE_IjEEEESG_SI_PmS8_NS6_8equal_toIiEEEE10hipError_tPvRmT2_T3_mT4_T5_T6_T7_T8_P12ihipStream_tbENKUlT_T0_E_clISt17integral_constantIbLb1EES12_IbLb0EEEEDaSY_SZ_EUlSY_E_NS1_11comp_targetILNS1_3genE8ELNS1_11target_archE1030ELNS1_3gpuE2ELNS1_3repE0EEENS1_30default_config_static_selectorELNS0_4arch9wavefront6targetE1EEEvT1_,comdat
.Lfunc_end831:
	.size	_ZN7rocprim17ROCPRIM_400000_NS6detail17trampoline_kernelINS0_14default_configENS1_29reduce_by_key_config_selectorIijN6thrust23THRUST_200600_302600_NS4plusIjEEEEZZNS1_33reduce_by_key_impl_wrapped_configILNS1_25lookback_scan_determinismE0ES3_S9_NS6_6detail15normal_iteratorINS6_10device_ptrIiEEEENSD_INSE_IjEEEESG_SI_PmS8_NS6_8equal_toIiEEEE10hipError_tPvRmT2_T3_mT4_T5_T6_T7_T8_P12ihipStream_tbENKUlT_T0_E_clISt17integral_constantIbLb1EES12_IbLb0EEEEDaSY_SZ_EUlSY_E_NS1_11comp_targetILNS1_3genE8ELNS1_11target_archE1030ELNS1_3gpuE2ELNS1_3repE0EEENS1_30default_config_static_selectorELNS0_4arch9wavefront6targetE1EEEvT1_, .Lfunc_end831-_ZN7rocprim17ROCPRIM_400000_NS6detail17trampoline_kernelINS0_14default_configENS1_29reduce_by_key_config_selectorIijN6thrust23THRUST_200600_302600_NS4plusIjEEEEZZNS1_33reduce_by_key_impl_wrapped_configILNS1_25lookback_scan_determinismE0ES3_S9_NS6_6detail15normal_iteratorINS6_10device_ptrIiEEEENSD_INSE_IjEEEESG_SI_PmS8_NS6_8equal_toIiEEEE10hipError_tPvRmT2_T3_mT4_T5_T6_T7_T8_P12ihipStream_tbENKUlT_T0_E_clISt17integral_constantIbLb1EES12_IbLb0EEEEDaSY_SZ_EUlSY_E_NS1_11comp_targetILNS1_3genE8ELNS1_11target_archE1030ELNS1_3gpuE2ELNS1_3repE0EEENS1_30default_config_static_selectorELNS0_4arch9wavefront6targetE1EEEvT1_
                                        ; -- End function
	.section	.AMDGPU.csdata,"",@progbits
; Kernel info:
; codeLenInByte = 0
; NumSgprs: 4
; NumVgprs: 0
; NumAgprs: 0
; TotalNumVgprs: 0
; ScratchSize: 0
; MemoryBound: 0
; FloatMode: 240
; IeeeMode: 1
; LDSByteSize: 0 bytes/workgroup (compile time only)
; SGPRBlocks: 0
; VGPRBlocks: 0
; NumSGPRsForWavesPerEU: 4
; NumVGPRsForWavesPerEU: 1
; AccumOffset: 4
; Occupancy: 8
; WaveLimiterHint : 0
; COMPUTE_PGM_RSRC2:SCRATCH_EN: 0
; COMPUTE_PGM_RSRC2:USER_SGPR: 6
; COMPUTE_PGM_RSRC2:TRAP_HANDLER: 0
; COMPUTE_PGM_RSRC2:TGID_X_EN: 1
; COMPUTE_PGM_RSRC2:TGID_Y_EN: 0
; COMPUTE_PGM_RSRC2:TGID_Z_EN: 0
; COMPUTE_PGM_RSRC2:TIDIG_COMP_CNT: 0
; COMPUTE_PGM_RSRC3_GFX90A:ACCUM_OFFSET: 0
; COMPUTE_PGM_RSRC3_GFX90A:TG_SPLIT: 0
	.section	.text._ZN7rocprim17ROCPRIM_400000_NS6detail17trampoline_kernelINS0_14default_configENS1_29reduce_by_key_config_selectorIijN6thrust23THRUST_200600_302600_NS4plusIjEEEEZZNS1_33reduce_by_key_impl_wrapped_configILNS1_25lookback_scan_determinismE0ES3_S9_NS6_6detail15normal_iteratorINS6_10device_ptrIiEEEENSD_INSE_IjEEEESG_SI_PmS8_NS6_8equal_toIiEEEE10hipError_tPvRmT2_T3_mT4_T5_T6_T7_T8_P12ihipStream_tbENKUlT_T0_E_clISt17integral_constantIbLb0EES12_IbLb1EEEEDaSY_SZ_EUlSY_E_NS1_11comp_targetILNS1_3genE0ELNS1_11target_archE4294967295ELNS1_3gpuE0ELNS1_3repE0EEENS1_30default_config_static_selectorELNS0_4arch9wavefront6targetE1EEEvT1_,"axG",@progbits,_ZN7rocprim17ROCPRIM_400000_NS6detail17trampoline_kernelINS0_14default_configENS1_29reduce_by_key_config_selectorIijN6thrust23THRUST_200600_302600_NS4plusIjEEEEZZNS1_33reduce_by_key_impl_wrapped_configILNS1_25lookback_scan_determinismE0ES3_S9_NS6_6detail15normal_iteratorINS6_10device_ptrIiEEEENSD_INSE_IjEEEESG_SI_PmS8_NS6_8equal_toIiEEEE10hipError_tPvRmT2_T3_mT4_T5_T6_T7_T8_P12ihipStream_tbENKUlT_T0_E_clISt17integral_constantIbLb0EES12_IbLb1EEEEDaSY_SZ_EUlSY_E_NS1_11comp_targetILNS1_3genE0ELNS1_11target_archE4294967295ELNS1_3gpuE0ELNS1_3repE0EEENS1_30default_config_static_selectorELNS0_4arch9wavefront6targetE1EEEvT1_,comdat
	.protected	_ZN7rocprim17ROCPRIM_400000_NS6detail17trampoline_kernelINS0_14default_configENS1_29reduce_by_key_config_selectorIijN6thrust23THRUST_200600_302600_NS4plusIjEEEEZZNS1_33reduce_by_key_impl_wrapped_configILNS1_25lookback_scan_determinismE0ES3_S9_NS6_6detail15normal_iteratorINS6_10device_ptrIiEEEENSD_INSE_IjEEEESG_SI_PmS8_NS6_8equal_toIiEEEE10hipError_tPvRmT2_T3_mT4_T5_T6_T7_T8_P12ihipStream_tbENKUlT_T0_E_clISt17integral_constantIbLb0EES12_IbLb1EEEEDaSY_SZ_EUlSY_E_NS1_11comp_targetILNS1_3genE0ELNS1_11target_archE4294967295ELNS1_3gpuE0ELNS1_3repE0EEENS1_30default_config_static_selectorELNS0_4arch9wavefront6targetE1EEEvT1_ ; -- Begin function _ZN7rocprim17ROCPRIM_400000_NS6detail17trampoline_kernelINS0_14default_configENS1_29reduce_by_key_config_selectorIijN6thrust23THRUST_200600_302600_NS4plusIjEEEEZZNS1_33reduce_by_key_impl_wrapped_configILNS1_25lookback_scan_determinismE0ES3_S9_NS6_6detail15normal_iteratorINS6_10device_ptrIiEEEENSD_INSE_IjEEEESG_SI_PmS8_NS6_8equal_toIiEEEE10hipError_tPvRmT2_T3_mT4_T5_T6_T7_T8_P12ihipStream_tbENKUlT_T0_E_clISt17integral_constantIbLb0EES12_IbLb1EEEEDaSY_SZ_EUlSY_E_NS1_11comp_targetILNS1_3genE0ELNS1_11target_archE4294967295ELNS1_3gpuE0ELNS1_3repE0EEENS1_30default_config_static_selectorELNS0_4arch9wavefront6targetE1EEEvT1_
	.globl	_ZN7rocprim17ROCPRIM_400000_NS6detail17trampoline_kernelINS0_14default_configENS1_29reduce_by_key_config_selectorIijN6thrust23THRUST_200600_302600_NS4plusIjEEEEZZNS1_33reduce_by_key_impl_wrapped_configILNS1_25lookback_scan_determinismE0ES3_S9_NS6_6detail15normal_iteratorINS6_10device_ptrIiEEEENSD_INSE_IjEEEESG_SI_PmS8_NS6_8equal_toIiEEEE10hipError_tPvRmT2_T3_mT4_T5_T6_T7_T8_P12ihipStream_tbENKUlT_T0_E_clISt17integral_constantIbLb0EES12_IbLb1EEEEDaSY_SZ_EUlSY_E_NS1_11comp_targetILNS1_3genE0ELNS1_11target_archE4294967295ELNS1_3gpuE0ELNS1_3repE0EEENS1_30default_config_static_selectorELNS0_4arch9wavefront6targetE1EEEvT1_
	.p2align	8
	.type	_ZN7rocprim17ROCPRIM_400000_NS6detail17trampoline_kernelINS0_14default_configENS1_29reduce_by_key_config_selectorIijN6thrust23THRUST_200600_302600_NS4plusIjEEEEZZNS1_33reduce_by_key_impl_wrapped_configILNS1_25lookback_scan_determinismE0ES3_S9_NS6_6detail15normal_iteratorINS6_10device_ptrIiEEEENSD_INSE_IjEEEESG_SI_PmS8_NS6_8equal_toIiEEEE10hipError_tPvRmT2_T3_mT4_T5_T6_T7_T8_P12ihipStream_tbENKUlT_T0_E_clISt17integral_constantIbLb0EES12_IbLb1EEEEDaSY_SZ_EUlSY_E_NS1_11comp_targetILNS1_3genE0ELNS1_11target_archE4294967295ELNS1_3gpuE0ELNS1_3repE0EEENS1_30default_config_static_selectorELNS0_4arch9wavefront6targetE1EEEvT1_,@function
_ZN7rocprim17ROCPRIM_400000_NS6detail17trampoline_kernelINS0_14default_configENS1_29reduce_by_key_config_selectorIijN6thrust23THRUST_200600_302600_NS4plusIjEEEEZZNS1_33reduce_by_key_impl_wrapped_configILNS1_25lookback_scan_determinismE0ES3_S9_NS6_6detail15normal_iteratorINS6_10device_ptrIiEEEENSD_INSE_IjEEEESG_SI_PmS8_NS6_8equal_toIiEEEE10hipError_tPvRmT2_T3_mT4_T5_T6_T7_T8_P12ihipStream_tbENKUlT_T0_E_clISt17integral_constantIbLb0EES12_IbLb1EEEEDaSY_SZ_EUlSY_E_NS1_11comp_targetILNS1_3genE0ELNS1_11target_archE4294967295ELNS1_3gpuE0ELNS1_3repE0EEENS1_30default_config_static_selectorELNS0_4arch9wavefront6targetE1EEEvT1_: ; @_ZN7rocprim17ROCPRIM_400000_NS6detail17trampoline_kernelINS0_14default_configENS1_29reduce_by_key_config_selectorIijN6thrust23THRUST_200600_302600_NS4plusIjEEEEZZNS1_33reduce_by_key_impl_wrapped_configILNS1_25lookback_scan_determinismE0ES3_S9_NS6_6detail15normal_iteratorINS6_10device_ptrIiEEEENSD_INSE_IjEEEESG_SI_PmS8_NS6_8equal_toIiEEEE10hipError_tPvRmT2_T3_mT4_T5_T6_T7_T8_P12ihipStream_tbENKUlT_T0_E_clISt17integral_constantIbLb0EES12_IbLb1EEEEDaSY_SZ_EUlSY_E_NS1_11comp_targetILNS1_3genE0ELNS1_11target_archE4294967295ELNS1_3gpuE0ELNS1_3repE0EEENS1_30default_config_static_selectorELNS0_4arch9wavefront6targetE1EEEvT1_
; %bb.0:
	.section	.rodata,"a",@progbits
	.p2align	6, 0x0
	.amdhsa_kernel _ZN7rocprim17ROCPRIM_400000_NS6detail17trampoline_kernelINS0_14default_configENS1_29reduce_by_key_config_selectorIijN6thrust23THRUST_200600_302600_NS4plusIjEEEEZZNS1_33reduce_by_key_impl_wrapped_configILNS1_25lookback_scan_determinismE0ES3_S9_NS6_6detail15normal_iteratorINS6_10device_ptrIiEEEENSD_INSE_IjEEEESG_SI_PmS8_NS6_8equal_toIiEEEE10hipError_tPvRmT2_T3_mT4_T5_T6_T7_T8_P12ihipStream_tbENKUlT_T0_E_clISt17integral_constantIbLb0EES12_IbLb1EEEEDaSY_SZ_EUlSY_E_NS1_11comp_targetILNS1_3genE0ELNS1_11target_archE4294967295ELNS1_3gpuE0ELNS1_3repE0EEENS1_30default_config_static_selectorELNS0_4arch9wavefront6targetE1EEEvT1_
		.amdhsa_group_segment_fixed_size 0
		.amdhsa_private_segment_fixed_size 0
		.amdhsa_kernarg_size 120
		.amdhsa_user_sgpr_count 6
		.amdhsa_user_sgpr_private_segment_buffer 1
		.amdhsa_user_sgpr_dispatch_ptr 0
		.amdhsa_user_sgpr_queue_ptr 0
		.amdhsa_user_sgpr_kernarg_segment_ptr 1
		.amdhsa_user_sgpr_dispatch_id 0
		.amdhsa_user_sgpr_flat_scratch_init 0
		.amdhsa_user_sgpr_kernarg_preload_length 0
		.amdhsa_user_sgpr_kernarg_preload_offset 0
		.amdhsa_user_sgpr_private_segment_size 0
		.amdhsa_uses_dynamic_stack 0
		.amdhsa_system_sgpr_private_segment_wavefront_offset 0
		.amdhsa_system_sgpr_workgroup_id_x 1
		.amdhsa_system_sgpr_workgroup_id_y 0
		.amdhsa_system_sgpr_workgroup_id_z 0
		.amdhsa_system_sgpr_workgroup_info 0
		.amdhsa_system_vgpr_workitem_id 0
		.amdhsa_next_free_vgpr 1
		.amdhsa_next_free_sgpr 0
		.amdhsa_accum_offset 4
		.amdhsa_reserve_vcc 0
		.amdhsa_reserve_flat_scratch 0
		.amdhsa_float_round_mode_32 0
		.amdhsa_float_round_mode_16_64 0
		.amdhsa_float_denorm_mode_32 3
		.amdhsa_float_denorm_mode_16_64 3
		.amdhsa_dx10_clamp 1
		.amdhsa_ieee_mode 1
		.amdhsa_fp16_overflow 0
		.amdhsa_tg_split 0
		.amdhsa_exception_fp_ieee_invalid_op 0
		.amdhsa_exception_fp_denorm_src 0
		.amdhsa_exception_fp_ieee_div_zero 0
		.amdhsa_exception_fp_ieee_overflow 0
		.amdhsa_exception_fp_ieee_underflow 0
		.amdhsa_exception_fp_ieee_inexact 0
		.amdhsa_exception_int_div_zero 0
	.end_amdhsa_kernel
	.section	.text._ZN7rocprim17ROCPRIM_400000_NS6detail17trampoline_kernelINS0_14default_configENS1_29reduce_by_key_config_selectorIijN6thrust23THRUST_200600_302600_NS4plusIjEEEEZZNS1_33reduce_by_key_impl_wrapped_configILNS1_25lookback_scan_determinismE0ES3_S9_NS6_6detail15normal_iteratorINS6_10device_ptrIiEEEENSD_INSE_IjEEEESG_SI_PmS8_NS6_8equal_toIiEEEE10hipError_tPvRmT2_T3_mT4_T5_T6_T7_T8_P12ihipStream_tbENKUlT_T0_E_clISt17integral_constantIbLb0EES12_IbLb1EEEEDaSY_SZ_EUlSY_E_NS1_11comp_targetILNS1_3genE0ELNS1_11target_archE4294967295ELNS1_3gpuE0ELNS1_3repE0EEENS1_30default_config_static_selectorELNS0_4arch9wavefront6targetE1EEEvT1_,"axG",@progbits,_ZN7rocprim17ROCPRIM_400000_NS6detail17trampoline_kernelINS0_14default_configENS1_29reduce_by_key_config_selectorIijN6thrust23THRUST_200600_302600_NS4plusIjEEEEZZNS1_33reduce_by_key_impl_wrapped_configILNS1_25lookback_scan_determinismE0ES3_S9_NS6_6detail15normal_iteratorINS6_10device_ptrIiEEEENSD_INSE_IjEEEESG_SI_PmS8_NS6_8equal_toIiEEEE10hipError_tPvRmT2_T3_mT4_T5_T6_T7_T8_P12ihipStream_tbENKUlT_T0_E_clISt17integral_constantIbLb0EES12_IbLb1EEEEDaSY_SZ_EUlSY_E_NS1_11comp_targetILNS1_3genE0ELNS1_11target_archE4294967295ELNS1_3gpuE0ELNS1_3repE0EEENS1_30default_config_static_selectorELNS0_4arch9wavefront6targetE1EEEvT1_,comdat
.Lfunc_end832:
	.size	_ZN7rocprim17ROCPRIM_400000_NS6detail17trampoline_kernelINS0_14default_configENS1_29reduce_by_key_config_selectorIijN6thrust23THRUST_200600_302600_NS4plusIjEEEEZZNS1_33reduce_by_key_impl_wrapped_configILNS1_25lookback_scan_determinismE0ES3_S9_NS6_6detail15normal_iteratorINS6_10device_ptrIiEEEENSD_INSE_IjEEEESG_SI_PmS8_NS6_8equal_toIiEEEE10hipError_tPvRmT2_T3_mT4_T5_T6_T7_T8_P12ihipStream_tbENKUlT_T0_E_clISt17integral_constantIbLb0EES12_IbLb1EEEEDaSY_SZ_EUlSY_E_NS1_11comp_targetILNS1_3genE0ELNS1_11target_archE4294967295ELNS1_3gpuE0ELNS1_3repE0EEENS1_30default_config_static_selectorELNS0_4arch9wavefront6targetE1EEEvT1_, .Lfunc_end832-_ZN7rocprim17ROCPRIM_400000_NS6detail17trampoline_kernelINS0_14default_configENS1_29reduce_by_key_config_selectorIijN6thrust23THRUST_200600_302600_NS4plusIjEEEEZZNS1_33reduce_by_key_impl_wrapped_configILNS1_25lookback_scan_determinismE0ES3_S9_NS6_6detail15normal_iteratorINS6_10device_ptrIiEEEENSD_INSE_IjEEEESG_SI_PmS8_NS6_8equal_toIiEEEE10hipError_tPvRmT2_T3_mT4_T5_T6_T7_T8_P12ihipStream_tbENKUlT_T0_E_clISt17integral_constantIbLb0EES12_IbLb1EEEEDaSY_SZ_EUlSY_E_NS1_11comp_targetILNS1_3genE0ELNS1_11target_archE4294967295ELNS1_3gpuE0ELNS1_3repE0EEENS1_30default_config_static_selectorELNS0_4arch9wavefront6targetE1EEEvT1_
                                        ; -- End function
	.section	.AMDGPU.csdata,"",@progbits
; Kernel info:
; codeLenInByte = 0
; NumSgprs: 4
; NumVgprs: 0
; NumAgprs: 0
; TotalNumVgprs: 0
; ScratchSize: 0
; MemoryBound: 0
; FloatMode: 240
; IeeeMode: 1
; LDSByteSize: 0 bytes/workgroup (compile time only)
; SGPRBlocks: 0
; VGPRBlocks: 0
; NumSGPRsForWavesPerEU: 4
; NumVGPRsForWavesPerEU: 1
; AccumOffset: 4
; Occupancy: 8
; WaveLimiterHint : 0
; COMPUTE_PGM_RSRC2:SCRATCH_EN: 0
; COMPUTE_PGM_RSRC2:USER_SGPR: 6
; COMPUTE_PGM_RSRC2:TRAP_HANDLER: 0
; COMPUTE_PGM_RSRC2:TGID_X_EN: 1
; COMPUTE_PGM_RSRC2:TGID_Y_EN: 0
; COMPUTE_PGM_RSRC2:TGID_Z_EN: 0
; COMPUTE_PGM_RSRC2:TIDIG_COMP_CNT: 0
; COMPUTE_PGM_RSRC3_GFX90A:ACCUM_OFFSET: 0
; COMPUTE_PGM_RSRC3_GFX90A:TG_SPLIT: 0
	.section	.text._ZN7rocprim17ROCPRIM_400000_NS6detail17trampoline_kernelINS0_14default_configENS1_29reduce_by_key_config_selectorIijN6thrust23THRUST_200600_302600_NS4plusIjEEEEZZNS1_33reduce_by_key_impl_wrapped_configILNS1_25lookback_scan_determinismE0ES3_S9_NS6_6detail15normal_iteratorINS6_10device_ptrIiEEEENSD_INSE_IjEEEESG_SI_PmS8_NS6_8equal_toIiEEEE10hipError_tPvRmT2_T3_mT4_T5_T6_T7_T8_P12ihipStream_tbENKUlT_T0_E_clISt17integral_constantIbLb0EES12_IbLb1EEEEDaSY_SZ_EUlSY_E_NS1_11comp_targetILNS1_3genE5ELNS1_11target_archE942ELNS1_3gpuE9ELNS1_3repE0EEENS1_30default_config_static_selectorELNS0_4arch9wavefront6targetE1EEEvT1_,"axG",@progbits,_ZN7rocprim17ROCPRIM_400000_NS6detail17trampoline_kernelINS0_14default_configENS1_29reduce_by_key_config_selectorIijN6thrust23THRUST_200600_302600_NS4plusIjEEEEZZNS1_33reduce_by_key_impl_wrapped_configILNS1_25lookback_scan_determinismE0ES3_S9_NS6_6detail15normal_iteratorINS6_10device_ptrIiEEEENSD_INSE_IjEEEESG_SI_PmS8_NS6_8equal_toIiEEEE10hipError_tPvRmT2_T3_mT4_T5_T6_T7_T8_P12ihipStream_tbENKUlT_T0_E_clISt17integral_constantIbLb0EES12_IbLb1EEEEDaSY_SZ_EUlSY_E_NS1_11comp_targetILNS1_3genE5ELNS1_11target_archE942ELNS1_3gpuE9ELNS1_3repE0EEENS1_30default_config_static_selectorELNS0_4arch9wavefront6targetE1EEEvT1_,comdat
	.protected	_ZN7rocprim17ROCPRIM_400000_NS6detail17trampoline_kernelINS0_14default_configENS1_29reduce_by_key_config_selectorIijN6thrust23THRUST_200600_302600_NS4plusIjEEEEZZNS1_33reduce_by_key_impl_wrapped_configILNS1_25lookback_scan_determinismE0ES3_S9_NS6_6detail15normal_iteratorINS6_10device_ptrIiEEEENSD_INSE_IjEEEESG_SI_PmS8_NS6_8equal_toIiEEEE10hipError_tPvRmT2_T3_mT4_T5_T6_T7_T8_P12ihipStream_tbENKUlT_T0_E_clISt17integral_constantIbLb0EES12_IbLb1EEEEDaSY_SZ_EUlSY_E_NS1_11comp_targetILNS1_3genE5ELNS1_11target_archE942ELNS1_3gpuE9ELNS1_3repE0EEENS1_30default_config_static_selectorELNS0_4arch9wavefront6targetE1EEEvT1_ ; -- Begin function _ZN7rocprim17ROCPRIM_400000_NS6detail17trampoline_kernelINS0_14default_configENS1_29reduce_by_key_config_selectorIijN6thrust23THRUST_200600_302600_NS4plusIjEEEEZZNS1_33reduce_by_key_impl_wrapped_configILNS1_25lookback_scan_determinismE0ES3_S9_NS6_6detail15normal_iteratorINS6_10device_ptrIiEEEENSD_INSE_IjEEEESG_SI_PmS8_NS6_8equal_toIiEEEE10hipError_tPvRmT2_T3_mT4_T5_T6_T7_T8_P12ihipStream_tbENKUlT_T0_E_clISt17integral_constantIbLb0EES12_IbLb1EEEEDaSY_SZ_EUlSY_E_NS1_11comp_targetILNS1_3genE5ELNS1_11target_archE942ELNS1_3gpuE9ELNS1_3repE0EEENS1_30default_config_static_selectorELNS0_4arch9wavefront6targetE1EEEvT1_
	.globl	_ZN7rocprim17ROCPRIM_400000_NS6detail17trampoline_kernelINS0_14default_configENS1_29reduce_by_key_config_selectorIijN6thrust23THRUST_200600_302600_NS4plusIjEEEEZZNS1_33reduce_by_key_impl_wrapped_configILNS1_25lookback_scan_determinismE0ES3_S9_NS6_6detail15normal_iteratorINS6_10device_ptrIiEEEENSD_INSE_IjEEEESG_SI_PmS8_NS6_8equal_toIiEEEE10hipError_tPvRmT2_T3_mT4_T5_T6_T7_T8_P12ihipStream_tbENKUlT_T0_E_clISt17integral_constantIbLb0EES12_IbLb1EEEEDaSY_SZ_EUlSY_E_NS1_11comp_targetILNS1_3genE5ELNS1_11target_archE942ELNS1_3gpuE9ELNS1_3repE0EEENS1_30default_config_static_selectorELNS0_4arch9wavefront6targetE1EEEvT1_
	.p2align	8
	.type	_ZN7rocprim17ROCPRIM_400000_NS6detail17trampoline_kernelINS0_14default_configENS1_29reduce_by_key_config_selectorIijN6thrust23THRUST_200600_302600_NS4plusIjEEEEZZNS1_33reduce_by_key_impl_wrapped_configILNS1_25lookback_scan_determinismE0ES3_S9_NS6_6detail15normal_iteratorINS6_10device_ptrIiEEEENSD_INSE_IjEEEESG_SI_PmS8_NS6_8equal_toIiEEEE10hipError_tPvRmT2_T3_mT4_T5_T6_T7_T8_P12ihipStream_tbENKUlT_T0_E_clISt17integral_constantIbLb0EES12_IbLb1EEEEDaSY_SZ_EUlSY_E_NS1_11comp_targetILNS1_3genE5ELNS1_11target_archE942ELNS1_3gpuE9ELNS1_3repE0EEENS1_30default_config_static_selectorELNS0_4arch9wavefront6targetE1EEEvT1_,@function
_ZN7rocprim17ROCPRIM_400000_NS6detail17trampoline_kernelINS0_14default_configENS1_29reduce_by_key_config_selectorIijN6thrust23THRUST_200600_302600_NS4plusIjEEEEZZNS1_33reduce_by_key_impl_wrapped_configILNS1_25lookback_scan_determinismE0ES3_S9_NS6_6detail15normal_iteratorINS6_10device_ptrIiEEEENSD_INSE_IjEEEESG_SI_PmS8_NS6_8equal_toIiEEEE10hipError_tPvRmT2_T3_mT4_T5_T6_T7_T8_P12ihipStream_tbENKUlT_T0_E_clISt17integral_constantIbLb0EES12_IbLb1EEEEDaSY_SZ_EUlSY_E_NS1_11comp_targetILNS1_3genE5ELNS1_11target_archE942ELNS1_3gpuE9ELNS1_3repE0EEENS1_30default_config_static_selectorELNS0_4arch9wavefront6targetE1EEEvT1_: ; @_ZN7rocprim17ROCPRIM_400000_NS6detail17trampoline_kernelINS0_14default_configENS1_29reduce_by_key_config_selectorIijN6thrust23THRUST_200600_302600_NS4plusIjEEEEZZNS1_33reduce_by_key_impl_wrapped_configILNS1_25lookback_scan_determinismE0ES3_S9_NS6_6detail15normal_iteratorINS6_10device_ptrIiEEEENSD_INSE_IjEEEESG_SI_PmS8_NS6_8equal_toIiEEEE10hipError_tPvRmT2_T3_mT4_T5_T6_T7_T8_P12ihipStream_tbENKUlT_T0_E_clISt17integral_constantIbLb0EES12_IbLb1EEEEDaSY_SZ_EUlSY_E_NS1_11comp_targetILNS1_3genE5ELNS1_11target_archE942ELNS1_3gpuE9ELNS1_3repE0EEENS1_30default_config_static_selectorELNS0_4arch9wavefront6targetE1EEEvT1_
; %bb.0:
	.section	.rodata,"a",@progbits
	.p2align	6, 0x0
	.amdhsa_kernel _ZN7rocprim17ROCPRIM_400000_NS6detail17trampoline_kernelINS0_14default_configENS1_29reduce_by_key_config_selectorIijN6thrust23THRUST_200600_302600_NS4plusIjEEEEZZNS1_33reduce_by_key_impl_wrapped_configILNS1_25lookback_scan_determinismE0ES3_S9_NS6_6detail15normal_iteratorINS6_10device_ptrIiEEEENSD_INSE_IjEEEESG_SI_PmS8_NS6_8equal_toIiEEEE10hipError_tPvRmT2_T3_mT4_T5_T6_T7_T8_P12ihipStream_tbENKUlT_T0_E_clISt17integral_constantIbLb0EES12_IbLb1EEEEDaSY_SZ_EUlSY_E_NS1_11comp_targetILNS1_3genE5ELNS1_11target_archE942ELNS1_3gpuE9ELNS1_3repE0EEENS1_30default_config_static_selectorELNS0_4arch9wavefront6targetE1EEEvT1_
		.amdhsa_group_segment_fixed_size 0
		.amdhsa_private_segment_fixed_size 0
		.amdhsa_kernarg_size 120
		.amdhsa_user_sgpr_count 6
		.amdhsa_user_sgpr_private_segment_buffer 1
		.amdhsa_user_sgpr_dispatch_ptr 0
		.amdhsa_user_sgpr_queue_ptr 0
		.amdhsa_user_sgpr_kernarg_segment_ptr 1
		.amdhsa_user_sgpr_dispatch_id 0
		.amdhsa_user_sgpr_flat_scratch_init 0
		.amdhsa_user_sgpr_kernarg_preload_length 0
		.amdhsa_user_sgpr_kernarg_preload_offset 0
		.amdhsa_user_sgpr_private_segment_size 0
		.amdhsa_uses_dynamic_stack 0
		.amdhsa_system_sgpr_private_segment_wavefront_offset 0
		.amdhsa_system_sgpr_workgroup_id_x 1
		.amdhsa_system_sgpr_workgroup_id_y 0
		.amdhsa_system_sgpr_workgroup_id_z 0
		.amdhsa_system_sgpr_workgroup_info 0
		.amdhsa_system_vgpr_workitem_id 0
		.amdhsa_next_free_vgpr 1
		.amdhsa_next_free_sgpr 0
		.amdhsa_accum_offset 4
		.amdhsa_reserve_vcc 0
		.amdhsa_reserve_flat_scratch 0
		.amdhsa_float_round_mode_32 0
		.amdhsa_float_round_mode_16_64 0
		.amdhsa_float_denorm_mode_32 3
		.amdhsa_float_denorm_mode_16_64 3
		.amdhsa_dx10_clamp 1
		.amdhsa_ieee_mode 1
		.amdhsa_fp16_overflow 0
		.amdhsa_tg_split 0
		.amdhsa_exception_fp_ieee_invalid_op 0
		.amdhsa_exception_fp_denorm_src 0
		.amdhsa_exception_fp_ieee_div_zero 0
		.amdhsa_exception_fp_ieee_overflow 0
		.amdhsa_exception_fp_ieee_underflow 0
		.amdhsa_exception_fp_ieee_inexact 0
		.amdhsa_exception_int_div_zero 0
	.end_amdhsa_kernel
	.section	.text._ZN7rocprim17ROCPRIM_400000_NS6detail17trampoline_kernelINS0_14default_configENS1_29reduce_by_key_config_selectorIijN6thrust23THRUST_200600_302600_NS4plusIjEEEEZZNS1_33reduce_by_key_impl_wrapped_configILNS1_25lookback_scan_determinismE0ES3_S9_NS6_6detail15normal_iteratorINS6_10device_ptrIiEEEENSD_INSE_IjEEEESG_SI_PmS8_NS6_8equal_toIiEEEE10hipError_tPvRmT2_T3_mT4_T5_T6_T7_T8_P12ihipStream_tbENKUlT_T0_E_clISt17integral_constantIbLb0EES12_IbLb1EEEEDaSY_SZ_EUlSY_E_NS1_11comp_targetILNS1_3genE5ELNS1_11target_archE942ELNS1_3gpuE9ELNS1_3repE0EEENS1_30default_config_static_selectorELNS0_4arch9wavefront6targetE1EEEvT1_,"axG",@progbits,_ZN7rocprim17ROCPRIM_400000_NS6detail17trampoline_kernelINS0_14default_configENS1_29reduce_by_key_config_selectorIijN6thrust23THRUST_200600_302600_NS4plusIjEEEEZZNS1_33reduce_by_key_impl_wrapped_configILNS1_25lookback_scan_determinismE0ES3_S9_NS6_6detail15normal_iteratorINS6_10device_ptrIiEEEENSD_INSE_IjEEEESG_SI_PmS8_NS6_8equal_toIiEEEE10hipError_tPvRmT2_T3_mT4_T5_T6_T7_T8_P12ihipStream_tbENKUlT_T0_E_clISt17integral_constantIbLb0EES12_IbLb1EEEEDaSY_SZ_EUlSY_E_NS1_11comp_targetILNS1_3genE5ELNS1_11target_archE942ELNS1_3gpuE9ELNS1_3repE0EEENS1_30default_config_static_selectorELNS0_4arch9wavefront6targetE1EEEvT1_,comdat
.Lfunc_end833:
	.size	_ZN7rocprim17ROCPRIM_400000_NS6detail17trampoline_kernelINS0_14default_configENS1_29reduce_by_key_config_selectorIijN6thrust23THRUST_200600_302600_NS4plusIjEEEEZZNS1_33reduce_by_key_impl_wrapped_configILNS1_25lookback_scan_determinismE0ES3_S9_NS6_6detail15normal_iteratorINS6_10device_ptrIiEEEENSD_INSE_IjEEEESG_SI_PmS8_NS6_8equal_toIiEEEE10hipError_tPvRmT2_T3_mT4_T5_T6_T7_T8_P12ihipStream_tbENKUlT_T0_E_clISt17integral_constantIbLb0EES12_IbLb1EEEEDaSY_SZ_EUlSY_E_NS1_11comp_targetILNS1_3genE5ELNS1_11target_archE942ELNS1_3gpuE9ELNS1_3repE0EEENS1_30default_config_static_selectorELNS0_4arch9wavefront6targetE1EEEvT1_, .Lfunc_end833-_ZN7rocprim17ROCPRIM_400000_NS6detail17trampoline_kernelINS0_14default_configENS1_29reduce_by_key_config_selectorIijN6thrust23THRUST_200600_302600_NS4plusIjEEEEZZNS1_33reduce_by_key_impl_wrapped_configILNS1_25lookback_scan_determinismE0ES3_S9_NS6_6detail15normal_iteratorINS6_10device_ptrIiEEEENSD_INSE_IjEEEESG_SI_PmS8_NS6_8equal_toIiEEEE10hipError_tPvRmT2_T3_mT4_T5_T6_T7_T8_P12ihipStream_tbENKUlT_T0_E_clISt17integral_constantIbLb0EES12_IbLb1EEEEDaSY_SZ_EUlSY_E_NS1_11comp_targetILNS1_3genE5ELNS1_11target_archE942ELNS1_3gpuE9ELNS1_3repE0EEENS1_30default_config_static_selectorELNS0_4arch9wavefront6targetE1EEEvT1_
                                        ; -- End function
	.section	.AMDGPU.csdata,"",@progbits
; Kernel info:
; codeLenInByte = 0
; NumSgprs: 4
; NumVgprs: 0
; NumAgprs: 0
; TotalNumVgprs: 0
; ScratchSize: 0
; MemoryBound: 0
; FloatMode: 240
; IeeeMode: 1
; LDSByteSize: 0 bytes/workgroup (compile time only)
; SGPRBlocks: 0
; VGPRBlocks: 0
; NumSGPRsForWavesPerEU: 4
; NumVGPRsForWavesPerEU: 1
; AccumOffset: 4
; Occupancy: 8
; WaveLimiterHint : 0
; COMPUTE_PGM_RSRC2:SCRATCH_EN: 0
; COMPUTE_PGM_RSRC2:USER_SGPR: 6
; COMPUTE_PGM_RSRC2:TRAP_HANDLER: 0
; COMPUTE_PGM_RSRC2:TGID_X_EN: 1
; COMPUTE_PGM_RSRC2:TGID_Y_EN: 0
; COMPUTE_PGM_RSRC2:TGID_Z_EN: 0
; COMPUTE_PGM_RSRC2:TIDIG_COMP_CNT: 0
; COMPUTE_PGM_RSRC3_GFX90A:ACCUM_OFFSET: 0
; COMPUTE_PGM_RSRC3_GFX90A:TG_SPLIT: 0
	.section	.text._ZN7rocprim17ROCPRIM_400000_NS6detail17trampoline_kernelINS0_14default_configENS1_29reduce_by_key_config_selectorIijN6thrust23THRUST_200600_302600_NS4plusIjEEEEZZNS1_33reduce_by_key_impl_wrapped_configILNS1_25lookback_scan_determinismE0ES3_S9_NS6_6detail15normal_iteratorINS6_10device_ptrIiEEEENSD_INSE_IjEEEESG_SI_PmS8_NS6_8equal_toIiEEEE10hipError_tPvRmT2_T3_mT4_T5_T6_T7_T8_P12ihipStream_tbENKUlT_T0_E_clISt17integral_constantIbLb0EES12_IbLb1EEEEDaSY_SZ_EUlSY_E_NS1_11comp_targetILNS1_3genE4ELNS1_11target_archE910ELNS1_3gpuE8ELNS1_3repE0EEENS1_30default_config_static_selectorELNS0_4arch9wavefront6targetE1EEEvT1_,"axG",@progbits,_ZN7rocprim17ROCPRIM_400000_NS6detail17trampoline_kernelINS0_14default_configENS1_29reduce_by_key_config_selectorIijN6thrust23THRUST_200600_302600_NS4plusIjEEEEZZNS1_33reduce_by_key_impl_wrapped_configILNS1_25lookback_scan_determinismE0ES3_S9_NS6_6detail15normal_iteratorINS6_10device_ptrIiEEEENSD_INSE_IjEEEESG_SI_PmS8_NS6_8equal_toIiEEEE10hipError_tPvRmT2_T3_mT4_T5_T6_T7_T8_P12ihipStream_tbENKUlT_T0_E_clISt17integral_constantIbLb0EES12_IbLb1EEEEDaSY_SZ_EUlSY_E_NS1_11comp_targetILNS1_3genE4ELNS1_11target_archE910ELNS1_3gpuE8ELNS1_3repE0EEENS1_30default_config_static_selectorELNS0_4arch9wavefront6targetE1EEEvT1_,comdat
	.protected	_ZN7rocprim17ROCPRIM_400000_NS6detail17trampoline_kernelINS0_14default_configENS1_29reduce_by_key_config_selectorIijN6thrust23THRUST_200600_302600_NS4plusIjEEEEZZNS1_33reduce_by_key_impl_wrapped_configILNS1_25lookback_scan_determinismE0ES3_S9_NS6_6detail15normal_iteratorINS6_10device_ptrIiEEEENSD_INSE_IjEEEESG_SI_PmS8_NS6_8equal_toIiEEEE10hipError_tPvRmT2_T3_mT4_T5_T6_T7_T8_P12ihipStream_tbENKUlT_T0_E_clISt17integral_constantIbLb0EES12_IbLb1EEEEDaSY_SZ_EUlSY_E_NS1_11comp_targetILNS1_3genE4ELNS1_11target_archE910ELNS1_3gpuE8ELNS1_3repE0EEENS1_30default_config_static_selectorELNS0_4arch9wavefront6targetE1EEEvT1_ ; -- Begin function _ZN7rocprim17ROCPRIM_400000_NS6detail17trampoline_kernelINS0_14default_configENS1_29reduce_by_key_config_selectorIijN6thrust23THRUST_200600_302600_NS4plusIjEEEEZZNS1_33reduce_by_key_impl_wrapped_configILNS1_25lookback_scan_determinismE0ES3_S9_NS6_6detail15normal_iteratorINS6_10device_ptrIiEEEENSD_INSE_IjEEEESG_SI_PmS8_NS6_8equal_toIiEEEE10hipError_tPvRmT2_T3_mT4_T5_T6_T7_T8_P12ihipStream_tbENKUlT_T0_E_clISt17integral_constantIbLb0EES12_IbLb1EEEEDaSY_SZ_EUlSY_E_NS1_11comp_targetILNS1_3genE4ELNS1_11target_archE910ELNS1_3gpuE8ELNS1_3repE0EEENS1_30default_config_static_selectorELNS0_4arch9wavefront6targetE1EEEvT1_
	.globl	_ZN7rocprim17ROCPRIM_400000_NS6detail17trampoline_kernelINS0_14default_configENS1_29reduce_by_key_config_selectorIijN6thrust23THRUST_200600_302600_NS4plusIjEEEEZZNS1_33reduce_by_key_impl_wrapped_configILNS1_25lookback_scan_determinismE0ES3_S9_NS6_6detail15normal_iteratorINS6_10device_ptrIiEEEENSD_INSE_IjEEEESG_SI_PmS8_NS6_8equal_toIiEEEE10hipError_tPvRmT2_T3_mT4_T5_T6_T7_T8_P12ihipStream_tbENKUlT_T0_E_clISt17integral_constantIbLb0EES12_IbLb1EEEEDaSY_SZ_EUlSY_E_NS1_11comp_targetILNS1_3genE4ELNS1_11target_archE910ELNS1_3gpuE8ELNS1_3repE0EEENS1_30default_config_static_selectorELNS0_4arch9wavefront6targetE1EEEvT1_
	.p2align	8
	.type	_ZN7rocprim17ROCPRIM_400000_NS6detail17trampoline_kernelINS0_14default_configENS1_29reduce_by_key_config_selectorIijN6thrust23THRUST_200600_302600_NS4plusIjEEEEZZNS1_33reduce_by_key_impl_wrapped_configILNS1_25lookback_scan_determinismE0ES3_S9_NS6_6detail15normal_iteratorINS6_10device_ptrIiEEEENSD_INSE_IjEEEESG_SI_PmS8_NS6_8equal_toIiEEEE10hipError_tPvRmT2_T3_mT4_T5_T6_T7_T8_P12ihipStream_tbENKUlT_T0_E_clISt17integral_constantIbLb0EES12_IbLb1EEEEDaSY_SZ_EUlSY_E_NS1_11comp_targetILNS1_3genE4ELNS1_11target_archE910ELNS1_3gpuE8ELNS1_3repE0EEENS1_30default_config_static_selectorELNS0_4arch9wavefront6targetE1EEEvT1_,@function
_ZN7rocprim17ROCPRIM_400000_NS6detail17trampoline_kernelINS0_14default_configENS1_29reduce_by_key_config_selectorIijN6thrust23THRUST_200600_302600_NS4plusIjEEEEZZNS1_33reduce_by_key_impl_wrapped_configILNS1_25lookback_scan_determinismE0ES3_S9_NS6_6detail15normal_iteratorINS6_10device_ptrIiEEEENSD_INSE_IjEEEESG_SI_PmS8_NS6_8equal_toIiEEEE10hipError_tPvRmT2_T3_mT4_T5_T6_T7_T8_P12ihipStream_tbENKUlT_T0_E_clISt17integral_constantIbLb0EES12_IbLb1EEEEDaSY_SZ_EUlSY_E_NS1_11comp_targetILNS1_3genE4ELNS1_11target_archE910ELNS1_3gpuE8ELNS1_3repE0EEENS1_30default_config_static_selectorELNS0_4arch9wavefront6targetE1EEEvT1_: ; @_ZN7rocprim17ROCPRIM_400000_NS6detail17trampoline_kernelINS0_14default_configENS1_29reduce_by_key_config_selectorIijN6thrust23THRUST_200600_302600_NS4plusIjEEEEZZNS1_33reduce_by_key_impl_wrapped_configILNS1_25lookback_scan_determinismE0ES3_S9_NS6_6detail15normal_iteratorINS6_10device_ptrIiEEEENSD_INSE_IjEEEESG_SI_PmS8_NS6_8equal_toIiEEEE10hipError_tPvRmT2_T3_mT4_T5_T6_T7_T8_P12ihipStream_tbENKUlT_T0_E_clISt17integral_constantIbLb0EES12_IbLb1EEEEDaSY_SZ_EUlSY_E_NS1_11comp_targetILNS1_3genE4ELNS1_11target_archE910ELNS1_3gpuE8ELNS1_3repE0EEENS1_30default_config_static_selectorELNS0_4arch9wavefront6targetE1EEEvT1_
; %bb.0:
	s_load_dwordx8 s[36:43], s[4:5], 0x0
	s_load_dwordx4 s[52:55], s[4:5], 0x20
	s_load_dwordx8 s[44:51], s[4:5], 0x38
	s_load_dwordx2 s[60:61], s[4:5], 0x68
	s_load_dwordx4 s[56:59], s[4:5], 0x58
	v_cmp_ne_u32_e64 s[2:3], 0, v0
	v_cmp_eq_u32_e64 s[0:1], 0, v0
	s_and_saveexec_b64 s[6:7], s[0:1]
	s_cbranch_execz .LBB834_4
; %bb.1:
	s_mov_b64 s[10:11], exec
	v_mbcnt_lo_u32_b32 v1, s10, 0
	v_mbcnt_hi_u32_b32 v1, s11, v1
	v_cmp_eq_u32_e32 vcc, 0, v1
                                        ; implicit-def: $vgpr2
	s_and_saveexec_b64 s[8:9], vcc
	s_cbranch_execz .LBB834_3
; %bb.2:
	s_load_dwordx2 s[4:5], s[4:5], 0x70
	s_bcnt1_i32_b64 s10, s[10:11]
	v_mov_b32_e32 v2, 0
	v_mov_b32_e32 v3, s10
	s_waitcnt lgkmcnt(0)
	global_atomic_add v2, v2, v3, s[4:5] glc
.LBB834_3:
	s_or_b64 exec, exec, s[8:9]
	s_waitcnt vmcnt(0)
	v_readfirstlane_b32 s4, v2
	v_add_u32_e32 v1, s4, v1
	v_mov_b32_e32 v2, 0
	ds_write_b32 v2, v1
.LBB834_4:
	s_or_b64 exec, exec, s[6:7]
	v_mov_b32_e32 v3, 0
	s_waitcnt lgkmcnt(0)
	s_lshl_b64 s[4:5], s[38:39], 2
	s_barrier
	ds_read_b32 v1, v3
	s_add_u32 s6, s36, s4
	s_addc_u32 s7, s37, s5
	s_add_u32 s4, s40, s4
	s_mul_i32 s8, s48, s47
	s_mul_hi_u32 s9, s48, s46
	s_addc_u32 s5, s41, s5
	s_add_i32 s8, s9, s8
	s_mul_i32 s9, s49, s46
	s_add_i32 s8, s8, s9
	s_mul_i32 s9, s48, s46
	s_waitcnt lgkmcnt(0)
	v_readfirstlane_b32 s62, v1
	s_movk_i32 s10, 0xf00
	v_mul_lo_u32 v2, v1, s10
	s_add_u32 s40, s9, s62
	v_lshlrev_b64 v[2:3], 2, v[2:3]
	s_addc_u32 s41, s8, 0
	v_mov_b32_e32 v1, s7
	v_add_co_u32_e32 v31, vcc, s6, v2
	s_add_u32 s6, s50, -1
	v_addc_co_u32_e32 v35, vcc, v1, v3, vcc
	s_addc_u32 s7, s51, -1
	v_mov_b32_e32 v1, s5
	v_add_co_u32_e32 v22, vcc, s4, v2
	s_cmp_eq_u64 s[40:41], s[6:7]
	v_addc_co_u32_e32 v23, vcc, v1, v3, vcc
	s_cselect_b64 s[36:37], -1, 0
	s_cmp_lg_u64 s[40:41], s[6:7]
	s_mov_b64 s[4:5], -1
	s_cselect_b64 s[48:49], -1, 0
	s_mul_i32 s33, s6, 0xfffff100
	s_and_b64 vcc, exec, s[36:37]
	s_barrier
	s_cbranch_vccnz .LBB834_6
; %bb.5:
	v_lshlrev_b32_e32 v28, 2, v0
	v_add_co_u32_e32 v2, vcc, v31, v28
	v_addc_co_u32_e32 v3, vcc, 0, v35, vcc
	v_add_co_u32_e32 v4, vcc, 0x1000, v2
	v_addc_co_u32_e32 v5, vcc, 0, v3, vcc
	flat_load_dword v1, v[2:3]
	flat_load_dword v8, v[2:3] offset:1024
	flat_load_dword v9, v[2:3] offset:2048
	;; [unrolled: 1-line block ×3, first 2 shown]
	flat_load_dword v11, v[4:5]
	flat_load_dword v12, v[4:5] offset:1024
	flat_load_dword v13, v[4:5] offset:2048
	;; [unrolled: 1-line block ×3, first 2 shown]
	v_add_co_u32_e32 v4, vcc, 0x2000, v2
	v_addc_co_u32_e32 v5, vcc, 0, v3, vcc
	v_add_co_u32_e32 v2, vcc, 0x3000, v2
	v_addc_co_u32_e32 v3, vcc, 0, v3, vcc
	flat_load_dword v15, v[4:5]
	flat_load_dword v16, v[4:5] offset:1024
	flat_load_dword v17, v[4:5] offset:2048
	;; [unrolled: 1-line block ×3, first 2 shown]
	flat_load_dword v19, v[2:3]
	flat_load_dword v20, v[2:3] offset:1024
	flat_load_dword v21, v[2:3] offset:2048
	v_add_co_u32_e32 v2, vcc, v22, v28
	s_movk_i32 s4, 0x1000
	v_addc_co_u32_e32 v3, vcc, 0, v23, vcc
	v_add_co_u32_e32 v4, vcc, s4, v2
	s_movk_i32 s5, 0x2000
	v_addc_co_u32_e32 v5, vcc, 0, v3, vcc
	;; [unrolled: 3-line block ×3, first 2 shown]
	v_mad_u32_u24 v30, v0, 56, v28
	v_add_co_u32_e32 v24, vcc, s6, v2
	v_addc_co_u32_e32 v25, vcc, 0, v3, vcc
	s_waitcnt vmcnt(0) lgkmcnt(0)
	ds_write2st64_b32 v28, v1, v8 offset1:4
	ds_write2st64_b32 v28, v9, v10 offset0:8 offset1:12
	ds_write2st64_b32 v28, v11, v12 offset0:16 offset1:20
	;; [unrolled: 1-line block ×6, first 2 shown]
	ds_write_b32 v28, v21 offset:14336
	s_waitcnt lgkmcnt(0)
	s_barrier
	ds_read2_b32 v[20:21], v30 offset1:1
	ds_read2_b32 v[18:19], v30 offset0:2 offset1:3
	ds_read2_b32 v[16:17], v30 offset0:4 offset1:5
	;; [unrolled: 1-line block ×6, first 2 shown]
	ds_read_b32 v1, v30 offset:56
	s_waitcnt lgkmcnt(0)
	s_barrier
	flat_load_dword v29, v[2:3]
	flat_load_dword v32, v[2:3] offset:1024
	flat_load_dword v33, v[2:3] offset:2048
	flat_load_dword v34, v[2:3] offset:3072
	flat_load_dword v36, v[4:5]
	flat_load_dword v37, v[4:5] offset:1024
	flat_load_dword v38, v[4:5] offset:2048
	flat_load_dword v39, v[4:5] offset:3072
	;; [unrolled: 4-line block ×3, first 2 shown]
	flat_load_dword v44, v[24:25]
	flat_load_dword v45, v[24:25] offset:1024
	flat_load_dword v46, v[24:25] offset:2048
	v_mov_b32_e32 v26, v20
	v_mov_b32_e32 v27, v18
	;; [unrolled: 1-line block ×7, first 2 shown]
	s_waitcnt vmcnt(0) lgkmcnt(0)
	ds_write2st64_b32 v28, v29, v32 offset1:4
	ds_write2st64_b32 v28, v33, v34 offset0:8 offset1:12
	ds_write2st64_b32 v28, v36, v37 offset0:16 offset1:20
	;; [unrolled: 1-line block ×6, first 2 shown]
	ds_write_b32 v28, v46 offset:14336
	s_waitcnt lgkmcnt(0)
	s_barrier
	s_add_i32 s33, s33, s56
	s_cbranch_execz .LBB834_7
	s_branch .LBB834_54
.LBB834_6:
                                        ; implicit-def: $vgpr1
                                        ; implicit-def: $vgpr8
                                        ; implicit-def: $vgpr10
                                        ; implicit-def: $vgpr12
                                        ; implicit-def: $vgpr14
                                        ; implicit-def: $vgpr16
                                        ; implicit-def: $vgpr18
                                        ; implicit-def: $vgpr20
                                        ; implicit-def: $vgpr30
                                        ; implicit-def: $vgpr2_vgpr3
                                        ; implicit-def: $vgpr4_vgpr5
                                        ; implicit-def: $vgpr26_vgpr27
                                        ; implicit-def: $vgpr6_vgpr7
	s_andn2_b64 vcc, exec, s[4:5]
	s_add_i32 s33, s33, s56
	s_cbranch_vccnz .LBB834_54
.LBB834_7:
	v_cmp_gt_u32_e32 vcc, s33, v0
                                        ; implicit-def: $vgpr1
	s_and_saveexec_b64 s[6:7], vcc
	s_cbranch_execz .LBB834_9
; %bb.8:
	v_lshlrev_b32_e32 v1, 2, v0
	v_add_co_u32_e64 v2, s[4:5], v31, v1
	v_addc_co_u32_e64 v3, s[4:5], 0, v35, s[4:5]
	flat_load_dword v1, v[2:3]
.LBB834_9:
	s_or_b64 exec, exec, s[6:7]
	v_or_b32_e32 v2, 0x100, v0
	v_cmp_gt_u32_e64 s[4:5], s33, v2
                                        ; implicit-def: $vgpr8
	s_and_saveexec_b64 s[8:9], s[4:5]
	s_cbranch_execz .LBB834_11
; %bb.10:
	v_lshlrev_b32_e32 v2, 2, v0
	v_add_co_u32_e64 v2, s[6:7], v31, v2
	v_addc_co_u32_e64 v3, s[6:7], 0, v35, s[6:7]
	flat_load_dword v8, v[2:3] offset:1024
.LBB834_11:
	s_or_b64 exec, exec, s[8:9]
	v_or_b32_e32 v2, 0x200, v0
	v_cmp_gt_u32_e64 s[6:7], s33, v2
                                        ; implicit-def: $vgpr9
	s_and_saveexec_b64 s[10:11], s[6:7]
	s_cbranch_execz .LBB834_13
; %bb.12:
	v_lshlrev_b32_e32 v2, 2, v0
	v_add_co_u32_e64 v2, s[8:9], v31, v2
	v_addc_co_u32_e64 v3, s[8:9], 0, v35, s[8:9]
	flat_load_dword v9, v[2:3] offset:2048
.LBB834_13:
	s_or_b64 exec, exec, s[10:11]
	v_or_b32_e32 v2, 0x300, v0
	v_cmp_gt_u32_e64 s[8:9], s33, v2
                                        ; implicit-def: $vgpr10
	s_and_saveexec_b64 s[12:13], s[8:9]
	s_cbranch_execz .LBB834_15
; %bb.14:
	v_lshlrev_b32_e32 v2, 2, v0
	v_add_co_u32_e64 v2, s[10:11], v31, v2
	v_addc_co_u32_e64 v3, s[10:11], 0, v35, s[10:11]
	flat_load_dword v10, v[2:3] offset:3072
.LBB834_15:
	s_or_b64 exec, exec, s[12:13]
	v_or_b32_e32 v2, 0x400, v0
	v_cmp_gt_u32_e64 s[10:11], s33, v2
	v_lshlrev_b32_e32 v2, 2, v2
                                        ; implicit-def: $vgpr11
	s_and_saveexec_b64 s[14:15], s[10:11]
	s_cbranch_execz .LBB834_17
; %bb.16:
	v_add_co_u32_e64 v4, s[12:13], v31, v2
	v_addc_co_u32_e64 v5, s[12:13], 0, v35, s[12:13]
	flat_load_dword v11, v[4:5]
.LBB834_17:
	s_or_b64 exec, exec, s[14:15]
	v_or_b32_e32 v3, 0x500, v0
	v_cmp_gt_u32_e64 s[12:13], s33, v3
	v_lshlrev_b32_e32 v3, 2, v3
                                        ; implicit-def: $vgpr12
	s_and_saveexec_b64 s[16:17], s[12:13]
	s_cbranch_execz .LBB834_19
; %bb.18:
	v_add_co_u32_e64 v4, s[14:15], v31, v3
	v_addc_co_u32_e64 v5, s[14:15], 0, v35, s[14:15]
	flat_load_dword v12, v[4:5]
.LBB834_19:
	s_or_b64 exec, exec, s[16:17]
	v_or_b32_e32 v4, 0x600, v0
	v_cmp_gt_u32_e64 s[14:15], s33, v4
	v_lshlrev_b32_e32 v4, 2, v4
                                        ; implicit-def: $vgpr13
	s_and_saveexec_b64 s[18:19], s[14:15]
	s_cbranch_execz .LBB834_21
; %bb.20:
	v_add_co_u32_e64 v6, s[16:17], v31, v4
	v_addc_co_u32_e64 v7, s[16:17], 0, v35, s[16:17]
	flat_load_dword v13, v[6:7]
.LBB834_21:
	s_or_b64 exec, exec, s[18:19]
	v_or_b32_e32 v5, 0x700, v0
	v_cmp_gt_u32_e64 s[16:17], s33, v5
	v_lshlrev_b32_e32 v5, 2, v5
                                        ; implicit-def: $vgpr14
	s_and_saveexec_b64 s[20:21], s[16:17]
	s_cbranch_execz .LBB834_23
; %bb.22:
	v_add_co_u32_e64 v6, s[18:19], v31, v5
	v_addc_co_u32_e64 v7, s[18:19], 0, v35, s[18:19]
	flat_load_dword v14, v[6:7]
.LBB834_23:
	s_or_b64 exec, exec, s[20:21]
	v_or_b32_e32 v6, 0x800, v0
	v_cmp_gt_u32_e64 s[18:19], s33, v6
	v_lshlrev_b32_e32 v6, 2, v6
                                        ; implicit-def: $vgpr15
	s_and_saveexec_b64 s[22:23], s[18:19]
	s_cbranch_execz .LBB834_25
; %bb.24:
	v_add_co_u32_e64 v16, s[20:21], v31, v6
	v_addc_co_u32_e64 v17, s[20:21], 0, v35, s[20:21]
	flat_load_dword v15, v[16:17]
.LBB834_25:
	s_or_b64 exec, exec, s[22:23]
	v_or_b32_e32 v7, 0x900, v0
	v_cmp_gt_u32_e64 s[20:21], s33, v7
	v_lshlrev_b32_e32 v7, 2, v7
                                        ; implicit-def: $vgpr16
	s_and_saveexec_b64 s[24:25], s[20:21]
	s_cbranch_execz .LBB834_27
; %bb.26:
	v_add_co_u32_e64 v16, s[22:23], v31, v7
	v_addc_co_u32_e64 v17, s[22:23], 0, v35, s[22:23]
	flat_load_dword v16, v[16:17]
.LBB834_27:
	s_or_b64 exec, exec, s[24:25]
	v_or_b32_e32 v17, 0xa00, v0
	v_cmp_gt_u32_e64 s[22:23], s33, v17
	v_lshlrev_b32_e32 v25, 2, v17
                                        ; implicit-def: $vgpr17
	s_and_saveexec_b64 s[26:27], s[22:23]
	s_cbranch_execz .LBB834_29
; %bb.28:
	v_add_co_u32_e64 v18, s[24:25], v31, v25
	v_addc_co_u32_e64 v19, s[24:25], 0, v35, s[24:25]
	flat_load_dword v17, v[18:19]
.LBB834_29:
	s_or_b64 exec, exec, s[26:27]
	v_or_b32_e32 v18, 0xb00, v0
	v_cmp_gt_u32_e64 s[24:25], s33, v18
	v_lshlrev_b32_e32 v26, 2, v18
                                        ; implicit-def: $vgpr18
	s_and_saveexec_b64 s[28:29], s[24:25]
	s_cbranch_execz .LBB834_31
; %bb.30:
	v_add_co_u32_e64 v18, s[26:27], v31, v26
	v_addc_co_u32_e64 v19, s[26:27], 0, v35, s[26:27]
	flat_load_dword v18, v[18:19]
.LBB834_31:
	s_or_b64 exec, exec, s[28:29]
	v_or_b32_e32 v19, 0xc00, v0
	v_cmp_gt_u32_e64 s[26:27], s33, v19
	v_lshlrev_b32_e32 v27, 2, v19
                                        ; implicit-def: $vgpr19
	s_and_saveexec_b64 s[30:31], s[26:27]
	s_cbranch_execz .LBB834_33
; %bb.32:
	v_add_co_u32_e64 v20, s[28:29], v31, v27
	v_addc_co_u32_e64 v21, s[28:29], 0, v35, s[28:29]
	flat_load_dword v19, v[20:21]
.LBB834_33:
	s_or_b64 exec, exec, s[30:31]
	v_or_b32_e32 v20, 0xd00, v0
	v_cmp_gt_u32_e64 s[28:29], s33, v20
	v_lshlrev_b32_e32 v28, 2, v20
                                        ; implicit-def: $vgpr20
	s_and_saveexec_b64 s[34:35], s[28:29]
	s_cbranch_execz .LBB834_35
; %bb.34:
	v_add_co_u32_e64 v20, s[30:31], v31, v28
	v_addc_co_u32_e64 v21, s[30:31], 0, v35, s[30:31]
	flat_load_dword v20, v[20:21]
.LBB834_35:
	s_or_b64 exec, exec, s[34:35]
	v_or_b32_e32 v21, 0xe00, v0
	v_cmp_gt_u32_e64 s[30:31], s33, v21
	v_lshlrev_b32_e32 v29, 2, v21
                                        ; implicit-def: $vgpr21
	s_and_saveexec_b64 s[38:39], s[30:31]
	s_cbranch_execz .LBB834_37
; %bb.36:
	v_add_co_u32_e64 v32, s[34:35], v31, v29
	v_addc_co_u32_e64 v33, s[34:35], 0, v35, s[34:35]
	flat_load_dword v21, v[32:33]
.LBB834_37:
	s_or_b64 exec, exec, s[38:39]
	v_lshlrev_b32_e32 v24, 2, v0
	v_mad_u32_u24 v30, v0, 56, v24
	s_waitcnt vmcnt(0) lgkmcnt(0)
	ds_write2st64_b32 v24, v1, v8 offset1:4
	ds_write2st64_b32 v24, v9, v10 offset0:8 offset1:12
	ds_write2st64_b32 v24, v11, v12 offset0:16 offset1:20
	;; [unrolled: 1-line block ×6, first 2 shown]
	ds_write_b32 v24, v21 offset:14336
	s_waitcnt lgkmcnt(0)
	s_barrier
	ds_read2_b32 v[20:21], v30 offset1:1
	ds_read2_b32 v[18:19], v30 offset0:2 offset1:3
	ds_read2_b32 v[16:17], v30 offset0:4 offset1:5
	;; [unrolled: 1-line block ×6, first 2 shown]
	ds_read_b32 v1, v30 offset:56
	s_waitcnt lgkmcnt(0)
	s_barrier
	s_waitcnt lgkmcnt(0)
                                        ; implicit-def: $vgpr32
	s_and_saveexec_b64 s[34:35], vcc
	s_cbranch_execnz .LBB834_61
; %bb.38:
	s_or_b64 exec, exec, s[34:35]
                                        ; implicit-def: $vgpr33
	s_and_saveexec_b64 s[34:35], s[4:5]
	s_cbranch_execnz .LBB834_62
.LBB834_39:
	s_or_b64 exec, exec, s[34:35]
                                        ; implicit-def: $vgpr34
	s_and_saveexec_b64 s[4:5], s[6:7]
	s_cbranch_execnz .LBB834_63
.LBB834_40:
	s_or_b64 exec, exec, s[4:5]
                                        ; implicit-def: $vgpr36
	s_and_saveexec_b64 s[4:5], s[8:9]
	s_cbranch_execnz .LBB834_64
.LBB834_41:
	s_or_b64 exec, exec, s[4:5]
                                        ; implicit-def: $vgpr37
	s_and_saveexec_b64 s[4:5], s[10:11]
	s_cbranch_execnz .LBB834_65
.LBB834_42:
	s_or_b64 exec, exec, s[4:5]
                                        ; implicit-def: $vgpr2
	s_and_saveexec_b64 s[4:5], s[12:13]
	s_cbranch_execnz .LBB834_66
.LBB834_43:
	s_or_b64 exec, exec, s[4:5]
                                        ; implicit-def: $vgpr3
	s_and_saveexec_b64 s[4:5], s[14:15]
	s_cbranch_execnz .LBB834_67
.LBB834_44:
	s_or_b64 exec, exec, s[4:5]
                                        ; implicit-def: $vgpr4
	s_and_saveexec_b64 s[4:5], s[16:17]
	s_cbranch_execnz .LBB834_68
.LBB834_45:
	s_or_b64 exec, exec, s[4:5]
                                        ; implicit-def: $vgpr5
	s_and_saveexec_b64 s[4:5], s[18:19]
	s_cbranch_execnz .LBB834_69
.LBB834_46:
	s_or_b64 exec, exec, s[4:5]
                                        ; implicit-def: $vgpr6
	s_and_saveexec_b64 s[4:5], s[20:21]
	s_cbranch_execnz .LBB834_70
.LBB834_47:
	s_or_b64 exec, exec, s[4:5]
                                        ; implicit-def: $vgpr7
	s_and_saveexec_b64 s[4:5], s[22:23]
	s_cbranch_execnz .LBB834_71
.LBB834_48:
	s_or_b64 exec, exec, s[4:5]
                                        ; implicit-def: $vgpr25
	s_and_saveexec_b64 s[4:5], s[24:25]
	s_cbranch_execnz .LBB834_72
.LBB834_49:
	s_or_b64 exec, exec, s[4:5]
                                        ; implicit-def: $vgpr26
	s_and_saveexec_b64 s[4:5], s[26:27]
	s_cbranch_execnz .LBB834_73
.LBB834_50:
	s_or_b64 exec, exec, s[4:5]
                                        ; implicit-def: $vgpr27
	s_and_saveexec_b64 s[4:5], s[28:29]
	s_cbranch_execnz .LBB834_74
.LBB834_51:
	s_or_b64 exec, exec, s[4:5]
                                        ; implicit-def: $vgpr28
	s_and_saveexec_b64 s[4:5], s[30:31]
	s_cbranch_execz .LBB834_53
.LBB834_52:
	v_add_co_u32_e32 v22, vcc, v22, v29
	v_addc_co_u32_e32 v23, vcc, 0, v23, vcc
	flat_load_dword v28, v[22:23]
.LBB834_53:
	s_or_b64 exec, exec, s[4:5]
	s_waitcnt vmcnt(0) lgkmcnt(0)
	ds_write2st64_b32 v24, v32, v33 offset1:4
	ds_write2st64_b32 v24, v34, v36 offset0:8 offset1:12
	ds_write2st64_b32 v24, v37, v2 offset0:16 offset1:20
	ds_write2st64_b32 v24, v3, v4 offset0:24 offset1:28
	ds_write2st64_b32 v24, v5, v6 offset0:32 offset1:36
	ds_write2st64_b32 v24, v7, v25 offset0:40 offset1:44
	ds_write2st64_b32 v24, v26, v27 offset0:48 offset1:52
	ds_write_b32 v24, v28 offset:14336
	v_mov_b32_e32 v26, v20
	v_mov_b32_e32 v27, v18
	;; [unrolled: 1-line block ×7, first 2 shown]
	s_waitcnt lgkmcnt(0)
	s_barrier
.LBB834_54:
	ds_read2_b32 v[48:49], v30 offset1:1
	ds_read2_b32 v[42:43], v30 offset0:2 offset1:3
	ds_read2_b32 v[36:37], v30 offset0:4 offset1:5
	;; [unrolled: 1-line block ×6, first 2 shown]
	ds_read_b32 v82, v30 offset:56
	s_cmp_eq_u64 s[40:41], 0
	s_cselect_b64 s[38:39], -1, 0
	s_cmp_lg_u64 s[40:41], 0
	s_mov_b64 s[34:35], 0
	s_cselect_b64 s[6:7], -1, 0
	s_and_b64 vcc, exec, s[48:49]
	s_waitcnt lgkmcnt(0)
	s_barrier
	s_cbranch_vccz .LBB834_60
; %bb.55:
	s_and_b64 vcc, exec, s[6:7]
	s_cbranch_vccz .LBB834_75
; %bb.56:
	v_add_co_u32_e32 v38, vcc, -4, v31
	v_addc_co_u32_e32 v39, vcc, -1, v35, vcc
	flat_load_dword v7, v[38:39]
	v_lshlrev_b32_e32 v30, 2, v0
	ds_write_b32 v30, v1
	s_waitcnt lgkmcnt(0)
	s_barrier
	s_and_saveexec_b64 s[4:5], s[2:3]
	s_cbranch_execz .LBB834_58
; %bb.57:
	s_waitcnt vmcnt(0)
	v_add_u32_e32 v7, -4, v30
	ds_read_b32 v7, v7
.LBB834_58:
	s_or_b64 exec, exec, s[4:5]
	v_cmp_ne_u32_e32 vcc, v26, v21
	v_cndmask_b32_e64 v79, 0, 1, vcc
	v_cmp_ne_u32_e32 vcc, v27, v21
	v_cndmask_b32_e64 v78, 0, 1, vcc
	v_cmp_ne_u32_e32 vcc, v27, v19
	v_cndmask_b32_e64 v77, 0, 1, vcc
	v_cmp_ne_u32_e32 vcc, v4, v19
	v_cndmask_b32_e64 v76, 0, 1, vcc
	v_cmp_ne_u32_e32 vcc, v4, v17
	v_cndmask_b32_e64 v75, 0, 1, vcc
	v_cmp_ne_u32_e32 vcc, v5, v17
	v_cndmask_b32_e64 v74, 0, 1, vcc
	v_cmp_ne_u32_e32 vcc, v5, v15
	v_cndmask_b32_e64 v73, 0, 1, vcc
	v_cmp_ne_u32_e32 vcc, v2, v15
	v_cndmask_b32_e64 v72, 0, 1, vcc
	v_cmp_ne_u32_e32 vcc, v2, v13
	v_cndmask_b32_e64 v71, 0, 1, vcc
	v_cmp_ne_u32_e32 vcc, v3, v13
	v_cndmask_b32_e64 v70, 0, 1, vcc
	v_cmp_ne_u32_e32 vcc, v3, v11
	v_cndmask_b32_e64 v69, 0, 1, vcc
	v_cmp_ne_u32_e32 vcc, v6, v11
	v_cndmask_b32_e64 v68, 0, 1, vcc
	v_cmp_ne_u32_e32 vcc, v6, v9
	v_cndmask_b32_e64 v67, 0, 1, vcc
	v_cmp_ne_u32_e32 vcc, v1, v9
	v_cndmask_b32_e64 v66, 0, 1, vcc
	s_waitcnt vmcnt(0) lgkmcnt(0)
	v_cmp_ne_u32_e64 s[4:5], v7, v20
	s_mov_b64 s[34:35], -1
.LBB834_59:
                                        ; implicit-def: $sgpr10
	s_branch .LBB834_87
.LBB834_60:
                                        ; implicit-def: $sgpr4_sgpr5
                                        ; implicit-def: $vgpr66
                                        ; implicit-def: $vgpr67
                                        ; implicit-def: $vgpr68
                                        ; implicit-def: $vgpr69
                                        ; implicit-def: $vgpr70
                                        ; implicit-def: $vgpr71
                                        ; implicit-def: $vgpr72
                                        ; implicit-def: $vgpr73
                                        ; implicit-def: $vgpr74
                                        ; implicit-def: $vgpr75
                                        ; implicit-def: $vgpr76
                                        ; implicit-def: $vgpr77
                                        ; implicit-def: $vgpr78
                                        ; implicit-def: $vgpr79
                                        ; implicit-def: $sgpr10
	s_cbranch_execnz .LBB834_79
	s_branch .LBB834_87
.LBB834_61:
	v_add_co_u32_e32 v32, vcc, v22, v24
	v_addc_co_u32_e32 v33, vcc, 0, v23, vcc
	flat_load_dword v32, v[32:33]
	s_or_b64 exec, exec, s[34:35]
                                        ; implicit-def: $vgpr33
	s_and_saveexec_b64 s[34:35], s[4:5]
	s_cbranch_execz .LBB834_39
.LBB834_62:
	v_add_co_u32_e32 v36, vcc, v22, v24
	v_addc_co_u32_e32 v37, vcc, 0, v23, vcc
	flat_load_dword v33, v[36:37] offset:1024
	s_or_b64 exec, exec, s[34:35]
                                        ; implicit-def: $vgpr34
	s_and_saveexec_b64 s[4:5], s[6:7]
	s_cbranch_execz .LBB834_40
.LBB834_63:
	v_add_co_u32_e32 v36, vcc, v22, v24
	v_addc_co_u32_e32 v37, vcc, 0, v23, vcc
	flat_load_dword v34, v[36:37] offset:2048
	s_or_b64 exec, exec, s[4:5]
                                        ; implicit-def: $vgpr36
	s_and_saveexec_b64 s[4:5], s[8:9]
	s_cbranch_execz .LBB834_41
.LBB834_64:
	v_add_co_u32_e32 v36, vcc, v22, v24
	v_addc_co_u32_e32 v37, vcc, 0, v23, vcc
	flat_load_dword v36, v[36:37] offset:3072
	s_or_b64 exec, exec, s[4:5]
                                        ; implicit-def: $vgpr37
	s_and_saveexec_b64 s[4:5], s[10:11]
	s_cbranch_execz .LBB834_42
.LBB834_65:
	v_add_co_u32_e32 v38, vcc, v22, v2
	v_addc_co_u32_e32 v39, vcc, 0, v23, vcc
	flat_load_dword v37, v[38:39]
	s_or_b64 exec, exec, s[4:5]
                                        ; implicit-def: $vgpr2
	s_and_saveexec_b64 s[4:5], s[12:13]
	s_cbranch_execz .LBB834_43
.LBB834_66:
	v_add_co_u32_e32 v2, vcc, v22, v3
	v_addc_co_u32_e32 v3, vcc, 0, v23, vcc
	flat_load_dword v2, v[2:3]
	s_or_b64 exec, exec, s[4:5]
                                        ; implicit-def: $vgpr3
	s_and_saveexec_b64 s[4:5], s[14:15]
	s_cbranch_execz .LBB834_44
.LBB834_67:
	v_add_co_u32_e32 v38, vcc, v22, v4
	v_addc_co_u32_e32 v39, vcc, 0, v23, vcc
	flat_load_dword v3, v[38:39]
	s_or_b64 exec, exec, s[4:5]
                                        ; implicit-def: $vgpr4
	s_and_saveexec_b64 s[4:5], s[16:17]
	s_cbranch_execz .LBB834_45
.LBB834_68:
	v_add_co_u32_e32 v4, vcc, v22, v5
	v_addc_co_u32_e32 v5, vcc, 0, v23, vcc
	flat_load_dword v4, v[4:5]
	s_or_b64 exec, exec, s[4:5]
                                        ; implicit-def: $vgpr5
	s_and_saveexec_b64 s[4:5], s[18:19]
	s_cbranch_execz .LBB834_46
.LBB834_69:
	v_add_co_u32_e32 v38, vcc, v22, v6
	v_addc_co_u32_e32 v39, vcc, 0, v23, vcc
	flat_load_dword v5, v[38:39]
	s_or_b64 exec, exec, s[4:5]
                                        ; implicit-def: $vgpr6
	s_and_saveexec_b64 s[4:5], s[20:21]
	s_cbranch_execz .LBB834_47
.LBB834_70:
	v_add_co_u32_e32 v6, vcc, v22, v7
	v_addc_co_u32_e32 v7, vcc, 0, v23, vcc
	flat_load_dword v6, v[6:7]
	s_or_b64 exec, exec, s[4:5]
                                        ; implicit-def: $vgpr7
	s_and_saveexec_b64 s[4:5], s[22:23]
	s_cbranch_execz .LBB834_48
.LBB834_71:
	v_add_co_u32_e32 v38, vcc, v22, v25
	v_addc_co_u32_e32 v39, vcc, 0, v23, vcc
	flat_load_dword v7, v[38:39]
	s_or_b64 exec, exec, s[4:5]
                                        ; implicit-def: $vgpr25
	s_and_saveexec_b64 s[4:5], s[24:25]
	s_cbranch_execz .LBB834_49
.LBB834_72:
	v_add_co_u32_e32 v38, vcc, v22, v26
	v_addc_co_u32_e32 v39, vcc, 0, v23, vcc
	flat_load_dword v25, v[38:39]
	s_or_b64 exec, exec, s[4:5]
                                        ; implicit-def: $vgpr26
	s_and_saveexec_b64 s[4:5], s[26:27]
	s_cbranch_execz .LBB834_50
.LBB834_73:
	v_add_co_u32_e32 v26, vcc, v22, v27
	v_addc_co_u32_e32 v27, vcc, 0, v23, vcc
	flat_load_dword v26, v[26:27]
	s_or_b64 exec, exec, s[4:5]
                                        ; implicit-def: $vgpr27
	s_and_saveexec_b64 s[4:5], s[28:29]
	s_cbranch_execz .LBB834_51
.LBB834_74:
	v_add_co_u32_e32 v38, vcc, v22, v28
	v_addc_co_u32_e32 v39, vcc, 0, v23, vcc
	flat_load_dword v27, v[38:39]
	s_or_b64 exec, exec, s[4:5]
                                        ; implicit-def: $vgpr28
	s_and_saveexec_b64 s[4:5], s[30:31]
	s_cbranch_execnz .LBB834_52
	s_branch .LBB834_53
.LBB834_75:
                                        ; implicit-def: $sgpr4_sgpr5
                                        ; implicit-def: $vgpr66
                                        ; implicit-def: $vgpr67
                                        ; implicit-def: $vgpr68
                                        ; implicit-def: $vgpr69
                                        ; implicit-def: $vgpr70
                                        ; implicit-def: $vgpr71
                                        ; implicit-def: $vgpr72
                                        ; implicit-def: $vgpr73
                                        ; implicit-def: $vgpr74
                                        ; implicit-def: $vgpr75
                                        ; implicit-def: $vgpr76
                                        ; implicit-def: $vgpr77
                                        ; implicit-def: $vgpr78
                                        ; implicit-def: $vgpr79
	s_cbranch_execz .LBB834_59
; %bb.76:
	v_cmp_ne_u32_e32 vcc, v21, v26
	v_cndmask_b32_e64 v79, 0, 1, vcc
	v_cmp_ne_u32_e32 vcc, v21, v27
	v_cndmask_b32_e64 v78, 0, 1, vcc
	;; [unrolled: 2-line block ×13, first 2 shown]
	v_cmp_ne_u32_e32 vcc, v9, v1
	v_lshlrev_b32_e32 v7, 2, v0
	v_cndmask_b32_e64 v66, 0, 1, vcc
	ds_write_b32 v7, v1
	s_waitcnt lgkmcnt(0)
	s_barrier
	s_waitcnt lgkmcnt(0)
                                        ; implicit-def: $sgpr4_sgpr5
	s_and_saveexec_b64 s[8:9], s[2:3]
	s_xor_b64 s[8:9], exec, s[8:9]
	s_cbranch_execz .LBB834_78
; %bb.77:
	v_add_u32_e32 v2, -4, v7
	ds_read_b32 v2, v2
	s_or_b64 s[34:35], s[34:35], exec
	s_waitcnt lgkmcnt(0)
	v_cmp_ne_u32_e32 vcc, v2, v20
	s_and_b64 s[4:5], vcc, exec
.LBB834_78:
	s_or_b64 exec, exec, s[8:9]
	s_mov_b32 s10, 1
	s_branch .LBB834_87
.LBB834_79:
	s_mul_hi_u32 s5, s40, 0xfffff100
	s_mul_i32 s4, s41, 0xfffff100
	s_sub_i32 s5, s5, s40
	s_add_i32 s5, s5, s4
	s_mul_i32 s4, s40, 0xfffff100
	s_add_u32 s40, s4, s56
	s_addc_u32 s41, s5, s57
	s_and_b64 vcc, exec, s[6:7]
	v_cmp_ne_u32_e64 s[30:31], v9, v1
	v_cmp_ne_u32_e64 s[28:29], v8, v9
	;; [unrolled: 1-line block ×14, first 2 shown]
	v_mad_u32_u24 v2, v0, 15, 14
	v_mad_u32_u24 v56, v0, 15, 13
	v_mad_u32_u24 v54, v0, 15, 12
	v_mad_u32_u24 v52, v0, 15, 11
	v_mad_u32_u24 v50, v0, 15, 10
	v_mad_u32_u24 v46, v0, 15, 9
	v_mad_u32_u24 v44, v0, 15, 8
	v_mad_u32_u24 v40, v0, 15, 7
	v_mad_u32_u24 v38, v0, 15, 6
	v_mad_u32_u24 v34, v0, 15, 5
	v_mad_u32_u24 v30, v0, 15, 4
	v_mad_u32_u24 v26, v0, 15, 3
	v_mad_u32_u24 v6, v0, 15, 2
	v_mad_u32_u24 v4, v0, 15, 1
	s_cbranch_vccz .LBB834_84
; %bb.80:
	v_add_co_u32_e32 v58, vcc, -4, v31
	v_addc_co_u32_e32 v59, vcc, -1, v35, vcc
	flat_load_dword v60, v[58:59]
	v_mov_b32_e32 v3, 0
	v_cmp_gt_u64_e32 vcc, s[40:41], v[2:3]
	v_mov_b32_e32 v57, v3
	s_and_b64 s[30:31], vcc, s[30:31]
	v_cmp_gt_u64_e32 vcc, s[40:41], v[56:57]
	v_mov_b32_e32 v55, v3
	s_and_b64 s[28:29], vcc, s[28:29]
	;; [unrolled: 3-line block ×13, first 2 shown]
	v_cmp_gt_u64_e32 vcc, s[40:41], v[4:5]
	v_lshlrev_b32_e32 v59, 2, v0
	v_mul_u32_u24_e32 v58, 15, v0
	s_and_b64 s[4:5], vcc, s[4:5]
	ds_write_b32 v59, v1
	s_waitcnt lgkmcnt(0)
	s_barrier
	s_and_saveexec_b64 s[34:35], s[2:3]
	s_cbranch_execz .LBB834_82
; %bb.81:
	v_add_u32_e32 v5, -4, v59
	s_waitcnt vmcnt(0)
	ds_read_b32 v60, v5
.LBB834_82:
	s_or_b64 exec, exec, s[34:35]
	v_mov_b32_e32 v59, v3
	v_cndmask_b32_e64 v79, 0, 1, s[4:5]
	v_cmp_gt_u64_e32 vcc, s[40:41], v[58:59]
	s_waitcnt vmcnt(0) lgkmcnt(0)
	v_cmp_ne_u32_e64 s[4:5], v60, v20
	v_cndmask_b32_e64 v66, 0, 1, s[30:31]
	v_cndmask_b32_e64 v67, 0, 1, s[28:29]
	;; [unrolled: 1-line block ×13, first 2 shown]
	s_and_b64 s[4:5], vcc, s[4:5]
	s_mov_b64 s[34:35], -1
.LBB834_83:
                                        ; implicit-def: $sgpr10
	v_mov_b32_e32 v81, s10
	s_and_saveexec_b64 s[2:3], s[34:35]
	s_cbranch_execnz .LBB834_88
	s_branch .LBB834_89
.LBB834_84:
                                        ; implicit-def: $sgpr4_sgpr5
                                        ; implicit-def: $vgpr66
                                        ; implicit-def: $vgpr67
                                        ; implicit-def: $vgpr68
                                        ; implicit-def: $vgpr69
                                        ; implicit-def: $vgpr70
                                        ; implicit-def: $vgpr71
                                        ; implicit-def: $vgpr72
                                        ; implicit-def: $vgpr73
                                        ; implicit-def: $vgpr74
                                        ; implicit-def: $vgpr75
                                        ; implicit-def: $vgpr76
                                        ; implicit-def: $vgpr77
                                        ; implicit-def: $vgpr78
                                        ; implicit-def: $vgpr79
	s_cbranch_execz .LBB834_83
; %bb.85:
	v_mov_b32_e32 v3, 0
	v_cmp_gt_u64_e32 vcc, s[40:41], v[2:3]
	v_cmp_ne_u32_e64 s[4:5], v9, v1
	s_and_b64 s[4:5], vcc, s[4:5]
	v_mov_b32_e32 v57, v3
	v_cndmask_b32_e64 v66, 0, 1, s[4:5]
	v_cmp_gt_u64_e32 vcc, s[40:41], v[56:57]
	v_cmp_ne_u32_e64 s[4:5], v8, v9
	s_and_b64 s[4:5], vcc, s[4:5]
	v_mov_b32_e32 v55, v3
	v_cndmask_b32_e64 v67, 0, 1, s[4:5]
	v_cmp_gt_u64_e32 vcc, s[40:41], v[54:55]
	v_cmp_ne_u32_e64 s[4:5], v11, v8
	s_and_b64 s[4:5], vcc, s[4:5]
	v_mov_b32_e32 v53, v3
	v_cndmask_b32_e64 v68, 0, 1, s[4:5]
	v_cmp_gt_u64_e32 vcc, s[40:41], v[52:53]
	v_cmp_ne_u32_e64 s[4:5], v10, v11
	s_and_b64 s[4:5], vcc, s[4:5]
	v_mov_b32_e32 v51, v3
	v_cndmask_b32_e64 v69, 0, 1, s[4:5]
	v_cmp_gt_u64_e32 vcc, s[40:41], v[50:51]
	v_cmp_ne_u32_e64 s[4:5], v13, v10
	s_and_b64 s[4:5], vcc, s[4:5]
	v_mov_b32_e32 v47, v3
	v_cndmask_b32_e64 v70, 0, 1, s[4:5]
	v_cmp_gt_u64_e32 vcc, s[40:41], v[46:47]
	v_cmp_ne_u32_e64 s[4:5], v12, v13
	s_and_b64 s[4:5], vcc, s[4:5]
	v_mov_b32_e32 v45, v3
	v_cndmask_b32_e64 v71, 0, 1, s[4:5]
	v_cmp_gt_u64_e32 vcc, s[40:41], v[44:45]
	v_cmp_ne_u32_e64 s[4:5], v15, v12
	s_and_b64 s[4:5], vcc, s[4:5]
	v_mov_b32_e32 v41, v3
	v_cndmask_b32_e64 v72, 0, 1, s[4:5]
	v_cmp_gt_u64_e32 vcc, s[40:41], v[40:41]
	v_cmp_ne_u32_e64 s[4:5], v14, v15
	s_and_b64 s[4:5], vcc, s[4:5]
	v_mov_b32_e32 v39, v3
	v_cndmask_b32_e64 v73, 0, 1, s[4:5]
	v_cmp_gt_u64_e32 vcc, s[40:41], v[38:39]
	v_cmp_ne_u32_e64 s[4:5], v17, v14
	s_and_b64 s[4:5], vcc, s[4:5]
	v_mov_b32_e32 v35, v3
	v_cndmask_b32_e64 v74, 0, 1, s[4:5]
	v_cmp_gt_u64_e32 vcc, s[40:41], v[34:35]
	v_cmp_ne_u32_e64 s[4:5], v16, v17
	s_and_b64 s[4:5], vcc, s[4:5]
	v_mov_b32_e32 v31, v3
	v_cndmask_b32_e64 v75, 0, 1, s[4:5]
	v_cmp_gt_u64_e32 vcc, s[40:41], v[30:31]
	v_cmp_ne_u32_e64 s[4:5], v19, v16
	s_and_b64 s[4:5], vcc, s[4:5]
	v_mov_b32_e32 v27, v3
	v_cndmask_b32_e64 v76, 0, 1, s[4:5]
	v_cmp_gt_u64_e32 vcc, s[40:41], v[26:27]
	v_cmp_ne_u32_e64 s[4:5], v18, v19
	s_and_b64 s[4:5], vcc, s[4:5]
	v_mov_b32_e32 v7, v3
	v_cndmask_b32_e64 v77, 0, 1, s[4:5]
	v_cmp_gt_u64_e32 vcc, s[40:41], v[6:7]
	v_cmp_ne_u32_e64 s[4:5], v21, v18
	s_and_b64 s[4:5], vcc, s[4:5]
	v_mov_b32_e32 v5, v3
	v_cndmask_b32_e64 v78, 0, 1, s[4:5]
	v_cmp_gt_u64_e32 vcc, s[40:41], v[4:5]
	v_cmp_ne_u32_e64 s[4:5], v20, v21
	s_and_b64 s[4:5], vcc, s[4:5]
	v_lshlrev_b32_e32 v58, 2, v0
	s_mov_b32 s10, 1
	v_cndmask_b32_e64 v79, 0, 1, s[4:5]
	ds_write_b32 v58, v1
	s_waitcnt lgkmcnt(0)
	s_barrier
	s_waitcnt lgkmcnt(0)
                                        ; implicit-def: $sgpr4_sgpr5
	s_and_saveexec_b64 s[6:7], s[2:3]
	s_cbranch_execz .LBB834_192
; %bb.86:
	v_add_u32_e32 v2, -4, v58
	ds_read_b32 v4, v2
	v_mul_u32_u24_e32 v2, 15, v0
	v_cmp_gt_u64_e32 vcc, s[40:41], v[2:3]
	s_or_b64 s[34:35], s[34:35], exec
	s_waitcnt lgkmcnt(0)
	v_cmp_ne_u32_e64 s[2:3], v4, v20
	s_and_b64 s[2:3], vcc, s[2:3]
	s_and_b64 s[4:5], s[2:3], exec
	s_or_b64 exec, exec, s[6:7]
.LBB834_87:
	v_mov_b32_e32 v81, s10
	s_and_saveexec_b64 s[2:3], s[34:35]
.LBB834_88:
	v_cndmask_b32_e64 v81, 0, 1, s[4:5]
.LBB834_89:
	s_or_b64 exec, exec, s[2:3]
	s_cmp_eq_u64 s[46:47], 0
	v_add3_u32 v2, v79, v81, v78
	s_cselect_b64 s[34:35], -1, 0
	s_cmp_lg_u32 s62, 0
	v_cmp_eq_u32_e64 s[26:27], 0, v79
	v_cmp_eq_u32_e64 s[24:25], 0, v78
	;; [unrolled: 1-line block ×3, first 2 shown]
	v_add3_u32 v86, v2, v77, v76
	v_cmp_eq_u32_e64 s[20:21], 0, v76
	v_cmp_eq_u32_e64 s[18:19], 0, v75
	;; [unrolled: 1-line block ×10, first 2 shown]
	v_cmp_eq_u32_e32 vcc, 0, v66
	v_mbcnt_lo_u32_b32 v85, -1, 0
	v_lshrrev_b32_e32 v83, 6, v0
	v_or_b32_e32 v84, 63, v0
	s_cbranch_scc0 .LBB834_116
; %bb.90:
	v_cndmask_b32_e64 v2, 0, v48, s[26:27]
	v_add_u32_e32 v2, v2, v49
	v_cndmask_b32_e64 v2, 0, v2, s[24:25]
	v_add_u32_e32 v2, v2, v42
	;; [unrolled: 2-line block ×11, first 2 shown]
	v_cndmask_b32_e64 v2, 0, v2, s[4:5]
	v_add3_u32 v3, v86, v75, v74
	v_add_u32_e32 v2, v2, v22
	v_add3_u32 v3, v3, v73, v72
	v_cndmask_b32_e64 v2, 0, v2, s[2:3]
	v_add3_u32 v3, v3, v71, v70
	v_add_u32_e32 v2, v2, v23
	v_add3_u32 v3, v3, v69, v68
	v_cndmask_b32_e32 v2, 0, v2, vcc
	v_add3_u32 v3, v3, v67, v66
	v_add_u32_e32 v2, v2, v82
	v_mbcnt_hi_u32_b32 v31, -1, v85
	v_and_b32_e32 v4, 15, v31
	v_mov_b32_dpp v6, v2 row_shr:1 row_mask:0xf bank_mask:0xf
	v_cmp_eq_u32_e32 vcc, 0, v3
	v_mov_b32_dpp v5, v3 row_shr:1 row_mask:0xf bank_mask:0xf
	v_cndmask_b32_e32 v6, 0, v6, vcc
	v_cmp_eq_u32_e32 vcc, 0, v4
	v_cndmask_b32_e64 v5, v5, 0, vcc
	v_add_u32_e32 v3, v5, v3
	v_cndmask_b32_e64 v5, v6, 0, vcc
	v_add_u32_e32 v2, v5, v2
	v_cmp_eq_u32_e32 vcc, 0, v3
	v_mov_b32_dpp v5, v3 row_shr:2 row_mask:0xf bank_mask:0xf
	v_cmp_lt_u32_e64 s[28:29], 1, v4
	v_mov_b32_dpp v6, v2 row_shr:2 row_mask:0xf bank_mask:0xf
	v_cndmask_b32_e64 v5, 0, v5, s[28:29]
	s_and_b64 vcc, s[28:29], vcc
	v_cndmask_b32_e32 v6, 0, v6, vcc
	v_add_u32_e32 v3, v3, v5
	v_add_u32_e32 v2, v6, v2
	v_cmp_eq_u32_e32 vcc, 0, v3
	v_mov_b32_dpp v5, v3 row_shr:4 row_mask:0xf bank_mask:0xf
	v_cmp_lt_u32_e64 s[28:29], 3, v4
	v_mov_b32_dpp v6, v2 row_shr:4 row_mask:0xf bank_mask:0xf
	v_cndmask_b32_e64 v5, 0, v5, s[28:29]
	s_and_b64 vcc, s[28:29], vcc
	v_cndmask_b32_e32 v6, 0, v6, vcc
	v_add_u32_e32 v3, v5, v3
	v_add_u32_e32 v2, v2, v6
	v_cmp_eq_u32_e32 vcc, 0, v3
	v_cmp_lt_u32_e64 s[28:29], 7, v4
	v_mov_b32_dpp v5, v3 row_shr:8 row_mask:0xf bank_mask:0xf
	v_mov_b32_dpp v6, v2 row_shr:8 row_mask:0xf bank_mask:0xf
	s_and_b64 vcc, s[28:29], vcc
	v_cndmask_b32_e64 v4, 0, v5, s[28:29]
	v_cndmask_b32_e32 v5, 0, v6, vcc
	v_add_u32_e32 v2, v5, v2
	v_add_u32_e32 v3, v4, v3
	v_bfe_i32 v6, v31, 4, 1
	v_mov_b32_dpp v5, v2 row_bcast:15 row_mask:0xf bank_mask:0xf
	v_mov_b32_dpp v4, v3 row_bcast:15 row_mask:0xf bank_mask:0xf
	v_cmp_eq_u32_e32 vcc, 0, v3
	v_cndmask_b32_e32 v5, 0, v5, vcc
	v_and_b32_e32 v4, v6, v4
	v_add_u32_e32 v3, v4, v3
	v_and_b32_e32 v4, v6, v5
	v_add_u32_e32 v4, v4, v2
	v_mov_b32_dpp v2, v3 row_bcast:31 row_mask:0xf bank_mask:0xf
	v_cmp_eq_u32_e32 vcc, 0, v3
	v_cmp_lt_u32_e64 s[28:29], 31, v31
	v_mov_b32_dpp v5, v4 row_bcast:31 row_mask:0xf bank_mask:0xf
	v_cndmask_b32_e64 v2, 0, v2, s[28:29]
	s_and_b64 vcc, s[28:29], vcc
	v_add_u32_e32 v2, v2, v3
	v_cndmask_b32_e32 v3, 0, v5, vcc
	v_add_u32_e32 v3, v3, v4
	v_cmp_eq_u32_e32 vcc, v84, v0
	v_lshlrev_b32_e32 v4, 3, v83
	s_and_saveexec_b64 s[28:29], vcc
	s_cbranch_execz .LBB834_92
; %bb.91:
	ds_write_b64 v4, v[2:3] offset:2064
.LBB834_92:
	s_or_b64 exec, exec, s[28:29]
	v_cmp_gt_u32_e32 vcc, 4, v0
	s_waitcnt lgkmcnt(0)
	s_barrier
	s_and_saveexec_b64 s[30:31], vcc
	s_cbranch_execz .LBB834_94
; %bb.93:
	v_lshlrev_b32_e32 v5, 3, v0
	ds_read_b64 v[6:7], v5 offset:2064
	v_and_b32_e32 v26, 3, v31
	v_cmp_lt_u32_e64 s[28:29], 1, v26
	s_waitcnt lgkmcnt(0)
	v_mov_b32_dpp v30, v7 row_shr:1 row_mask:0xf bank_mask:0xf
	v_cmp_eq_u32_e32 vcc, 0, v6
	v_mov_b32_dpp v27, v6 row_shr:1 row_mask:0xf bank_mask:0xf
	v_cndmask_b32_e32 v30, 0, v30, vcc
	v_cmp_eq_u32_e32 vcc, 0, v26
	v_cndmask_b32_e64 v27, v27, 0, vcc
	v_add_u32_e32 v6, v27, v6
	v_cndmask_b32_e64 v27, v30, 0, vcc
	v_add_u32_e32 v7, v27, v7
	v_cmp_eq_u32_e32 vcc, 0, v6
	v_mov_b32_dpp v27, v6 row_shr:2 row_mask:0xf bank_mask:0xf
	v_mov_b32_dpp v30, v7 row_shr:2 row_mask:0xf bank_mask:0xf
	v_cndmask_b32_e64 v26, 0, v27, s[28:29]
	s_and_b64 vcc, s[28:29], vcc
	v_add_u32_e32 v6, v26, v6
	v_cndmask_b32_e32 v26, 0, v30, vcc
	v_add_u32_e32 v7, v26, v7
	ds_write_b64 v5, v[6:7] offset:2064
.LBB834_94:
	s_or_b64 exec, exec, s[30:31]
	v_cmp_gt_u32_e32 vcc, 64, v0
	v_cmp_lt_u32_e64 s[28:29], 63, v0
	v_mov_b32_e32 v26, 0
	v_mov_b32_e32 v27, 0
	s_waitcnt lgkmcnt(0)
	s_barrier
	s_and_saveexec_b64 s[30:31], s[28:29]
	s_cbranch_execz .LBB834_96
; %bb.95:
	ds_read_b64 v[26:27], v4 offset:2056
	v_cmp_eq_u32_e64 s[28:29], 0, v2
	s_waitcnt lgkmcnt(0)
	v_add_u32_e32 v4, v26, v2
	v_cndmask_b32_e64 v2, 0, v27, s[28:29]
	v_add_u32_e32 v3, v2, v3
	v_mov_b32_e32 v2, v4
.LBB834_96:
	s_or_b64 exec, exec, s[30:31]
	v_add_u32_e32 v4, -1, v31
	v_and_b32_e32 v5, 64, v31
	v_cmp_lt_i32_e64 s[28:29], v4, v5
	v_cndmask_b32_e64 v4, v4, v31, s[28:29]
	v_lshlrev_b32_e32 v4, 2, v4
	ds_bpermute_b32 v40, v4, v2
	ds_bpermute_b32 v41, v4, v3
	v_cmp_eq_u32_e64 s[28:29], 0, v31
	s_and_saveexec_b64 s[40:41], vcc
	s_cbranch_execz .LBB834_115
; %bb.97:
	v_mov_b32_e32 v7, 0
	ds_read_b64 v[2:3], v7 offset:2088
	s_waitcnt lgkmcnt(0)
	v_readfirstlane_b32 s48, v2
	v_readfirstlane_b32 s49, v3
	s_and_saveexec_b64 s[30:31], s[28:29]
	s_cbranch_execz .LBB834_99
; %bb.98:
	s_add_i32 s46, s62, 64
	s_mov_b32 s47, 0
	s_lshl_b64 s[50:51], s[46:47], 4
	s_add_u32 s50, s44, s50
	s_addc_u32 s51, s45, s51
	s_and_b32 s57, s49, 0xff000000
	s_mov_b32 s56, s47
	s_and_b32 s65, s49, 0xff0000
	s_mov_b32 s64, s47
	s_or_b64 s[56:57], s[64:65], s[56:57]
	s_and_b32 s65, s49, 0xff00
	s_or_b64 s[56:57], s[56:57], s[64:65]
	s_and_b32 s65, s49, 0xff
	s_or_b64 s[46:47], s[56:57], s[64:65]
	v_mov_b32_e32 v4, s48
	v_mov_b32_e32 v5, s47
	v_mov_b32_e32 v6, 1
	v_pk_mov_b32 v[2:3], s[50:51], s[50:51] op_sel:[0,1]
	;;#ASMSTART
	global_store_dwordx4 v[2:3], v[4:7] off	
s_waitcnt vmcnt(0)
	;;#ASMEND
.LBB834_99:
	s_or_b64 exec, exec, s[30:31]
	v_xad_u32 v30, v31, -1, s62
	v_add_u32_e32 v6, 64, v30
	v_lshlrev_b64 v[2:3], 4, v[6:7]
	v_mov_b32_e32 v4, s45
	v_add_co_u32_e32 v34, vcc, s44, v2
	v_addc_co_u32_e32 v35, vcc, v4, v3, vcc
	;;#ASMSTART
	global_load_dwordx4 v[2:5], v[34:35] off glc	
s_waitcnt vmcnt(0)
	;;#ASMEND
	v_and_b32_e32 v5, 0xff, v3
	v_and_b32_e32 v6, 0xff00, v3
	;; [unrolled: 1-line block ×3, first 2 shown]
	v_or3_b32 v5, 0, v5, v6
	v_or3_b32 v2, v2, 0, 0
	v_and_b32_e32 v3, 0xff000000, v3
	v_or3_b32 v3, v5, v38, v3
	v_or3_b32 v2, v2, 0, 0
	v_cmp_eq_u16_sdwa s[46:47], v4, v7 src0_sel:BYTE_0 src1_sel:DWORD
	s_and_saveexec_b64 s[30:31], s[46:47]
	s_cbranch_execz .LBB834_103
; %bb.100:
	s_mov_b64 s[46:47], 0
	v_mov_b32_e32 v6, 0
.LBB834_101:                            ; =>This Inner Loop Header: Depth=1
	;;#ASMSTART
	global_load_dwordx4 v[2:5], v[34:35] off glc	
s_waitcnt vmcnt(0)
	;;#ASMEND
	v_cmp_ne_u16_sdwa s[50:51], v4, v6 src0_sel:BYTE_0 src1_sel:DWORD
	s_or_b64 s[46:47], s[50:51], s[46:47]
	s_andn2_b64 exec, exec, s[46:47]
	s_cbranch_execnz .LBB834_101
; %bb.102:
	s_or_b64 exec, exec, s[46:47]
.LBB834_103:
	s_or_b64 exec, exec, s[30:31]
	v_mov_b32_e32 v44, 2
	v_cmp_eq_u16_sdwa s[30:31], v4, v44 src0_sel:BYTE_0 src1_sel:DWORD
	v_lshlrev_b64 v[34:35], v31, -1
	v_and_b32_e32 v5, s31, v35
	v_and_b32_e32 v45, 63, v31
	v_or_b32_e32 v5, 0x80000000, v5
	v_cmp_ne_u32_e32 vcc, 63, v45
	v_and_b32_e32 v6, s30, v34
	v_ffbl_b32_e32 v5, v5
	v_addc_co_u32_e32 v7, vcc, 0, v31, vcc
	v_add_u32_e32 v5, 32, v5
	v_ffbl_b32_e32 v6, v6
	v_lshlrev_b32_e32 v46, 2, v7
	v_min_u32_e32 v5, v6, v5
	ds_bpermute_b32 v6, v46, v3
	v_cmp_eq_u32_e32 vcc, 0, v2
	v_cmp_lt_u32_e64 s[30:31], v45, v5
	ds_bpermute_b32 v7, v46, v2
	s_and_b64 vcc, s[30:31], vcc
	s_waitcnt lgkmcnt(1)
	v_cndmask_b32_e32 v6, 0, v6, vcc
	v_cmp_gt_u32_e32 vcc, 62, v45
	v_add_u32_e32 v3, v6, v3
	v_cndmask_b32_e64 v6, 0, 1, vcc
	v_lshlrev_b32_e32 v6, 1, v6
	v_add_lshl_u32 v47, v6, v31, 2
	s_waitcnt lgkmcnt(0)
	v_cndmask_b32_e64 v7, 0, v7, s[30:31]
	ds_bpermute_b32 v6, v47, v3
	v_add_u32_e32 v2, v7, v2
	ds_bpermute_b32 v7, v47, v2
	v_add_u32_e32 v50, 2, v45
	v_cmp_eq_u32_e32 vcc, 0, v2
	s_waitcnt lgkmcnt(1)
	v_cndmask_b32_e32 v6, 0, v6, vcc
	v_cmp_gt_u32_e32 vcc, v50, v5
	v_cndmask_b32_e64 v6, v6, 0, vcc
	v_add_u32_e32 v3, v6, v3
	s_waitcnt lgkmcnt(0)
	v_cndmask_b32_e64 v6, v7, 0, vcc
	v_cmp_gt_u32_e32 vcc, 60, v45
	v_cndmask_b32_e64 v7, 0, 1, vcc
	v_lshlrev_b32_e32 v7, 2, v7
	v_add_lshl_u32 v51, v7, v31, 2
	ds_bpermute_b32 v7, v51, v3
	v_add_u32_e32 v2, v2, v6
	ds_bpermute_b32 v6, v51, v2
	v_add_u32_e32 v52, 4, v45
	v_cmp_eq_u32_e32 vcc, 0, v2
	s_waitcnt lgkmcnt(1)
	v_cndmask_b32_e32 v7, 0, v7, vcc
	v_cmp_gt_u32_e32 vcc, v52, v5
	v_cndmask_b32_e64 v7, v7, 0, vcc
	s_waitcnt lgkmcnt(0)
	v_cndmask_b32_e64 v6, v6, 0, vcc
	v_cmp_gt_u32_e32 vcc, 56, v45
	v_add_u32_e32 v3, v3, v7
	v_cndmask_b32_e64 v7, 0, 1, vcc
	v_lshlrev_b32_e32 v7, 3, v7
	v_add_lshl_u32 v53, v7, v31, 2
	ds_bpermute_b32 v7, v53, v3
	v_add_u32_e32 v2, v2, v6
	ds_bpermute_b32 v6, v53, v2
	v_add_u32_e32 v54, 8, v45
	v_cmp_eq_u32_e32 vcc, 0, v2
	s_waitcnt lgkmcnt(1)
	v_cndmask_b32_e32 v7, 0, v7, vcc
	v_cmp_gt_u32_e32 vcc, v54, v5
	v_cndmask_b32_e64 v7, v7, 0, vcc
	s_waitcnt lgkmcnt(0)
	v_cndmask_b32_e64 v6, v6, 0, vcc
	v_cmp_gt_u32_e32 vcc, 48, v45
	v_add_u32_e32 v3, v3, v7
	;; [unrolled: 16-line block ×3, first 2 shown]
	v_cndmask_b32_e64 v7, 0, 1, vcc
	v_lshlrev_b32_e32 v7, 5, v7
	v_add_lshl_u32 v57, v7, v31, 2
	ds_bpermute_b32 v7, v57, v3
	v_add_u32_e32 v2, v2, v6
	ds_bpermute_b32 v6, v57, v2
	v_add_u32_e32 v58, 32, v45
	v_cmp_eq_u32_e32 vcc, 0, v2
	s_waitcnt lgkmcnt(1)
	v_cndmask_b32_e32 v7, 0, v7, vcc
	v_cmp_gt_u32_e32 vcc, v58, v5
	v_cndmask_b32_e64 v5, v7, 0, vcc
	v_add_u32_e32 v3, v5, v3
	s_waitcnt lgkmcnt(0)
	v_cndmask_b32_e64 v5, v6, 0, vcc
	v_add_u32_e32 v2, v5, v2
	v_mov_b32_e32 v31, 0
	s_branch .LBB834_105
.LBB834_104:                            ;   in Loop: Header=BB834_105 Depth=1
	s_or_b64 exec, exec, s[30:31]
	v_cmp_eq_u16_sdwa s[30:31], v4, v44 src0_sel:BYTE_0 src1_sel:DWORD
	v_and_b32_e32 v5, s31, v35
	v_or_b32_e32 v5, 0x80000000, v5
	v_and_b32_e32 v38, s30, v34
	v_ffbl_b32_e32 v5, v5
	v_add_u32_e32 v5, 32, v5
	v_ffbl_b32_e32 v38, v38
	v_min_u32_e32 v5, v38, v5
	ds_bpermute_b32 v38, v46, v3
	v_cmp_eq_u32_e32 vcc, 0, v2
	v_cmp_lt_u32_e64 s[30:31], v45, v5
	ds_bpermute_b32 v39, v46, v2
	s_and_b64 vcc, s[30:31], vcc
	s_waitcnt lgkmcnt(1)
	v_cndmask_b32_e32 v38, 0, v38, vcc
	v_add_u32_e32 v3, v38, v3
	ds_bpermute_b32 v38, v47, v3
	s_waitcnt lgkmcnt(1)
	v_cndmask_b32_e64 v39, 0, v39, s[30:31]
	v_add_u32_e32 v2, v39, v2
	v_cmp_eq_u32_e32 vcc, 0, v2
	ds_bpermute_b32 v39, v47, v2
	s_waitcnt lgkmcnt(1)
	v_cndmask_b32_e32 v38, 0, v38, vcc
	v_cmp_gt_u32_e32 vcc, v50, v5
	v_cndmask_b32_e64 v38, v38, 0, vcc
	v_add_u32_e32 v3, v38, v3
	ds_bpermute_b32 v38, v51, v3
	s_waitcnt lgkmcnt(1)
	v_cndmask_b32_e64 v39, v39, 0, vcc
	v_add_u32_e32 v2, v2, v39
	v_cmp_eq_u32_e32 vcc, 0, v2
	ds_bpermute_b32 v39, v51, v2
	s_waitcnt lgkmcnt(1)
	v_cndmask_b32_e32 v38, 0, v38, vcc
	v_cmp_gt_u32_e32 vcc, v52, v5
	v_cndmask_b32_e64 v38, v38, 0, vcc
	v_add_u32_e32 v3, v3, v38
	ds_bpermute_b32 v38, v53, v3
	s_waitcnt lgkmcnt(1)
	v_cndmask_b32_e64 v39, v39, 0, vcc
	v_add_u32_e32 v2, v2, v39
	ds_bpermute_b32 v39, v53, v2
	v_cmp_eq_u32_e32 vcc, 0, v2
	s_waitcnt lgkmcnt(1)
	v_cndmask_b32_e32 v38, 0, v38, vcc
	v_cmp_gt_u32_e32 vcc, v54, v5
	v_cndmask_b32_e64 v38, v38, 0, vcc
	v_add_u32_e32 v3, v3, v38
	ds_bpermute_b32 v38, v55, v3
	s_waitcnt lgkmcnt(1)
	v_cndmask_b32_e64 v39, v39, 0, vcc
	v_add_u32_e32 v2, v2, v39
	ds_bpermute_b32 v39, v55, v2
	v_cmp_eq_u32_e32 vcc, 0, v2
	;; [unrolled: 11-line block ×3, first 2 shown]
	s_waitcnt lgkmcnt(1)
	v_cndmask_b32_e32 v38, 0, v38, vcc
	v_cmp_gt_u32_e32 vcc, v58, v5
	v_cndmask_b32_e64 v5, v38, 0, vcc
	v_add_u32_e32 v3, v5, v3
	s_waitcnt lgkmcnt(0)
	v_cndmask_b32_e64 v5, v39, 0, vcc
	v_cmp_eq_u32_e32 vcc, 0, v6
	v_cndmask_b32_e32 v3, 0, v3, vcc
	v_subrev_u32_e32 v30, 64, v30
	v_add3_u32 v2, v2, v6, v5
	v_add_u32_e32 v3, v3, v7
.LBB834_105:                            ; =>This Loop Header: Depth=1
                                        ;     Child Loop BB834_108 Depth 2
	v_cmp_ne_u16_sdwa s[30:31], v4, v44 src0_sel:BYTE_0 src1_sel:DWORD
	v_mov_b32_e32 v7, v3
	v_cndmask_b32_e64 v3, 0, 1, s[30:31]
	;;#ASMSTART
	;;#ASMEND
	v_cmp_ne_u32_e32 vcc, 0, v3
	s_cmp_lg_u64 vcc, exec
	v_mov_b32_e32 v6, v2
	s_cbranch_scc1 .LBB834_110
; %bb.106:                              ;   in Loop: Header=BB834_105 Depth=1
	v_lshlrev_b64 v[2:3], 4, v[30:31]
	v_mov_b32_e32 v4, s45
	v_add_co_u32_e32 v38, vcc, s44, v2
	v_addc_co_u32_e32 v39, vcc, v4, v3, vcc
	;;#ASMSTART
	global_load_dwordx4 v[2:5], v[38:39] off glc	
s_waitcnt vmcnt(0)
	;;#ASMEND
	v_and_b32_e32 v5, 0xff, v3
	v_and_b32_e32 v59, 0xff00, v3
	;; [unrolled: 1-line block ×3, first 2 shown]
	v_or3_b32 v5, 0, v5, v59
	v_or3_b32 v2, v2, 0, 0
	v_and_b32_e32 v3, 0xff000000, v3
	v_or3_b32 v3, v5, v60, v3
	v_or3_b32 v2, v2, 0, 0
	v_cmp_eq_u16_sdwa s[46:47], v4, v31 src0_sel:BYTE_0 src1_sel:DWORD
	s_and_saveexec_b64 s[30:31], s[46:47]
	s_cbranch_execz .LBB834_104
; %bb.107:                              ;   in Loop: Header=BB834_105 Depth=1
	s_mov_b64 s[46:47], 0
.LBB834_108:                            ;   Parent Loop BB834_105 Depth=1
                                        ; =>  This Inner Loop Header: Depth=2
	;;#ASMSTART
	global_load_dwordx4 v[2:5], v[38:39] off glc	
s_waitcnt vmcnt(0)
	;;#ASMEND
	v_cmp_ne_u16_sdwa s[50:51], v4, v31 src0_sel:BYTE_0 src1_sel:DWORD
	s_or_b64 s[46:47], s[50:51], s[46:47]
	s_andn2_b64 exec, exec, s[46:47]
	s_cbranch_execnz .LBB834_108
; %bb.109:                              ;   in Loop: Header=BB834_105 Depth=1
	s_or_b64 exec, exec, s[46:47]
	s_branch .LBB834_104
.LBB834_110:                            ;   in Loop: Header=BB834_105 Depth=1
                                        ; implicit-def: $vgpr3
                                        ; implicit-def: $vgpr2
                                        ; implicit-def: $vgpr4
	s_cbranch_execz .LBB834_105
; %bb.111:
	s_and_saveexec_b64 s[30:31], s[28:29]
	s_cbranch_execz .LBB834_113
; %bb.112:
	s_cmp_eq_u32 s48, 0
	s_cselect_b64 vcc, -1, 0
	s_mov_b32 s47, 0
	v_cndmask_b32_e32 v2, 0, v7, vcc
	s_add_i32 s46, s62, 64
	v_add_u32_e32 v2, s49, v2
	s_lshl_b64 s[46:47], s[46:47], 4
	s_add_u32 s46, s44, s46
	v_and_b32_e32 v3, 0xff000000, v2
	v_and_b32_e32 v4, 0xff0000, v2
	s_addc_u32 s47, s45, s47
	v_or_b32_e32 v3, v4, v3
	v_and_b32_e32 v4, 0xff00, v2
	v_and_b32_e32 v2, 0xff, v2
	v_add_u32_e32 v44, s48, v6
	v_mov_b32_e32 v47, 0
	v_or3_b32 v45, v3, v4, v2
	v_mov_b32_e32 v46, 2
	v_pk_mov_b32 v[2:3], s[46:47], s[46:47] op_sel:[0,1]
	;;#ASMSTART
	global_store_dwordx4 v[2:3], v[44:47] off	
s_waitcnt vmcnt(0)
	;;#ASMEND
	v_mov_b32_e32 v4, s48
	v_mov_b32_e32 v5, s49
	ds_write_b128 v47, v[4:7] offset:2048
.LBB834_113:
	s_or_b64 exec, exec, s[30:31]
	s_and_b64 exec, exec, s[0:1]
	s_cbranch_execz .LBB834_115
; %bb.114:
	v_mov_b32_e32 v2, 0
	ds_write_b64 v2, v[6:7] offset:2088
.LBB834_115:
	s_or_b64 exec, exec, s[40:41]
	v_mov_b32_e32 v4, 0
	s_waitcnt lgkmcnt(0)
	s_barrier
	ds_read_b64 v[2:3], v4 offset:2088
	v_cndmask_b32_e64 v6, v40, v26, s[28:29]
	v_cmp_eq_u32_e32 vcc, 0, v6
	v_cndmask_b32_e64 v5, v41, v27, s[28:29]
	s_waitcnt lgkmcnt(0)
	v_cndmask_b32_e32 v7, 0, v3, vcc
	v_add_u32_e32 v5, v7, v5
	v_cndmask_b32_e64 v65, v5, v3, s[0:1]
	v_cndmask_b32_e64 v3, v6, 0, s[0:1]
	v_cmp_eq_u32_e32 vcc, 0, v81
	v_add_u32_e32 v64, v2, v3
	v_cndmask_b32_e32 v2, 0, v65, vcc
	v_add_u32_e32 v63, v2, v48
	v_cndmask_b32_e64 v2, 0, v63, s[26:27]
	v_add_u32_e32 v61, v2, v49
	v_cndmask_b32_e64 v2, 0, v61, s[24:25]
	;; [unrolled: 2-line block ×8, first 2 shown]
	v_add_u32_e32 v62, v64, v81
	v_add_u32_e32 v45, v2, v28
	v_add_u32_e32 v60, v62, v79
	v_cndmask_b32_e64 v2, 0, v45, s[10:11]
	v_add_u32_e32 v58, v60, v78
	v_add_u32_e32 v41, v2, v29
	v_add_u32_e32 v56, v58, v77
	v_cndmask_b32_e64 v2, 0, v41, s[8:9]
	;; [unrolled: 4-line block ×3, first 2 shown]
	v_add_u32_e32 v50, v52, v74
	v_add_u32_e32 v35, v2, v25
	s_barrier
	ds_read_b128 v[2:5], v4 offset:2048
	v_add_u32_e32 v46, v50, v73
	v_add_u32_e32 v44, v46, v72
	;; [unrolled: 1-line block ×4, first 2 shown]
	v_cndmask_b32_e64 v6, 0, v35, s[4:5]
	v_add_u32_e32 v34, v38, v69
	v_add_u32_e32 v31, v6, v22
	s_waitcnt lgkmcnt(0)
	v_cmp_eq_u32_e32 vcc, 0, v2
	v_add_u32_e32 v30, v34, v68
	v_cndmask_b32_e64 v6, 0, v31, s[2:3]
	v_cndmask_b32_e32 v5, 0, v5, vcc
	v_add_u32_e32 v26, v30, v67
	v_add_u32_e32 v27, v6, v23
	;; [unrolled: 1-line block ×3, first 2 shown]
	s_branch .LBB834_128
.LBB834_116:
                                        ; implicit-def: $vgpr2
                                        ; implicit-def: $vgpr80
                                        ; implicit-def: $vgpr64_vgpr65
                                        ; implicit-def: $vgpr62_vgpr63
                                        ; implicit-def: $vgpr60_vgpr61
                                        ; implicit-def: $vgpr58_vgpr59
                                        ; implicit-def: $vgpr56_vgpr57
                                        ; implicit-def: $vgpr54_vgpr55
                                        ; implicit-def: $vgpr52_vgpr53
                                        ; implicit-def: $vgpr50_vgpr51
                                        ; implicit-def: $vgpr46_vgpr47
                                        ; implicit-def: $vgpr44_vgpr45
                                        ; implicit-def: $vgpr40_vgpr41
                                        ; implicit-def: $vgpr38_vgpr39
                                        ; implicit-def: $vgpr34_vgpr35
                                        ; implicit-def: $vgpr30_vgpr31
                                        ; implicit-def: $vgpr26_vgpr27
	s_cbranch_execz .LBB834_128
; %bb.117:
	s_and_b64 s[2:3], s[34:35], exec
	s_cselect_b32 s3, 0, s61
	s_cselect_b32 s2, 0, s60
	s_cmp_eq_u64 s[2:3], 0
	v_mov_b32_e32 v6, v48
	s_cbranch_scc1 .LBB834_119
; %bb.118:
	v_mov_b32_e32 v2, 0
	global_load_dword v6, v2, s[2:3]
.LBB834_119:
	v_cmp_eq_u32_e64 s[2:3], 0, v79
	v_cndmask_b32_e64 v2, 0, v48, s[2:3]
	v_add_u32_e32 v2, v2, v49
	v_cmp_eq_u32_e64 s[4:5], 0, v78
	v_cndmask_b32_e64 v2, 0, v2, s[4:5]
	v_add_u32_e32 v2, v2, v42
	;; [unrolled: 3-line block ×11, first 2 shown]
	v_cmp_eq_u32_e64 s[24:25], 0, v68
	v_cndmask_b32_e64 v2, 0, v2, s[24:25]
	v_add3_u32 v3, v86, v75, v74
	v_add_u32_e32 v2, v2, v22
	v_cmp_eq_u32_e32 vcc, 0, v67
	v_add3_u32 v3, v3, v73, v72
	v_cndmask_b32_e32 v2, 0, v2, vcc
	v_add3_u32 v3, v3, v71, v70
	v_add_u32_e32 v2, v2, v23
	v_cmp_eq_u32_e64 s[26:27], 0, v66
	v_add3_u32 v3, v3, v69, v68
	v_cndmask_b32_e64 v2, 0, v2, s[26:27]
	v_add3_u32 v3, v3, v67, v66
	v_add_u32_e32 v2, v2, v82
	v_mbcnt_hi_u32_b32 v7, -1, v85
	v_and_b32_e32 v4, 15, v7
	v_mov_b32_dpp v26, v2 row_shr:1 row_mask:0xf bank_mask:0xf
	v_cmp_eq_u32_e64 s[26:27], 0, v3
	v_mov_b32_dpp v5, v3 row_shr:1 row_mask:0xf bank_mask:0xf
	v_cndmask_b32_e64 v26, 0, v26, s[26:27]
	v_cmp_eq_u32_e64 s[26:27], 0, v4
	v_cndmask_b32_e64 v5, v5, 0, s[26:27]
	v_add_u32_e32 v3, v5, v3
	v_cndmask_b32_e64 v5, v26, 0, s[26:27]
	v_add_u32_e32 v2, v5, v2
	v_cmp_eq_u32_e64 s[26:27], 0, v3
	v_mov_b32_dpp v5, v3 row_shr:2 row_mask:0xf bank_mask:0xf
	v_cmp_lt_u32_e64 s[28:29], 1, v4
	v_mov_b32_dpp v26, v2 row_shr:2 row_mask:0xf bank_mask:0xf
	v_cndmask_b32_e64 v5, 0, v5, s[28:29]
	s_and_b64 s[26:27], s[28:29], s[26:27]
	v_cndmask_b32_e64 v26, 0, v26, s[26:27]
	v_add_u32_e32 v3, v3, v5
	v_add_u32_e32 v2, v26, v2
	v_cmp_eq_u32_e64 s[26:27], 0, v3
	v_mov_b32_dpp v5, v3 row_shr:4 row_mask:0xf bank_mask:0xf
	v_cmp_lt_u32_e64 s[28:29], 3, v4
	v_mov_b32_dpp v26, v2 row_shr:4 row_mask:0xf bank_mask:0xf
	v_cndmask_b32_e64 v5, 0, v5, s[28:29]
	s_and_b64 s[26:27], s[28:29], s[26:27]
	v_cndmask_b32_e64 v26, 0, v26, s[26:27]
	v_add_u32_e32 v3, v5, v3
	v_add_u32_e32 v2, v2, v26
	v_cmp_eq_u32_e64 s[26:27], 0, v3
	v_cmp_lt_u32_e64 s[28:29], 7, v4
	v_mov_b32_dpp v5, v3 row_shr:8 row_mask:0xf bank_mask:0xf
	v_mov_b32_dpp v26, v2 row_shr:8 row_mask:0xf bank_mask:0xf
	s_and_b64 s[26:27], s[28:29], s[26:27]
	v_cndmask_b32_e64 v4, 0, v5, s[28:29]
	v_cndmask_b32_e64 v5, 0, v26, s[26:27]
	v_add_u32_e32 v2, v5, v2
	v_add_u32_e32 v3, v4, v3
	v_bfe_i32 v26, v7, 4, 1
	v_mov_b32_dpp v5, v2 row_bcast:15 row_mask:0xf bank_mask:0xf
	v_mov_b32_dpp v4, v3 row_bcast:15 row_mask:0xf bank_mask:0xf
	v_cmp_eq_u32_e64 s[26:27], 0, v3
	v_cndmask_b32_e64 v5, 0, v5, s[26:27]
	v_and_b32_e32 v4, v26, v4
	v_add_u32_e32 v3, v4, v3
	v_and_b32_e32 v4, v26, v5
	v_add_u32_e32 v4, v4, v2
	v_mov_b32_dpp v2, v3 row_bcast:31 row_mask:0xf bank_mask:0xf
	v_cmp_eq_u32_e64 s[26:27], 0, v3
	v_cmp_lt_u32_e64 s[28:29], 31, v7
	v_mov_b32_dpp v5, v4 row_bcast:31 row_mask:0xf bank_mask:0xf
	v_cndmask_b32_e64 v2, 0, v2, s[28:29]
	s_and_b64 s[26:27], s[28:29], s[26:27]
	v_add_u32_e32 v2, v2, v3
	v_cndmask_b32_e64 v3, 0, v5, s[26:27]
	v_add_u32_e32 v3, v3, v4
	v_cmp_eq_u32_e64 s[26:27], v84, v0
	v_lshlrev_b32_e32 v5, 3, v83
	s_and_saveexec_b64 s[28:29], s[26:27]
	s_cbranch_execz .LBB834_121
; %bb.120:
	ds_write_b64 v5, v[2:3] offset:2064
.LBB834_121:
	s_or_b64 exec, exec, s[28:29]
	v_cmp_gt_u32_e64 s[26:27], 4, v0
	s_waitcnt lgkmcnt(0)
	s_barrier
	s_and_saveexec_b64 s[30:31], s[26:27]
	s_cbranch_execz .LBB834_123
; %bb.122:
	v_lshlrev_b32_e32 v4, 3, v0
	ds_read_b64 v[26:27], v4 offset:2064
	v_and_b32_e32 v30, 3, v7
	v_cmp_lt_u32_e64 s[28:29], 1, v30
	s_waitcnt lgkmcnt(0)
	v_mov_b32_dpp v34, v27 row_shr:1 row_mask:0xf bank_mask:0xf
	v_cmp_eq_u32_e64 s[26:27], 0, v26
	v_mov_b32_dpp v31, v26 row_shr:1 row_mask:0xf bank_mask:0xf
	v_cndmask_b32_e64 v34, 0, v34, s[26:27]
	v_cmp_eq_u32_e64 s[26:27], 0, v30
	v_cndmask_b32_e64 v31, v31, 0, s[26:27]
	v_add_u32_e32 v26, v31, v26
	v_cndmask_b32_e64 v31, v34, 0, s[26:27]
	v_add_u32_e32 v27, v31, v27
	v_cmp_eq_u32_e64 s[26:27], 0, v26
	v_mov_b32_dpp v31, v26 row_shr:2 row_mask:0xf bank_mask:0xf
	v_mov_b32_dpp v34, v27 row_shr:2 row_mask:0xf bank_mask:0xf
	v_cndmask_b32_e64 v30, 0, v31, s[28:29]
	s_and_b64 s[26:27], s[28:29], s[26:27]
	v_add_u32_e32 v26, v30, v26
	v_cndmask_b32_e64 v30, 0, v34, s[26:27]
	v_add_u32_e32 v27, v30, v27
	ds_write_b64 v4, v[26:27] offset:2064
.LBB834_123:
	s_or_b64 exec, exec, s[30:31]
	v_cmp_lt_u32_e64 s[26:27], 63, v0
	v_mov_b32_e32 v26, 0
	v_mov_b32_e32 v4, 0
	s_waitcnt vmcnt(0)
	v_mov_b32_e32 v27, v6
	s_waitcnt lgkmcnt(0)
	s_barrier
	s_and_saveexec_b64 s[28:29], s[26:27]
	s_cbranch_execz .LBB834_125
; %bb.124:
	ds_read_b64 v[4:5], v5 offset:2056
	s_waitcnt lgkmcnt(0)
	v_cmp_eq_u32_e64 s[26:27], 0, v4
	v_cndmask_b32_e64 v27, 0, v6, s[26:27]
	v_add_u32_e32 v27, v27, v5
.LBB834_125:
	s_or_b64 exec, exec, s[28:29]
	v_cmp_eq_u32_e64 s[26:27], 0, v2
	v_add_u32_e32 v5, v4, v2
	v_cndmask_b32_e64 v2, 0, v27, s[26:27]
	v_add_u32_e32 v2, v2, v3
	v_add_u32_e32 v3, -1, v7
	v_and_b32_e32 v30, 64, v7
	v_cmp_lt_i32_e64 s[26:27], v3, v30
	v_cndmask_b32_e64 v3, v3, v7, s[26:27]
	v_lshlrev_b32_e32 v3, 2, v3
	ds_bpermute_b32 v2, v3, v2
	ds_bpermute_b32 v5, v3, v5
	v_cmp_eq_u32_e64 s[26:27], 0, v7
	s_waitcnt lgkmcnt(1)
	v_cndmask_b32_e64 v2, v2, v27, s[26:27]
	s_waitcnt lgkmcnt(0)
	v_cndmask_b32_e64 v3, v5, v4, s[26:27]
	v_cndmask_b32_e64 v65, v2, v6, s[0:1]
	v_cmp_eq_u32_e64 s[26:27], 0, v81
	v_cndmask_b32_e64 v2, 0, v65, s[26:27]
	v_add_u32_e32 v63, v2, v48
	v_cndmask_b32_e64 v2, 0, v63, s[2:3]
	v_add_u32_e32 v61, v2, v49
	;; [unrolled: 2-line block ×8, first 2 shown]
	v_cndmask_b32_e64 v64, v3, 0, s[0:1]
	v_cndmask_b32_e64 v2, 0, v47, s[16:17]
	v_add_u32_e32 v62, v64, v81
	v_add_u32_e32 v45, v2, v28
	v_add_u32_e32 v60, v62, v79
	v_cndmask_b32_e64 v2, 0, v45, s[18:19]
	v_add_u32_e32 v58, v60, v78
	v_add_u32_e32 v41, v2, v29
	v_add_u32_e32 v56, v58, v77
	;; [unrolled: 4-line block ×3, first 2 shown]
	v_cndmask_b32_e64 v2, 0, v39, s[22:23]
	v_add_u32_e32 v50, v52, v74
	v_add_u32_e32 v35, v2, v25
	ds_read_b64 v[2:3], v26 offset:2088
	v_add_u32_e32 v46, v50, v73
	v_add_u32_e32 v44, v46, v72
	;; [unrolled: 1-line block ×3, first 2 shown]
	v_cndmask_b32_e64 v4, 0, v35, s[24:25]
	v_add_u32_e32 v38, v40, v70
	v_add_u32_e32 v31, v4, v22
	;; [unrolled: 1-line block ×3, first 2 shown]
	v_cndmask_b32_e32 v4, 0, v31, vcc
	s_waitcnt lgkmcnt(0)
	v_cmp_eq_u32_e32 vcc, 0, v2
	v_add_u32_e32 v30, v34, v68
	v_add_u32_e32 v27, v4, v23
	v_cndmask_b32_e32 v4, 0, v6, vcc
	v_add_u32_e32 v26, v30, v67
	v_add_u32_e32 v80, v4, v3
	s_and_saveexec_b64 s[2:3], s[0:1]
	s_cbranch_execz .LBB834_127
; %bb.126:
	s_add_u32 s4, s44, 0x400
	v_and_b32_e32 v3, 0xff000000, v80
	v_and_b32_e32 v4, 0xff0000, v80
	s_addc_u32 s5, s45, 0
	v_or_b32_e32 v3, v4, v3
	v_and_b32_e32 v4, 0xff00, v80
	v_and_b32_e32 v6, 0xff, v80
	v_mov_b32_e32 v5, 0
	v_or3_b32 v3, v3, v4, v6
	v_mov_b32_e32 v4, 2
	v_pk_mov_b32 v[6:7], s[4:5], s[4:5] op_sel:[0,1]
	;;#ASMSTART
	global_store_dwordx4 v[6:7], v[2:5] off	
s_waitcnt vmcnt(0)
	;;#ASMEND
.LBB834_127:
	s_or_b64 exec, exec, s[2:3]
	v_mov_b32_e32 v4, 0
.LBB834_128:
	s_and_b64 s[2:3], s[34:35], exec
	s_cselect_b32 s3, 0, s59
	s_cselect_b32 s2, 0, s58
	s_cmp_eq_u64 s[2:3], 0
	v_pk_mov_b32 v[6:7], 0, 0
	s_barrier
	s_cbranch_scc1 .LBB834_130
; %bb.129:
	v_mov_b32_e32 v3, 0
	global_load_dwordx2 v[6:7], v3, s[2:3]
.LBB834_130:
	s_waitcnt vmcnt(0)
	v_lshlrev_b64 v[22:23], 2, v[6:7]
	v_mov_b32_e32 v3, s43
	v_add_co_u32_e32 v28, vcc, s42, v22
	v_mov_b32_e32 v5, 0
	v_addc_co_u32_e32 v29, vcc, v3, v23, vcc
	v_lshlrev_b64 v[24:25], 2, v[4:5]
	v_add_co_u32_e32 v3, vcc, v28, v24
	v_addc_co_u32_e32 v5, vcc, v29, v25, vcc
	v_cmp_eq_u32_e32 vcc, 0, v81
	v_cndmask_b32_e64 v28, 1, 2, vcc
	v_cmp_eq_u32_e32 vcc, 0, v79
	v_cndmask_b32_e64 v29, 1, 2, vcc
	v_cmp_eq_u32_e32 vcc, 0, v78
	v_and_b32_e32 v28, v29, v28
	v_cndmask_b32_e64 v29, 1, 2, vcc
	v_cmp_eq_u32_e32 vcc, 0, v77
	v_and_b32_e32 v28, v28, v29
	;; [unrolled: 3-line block ×13, first 2 shown]
	v_cndmask_b32_e64 v29, 1, 2, vcc
	s_movk_i32 s34, 0x100
	v_and_b32_e32 v28, v28, v29
	v_cmp_gt_u32_e32 vcc, s34, v2
	v_cmp_ne_u32_e64 s[30:31], 0, v81
	v_cmp_ne_u32_e64 s[28:29], 0, v79
	;; [unrolled: 1-line block ×15, first 2 shown]
	s_mov_b64 s[40:41], -1
	v_cmp_gt_i16_e64 s[34:35], 2, v28
	s_cbranch_vccz .LBB834_137
; %bb.131:
	s_and_saveexec_b64 s[40:41], s[34:35]
	s_cbranch_execz .LBB834_136
; %bb.132:
	v_cmp_ne_u16_e32 vcc, 1, v28
	s_mov_b64 s[42:43], 0
	s_and_saveexec_b64 s[34:35], vcc
	s_xor_b64 s[34:35], exec, s[34:35]
	s_cbranch_execnz .LBB834_193
; %bb.133:
	s_andn2_saveexec_b64 s[34:35], s[34:35]
	s_cbranch_execnz .LBB834_209
.LBB834_134:
	s_or_b64 exec, exec, s[34:35]
	s_and_b64 exec, exec, s[42:43]
	s_cbranch_execz .LBB834_136
.LBB834_135:
	v_sub_u32_e32 v32, v26, v4
	v_mov_b32_e32 v33, 0
	v_lshlrev_b64 v[32:33], 2, v[32:33]
	v_add_co_u32_e32 v32, vcc, v3, v32
	v_addc_co_u32_e32 v33, vcc, v5, v33, vcc
	global_store_dword v[32:33], v1, off
.LBB834_136:
	s_or_b64 exec, exec, s[40:41]
	s_mov_b64 s[40:41], 0
.LBB834_137:
	s_and_b64 vcc, exec, s[40:41]
	s_cbranch_vccz .LBB834_159
; %bb.138:
	v_cmp_gt_i16_e32 vcc, 2, v28
	s_and_saveexec_b64 s[34:35], vcc
	s_cbranch_execz .LBB834_143
; %bb.139:
	v_cmp_ne_u16_e32 vcc, 1, v28
	s_mov_b64 s[42:43], 0
	s_and_saveexec_b64 s[40:41], vcc
	s_xor_b64 s[40:41], exec, s[40:41]
	s_cbranch_execnz .LBB834_210
; %bb.140:
	s_andn2_saveexec_b64 s[2:3], s[40:41]
	s_cbranch_execnz .LBB834_226
.LBB834_141:
	s_or_b64 exec, exec, s[2:3]
	s_and_b64 exec, exec, s[42:43]
	s_cbranch_execz .LBB834_143
.LBB834_142:
	v_sub_u32_e32 v8, v26, v4
	v_lshlrev_b32_e32 v8, 2, v8
	ds_write_b32 v8, v1
.LBB834_143:
	s_or_b64 exec, exec, s[34:35]
	v_cmp_lt_u32_e32 vcc, v0, v2
	s_waitcnt lgkmcnt(0)
	s_barrier
	s_and_saveexec_b64 s[4:5], vcc
	s_cbranch_execz .LBB834_158
; %bb.144:
	v_xad_u32 v1, v0, -1, v2
	s_movk_i32 s2, 0x1700
	v_cmp_gt_u32_e64 s[6:7], s2, v1
	s_movk_i32 s2, 0x16ff
	v_cmp_lt_u32_e32 vcc, s2, v1
	v_mov_b32_e32 v8, v0
	s_and_saveexec_b64 s[8:9], vcc
	s_cbranch_execz .LBB834_155
; %bb.145:
	v_sub_u32_e32 v8, v0, v2
	v_or_b32_e32 v8, 0xff, v8
	v_cmp_ge_u32_e32 vcc, v8, v0
	s_mov_b64 s[2:3], -1
	v_mov_b32_e32 v8, v0
	s_and_saveexec_b64 s[10:11], vcc
	s_cbranch_execz .LBB834_154
; %bb.146:
	v_lshrrev_b32_e32 v12, 8, v1
	v_add_u32_e32 v8, -1, v12
	v_or_b32_e32 v1, 0x100, v0
	v_lshrrev_b32_e32 v9, 1, v8
	v_add_u32_e32 v13, 1, v9
	v_cmp_lt_u32_e32 vcc, 13, v8
	v_mov_b32_e32 v16, 0
	v_pk_mov_b32 v[8:9], v[0:1], v[0:1] op_sel:[0,1]
	s_and_saveexec_b64 s[12:13], vcc
	s_cbranch_execz .LBB834_150
; %bb.147:
	v_and_b32_e32 v14, -8, v13
	v_lshlrev_b32_e32 v15, 2, v0
	s_mov_b32 s16, 0
	s_mov_b64 s[14:15], 0
	v_mov_b32_e32 v11, 0
	v_pk_mov_b32 v[8:9], v[0:1], v[0:1] op_sel:[0,1]
.LBB834_148:                            ; =>This Inner Loop Header: Depth=1
	v_mov_b32_e32 v10, v8
	v_add_u32_e32 v14, -8, v14
	v_lshlrev_b64 v[96:97], 2, v[10:11]
	v_mov_b32_e32 v10, v9
	ds_read2st64_b32 v[18:19], v15 offset1:4
	s_add_i32 s16, s16, 16
	v_cmp_eq_u32_e32 vcc, 0, v14
	v_lshlrev_b64 v[100:101], 2, v[10:11]
	v_add_u32_e32 v10, 0x200, v8
	s_or_b64 s[14:15], vcc, s[14:15]
	v_add_co_u32_e32 v100, vcc, v3, v100
	v_add_u32_e32 v16, 0x200, v9
	v_mov_b32_e32 v17, v11
	ds_read2st64_b32 v[20:21], v15 offset0:8 offset1:12
	ds_read2st64_b32 v[32:33], v15 offset0:16 offset1:20
	v_add_co_u32_e64 v96, s[2:3], v3, v96
	v_addc_co_u32_e32 v101, vcc, v5, v101, vcc
	v_lshlrev_b64 v[102:103], 2, v[10:11]
	v_lshlrev_b64 v[98:99], 2, v[16:17]
	v_addc_co_u32_e64 v97, s[2:3], v5, v97, s[2:3]
	v_add_u32_e32 v10, 0x400, v8
	v_add_co_u32_e32 v102, vcc, v3, v102
	v_add_u32_e32 v28, 0x400, v9
	v_mov_b32_e32 v29, v11
	ds_read2st64_b32 v[42:43], v15 offset0:24 offset1:28
	v_add_co_u32_e64 v98, s[2:3], v3, v98
	v_addc_co_u32_e32 v103, vcc, v5, v103, vcc
	v_lshlrev_b64 v[104:105], 2, v[10:11]
	ds_read2st64_b32 v[82:83], v15 offset0:32 offset1:36
	ds_read2st64_b32 v[86:87], v15 offset0:40 offset1:44
	;; [unrolled: 1-line block ×4, first 2 shown]
	v_lshlrev_b64 v[28:29], 2, v[28:29]
	v_addc_co_u32_e64 v99, s[2:3], v5, v99, s[2:3]
	v_add_u32_e32 v10, 0x600, v8
	s_waitcnt lgkmcnt(7)
	global_store_dword v[96:97], v18, off
	global_store_dword v[100:101], v19, off
	s_waitcnt lgkmcnt(6)
	global_store_dword v[102:103], v20, off
	global_store_dword v[98:99], v21, off
	v_add_co_u32_e32 v18, vcc, v3, v104
	v_add_u32_e32 v36, 0x600, v9
	v_mov_b32_e32 v37, v11
	v_add_co_u32_e64 v28, s[2:3], v3, v28
	v_addc_co_u32_e32 v19, vcc, v5, v105, vcc
	v_lshlrev_b64 v[20:21], 2, v[10:11]
	v_lshlrev_b64 v[36:37], 2, v[36:37]
	v_addc_co_u32_e64 v29, s[2:3], v5, v29, s[2:3]
	v_add_u32_e32 v10, 0x800, v8
	s_waitcnt lgkmcnt(5)
	global_store_dword v[18:19], v32, off
	global_store_dword v[28:29], v33, off
	v_add_co_u32_e32 v18, vcc, v3, v20
	v_add_u32_e32 v48, 0x800, v9
	v_mov_b32_e32 v49, v11
	v_add_co_u32_e64 v36, s[2:3], v3, v36
	v_addc_co_u32_e32 v19, vcc, v5, v21, vcc
	v_lshlrev_b64 v[20:21], 2, v[10:11]
	v_lshlrev_b64 v[48:49], 2, v[48:49]
	v_addc_co_u32_e64 v37, s[2:3], v5, v37, s[2:3]
	v_add_u32_e32 v10, 0xa00, v8
	;; [unrolled: 12-line block ×4, first 2 shown]
	s_waitcnt lgkmcnt(2)
	global_store_dword v[18:19], v86, off
	global_store_dword v[84:85], v87, off
	v_add_co_u32_e32 v18, vcc, v3, v20
	v_add_u32_e32 v92, 0xe00, v9
	v_mov_b32_e32 v93, v11
	v_add_co_u32_e64 v88, s[2:3], v3, v88
	v_addc_co_u32_e32 v19, vcc, v5, v21, vcc
	v_lshlrev_b64 v[20:21], 2, v[10:11]
	v_lshlrev_b64 v[92:93], 2, v[92:93]
	v_addc_co_u32_e64 v89, s[2:3], v5, v89, s[2:3]
	s_waitcnt lgkmcnt(1)
	global_store_dword v[18:19], v90, off
	global_store_dword v[88:89], v91, off
	v_add_co_u32_e32 v18, vcc, v3, v20
	v_add_u32_e32 v15, 0x4000, v15
	v_add_u32_e32 v9, 0x1000, v9
	v_mov_b32_e32 v16, s16
	v_add_co_u32_e64 v92, s[2:3], v3, v92
	v_add_u32_e32 v8, 0x1000, v8
	v_addc_co_u32_e32 v19, vcc, v5, v21, vcc
	v_addc_co_u32_e64 v93, s[2:3], v5, v93, s[2:3]
	s_waitcnt lgkmcnt(0)
	global_store_dword v[18:19], v94, off
	global_store_dword v[92:93], v95, off
	s_andn2_b64 exec, exec, s[14:15]
	s_cbranch_execnz .LBB834_148
; %bb.149:
	s_or_b64 exec, exec, s[14:15]
.LBB834_150:
	s_or_b64 exec, exec, s[12:13]
	v_and_b32_e32 v1, 7, v13
	v_cmp_ne_u32_e32 vcc, 0, v1
	s_and_saveexec_b64 s[12:13], vcc
	s_cbranch_execz .LBB834_153
; %bb.151:
	v_lshlrev_b32_e32 v10, 2, v0
	v_lshl_or_b32 v13, v16, 10, v10
	s_mov_b64 s[14:15], 0
	v_mov_b32_e32 v11, 0
.LBB834_152:                            ; =>This Inner Loop Header: Depth=1
	ds_read2st64_b32 v[14:15], v13 offset1:4
	v_mov_b32_e32 v10, v8
	v_add_u32_e32 v1, -1, v1
	v_lshlrev_b64 v[16:17], 2, v[10:11]
	v_mov_b32_e32 v10, v9
	v_cmp_eq_u32_e32 vcc, 0, v1
	v_add_co_u32_e64 v16, s[2:3], v3, v16
	v_lshlrev_b64 v[18:19], 2, v[10:11]
	v_add_u32_e32 v8, 0x200, v8
	v_add_u32_e32 v13, 0x800, v13
	;; [unrolled: 1-line block ×3, first 2 shown]
	v_addc_co_u32_e64 v17, s[2:3], v5, v17, s[2:3]
	s_or_b64 s[14:15], vcc, s[14:15]
	v_add_co_u32_e32 v18, vcc, v3, v18
	v_addc_co_u32_e32 v19, vcc, v5, v19, vcc
	s_waitcnt lgkmcnt(0)
	global_store_dword v[16:17], v14, off
	global_store_dword v[18:19], v15, off
	s_andn2_b64 exec, exec, s[14:15]
	s_cbranch_execnz .LBB834_152
.LBB834_153:
	s_or_b64 exec, exec, s[12:13]
	v_add_u32_e32 v1, 1, v12
	v_and_b32_e32 v9, 0x1fffffe, v1
	v_cmp_ne_u32_e32 vcc, v1, v9
	v_lshl_or_b32 v8, v9, 8, v0
	s_orn2_b64 s[2:3], vcc, exec
.LBB834_154:
	s_or_b64 exec, exec, s[10:11]
	s_andn2_b64 s[6:7], s[6:7], exec
	s_and_b64 s[2:3], s[2:3], exec
	s_or_b64 s[6:7], s[6:7], s[2:3]
.LBB834_155:
	s_or_b64 exec, exec, s[8:9]
	s_and_b64 exec, exec, s[6:7]
	s_cbranch_execz .LBB834_158
; %bb.156:
	v_lshlrev_b32_e32 v1, 2, v8
	s_mov_b64 s[2:3], 0
	v_mov_b32_e32 v9, 0
.LBB834_157:                            ; =>This Inner Loop Header: Depth=1
	v_lshlrev_b64 v[10:11], 2, v[8:9]
	ds_read_b32 v12, v1
	v_add_co_u32_e32 v10, vcc, v3, v10
	v_add_u32_e32 v8, 0x100, v8
	v_addc_co_u32_e32 v11, vcc, v5, v11, vcc
	v_cmp_ge_u32_e32 vcc, v8, v2
	v_add_u32_e32 v1, 0x400, v1
	s_or_b64 s[2:3], vcc, s[2:3]
	s_waitcnt lgkmcnt(0)
	global_store_dword v[10:11], v12, off
	s_andn2_b64 exec, exec, s[2:3]
	s_cbranch_execnz .LBB834_157
.LBB834_158:
	s_or_b64 exec, exec, s[4:5]
.LBB834_159:
	s_cmpk_lg_i32 s33, 0xf00
	s_cselect_b64 s[2:3], -1, 0
	s_and_b64 s[0:1], s[0:1], s[38:39]
	v_cndmask_b32_e64 v5, v81, 0, s[0:1]
	s_mul_hi_u32 s0, s33, 0x88888889
	s_lshr_b32 s0, s0, 3
	v_mad_i32_i24 v9, v0, -15, s33
	v_cmp_eq_u32_e32 vcc, s0, v0
	v_cmp_ne_u32_e64 s[0:1], 0, v9
	v_cndmask_b32_e64 v10, 1, v5, s[0:1]
	v_cmp_ne_u32_e64 s[0:1], 1, v9
	v_cndmask_b32_e64 v11, 1, v79, s[0:1]
	;; [unrolled: 2-line block ×15, first 2 shown]
	s_and_b64 vcc, vcc, s[36:37]
	v_cndmask_b32_e32 v32, v66, v9, vcc
	v_cndmask_b32_e32 v29, v67, v29, vcc
	v_cndmask_b32_e32 v28, v68, v28, vcc
	v_cndmask_b32_e32 v21, v69, v21, vcc
	v_cndmask_b32_e32 v20, v70, v20, vcc
	v_cndmask_b32_e32 v19, v71, v19, vcc
	v_cndmask_b32_e32 v18, v72, v18, vcc
	v_cndmask_b32_e32 v17, v73, v17, vcc
	v_cndmask_b32_e32 v16, v74, v16, vcc
	v_cndmask_b32_e32 v15, v75, v15, vcc
	v_cndmask_b32_e32 v33, v76, v14, vcc
	v_cndmask_b32_e32 v36, v77, v13, vcc
	v_cndmask_b32_e32 v37, v78, v12, vcc
	v_cndmask_b32_e32 v11, v79, v11, vcc
	v_cndmask_b32_e32 v10, v5, v10, vcc
	v_mov_b32_e32 v5, s53
	v_add_co_u32_e32 v9, vcc, s52, v22
	v_addc_co_u32_e32 v12, vcc, v5, v23, vcc
	v_cndmask_b32_e64 v1, 0, 1, s[38:39]
	v_add_co_u32_e32 v5, vcc, v9, v24
	v_addc_co_u32_e32 v12, vcc, v12, v25, vcc
	v_lshlrev_b32_e32 v9, 2, v1
	v_add_co_u32_e32 v9, vcc, v9, v5
	v_addc_co_u32_e32 v14, vcc, 0, v12, vcc
	v_add_co_u32_e32 v13, vcc, -4, v9
	v_addc_co_u32_e32 v14, vcc, -1, v14, vcc
	v_cmp_eq_u32_e32 vcc, 0, v10
	v_cmp_ne_u32_e64 s[28:29], 0, v10
	v_cndmask_b32_e64 v10, 1, 2, vcc
	v_cmp_eq_u32_e32 vcc, 0, v11
	v_cmp_ne_u32_e64 s[26:27], 0, v11
	v_cndmask_b32_e64 v11, 1, 2, vcc
	v_cmp_eq_u32_e32 vcc, 0, v37
	v_and_b32_e32 v10, v11, v10
	v_cndmask_b32_e64 v11, 1, 2, vcc
	v_cmp_eq_u32_e32 vcc, 0, v36
	v_and_b32_e32 v10, v10, v11
	;; [unrolled: 3-line block ×10, first 2 shown]
	v_cndmask_b32_e64 v11, 1, 2, vcc
	v_cmp_eq_u32_e32 vcc, 0, v28
	s_and_b64 s[2:3], s[2:3], s[36:37]
	v_and_b32_e32 v10, v10, v11
	v_cndmask_b32_e64 v11, 1, 2, vcc
	v_cmp_eq_u32_e32 vcc, 0, v29
	v_sub_u32_e32 v3, v2, v1
	v_cndmask_b32_e64 v8, 0, 1, s[2:3]
	v_and_b32_e32 v10, v10, v11
	v_cndmask_b32_e64 v11, 1, 2, vcc
	v_cmp_eq_u32_e32 vcc, 0, v32
	v_add_u32_e32 v3, v3, v8
	v_and_b32_e32 v10, v10, v11
	v_cndmask_b32_e64 v11, 1, 2, vcc
	s_movk_i32 s30, 0x100
	v_and_b32_e32 v10, v10, v11
	v_cmp_gt_u32_e32 vcc, s30, v3
	v_add_u32_e32 v9, v4, v1
	v_cmp_ne_u32_e64 s[24:25], 0, v37
	v_cmp_ne_u32_e64 s[22:23], 0, v36
	;; [unrolled: 1-line block ×13, first 2 shown]
	s_mov_b64 s[34:35], -1
	v_cmp_gt_i16_e64 s[30:31], 2, v10
	s_barrier
	s_cbranch_vccz .LBB834_166
; %bb.160:
	s_and_saveexec_b64 s[34:35], s[30:31]
	s_cbranch_execz .LBB834_165
; %bb.161:
	v_cmp_ne_u16_e32 vcc, 1, v10
	s_mov_b64 s[38:39], 0
	s_and_saveexec_b64 s[30:31], vcc
	s_xor_b64 s[30:31], exec, s[30:31]
	s_cbranch_execnz .LBB834_227
; %bb.162:
	s_andn2_saveexec_b64 s[30:31], s[30:31]
	s_cbranch_execnz .LBB834_243
.LBB834_163:
	s_or_b64 exec, exec, s[30:31]
	s_and_b64 exec, exec, s[38:39]
	s_cbranch_execz .LBB834_165
.LBB834_164:
	v_sub_u32_e32 v16, v26, v9
	v_mov_b32_e32 v17, 0
	v_lshlrev_b64 v[16:17], 2, v[16:17]
	v_add_co_u32_e32 v16, vcc, v13, v16
	v_addc_co_u32_e32 v17, vcc, v14, v17, vcc
	global_store_dword v[16:17], v27, off
.LBB834_165:
	s_or_b64 exec, exec, s[34:35]
	s_mov_b64 s[34:35], 0
.LBB834_166:
	s_and_b64 vcc, exec, s[34:35]
	s_cbranch_vccz .LBB834_188
; %bb.167:
	v_cmp_gt_i16_e32 vcc, 2, v10
	s_and_saveexec_b64 s[30:31], vcc
	s_cbranch_execz .LBB834_172
; %bb.168:
	v_cmp_ne_u16_e32 vcc, 1, v10
	s_mov_b64 s[38:39], 0
	s_and_saveexec_b64 s[34:35], vcc
	s_xor_b64 s[34:35], exec, s[34:35]
	s_cbranch_execnz .LBB834_244
; %bb.169:
	s_andn2_saveexec_b64 s[0:1], s[34:35]
	s_cbranch_execnz .LBB834_260
.LBB834_170:
	s_or_b64 exec, exec, s[0:1]
	s_and_b64 exec, exec, s[38:39]
	s_cbranch_execz .LBB834_172
.LBB834_171:
	v_sub_u32_e32 v9, v26, v9
	v_lshlrev_b32_e32 v9, 2, v9
	ds_write_b32 v9, v27
.LBB834_172:
	s_or_b64 exec, exec, s[30:31]
	v_cmp_lt_u32_e32 vcc, v0, v3
	s_waitcnt lgkmcnt(0)
	s_barrier
	s_and_saveexec_b64 s[2:3], vcc
	s_cbranch_execz .LBB834_187
; %bb.173:
	v_add_u32_e32 v10, v2, v8
	v_xad_u32 v8, v0, -1, v10
	v_sub_u32_e32 v9, v8, v1
	s_movk_i32 s0, 0x1900
	v_cmp_gt_u32_e64 s[4:5], s0, v9
	s_movk_i32 s0, 0x18ff
	v_cmp_lt_u32_e32 vcc, s0, v9
	v_mov_b32_e32 v8, v0
	s_and_saveexec_b64 s[6:7], vcc
	s_cbranch_execz .LBB834_184
; %bb.174:
	v_sub_u32_e32 v8, v0, v10
	v_add_u32_e32 v1, v8, v1
	v_or_b32_e32 v1, 0xff, v1
	v_cmp_ge_u32_e32 vcc, v1, v0
	s_mov_b64 s[0:1], -1
	v_mov_b32_e32 v8, v0
	s_and_saveexec_b64 s[8:9], vcc
	s_cbranch_execz .LBB834_183
; %bb.175:
	v_lshrrev_b32_e32 v15, 8, v9
	v_add_u32_e32 v8, -1, v15
	v_or_b32_e32 v1, 0x100, v0
	v_lshrrev_b32_e32 v9, 1, v8
	v_add_u32_e32 v17, 1, v9
	v_cmp_lt_u32_e32 vcc, 13, v8
	v_mov_b32_e32 v20, 0
	v_lshlrev_b32_e32 v16, 2, v0
	v_pk_mov_b32 v[8:9], v[0:1], v[0:1] op_sel:[0,1]
	s_and_saveexec_b64 s[10:11], vcc
	s_cbranch_execz .LBB834_179
; %bb.176:
	v_and_b32_e32 v18, -8, v17
	s_mov_b32 s14, 0
	s_mov_b64 s[12:13], 0
	v_mov_b32_e32 v11, 0
	v_mov_b32_e32 v19, v16
	v_pk_mov_b32 v[8:9], v[0:1], v[0:1] op_sel:[0,1]
.LBB834_177:                            ; =>This Inner Loop Header: Depth=1
	v_mov_b32_e32 v10, v8
	v_add_u32_e32 v18, -8, v18
	v_lshlrev_b64 v[50:51], 2, v[10:11]
	v_mov_b32_e32 v10, v9
	ds_read2st64_b32 v[22:23], v19 offset1:4
	s_add_i32 s14, s14, 16
	v_cmp_eq_u32_e32 vcc, 0, v18
	v_lshlrev_b64 v[54:55], 2, v[10:11]
	v_add_u32_e32 v10, 0x200, v8
	s_or_b64 s[12:13], vcc, s[12:13]
	v_add_co_u32_e32 v54, vcc, v13, v54
	v_add_u32_e32 v20, 0x200, v9
	v_mov_b32_e32 v21, v11
	ds_read2st64_b32 v[24:25], v19 offset0:8 offset1:12
	ds_read2st64_b32 v[28:29], v19 offset0:16 offset1:20
	v_add_co_u32_e64 v50, s[0:1], v13, v50
	v_addc_co_u32_e32 v55, vcc, v14, v55, vcc
	v_lshlrev_b64 v[56:57], 2, v[10:11]
	v_lshlrev_b64 v[52:53], 2, v[20:21]
	v_addc_co_u32_e64 v51, s[0:1], v14, v51, s[0:1]
	v_add_u32_e32 v10, 0x400, v8
	v_add_co_u32_e32 v56, vcc, v13, v56
	v_add_u32_e32 v26, 0x400, v9
	v_mov_b32_e32 v27, v11
	ds_read2st64_b32 v[32:33], v19 offset0:24 offset1:28
	v_add_co_u32_e64 v52, s[0:1], v13, v52
	v_addc_co_u32_e32 v57, vcc, v14, v57, vcc
	v_lshlrev_b64 v[58:59], 2, v[10:11]
	ds_read2st64_b32 v[36:37], v19 offset0:32 offset1:36
	ds_read2st64_b32 v[40:41], v19 offset0:40 offset1:44
	;; [unrolled: 1-line block ×4, first 2 shown]
	v_lshlrev_b64 v[26:27], 2, v[26:27]
	v_addc_co_u32_e64 v53, s[0:1], v14, v53, s[0:1]
	v_add_u32_e32 v10, 0x600, v8
	s_waitcnt lgkmcnt(7)
	global_store_dword v[50:51], v22, off
	global_store_dword v[54:55], v23, off
	s_waitcnt lgkmcnt(6)
	global_store_dword v[56:57], v24, off
	global_store_dword v[52:53], v25, off
	v_add_co_u32_e32 v22, vcc, v13, v58
	v_add_u32_e32 v30, 0x600, v9
	v_mov_b32_e32 v31, v11
	v_add_co_u32_e64 v26, s[0:1], v13, v26
	v_addc_co_u32_e32 v23, vcc, v14, v59, vcc
	v_lshlrev_b64 v[24:25], 2, v[10:11]
	v_lshlrev_b64 v[30:31], 2, v[30:31]
	v_addc_co_u32_e64 v27, s[0:1], v14, v27, s[0:1]
	v_add_u32_e32 v10, 0x800, v8
	s_waitcnt lgkmcnt(5)
	global_store_dword v[22:23], v28, off
	global_store_dword v[26:27], v29, off
	v_add_co_u32_e32 v22, vcc, v13, v24
	v_add_u32_e32 v34, 0x800, v9
	v_mov_b32_e32 v35, v11
	v_add_co_u32_e64 v30, s[0:1], v13, v30
	v_addc_co_u32_e32 v23, vcc, v14, v25, vcc
	v_lshlrev_b64 v[24:25], 2, v[10:11]
	v_lshlrev_b64 v[34:35], 2, v[34:35]
	v_addc_co_u32_e64 v31, s[0:1], v14, v31, s[0:1]
	v_add_u32_e32 v10, 0xa00, v8
	;; [unrolled: 12-line block ×4, first 2 shown]
	s_waitcnt lgkmcnt(2)
	global_store_dword v[22:23], v40, off
	global_store_dword v[38:39], v41, off
	v_add_co_u32_e32 v22, vcc, v13, v24
	v_add_u32_e32 v46, 0xe00, v9
	v_mov_b32_e32 v47, v11
	v_add_co_u32_e64 v42, s[0:1], v13, v42
	v_addc_co_u32_e32 v23, vcc, v14, v25, vcc
	v_lshlrev_b64 v[24:25], 2, v[10:11]
	v_lshlrev_b64 v[46:47], 2, v[46:47]
	v_addc_co_u32_e64 v43, s[0:1], v14, v43, s[0:1]
	s_waitcnt lgkmcnt(1)
	global_store_dword v[22:23], v44, off
	global_store_dword v[42:43], v45, off
	v_add_co_u32_e32 v22, vcc, v13, v24
	v_add_u32_e32 v19, 0x4000, v19
	v_add_u32_e32 v9, 0x1000, v9
	v_mov_b32_e32 v20, s14
	v_add_co_u32_e64 v46, s[0:1], v13, v46
	v_add_u32_e32 v8, 0x1000, v8
	v_addc_co_u32_e32 v23, vcc, v14, v25, vcc
	v_addc_co_u32_e64 v47, s[0:1], v14, v47, s[0:1]
	s_waitcnt lgkmcnt(0)
	global_store_dword v[22:23], v48, off
	global_store_dword v[46:47], v49, off
	s_andn2_b64 exec, exec, s[12:13]
	s_cbranch_execnz .LBB834_177
; %bb.178:
	s_or_b64 exec, exec, s[12:13]
.LBB834_179:
	s_or_b64 exec, exec, s[10:11]
	v_and_b32_e32 v1, 7, v17
	v_cmp_ne_u32_e32 vcc, 0, v1
	s_and_saveexec_b64 s[10:11], vcc
	s_cbranch_execz .LBB834_182
; %bb.180:
	v_lshl_or_b32 v16, v20, 10, v16
	s_mov_b64 s[12:13], 0
	v_mov_b32_e32 v11, 0
.LBB834_181:                            ; =>This Inner Loop Header: Depth=1
	ds_read2st64_b32 v[18:19], v16 offset1:4
	v_mov_b32_e32 v10, v8
	v_add_u32_e32 v1, -1, v1
	v_lshlrev_b64 v[20:21], 2, v[10:11]
	v_mov_b32_e32 v10, v9
	v_cmp_eq_u32_e32 vcc, 0, v1
	v_add_co_u32_e64 v20, s[0:1], v13, v20
	v_lshlrev_b64 v[22:23], 2, v[10:11]
	v_add_u32_e32 v8, 0x200, v8
	v_add_u32_e32 v16, 0x800, v16
	;; [unrolled: 1-line block ×3, first 2 shown]
	v_addc_co_u32_e64 v21, s[0:1], v14, v21, s[0:1]
	s_or_b64 s[12:13], vcc, s[12:13]
	v_add_co_u32_e32 v22, vcc, v13, v22
	v_addc_co_u32_e32 v23, vcc, v14, v23, vcc
	s_waitcnt lgkmcnt(0)
	global_store_dword v[20:21], v18, off
	global_store_dword v[22:23], v19, off
	s_andn2_b64 exec, exec, s[12:13]
	s_cbranch_execnz .LBB834_181
.LBB834_182:
	s_or_b64 exec, exec, s[10:11]
	v_add_u32_e32 v1, 1, v15
	v_and_b32_e32 v9, 0x1fffffe, v1
	v_cmp_ne_u32_e32 vcc, v1, v9
	v_lshl_or_b32 v8, v9, 8, v0
	s_orn2_b64 s[0:1], vcc, exec
.LBB834_183:
	s_or_b64 exec, exec, s[8:9]
	s_andn2_b64 s[4:5], s[4:5], exec
	s_and_b64 s[0:1], s[0:1], exec
	s_or_b64 s[4:5], s[4:5], s[0:1]
.LBB834_184:
	s_or_b64 exec, exec, s[6:7]
	s_and_b64 exec, exec, s[4:5]
	s_cbranch_execz .LBB834_187
; %bb.185:
	v_lshlrev_b32_e32 v1, 2, v8
	s_mov_b64 s[0:1], 0
	v_mov_b32_e32 v9, 0
.LBB834_186:                            ; =>This Inner Loop Header: Depth=1
	v_lshlrev_b64 v[10:11], 2, v[8:9]
	ds_read_b32 v15, v1
	v_add_co_u32_e32 v10, vcc, v13, v10
	v_add_u32_e32 v8, 0x100, v8
	v_addc_co_u32_e32 v11, vcc, v14, v11, vcc
	v_cmp_ge_u32_e32 vcc, v8, v3
	v_add_u32_e32 v1, 0x400, v1
	s_or_b64 s[0:1], vcc, s[0:1]
	s_waitcnt lgkmcnt(0)
	global_store_dword v[10:11], v15, off
	s_andn2_b64 exec, exec, s[0:1]
	s_cbranch_execnz .LBB834_186
.LBB834_187:
	s_or_b64 exec, exec, s[2:3]
.LBB834_188:
	s_movk_i32 s0, 0xff
	v_cmp_eq_u32_e32 vcc, s0, v0
	s_and_b64 s[0:1], vcc, s[36:37]
	s_and_saveexec_b64 s[2:3], s[0:1]
	s_cbranch_execz .LBB834_191
; %bb.189:
	v_add_co_u32_e32 v0, vcc, v2, v4
	v_addc_co_u32_e64 v1, s[0:1], 0, 0, vcc
	v_add_co_u32_e32 v0, vcc, v0, v6
	v_mov_b32_e32 v3, 0
	v_addc_co_u32_e32 v1, vcc, v1, v7, vcc
	s_cmpk_lg_i32 s33, 0xf00
	global_store_dwordx2 v3, v[0:1], s[54:55]
	s_cbranch_scc1 .LBB834_191
; %bb.190:
	v_lshlrev_b64 v[0:1], 2, v[2:3]
	v_add_co_u32_e32 v0, vcc, v5, v0
	v_addc_co_u32_e32 v1, vcc, v12, v1, vcc
	global_store_dword v[0:1], v80, off offset:-4
.LBB834_191:
	s_endpgm
.LBB834_192:
	s_or_b64 exec, exec, s[6:7]
	v_mov_b32_e32 v81, s10
	s_and_saveexec_b64 s[2:3], s[34:35]
	s_cbranch_execnz .LBB834_88
	s_branch .LBB834_89
.LBB834_193:
	s_and_saveexec_b64 s[42:43], s[30:31]
	s_cbranch_execnz .LBB834_261
; %bb.194:
	s_or_b64 exec, exec, s[42:43]
	s_and_saveexec_b64 s[42:43], s[28:29]
	s_cbranch_execnz .LBB834_262
.LBB834_195:
	s_or_b64 exec, exec, s[42:43]
	s_and_saveexec_b64 s[42:43], s[26:27]
	s_cbranch_execnz .LBB834_263
.LBB834_196:
	s_or_b64 exec, exec, s[42:43]
	s_and_saveexec_b64 s[42:43], s[24:25]
	s_cbranch_execnz .LBB834_264
.LBB834_197:
	s_or_b64 exec, exec, s[42:43]
	s_and_saveexec_b64 s[42:43], s[22:23]
	s_cbranch_execnz .LBB834_265
.LBB834_198:
	s_or_b64 exec, exec, s[42:43]
	s_and_saveexec_b64 s[42:43], s[20:21]
	s_cbranch_execnz .LBB834_266
.LBB834_199:
	s_or_b64 exec, exec, s[42:43]
	s_and_saveexec_b64 s[42:43], s[18:19]
	s_cbranch_execnz .LBB834_267
.LBB834_200:
	s_or_b64 exec, exec, s[42:43]
	s_and_saveexec_b64 s[42:43], s[16:17]
	s_cbranch_execnz .LBB834_268
.LBB834_201:
	s_or_b64 exec, exec, s[42:43]
	s_and_saveexec_b64 s[42:43], s[14:15]
	s_cbranch_execnz .LBB834_269
.LBB834_202:
	s_or_b64 exec, exec, s[42:43]
	s_and_saveexec_b64 s[42:43], s[12:13]
	s_cbranch_execnz .LBB834_270
.LBB834_203:
	s_or_b64 exec, exec, s[42:43]
	s_and_saveexec_b64 s[42:43], s[10:11]
	s_cbranch_execnz .LBB834_271
.LBB834_204:
	s_or_b64 exec, exec, s[42:43]
	s_and_saveexec_b64 s[42:43], s[8:9]
	s_cbranch_execnz .LBB834_272
.LBB834_205:
	s_or_b64 exec, exec, s[42:43]
	s_and_saveexec_b64 s[42:43], s[6:7]
	s_cbranch_execnz .LBB834_273
.LBB834_206:
	s_or_b64 exec, exec, s[42:43]
	s_and_saveexec_b64 s[42:43], s[4:5]
	s_cbranch_execz .LBB834_208
.LBB834_207:
	v_sub_u32_e32 v32, v30, v4
	v_mov_b32_e32 v33, 0
	v_lshlrev_b64 v[32:33], 2, v[32:33]
	v_add_co_u32_e32 v32, vcc, v3, v32
	v_addc_co_u32_e32 v33, vcc, v5, v33, vcc
	global_store_dword v[32:33], v9, off
.LBB834_208:
	s_or_b64 exec, exec, s[42:43]
	s_and_b64 s[42:43], s[2:3], exec
	s_andn2_saveexec_b64 s[34:35], s[34:35]
	s_cbranch_execz .LBB834_134
.LBB834_209:
	v_sub_u32_e32 v32, v64, v4
	v_mov_b32_e32 v33, 0
	v_lshlrev_b64 v[36:37], 2, v[32:33]
	v_add_co_u32_e32 v36, vcc, v3, v36
	v_addc_co_u32_e32 v37, vcc, v5, v37, vcc
	v_sub_u32_e32 v32, v62, v4
	global_store_dword v[36:37], v20, off
	v_lshlrev_b64 v[36:37], 2, v[32:33]
	v_add_co_u32_e32 v36, vcc, v3, v36
	v_addc_co_u32_e32 v37, vcc, v5, v37, vcc
	v_sub_u32_e32 v32, v60, v4
	global_store_dword v[36:37], v21, off
	;; [unrolled: 5-line block ×12, first 2 shown]
	v_lshlrev_b64 v[36:37], 2, v[32:33]
	v_add_co_u32_e32 v36, vcc, v3, v36
	v_sub_u32_e32 v32, v30, v4
	v_addc_co_u32_e32 v37, vcc, v5, v37, vcc
	v_lshlrev_b64 v[32:33], 2, v[32:33]
	v_add_co_u32_e32 v32, vcc, v3, v32
	v_addc_co_u32_e32 v33, vcc, v5, v33, vcc
	s_or_b64 s[42:43], s[42:43], exec
	global_store_dword v[36:37], v8, off
	global_store_dword v[32:33], v9, off
	s_or_b64 exec, exec, s[34:35]
	s_and_b64 exec, exec, s[42:43]
	s_cbranch_execnz .LBB834_135
	s_branch .LBB834_136
.LBB834_210:
	s_and_saveexec_b64 s[42:43], s[30:31]
	s_cbranch_execnz .LBB834_274
; %bb.211:
	s_or_b64 exec, exec, s[42:43]
	s_and_saveexec_b64 s[30:31], s[28:29]
	s_cbranch_execnz .LBB834_275
.LBB834_212:
	s_or_b64 exec, exec, s[30:31]
	s_and_saveexec_b64 s[28:29], s[26:27]
	s_cbranch_execnz .LBB834_276
.LBB834_213:
	s_or_b64 exec, exec, s[28:29]
	s_and_saveexec_b64 s[26:27], s[24:25]
	s_cbranch_execnz .LBB834_277
.LBB834_214:
	s_or_b64 exec, exec, s[26:27]
	s_and_saveexec_b64 s[24:25], s[22:23]
	s_cbranch_execnz .LBB834_278
.LBB834_215:
	s_or_b64 exec, exec, s[24:25]
	s_and_saveexec_b64 s[22:23], s[20:21]
	s_cbranch_execnz .LBB834_279
.LBB834_216:
	s_or_b64 exec, exec, s[22:23]
	s_and_saveexec_b64 s[20:21], s[18:19]
	s_cbranch_execnz .LBB834_280
.LBB834_217:
	s_or_b64 exec, exec, s[20:21]
	s_and_saveexec_b64 s[18:19], s[16:17]
	s_cbranch_execnz .LBB834_281
.LBB834_218:
	s_or_b64 exec, exec, s[18:19]
	s_and_saveexec_b64 s[16:17], s[14:15]
	s_cbranch_execnz .LBB834_282
.LBB834_219:
	s_or_b64 exec, exec, s[16:17]
	s_and_saveexec_b64 s[14:15], s[12:13]
	s_cbranch_execnz .LBB834_283
.LBB834_220:
	s_or_b64 exec, exec, s[14:15]
	s_and_saveexec_b64 s[12:13], s[10:11]
	s_cbranch_execnz .LBB834_284
.LBB834_221:
	s_or_b64 exec, exec, s[12:13]
	s_and_saveexec_b64 s[10:11], s[8:9]
	s_cbranch_execnz .LBB834_285
.LBB834_222:
	s_or_b64 exec, exec, s[10:11]
	s_and_saveexec_b64 s[8:9], s[6:7]
	s_cbranch_execnz .LBB834_286
.LBB834_223:
	s_or_b64 exec, exec, s[8:9]
	s_and_saveexec_b64 s[6:7], s[4:5]
	s_cbranch_execz .LBB834_225
.LBB834_224:
	v_sub_u32_e32 v8, v30, v4
	v_lshlrev_b32_e32 v8, 2, v8
	ds_write_b32 v8, v9
.LBB834_225:
	s_or_b64 exec, exec, s[6:7]
	s_and_b64 s[42:43], s[2:3], exec
                                        ; implicit-def: $vgpr8
                                        ; implicit-def: $vgpr10
                                        ; implicit-def: $vgpr12
                                        ; implicit-def: $vgpr14
                                        ; implicit-def: $vgpr16
                                        ; implicit-def: $vgpr18
                                        ; implicit-def: $vgpr20
	s_andn2_saveexec_b64 s[2:3], s[40:41]
	s_cbranch_execz .LBB834_141
.LBB834_226:
	v_sub_u32_e32 v28, v64, v4
	v_lshlrev_b32_e32 v28, 2, v28
	ds_write_b32 v28, v20
	v_sub_u32_e32 v20, v62, v4
	v_lshlrev_b32_e32 v20, 2, v20
	ds_write_b32 v20, v21
	;; [unrolled: 3-line block ×13, first 2 shown]
	v_sub_u32_e32 v8, v30, v4
	v_lshlrev_b32_e32 v8, 2, v8
	s_or_b64 s[42:43], s[42:43], exec
	ds_write_b32 v8, v9
	s_or_b64 exec, exec, s[2:3]
	s_and_b64 exec, exec, s[42:43]
	s_cbranch_execnz .LBB834_142
	s_branch .LBB834_143
.LBB834_227:
	s_and_saveexec_b64 s[38:39], s[28:29]
	s_cbranch_execnz .LBB834_287
; %bb.228:
	s_or_b64 exec, exec, s[38:39]
	s_and_saveexec_b64 s[38:39], s[26:27]
	s_cbranch_execnz .LBB834_288
.LBB834_229:
	s_or_b64 exec, exec, s[38:39]
	s_and_saveexec_b64 s[38:39], s[24:25]
	s_cbranch_execnz .LBB834_289
.LBB834_230:
	s_or_b64 exec, exec, s[38:39]
	s_and_saveexec_b64 s[38:39], s[22:23]
	s_cbranch_execnz .LBB834_290
.LBB834_231:
	s_or_b64 exec, exec, s[38:39]
	s_and_saveexec_b64 s[38:39], s[20:21]
	s_cbranch_execnz .LBB834_291
.LBB834_232:
	s_or_b64 exec, exec, s[38:39]
	s_and_saveexec_b64 s[38:39], s[18:19]
	s_cbranch_execnz .LBB834_292
.LBB834_233:
	s_or_b64 exec, exec, s[38:39]
	s_and_saveexec_b64 s[38:39], s[16:17]
	s_cbranch_execnz .LBB834_293
.LBB834_234:
	s_or_b64 exec, exec, s[38:39]
	s_and_saveexec_b64 s[38:39], s[14:15]
	s_cbranch_execnz .LBB834_294
.LBB834_235:
	s_or_b64 exec, exec, s[38:39]
	s_and_saveexec_b64 s[38:39], s[12:13]
	s_cbranch_execnz .LBB834_295
.LBB834_236:
	s_or_b64 exec, exec, s[38:39]
	s_and_saveexec_b64 s[38:39], s[10:11]
	s_cbranch_execnz .LBB834_296
.LBB834_237:
	s_or_b64 exec, exec, s[38:39]
	s_and_saveexec_b64 s[38:39], s[8:9]
	s_cbranch_execnz .LBB834_297
.LBB834_238:
	s_or_b64 exec, exec, s[38:39]
	s_and_saveexec_b64 s[38:39], s[6:7]
	s_cbranch_execnz .LBB834_298
.LBB834_239:
	s_or_b64 exec, exec, s[38:39]
	s_and_saveexec_b64 s[38:39], s[4:5]
	s_cbranch_execnz .LBB834_299
.LBB834_240:
	s_or_b64 exec, exec, s[38:39]
	s_and_saveexec_b64 s[38:39], s[2:3]
	s_cbranch_execz .LBB834_242
.LBB834_241:
	v_sub_u32_e32 v16, v30, v9
	v_mov_b32_e32 v17, 0
	v_lshlrev_b64 v[16:17], 2, v[16:17]
	v_add_co_u32_e32 v16, vcc, v13, v16
	v_addc_co_u32_e32 v17, vcc, v14, v17, vcc
	global_store_dword v[16:17], v31, off
.LBB834_242:
	s_or_b64 exec, exec, s[38:39]
	s_and_b64 s[38:39], s[0:1], exec
	s_andn2_saveexec_b64 s[30:31], s[30:31]
	s_cbranch_execz .LBB834_163
.LBB834_243:
	v_sub_u32_e32 v16, v64, v9
	v_mov_b32_e32 v17, 0
	v_lshlrev_b64 v[18:19], 2, v[16:17]
	v_add_co_u32_e32 v18, vcc, v13, v18
	v_addc_co_u32_e32 v19, vcc, v14, v19, vcc
	v_sub_u32_e32 v16, v62, v9
	global_store_dword v[18:19], v65, off
	v_lshlrev_b64 v[18:19], 2, v[16:17]
	v_add_co_u32_e32 v18, vcc, v13, v18
	v_addc_co_u32_e32 v19, vcc, v14, v19, vcc
	v_sub_u32_e32 v16, v60, v9
	global_store_dword v[18:19], v63, off
	;; [unrolled: 5-line block ×12, first 2 shown]
	v_lshlrev_b64 v[18:19], 2, v[16:17]
	v_add_co_u32_e32 v18, vcc, v13, v18
	v_sub_u32_e32 v16, v30, v9
	v_addc_co_u32_e32 v19, vcc, v14, v19, vcc
	v_lshlrev_b64 v[16:17], 2, v[16:17]
	v_add_co_u32_e32 v16, vcc, v13, v16
	v_addc_co_u32_e32 v17, vcc, v14, v17, vcc
	s_or_b64 s[38:39], s[38:39], exec
	global_store_dword v[18:19], v35, off
	global_store_dword v[16:17], v31, off
	s_or_b64 exec, exec, s[30:31]
	s_and_b64 exec, exec, s[38:39]
	s_cbranch_execnz .LBB834_164
	s_branch .LBB834_165
.LBB834_244:
	s_and_saveexec_b64 s[38:39], s[28:29]
	s_cbranch_execnz .LBB834_300
; %bb.245:
	s_or_b64 exec, exec, s[38:39]
	s_and_saveexec_b64 s[28:29], s[26:27]
	s_cbranch_execnz .LBB834_301
.LBB834_246:
	s_or_b64 exec, exec, s[28:29]
	s_and_saveexec_b64 s[26:27], s[24:25]
	s_cbranch_execnz .LBB834_302
.LBB834_247:
	s_or_b64 exec, exec, s[26:27]
	s_and_saveexec_b64 s[24:25], s[22:23]
	s_cbranch_execnz .LBB834_303
.LBB834_248:
	s_or_b64 exec, exec, s[24:25]
	s_and_saveexec_b64 s[22:23], s[20:21]
	s_cbranch_execnz .LBB834_304
.LBB834_249:
	s_or_b64 exec, exec, s[22:23]
	s_and_saveexec_b64 s[20:21], s[18:19]
	s_cbranch_execnz .LBB834_305
.LBB834_250:
	s_or_b64 exec, exec, s[20:21]
	s_and_saveexec_b64 s[18:19], s[16:17]
	s_cbranch_execnz .LBB834_306
.LBB834_251:
	s_or_b64 exec, exec, s[18:19]
	s_and_saveexec_b64 s[16:17], s[14:15]
	s_cbranch_execnz .LBB834_307
.LBB834_252:
	s_or_b64 exec, exec, s[16:17]
	s_and_saveexec_b64 s[14:15], s[12:13]
	s_cbranch_execnz .LBB834_308
.LBB834_253:
	s_or_b64 exec, exec, s[14:15]
	s_and_saveexec_b64 s[12:13], s[10:11]
	s_cbranch_execnz .LBB834_309
.LBB834_254:
	s_or_b64 exec, exec, s[12:13]
	s_and_saveexec_b64 s[10:11], s[8:9]
	s_cbranch_execnz .LBB834_310
.LBB834_255:
	s_or_b64 exec, exec, s[10:11]
	s_and_saveexec_b64 s[8:9], s[6:7]
	s_cbranch_execnz .LBB834_311
.LBB834_256:
	s_or_b64 exec, exec, s[8:9]
	s_and_saveexec_b64 s[6:7], s[4:5]
	s_cbranch_execnz .LBB834_312
.LBB834_257:
	s_or_b64 exec, exec, s[6:7]
	s_and_saveexec_b64 s[4:5], s[2:3]
	s_cbranch_execz .LBB834_259
.LBB834_258:
	v_sub_u32_e32 v10, v30, v9
	v_lshlrev_b32_e32 v10, 2, v10
	ds_write_b32 v10, v31
.LBB834_259:
	s_or_b64 exec, exec, s[4:5]
	s_and_b64 s[38:39], s[0:1], exec
                                        ; implicit-def: $vgpr64_vgpr65
                                        ; implicit-def: $vgpr62_vgpr63
                                        ; implicit-def: $vgpr60_vgpr61
                                        ; implicit-def: $vgpr58_vgpr59
                                        ; implicit-def: $vgpr56_vgpr57
                                        ; implicit-def: $vgpr54_vgpr55
                                        ; implicit-def: $vgpr52_vgpr53
                                        ; implicit-def: $vgpr50_vgpr51
                                        ; implicit-def: $vgpr46_vgpr47
                                        ; implicit-def: $vgpr44_vgpr45
                                        ; implicit-def: $vgpr40_vgpr41
                                        ; implicit-def: $vgpr38_vgpr39
                                        ; implicit-def: $vgpr34_vgpr35
                                        ; implicit-def: $vgpr30_vgpr31
	s_andn2_saveexec_b64 s[0:1], s[34:35]
	s_cbranch_execz .LBB834_170
.LBB834_260:
	v_sub_u32_e32 v10, v64, v9
	v_lshlrev_b32_e32 v10, 2, v10
	ds_write_b32 v10, v65
	v_sub_u32_e32 v10, v62, v9
	v_lshlrev_b32_e32 v10, 2, v10
	ds_write_b32 v10, v63
	;; [unrolled: 3-line block ×13, first 2 shown]
	v_sub_u32_e32 v10, v30, v9
	v_lshlrev_b32_e32 v10, 2, v10
	s_or_b64 s[38:39], s[38:39], exec
	ds_write_b32 v10, v31
	s_or_b64 exec, exec, s[0:1]
	s_and_b64 exec, exec, s[38:39]
	s_cbranch_execnz .LBB834_171
	s_branch .LBB834_172
.LBB834_261:
	v_sub_u32_e32 v32, v64, v4
	v_mov_b32_e32 v33, 0
	v_lshlrev_b64 v[32:33], 2, v[32:33]
	v_add_co_u32_e32 v32, vcc, v3, v32
	v_addc_co_u32_e32 v33, vcc, v5, v33, vcc
	global_store_dword v[32:33], v20, off
	s_or_b64 exec, exec, s[42:43]
	s_and_saveexec_b64 s[42:43], s[28:29]
	s_cbranch_execz .LBB834_195
.LBB834_262:
	v_sub_u32_e32 v32, v62, v4
	v_mov_b32_e32 v33, 0
	v_lshlrev_b64 v[32:33], 2, v[32:33]
	v_add_co_u32_e32 v32, vcc, v3, v32
	v_addc_co_u32_e32 v33, vcc, v5, v33, vcc
	global_store_dword v[32:33], v21, off
	s_or_b64 exec, exec, s[42:43]
	s_and_saveexec_b64 s[42:43], s[26:27]
	s_cbranch_execz .LBB834_196
.LBB834_263:
	v_sub_u32_e32 v32, v60, v4
	v_mov_b32_e32 v33, 0
	v_lshlrev_b64 v[32:33], 2, v[32:33]
	v_add_co_u32_e32 v32, vcc, v3, v32
	v_addc_co_u32_e32 v33, vcc, v5, v33, vcc
	global_store_dword v[32:33], v18, off
	s_or_b64 exec, exec, s[42:43]
	s_and_saveexec_b64 s[42:43], s[24:25]
	s_cbranch_execz .LBB834_197
.LBB834_264:
	v_sub_u32_e32 v32, v58, v4
	v_mov_b32_e32 v33, 0
	v_lshlrev_b64 v[32:33], 2, v[32:33]
	v_add_co_u32_e32 v32, vcc, v3, v32
	v_addc_co_u32_e32 v33, vcc, v5, v33, vcc
	global_store_dword v[32:33], v19, off
	s_or_b64 exec, exec, s[42:43]
	s_and_saveexec_b64 s[42:43], s[22:23]
	s_cbranch_execz .LBB834_198
.LBB834_265:
	v_sub_u32_e32 v32, v56, v4
	v_mov_b32_e32 v33, 0
	v_lshlrev_b64 v[32:33], 2, v[32:33]
	v_add_co_u32_e32 v32, vcc, v3, v32
	v_addc_co_u32_e32 v33, vcc, v5, v33, vcc
	global_store_dword v[32:33], v16, off
	s_or_b64 exec, exec, s[42:43]
	s_and_saveexec_b64 s[42:43], s[20:21]
	s_cbranch_execz .LBB834_199
.LBB834_266:
	v_sub_u32_e32 v32, v54, v4
	v_mov_b32_e32 v33, 0
	v_lshlrev_b64 v[32:33], 2, v[32:33]
	v_add_co_u32_e32 v32, vcc, v3, v32
	v_addc_co_u32_e32 v33, vcc, v5, v33, vcc
	global_store_dword v[32:33], v17, off
	s_or_b64 exec, exec, s[42:43]
	s_and_saveexec_b64 s[42:43], s[18:19]
	s_cbranch_execz .LBB834_200
.LBB834_267:
	v_sub_u32_e32 v32, v52, v4
	v_mov_b32_e32 v33, 0
	v_lshlrev_b64 v[32:33], 2, v[32:33]
	v_add_co_u32_e32 v32, vcc, v3, v32
	v_addc_co_u32_e32 v33, vcc, v5, v33, vcc
	global_store_dword v[32:33], v14, off
	s_or_b64 exec, exec, s[42:43]
	s_and_saveexec_b64 s[42:43], s[16:17]
	s_cbranch_execz .LBB834_201
.LBB834_268:
	v_sub_u32_e32 v32, v50, v4
	v_mov_b32_e32 v33, 0
	v_lshlrev_b64 v[32:33], 2, v[32:33]
	v_add_co_u32_e32 v32, vcc, v3, v32
	v_addc_co_u32_e32 v33, vcc, v5, v33, vcc
	global_store_dword v[32:33], v15, off
	s_or_b64 exec, exec, s[42:43]
	s_and_saveexec_b64 s[42:43], s[14:15]
	s_cbranch_execz .LBB834_202
.LBB834_269:
	v_sub_u32_e32 v32, v46, v4
	v_mov_b32_e32 v33, 0
	v_lshlrev_b64 v[32:33], 2, v[32:33]
	v_add_co_u32_e32 v32, vcc, v3, v32
	v_addc_co_u32_e32 v33, vcc, v5, v33, vcc
	global_store_dword v[32:33], v12, off
	s_or_b64 exec, exec, s[42:43]
	s_and_saveexec_b64 s[42:43], s[12:13]
	s_cbranch_execz .LBB834_203
.LBB834_270:
	v_sub_u32_e32 v32, v44, v4
	v_mov_b32_e32 v33, 0
	v_lshlrev_b64 v[32:33], 2, v[32:33]
	v_add_co_u32_e32 v32, vcc, v3, v32
	v_addc_co_u32_e32 v33, vcc, v5, v33, vcc
	global_store_dword v[32:33], v13, off
	s_or_b64 exec, exec, s[42:43]
	s_and_saveexec_b64 s[42:43], s[10:11]
	s_cbranch_execz .LBB834_204
.LBB834_271:
	v_sub_u32_e32 v32, v40, v4
	v_mov_b32_e32 v33, 0
	v_lshlrev_b64 v[32:33], 2, v[32:33]
	v_add_co_u32_e32 v32, vcc, v3, v32
	v_addc_co_u32_e32 v33, vcc, v5, v33, vcc
	global_store_dword v[32:33], v10, off
	s_or_b64 exec, exec, s[42:43]
	s_and_saveexec_b64 s[42:43], s[8:9]
	s_cbranch_execz .LBB834_205
.LBB834_272:
	v_sub_u32_e32 v32, v38, v4
	v_mov_b32_e32 v33, 0
	v_lshlrev_b64 v[32:33], 2, v[32:33]
	v_add_co_u32_e32 v32, vcc, v3, v32
	v_addc_co_u32_e32 v33, vcc, v5, v33, vcc
	global_store_dword v[32:33], v11, off
	s_or_b64 exec, exec, s[42:43]
	s_and_saveexec_b64 s[42:43], s[6:7]
	s_cbranch_execz .LBB834_206
.LBB834_273:
	v_sub_u32_e32 v32, v34, v4
	v_mov_b32_e32 v33, 0
	v_lshlrev_b64 v[32:33], 2, v[32:33]
	v_add_co_u32_e32 v32, vcc, v3, v32
	v_addc_co_u32_e32 v33, vcc, v5, v33, vcc
	global_store_dword v[32:33], v8, off
	s_or_b64 exec, exec, s[42:43]
	s_and_saveexec_b64 s[42:43], s[4:5]
	s_cbranch_execnz .LBB834_207
	s_branch .LBB834_208
.LBB834_274:
	v_sub_u32_e32 v28, v64, v4
	v_lshlrev_b32_e32 v28, 2, v28
	ds_write_b32 v28, v20
	s_or_b64 exec, exec, s[42:43]
	s_and_saveexec_b64 s[30:31], s[28:29]
	s_cbranch_execz .LBB834_212
.LBB834_275:
	v_sub_u32_e32 v20, v62, v4
	v_lshlrev_b32_e32 v20, 2, v20
	ds_write_b32 v20, v21
	s_or_b64 exec, exec, s[30:31]
	s_and_saveexec_b64 s[28:29], s[26:27]
	s_cbranch_execz .LBB834_213
.LBB834_276:
	v_sub_u32_e32 v20, v60, v4
	v_lshlrev_b32_e32 v20, 2, v20
	ds_write_b32 v20, v18
	s_or_b64 exec, exec, s[28:29]
	s_and_saveexec_b64 s[26:27], s[24:25]
	s_cbranch_execz .LBB834_214
.LBB834_277:
	v_sub_u32_e32 v18, v58, v4
	v_lshlrev_b32_e32 v18, 2, v18
	ds_write_b32 v18, v19
	s_or_b64 exec, exec, s[26:27]
	s_and_saveexec_b64 s[24:25], s[22:23]
	s_cbranch_execz .LBB834_215
.LBB834_278:
	v_sub_u32_e32 v18, v56, v4
	v_lshlrev_b32_e32 v18, 2, v18
	ds_write_b32 v18, v16
	s_or_b64 exec, exec, s[24:25]
	s_and_saveexec_b64 s[22:23], s[20:21]
	s_cbranch_execz .LBB834_216
.LBB834_279:
	v_sub_u32_e32 v16, v54, v4
	v_lshlrev_b32_e32 v16, 2, v16
	ds_write_b32 v16, v17
	s_or_b64 exec, exec, s[22:23]
	s_and_saveexec_b64 s[20:21], s[18:19]
	s_cbranch_execz .LBB834_217
.LBB834_280:
	v_sub_u32_e32 v16, v52, v4
	v_lshlrev_b32_e32 v16, 2, v16
	ds_write_b32 v16, v14
	s_or_b64 exec, exec, s[20:21]
	s_and_saveexec_b64 s[18:19], s[16:17]
	s_cbranch_execz .LBB834_218
.LBB834_281:
	v_sub_u32_e32 v14, v50, v4
	v_lshlrev_b32_e32 v14, 2, v14
	ds_write_b32 v14, v15
	s_or_b64 exec, exec, s[18:19]
	s_and_saveexec_b64 s[16:17], s[14:15]
	s_cbranch_execz .LBB834_219
.LBB834_282:
	v_sub_u32_e32 v14, v46, v4
	v_lshlrev_b32_e32 v14, 2, v14
	ds_write_b32 v14, v12
	s_or_b64 exec, exec, s[16:17]
	s_and_saveexec_b64 s[14:15], s[12:13]
	s_cbranch_execz .LBB834_220
.LBB834_283:
	v_sub_u32_e32 v12, v44, v4
	v_lshlrev_b32_e32 v12, 2, v12
	ds_write_b32 v12, v13
	s_or_b64 exec, exec, s[14:15]
	s_and_saveexec_b64 s[12:13], s[10:11]
	s_cbranch_execz .LBB834_221
.LBB834_284:
	v_sub_u32_e32 v12, v40, v4
	v_lshlrev_b32_e32 v12, 2, v12
	ds_write_b32 v12, v10
	s_or_b64 exec, exec, s[12:13]
	s_and_saveexec_b64 s[10:11], s[8:9]
	s_cbranch_execz .LBB834_222
.LBB834_285:
	v_sub_u32_e32 v10, v38, v4
	v_lshlrev_b32_e32 v10, 2, v10
	ds_write_b32 v10, v11
	s_or_b64 exec, exec, s[10:11]
	s_and_saveexec_b64 s[8:9], s[6:7]
	s_cbranch_execz .LBB834_223
.LBB834_286:
	v_sub_u32_e32 v10, v34, v4
	v_lshlrev_b32_e32 v10, 2, v10
	ds_write_b32 v10, v8
	s_or_b64 exec, exec, s[8:9]
	s_and_saveexec_b64 s[6:7], s[4:5]
	s_cbranch_execnz .LBB834_224
	s_branch .LBB834_225
.LBB834_287:
	v_sub_u32_e32 v16, v64, v9
	v_mov_b32_e32 v17, 0
	v_lshlrev_b64 v[16:17], 2, v[16:17]
	v_add_co_u32_e32 v16, vcc, v13, v16
	v_addc_co_u32_e32 v17, vcc, v14, v17, vcc
	global_store_dword v[16:17], v65, off
	s_or_b64 exec, exec, s[38:39]
	s_and_saveexec_b64 s[38:39], s[26:27]
	s_cbranch_execz .LBB834_229
.LBB834_288:
	v_sub_u32_e32 v16, v62, v9
	v_mov_b32_e32 v17, 0
	v_lshlrev_b64 v[16:17], 2, v[16:17]
	v_add_co_u32_e32 v16, vcc, v13, v16
	v_addc_co_u32_e32 v17, vcc, v14, v17, vcc
	global_store_dword v[16:17], v63, off
	s_or_b64 exec, exec, s[38:39]
	s_and_saveexec_b64 s[38:39], s[24:25]
	s_cbranch_execz .LBB834_230
.LBB834_289:
	v_sub_u32_e32 v16, v60, v9
	v_mov_b32_e32 v17, 0
	v_lshlrev_b64 v[16:17], 2, v[16:17]
	v_add_co_u32_e32 v16, vcc, v13, v16
	v_addc_co_u32_e32 v17, vcc, v14, v17, vcc
	global_store_dword v[16:17], v61, off
	s_or_b64 exec, exec, s[38:39]
	s_and_saveexec_b64 s[38:39], s[22:23]
	s_cbranch_execz .LBB834_231
.LBB834_290:
	v_sub_u32_e32 v16, v58, v9
	v_mov_b32_e32 v17, 0
	v_lshlrev_b64 v[16:17], 2, v[16:17]
	v_add_co_u32_e32 v16, vcc, v13, v16
	v_addc_co_u32_e32 v17, vcc, v14, v17, vcc
	global_store_dword v[16:17], v59, off
	s_or_b64 exec, exec, s[38:39]
	s_and_saveexec_b64 s[38:39], s[20:21]
	s_cbranch_execz .LBB834_232
.LBB834_291:
	v_sub_u32_e32 v16, v56, v9
	v_mov_b32_e32 v17, 0
	v_lshlrev_b64 v[16:17], 2, v[16:17]
	v_add_co_u32_e32 v16, vcc, v13, v16
	v_addc_co_u32_e32 v17, vcc, v14, v17, vcc
	global_store_dword v[16:17], v57, off
	s_or_b64 exec, exec, s[38:39]
	s_and_saveexec_b64 s[38:39], s[18:19]
	s_cbranch_execz .LBB834_233
.LBB834_292:
	v_sub_u32_e32 v16, v54, v9
	v_mov_b32_e32 v17, 0
	v_lshlrev_b64 v[16:17], 2, v[16:17]
	v_add_co_u32_e32 v16, vcc, v13, v16
	v_addc_co_u32_e32 v17, vcc, v14, v17, vcc
	global_store_dword v[16:17], v55, off
	s_or_b64 exec, exec, s[38:39]
	s_and_saveexec_b64 s[38:39], s[16:17]
	s_cbranch_execz .LBB834_234
.LBB834_293:
	v_sub_u32_e32 v16, v52, v9
	v_mov_b32_e32 v17, 0
	v_lshlrev_b64 v[16:17], 2, v[16:17]
	v_add_co_u32_e32 v16, vcc, v13, v16
	v_addc_co_u32_e32 v17, vcc, v14, v17, vcc
	global_store_dword v[16:17], v53, off
	s_or_b64 exec, exec, s[38:39]
	s_and_saveexec_b64 s[38:39], s[14:15]
	s_cbranch_execz .LBB834_235
.LBB834_294:
	v_sub_u32_e32 v16, v50, v9
	v_mov_b32_e32 v17, 0
	v_lshlrev_b64 v[16:17], 2, v[16:17]
	v_add_co_u32_e32 v16, vcc, v13, v16
	v_addc_co_u32_e32 v17, vcc, v14, v17, vcc
	global_store_dword v[16:17], v51, off
	s_or_b64 exec, exec, s[38:39]
	s_and_saveexec_b64 s[38:39], s[12:13]
	s_cbranch_execz .LBB834_236
.LBB834_295:
	v_sub_u32_e32 v16, v46, v9
	v_mov_b32_e32 v17, 0
	v_lshlrev_b64 v[16:17], 2, v[16:17]
	v_add_co_u32_e32 v16, vcc, v13, v16
	v_addc_co_u32_e32 v17, vcc, v14, v17, vcc
	global_store_dword v[16:17], v47, off
	s_or_b64 exec, exec, s[38:39]
	s_and_saveexec_b64 s[38:39], s[10:11]
	s_cbranch_execz .LBB834_237
.LBB834_296:
	v_sub_u32_e32 v16, v44, v9
	v_mov_b32_e32 v17, 0
	v_lshlrev_b64 v[16:17], 2, v[16:17]
	v_add_co_u32_e32 v16, vcc, v13, v16
	v_addc_co_u32_e32 v17, vcc, v14, v17, vcc
	global_store_dword v[16:17], v45, off
	s_or_b64 exec, exec, s[38:39]
	s_and_saveexec_b64 s[38:39], s[8:9]
	s_cbranch_execz .LBB834_238
.LBB834_297:
	v_sub_u32_e32 v16, v40, v9
	v_mov_b32_e32 v17, 0
	v_lshlrev_b64 v[16:17], 2, v[16:17]
	v_add_co_u32_e32 v16, vcc, v13, v16
	v_addc_co_u32_e32 v17, vcc, v14, v17, vcc
	global_store_dword v[16:17], v41, off
	s_or_b64 exec, exec, s[38:39]
	s_and_saveexec_b64 s[38:39], s[6:7]
	s_cbranch_execz .LBB834_239
.LBB834_298:
	v_sub_u32_e32 v16, v38, v9
	v_mov_b32_e32 v17, 0
	v_lshlrev_b64 v[16:17], 2, v[16:17]
	v_add_co_u32_e32 v16, vcc, v13, v16
	v_addc_co_u32_e32 v17, vcc, v14, v17, vcc
	global_store_dword v[16:17], v39, off
	s_or_b64 exec, exec, s[38:39]
	s_and_saveexec_b64 s[38:39], s[4:5]
	s_cbranch_execz .LBB834_240
.LBB834_299:
	v_sub_u32_e32 v16, v34, v9
	v_mov_b32_e32 v17, 0
	v_lshlrev_b64 v[16:17], 2, v[16:17]
	v_add_co_u32_e32 v16, vcc, v13, v16
	v_addc_co_u32_e32 v17, vcc, v14, v17, vcc
	global_store_dword v[16:17], v35, off
	s_or_b64 exec, exec, s[38:39]
	s_and_saveexec_b64 s[38:39], s[2:3]
	s_cbranch_execnz .LBB834_241
	s_branch .LBB834_242
.LBB834_300:
	v_sub_u32_e32 v10, v64, v9
	v_lshlrev_b32_e32 v10, 2, v10
	ds_write_b32 v10, v65
	s_or_b64 exec, exec, s[38:39]
	s_and_saveexec_b64 s[28:29], s[26:27]
	s_cbranch_execz .LBB834_246
.LBB834_301:
	v_sub_u32_e32 v10, v62, v9
	v_lshlrev_b32_e32 v10, 2, v10
	ds_write_b32 v10, v63
	s_or_b64 exec, exec, s[28:29]
	s_and_saveexec_b64 s[26:27], s[24:25]
	s_cbranch_execz .LBB834_247
.LBB834_302:
	v_sub_u32_e32 v10, v60, v9
	v_lshlrev_b32_e32 v10, 2, v10
	ds_write_b32 v10, v61
	s_or_b64 exec, exec, s[26:27]
	s_and_saveexec_b64 s[24:25], s[22:23]
	s_cbranch_execz .LBB834_248
.LBB834_303:
	v_sub_u32_e32 v10, v58, v9
	v_lshlrev_b32_e32 v10, 2, v10
	ds_write_b32 v10, v59
	s_or_b64 exec, exec, s[24:25]
	s_and_saveexec_b64 s[22:23], s[20:21]
	s_cbranch_execz .LBB834_249
.LBB834_304:
	v_sub_u32_e32 v10, v56, v9
	v_lshlrev_b32_e32 v10, 2, v10
	ds_write_b32 v10, v57
	s_or_b64 exec, exec, s[22:23]
	s_and_saveexec_b64 s[20:21], s[18:19]
	s_cbranch_execz .LBB834_250
.LBB834_305:
	v_sub_u32_e32 v10, v54, v9
	v_lshlrev_b32_e32 v10, 2, v10
	ds_write_b32 v10, v55
	s_or_b64 exec, exec, s[20:21]
	s_and_saveexec_b64 s[18:19], s[16:17]
	s_cbranch_execz .LBB834_251
.LBB834_306:
	v_sub_u32_e32 v10, v52, v9
	v_lshlrev_b32_e32 v10, 2, v10
	ds_write_b32 v10, v53
	s_or_b64 exec, exec, s[18:19]
	s_and_saveexec_b64 s[16:17], s[14:15]
	s_cbranch_execz .LBB834_252
.LBB834_307:
	v_sub_u32_e32 v10, v50, v9
	v_lshlrev_b32_e32 v10, 2, v10
	ds_write_b32 v10, v51
	s_or_b64 exec, exec, s[16:17]
	s_and_saveexec_b64 s[14:15], s[12:13]
	s_cbranch_execz .LBB834_253
.LBB834_308:
	v_sub_u32_e32 v10, v46, v9
	v_lshlrev_b32_e32 v10, 2, v10
	ds_write_b32 v10, v47
	s_or_b64 exec, exec, s[14:15]
	s_and_saveexec_b64 s[12:13], s[10:11]
	s_cbranch_execz .LBB834_254
.LBB834_309:
	v_sub_u32_e32 v10, v44, v9
	v_lshlrev_b32_e32 v10, 2, v10
	ds_write_b32 v10, v45
	s_or_b64 exec, exec, s[12:13]
	s_and_saveexec_b64 s[10:11], s[8:9]
	s_cbranch_execz .LBB834_255
.LBB834_310:
	v_sub_u32_e32 v10, v40, v9
	v_lshlrev_b32_e32 v10, 2, v10
	ds_write_b32 v10, v41
	s_or_b64 exec, exec, s[10:11]
	s_and_saveexec_b64 s[8:9], s[6:7]
	s_cbranch_execz .LBB834_256
.LBB834_311:
	v_sub_u32_e32 v10, v38, v9
	v_lshlrev_b32_e32 v10, 2, v10
	ds_write_b32 v10, v39
	s_or_b64 exec, exec, s[8:9]
	s_and_saveexec_b64 s[6:7], s[4:5]
	s_cbranch_execz .LBB834_257
.LBB834_312:
	v_sub_u32_e32 v10, v34, v9
	v_lshlrev_b32_e32 v10, 2, v10
	ds_write_b32 v10, v35
	s_or_b64 exec, exec, s[6:7]
	s_and_saveexec_b64 s[4:5], s[2:3]
	s_cbranch_execnz .LBB834_258
	s_branch .LBB834_259
	.section	.rodata,"a",@progbits
	.p2align	6, 0x0
	.amdhsa_kernel _ZN7rocprim17ROCPRIM_400000_NS6detail17trampoline_kernelINS0_14default_configENS1_29reduce_by_key_config_selectorIijN6thrust23THRUST_200600_302600_NS4plusIjEEEEZZNS1_33reduce_by_key_impl_wrapped_configILNS1_25lookback_scan_determinismE0ES3_S9_NS6_6detail15normal_iteratorINS6_10device_ptrIiEEEENSD_INSE_IjEEEESG_SI_PmS8_NS6_8equal_toIiEEEE10hipError_tPvRmT2_T3_mT4_T5_T6_T7_T8_P12ihipStream_tbENKUlT_T0_E_clISt17integral_constantIbLb0EES12_IbLb1EEEEDaSY_SZ_EUlSY_E_NS1_11comp_targetILNS1_3genE4ELNS1_11target_archE910ELNS1_3gpuE8ELNS1_3repE0EEENS1_30default_config_static_selectorELNS0_4arch9wavefront6targetE1EEEvT1_
		.amdhsa_group_segment_fixed_size 15360
		.amdhsa_private_segment_fixed_size 0
		.amdhsa_kernarg_size 120
		.amdhsa_user_sgpr_count 6
		.amdhsa_user_sgpr_private_segment_buffer 1
		.amdhsa_user_sgpr_dispatch_ptr 0
		.amdhsa_user_sgpr_queue_ptr 0
		.amdhsa_user_sgpr_kernarg_segment_ptr 1
		.amdhsa_user_sgpr_dispatch_id 0
		.amdhsa_user_sgpr_flat_scratch_init 0
		.amdhsa_user_sgpr_kernarg_preload_length 0
		.amdhsa_user_sgpr_kernarg_preload_offset 0
		.amdhsa_user_sgpr_private_segment_size 0
		.amdhsa_uses_dynamic_stack 0
		.amdhsa_system_sgpr_private_segment_wavefront_offset 0
		.amdhsa_system_sgpr_workgroup_id_x 1
		.amdhsa_system_sgpr_workgroup_id_y 0
		.amdhsa_system_sgpr_workgroup_id_z 0
		.amdhsa_system_sgpr_workgroup_info 0
		.amdhsa_system_vgpr_workitem_id 0
		.amdhsa_next_free_vgpr 106
		.amdhsa_next_free_sgpr 66
		.amdhsa_accum_offset 108
		.amdhsa_reserve_vcc 1
		.amdhsa_reserve_flat_scratch 0
		.amdhsa_float_round_mode_32 0
		.amdhsa_float_round_mode_16_64 0
		.amdhsa_float_denorm_mode_32 3
		.amdhsa_float_denorm_mode_16_64 3
		.amdhsa_dx10_clamp 1
		.amdhsa_ieee_mode 1
		.amdhsa_fp16_overflow 0
		.amdhsa_tg_split 0
		.amdhsa_exception_fp_ieee_invalid_op 0
		.amdhsa_exception_fp_denorm_src 0
		.amdhsa_exception_fp_ieee_div_zero 0
		.amdhsa_exception_fp_ieee_overflow 0
		.amdhsa_exception_fp_ieee_underflow 0
		.amdhsa_exception_fp_ieee_inexact 0
		.amdhsa_exception_int_div_zero 0
	.end_amdhsa_kernel
	.section	.text._ZN7rocprim17ROCPRIM_400000_NS6detail17trampoline_kernelINS0_14default_configENS1_29reduce_by_key_config_selectorIijN6thrust23THRUST_200600_302600_NS4plusIjEEEEZZNS1_33reduce_by_key_impl_wrapped_configILNS1_25lookback_scan_determinismE0ES3_S9_NS6_6detail15normal_iteratorINS6_10device_ptrIiEEEENSD_INSE_IjEEEESG_SI_PmS8_NS6_8equal_toIiEEEE10hipError_tPvRmT2_T3_mT4_T5_T6_T7_T8_P12ihipStream_tbENKUlT_T0_E_clISt17integral_constantIbLb0EES12_IbLb1EEEEDaSY_SZ_EUlSY_E_NS1_11comp_targetILNS1_3genE4ELNS1_11target_archE910ELNS1_3gpuE8ELNS1_3repE0EEENS1_30default_config_static_selectorELNS0_4arch9wavefront6targetE1EEEvT1_,"axG",@progbits,_ZN7rocprim17ROCPRIM_400000_NS6detail17trampoline_kernelINS0_14default_configENS1_29reduce_by_key_config_selectorIijN6thrust23THRUST_200600_302600_NS4plusIjEEEEZZNS1_33reduce_by_key_impl_wrapped_configILNS1_25lookback_scan_determinismE0ES3_S9_NS6_6detail15normal_iteratorINS6_10device_ptrIiEEEENSD_INSE_IjEEEESG_SI_PmS8_NS6_8equal_toIiEEEE10hipError_tPvRmT2_T3_mT4_T5_T6_T7_T8_P12ihipStream_tbENKUlT_T0_E_clISt17integral_constantIbLb0EES12_IbLb1EEEEDaSY_SZ_EUlSY_E_NS1_11comp_targetILNS1_3genE4ELNS1_11target_archE910ELNS1_3gpuE8ELNS1_3repE0EEENS1_30default_config_static_selectorELNS0_4arch9wavefront6targetE1EEEvT1_,comdat
.Lfunc_end834:
	.size	_ZN7rocprim17ROCPRIM_400000_NS6detail17trampoline_kernelINS0_14default_configENS1_29reduce_by_key_config_selectorIijN6thrust23THRUST_200600_302600_NS4plusIjEEEEZZNS1_33reduce_by_key_impl_wrapped_configILNS1_25lookback_scan_determinismE0ES3_S9_NS6_6detail15normal_iteratorINS6_10device_ptrIiEEEENSD_INSE_IjEEEESG_SI_PmS8_NS6_8equal_toIiEEEE10hipError_tPvRmT2_T3_mT4_T5_T6_T7_T8_P12ihipStream_tbENKUlT_T0_E_clISt17integral_constantIbLb0EES12_IbLb1EEEEDaSY_SZ_EUlSY_E_NS1_11comp_targetILNS1_3genE4ELNS1_11target_archE910ELNS1_3gpuE8ELNS1_3repE0EEENS1_30default_config_static_selectorELNS0_4arch9wavefront6targetE1EEEvT1_, .Lfunc_end834-_ZN7rocprim17ROCPRIM_400000_NS6detail17trampoline_kernelINS0_14default_configENS1_29reduce_by_key_config_selectorIijN6thrust23THRUST_200600_302600_NS4plusIjEEEEZZNS1_33reduce_by_key_impl_wrapped_configILNS1_25lookback_scan_determinismE0ES3_S9_NS6_6detail15normal_iteratorINS6_10device_ptrIiEEEENSD_INSE_IjEEEESG_SI_PmS8_NS6_8equal_toIiEEEE10hipError_tPvRmT2_T3_mT4_T5_T6_T7_T8_P12ihipStream_tbENKUlT_T0_E_clISt17integral_constantIbLb0EES12_IbLb1EEEEDaSY_SZ_EUlSY_E_NS1_11comp_targetILNS1_3genE4ELNS1_11target_archE910ELNS1_3gpuE8ELNS1_3repE0EEENS1_30default_config_static_selectorELNS0_4arch9wavefront6targetE1EEEvT1_
                                        ; -- End function
	.section	.AMDGPU.csdata,"",@progbits
; Kernel info:
; codeLenInByte = 17120
; NumSgprs: 70
; NumVgprs: 106
; NumAgprs: 0
; TotalNumVgprs: 106
; ScratchSize: 0
; MemoryBound: 0
; FloatMode: 240
; IeeeMode: 1
; LDSByteSize: 15360 bytes/workgroup (compile time only)
; SGPRBlocks: 8
; VGPRBlocks: 13
; NumSGPRsForWavesPerEU: 70
; NumVGPRsForWavesPerEU: 106
; AccumOffset: 108
; Occupancy: 4
; WaveLimiterHint : 1
; COMPUTE_PGM_RSRC2:SCRATCH_EN: 0
; COMPUTE_PGM_RSRC2:USER_SGPR: 6
; COMPUTE_PGM_RSRC2:TRAP_HANDLER: 0
; COMPUTE_PGM_RSRC2:TGID_X_EN: 1
; COMPUTE_PGM_RSRC2:TGID_Y_EN: 0
; COMPUTE_PGM_RSRC2:TGID_Z_EN: 0
; COMPUTE_PGM_RSRC2:TIDIG_COMP_CNT: 0
; COMPUTE_PGM_RSRC3_GFX90A:ACCUM_OFFSET: 26
; COMPUTE_PGM_RSRC3_GFX90A:TG_SPLIT: 0
	.section	.text._ZN7rocprim17ROCPRIM_400000_NS6detail17trampoline_kernelINS0_14default_configENS1_29reduce_by_key_config_selectorIijN6thrust23THRUST_200600_302600_NS4plusIjEEEEZZNS1_33reduce_by_key_impl_wrapped_configILNS1_25lookback_scan_determinismE0ES3_S9_NS6_6detail15normal_iteratorINS6_10device_ptrIiEEEENSD_INSE_IjEEEESG_SI_PmS8_NS6_8equal_toIiEEEE10hipError_tPvRmT2_T3_mT4_T5_T6_T7_T8_P12ihipStream_tbENKUlT_T0_E_clISt17integral_constantIbLb0EES12_IbLb1EEEEDaSY_SZ_EUlSY_E_NS1_11comp_targetILNS1_3genE3ELNS1_11target_archE908ELNS1_3gpuE7ELNS1_3repE0EEENS1_30default_config_static_selectorELNS0_4arch9wavefront6targetE1EEEvT1_,"axG",@progbits,_ZN7rocprim17ROCPRIM_400000_NS6detail17trampoline_kernelINS0_14default_configENS1_29reduce_by_key_config_selectorIijN6thrust23THRUST_200600_302600_NS4plusIjEEEEZZNS1_33reduce_by_key_impl_wrapped_configILNS1_25lookback_scan_determinismE0ES3_S9_NS6_6detail15normal_iteratorINS6_10device_ptrIiEEEENSD_INSE_IjEEEESG_SI_PmS8_NS6_8equal_toIiEEEE10hipError_tPvRmT2_T3_mT4_T5_T6_T7_T8_P12ihipStream_tbENKUlT_T0_E_clISt17integral_constantIbLb0EES12_IbLb1EEEEDaSY_SZ_EUlSY_E_NS1_11comp_targetILNS1_3genE3ELNS1_11target_archE908ELNS1_3gpuE7ELNS1_3repE0EEENS1_30default_config_static_selectorELNS0_4arch9wavefront6targetE1EEEvT1_,comdat
	.protected	_ZN7rocprim17ROCPRIM_400000_NS6detail17trampoline_kernelINS0_14default_configENS1_29reduce_by_key_config_selectorIijN6thrust23THRUST_200600_302600_NS4plusIjEEEEZZNS1_33reduce_by_key_impl_wrapped_configILNS1_25lookback_scan_determinismE0ES3_S9_NS6_6detail15normal_iteratorINS6_10device_ptrIiEEEENSD_INSE_IjEEEESG_SI_PmS8_NS6_8equal_toIiEEEE10hipError_tPvRmT2_T3_mT4_T5_T6_T7_T8_P12ihipStream_tbENKUlT_T0_E_clISt17integral_constantIbLb0EES12_IbLb1EEEEDaSY_SZ_EUlSY_E_NS1_11comp_targetILNS1_3genE3ELNS1_11target_archE908ELNS1_3gpuE7ELNS1_3repE0EEENS1_30default_config_static_selectorELNS0_4arch9wavefront6targetE1EEEvT1_ ; -- Begin function _ZN7rocprim17ROCPRIM_400000_NS6detail17trampoline_kernelINS0_14default_configENS1_29reduce_by_key_config_selectorIijN6thrust23THRUST_200600_302600_NS4plusIjEEEEZZNS1_33reduce_by_key_impl_wrapped_configILNS1_25lookback_scan_determinismE0ES3_S9_NS6_6detail15normal_iteratorINS6_10device_ptrIiEEEENSD_INSE_IjEEEESG_SI_PmS8_NS6_8equal_toIiEEEE10hipError_tPvRmT2_T3_mT4_T5_T6_T7_T8_P12ihipStream_tbENKUlT_T0_E_clISt17integral_constantIbLb0EES12_IbLb1EEEEDaSY_SZ_EUlSY_E_NS1_11comp_targetILNS1_3genE3ELNS1_11target_archE908ELNS1_3gpuE7ELNS1_3repE0EEENS1_30default_config_static_selectorELNS0_4arch9wavefront6targetE1EEEvT1_
	.globl	_ZN7rocprim17ROCPRIM_400000_NS6detail17trampoline_kernelINS0_14default_configENS1_29reduce_by_key_config_selectorIijN6thrust23THRUST_200600_302600_NS4plusIjEEEEZZNS1_33reduce_by_key_impl_wrapped_configILNS1_25lookback_scan_determinismE0ES3_S9_NS6_6detail15normal_iteratorINS6_10device_ptrIiEEEENSD_INSE_IjEEEESG_SI_PmS8_NS6_8equal_toIiEEEE10hipError_tPvRmT2_T3_mT4_T5_T6_T7_T8_P12ihipStream_tbENKUlT_T0_E_clISt17integral_constantIbLb0EES12_IbLb1EEEEDaSY_SZ_EUlSY_E_NS1_11comp_targetILNS1_3genE3ELNS1_11target_archE908ELNS1_3gpuE7ELNS1_3repE0EEENS1_30default_config_static_selectorELNS0_4arch9wavefront6targetE1EEEvT1_
	.p2align	8
	.type	_ZN7rocprim17ROCPRIM_400000_NS6detail17trampoline_kernelINS0_14default_configENS1_29reduce_by_key_config_selectorIijN6thrust23THRUST_200600_302600_NS4plusIjEEEEZZNS1_33reduce_by_key_impl_wrapped_configILNS1_25lookback_scan_determinismE0ES3_S9_NS6_6detail15normal_iteratorINS6_10device_ptrIiEEEENSD_INSE_IjEEEESG_SI_PmS8_NS6_8equal_toIiEEEE10hipError_tPvRmT2_T3_mT4_T5_T6_T7_T8_P12ihipStream_tbENKUlT_T0_E_clISt17integral_constantIbLb0EES12_IbLb1EEEEDaSY_SZ_EUlSY_E_NS1_11comp_targetILNS1_3genE3ELNS1_11target_archE908ELNS1_3gpuE7ELNS1_3repE0EEENS1_30default_config_static_selectorELNS0_4arch9wavefront6targetE1EEEvT1_,@function
_ZN7rocprim17ROCPRIM_400000_NS6detail17trampoline_kernelINS0_14default_configENS1_29reduce_by_key_config_selectorIijN6thrust23THRUST_200600_302600_NS4plusIjEEEEZZNS1_33reduce_by_key_impl_wrapped_configILNS1_25lookback_scan_determinismE0ES3_S9_NS6_6detail15normal_iteratorINS6_10device_ptrIiEEEENSD_INSE_IjEEEESG_SI_PmS8_NS6_8equal_toIiEEEE10hipError_tPvRmT2_T3_mT4_T5_T6_T7_T8_P12ihipStream_tbENKUlT_T0_E_clISt17integral_constantIbLb0EES12_IbLb1EEEEDaSY_SZ_EUlSY_E_NS1_11comp_targetILNS1_3genE3ELNS1_11target_archE908ELNS1_3gpuE7ELNS1_3repE0EEENS1_30default_config_static_selectorELNS0_4arch9wavefront6targetE1EEEvT1_: ; @_ZN7rocprim17ROCPRIM_400000_NS6detail17trampoline_kernelINS0_14default_configENS1_29reduce_by_key_config_selectorIijN6thrust23THRUST_200600_302600_NS4plusIjEEEEZZNS1_33reduce_by_key_impl_wrapped_configILNS1_25lookback_scan_determinismE0ES3_S9_NS6_6detail15normal_iteratorINS6_10device_ptrIiEEEENSD_INSE_IjEEEESG_SI_PmS8_NS6_8equal_toIiEEEE10hipError_tPvRmT2_T3_mT4_T5_T6_T7_T8_P12ihipStream_tbENKUlT_T0_E_clISt17integral_constantIbLb0EES12_IbLb1EEEEDaSY_SZ_EUlSY_E_NS1_11comp_targetILNS1_3genE3ELNS1_11target_archE908ELNS1_3gpuE7ELNS1_3repE0EEENS1_30default_config_static_selectorELNS0_4arch9wavefront6targetE1EEEvT1_
; %bb.0:
	.section	.rodata,"a",@progbits
	.p2align	6, 0x0
	.amdhsa_kernel _ZN7rocprim17ROCPRIM_400000_NS6detail17trampoline_kernelINS0_14default_configENS1_29reduce_by_key_config_selectorIijN6thrust23THRUST_200600_302600_NS4plusIjEEEEZZNS1_33reduce_by_key_impl_wrapped_configILNS1_25lookback_scan_determinismE0ES3_S9_NS6_6detail15normal_iteratorINS6_10device_ptrIiEEEENSD_INSE_IjEEEESG_SI_PmS8_NS6_8equal_toIiEEEE10hipError_tPvRmT2_T3_mT4_T5_T6_T7_T8_P12ihipStream_tbENKUlT_T0_E_clISt17integral_constantIbLb0EES12_IbLb1EEEEDaSY_SZ_EUlSY_E_NS1_11comp_targetILNS1_3genE3ELNS1_11target_archE908ELNS1_3gpuE7ELNS1_3repE0EEENS1_30default_config_static_selectorELNS0_4arch9wavefront6targetE1EEEvT1_
		.amdhsa_group_segment_fixed_size 0
		.amdhsa_private_segment_fixed_size 0
		.amdhsa_kernarg_size 120
		.amdhsa_user_sgpr_count 6
		.amdhsa_user_sgpr_private_segment_buffer 1
		.amdhsa_user_sgpr_dispatch_ptr 0
		.amdhsa_user_sgpr_queue_ptr 0
		.amdhsa_user_sgpr_kernarg_segment_ptr 1
		.amdhsa_user_sgpr_dispatch_id 0
		.amdhsa_user_sgpr_flat_scratch_init 0
		.amdhsa_user_sgpr_kernarg_preload_length 0
		.amdhsa_user_sgpr_kernarg_preload_offset 0
		.amdhsa_user_sgpr_private_segment_size 0
		.amdhsa_uses_dynamic_stack 0
		.amdhsa_system_sgpr_private_segment_wavefront_offset 0
		.amdhsa_system_sgpr_workgroup_id_x 1
		.amdhsa_system_sgpr_workgroup_id_y 0
		.amdhsa_system_sgpr_workgroup_id_z 0
		.amdhsa_system_sgpr_workgroup_info 0
		.amdhsa_system_vgpr_workitem_id 0
		.amdhsa_next_free_vgpr 1
		.amdhsa_next_free_sgpr 0
		.amdhsa_accum_offset 4
		.amdhsa_reserve_vcc 0
		.amdhsa_reserve_flat_scratch 0
		.amdhsa_float_round_mode_32 0
		.amdhsa_float_round_mode_16_64 0
		.amdhsa_float_denorm_mode_32 3
		.amdhsa_float_denorm_mode_16_64 3
		.amdhsa_dx10_clamp 1
		.amdhsa_ieee_mode 1
		.amdhsa_fp16_overflow 0
		.amdhsa_tg_split 0
		.amdhsa_exception_fp_ieee_invalid_op 0
		.amdhsa_exception_fp_denorm_src 0
		.amdhsa_exception_fp_ieee_div_zero 0
		.amdhsa_exception_fp_ieee_overflow 0
		.amdhsa_exception_fp_ieee_underflow 0
		.amdhsa_exception_fp_ieee_inexact 0
		.amdhsa_exception_int_div_zero 0
	.end_amdhsa_kernel
	.section	.text._ZN7rocprim17ROCPRIM_400000_NS6detail17trampoline_kernelINS0_14default_configENS1_29reduce_by_key_config_selectorIijN6thrust23THRUST_200600_302600_NS4plusIjEEEEZZNS1_33reduce_by_key_impl_wrapped_configILNS1_25lookback_scan_determinismE0ES3_S9_NS6_6detail15normal_iteratorINS6_10device_ptrIiEEEENSD_INSE_IjEEEESG_SI_PmS8_NS6_8equal_toIiEEEE10hipError_tPvRmT2_T3_mT4_T5_T6_T7_T8_P12ihipStream_tbENKUlT_T0_E_clISt17integral_constantIbLb0EES12_IbLb1EEEEDaSY_SZ_EUlSY_E_NS1_11comp_targetILNS1_3genE3ELNS1_11target_archE908ELNS1_3gpuE7ELNS1_3repE0EEENS1_30default_config_static_selectorELNS0_4arch9wavefront6targetE1EEEvT1_,"axG",@progbits,_ZN7rocprim17ROCPRIM_400000_NS6detail17trampoline_kernelINS0_14default_configENS1_29reduce_by_key_config_selectorIijN6thrust23THRUST_200600_302600_NS4plusIjEEEEZZNS1_33reduce_by_key_impl_wrapped_configILNS1_25lookback_scan_determinismE0ES3_S9_NS6_6detail15normal_iteratorINS6_10device_ptrIiEEEENSD_INSE_IjEEEESG_SI_PmS8_NS6_8equal_toIiEEEE10hipError_tPvRmT2_T3_mT4_T5_T6_T7_T8_P12ihipStream_tbENKUlT_T0_E_clISt17integral_constantIbLb0EES12_IbLb1EEEEDaSY_SZ_EUlSY_E_NS1_11comp_targetILNS1_3genE3ELNS1_11target_archE908ELNS1_3gpuE7ELNS1_3repE0EEENS1_30default_config_static_selectorELNS0_4arch9wavefront6targetE1EEEvT1_,comdat
.Lfunc_end835:
	.size	_ZN7rocprim17ROCPRIM_400000_NS6detail17trampoline_kernelINS0_14default_configENS1_29reduce_by_key_config_selectorIijN6thrust23THRUST_200600_302600_NS4plusIjEEEEZZNS1_33reduce_by_key_impl_wrapped_configILNS1_25lookback_scan_determinismE0ES3_S9_NS6_6detail15normal_iteratorINS6_10device_ptrIiEEEENSD_INSE_IjEEEESG_SI_PmS8_NS6_8equal_toIiEEEE10hipError_tPvRmT2_T3_mT4_T5_T6_T7_T8_P12ihipStream_tbENKUlT_T0_E_clISt17integral_constantIbLb0EES12_IbLb1EEEEDaSY_SZ_EUlSY_E_NS1_11comp_targetILNS1_3genE3ELNS1_11target_archE908ELNS1_3gpuE7ELNS1_3repE0EEENS1_30default_config_static_selectorELNS0_4arch9wavefront6targetE1EEEvT1_, .Lfunc_end835-_ZN7rocprim17ROCPRIM_400000_NS6detail17trampoline_kernelINS0_14default_configENS1_29reduce_by_key_config_selectorIijN6thrust23THRUST_200600_302600_NS4plusIjEEEEZZNS1_33reduce_by_key_impl_wrapped_configILNS1_25lookback_scan_determinismE0ES3_S9_NS6_6detail15normal_iteratorINS6_10device_ptrIiEEEENSD_INSE_IjEEEESG_SI_PmS8_NS6_8equal_toIiEEEE10hipError_tPvRmT2_T3_mT4_T5_T6_T7_T8_P12ihipStream_tbENKUlT_T0_E_clISt17integral_constantIbLb0EES12_IbLb1EEEEDaSY_SZ_EUlSY_E_NS1_11comp_targetILNS1_3genE3ELNS1_11target_archE908ELNS1_3gpuE7ELNS1_3repE0EEENS1_30default_config_static_selectorELNS0_4arch9wavefront6targetE1EEEvT1_
                                        ; -- End function
	.section	.AMDGPU.csdata,"",@progbits
; Kernel info:
; codeLenInByte = 0
; NumSgprs: 4
; NumVgprs: 0
; NumAgprs: 0
; TotalNumVgprs: 0
; ScratchSize: 0
; MemoryBound: 0
; FloatMode: 240
; IeeeMode: 1
; LDSByteSize: 0 bytes/workgroup (compile time only)
; SGPRBlocks: 0
; VGPRBlocks: 0
; NumSGPRsForWavesPerEU: 4
; NumVGPRsForWavesPerEU: 1
; AccumOffset: 4
; Occupancy: 8
; WaveLimiterHint : 0
; COMPUTE_PGM_RSRC2:SCRATCH_EN: 0
; COMPUTE_PGM_RSRC2:USER_SGPR: 6
; COMPUTE_PGM_RSRC2:TRAP_HANDLER: 0
; COMPUTE_PGM_RSRC2:TGID_X_EN: 1
; COMPUTE_PGM_RSRC2:TGID_Y_EN: 0
; COMPUTE_PGM_RSRC2:TGID_Z_EN: 0
; COMPUTE_PGM_RSRC2:TIDIG_COMP_CNT: 0
; COMPUTE_PGM_RSRC3_GFX90A:ACCUM_OFFSET: 0
; COMPUTE_PGM_RSRC3_GFX90A:TG_SPLIT: 0
	.section	.text._ZN7rocprim17ROCPRIM_400000_NS6detail17trampoline_kernelINS0_14default_configENS1_29reduce_by_key_config_selectorIijN6thrust23THRUST_200600_302600_NS4plusIjEEEEZZNS1_33reduce_by_key_impl_wrapped_configILNS1_25lookback_scan_determinismE0ES3_S9_NS6_6detail15normal_iteratorINS6_10device_ptrIiEEEENSD_INSE_IjEEEESG_SI_PmS8_NS6_8equal_toIiEEEE10hipError_tPvRmT2_T3_mT4_T5_T6_T7_T8_P12ihipStream_tbENKUlT_T0_E_clISt17integral_constantIbLb0EES12_IbLb1EEEEDaSY_SZ_EUlSY_E_NS1_11comp_targetILNS1_3genE2ELNS1_11target_archE906ELNS1_3gpuE6ELNS1_3repE0EEENS1_30default_config_static_selectorELNS0_4arch9wavefront6targetE1EEEvT1_,"axG",@progbits,_ZN7rocprim17ROCPRIM_400000_NS6detail17trampoline_kernelINS0_14default_configENS1_29reduce_by_key_config_selectorIijN6thrust23THRUST_200600_302600_NS4plusIjEEEEZZNS1_33reduce_by_key_impl_wrapped_configILNS1_25lookback_scan_determinismE0ES3_S9_NS6_6detail15normal_iteratorINS6_10device_ptrIiEEEENSD_INSE_IjEEEESG_SI_PmS8_NS6_8equal_toIiEEEE10hipError_tPvRmT2_T3_mT4_T5_T6_T7_T8_P12ihipStream_tbENKUlT_T0_E_clISt17integral_constantIbLb0EES12_IbLb1EEEEDaSY_SZ_EUlSY_E_NS1_11comp_targetILNS1_3genE2ELNS1_11target_archE906ELNS1_3gpuE6ELNS1_3repE0EEENS1_30default_config_static_selectorELNS0_4arch9wavefront6targetE1EEEvT1_,comdat
	.protected	_ZN7rocprim17ROCPRIM_400000_NS6detail17trampoline_kernelINS0_14default_configENS1_29reduce_by_key_config_selectorIijN6thrust23THRUST_200600_302600_NS4plusIjEEEEZZNS1_33reduce_by_key_impl_wrapped_configILNS1_25lookback_scan_determinismE0ES3_S9_NS6_6detail15normal_iteratorINS6_10device_ptrIiEEEENSD_INSE_IjEEEESG_SI_PmS8_NS6_8equal_toIiEEEE10hipError_tPvRmT2_T3_mT4_T5_T6_T7_T8_P12ihipStream_tbENKUlT_T0_E_clISt17integral_constantIbLb0EES12_IbLb1EEEEDaSY_SZ_EUlSY_E_NS1_11comp_targetILNS1_3genE2ELNS1_11target_archE906ELNS1_3gpuE6ELNS1_3repE0EEENS1_30default_config_static_selectorELNS0_4arch9wavefront6targetE1EEEvT1_ ; -- Begin function _ZN7rocprim17ROCPRIM_400000_NS6detail17trampoline_kernelINS0_14default_configENS1_29reduce_by_key_config_selectorIijN6thrust23THRUST_200600_302600_NS4plusIjEEEEZZNS1_33reduce_by_key_impl_wrapped_configILNS1_25lookback_scan_determinismE0ES3_S9_NS6_6detail15normal_iteratorINS6_10device_ptrIiEEEENSD_INSE_IjEEEESG_SI_PmS8_NS6_8equal_toIiEEEE10hipError_tPvRmT2_T3_mT4_T5_T6_T7_T8_P12ihipStream_tbENKUlT_T0_E_clISt17integral_constantIbLb0EES12_IbLb1EEEEDaSY_SZ_EUlSY_E_NS1_11comp_targetILNS1_3genE2ELNS1_11target_archE906ELNS1_3gpuE6ELNS1_3repE0EEENS1_30default_config_static_selectorELNS0_4arch9wavefront6targetE1EEEvT1_
	.globl	_ZN7rocprim17ROCPRIM_400000_NS6detail17trampoline_kernelINS0_14default_configENS1_29reduce_by_key_config_selectorIijN6thrust23THRUST_200600_302600_NS4plusIjEEEEZZNS1_33reduce_by_key_impl_wrapped_configILNS1_25lookback_scan_determinismE0ES3_S9_NS6_6detail15normal_iteratorINS6_10device_ptrIiEEEENSD_INSE_IjEEEESG_SI_PmS8_NS6_8equal_toIiEEEE10hipError_tPvRmT2_T3_mT4_T5_T6_T7_T8_P12ihipStream_tbENKUlT_T0_E_clISt17integral_constantIbLb0EES12_IbLb1EEEEDaSY_SZ_EUlSY_E_NS1_11comp_targetILNS1_3genE2ELNS1_11target_archE906ELNS1_3gpuE6ELNS1_3repE0EEENS1_30default_config_static_selectorELNS0_4arch9wavefront6targetE1EEEvT1_
	.p2align	8
	.type	_ZN7rocprim17ROCPRIM_400000_NS6detail17trampoline_kernelINS0_14default_configENS1_29reduce_by_key_config_selectorIijN6thrust23THRUST_200600_302600_NS4plusIjEEEEZZNS1_33reduce_by_key_impl_wrapped_configILNS1_25lookback_scan_determinismE0ES3_S9_NS6_6detail15normal_iteratorINS6_10device_ptrIiEEEENSD_INSE_IjEEEESG_SI_PmS8_NS6_8equal_toIiEEEE10hipError_tPvRmT2_T3_mT4_T5_T6_T7_T8_P12ihipStream_tbENKUlT_T0_E_clISt17integral_constantIbLb0EES12_IbLb1EEEEDaSY_SZ_EUlSY_E_NS1_11comp_targetILNS1_3genE2ELNS1_11target_archE906ELNS1_3gpuE6ELNS1_3repE0EEENS1_30default_config_static_selectorELNS0_4arch9wavefront6targetE1EEEvT1_,@function
_ZN7rocprim17ROCPRIM_400000_NS6detail17trampoline_kernelINS0_14default_configENS1_29reduce_by_key_config_selectorIijN6thrust23THRUST_200600_302600_NS4plusIjEEEEZZNS1_33reduce_by_key_impl_wrapped_configILNS1_25lookback_scan_determinismE0ES3_S9_NS6_6detail15normal_iteratorINS6_10device_ptrIiEEEENSD_INSE_IjEEEESG_SI_PmS8_NS6_8equal_toIiEEEE10hipError_tPvRmT2_T3_mT4_T5_T6_T7_T8_P12ihipStream_tbENKUlT_T0_E_clISt17integral_constantIbLb0EES12_IbLb1EEEEDaSY_SZ_EUlSY_E_NS1_11comp_targetILNS1_3genE2ELNS1_11target_archE906ELNS1_3gpuE6ELNS1_3repE0EEENS1_30default_config_static_selectorELNS0_4arch9wavefront6targetE1EEEvT1_: ; @_ZN7rocprim17ROCPRIM_400000_NS6detail17trampoline_kernelINS0_14default_configENS1_29reduce_by_key_config_selectorIijN6thrust23THRUST_200600_302600_NS4plusIjEEEEZZNS1_33reduce_by_key_impl_wrapped_configILNS1_25lookback_scan_determinismE0ES3_S9_NS6_6detail15normal_iteratorINS6_10device_ptrIiEEEENSD_INSE_IjEEEESG_SI_PmS8_NS6_8equal_toIiEEEE10hipError_tPvRmT2_T3_mT4_T5_T6_T7_T8_P12ihipStream_tbENKUlT_T0_E_clISt17integral_constantIbLb0EES12_IbLb1EEEEDaSY_SZ_EUlSY_E_NS1_11comp_targetILNS1_3genE2ELNS1_11target_archE906ELNS1_3gpuE6ELNS1_3repE0EEENS1_30default_config_static_selectorELNS0_4arch9wavefront6targetE1EEEvT1_
; %bb.0:
	.section	.rodata,"a",@progbits
	.p2align	6, 0x0
	.amdhsa_kernel _ZN7rocprim17ROCPRIM_400000_NS6detail17trampoline_kernelINS0_14default_configENS1_29reduce_by_key_config_selectorIijN6thrust23THRUST_200600_302600_NS4plusIjEEEEZZNS1_33reduce_by_key_impl_wrapped_configILNS1_25lookback_scan_determinismE0ES3_S9_NS6_6detail15normal_iteratorINS6_10device_ptrIiEEEENSD_INSE_IjEEEESG_SI_PmS8_NS6_8equal_toIiEEEE10hipError_tPvRmT2_T3_mT4_T5_T6_T7_T8_P12ihipStream_tbENKUlT_T0_E_clISt17integral_constantIbLb0EES12_IbLb1EEEEDaSY_SZ_EUlSY_E_NS1_11comp_targetILNS1_3genE2ELNS1_11target_archE906ELNS1_3gpuE6ELNS1_3repE0EEENS1_30default_config_static_selectorELNS0_4arch9wavefront6targetE1EEEvT1_
		.amdhsa_group_segment_fixed_size 0
		.amdhsa_private_segment_fixed_size 0
		.amdhsa_kernarg_size 120
		.amdhsa_user_sgpr_count 6
		.amdhsa_user_sgpr_private_segment_buffer 1
		.amdhsa_user_sgpr_dispatch_ptr 0
		.amdhsa_user_sgpr_queue_ptr 0
		.amdhsa_user_sgpr_kernarg_segment_ptr 1
		.amdhsa_user_sgpr_dispatch_id 0
		.amdhsa_user_sgpr_flat_scratch_init 0
		.amdhsa_user_sgpr_kernarg_preload_length 0
		.amdhsa_user_sgpr_kernarg_preload_offset 0
		.amdhsa_user_sgpr_private_segment_size 0
		.amdhsa_uses_dynamic_stack 0
		.amdhsa_system_sgpr_private_segment_wavefront_offset 0
		.amdhsa_system_sgpr_workgroup_id_x 1
		.amdhsa_system_sgpr_workgroup_id_y 0
		.amdhsa_system_sgpr_workgroup_id_z 0
		.amdhsa_system_sgpr_workgroup_info 0
		.amdhsa_system_vgpr_workitem_id 0
		.amdhsa_next_free_vgpr 1
		.amdhsa_next_free_sgpr 0
		.amdhsa_accum_offset 4
		.amdhsa_reserve_vcc 0
		.amdhsa_reserve_flat_scratch 0
		.amdhsa_float_round_mode_32 0
		.amdhsa_float_round_mode_16_64 0
		.amdhsa_float_denorm_mode_32 3
		.amdhsa_float_denorm_mode_16_64 3
		.amdhsa_dx10_clamp 1
		.amdhsa_ieee_mode 1
		.amdhsa_fp16_overflow 0
		.amdhsa_tg_split 0
		.amdhsa_exception_fp_ieee_invalid_op 0
		.amdhsa_exception_fp_denorm_src 0
		.amdhsa_exception_fp_ieee_div_zero 0
		.amdhsa_exception_fp_ieee_overflow 0
		.amdhsa_exception_fp_ieee_underflow 0
		.amdhsa_exception_fp_ieee_inexact 0
		.amdhsa_exception_int_div_zero 0
	.end_amdhsa_kernel
	.section	.text._ZN7rocprim17ROCPRIM_400000_NS6detail17trampoline_kernelINS0_14default_configENS1_29reduce_by_key_config_selectorIijN6thrust23THRUST_200600_302600_NS4plusIjEEEEZZNS1_33reduce_by_key_impl_wrapped_configILNS1_25lookback_scan_determinismE0ES3_S9_NS6_6detail15normal_iteratorINS6_10device_ptrIiEEEENSD_INSE_IjEEEESG_SI_PmS8_NS6_8equal_toIiEEEE10hipError_tPvRmT2_T3_mT4_T5_T6_T7_T8_P12ihipStream_tbENKUlT_T0_E_clISt17integral_constantIbLb0EES12_IbLb1EEEEDaSY_SZ_EUlSY_E_NS1_11comp_targetILNS1_3genE2ELNS1_11target_archE906ELNS1_3gpuE6ELNS1_3repE0EEENS1_30default_config_static_selectorELNS0_4arch9wavefront6targetE1EEEvT1_,"axG",@progbits,_ZN7rocprim17ROCPRIM_400000_NS6detail17trampoline_kernelINS0_14default_configENS1_29reduce_by_key_config_selectorIijN6thrust23THRUST_200600_302600_NS4plusIjEEEEZZNS1_33reduce_by_key_impl_wrapped_configILNS1_25lookback_scan_determinismE0ES3_S9_NS6_6detail15normal_iteratorINS6_10device_ptrIiEEEENSD_INSE_IjEEEESG_SI_PmS8_NS6_8equal_toIiEEEE10hipError_tPvRmT2_T3_mT4_T5_T6_T7_T8_P12ihipStream_tbENKUlT_T0_E_clISt17integral_constantIbLb0EES12_IbLb1EEEEDaSY_SZ_EUlSY_E_NS1_11comp_targetILNS1_3genE2ELNS1_11target_archE906ELNS1_3gpuE6ELNS1_3repE0EEENS1_30default_config_static_selectorELNS0_4arch9wavefront6targetE1EEEvT1_,comdat
.Lfunc_end836:
	.size	_ZN7rocprim17ROCPRIM_400000_NS6detail17trampoline_kernelINS0_14default_configENS1_29reduce_by_key_config_selectorIijN6thrust23THRUST_200600_302600_NS4plusIjEEEEZZNS1_33reduce_by_key_impl_wrapped_configILNS1_25lookback_scan_determinismE0ES3_S9_NS6_6detail15normal_iteratorINS6_10device_ptrIiEEEENSD_INSE_IjEEEESG_SI_PmS8_NS6_8equal_toIiEEEE10hipError_tPvRmT2_T3_mT4_T5_T6_T7_T8_P12ihipStream_tbENKUlT_T0_E_clISt17integral_constantIbLb0EES12_IbLb1EEEEDaSY_SZ_EUlSY_E_NS1_11comp_targetILNS1_3genE2ELNS1_11target_archE906ELNS1_3gpuE6ELNS1_3repE0EEENS1_30default_config_static_selectorELNS0_4arch9wavefront6targetE1EEEvT1_, .Lfunc_end836-_ZN7rocprim17ROCPRIM_400000_NS6detail17trampoline_kernelINS0_14default_configENS1_29reduce_by_key_config_selectorIijN6thrust23THRUST_200600_302600_NS4plusIjEEEEZZNS1_33reduce_by_key_impl_wrapped_configILNS1_25lookback_scan_determinismE0ES3_S9_NS6_6detail15normal_iteratorINS6_10device_ptrIiEEEENSD_INSE_IjEEEESG_SI_PmS8_NS6_8equal_toIiEEEE10hipError_tPvRmT2_T3_mT4_T5_T6_T7_T8_P12ihipStream_tbENKUlT_T0_E_clISt17integral_constantIbLb0EES12_IbLb1EEEEDaSY_SZ_EUlSY_E_NS1_11comp_targetILNS1_3genE2ELNS1_11target_archE906ELNS1_3gpuE6ELNS1_3repE0EEENS1_30default_config_static_selectorELNS0_4arch9wavefront6targetE1EEEvT1_
                                        ; -- End function
	.section	.AMDGPU.csdata,"",@progbits
; Kernel info:
; codeLenInByte = 0
; NumSgprs: 4
; NumVgprs: 0
; NumAgprs: 0
; TotalNumVgprs: 0
; ScratchSize: 0
; MemoryBound: 0
; FloatMode: 240
; IeeeMode: 1
; LDSByteSize: 0 bytes/workgroup (compile time only)
; SGPRBlocks: 0
; VGPRBlocks: 0
; NumSGPRsForWavesPerEU: 4
; NumVGPRsForWavesPerEU: 1
; AccumOffset: 4
; Occupancy: 8
; WaveLimiterHint : 0
; COMPUTE_PGM_RSRC2:SCRATCH_EN: 0
; COMPUTE_PGM_RSRC2:USER_SGPR: 6
; COMPUTE_PGM_RSRC2:TRAP_HANDLER: 0
; COMPUTE_PGM_RSRC2:TGID_X_EN: 1
; COMPUTE_PGM_RSRC2:TGID_Y_EN: 0
; COMPUTE_PGM_RSRC2:TGID_Z_EN: 0
; COMPUTE_PGM_RSRC2:TIDIG_COMP_CNT: 0
; COMPUTE_PGM_RSRC3_GFX90A:ACCUM_OFFSET: 0
; COMPUTE_PGM_RSRC3_GFX90A:TG_SPLIT: 0
	.section	.text._ZN7rocprim17ROCPRIM_400000_NS6detail17trampoline_kernelINS0_14default_configENS1_29reduce_by_key_config_selectorIijN6thrust23THRUST_200600_302600_NS4plusIjEEEEZZNS1_33reduce_by_key_impl_wrapped_configILNS1_25lookback_scan_determinismE0ES3_S9_NS6_6detail15normal_iteratorINS6_10device_ptrIiEEEENSD_INSE_IjEEEESG_SI_PmS8_NS6_8equal_toIiEEEE10hipError_tPvRmT2_T3_mT4_T5_T6_T7_T8_P12ihipStream_tbENKUlT_T0_E_clISt17integral_constantIbLb0EES12_IbLb1EEEEDaSY_SZ_EUlSY_E_NS1_11comp_targetILNS1_3genE10ELNS1_11target_archE1201ELNS1_3gpuE5ELNS1_3repE0EEENS1_30default_config_static_selectorELNS0_4arch9wavefront6targetE1EEEvT1_,"axG",@progbits,_ZN7rocprim17ROCPRIM_400000_NS6detail17trampoline_kernelINS0_14default_configENS1_29reduce_by_key_config_selectorIijN6thrust23THRUST_200600_302600_NS4plusIjEEEEZZNS1_33reduce_by_key_impl_wrapped_configILNS1_25lookback_scan_determinismE0ES3_S9_NS6_6detail15normal_iteratorINS6_10device_ptrIiEEEENSD_INSE_IjEEEESG_SI_PmS8_NS6_8equal_toIiEEEE10hipError_tPvRmT2_T3_mT4_T5_T6_T7_T8_P12ihipStream_tbENKUlT_T0_E_clISt17integral_constantIbLb0EES12_IbLb1EEEEDaSY_SZ_EUlSY_E_NS1_11comp_targetILNS1_3genE10ELNS1_11target_archE1201ELNS1_3gpuE5ELNS1_3repE0EEENS1_30default_config_static_selectorELNS0_4arch9wavefront6targetE1EEEvT1_,comdat
	.protected	_ZN7rocprim17ROCPRIM_400000_NS6detail17trampoline_kernelINS0_14default_configENS1_29reduce_by_key_config_selectorIijN6thrust23THRUST_200600_302600_NS4plusIjEEEEZZNS1_33reduce_by_key_impl_wrapped_configILNS1_25lookback_scan_determinismE0ES3_S9_NS6_6detail15normal_iteratorINS6_10device_ptrIiEEEENSD_INSE_IjEEEESG_SI_PmS8_NS6_8equal_toIiEEEE10hipError_tPvRmT2_T3_mT4_T5_T6_T7_T8_P12ihipStream_tbENKUlT_T0_E_clISt17integral_constantIbLb0EES12_IbLb1EEEEDaSY_SZ_EUlSY_E_NS1_11comp_targetILNS1_3genE10ELNS1_11target_archE1201ELNS1_3gpuE5ELNS1_3repE0EEENS1_30default_config_static_selectorELNS0_4arch9wavefront6targetE1EEEvT1_ ; -- Begin function _ZN7rocprim17ROCPRIM_400000_NS6detail17trampoline_kernelINS0_14default_configENS1_29reduce_by_key_config_selectorIijN6thrust23THRUST_200600_302600_NS4plusIjEEEEZZNS1_33reduce_by_key_impl_wrapped_configILNS1_25lookback_scan_determinismE0ES3_S9_NS6_6detail15normal_iteratorINS6_10device_ptrIiEEEENSD_INSE_IjEEEESG_SI_PmS8_NS6_8equal_toIiEEEE10hipError_tPvRmT2_T3_mT4_T5_T6_T7_T8_P12ihipStream_tbENKUlT_T0_E_clISt17integral_constantIbLb0EES12_IbLb1EEEEDaSY_SZ_EUlSY_E_NS1_11comp_targetILNS1_3genE10ELNS1_11target_archE1201ELNS1_3gpuE5ELNS1_3repE0EEENS1_30default_config_static_selectorELNS0_4arch9wavefront6targetE1EEEvT1_
	.globl	_ZN7rocprim17ROCPRIM_400000_NS6detail17trampoline_kernelINS0_14default_configENS1_29reduce_by_key_config_selectorIijN6thrust23THRUST_200600_302600_NS4plusIjEEEEZZNS1_33reduce_by_key_impl_wrapped_configILNS1_25lookback_scan_determinismE0ES3_S9_NS6_6detail15normal_iteratorINS6_10device_ptrIiEEEENSD_INSE_IjEEEESG_SI_PmS8_NS6_8equal_toIiEEEE10hipError_tPvRmT2_T3_mT4_T5_T6_T7_T8_P12ihipStream_tbENKUlT_T0_E_clISt17integral_constantIbLb0EES12_IbLb1EEEEDaSY_SZ_EUlSY_E_NS1_11comp_targetILNS1_3genE10ELNS1_11target_archE1201ELNS1_3gpuE5ELNS1_3repE0EEENS1_30default_config_static_selectorELNS0_4arch9wavefront6targetE1EEEvT1_
	.p2align	8
	.type	_ZN7rocprim17ROCPRIM_400000_NS6detail17trampoline_kernelINS0_14default_configENS1_29reduce_by_key_config_selectorIijN6thrust23THRUST_200600_302600_NS4plusIjEEEEZZNS1_33reduce_by_key_impl_wrapped_configILNS1_25lookback_scan_determinismE0ES3_S9_NS6_6detail15normal_iteratorINS6_10device_ptrIiEEEENSD_INSE_IjEEEESG_SI_PmS8_NS6_8equal_toIiEEEE10hipError_tPvRmT2_T3_mT4_T5_T6_T7_T8_P12ihipStream_tbENKUlT_T0_E_clISt17integral_constantIbLb0EES12_IbLb1EEEEDaSY_SZ_EUlSY_E_NS1_11comp_targetILNS1_3genE10ELNS1_11target_archE1201ELNS1_3gpuE5ELNS1_3repE0EEENS1_30default_config_static_selectorELNS0_4arch9wavefront6targetE1EEEvT1_,@function
_ZN7rocprim17ROCPRIM_400000_NS6detail17trampoline_kernelINS0_14default_configENS1_29reduce_by_key_config_selectorIijN6thrust23THRUST_200600_302600_NS4plusIjEEEEZZNS1_33reduce_by_key_impl_wrapped_configILNS1_25lookback_scan_determinismE0ES3_S9_NS6_6detail15normal_iteratorINS6_10device_ptrIiEEEENSD_INSE_IjEEEESG_SI_PmS8_NS6_8equal_toIiEEEE10hipError_tPvRmT2_T3_mT4_T5_T6_T7_T8_P12ihipStream_tbENKUlT_T0_E_clISt17integral_constantIbLb0EES12_IbLb1EEEEDaSY_SZ_EUlSY_E_NS1_11comp_targetILNS1_3genE10ELNS1_11target_archE1201ELNS1_3gpuE5ELNS1_3repE0EEENS1_30default_config_static_selectorELNS0_4arch9wavefront6targetE1EEEvT1_: ; @_ZN7rocprim17ROCPRIM_400000_NS6detail17trampoline_kernelINS0_14default_configENS1_29reduce_by_key_config_selectorIijN6thrust23THRUST_200600_302600_NS4plusIjEEEEZZNS1_33reduce_by_key_impl_wrapped_configILNS1_25lookback_scan_determinismE0ES3_S9_NS6_6detail15normal_iteratorINS6_10device_ptrIiEEEENSD_INSE_IjEEEESG_SI_PmS8_NS6_8equal_toIiEEEE10hipError_tPvRmT2_T3_mT4_T5_T6_T7_T8_P12ihipStream_tbENKUlT_T0_E_clISt17integral_constantIbLb0EES12_IbLb1EEEEDaSY_SZ_EUlSY_E_NS1_11comp_targetILNS1_3genE10ELNS1_11target_archE1201ELNS1_3gpuE5ELNS1_3repE0EEENS1_30default_config_static_selectorELNS0_4arch9wavefront6targetE1EEEvT1_
; %bb.0:
	.section	.rodata,"a",@progbits
	.p2align	6, 0x0
	.amdhsa_kernel _ZN7rocprim17ROCPRIM_400000_NS6detail17trampoline_kernelINS0_14default_configENS1_29reduce_by_key_config_selectorIijN6thrust23THRUST_200600_302600_NS4plusIjEEEEZZNS1_33reduce_by_key_impl_wrapped_configILNS1_25lookback_scan_determinismE0ES3_S9_NS6_6detail15normal_iteratorINS6_10device_ptrIiEEEENSD_INSE_IjEEEESG_SI_PmS8_NS6_8equal_toIiEEEE10hipError_tPvRmT2_T3_mT4_T5_T6_T7_T8_P12ihipStream_tbENKUlT_T0_E_clISt17integral_constantIbLb0EES12_IbLb1EEEEDaSY_SZ_EUlSY_E_NS1_11comp_targetILNS1_3genE10ELNS1_11target_archE1201ELNS1_3gpuE5ELNS1_3repE0EEENS1_30default_config_static_selectorELNS0_4arch9wavefront6targetE1EEEvT1_
		.amdhsa_group_segment_fixed_size 0
		.amdhsa_private_segment_fixed_size 0
		.amdhsa_kernarg_size 120
		.amdhsa_user_sgpr_count 6
		.amdhsa_user_sgpr_private_segment_buffer 1
		.amdhsa_user_sgpr_dispatch_ptr 0
		.amdhsa_user_sgpr_queue_ptr 0
		.amdhsa_user_sgpr_kernarg_segment_ptr 1
		.amdhsa_user_sgpr_dispatch_id 0
		.amdhsa_user_sgpr_flat_scratch_init 0
		.amdhsa_user_sgpr_kernarg_preload_length 0
		.amdhsa_user_sgpr_kernarg_preload_offset 0
		.amdhsa_user_sgpr_private_segment_size 0
		.amdhsa_uses_dynamic_stack 0
		.amdhsa_system_sgpr_private_segment_wavefront_offset 0
		.amdhsa_system_sgpr_workgroup_id_x 1
		.amdhsa_system_sgpr_workgroup_id_y 0
		.amdhsa_system_sgpr_workgroup_id_z 0
		.amdhsa_system_sgpr_workgroup_info 0
		.amdhsa_system_vgpr_workitem_id 0
		.amdhsa_next_free_vgpr 1
		.amdhsa_next_free_sgpr 0
		.amdhsa_accum_offset 4
		.amdhsa_reserve_vcc 0
		.amdhsa_reserve_flat_scratch 0
		.amdhsa_float_round_mode_32 0
		.amdhsa_float_round_mode_16_64 0
		.amdhsa_float_denorm_mode_32 3
		.amdhsa_float_denorm_mode_16_64 3
		.amdhsa_dx10_clamp 1
		.amdhsa_ieee_mode 1
		.amdhsa_fp16_overflow 0
		.amdhsa_tg_split 0
		.amdhsa_exception_fp_ieee_invalid_op 0
		.amdhsa_exception_fp_denorm_src 0
		.amdhsa_exception_fp_ieee_div_zero 0
		.amdhsa_exception_fp_ieee_overflow 0
		.amdhsa_exception_fp_ieee_underflow 0
		.amdhsa_exception_fp_ieee_inexact 0
		.amdhsa_exception_int_div_zero 0
	.end_amdhsa_kernel
	.section	.text._ZN7rocprim17ROCPRIM_400000_NS6detail17trampoline_kernelINS0_14default_configENS1_29reduce_by_key_config_selectorIijN6thrust23THRUST_200600_302600_NS4plusIjEEEEZZNS1_33reduce_by_key_impl_wrapped_configILNS1_25lookback_scan_determinismE0ES3_S9_NS6_6detail15normal_iteratorINS6_10device_ptrIiEEEENSD_INSE_IjEEEESG_SI_PmS8_NS6_8equal_toIiEEEE10hipError_tPvRmT2_T3_mT4_T5_T6_T7_T8_P12ihipStream_tbENKUlT_T0_E_clISt17integral_constantIbLb0EES12_IbLb1EEEEDaSY_SZ_EUlSY_E_NS1_11comp_targetILNS1_3genE10ELNS1_11target_archE1201ELNS1_3gpuE5ELNS1_3repE0EEENS1_30default_config_static_selectorELNS0_4arch9wavefront6targetE1EEEvT1_,"axG",@progbits,_ZN7rocprim17ROCPRIM_400000_NS6detail17trampoline_kernelINS0_14default_configENS1_29reduce_by_key_config_selectorIijN6thrust23THRUST_200600_302600_NS4plusIjEEEEZZNS1_33reduce_by_key_impl_wrapped_configILNS1_25lookback_scan_determinismE0ES3_S9_NS6_6detail15normal_iteratorINS6_10device_ptrIiEEEENSD_INSE_IjEEEESG_SI_PmS8_NS6_8equal_toIiEEEE10hipError_tPvRmT2_T3_mT4_T5_T6_T7_T8_P12ihipStream_tbENKUlT_T0_E_clISt17integral_constantIbLb0EES12_IbLb1EEEEDaSY_SZ_EUlSY_E_NS1_11comp_targetILNS1_3genE10ELNS1_11target_archE1201ELNS1_3gpuE5ELNS1_3repE0EEENS1_30default_config_static_selectorELNS0_4arch9wavefront6targetE1EEEvT1_,comdat
.Lfunc_end837:
	.size	_ZN7rocprim17ROCPRIM_400000_NS6detail17trampoline_kernelINS0_14default_configENS1_29reduce_by_key_config_selectorIijN6thrust23THRUST_200600_302600_NS4plusIjEEEEZZNS1_33reduce_by_key_impl_wrapped_configILNS1_25lookback_scan_determinismE0ES3_S9_NS6_6detail15normal_iteratorINS6_10device_ptrIiEEEENSD_INSE_IjEEEESG_SI_PmS8_NS6_8equal_toIiEEEE10hipError_tPvRmT2_T3_mT4_T5_T6_T7_T8_P12ihipStream_tbENKUlT_T0_E_clISt17integral_constantIbLb0EES12_IbLb1EEEEDaSY_SZ_EUlSY_E_NS1_11comp_targetILNS1_3genE10ELNS1_11target_archE1201ELNS1_3gpuE5ELNS1_3repE0EEENS1_30default_config_static_selectorELNS0_4arch9wavefront6targetE1EEEvT1_, .Lfunc_end837-_ZN7rocprim17ROCPRIM_400000_NS6detail17trampoline_kernelINS0_14default_configENS1_29reduce_by_key_config_selectorIijN6thrust23THRUST_200600_302600_NS4plusIjEEEEZZNS1_33reduce_by_key_impl_wrapped_configILNS1_25lookback_scan_determinismE0ES3_S9_NS6_6detail15normal_iteratorINS6_10device_ptrIiEEEENSD_INSE_IjEEEESG_SI_PmS8_NS6_8equal_toIiEEEE10hipError_tPvRmT2_T3_mT4_T5_T6_T7_T8_P12ihipStream_tbENKUlT_T0_E_clISt17integral_constantIbLb0EES12_IbLb1EEEEDaSY_SZ_EUlSY_E_NS1_11comp_targetILNS1_3genE10ELNS1_11target_archE1201ELNS1_3gpuE5ELNS1_3repE0EEENS1_30default_config_static_selectorELNS0_4arch9wavefront6targetE1EEEvT1_
                                        ; -- End function
	.section	.AMDGPU.csdata,"",@progbits
; Kernel info:
; codeLenInByte = 0
; NumSgprs: 4
; NumVgprs: 0
; NumAgprs: 0
; TotalNumVgprs: 0
; ScratchSize: 0
; MemoryBound: 0
; FloatMode: 240
; IeeeMode: 1
; LDSByteSize: 0 bytes/workgroup (compile time only)
; SGPRBlocks: 0
; VGPRBlocks: 0
; NumSGPRsForWavesPerEU: 4
; NumVGPRsForWavesPerEU: 1
; AccumOffset: 4
; Occupancy: 8
; WaveLimiterHint : 0
; COMPUTE_PGM_RSRC2:SCRATCH_EN: 0
; COMPUTE_PGM_RSRC2:USER_SGPR: 6
; COMPUTE_PGM_RSRC2:TRAP_HANDLER: 0
; COMPUTE_PGM_RSRC2:TGID_X_EN: 1
; COMPUTE_PGM_RSRC2:TGID_Y_EN: 0
; COMPUTE_PGM_RSRC2:TGID_Z_EN: 0
; COMPUTE_PGM_RSRC2:TIDIG_COMP_CNT: 0
; COMPUTE_PGM_RSRC3_GFX90A:ACCUM_OFFSET: 0
; COMPUTE_PGM_RSRC3_GFX90A:TG_SPLIT: 0
	.section	.text._ZN7rocprim17ROCPRIM_400000_NS6detail17trampoline_kernelINS0_14default_configENS1_29reduce_by_key_config_selectorIijN6thrust23THRUST_200600_302600_NS4plusIjEEEEZZNS1_33reduce_by_key_impl_wrapped_configILNS1_25lookback_scan_determinismE0ES3_S9_NS6_6detail15normal_iteratorINS6_10device_ptrIiEEEENSD_INSE_IjEEEESG_SI_PmS8_NS6_8equal_toIiEEEE10hipError_tPvRmT2_T3_mT4_T5_T6_T7_T8_P12ihipStream_tbENKUlT_T0_E_clISt17integral_constantIbLb0EES12_IbLb1EEEEDaSY_SZ_EUlSY_E_NS1_11comp_targetILNS1_3genE10ELNS1_11target_archE1200ELNS1_3gpuE4ELNS1_3repE0EEENS1_30default_config_static_selectorELNS0_4arch9wavefront6targetE1EEEvT1_,"axG",@progbits,_ZN7rocprim17ROCPRIM_400000_NS6detail17trampoline_kernelINS0_14default_configENS1_29reduce_by_key_config_selectorIijN6thrust23THRUST_200600_302600_NS4plusIjEEEEZZNS1_33reduce_by_key_impl_wrapped_configILNS1_25lookback_scan_determinismE0ES3_S9_NS6_6detail15normal_iteratorINS6_10device_ptrIiEEEENSD_INSE_IjEEEESG_SI_PmS8_NS6_8equal_toIiEEEE10hipError_tPvRmT2_T3_mT4_T5_T6_T7_T8_P12ihipStream_tbENKUlT_T0_E_clISt17integral_constantIbLb0EES12_IbLb1EEEEDaSY_SZ_EUlSY_E_NS1_11comp_targetILNS1_3genE10ELNS1_11target_archE1200ELNS1_3gpuE4ELNS1_3repE0EEENS1_30default_config_static_selectorELNS0_4arch9wavefront6targetE1EEEvT1_,comdat
	.protected	_ZN7rocprim17ROCPRIM_400000_NS6detail17trampoline_kernelINS0_14default_configENS1_29reduce_by_key_config_selectorIijN6thrust23THRUST_200600_302600_NS4plusIjEEEEZZNS1_33reduce_by_key_impl_wrapped_configILNS1_25lookback_scan_determinismE0ES3_S9_NS6_6detail15normal_iteratorINS6_10device_ptrIiEEEENSD_INSE_IjEEEESG_SI_PmS8_NS6_8equal_toIiEEEE10hipError_tPvRmT2_T3_mT4_T5_T6_T7_T8_P12ihipStream_tbENKUlT_T0_E_clISt17integral_constantIbLb0EES12_IbLb1EEEEDaSY_SZ_EUlSY_E_NS1_11comp_targetILNS1_3genE10ELNS1_11target_archE1200ELNS1_3gpuE4ELNS1_3repE0EEENS1_30default_config_static_selectorELNS0_4arch9wavefront6targetE1EEEvT1_ ; -- Begin function _ZN7rocprim17ROCPRIM_400000_NS6detail17trampoline_kernelINS0_14default_configENS1_29reduce_by_key_config_selectorIijN6thrust23THRUST_200600_302600_NS4plusIjEEEEZZNS1_33reduce_by_key_impl_wrapped_configILNS1_25lookback_scan_determinismE0ES3_S9_NS6_6detail15normal_iteratorINS6_10device_ptrIiEEEENSD_INSE_IjEEEESG_SI_PmS8_NS6_8equal_toIiEEEE10hipError_tPvRmT2_T3_mT4_T5_T6_T7_T8_P12ihipStream_tbENKUlT_T0_E_clISt17integral_constantIbLb0EES12_IbLb1EEEEDaSY_SZ_EUlSY_E_NS1_11comp_targetILNS1_3genE10ELNS1_11target_archE1200ELNS1_3gpuE4ELNS1_3repE0EEENS1_30default_config_static_selectorELNS0_4arch9wavefront6targetE1EEEvT1_
	.globl	_ZN7rocprim17ROCPRIM_400000_NS6detail17trampoline_kernelINS0_14default_configENS1_29reduce_by_key_config_selectorIijN6thrust23THRUST_200600_302600_NS4plusIjEEEEZZNS1_33reduce_by_key_impl_wrapped_configILNS1_25lookback_scan_determinismE0ES3_S9_NS6_6detail15normal_iteratorINS6_10device_ptrIiEEEENSD_INSE_IjEEEESG_SI_PmS8_NS6_8equal_toIiEEEE10hipError_tPvRmT2_T3_mT4_T5_T6_T7_T8_P12ihipStream_tbENKUlT_T0_E_clISt17integral_constantIbLb0EES12_IbLb1EEEEDaSY_SZ_EUlSY_E_NS1_11comp_targetILNS1_3genE10ELNS1_11target_archE1200ELNS1_3gpuE4ELNS1_3repE0EEENS1_30default_config_static_selectorELNS0_4arch9wavefront6targetE1EEEvT1_
	.p2align	8
	.type	_ZN7rocprim17ROCPRIM_400000_NS6detail17trampoline_kernelINS0_14default_configENS1_29reduce_by_key_config_selectorIijN6thrust23THRUST_200600_302600_NS4plusIjEEEEZZNS1_33reduce_by_key_impl_wrapped_configILNS1_25lookback_scan_determinismE0ES3_S9_NS6_6detail15normal_iteratorINS6_10device_ptrIiEEEENSD_INSE_IjEEEESG_SI_PmS8_NS6_8equal_toIiEEEE10hipError_tPvRmT2_T3_mT4_T5_T6_T7_T8_P12ihipStream_tbENKUlT_T0_E_clISt17integral_constantIbLb0EES12_IbLb1EEEEDaSY_SZ_EUlSY_E_NS1_11comp_targetILNS1_3genE10ELNS1_11target_archE1200ELNS1_3gpuE4ELNS1_3repE0EEENS1_30default_config_static_selectorELNS0_4arch9wavefront6targetE1EEEvT1_,@function
_ZN7rocprim17ROCPRIM_400000_NS6detail17trampoline_kernelINS0_14default_configENS1_29reduce_by_key_config_selectorIijN6thrust23THRUST_200600_302600_NS4plusIjEEEEZZNS1_33reduce_by_key_impl_wrapped_configILNS1_25lookback_scan_determinismE0ES3_S9_NS6_6detail15normal_iteratorINS6_10device_ptrIiEEEENSD_INSE_IjEEEESG_SI_PmS8_NS6_8equal_toIiEEEE10hipError_tPvRmT2_T3_mT4_T5_T6_T7_T8_P12ihipStream_tbENKUlT_T0_E_clISt17integral_constantIbLb0EES12_IbLb1EEEEDaSY_SZ_EUlSY_E_NS1_11comp_targetILNS1_3genE10ELNS1_11target_archE1200ELNS1_3gpuE4ELNS1_3repE0EEENS1_30default_config_static_selectorELNS0_4arch9wavefront6targetE1EEEvT1_: ; @_ZN7rocprim17ROCPRIM_400000_NS6detail17trampoline_kernelINS0_14default_configENS1_29reduce_by_key_config_selectorIijN6thrust23THRUST_200600_302600_NS4plusIjEEEEZZNS1_33reduce_by_key_impl_wrapped_configILNS1_25lookback_scan_determinismE0ES3_S9_NS6_6detail15normal_iteratorINS6_10device_ptrIiEEEENSD_INSE_IjEEEESG_SI_PmS8_NS6_8equal_toIiEEEE10hipError_tPvRmT2_T3_mT4_T5_T6_T7_T8_P12ihipStream_tbENKUlT_T0_E_clISt17integral_constantIbLb0EES12_IbLb1EEEEDaSY_SZ_EUlSY_E_NS1_11comp_targetILNS1_3genE10ELNS1_11target_archE1200ELNS1_3gpuE4ELNS1_3repE0EEENS1_30default_config_static_selectorELNS0_4arch9wavefront6targetE1EEEvT1_
; %bb.0:
	.section	.rodata,"a",@progbits
	.p2align	6, 0x0
	.amdhsa_kernel _ZN7rocprim17ROCPRIM_400000_NS6detail17trampoline_kernelINS0_14default_configENS1_29reduce_by_key_config_selectorIijN6thrust23THRUST_200600_302600_NS4plusIjEEEEZZNS1_33reduce_by_key_impl_wrapped_configILNS1_25lookback_scan_determinismE0ES3_S9_NS6_6detail15normal_iteratorINS6_10device_ptrIiEEEENSD_INSE_IjEEEESG_SI_PmS8_NS6_8equal_toIiEEEE10hipError_tPvRmT2_T3_mT4_T5_T6_T7_T8_P12ihipStream_tbENKUlT_T0_E_clISt17integral_constantIbLb0EES12_IbLb1EEEEDaSY_SZ_EUlSY_E_NS1_11comp_targetILNS1_3genE10ELNS1_11target_archE1200ELNS1_3gpuE4ELNS1_3repE0EEENS1_30default_config_static_selectorELNS0_4arch9wavefront6targetE1EEEvT1_
		.amdhsa_group_segment_fixed_size 0
		.amdhsa_private_segment_fixed_size 0
		.amdhsa_kernarg_size 120
		.amdhsa_user_sgpr_count 6
		.amdhsa_user_sgpr_private_segment_buffer 1
		.amdhsa_user_sgpr_dispatch_ptr 0
		.amdhsa_user_sgpr_queue_ptr 0
		.amdhsa_user_sgpr_kernarg_segment_ptr 1
		.amdhsa_user_sgpr_dispatch_id 0
		.amdhsa_user_sgpr_flat_scratch_init 0
		.amdhsa_user_sgpr_kernarg_preload_length 0
		.amdhsa_user_sgpr_kernarg_preload_offset 0
		.amdhsa_user_sgpr_private_segment_size 0
		.amdhsa_uses_dynamic_stack 0
		.amdhsa_system_sgpr_private_segment_wavefront_offset 0
		.amdhsa_system_sgpr_workgroup_id_x 1
		.amdhsa_system_sgpr_workgroup_id_y 0
		.amdhsa_system_sgpr_workgroup_id_z 0
		.amdhsa_system_sgpr_workgroup_info 0
		.amdhsa_system_vgpr_workitem_id 0
		.amdhsa_next_free_vgpr 1
		.amdhsa_next_free_sgpr 0
		.amdhsa_accum_offset 4
		.amdhsa_reserve_vcc 0
		.amdhsa_reserve_flat_scratch 0
		.amdhsa_float_round_mode_32 0
		.amdhsa_float_round_mode_16_64 0
		.amdhsa_float_denorm_mode_32 3
		.amdhsa_float_denorm_mode_16_64 3
		.amdhsa_dx10_clamp 1
		.amdhsa_ieee_mode 1
		.amdhsa_fp16_overflow 0
		.amdhsa_tg_split 0
		.amdhsa_exception_fp_ieee_invalid_op 0
		.amdhsa_exception_fp_denorm_src 0
		.amdhsa_exception_fp_ieee_div_zero 0
		.amdhsa_exception_fp_ieee_overflow 0
		.amdhsa_exception_fp_ieee_underflow 0
		.amdhsa_exception_fp_ieee_inexact 0
		.amdhsa_exception_int_div_zero 0
	.end_amdhsa_kernel
	.section	.text._ZN7rocprim17ROCPRIM_400000_NS6detail17trampoline_kernelINS0_14default_configENS1_29reduce_by_key_config_selectorIijN6thrust23THRUST_200600_302600_NS4plusIjEEEEZZNS1_33reduce_by_key_impl_wrapped_configILNS1_25lookback_scan_determinismE0ES3_S9_NS6_6detail15normal_iteratorINS6_10device_ptrIiEEEENSD_INSE_IjEEEESG_SI_PmS8_NS6_8equal_toIiEEEE10hipError_tPvRmT2_T3_mT4_T5_T6_T7_T8_P12ihipStream_tbENKUlT_T0_E_clISt17integral_constantIbLb0EES12_IbLb1EEEEDaSY_SZ_EUlSY_E_NS1_11comp_targetILNS1_3genE10ELNS1_11target_archE1200ELNS1_3gpuE4ELNS1_3repE0EEENS1_30default_config_static_selectorELNS0_4arch9wavefront6targetE1EEEvT1_,"axG",@progbits,_ZN7rocprim17ROCPRIM_400000_NS6detail17trampoline_kernelINS0_14default_configENS1_29reduce_by_key_config_selectorIijN6thrust23THRUST_200600_302600_NS4plusIjEEEEZZNS1_33reduce_by_key_impl_wrapped_configILNS1_25lookback_scan_determinismE0ES3_S9_NS6_6detail15normal_iteratorINS6_10device_ptrIiEEEENSD_INSE_IjEEEESG_SI_PmS8_NS6_8equal_toIiEEEE10hipError_tPvRmT2_T3_mT4_T5_T6_T7_T8_P12ihipStream_tbENKUlT_T0_E_clISt17integral_constantIbLb0EES12_IbLb1EEEEDaSY_SZ_EUlSY_E_NS1_11comp_targetILNS1_3genE10ELNS1_11target_archE1200ELNS1_3gpuE4ELNS1_3repE0EEENS1_30default_config_static_selectorELNS0_4arch9wavefront6targetE1EEEvT1_,comdat
.Lfunc_end838:
	.size	_ZN7rocprim17ROCPRIM_400000_NS6detail17trampoline_kernelINS0_14default_configENS1_29reduce_by_key_config_selectorIijN6thrust23THRUST_200600_302600_NS4plusIjEEEEZZNS1_33reduce_by_key_impl_wrapped_configILNS1_25lookback_scan_determinismE0ES3_S9_NS6_6detail15normal_iteratorINS6_10device_ptrIiEEEENSD_INSE_IjEEEESG_SI_PmS8_NS6_8equal_toIiEEEE10hipError_tPvRmT2_T3_mT4_T5_T6_T7_T8_P12ihipStream_tbENKUlT_T0_E_clISt17integral_constantIbLb0EES12_IbLb1EEEEDaSY_SZ_EUlSY_E_NS1_11comp_targetILNS1_3genE10ELNS1_11target_archE1200ELNS1_3gpuE4ELNS1_3repE0EEENS1_30default_config_static_selectorELNS0_4arch9wavefront6targetE1EEEvT1_, .Lfunc_end838-_ZN7rocprim17ROCPRIM_400000_NS6detail17trampoline_kernelINS0_14default_configENS1_29reduce_by_key_config_selectorIijN6thrust23THRUST_200600_302600_NS4plusIjEEEEZZNS1_33reduce_by_key_impl_wrapped_configILNS1_25lookback_scan_determinismE0ES3_S9_NS6_6detail15normal_iteratorINS6_10device_ptrIiEEEENSD_INSE_IjEEEESG_SI_PmS8_NS6_8equal_toIiEEEE10hipError_tPvRmT2_T3_mT4_T5_T6_T7_T8_P12ihipStream_tbENKUlT_T0_E_clISt17integral_constantIbLb0EES12_IbLb1EEEEDaSY_SZ_EUlSY_E_NS1_11comp_targetILNS1_3genE10ELNS1_11target_archE1200ELNS1_3gpuE4ELNS1_3repE0EEENS1_30default_config_static_selectorELNS0_4arch9wavefront6targetE1EEEvT1_
                                        ; -- End function
	.section	.AMDGPU.csdata,"",@progbits
; Kernel info:
; codeLenInByte = 0
; NumSgprs: 4
; NumVgprs: 0
; NumAgprs: 0
; TotalNumVgprs: 0
; ScratchSize: 0
; MemoryBound: 0
; FloatMode: 240
; IeeeMode: 1
; LDSByteSize: 0 bytes/workgroup (compile time only)
; SGPRBlocks: 0
; VGPRBlocks: 0
; NumSGPRsForWavesPerEU: 4
; NumVGPRsForWavesPerEU: 1
; AccumOffset: 4
; Occupancy: 8
; WaveLimiterHint : 0
; COMPUTE_PGM_RSRC2:SCRATCH_EN: 0
; COMPUTE_PGM_RSRC2:USER_SGPR: 6
; COMPUTE_PGM_RSRC2:TRAP_HANDLER: 0
; COMPUTE_PGM_RSRC2:TGID_X_EN: 1
; COMPUTE_PGM_RSRC2:TGID_Y_EN: 0
; COMPUTE_PGM_RSRC2:TGID_Z_EN: 0
; COMPUTE_PGM_RSRC2:TIDIG_COMP_CNT: 0
; COMPUTE_PGM_RSRC3_GFX90A:ACCUM_OFFSET: 0
; COMPUTE_PGM_RSRC3_GFX90A:TG_SPLIT: 0
	.section	.text._ZN7rocprim17ROCPRIM_400000_NS6detail17trampoline_kernelINS0_14default_configENS1_29reduce_by_key_config_selectorIijN6thrust23THRUST_200600_302600_NS4plusIjEEEEZZNS1_33reduce_by_key_impl_wrapped_configILNS1_25lookback_scan_determinismE0ES3_S9_NS6_6detail15normal_iteratorINS6_10device_ptrIiEEEENSD_INSE_IjEEEESG_SI_PmS8_NS6_8equal_toIiEEEE10hipError_tPvRmT2_T3_mT4_T5_T6_T7_T8_P12ihipStream_tbENKUlT_T0_E_clISt17integral_constantIbLb0EES12_IbLb1EEEEDaSY_SZ_EUlSY_E_NS1_11comp_targetILNS1_3genE9ELNS1_11target_archE1100ELNS1_3gpuE3ELNS1_3repE0EEENS1_30default_config_static_selectorELNS0_4arch9wavefront6targetE1EEEvT1_,"axG",@progbits,_ZN7rocprim17ROCPRIM_400000_NS6detail17trampoline_kernelINS0_14default_configENS1_29reduce_by_key_config_selectorIijN6thrust23THRUST_200600_302600_NS4plusIjEEEEZZNS1_33reduce_by_key_impl_wrapped_configILNS1_25lookback_scan_determinismE0ES3_S9_NS6_6detail15normal_iteratorINS6_10device_ptrIiEEEENSD_INSE_IjEEEESG_SI_PmS8_NS6_8equal_toIiEEEE10hipError_tPvRmT2_T3_mT4_T5_T6_T7_T8_P12ihipStream_tbENKUlT_T0_E_clISt17integral_constantIbLb0EES12_IbLb1EEEEDaSY_SZ_EUlSY_E_NS1_11comp_targetILNS1_3genE9ELNS1_11target_archE1100ELNS1_3gpuE3ELNS1_3repE0EEENS1_30default_config_static_selectorELNS0_4arch9wavefront6targetE1EEEvT1_,comdat
	.protected	_ZN7rocprim17ROCPRIM_400000_NS6detail17trampoline_kernelINS0_14default_configENS1_29reduce_by_key_config_selectorIijN6thrust23THRUST_200600_302600_NS4plusIjEEEEZZNS1_33reduce_by_key_impl_wrapped_configILNS1_25lookback_scan_determinismE0ES3_S9_NS6_6detail15normal_iteratorINS6_10device_ptrIiEEEENSD_INSE_IjEEEESG_SI_PmS8_NS6_8equal_toIiEEEE10hipError_tPvRmT2_T3_mT4_T5_T6_T7_T8_P12ihipStream_tbENKUlT_T0_E_clISt17integral_constantIbLb0EES12_IbLb1EEEEDaSY_SZ_EUlSY_E_NS1_11comp_targetILNS1_3genE9ELNS1_11target_archE1100ELNS1_3gpuE3ELNS1_3repE0EEENS1_30default_config_static_selectorELNS0_4arch9wavefront6targetE1EEEvT1_ ; -- Begin function _ZN7rocprim17ROCPRIM_400000_NS6detail17trampoline_kernelINS0_14default_configENS1_29reduce_by_key_config_selectorIijN6thrust23THRUST_200600_302600_NS4plusIjEEEEZZNS1_33reduce_by_key_impl_wrapped_configILNS1_25lookback_scan_determinismE0ES3_S9_NS6_6detail15normal_iteratorINS6_10device_ptrIiEEEENSD_INSE_IjEEEESG_SI_PmS8_NS6_8equal_toIiEEEE10hipError_tPvRmT2_T3_mT4_T5_T6_T7_T8_P12ihipStream_tbENKUlT_T0_E_clISt17integral_constantIbLb0EES12_IbLb1EEEEDaSY_SZ_EUlSY_E_NS1_11comp_targetILNS1_3genE9ELNS1_11target_archE1100ELNS1_3gpuE3ELNS1_3repE0EEENS1_30default_config_static_selectorELNS0_4arch9wavefront6targetE1EEEvT1_
	.globl	_ZN7rocprim17ROCPRIM_400000_NS6detail17trampoline_kernelINS0_14default_configENS1_29reduce_by_key_config_selectorIijN6thrust23THRUST_200600_302600_NS4plusIjEEEEZZNS1_33reduce_by_key_impl_wrapped_configILNS1_25lookback_scan_determinismE0ES3_S9_NS6_6detail15normal_iteratorINS6_10device_ptrIiEEEENSD_INSE_IjEEEESG_SI_PmS8_NS6_8equal_toIiEEEE10hipError_tPvRmT2_T3_mT4_T5_T6_T7_T8_P12ihipStream_tbENKUlT_T0_E_clISt17integral_constantIbLb0EES12_IbLb1EEEEDaSY_SZ_EUlSY_E_NS1_11comp_targetILNS1_3genE9ELNS1_11target_archE1100ELNS1_3gpuE3ELNS1_3repE0EEENS1_30default_config_static_selectorELNS0_4arch9wavefront6targetE1EEEvT1_
	.p2align	8
	.type	_ZN7rocprim17ROCPRIM_400000_NS6detail17trampoline_kernelINS0_14default_configENS1_29reduce_by_key_config_selectorIijN6thrust23THRUST_200600_302600_NS4plusIjEEEEZZNS1_33reduce_by_key_impl_wrapped_configILNS1_25lookback_scan_determinismE0ES3_S9_NS6_6detail15normal_iteratorINS6_10device_ptrIiEEEENSD_INSE_IjEEEESG_SI_PmS8_NS6_8equal_toIiEEEE10hipError_tPvRmT2_T3_mT4_T5_T6_T7_T8_P12ihipStream_tbENKUlT_T0_E_clISt17integral_constantIbLb0EES12_IbLb1EEEEDaSY_SZ_EUlSY_E_NS1_11comp_targetILNS1_3genE9ELNS1_11target_archE1100ELNS1_3gpuE3ELNS1_3repE0EEENS1_30default_config_static_selectorELNS0_4arch9wavefront6targetE1EEEvT1_,@function
_ZN7rocprim17ROCPRIM_400000_NS6detail17trampoline_kernelINS0_14default_configENS1_29reduce_by_key_config_selectorIijN6thrust23THRUST_200600_302600_NS4plusIjEEEEZZNS1_33reduce_by_key_impl_wrapped_configILNS1_25lookback_scan_determinismE0ES3_S9_NS6_6detail15normal_iteratorINS6_10device_ptrIiEEEENSD_INSE_IjEEEESG_SI_PmS8_NS6_8equal_toIiEEEE10hipError_tPvRmT2_T3_mT4_T5_T6_T7_T8_P12ihipStream_tbENKUlT_T0_E_clISt17integral_constantIbLb0EES12_IbLb1EEEEDaSY_SZ_EUlSY_E_NS1_11comp_targetILNS1_3genE9ELNS1_11target_archE1100ELNS1_3gpuE3ELNS1_3repE0EEENS1_30default_config_static_selectorELNS0_4arch9wavefront6targetE1EEEvT1_: ; @_ZN7rocprim17ROCPRIM_400000_NS6detail17trampoline_kernelINS0_14default_configENS1_29reduce_by_key_config_selectorIijN6thrust23THRUST_200600_302600_NS4plusIjEEEEZZNS1_33reduce_by_key_impl_wrapped_configILNS1_25lookback_scan_determinismE0ES3_S9_NS6_6detail15normal_iteratorINS6_10device_ptrIiEEEENSD_INSE_IjEEEESG_SI_PmS8_NS6_8equal_toIiEEEE10hipError_tPvRmT2_T3_mT4_T5_T6_T7_T8_P12ihipStream_tbENKUlT_T0_E_clISt17integral_constantIbLb0EES12_IbLb1EEEEDaSY_SZ_EUlSY_E_NS1_11comp_targetILNS1_3genE9ELNS1_11target_archE1100ELNS1_3gpuE3ELNS1_3repE0EEENS1_30default_config_static_selectorELNS0_4arch9wavefront6targetE1EEEvT1_
; %bb.0:
	.section	.rodata,"a",@progbits
	.p2align	6, 0x0
	.amdhsa_kernel _ZN7rocprim17ROCPRIM_400000_NS6detail17trampoline_kernelINS0_14default_configENS1_29reduce_by_key_config_selectorIijN6thrust23THRUST_200600_302600_NS4plusIjEEEEZZNS1_33reduce_by_key_impl_wrapped_configILNS1_25lookback_scan_determinismE0ES3_S9_NS6_6detail15normal_iteratorINS6_10device_ptrIiEEEENSD_INSE_IjEEEESG_SI_PmS8_NS6_8equal_toIiEEEE10hipError_tPvRmT2_T3_mT4_T5_T6_T7_T8_P12ihipStream_tbENKUlT_T0_E_clISt17integral_constantIbLb0EES12_IbLb1EEEEDaSY_SZ_EUlSY_E_NS1_11comp_targetILNS1_3genE9ELNS1_11target_archE1100ELNS1_3gpuE3ELNS1_3repE0EEENS1_30default_config_static_selectorELNS0_4arch9wavefront6targetE1EEEvT1_
		.amdhsa_group_segment_fixed_size 0
		.amdhsa_private_segment_fixed_size 0
		.amdhsa_kernarg_size 120
		.amdhsa_user_sgpr_count 6
		.amdhsa_user_sgpr_private_segment_buffer 1
		.amdhsa_user_sgpr_dispatch_ptr 0
		.amdhsa_user_sgpr_queue_ptr 0
		.amdhsa_user_sgpr_kernarg_segment_ptr 1
		.amdhsa_user_sgpr_dispatch_id 0
		.amdhsa_user_sgpr_flat_scratch_init 0
		.amdhsa_user_sgpr_kernarg_preload_length 0
		.amdhsa_user_sgpr_kernarg_preload_offset 0
		.amdhsa_user_sgpr_private_segment_size 0
		.amdhsa_uses_dynamic_stack 0
		.amdhsa_system_sgpr_private_segment_wavefront_offset 0
		.amdhsa_system_sgpr_workgroup_id_x 1
		.amdhsa_system_sgpr_workgroup_id_y 0
		.amdhsa_system_sgpr_workgroup_id_z 0
		.amdhsa_system_sgpr_workgroup_info 0
		.amdhsa_system_vgpr_workitem_id 0
		.amdhsa_next_free_vgpr 1
		.amdhsa_next_free_sgpr 0
		.amdhsa_accum_offset 4
		.amdhsa_reserve_vcc 0
		.amdhsa_reserve_flat_scratch 0
		.amdhsa_float_round_mode_32 0
		.amdhsa_float_round_mode_16_64 0
		.amdhsa_float_denorm_mode_32 3
		.amdhsa_float_denorm_mode_16_64 3
		.amdhsa_dx10_clamp 1
		.amdhsa_ieee_mode 1
		.amdhsa_fp16_overflow 0
		.amdhsa_tg_split 0
		.amdhsa_exception_fp_ieee_invalid_op 0
		.amdhsa_exception_fp_denorm_src 0
		.amdhsa_exception_fp_ieee_div_zero 0
		.amdhsa_exception_fp_ieee_overflow 0
		.amdhsa_exception_fp_ieee_underflow 0
		.amdhsa_exception_fp_ieee_inexact 0
		.amdhsa_exception_int_div_zero 0
	.end_amdhsa_kernel
	.section	.text._ZN7rocprim17ROCPRIM_400000_NS6detail17trampoline_kernelINS0_14default_configENS1_29reduce_by_key_config_selectorIijN6thrust23THRUST_200600_302600_NS4plusIjEEEEZZNS1_33reduce_by_key_impl_wrapped_configILNS1_25lookback_scan_determinismE0ES3_S9_NS6_6detail15normal_iteratorINS6_10device_ptrIiEEEENSD_INSE_IjEEEESG_SI_PmS8_NS6_8equal_toIiEEEE10hipError_tPvRmT2_T3_mT4_T5_T6_T7_T8_P12ihipStream_tbENKUlT_T0_E_clISt17integral_constantIbLb0EES12_IbLb1EEEEDaSY_SZ_EUlSY_E_NS1_11comp_targetILNS1_3genE9ELNS1_11target_archE1100ELNS1_3gpuE3ELNS1_3repE0EEENS1_30default_config_static_selectorELNS0_4arch9wavefront6targetE1EEEvT1_,"axG",@progbits,_ZN7rocprim17ROCPRIM_400000_NS6detail17trampoline_kernelINS0_14default_configENS1_29reduce_by_key_config_selectorIijN6thrust23THRUST_200600_302600_NS4plusIjEEEEZZNS1_33reduce_by_key_impl_wrapped_configILNS1_25lookback_scan_determinismE0ES3_S9_NS6_6detail15normal_iteratorINS6_10device_ptrIiEEEENSD_INSE_IjEEEESG_SI_PmS8_NS6_8equal_toIiEEEE10hipError_tPvRmT2_T3_mT4_T5_T6_T7_T8_P12ihipStream_tbENKUlT_T0_E_clISt17integral_constantIbLb0EES12_IbLb1EEEEDaSY_SZ_EUlSY_E_NS1_11comp_targetILNS1_3genE9ELNS1_11target_archE1100ELNS1_3gpuE3ELNS1_3repE0EEENS1_30default_config_static_selectorELNS0_4arch9wavefront6targetE1EEEvT1_,comdat
.Lfunc_end839:
	.size	_ZN7rocprim17ROCPRIM_400000_NS6detail17trampoline_kernelINS0_14default_configENS1_29reduce_by_key_config_selectorIijN6thrust23THRUST_200600_302600_NS4plusIjEEEEZZNS1_33reduce_by_key_impl_wrapped_configILNS1_25lookback_scan_determinismE0ES3_S9_NS6_6detail15normal_iteratorINS6_10device_ptrIiEEEENSD_INSE_IjEEEESG_SI_PmS8_NS6_8equal_toIiEEEE10hipError_tPvRmT2_T3_mT4_T5_T6_T7_T8_P12ihipStream_tbENKUlT_T0_E_clISt17integral_constantIbLb0EES12_IbLb1EEEEDaSY_SZ_EUlSY_E_NS1_11comp_targetILNS1_3genE9ELNS1_11target_archE1100ELNS1_3gpuE3ELNS1_3repE0EEENS1_30default_config_static_selectorELNS0_4arch9wavefront6targetE1EEEvT1_, .Lfunc_end839-_ZN7rocprim17ROCPRIM_400000_NS6detail17trampoline_kernelINS0_14default_configENS1_29reduce_by_key_config_selectorIijN6thrust23THRUST_200600_302600_NS4plusIjEEEEZZNS1_33reduce_by_key_impl_wrapped_configILNS1_25lookback_scan_determinismE0ES3_S9_NS6_6detail15normal_iteratorINS6_10device_ptrIiEEEENSD_INSE_IjEEEESG_SI_PmS8_NS6_8equal_toIiEEEE10hipError_tPvRmT2_T3_mT4_T5_T6_T7_T8_P12ihipStream_tbENKUlT_T0_E_clISt17integral_constantIbLb0EES12_IbLb1EEEEDaSY_SZ_EUlSY_E_NS1_11comp_targetILNS1_3genE9ELNS1_11target_archE1100ELNS1_3gpuE3ELNS1_3repE0EEENS1_30default_config_static_selectorELNS0_4arch9wavefront6targetE1EEEvT1_
                                        ; -- End function
	.section	.AMDGPU.csdata,"",@progbits
; Kernel info:
; codeLenInByte = 0
; NumSgprs: 4
; NumVgprs: 0
; NumAgprs: 0
; TotalNumVgprs: 0
; ScratchSize: 0
; MemoryBound: 0
; FloatMode: 240
; IeeeMode: 1
; LDSByteSize: 0 bytes/workgroup (compile time only)
; SGPRBlocks: 0
; VGPRBlocks: 0
; NumSGPRsForWavesPerEU: 4
; NumVGPRsForWavesPerEU: 1
; AccumOffset: 4
; Occupancy: 8
; WaveLimiterHint : 0
; COMPUTE_PGM_RSRC2:SCRATCH_EN: 0
; COMPUTE_PGM_RSRC2:USER_SGPR: 6
; COMPUTE_PGM_RSRC2:TRAP_HANDLER: 0
; COMPUTE_PGM_RSRC2:TGID_X_EN: 1
; COMPUTE_PGM_RSRC2:TGID_Y_EN: 0
; COMPUTE_PGM_RSRC2:TGID_Z_EN: 0
; COMPUTE_PGM_RSRC2:TIDIG_COMP_CNT: 0
; COMPUTE_PGM_RSRC3_GFX90A:ACCUM_OFFSET: 0
; COMPUTE_PGM_RSRC3_GFX90A:TG_SPLIT: 0
	.section	.text._ZN7rocprim17ROCPRIM_400000_NS6detail17trampoline_kernelINS0_14default_configENS1_29reduce_by_key_config_selectorIijN6thrust23THRUST_200600_302600_NS4plusIjEEEEZZNS1_33reduce_by_key_impl_wrapped_configILNS1_25lookback_scan_determinismE0ES3_S9_NS6_6detail15normal_iteratorINS6_10device_ptrIiEEEENSD_INSE_IjEEEESG_SI_PmS8_NS6_8equal_toIiEEEE10hipError_tPvRmT2_T3_mT4_T5_T6_T7_T8_P12ihipStream_tbENKUlT_T0_E_clISt17integral_constantIbLb0EES12_IbLb1EEEEDaSY_SZ_EUlSY_E_NS1_11comp_targetILNS1_3genE8ELNS1_11target_archE1030ELNS1_3gpuE2ELNS1_3repE0EEENS1_30default_config_static_selectorELNS0_4arch9wavefront6targetE1EEEvT1_,"axG",@progbits,_ZN7rocprim17ROCPRIM_400000_NS6detail17trampoline_kernelINS0_14default_configENS1_29reduce_by_key_config_selectorIijN6thrust23THRUST_200600_302600_NS4plusIjEEEEZZNS1_33reduce_by_key_impl_wrapped_configILNS1_25lookback_scan_determinismE0ES3_S9_NS6_6detail15normal_iteratorINS6_10device_ptrIiEEEENSD_INSE_IjEEEESG_SI_PmS8_NS6_8equal_toIiEEEE10hipError_tPvRmT2_T3_mT4_T5_T6_T7_T8_P12ihipStream_tbENKUlT_T0_E_clISt17integral_constantIbLb0EES12_IbLb1EEEEDaSY_SZ_EUlSY_E_NS1_11comp_targetILNS1_3genE8ELNS1_11target_archE1030ELNS1_3gpuE2ELNS1_3repE0EEENS1_30default_config_static_selectorELNS0_4arch9wavefront6targetE1EEEvT1_,comdat
	.protected	_ZN7rocprim17ROCPRIM_400000_NS6detail17trampoline_kernelINS0_14default_configENS1_29reduce_by_key_config_selectorIijN6thrust23THRUST_200600_302600_NS4plusIjEEEEZZNS1_33reduce_by_key_impl_wrapped_configILNS1_25lookback_scan_determinismE0ES3_S9_NS6_6detail15normal_iteratorINS6_10device_ptrIiEEEENSD_INSE_IjEEEESG_SI_PmS8_NS6_8equal_toIiEEEE10hipError_tPvRmT2_T3_mT4_T5_T6_T7_T8_P12ihipStream_tbENKUlT_T0_E_clISt17integral_constantIbLb0EES12_IbLb1EEEEDaSY_SZ_EUlSY_E_NS1_11comp_targetILNS1_3genE8ELNS1_11target_archE1030ELNS1_3gpuE2ELNS1_3repE0EEENS1_30default_config_static_selectorELNS0_4arch9wavefront6targetE1EEEvT1_ ; -- Begin function _ZN7rocprim17ROCPRIM_400000_NS6detail17trampoline_kernelINS0_14default_configENS1_29reduce_by_key_config_selectorIijN6thrust23THRUST_200600_302600_NS4plusIjEEEEZZNS1_33reduce_by_key_impl_wrapped_configILNS1_25lookback_scan_determinismE0ES3_S9_NS6_6detail15normal_iteratorINS6_10device_ptrIiEEEENSD_INSE_IjEEEESG_SI_PmS8_NS6_8equal_toIiEEEE10hipError_tPvRmT2_T3_mT4_T5_T6_T7_T8_P12ihipStream_tbENKUlT_T0_E_clISt17integral_constantIbLb0EES12_IbLb1EEEEDaSY_SZ_EUlSY_E_NS1_11comp_targetILNS1_3genE8ELNS1_11target_archE1030ELNS1_3gpuE2ELNS1_3repE0EEENS1_30default_config_static_selectorELNS0_4arch9wavefront6targetE1EEEvT1_
	.globl	_ZN7rocprim17ROCPRIM_400000_NS6detail17trampoline_kernelINS0_14default_configENS1_29reduce_by_key_config_selectorIijN6thrust23THRUST_200600_302600_NS4plusIjEEEEZZNS1_33reduce_by_key_impl_wrapped_configILNS1_25lookback_scan_determinismE0ES3_S9_NS6_6detail15normal_iteratorINS6_10device_ptrIiEEEENSD_INSE_IjEEEESG_SI_PmS8_NS6_8equal_toIiEEEE10hipError_tPvRmT2_T3_mT4_T5_T6_T7_T8_P12ihipStream_tbENKUlT_T0_E_clISt17integral_constantIbLb0EES12_IbLb1EEEEDaSY_SZ_EUlSY_E_NS1_11comp_targetILNS1_3genE8ELNS1_11target_archE1030ELNS1_3gpuE2ELNS1_3repE0EEENS1_30default_config_static_selectorELNS0_4arch9wavefront6targetE1EEEvT1_
	.p2align	8
	.type	_ZN7rocprim17ROCPRIM_400000_NS6detail17trampoline_kernelINS0_14default_configENS1_29reduce_by_key_config_selectorIijN6thrust23THRUST_200600_302600_NS4plusIjEEEEZZNS1_33reduce_by_key_impl_wrapped_configILNS1_25lookback_scan_determinismE0ES3_S9_NS6_6detail15normal_iteratorINS6_10device_ptrIiEEEENSD_INSE_IjEEEESG_SI_PmS8_NS6_8equal_toIiEEEE10hipError_tPvRmT2_T3_mT4_T5_T6_T7_T8_P12ihipStream_tbENKUlT_T0_E_clISt17integral_constantIbLb0EES12_IbLb1EEEEDaSY_SZ_EUlSY_E_NS1_11comp_targetILNS1_3genE8ELNS1_11target_archE1030ELNS1_3gpuE2ELNS1_3repE0EEENS1_30default_config_static_selectorELNS0_4arch9wavefront6targetE1EEEvT1_,@function
_ZN7rocprim17ROCPRIM_400000_NS6detail17trampoline_kernelINS0_14default_configENS1_29reduce_by_key_config_selectorIijN6thrust23THRUST_200600_302600_NS4plusIjEEEEZZNS1_33reduce_by_key_impl_wrapped_configILNS1_25lookback_scan_determinismE0ES3_S9_NS6_6detail15normal_iteratorINS6_10device_ptrIiEEEENSD_INSE_IjEEEESG_SI_PmS8_NS6_8equal_toIiEEEE10hipError_tPvRmT2_T3_mT4_T5_T6_T7_T8_P12ihipStream_tbENKUlT_T0_E_clISt17integral_constantIbLb0EES12_IbLb1EEEEDaSY_SZ_EUlSY_E_NS1_11comp_targetILNS1_3genE8ELNS1_11target_archE1030ELNS1_3gpuE2ELNS1_3repE0EEENS1_30default_config_static_selectorELNS0_4arch9wavefront6targetE1EEEvT1_: ; @_ZN7rocprim17ROCPRIM_400000_NS6detail17trampoline_kernelINS0_14default_configENS1_29reduce_by_key_config_selectorIijN6thrust23THRUST_200600_302600_NS4plusIjEEEEZZNS1_33reduce_by_key_impl_wrapped_configILNS1_25lookback_scan_determinismE0ES3_S9_NS6_6detail15normal_iteratorINS6_10device_ptrIiEEEENSD_INSE_IjEEEESG_SI_PmS8_NS6_8equal_toIiEEEE10hipError_tPvRmT2_T3_mT4_T5_T6_T7_T8_P12ihipStream_tbENKUlT_T0_E_clISt17integral_constantIbLb0EES12_IbLb1EEEEDaSY_SZ_EUlSY_E_NS1_11comp_targetILNS1_3genE8ELNS1_11target_archE1030ELNS1_3gpuE2ELNS1_3repE0EEENS1_30default_config_static_selectorELNS0_4arch9wavefront6targetE1EEEvT1_
; %bb.0:
	.section	.rodata,"a",@progbits
	.p2align	6, 0x0
	.amdhsa_kernel _ZN7rocprim17ROCPRIM_400000_NS6detail17trampoline_kernelINS0_14default_configENS1_29reduce_by_key_config_selectorIijN6thrust23THRUST_200600_302600_NS4plusIjEEEEZZNS1_33reduce_by_key_impl_wrapped_configILNS1_25lookback_scan_determinismE0ES3_S9_NS6_6detail15normal_iteratorINS6_10device_ptrIiEEEENSD_INSE_IjEEEESG_SI_PmS8_NS6_8equal_toIiEEEE10hipError_tPvRmT2_T3_mT4_T5_T6_T7_T8_P12ihipStream_tbENKUlT_T0_E_clISt17integral_constantIbLb0EES12_IbLb1EEEEDaSY_SZ_EUlSY_E_NS1_11comp_targetILNS1_3genE8ELNS1_11target_archE1030ELNS1_3gpuE2ELNS1_3repE0EEENS1_30default_config_static_selectorELNS0_4arch9wavefront6targetE1EEEvT1_
		.amdhsa_group_segment_fixed_size 0
		.amdhsa_private_segment_fixed_size 0
		.amdhsa_kernarg_size 120
		.amdhsa_user_sgpr_count 6
		.amdhsa_user_sgpr_private_segment_buffer 1
		.amdhsa_user_sgpr_dispatch_ptr 0
		.amdhsa_user_sgpr_queue_ptr 0
		.amdhsa_user_sgpr_kernarg_segment_ptr 1
		.amdhsa_user_sgpr_dispatch_id 0
		.amdhsa_user_sgpr_flat_scratch_init 0
		.amdhsa_user_sgpr_kernarg_preload_length 0
		.amdhsa_user_sgpr_kernarg_preload_offset 0
		.amdhsa_user_sgpr_private_segment_size 0
		.amdhsa_uses_dynamic_stack 0
		.amdhsa_system_sgpr_private_segment_wavefront_offset 0
		.amdhsa_system_sgpr_workgroup_id_x 1
		.amdhsa_system_sgpr_workgroup_id_y 0
		.amdhsa_system_sgpr_workgroup_id_z 0
		.amdhsa_system_sgpr_workgroup_info 0
		.amdhsa_system_vgpr_workitem_id 0
		.amdhsa_next_free_vgpr 1
		.amdhsa_next_free_sgpr 0
		.amdhsa_accum_offset 4
		.amdhsa_reserve_vcc 0
		.amdhsa_reserve_flat_scratch 0
		.amdhsa_float_round_mode_32 0
		.amdhsa_float_round_mode_16_64 0
		.amdhsa_float_denorm_mode_32 3
		.amdhsa_float_denorm_mode_16_64 3
		.amdhsa_dx10_clamp 1
		.amdhsa_ieee_mode 1
		.amdhsa_fp16_overflow 0
		.amdhsa_tg_split 0
		.amdhsa_exception_fp_ieee_invalid_op 0
		.amdhsa_exception_fp_denorm_src 0
		.amdhsa_exception_fp_ieee_div_zero 0
		.amdhsa_exception_fp_ieee_overflow 0
		.amdhsa_exception_fp_ieee_underflow 0
		.amdhsa_exception_fp_ieee_inexact 0
		.amdhsa_exception_int_div_zero 0
	.end_amdhsa_kernel
	.section	.text._ZN7rocprim17ROCPRIM_400000_NS6detail17trampoline_kernelINS0_14default_configENS1_29reduce_by_key_config_selectorIijN6thrust23THRUST_200600_302600_NS4plusIjEEEEZZNS1_33reduce_by_key_impl_wrapped_configILNS1_25lookback_scan_determinismE0ES3_S9_NS6_6detail15normal_iteratorINS6_10device_ptrIiEEEENSD_INSE_IjEEEESG_SI_PmS8_NS6_8equal_toIiEEEE10hipError_tPvRmT2_T3_mT4_T5_T6_T7_T8_P12ihipStream_tbENKUlT_T0_E_clISt17integral_constantIbLb0EES12_IbLb1EEEEDaSY_SZ_EUlSY_E_NS1_11comp_targetILNS1_3genE8ELNS1_11target_archE1030ELNS1_3gpuE2ELNS1_3repE0EEENS1_30default_config_static_selectorELNS0_4arch9wavefront6targetE1EEEvT1_,"axG",@progbits,_ZN7rocprim17ROCPRIM_400000_NS6detail17trampoline_kernelINS0_14default_configENS1_29reduce_by_key_config_selectorIijN6thrust23THRUST_200600_302600_NS4plusIjEEEEZZNS1_33reduce_by_key_impl_wrapped_configILNS1_25lookback_scan_determinismE0ES3_S9_NS6_6detail15normal_iteratorINS6_10device_ptrIiEEEENSD_INSE_IjEEEESG_SI_PmS8_NS6_8equal_toIiEEEE10hipError_tPvRmT2_T3_mT4_T5_T6_T7_T8_P12ihipStream_tbENKUlT_T0_E_clISt17integral_constantIbLb0EES12_IbLb1EEEEDaSY_SZ_EUlSY_E_NS1_11comp_targetILNS1_3genE8ELNS1_11target_archE1030ELNS1_3gpuE2ELNS1_3repE0EEENS1_30default_config_static_selectorELNS0_4arch9wavefront6targetE1EEEvT1_,comdat
.Lfunc_end840:
	.size	_ZN7rocprim17ROCPRIM_400000_NS6detail17trampoline_kernelINS0_14default_configENS1_29reduce_by_key_config_selectorIijN6thrust23THRUST_200600_302600_NS4plusIjEEEEZZNS1_33reduce_by_key_impl_wrapped_configILNS1_25lookback_scan_determinismE0ES3_S9_NS6_6detail15normal_iteratorINS6_10device_ptrIiEEEENSD_INSE_IjEEEESG_SI_PmS8_NS6_8equal_toIiEEEE10hipError_tPvRmT2_T3_mT4_T5_T6_T7_T8_P12ihipStream_tbENKUlT_T0_E_clISt17integral_constantIbLb0EES12_IbLb1EEEEDaSY_SZ_EUlSY_E_NS1_11comp_targetILNS1_3genE8ELNS1_11target_archE1030ELNS1_3gpuE2ELNS1_3repE0EEENS1_30default_config_static_selectorELNS0_4arch9wavefront6targetE1EEEvT1_, .Lfunc_end840-_ZN7rocprim17ROCPRIM_400000_NS6detail17trampoline_kernelINS0_14default_configENS1_29reduce_by_key_config_selectorIijN6thrust23THRUST_200600_302600_NS4plusIjEEEEZZNS1_33reduce_by_key_impl_wrapped_configILNS1_25lookback_scan_determinismE0ES3_S9_NS6_6detail15normal_iteratorINS6_10device_ptrIiEEEENSD_INSE_IjEEEESG_SI_PmS8_NS6_8equal_toIiEEEE10hipError_tPvRmT2_T3_mT4_T5_T6_T7_T8_P12ihipStream_tbENKUlT_T0_E_clISt17integral_constantIbLb0EES12_IbLb1EEEEDaSY_SZ_EUlSY_E_NS1_11comp_targetILNS1_3genE8ELNS1_11target_archE1030ELNS1_3gpuE2ELNS1_3repE0EEENS1_30default_config_static_selectorELNS0_4arch9wavefront6targetE1EEEvT1_
                                        ; -- End function
	.section	.AMDGPU.csdata,"",@progbits
; Kernel info:
; codeLenInByte = 0
; NumSgprs: 4
; NumVgprs: 0
; NumAgprs: 0
; TotalNumVgprs: 0
; ScratchSize: 0
; MemoryBound: 0
; FloatMode: 240
; IeeeMode: 1
; LDSByteSize: 0 bytes/workgroup (compile time only)
; SGPRBlocks: 0
; VGPRBlocks: 0
; NumSGPRsForWavesPerEU: 4
; NumVGPRsForWavesPerEU: 1
; AccumOffset: 4
; Occupancy: 8
; WaveLimiterHint : 0
; COMPUTE_PGM_RSRC2:SCRATCH_EN: 0
; COMPUTE_PGM_RSRC2:USER_SGPR: 6
; COMPUTE_PGM_RSRC2:TRAP_HANDLER: 0
; COMPUTE_PGM_RSRC2:TGID_X_EN: 1
; COMPUTE_PGM_RSRC2:TGID_Y_EN: 0
; COMPUTE_PGM_RSRC2:TGID_Z_EN: 0
; COMPUTE_PGM_RSRC2:TIDIG_COMP_CNT: 0
; COMPUTE_PGM_RSRC3_GFX90A:ACCUM_OFFSET: 0
; COMPUTE_PGM_RSRC3_GFX90A:TG_SPLIT: 0
	.section	.text._ZN7rocprim17ROCPRIM_400000_NS6detail17trampoline_kernelINS0_14default_configENS1_29reduce_by_key_config_selectorIsjN6thrust23THRUST_200600_302600_NS4plusIjEEEEZZNS1_33reduce_by_key_impl_wrapped_configILNS1_25lookback_scan_determinismE0ES3_S9_NS6_6detail15normal_iteratorINS6_10device_ptrIsEEEENSD_INSE_IjEEEESG_SI_PmS8_NS6_8equal_toIsEEEE10hipError_tPvRmT2_T3_mT4_T5_T6_T7_T8_P12ihipStream_tbENKUlT_T0_E_clISt17integral_constantIbLb0EES13_EEDaSY_SZ_EUlSY_E_NS1_11comp_targetILNS1_3genE0ELNS1_11target_archE4294967295ELNS1_3gpuE0ELNS1_3repE0EEENS1_30default_config_static_selectorELNS0_4arch9wavefront6targetE1EEEvT1_,"axG",@progbits,_ZN7rocprim17ROCPRIM_400000_NS6detail17trampoline_kernelINS0_14default_configENS1_29reduce_by_key_config_selectorIsjN6thrust23THRUST_200600_302600_NS4plusIjEEEEZZNS1_33reduce_by_key_impl_wrapped_configILNS1_25lookback_scan_determinismE0ES3_S9_NS6_6detail15normal_iteratorINS6_10device_ptrIsEEEENSD_INSE_IjEEEESG_SI_PmS8_NS6_8equal_toIsEEEE10hipError_tPvRmT2_T3_mT4_T5_T6_T7_T8_P12ihipStream_tbENKUlT_T0_E_clISt17integral_constantIbLb0EES13_EEDaSY_SZ_EUlSY_E_NS1_11comp_targetILNS1_3genE0ELNS1_11target_archE4294967295ELNS1_3gpuE0ELNS1_3repE0EEENS1_30default_config_static_selectorELNS0_4arch9wavefront6targetE1EEEvT1_,comdat
	.protected	_ZN7rocprim17ROCPRIM_400000_NS6detail17trampoline_kernelINS0_14default_configENS1_29reduce_by_key_config_selectorIsjN6thrust23THRUST_200600_302600_NS4plusIjEEEEZZNS1_33reduce_by_key_impl_wrapped_configILNS1_25lookback_scan_determinismE0ES3_S9_NS6_6detail15normal_iteratorINS6_10device_ptrIsEEEENSD_INSE_IjEEEESG_SI_PmS8_NS6_8equal_toIsEEEE10hipError_tPvRmT2_T3_mT4_T5_T6_T7_T8_P12ihipStream_tbENKUlT_T0_E_clISt17integral_constantIbLb0EES13_EEDaSY_SZ_EUlSY_E_NS1_11comp_targetILNS1_3genE0ELNS1_11target_archE4294967295ELNS1_3gpuE0ELNS1_3repE0EEENS1_30default_config_static_selectorELNS0_4arch9wavefront6targetE1EEEvT1_ ; -- Begin function _ZN7rocprim17ROCPRIM_400000_NS6detail17trampoline_kernelINS0_14default_configENS1_29reduce_by_key_config_selectorIsjN6thrust23THRUST_200600_302600_NS4plusIjEEEEZZNS1_33reduce_by_key_impl_wrapped_configILNS1_25lookback_scan_determinismE0ES3_S9_NS6_6detail15normal_iteratorINS6_10device_ptrIsEEEENSD_INSE_IjEEEESG_SI_PmS8_NS6_8equal_toIsEEEE10hipError_tPvRmT2_T3_mT4_T5_T6_T7_T8_P12ihipStream_tbENKUlT_T0_E_clISt17integral_constantIbLb0EES13_EEDaSY_SZ_EUlSY_E_NS1_11comp_targetILNS1_3genE0ELNS1_11target_archE4294967295ELNS1_3gpuE0ELNS1_3repE0EEENS1_30default_config_static_selectorELNS0_4arch9wavefront6targetE1EEEvT1_
	.globl	_ZN7rocprim17ROCPRIM_400000_NS6detail17trampoline_kernelINS0_14default_configENS1_29reduce_by_key_config_selectorIsjN6thrust23THRUST_200600_302600_NS4plusIjEEEEZZNS1_33reduce_by_key_impl_wrapped_configILNS1_25lookback_scan_determinismE0ES3_S9_NS6_6detail15normal_iteratorINS6_10device_ptrIsEEEENSD_INSE_IjEEEESG_SI_PmS8_NS6_8equal_toIsEEEE10hipError_tPvRmT2_T3_mT4_T5_T6_T7_T8_P12ihipStream_tbENKUlT_T0_E_clISt17integral_constantIbLb0EES13_EEDaSY_SZ_EUlSY_E_NS1_11comp_targetILNS1_3genE0ELNS1_11target_archE4294967295ELNS1_3gpuE0ELNS1_3repE0EEENS1_30default_config_static_selectorELNS0_4arch9wavefront6targetE1EEEvT1_
	.p2align	8
	.type	_ZN7rocprim17ROCPRIM_400000_NS6detail17trampoline_kernelINS0_14default_configENS1_29reduce_by_key_config_selectorIsjN6thrust23THRUST_200600_302600_NS4plusIjEEEEZZNS1_33reduce_by_key_impl_wrapped_configILNS1_25lookback_scan_determinismE0ES3_S9_NS6_6detail15normal_iteratorINS6_10device_ptrIsEEEENSD_INSE_IjEEEESG_SI_PmS8_NS6_8equal_toIsEEEE10hipError_tPvRmT2_T3_mT4_T5_T6_T7_T8_P12ihipStream_tbENKUlT_T0_E_clISt17integral_constantIbLb0EES13_EEDaSY_SZ_EUlSY_E_NS1_11comp_targetILNS1_3genE0ELNS1_11target_archE4294967295ELNS1_3gpuE0ELNS1_3repE0EEENS1_30default_config_static_selectorELNS0_4arch9wavefront6targetE1EEEvT1_,@function
_ZN7rocprim17ROCPRIM_400000_NS6detail17trampoline_kernelINS0_14default_configENS1_29reduce_by_key_config_selectorIsjN6thrust23THRUST_200600_302600_NS4plusIjEEEEZZNS1_33reduce_by_key_impl_wrapped_configILNS1_25lookback_scan_determinismE0ES3_S9_NS6_6detail15normal_iteratorINS6_10device_ptrIsEEEENSD_INSE_IjEEEESG_SI_PmS8_NS6_8equal_toIsEEEE10hipError_tPvRmT2_T3_mT4_T5_T6_T7_T8_P12ihipStream_tbENKUlT_T0_E_clISt17integral_constantIbLb0EES13_EEDaSY_SZ_EUlSY_E_NS1_11comp_targetILNS1_3genE0ELNS1_11target_archE4294967295ELNS1_3gpuE0ELNS1_3repE0EEENS1_30default_config_static_selectorELNS0_4arch9wavefront6targetE1EEEvT1_: ; @_ZN7rocprim17ROCPRIM_400000_NS6detail17trampoline_kernelINS0_14default_configENS1_29reduce_by_key_config_selectorIsjN6thrust23THRUST_200600_302600_NS4plusIjEEEEZZNS1_33reduce_by_key_impl_wrapped_configILNS1_25lookback_scan_determinismE0ES3_S9_NS6_6detail15normal_iteratorINS6_10device_ptrIsEEEENSD_INSE_IjEEEESG_SI_PmS8_NS6_8equal_toIsEEEE10hipError_tPvRmT2_T3_mT4_T5_T6_T7_T8_P12ihipStream_tbENKUlT_T0_E_clISt17integral_constantIbLb0EES13_EEDaSY_SZ_EUlSY_E_NS1_11comp_targetILNS1_3genE0ELNS1_11target_archE4294967295ELNS1_3gpuE0ELNS1_3repE0EEENS1_30default_config_static_selectorELNS0_4arch9wavefront6targetE1EEEvT1_
; %bb.0:
	.section	.rodata,"a",@progbits
	.p2align	6, 0x0
	.amdhsa_kernel _ZN7rocprim17ROCPRIM_400000_NS6detail17trampoline_kernelINS0_14default_configENS1_29reduce_by_key_config_selectorIsjN6thrust23THRUST_200600_302600_NS4plusIjEEEEZZNS1_33reduce_by_key_impl_wrapped_configILNS1_25lookback_scan_determinismE0ES3_S9_NS6_6detail15normal_iteratorINS6_10device_ptrIsEEEENSD_INSE_IjEEEESG_SI_PmS8_NS6_8equal_toIsEEEE10hipError_tPvRmT2_T3_mT4_T5_T6_T7_T8_P12ihipStream_tbENKUlT_T0_E_clISt17integral_constantIbLb0EES13_EEDaSY_SZ_EUlSY_E_NS1_11comp_targetILNS1_3genE0ELNS1_11target_archE4294967295ELNS1_3gpuE0ELNS1_3repE0EEENS1_30default_config_static_selectorELNS0_4arch9wavefront6targetE1EEEvT1_
		.amdhsa_group_segment_fixed_size 0
		.amdhsa_private_segment_fixed_size 0
		.amdhsa_kernarg_size 120
		.amdhsa_user_sgpr_count 6
		.amdhsa_user_sgpr_private_segment_buffer 1
		.amdhsa_user_sgpr_dispatch_ptr 0
		.amdhsa_user_sgpr_queue_ptr 0
		.amdhsa_user_sgpr_kernarg_segment_ptr 1
		.amdhsa_user_sgpr_dispatch_id 0
		.amdhsa_user_sgpr_flat_scratch_init 0
		.amdhsa_user_sgpr_kernarg_preload_length 0
		.amdhsa_user_sgpr_kernarg_preload_offset 0
		.amdhsa_user_sgpr_private_segment_size 0
		.amdhsa_uses_dynamic_stack 0
		.amdhsa_system_sgpr_private_segment_wavefront_offset 0
		.amdhsa_system_sgpr_workgroup_id_x 1
		.amdhsa_system_sgpr_workgroup_id_y 0
		.amdhsa_system_sgpr_workgroup_id_z 0
		.amdhsa_system_sgpr_workgroup_info 0
		.amdhsa_system_vgpr_workitem_id 0
		.amdhsa_next_free_vgpr 1
		.amdhsa_next_free_sgpr 0
		.amdhsa_accum_offset 4
		.amdhsa_reserve_vcc 0
		.amdhsa_reserve_flat_scratch 0
		.amdhsa_float_round_mode_32 0
		.amdhsa_float_round_mode_16_64 0
		.amdhsa_float_denorm_mode_32 3
		.amdhsa_float_denorm_mode_16_64 3
		.amdhsa_dx10_clamp 1
		.amdhsa_ieee_mode 1
		.amdhsa_fp16_overflow 0
		.amdhsa_tg_split 0
		.amdhsa_exception_fp_ieee_invalid_op 0
		.amdhsa_exception_fp_denorm_src 0
		.amdhsa_exception_fp_ieee_div_zero 0
		.amdhsa_exception_fp_ieee_overflow 0
		.amdhsa_exception_fp_ieee_underflow 0
		.amdhsa_exception_fp_ieee_inexact 0
		.amdhsa_exception_int_div_zero 0
	.end_amdhsa_kernel
	.section	.text._ZN7rocprim17ROCPRIM_400000_NS6detail17trampoline_kernelINS0_14default_configENS1_29reduce_by_key_config_selectorIsjN6thrust23THRUST_200600_302600_NS4plusIjEEEEZZNS1_33reduce_by_key_impl_wrapped_configILNS1_25lookback_scan_determinismE0ES3_S9_NS6_6detail15normal_iteratorINS6_10device_ptrIsEEEENSD_INSE_IjEEEESG_SI_PmS8_NS6_8equal_toIsEEEE10hipError_tPvRmT2_T3_mT4_T5_T6_T7_T8_P12ihipStream_tbENKUlT_T0_E_clISt17integral_constantIbLb0EES13_EEDaSY_SZ_EUlSY_E_NS1_11comp_targetILNS1_3genE0ELNS1_11target_archE4294967295ELNS1_3gpuE0ELNS1_3repE0EEENS1_30default_config_static_selectorELNS0_4arch9wavefront6targetE1EEEvT1_,"axG",@progbits,_ZN7rocprim17ROCPRIM_400000_NS6detail17trampoline_kernelINS0_14default_configENS1_29reduce_by_key_config_selectorIsjN6thrust23THRUST_200600_302600_NS4plusIjEEEEZZNS1_33reduce_by_key_impl_wrapped_configILNS1_25lookback_scan_determinismE0ES3_S9_NS6_6detail15normal_iteratorINS6_10device_ptrIsEEEENSD_INSE_IjEEEESG_SI_PmS8_NS6_8equal_toIsEEEE10hipError_tPvRmT2_T3_mT4_T5_T6_T7_T8_P12ihipStream_tbENKUlT_T0_E_clISt17integral_constantIbLb0EES13_EEDaSY_SZ_EUlSY_E_NS1_11comp_targetILNS1_3genE0ELNS1_11target_archE4294967295ELNS1_3gpuE0ELNS1_3repE0EEENS1_30default_config_static_selectorELNS0_4arch9wavefront6targetE1EEEvT1_,comdat
.Lfunc_end841:
	.size	_ZN7rocprim17ROCPRIM_400000_NS6detail17trampoline_kernelINS0_14default_configENS1_29reduce_by_key_config_selectorIsjN6thrust23THRUST_200600_302600_NS4plusIjEEEEZZNS1_33reduce_by_key_impl_wrapped_configILNS1_25lookback_scan_determinismE0ES3_S9_NS6_6detail15normal_iteratorINS6_10device_ptrIsEEEENSD_INSE_IjEEEESG_SI_PmS8_NS6_8equal_toIsEEEE10hipError_tPvRmT2_T3_mT4_T5_T6_T7_T8_P12ihipStream_tbENKUlT_T0_E_clISt17integral_constantIbLb0EES13_EEDaSY_SZ_EUlSY_E_NS1_11comp_targetILNS1_3genE0ELNS1_11target_archE4294967295ELNS1_3gpuE0ELNS1_3repE0EEENS1_30default_config_static_selectorELNS0_4arch9wavefront6targetE1EEEvT1_, .Lfunc_end841-_ZN7rocprim17ROCPRIM_400000_NS6detail17trampoline_kernelINS0_14default_configENS1_29reduce_by_key_config_selectorIsjN6thrust23THRUST_200600_302600_NS4plusIjEEEEZZNS1_33reduce_by_key_impl_wrapped_configILNS1_25lookback_scan_determinismE0ES3_S9_NS6_6detail15normal_iteratorINS6_10device_ptrIsEEEENSD_INSE_IjEEEESG_SI_PmS8_NS6_8equal_toIsEEEE10hipError_tPvRmT2_T3_mT4_T5_T6_T7_T8_P12ihipStream_tbENKUlT_T0_E_clISt17integral_constantIbLb0EES13_EEDaSY_SZ_EUlSY_E_NS1_11comp_targetILNS1_3genE0ELNS1_11target_archE4294967295ELNS1_3gpuE0ELNS1_3repE0EEENS1_30default_config_static_selectorELNS0_4arch9wavefront6targetE1EEEvT1_
                                        ; -- End function
	.section	.AMDGPU.csdata,"",@progbits
; Kernel info:
; codeLenInByte = 0
; NumSgprs: 4
; NumVgprs: 0
; NumAgprs: 0
; TotalNumVgprs: 0
; ScratchSize: 0
; MemoryBound: 0
; FloatMode: 240
; IeeeMode: 1
; LDSByteSize: 0 bytes/workgroup (compile time only)
; SGPRBlocks: 0
; VGPRBlocks: 0
; NumSGPRsForWavesPerEU: 4
; NumVGPRsForWavesPerEU: 1
; AccumOffset: 4
; Occupancy: 8
; WaveLimiterHint : 0
; COMPUTE_PGM_RSRC2:SCRATCH_EN: 0
; COMPUTE_PGM_RSRC2:USER_SGPR: 6
; COMPUTE_PGM_RSRC2:TRAP_HANDLER: 0
; COMPUTE_PGM_RSRC2:TGID_X_EN: 1
; COMPUTE_PGM_RSRC2:TGID_Y_EN: 0
; COMPUTE_PGM_RSRC2:TGID_Z_EN: 0
; COMPUTE_PGM_RSRC2:TIDIG_COMP_CNT: 0
; COMPUTE_PGM_RSRC3_GFX90A:ACCUM_OFFSET: 0
; COMPUTE_PGM_RSRC3_GFX90A:TG_SPLIT: 0
	.section	.text._ZN7rocprim17ROCPRIM_400000_NS6detail17trampoline_kernelINS0_14default_configENS1_29reduce_by_key_config_selectorIsjN6thrust23THRUST_200600_302600_NS4plusIjEEEEZZNS1_33reduce_by_key_impl_wrapped_configILNS1_25lookback_scan_determinismE0ES3_S9_NS6_6detail15normal_iteratorINS6_10device_ptrIsEEEENSD_INSE_IjEEEESG_SI_PmS8_NS6_8equal_toIsEEEE10hipError_tPvRmT2_T3_mT4_T5_T6_T7_T8_P12ihipStream_tbENKUlT_T0_E_clISt17integral_constantIbLb0EES13_EEDaSY_SZ_EUlSY_E_NS1_11comp_targetILNS1_3genE5ELNS1_11target_archE942ELNS1_3gpuE9ELNS1_3repE0EEENS1_30default_config_static_selectorELNS0_4arch9wavefront6targetE1EEEvT1_,"axG",@progbits,_ZN7rocprim17ROCPRIM_400000_NS6detail17trampoline_kernelINS0_14default_configENS1_29reduce_by_key_config_selectorIsjN6thrust23THRUST_200600_302600_NS4plusIjEEEEZZNS1_33reduce_by_key_impl_wrapped_configILNS1_25lookback_scan_determinismE0ES3_S9_NS6_6detail15normal_iteratorINS6_10device_ptrIsEEEENSD_INSE_IjEEEESG_SI_PmS8_NS6_8equal_toIsEEEE10hipError_tPvRmT2_T3_mT4_T5_T6_T7_T8_P12ihipStream_tbENKUlT_T0_E_clISt17integral_constantIbLb0EES13_EEDaSY_SZ_EUlSY_E_NS1_11comp_targetILNS1_3genE5ELNS1_11target_archE942ELNS1_3gpuE9ELNS1_3repE0EEENS1_30default_config_static_selectorELNS0_4arch9wavefront6targetE1EEEvT1_,comdat
	.protected	_ZN7rocprim17ROCPRIM_400000_NS6detail17trampoline_kernelINS0_14default_configENS1_29reduce_by_key_config_selectorIsjN6thrust23THRUST_200600_302600_NS4plusIjEEEEZZNS1_33reduce_by_key_impl_wrapped_configILNS1_25lookback_scan_determinismE0ES3_S9_NS6_6detail15normal_iteratorINS6_10device_ptrIsEEEENSD_INSE_IjEEEESG_SI_PmS8_NS6_8equal_toIsEEEE10hipError_tPvRmT2_T3_mT4_T5_T6_T7_T8_P12ihipStream_tbENKUlT_T0_E_clISt17integral_constantIbLb0EES13_EEDaSY_SZ_EUlSY_E_NS1_11comp_targetILNS1_3genE5ELNS1_11target_archE942ELNS1_3gpuE9ELNS1_3repE0EEENS1_30default_config_static_selectorELNS0_4arch9wavefront6targetE1EEEvT1_ ; -- Begin function _ZN7rocprim17ROCPRIM_400000_NS6detail17trampoline_kernelINS0_14default_configENS1_29reduce_by_key_config_selectorIsjN6thrust23THRUST_200600_302600_NS4plusIjEEEEZZNS1_33reduce_by_key_impl_wrapped_configILNS1_25lookback_scan_determinismE0ES3_S9_NS6_6detail15normal_iteratorINS6_10device_ptrIsEEEENSD_INSE_IjEEEESG_SI_PmS8_NS6_8equal_toIsEEEE10hipError_tPvRmT2_T3_mT4_T5_T6_T7_T8_P12ihipStream_tbENKUlT_T0_E_clISt17integral_constantIbLb0EES13_EEDaSY_SZ_EUlSY_E_NS1_11comp_targetILNS1_3genE5ELNS1_11target_archE942ELNS1_3gpuE9ELNS1_3repE0EEENS1_30default_config_static_selectorELNS0_4arch9wavefront6targetE1EEEvT1_
	.globl	_ZN7rocprim17ROCPRIM_400000_NS6detail17trampoline_kernelINS0_14default_configENS1_29reduce_by_key_config_selectorIsjN6thrust23THRUST_200600_302600_NS4plusIjEEEEZZNS1_33reduce_by_key_impl_wrapped_configILNS1_25lookback_scan_determinismE0ES3_S9_NS6_6detail15normal_iteratorINS6_10device_ptrIsEEEENSD_INSE_IjEEEESG_SI_PmS8_NS6_8equal_toIsEEEE10hipError_tPvRmT2_T3_mT4_T5_T6_T7_T8_P12ihipStream_tbENKUlT_T0_E_clISt17integral_constantIbLb0EES13_EEDaSY_SZ_EUlSY_E_NS1_11comp_targetILNS1_3genE5ELNS1_11target_archE942ELNS1_3gpuE9ELNS1_3repE0EEENS1_30default_config_static_selectorELNS0_4arch9wavefront6targetE1EEEvT1_
	.p2align	8
	.type	_ZN7rocprim17ROCPRIM_400000_NS6detail17trampoline_kernelINS0_14default_configENS1_29reduce_by_key_config_selectorIsjN6thrust23THRUST_200600_302600_NS4plusIjEEEEZZNS1_33reduce_by_key_impl_wrapped_configILNS1_25lookback_scan_determinismE0ES3_S9_NS6_6detail15normal_iteratorINS6_10device_ptrIsEEEENSD_INSE_IjEEEESG_SI_PmS8_NS6_8equal_toIsEEEE10hipError_tPvRmT2_T3_mT4_T5_T6_T7_T8_P12ihipStream_tbENKUlT_T0_E_clISt17integral_constantIbLb0EES13_EEDaSY_SZ_EUlSY_E_NS1_11comp_targetILNS1_3genE5ELNS1_11target_archE942ELNS1_3gpuE9ELNS1_3repE0EEENS1_30default_config_static_selectorELNS0_4arch9wavefront6targetE1EEEvT1_,@function
_ZN7rocprim17ROCPRIM_400000_NS6detail17trampoline_kernelINS0_14default_configENS1_29reduce_by_key_config_selectorIsjN6thrust23THRUST_200600_302600_NS4plusIjEEEEZZNS1_33reduce_by_key_impl_wrapped_configILNS1_25lookback_scan_determinismE0ES3_S9_NS6_6detail15normal_iteratorINS6_10device_ptrIsEEEENSD_INSE_IjEEEESG_SI_PmS8_NS6_8equal_toIsEEEE10hipError_tPvRmT2_T3_mT4_T5_T6_T7_T8_P12ihipStream_tbENKUlT_T0_E_clISt17integral_constantIbLb0EES13_EEDaSY_SZ_EUlSY_E_NS1_11comp_targetILNS1_3genE5ELNS1_11target_archE942ELNS1_3gpuE9ELNS1_3repE0EEENS1_30default_config_static_selectorELNS0_4arch9wavefront6targetE1EEEvT1_: ; @_ZN7rocprim17ROCPRIM_400000_NS6detail17trampoline_kernelINS0_14default_configENS1_29reduce_by_key_config_selectorIsjN6thrust23THRUST_200600_302600_NS4plusIjEEEEZZNS1_33reduce_by_key_impl_wrapped_configILNS1_25lookback_scan_determinismE0ES3_S9_NS6_6detail15normal_iteratorINS6_10device_ptrIsEEEENSD_INSE_IjEEEESG_SI_PmS8_NS6_8equal_toIsEEEE10hipError_tPvRmT2_T3_mT4_T5_T6_T7_T8_P12ihipStream_tbENKUlT_T0_E_clISt17integral_constantIbLb0EES13_EEDaSY_SZ_EUlSY_E_NS1_11comp_targetILNS1_3genE5ELNS1_11target_archE942ELNS1_3gpuE9ELNS1_3repE0EEENS1_30default_config_static_selectorELNS0_4arch9wavefront6targetE1EEEvT1_
; %bb.0:
	.section	.rodata,"a",@progbits
	.p2align	6, 0x0
	.amdhsa_kernel _ZN7rocprim17ROCPRIM_400000_NS6detail17trampoline_kernelINS0_14default_configENS1_29reduce_by_key_config_selectorIsjN6thrust23THRUST_200600_302600_NS4plusIjEEEEZZNS1_33reduce_by_key_impl_wrapped_configILNS1_25lookback_scan_determinismE0ES3_S9_NS6_6detail15normal_iteratorINS6_10device_ptrIsEEEENSD_INSE_IjEEEESG_SI_PmS8_NS6_8equal_toIsEEEE10hipError_tPvRmT2_T3_mT4_T5_T6_T7_T8_P12ihipStream_tbENKUlT_T0_E_clISt17integral_constantIbLb0EES13_EEDaSY_SZ_EUlSY_E_NS1_11comp_targetILNS1_3genE5ELNS1_11target_archE942ELNS1_3gpuE9ELNS1_3repE0EEENS1_30default_config_static_selectorELNS0_4arch9wavefront6targetE1EEEvT1_
		.amdhsa_group_segment_fixed_size 0
		.amdhsa_private_segment_fixed_size 0
		.amdhsa_kernarg_size 120
		.amdhsa_user_sgpr_count 6
		.amdhsa_user_sgpr_private_segment_buffer 1
		.amdhsa_user_sgpr_dispatch_ptr 0
		.amdhsa_user_sgpr_queue_ptr 0
		.amdhsa_user_sgpr_kernarg_segment_ptr 1
		.amdhsa_user_sgpr_dispatch_id 0
		.amdhsa_user_sgpr_flat_scratch_init 0
		.amdhsa_user_sgpr_kernarg_preload_length 0
		.amdhsa_user_sgpr_kernarg_preload_offset 0
		.amdhsa_user_sgpr_private_segment_size 0
		.amdhsa_uses_dynamic_stack 0
		.amdhsa_system_sgpr_private_segment_wavefront_offset 0
		.amdhsa_system_sgpr_workgroup_id_x 1
		.amdhsa_system_sgpr_workgroup_id_y 0
		.amdhsa_system_sgpr_workgroup_id_z 0
		.amdhsa_system_sgpr_workgroup_info 0
		.amdhsa_system_vgpr_workitem_id 0
		.amdhsa_next_free_vgpr 1
		.amdhsa_next_free_sgpr 0
		.amdhsa_accum_offset 4
		.amdhsa_reserve_vcc 0
		.amdhsa_reserve_flat_scratch 0
		.amdhsa_float_round_mode_32 0
		.amdhsa_float_round_mode_16_64 0
		.amdhsa_float_denorm_mode_32 3
		.amdhsa_float_denorm_mode_16_64 3
		.amdhsa_dx10_clamp 1
		.amdhsa_ieee_mode 1
		.amdhsa_fp16_overflow 0
		.amdhsa_tg_split 0
		.amdhsa_exception_fp_ieee_invalid_op 0
		.amdhsa_exception_fp_denorm_src 0
		.amdhsa_exception_fp_ieee_div_zero 0
		.amdhsa_exception_fp_ieee_overflow 0
		.amdhsa_exception_fp_ieee_underflow 0
		.amdhsa_exception_fp_ieee_inexact 0
		.amdhsa_exception_int_div_zero 0
	.end_amdhsa_kernel
	.section	.text._ZN7rocprim17ROCPRIM_400000_NS6detail17trampoline_kernelINS0_14default_configENS1_29reduce_by_key_config_selectorIsjN6thrust23THRUST_200600_302600_NS4plusIjEEEEZZNS1_33reduce_by_key_impl_wrapped_configILNS1_25lookback_scan_determinismE0ES3_S9_NS6_6detail15normal_iteratorINS6_10device_ptrIsEEEENSD_INSE_IjEEEESG_SI_PmS8_NS6_8equal_toIsEEEE10hipError_tPvRmT2_T3_mT4_T5_T6_T7_T8_P12ihipStream_tbENKUlT_T0_E_clISt17integral_constantIbLb0EES13_EEDaSY_SZ_EUlSY_E_NS1_11comp_targetILNS1_3genE5ELNS1_11target_archE942ELNS1_3gpuE9ELNS1_3repE0EEENS1_30default_config_static_selectorELNS0_4arch9wavefront6targetE1EEEvT1_,"axG",@progbits,_ZN7rocprim17ROCPRIM_400000_NS6detail17trampoline_kernelINS0_14default_configENS1_29reduce_by_key_config_selectorIsjN6thrust23THRUST_200600_302600_NS4plusIjEEEEZZNS1_33reduce_by_key_impl_wrapped_configILNS1_25lookback_scan_determinismE0ES3_S9_NS6_6detail15normal_iteratorINS6_10device_ptrIsEEEENSD_INSE_IjEEEESG_SI_PmS8_NS6_8equal_toIsEEEE10hipError_tPvRmT2_T3_mT4_T5_T6_T7_T8_P12ihipStream_tbENKUlT_T0_E_clISt17integral_constantIbLb0EES13_EEDaSY_SZ_EUlSY_E_NS1_11comp_targetILNS1_3genE5ELNS1_11target_archE942ELNS1_3gpuE9ELNS1_3repE0EEENS1_30default_config_static_selectorELNS0_4arch9wavefront6targetE1EEEvT1_,comdat
.Lfunc_end842:
	.size	_ZN7rocprim17ROCPRIM_400000_NS6detail17trampoline_kernelINS0_14default_configENS1_29reduce_by_key_config_selectorIsjN6thrust23THRUST_200600_302600_NS4plusIjEEEEZZNS1_33reduce_by_key_impl_wrapped_configILNS1_25lookback_scan_determinismE0ES3_S9_NS6_6detail15normal_iteratorINS6_10device_ptrIsEEEENSD_INSE_IjEEEESG_SI_PmS8_NS6_8equal_toIsEEEE10hipError_tPvRmT2_T3_mT4_T5_T6_T7_T8_P12ihipStream_tbENKUlT_T0_E_clISt17integral_constantIbLb0EES13_EEDaSY_SZ_EUlSY_E_NS1_11comp_targetILNS1_3genE5ELNS1_11target_archE942ELNS1_3gpuE9ELNS1_3repE0EEENS1_30default_config_static_selectorELNS0_4arch9wavefront6targetE1EEEvT1_, .Lfunc_end842-_ZN7rocprim17ROCPRIM_400000_NS6detail17trampoline_kernelINS0_14default_configENS1_29reduce_by_key_config_selectorIsjN6thrust23THRUST_200600_302600_NS4plusIjEEEEZZNS1_33reduce_by_key_impl_wrapped_configILNS1_25lookback_scan_determinismE0ES3_S9_NS6_6detail15normal_iteratorINS6_10device_ptrIsEEEENSD_INSE_IjEEEESG_SI_PmS8_NS6_8equal_toIsEEEE10hipError_tPvRmT2_T3_mT4_T5_T6_T7_T8_P12ihipStream_tbENKUlT_T0_E_clISt17integral_constantIbLb0EES13_EEDaSY_SZ_EUlSY_E_NS1_11comp_targetILNS1_3genE5ELNS1_11target_archE942ELNS1_3gpuE9ELNS1_3repE0EEENS1_30default_config_static_selectorELNS0_4arch9wavefront6targetE1EEEvT1_
                                        ; -- End function
	.section	.AMDGPU.csdata,"",@progbits
; Kernel info:
; codeLenInByte = 0
; NumSgprs: 4
; NumVgprs: 0
; NumAgprs: 0
; TotalNumVgprs: 0
; ScratchSize: 0
; MemoryBound: 0
; FloatMode: 240
; IeeeMode: 1
; LDSByteSize: 0 bytes/workgroup (compile time only)
; SGPRBlocks: 0
; VGPRBlocks: 0
; NumSGPRsForWavesPerEU: 4
; NumVGPRsForWavesPerEU: 1
; AccumOffset: 4
; Occupancy: 8
; WaveLimiterHint : 0
; COMPUTE_PGM_RSRC2:SCRATCH_EN: 0
; COMPUTE_PGM_RSRC2:USER_SGPR: 6
; COMPUTE_PGM_RSRC2:TRAP_HANDLER: 0
; COMPUTE_PGM_RSRC2:TGID_X_EN: 1
; COMPUTE_PGM_RSRC2:TGID_Y_EN: 0
; COMPUTE_PGM_RSRC2:TGID_Z_EN: 0
; COMPUTE_PGM_RSRC2:TIDIG_COMP_CNT: 0
; COMPUTE_PGM_RSRC3_GFX90A:ACCUM_OFFSET: 0
; COMPUTE_PGM_RSRC3_GFX90A:TG_SPLIT: 0
	.section	.text._ZN7rocprim17ROCPRIM_400000_NS6detail17trampoline_kernelINS0_14default_configENS1_29reduce_by_key_config_selectorIsjN6thrust23THRUST_200600_302600_NS4plusIjEEEEZZNS1_33reduce_by_key_impl_wrapped_configILNS1_25lookback_scan_determinismE0ES3_S9_NS6_6detail15normal_iteratorINS6_10device_ptrIsEEEENSD_INSE_IjEEEESG_SI_PmS8_NS6_8equal_toIsEEEE10hipError_tPvRmT2_T3_mT4_T5_T6_T7_T8_P12ihipStream_tbENKUlT_T0_E_clISt17integral_constantIbLb0EES13_EEDaSY_SZ_EUlSY_E_NS1_11comp_targetILNS1_3genE4ELNS1_11target_archE910ELNS1_3gpuE8ELNS1_3repE0EEENS1_30default_config_static_selectorELNS0_4arch9wavefront6targetE1EEEvT1_,"axG",@progbits,_ZN7rocprim17ROCPRIM_400000_NS6detail17trampoline_kernelINS0_14default_configENS1_29reduce_by_key_config_selectorIsjN6thrust23THRUST_200600_302600_NS4plusIjEEEEZZNS1_33reduce_by_key_impl_wrapped_configILNS1_25lookback_scan_determinismE0ES3_S9_NS6_6detail15normal_iteratorINS6_10device_ptrIsEEEENSD_INSE_IjEEEESG_SI_PmS8_NS6_8equal_toIsEEEE10hipError_tPvRmT2_T3_mT4_T5_T6_T7_T8_P12ihipStream_tbENKUlT_T0_E_clISt17integral_constantIbLb0EES13_EEDaSY_SZ_EUlSY_E_NS1_11comp_targetILNS1_3genE4ELNS1_11target_archE910ELNS1_3gpuE8ELNS1_3repE0EEENS1_30default_config_static_selectorELNS0_4arch9wavefront6targetE1EEEvT1_,comdat
	.protected	_ZN7rocprim17ROCPRIM_400000_NS6detail17trampoline_kernelINS0_14default_configENS1_29reduce_by_key_config_selectorIsjN6thrust23THRUST_200600_302600_NS4plusIjEEEEZZNS1_33reduce_by_key_impl_wrapped_configILNS1_25lookback_scan_determinismE0ES3_S9_NS6_6detail15normal_iteratorINS6_10device_ptrIsEEEENSD_INSE_IjEEEESG_SI_PmS8_NS6_8equal_toIsEEEE10hipError_tPvRmT2_T3_mT4_T5_T6_T7_T8_P12ihipStream_tbENKUlT_T0_E_clISt17integral_constantIbLb0EES13_EEDaSY_SZ_EUlSY_E_NS1_11comp_targetILNS1_3genE4ELNS1_11target_archE910ELNS1_3gpuE8ELNS1_3repE0EEENS1_30default_config_static_selectorELNS0_4arch9wavefront6targetE1EEEvT1_ ; -- Begin function _ZN7rocprim17ROCPRIM_400000_NS6detail17trampoline_kernelINS0_14default_configENS1_29reduce_by_key_config_selectorIsjN6thrust23THRUST_200600_302600_NS4plusIjEEEEZZNS1_33reduce_by_key_impl_wrapped_configILNS1_25lookback_scan_determinismE0ES3_S9_NS6_6detail15normal_iteratorINS6_10device_ptrIsEEEENSD_INSE_IjEEEESG_SI_PmS8_NS6_8equal_toIsEEEE10hipError_tPvRmT2_T3_mT4_T5_T6_T7_T8_P12ihipStream_tbENKUlT_T0_E_clISt17integral_constantIbLb0EES13_EEDaSY_SZ_EUlSY_E_NS1_11comp_targetILNS1_3genE4ELNS1_11target_archE910ELNS1_3gpuE8ELNS1_3repE0EEENS1_30default_config_static_selectorELNS0_4arch9wavefront6targetE1EEEvT1_
	.globl	_ZN7rocprim17ROCPRIM_400000_NS6detail17trampoline_kernelINS0_14default_configENS1_29reduce_by_key_config_selectorIsjN6thrust23THRUST_200600_302600_NS4plusIjEEEEZZNS1_33reduce_by_key_impl_wrapped_configILNS1_25lookback_scan_determinismE0ES3_S9_NS6_6detail15normal_iteratorINS6_10device_ptrIsEEEENSD_INSE_IjEEEESG_SI_PmS8_NS6_8equal_toIsEEEE10hipError_tPvRmT2_T3_mT4_T5_T6_T7_T8_P12ihipStream_tbENKUlT_T0_E_clISt17integral_constantIbLb0EES13_EEDaSY_SZ_EUlSY_E_NS1_11comp_targetILNS1_3genE4ELNS1_11target_archE910ELNS1_3gpuE8ELNS1_3repE0EEENS1_30default_config_static_selectorELNS0_4arch9wavefront6targetE1EEEvT1_
	.p2align	8
	.type	_ZN7rocprim17ROCPRIM_400000_NS6detail17trampoline_kernelINS0_14default_configENS1_29reduce_by_key_config_selectorIsjN6thrust23THRUST_200600_302600_NS4plusIjEEEEZZNS1_33reduce_by_key_impl_wrapped_configILNS1_25lookback_scan_determinismE0ES3_S9_NS6_6detail15normal_iteratorINS6_10device_ptrIsEEEENSD_INSE_IjEEEESG_SI_PmS8_NS6_8equal_toIsEEEE10hipError_tPvRmT2_T3_mT4_T5_T6_T7_T8_P12ihipStream_tbENKUlT_T0_E_clISt17integral_constantIbLb0EES13_EEDaSY_SZ_EUlSY_E_NS1_11comp_targetILNS1_3genE4ELNS1_11target_archE910ELNS1_3gpuE8ELNS1_3repE0EEENS1_30default_config_static_selectorELNS0_4arch9wavefront6targetE1EEEvT1_,@function
_ZN7rocprim17ROCPRIM_400000_NS6detail17trampoline_kernelINS0_14default_configENS1_29reduce_by_key_config_selectorIsjN6thrust23THRUST_200600_302600_NS4plusIjEEEEZZNS1_33reduce_by_key_impl_wrapped_configILNS1_25lookback_scan_determinismE0ES3_S9_NS6_6detail15normal_iteratorINS6_10device_ptrIsEEEENSD_INSE_IjEEEESG_SI_PmS8_NS6_8equal_toIsEEEE10hipError_tPvRmT2_T3_mT4_T5_T6_T7_T8_P12ihipStream_tbENKUlT_T0_E_clISt17integral_constantIbLb0EES13_EEDaSY_SZ_EUlSY_E_NS1_11comp_targetILNS1_3genE4ELNS1_11target_archE910ELNS1_3gpuE8ELNS1_3repE0EEENS1_30default_config_static_selectorELNS0_4arch9wavefront6targetE1EEEvT1_: ; @_ZN7rocprim17ROCPRIM_400000_NS6detail17trampoline_kernelINS0_14default_configENS1_29reduce_by_key_config_selectorIsjN6thrust23THRUST_200600_302600_NS4plusIjEEEEZZNS1_33reduce_by_key_impl_wrapped_configILNS1_25lookback_scan_determinismE0ES3_S9_NS6_6detail15normal_iteratorINS6_10device_ptrIsEEEENSD_INSE_IjEEEESG_SI_PmS8_NS6_8equal_toIsEEEE10hipError_tPvRmT2_T3_mT4_T5_T6_T7_T8_P12ihipStream_tbENKUlT_T0_E_clISt17integral_constantIbLb0EES13_EEDaSY_SZ_EUlSY_E_NS1_11comp_targetILNS1_3genE4ELNS1_11target_archE910ELNS1_3gpuE8ELNS1_3repE0EEENS1_30default_config_static_selectorELNS0_4arch9wavefront6targetE1EEEvT1_
; %bb.0:
	s_load_dwordx8 s[36:43], s[4:5], 0x0
	s_load_dwordx4 s[52:55], s[4:5], 0x20
	s_load_dwordx8 s[44:51], s[4:5], 0x38
	s_load_dwordx2 s[60:61], s[4:5], 0x68
	s_load_dwordx4 s[56:59], s[4:5], 0x58
	s_waitcnt lgkmcnt(0)
	s_lshl_b64 s[0:1], s[38:39], 1
	s_add_u32 s4, s36, s0
	s_addc_u32 s5, s37, s1
	s_lshl_b64 s[0:1], s[38:39], 2
	s_add_u32 s8, s40, s0
	s_addc_u32 s9, s41, s1
	s_mul_i32 s0, s48, s47
	s_mul_hi_u32 s1, s48, s46
	s_add_i32 s0, s1, s0
	s_mul_i32 s1, s49, s46
	s_add_i32 s10, s0, s1
	s_mul_i32 s0, s6, 0xf00
	s_mov_b32 s1, 0
	s_lshl_b64 s[2:3], s[0:1], 1
	s_add_u32 s7, s4, s2
	s_mul_i32 s11, s48, s46
	s_addc_u32 s48, s5, s3
	s_lshl_b64 s[0:1], s[0:1], 2
	s_add_u32 s49, s8, s0
	s_addc_u32 s62, s9, s1
	s_add_u32 s38, s11, s6
	s_addc_u32 s39, s10, 0
	s_add_u32 s2, s50, -1
	s_addc_u32 s3, s51, -1
	s_cmp_eq_u64 s[38:39], s[2:3]
	s_cselect_b64 s[34:35], -1, 0
	s_cmp_lg_u64 s[38:39], s[2:3]
	s_mov_b64 s[0:1], -1
	s_cselect_b64 s[40:41], -1, 0
	s_mul_i32 s33, s2, 0xfffff100
	s_and_b64 vcc, exec, s[34:35]
	v_mad_u32_u24 v6, v0, 15, 1
	v_mad_u32_u24 v8, v0, 15, 3
	;; [unrolled: 1-line block ×7, first 2 shown]
	s_cbranch_vccnz .LBB843_2
; %bb.1:
	v_lshlrev_b32_e32 v1, 1, v0
	v_mov_b32_e32 v3, s48
	v_add_co_u32_e32 v2, vcc, s7, v1
	v_addc_co_u32_e32 v3, vcc, 0, v3, vcc
	flat_load_ushort v4, v[2:3]
	flat_load_ushort v5, v[2:3] offset:512
	flat_load_ushort v7, v[2:3] offset:1024
	;; [unrolled: 1-line block ×7, first 2 shown]
	v_add_co_u32_e32 v2, vcc, 0x1000, v2
	v_addc_co_u32_e32 v3, vcc, 0, v3, vcc
	flat_load_ushort v15, v[2:3]
	flat_load_ushort v19, v[2:3] offset:512
	flat_load_ushort v21, v[2:3] offset:1024
	;; [unrolled: 1-line block ×6, first 2 shown]
	v_lshlrev_b32_e32 v2, 2, v0
	v_mov_b32_e32 v3, s62
	v_add_co_u32_e32 v16, vcc, s49, v2
	s_movk_i32 s0, 0x1000
	v_addc_co_u32_e32 v17, vcc, 0, v3, vcc
	v_add_co_u32_e32 v26, vcc, s0, v16
	s_movk_i32 s1, 0x2000
	v_addc_co_u32_e32 v27, vcc, 0, v17, vcc
	;; [unrolled: 3-line block ×3, first 2 shown]
	v_mad_u32_u24 v34, v0, 28, v1
	v_add_co_u32_e32 v30, vcc, s2, v16
	v_addc_co_u32_e32 v31, vcc, 0, v17, vcc
	s_movk_i32 s0, 0xffe6
	s_waitcnt vmcnt(0) lgkmcnt(0)
	ds_write_b16 v1, v4
	ds_write_b16 v1, v5 offset:512
	ds_write_b16 v1, v7 offset:1024
	;; [unrolled: 1-line block ×14, first 2 shown]
	s_waitcnt lgkmcnt(0)
	s_barrier
	ds_read_u16 v1, v34
	ds_read_b128 v[2:5], v34 offset:2
	ds_read_b96 v[12:14], v34 offset:18
	s_waitcnt lgkmcnt(0)
	s_barrier
	flat_load_dword v7, v[16:17]
	flat_load_dword v9, v[16:17] offset:1024
	flat_load_dword v15, v[16:17] offset:2048
	flat_load_dword v19, v[16:17] offset:3072
	flat_load_dword v21, v[26:27]
	flat_load_dword v23, v[26:27] offset:1024
	flat_load_dword v25, v[26:27] offset:2048
	flat_load_dword v32, v[26:27] offset:3072
	;; [unrolled: 4-line block ×3, first 2 shown]
	flat_load_dword v38, v[30:31]
	flat_load_dword v39, v[30:31] offset:1024
	flat_load_dword v40, v[30:31] offset:2048
	v_mul_u32_u24_e32 v11, 15, v0
	v_mad_i32_i24 v16, v0, s0, v34
	s_mov_b64 s[0:1], 0
	s_waitcnt vmcnt(0) lgkmcnt(0)
	ds_write2st64_b32 v16, v7, v9 offset1:4
	ds_write2st64_b32 v16, v15, v19 offset0:8 offset1:12
	ds_write2st64_b32 v16, v21, v23 offset0:16 offset1:20
	;; [unrolled: 1-line block ×6, first 2 shown]
	ds_write_b32 v16, v40 offset:14336
	s_waitcnt lgkmcnt(0)
	s_barrier
	s_branch .LBB843_3
.LBB843_2:
                                        ; implicit-def: $vgpr2
                                        ; implicit-def: $vgpr12
                                        ; implicit-def: $vgpr11
                                        ; implicit-def: $vgpr1
.LBB843_3:
	s_add_i32 s33, s33, s56
	s_andn2_b64 vcc, exec, s[0:1]
	v_mov_b32_e32 v21, v24
	v_mov_b32_e32 v25, v22
	;; [unrolled: 1-line block ×7, first 2 shown]
	s_cbranch_vccnz .LBB843_65
; %bb.4:
	v_cmp_gt_u32_e32 vcc, s33, v0
                                        ; implicit-def: $vgpr1
	s_and_saveexec_b64 s[2:3], vcc
	s_cbranch_execz .LBB843_6
; %bb.5:
	v_lshlrev_b32_e32 v1, 1, v0
	v_mov_b32_e32 v3, s48
	v_add_co_u32_e64 v2, s[0:1], s7, v1
	v_addc_co_u32_e64 v3, s[0:1], 0, v3, s[0:1]
	flat_load_ushort v1, v[2:3]
.LBB843_6:
	s_or_b64 exec, exec, s[2:3]
	v_or_b32_e32 v2, 0x100, v0
	v_cmp_gt_u32_e64 s[0:1], s33, v2
                                        ; implicit-def: $vgpr2
	s_and_saveexec_b64 s[4:5], s[0:1]
	s_cbranch_execz .LBB843_8
; %bb.7:
	v_lshlrev_b32_e32 v2, 1, v0
	v_mov_b32_e32 v3, s48
	v_add_co_u32_e64 v2, s[2:3], s7, v2
	v_addc_co_u32_e64 v3, s[2:3], 0, v3, s[2:3]
	flat_load_ushort v2, v[2:3] offset:512
.LBB843_8:
	s_or_b64 exec, exec, s[4:5]
	v_or_b32_e32 v3, 0x200, v0
	v_cmp_gt_u32_e64 s[2:3], s33, v3
                                        ; implicit-def: $vgpr3
	s_and_saveexec_b64 s[8:9], s[2:3]
	s_cbranch_execz .LBB843_10
; %bb.9:
	v_lshlrev_b32_e32 v3, 1, v0
	v_mov_b32_e32 v5, s48
	v_add_co_u32_e64 v4, s[4:5], s7, v3
	v_addc_co_u32_e64 v5, s[4:5], 0, v5, s[4:5]
	flat_load_ushort v3, v[4:5] offset:1024
.LBB843_10:
	s_or_b64 exec, exec, s[8:9]
	v_or_b32_e32 v4, 0x300, v0
	v_cmp_gt_u32_e64 s[4:5], s33, v4
                                        ; implicit-def: $vgpr4
	s_and_saveexec_b64 s[10:11], s[4:5]
	s_cbranch_execz .LBB843_12
; %bb.11:
	v_lshlrev_b32_e32 v4, 1, v0
	v_mov_b32_e32 v5, s48
	v_add_co_u32_e64 v4, s[8:9], s7, v4
	v_addc_co_u32_e64 v5, s[8:9], 0, v5, s[8:9]
	flat_load_ushort v4, v[4:5] offset:1536
.LBB843_12:
	s_or_b64 exec, exec, s[10:11]
	v_or_b32_e32 v7, 0x400, v0
	v_cmp_gt_u32_e64 s[28:29], s33, v7
                                        ; implicit-def: $vgpr5
	s_and_saveexec_b64 s[10:11], s[28:29]
	s_cbranch_execz .LBB843_14
; %bb.13:
	v_lshlrev_b32_e32 v5, 1, v0
	v_mov_b32_e32 v9, s48
	v_add_co_u32_e64 v12, s[8:9], s7, v5
	v_addc_co_u32_e64 v13, s[8:9], 0, v9, s[8:9]
	flat_load_ushort v5, v[12:13] offset:2048
.LBB843_14:
	s_or_b64 exec, exec, s[10:11]
	v_or_b32_e32 v9, 0x500, v0
	v_cmp_gt_u32_e64 s[8:9], s33, v9
                                        ; implicit-def: $vgpr12
	s_and_saveexec_b64 s[12:13], s[8:9]
	s_cbranch_execz .LBB843_16
; %bb.15:
	v_lshlrev_b32_e32 v11, 1, v0
	v_mov_b32_e32 v13, s48
	v_add_co_u32_e64 v12, s[10:11], s7, v11
	v_addc_co_u32_e64 v13, s[10:11], 0, v13, s[10:11]
	flat_load_ushort v12, v[12:13] offset:2560
.LBB843_16:
	s_or_b64 exec, exec, s[12:13]
	v_or_b32_e32 v11, 0x600, v0
	v_cmp_gt_u32_e64 s[10:11], s33, v11
                                        ; implicit-def: $vgpr13
	s_and_saveexec_b64 s[14:15], s[10:11]
	s_cbranch_execz .LBB843_18
; %bb.17:
	v_lshlrev_b32_e32 v13, 1, v0
	v_mov_b32_e32 v15, s48
	v_add_co_u32_e64 v14, s[12:13], s7, v13
	v_addc_co_u32_e64 v15, s[12:13], 0, v15, s[12:13]
	flat_load_ushort v13, v[14:15] offset:3072
.LBB843_18:
	s_or_b64 exec, exec, s[14:15]
	v_or_b32_e32 v15, 0x700, v0
	v_cmp_gt_u32_e64 s[12:13], s33, v15
                                        ; implicit-def: $vgpr14
	s_and_saveexec_b64 s[16:17], s[12:13]
	s_cbranch_execz .LBB843_20
; %bb.19:
	v_lshlrev_b32_e32 v14, 1, v0
	v_mov_b32_e32 v17, s48
	v_add_co_u32_e64 v16, s[14:15], s7, v14
	v_addc_co_u32_e64 v17, s[14:15], 0, v17, s[14:15]
	flat_load_ushort v14, v[16:17] offset:3584
.LBB843_20:
	s_or_b64 exec, exec, s[16:17]
	v_or_b32_e32 v16, 0x800, v0
	v_cmp_gt_u32_e64 s[14:15], s33, v16
                                        ; implicit-def: $vgpr27
	s_and_saveexec_b64 s[18:19], s[14:15]
	s_cbranch_execz .LBB843_22
; %bb.21:
	v_lshlrev_b32_e32 v17, 1, v16
	v_mov_b32_e32 v19, s48
	v_add_co_u32_e64 v26, s[16:17], s7, v17
	v_addc_co_u32_e64 v27, s[16:17], 0, v19, s[16:17]
	flat_load_ushort v27, v[26:27]
.LBB843_22:
	s_or_b64 exec, exec, s[18:19]
	v_or_b32_e32 v17, 0x900, v0
	v_cmp_gt_u32_e64 s[16:17], s33, v17
                                        ; implicit-def: $vgpr28
	s_and_saveexec_b64 s[20:21], s[16:17]
	s_cbranch_execz .LBB843_24
; %bb.23:
	v_lshlrev_b32_e32 v19, 1, v17
	v_mov_b32_e32 v21, s48
	v_add_co_u32_e64 v28, s[18:19], s7, v19
	v_addc_co_u32_e64 v29, s[18:19], 0, v21, s[18:19]
	flat_load_ushort v28, v[28:29]
.LBB843_24:
	s_or_b64 exec, exec, s[20:21]
	v_or_b32_e32 v19, 0xa00, v0
	v_cmp_gt_u32_e64 s[18:19], s33, v19
                                        ; implicit-def: $vgpr29
	s_and_saveexec_b64 s[22:23], s[18:19]
	s_cbranch_execz .LBB843_26
; %bb.25:
	v_lshlrev_b32_e32 v21, 1, v19
	v_mov_b32_e32 v23, s48
	v_add_co_u32_e64 v30, s[20:21], s7, v21
	v_addc_co_u32_e64 v31, s[20:21], 0, v23, s[20:21]
	flat_load_ushort v29, v[30:31]
.LBB843_26:
	s_or_b64 exec, exec, s[22:23]
	v_or_b32_e32 v21, 0xb00, v0
	v_cmp_gt_u32_e64 s[20:21], s33, v21
                                        ; implicit-def: $vgpr30
	s_and_saveexec_b64 s[24:25], s[20:21]
	s_cbranch_execz .LBB843_28
; %bb.27:
	v_lshlrev_b32_e32 v23, 1, v21
	v_mov_b32_e32 v25, s48
	v_add_co_u32_e64 v30, s[22:23], s7, v23
	v_addc_co_u32_e64 v31, s[22:23], 0, v25, s[22:23]
	flat_load_ushort v30, v[30:31]
.LBB843_28:
	s_or_b64 exec, exec, s[24:25]
	v_or_b32_e32 v23, 0xc00, v0
	v_cmp_gt_u32_e64 s[22:23], s33, v23
                                        ; implicit-def: $vgpr31
	s_and_saveexec_b64 s[26:27], s[22:23]
	s_cbranch_execz .LBB843_30
; %bb.29:
	v_lshlrev_b32_e32 v25, 1, v23
	v_mov_b32_e32 v26, s48
	v_add_co_u32_e64 v32, s[24:25], s7, v25
	v_addc_co_u32_e64 v33, s[24:25], 0, v26, s[24:25]
	flat_load_ushort v31, v[32:33]
.LBB843_30:
	s_or_b64 exec, exec, s[26:27]
	v_or_b32_e32 v25, 0xd00, v0
	v_cmp_gt_u32_e64 s[24:25], s33, v25
                                        ; implicit-def: $vgpr32
	s_and_saveexec_b64 s[30:31], s[24:25]
	s_cbranch_execz .LBB843_32
; %bb.31:
	v_lshlrev_b32_e32 v26, 1, v25
	v_mov_b32_e32 v33, s48
	v_add_co_u32_e64 v32, s[26:27], s7, v26
	v_addc_co_u32_e64 v33, s[26:27], 0, v33, s[26:27]
	flat_load_ushort v32, v[32:33]
.LBB843_32:
	s_or_b64 exec, exec, s[30:31]
	v_or_b32_e32 v26, 0xe00, v0
	v_cmp_gt_u32_e64 s[26:27], s33, v26
                                        ; implicit-def: $vgpr33
	s_and_saveexec_b64 s[36:37], s[26:27]
	s_cbranch_execz .LBB843_34
; %bb.33:
	v_lshlrev_b32_e32 v33, 1, v26
	v_mov_b32_e32 v35, s48
	v_add_co_u32_e64 v34, s[30:31], s7, v33
	v_addc_co_u32_e64 v35, s[30:31], 0, v35, s[30:31]
	flat_load_ushort v33, v[34:35]
.LBB843_34:
	s_or_b64 exec, exec, s[36:37]
	v_lshlrev_b32_e32 v34, 1, v0
	s_waitcnt vmcnt(0) lgkmcnt(0)
	ds_write_b16 v34, v1
	ds_write_b16 v34, v2 offset:512
	ds_write_b16 v34, v3 offset:1024
	;; [unrolled: 1-line block ×14, first 2 shown]
	v_mad_u32_u24 v27, v0, 28, v34
	s_waitcnt lgkmcnt(0)
	s_barrier
	ds_read_u16 v1, v27
	ds_read_b128 v[2:5], v27 offset:2
	ds_read_b96 v[12:14], v27 offset:18
	s_waitcnt lgkmcnt(0)
	s_barrier
	s_waitcnt lgkmcnt(0)
                                        ; implicit-def: $vgpr28
	s_and_saveexec_b64 s[30:31], vcc
	s_cbranch_execz .LBB843_48
; %bb.35:
	v_lshlrev_b32_e32 v28, 2, v0
	v_mov_b32_e32 v29, s62
	v_add_co_u32_e32 v28, vcc, s49, v28
	v_addc_co_u32_e32 v29, vcc, 0, v29, vcc
	flat_load_dword v28, v[28:29]
	s_or_b64 exec, exec, s[30:31]
                                        ; implicit-def: $vgpr29
	s_and_saveexec_b64 s[30:31], s[0:1]
	s_cbranch_execnz .LBB843_49
.LBB843_36:
	s_or_b64 exec, exec, s[30:31]
                                        ; implicit-def: $vgpr30
	s_and_saveexec_b64 s[0:1], s[2:3]
	s_cbranch_execz .LBB843_50
.LBB843_37:
	v_lshlrev_b32_e32 v30, 2, v0
	v_mov_b32_e32 v31, s62
	v_add_co_u32_e32 v30, vcc, s49, v30
	v_addc_co_u32_e32 v31, vcc, 0, v31, vcc
	flat_load_dword v30, v[30:31] offset:2048
	s_or_b64 exec, exec, s[0:1]
                                        ; implicit-def: $vgpr31
	s_and_saveexec_b64 s[0:1], s[4:5]
	s_cbranch_execnz .LBB843_51
.LBB843_38:
	s_or_b64 exec, exec, s[0:1]
                                        ; implicit-def: $vgpr32
	s_and_saveexec_b64 s[0:1], s[28:29]
	s_cbranch_execz .LBB843_52
.LBB843_39:
	v_lshlrev_b32_e32 v7, 2, v7
	v_mov_b32_e32 v33, s62
	v_add_co_u32_e32 v32, vcc, s49, v7
	v_addc_co_u32_e32 v33, vcc, 0, v33, vcc
	flat_load_dword v32, v[32:33]
	s_or_b64 exec, exec, s[0:1]
                                        ; implicit-def: $vgpr7
	s_and_saveexec_b64 s[0:1], s[8:9]
	s_cbranch_execnz .LBB843_53
.LBB843_40:
	s_or_b64 exec, exec, s[0:1]
                                        ; implicit-def: $vgpr9
	s_and_saveexec_b64 s[0:1], s[10:11]
	s_cbranch_execz .LBB843_54
.LBB843_41:
	v_lshlrev_b32_e32 v9, 2, v11
	v_mov_b32_e32 v11, s62
	v_add_co_u32_e32 v34, vcc, s49, v9
	v_addc_co_u32_e32 v35, vcc, 0, v11, vcc
	flat_load_dword v9, v[34:35]
	s_or_b64 exec, exec, s[0:1]
                                        ; implicit-def: $vgpr33
	s_and_saveexec_b64 s[0:1], s[12:13]
	s_cbranch_execnz .LBB843_55
.LBB843_42:
	s_or_b64 exec, exec, s[0:1]
                                        ; implicit-def: $vgpr15
	s_and_saveexec_b64 s[0:1], s[14:15]
	s_cbranch_execz .LBB843_56
.LBB843_43:
	v_lshlrev_b32_e32 v11, 2, v16
	v_mov_b32_e32 v15, s62
	v_add_co_u32_e32 v34, vcc, s49, v11
	v_addc_co_u32_e32 v35, vcc, 0, v15, vcc
	flat_load_dword v15, v[34:35]
	s_or_b64 exec, exec, s[0:1]
                                        ; implicit-def: $vgpr16
	s_and_saveexec_b64 s[0:1], s[16:17]
	s_cbranch_execnz .LBB843_57
.LBB843_44:
	s_or_b64 exec, exec, s[0:1]
                                        ; implicit-def: $vgpr17
	s_and_saveexec_b64 s[0:1], s[18:19]
	s_cbranch_execz .LBB843_58
.LBB843_45:
	v_lshlrev_b32_e32 v11, 2, v19
	v_mov_b32_e32 v17, s62
	v_add_co_u32_e32 v34, vcc, s49, v11
	v_addc_co_u32_e32 v35, vcc, 0, v17, vcc
	flat_load_dword v17, v[34:35]
	s_or_b64 exec, exec, s[0:1]
                                        ; implicit-def: $vgpr19
	s_and_saveexec_b64 s[0:1], s[20:21]
	s_cbranch_execnz .LBB843_59
.LBB843_46:
	s_or_b64 exec, exec, s[0:1]
                                        ; implicit-def: $vgpr37
	s_and_saveexec_b64 s[0:1], s[22:23]
	s_cbranch_execz .LBB843_60
.LBB843_47:
	v_lshlrev_b32_e32 v11, 2, v23
	v_mov_b32_e32 v21, s62
	v_add_co_u32_e32 v34, vcc, s49, v11
	v_addc_co_u32_e32 v35, vcc, 0, v21, vcc
	flat_load_dword v37, v[34:35]
	s_or_b64 exec, exec, s[0:1]
                                        ; implicit-def: $vgpr38
	s_and_saveexec_b64 s[0:1], s[24:25]
	s_cbranch_execz .LBB843_62
	s_branch .LBB843_61
.LBB843_48:
	s_or_b64 exec, exec, s[30:31]
                                        ; implicit-def: $vgpr29
	s_and_saveexec_b64 s[30:31], s[0:1]
	s_cbranch_execz .LBB843_36
.LBB843_49:
	v_lshlrev_b32_e32 v29, 2, v0
	v_mov_b32_e32 v31, s62
	v_add_co_u32_e32 v30, vcc, s49, v29
	v_addc_co_u32_e32 v31, vcc, 0, v31, vcc
	flat_load_dword v29, v[30:31] offset:1024
	s_or_b64 exec, exec, s[30:31]
                                        ; implicit-def: $vgpr30
	s_and_saveexec_b64 s[0:1], s[2:3]
	s_cbranch_execnz .LBB843_37
.LBB843_50:
	s_or_b64 exec, exec, s[0:1]
                                        ; implicit-def: $vgpr31
	s_and_saveexec_b64 s[0:1], s[4:5]
	s_cbranch_execz .LBB843_38
.LBB843_51:
	v_lshlrev_b32_e32 v31, 2, v0
	v_mov_b32_e32 v33, s62
	v_add_co_u32_e32 v32, vcc, s49, v31
	v_addc_co_u32_e32 v33, vcc, 0, v33, vcc
	flat_load_dword v31, v[32:33] offset:3072
	s_or_b64 exec, exec, s[0:1]
                                        ; implicit-def: $vgpr32
	s_and_saveexec_b64 s[0:1], s[28:29]
	s_cbranch_execnz .LBB843_39
.LBB843_52:
	s_or_b64 exec, exec, s[0:1]
                                        ; implicit-def: $vgpr7
	s_and_saveexec_b64 s[0:1], s[8:9]
	s_cbranch_execz .LBB843_40
.LBB843_53:
	v_lshlrev_b32_e32 v7, 2, v9
	v_mov_b32_e32 v9, s62
	v_add_co_u32_e32 v34, vcc, s49, v7
	v_addc_co_u32_e32 v35, vcc, 0, v9, vcc
	flat_load_dword v7, v[34:35]
	s_or_b64 exec, exec, s[0:1]
                                        ; implicit-def: $vgpr9
	s_and_saveexec_b64 s[0:1], s[10:11]
	s_cbranch_execnz .LBB843_41
.LBB843_54:
	s_or_b64 exec, exec, s[0:1]
                                        ; implicit-def: $vgpr33
	s_and_saveexec_b64 s[0:1], s[12:13]
	s_cbranch_execz .LBB843_42
.LBB843_55:
	v_lshlrev_b32_e32 v11, 2, v15
	v_mov_b32_e32 v15, s62
	v_add_co_u32_e32 v34, vcc, s49, v11
	v_addc_co_u32_e32 v35, vcc, 0, v15, vcc
	flat_load_dword v33, v[34:35]
	s_or_b64 exec, exec, s[0:1]
                                        ; implicit-def: $vgpr15
	s_and_saveexec_b64 s[0:1], s[14:15]
	s_cbranch_execnz .LBB843_43
.LBB843_56:
	s_or_b64 exec, exec, s[0:1]
                                        ; implicit-def: $vgpr16
	s_and_saveexec_b64 s[0:1], s[16:17]
	s_cbranch_execz .LBB843_44
.LBB843_57:
	v_lshlrev_b32_e32 v11, 2, v17
	v_mov_b32_e32 v17, s62
	v_add_co_u32_e32 v16, vcc, s49, v11
	v_addc_co_u32_e32 v17, vcc, 0, v17, vcc
	flat_load_dword v16, v[16:17]
	s_or_b64 exec, exec, s[0:1]
                                        ; implicit-def: $vgpr17
	s_and_saveexec_b64 s[0:1], s[18:19]
	s_cbranch_execnz .LBB843_45
.LBB843_58:
	s_or_b64 exec, exec, s[0:1]
                                        ; implicit-def: $vgpr19
	s_and_saveexec_b64 s[0:1], s[20:21]
	s_cbranch_execz .LBB843_46
.LBB843_59:
	v_lshlrev_b32_e32 v11, 2, v21
	v_mov_b32_e32 v19, s62
	v_add_co_u32_e32 v34, vcc, s49, v11
	v_addc_co_u32_e32 v35, vcc, 0, v19, vcc
	flat_load_dword v19, v[34:35]
	s_or_b64 exec, exec, s[0:1]
                                        ; implicit-def: $vgpr37
	s_and_saveexec_b64 s[0:1], s[22:23]
	s_cbranch_execnz .LBB843_47
.LBB843_60:
	s_or_b64 exec, exec, s[0:1]
                                        ; implicit-def: $vgpr38
	s_and_saveexec_b64 s[0:1], s[24:25]
	s_cbranch_execz .LBB843_62
.LBB843_61:
	v_lshlrev_b32_e32 v11, 2, v25
	v_mov_b32_e32 v21, s62
	v_add_co_u32_e32 v34, vcc, s49, v11
	v_addc_co_u32_e32 v35, vcc, 0, v21, vcc
	flat_load_dword v38, v[34:35]
.LBB843_62:
	s_or_b64 exec, exec, s[0:1]
	v_mul_u32_u24_e32 v11, 15, v0
                                        ; implicit-def: $vgpr39
	s_and_saveexec_b64 s[0:1], s[26:27]
	s_cbranch_execz .LBB843_64
; %bb.63:
	v_lshlrev_b32_e32 v21, 2, v26
	v_mov_b32_e32 v23, s62
	v_add_co_u32_e32 v34, vcc, s49, v21
	v_addc_co_u32_e32 v35, vcc, 0, v23, vcc
	flat_load_dword v39, v[34:35]
.LBB843_64:
	s_or_b64 exec, exec, s[0:1]
	s_movk_i32 s0, 0xffe6
	v_add_u32_e32 v35, 1, v11
	v_add_u32_e32 v36, 3, v11
	;; [unrolled: 1-line block ×7, first 2 shown]
	v_mad_i32_i24 v27, v0, s0, v27
	s_waitcnt vmcnt(0) lgkmcnt(0)
	ds_write2st64_b32 v27, v28, v29 offset1:4
	ds_write2st64_b32 v27, v30, v31 offset0:8 offset1:12
	ds_write2st64_b32 v27, v32, v7 offset0:16 offset1:20
	;; [unrolled: 1-line block ×6, first 2 shown]
	ds_write_b32 v27, v39 offset:14336
	s_waitcnt lgkmcnt(0)
	s_barrier
.LBB843_65:
	v_lshlrev_b32_e32 v7, 2, v11
	ds_read2_b32 v[52:53], v7 offset1:2
	ds_read2_b32 v[50:51], v7 offset0:4 offset1:6
	ds_read2_b32 v[48:49], v7 offset0:8 offset1:10
	;; [unrolled: 1-line block ×3, first 2 shown]
	v_lshlrev_b32_e32 v7, 2, v35
	v_lshlrev_b32_e32 v9, 2, v36
	;; [unrolled: 1-line block ×7, first 2 shown]
	ds_read_b32 v75, v7
	ds_read_b32 v74, v9
	;; [unrolled: 1-line block ×7, first 2 shown]
	s_cmp_eq_u64 s[38:39], 0
	s_cselect_b64 s[36:37], -1, 0
	s_cmp_lg_u64 s[38:39], 0
	s_mov_b64 s[4:5], 0
	s_cselect_b64 s[8:9], -1, 0
	s_and_b64 vcc, exec, s[40:41]
	s_waitcnt lgkmcnt(0)
	s_barrier
	s_cbranch_vccz .LBB843_71
; %bb.66:
	s_and_b64 vcc, exec, s[8:9]
	s_cbranch_vccz .LBB843_132
; %bb.67:
	v_mov_b32_e32 v7, s48
	v_add_co_u32_e64 v26, vcc, -2, s7
	v_addc_co_u32_e32 v27, vcc, -1, v7, vcc
	flat_load_ushort v7, v[26:27]
	v_lshrrev_b32_e32 v11, 16, v14
	v_lshlrev_b32_e32 v9, 1, v0
	v_cmp_ne_u16_e32 vcc, v14, v11
	v_cmp_ne_u16_sdwa s[4:5], v13, v14 src0_sel:WORD_1 src1_sel:DWORD
	v_cmp_ne_u16_sdwa s[10:11], v13, v13 src0_sel:DWORD src1_sel:WORD_1
	v_cmp_ne_u16_sdwa s[12:13], v12, v13 src0_sel:WORD_1 src1_sel:DWORD
	v_cmp_ne_u16_sdwa s[14:15], v12, v12 src0_sel:DWORD src1_sel:WORD_1
	;; [unrolled: 2-line block ×6, first 2 shown]
	v_cmp_ne_u16_e64 s[0:1], v1, v2
	v_cmp_ne_u32_e64 s[2:3], 0, v0
	ds_write_b16 v9, v11
	s_waitcnt lgkmcnt(0)
	s_barrier
	s_and_saveexec_b64 s[40:41], s[2:3]
	s_cbranch_execz .LBB843_69
; %bb.68:
	s_waitcnt vmcnt(0)
	v_add_u32_e32 v7, -2, v9
	ds_read_u16 v7, v7
.LBB843_69:
	s_or_b64 exec, exec, s[40:41]
	v_cndmask_b32_e64 v15, 0, 1, vcc
	v_cndmask_b32_e64 v54, 0, 1, s[4:5]
	v_cndmask_b32_e64 v55, 0, 1, s[10:11]
	;; [unrolled: 1-line block ×13, first 2 shown]
	s_waitcnt vmcnt(0) lgkmcnt(0)
	v_cmp_ne_u16_e64 s[0:1], v7, v1
	s_mov_b64 s[4:5], -1
.LBB843_70:
                                        ; implicit-def: $sgpr12
	s_branch .LBB843_72
.LBB843_71:
                                        ; implicit-def: $sgpr0_sgpr1
                                        ; implicit-def: $vgpr15
                                        ; implicit-def: $vgpr54
                                        ; implicit-def: $vgpr55
                                        ; implicit-def: $vgpr56
                                        ; implicit-def: $vgpr57
                                        ; implicit-def: $vgpr58
                                        ; implicit-def: $vgpr59
                                        ; implicit-def: $vgpr60
                                        ; implicit-def: $vgpr61
                                        ; implicit-def: $vgpr62
                                        ; implicit-def: $vgpr63
                                        ; implicit-def: $vgpr64
                                        ; implicit-def: $vgpr65
                                        ; implicit-def: $vgpr66
                                        ; implicit-def: $sgpr12
	s_cbranch_execnz .LBB843_136
.LBB843_72:
	v_mov_b32_e32 v68, s12
	s_and_saveexec_b64 s[2:3], s[4:5]
.LBB843_73:
	v_cndmask_b32_e64 v68, 0, 1, s[0:1]
.LBB843_74:
	s_or_b64 exec, exec, s[2:3]
	s_cmp_eq_u64 s[46:47], 0
	v_add3_u32 v6, v66, v68, v65
	s_cselect_b64 s[38:39], -1, 0
	s_cmp_lg_u32 s6, 0
	v_cmp_eq_u32_e64 s[24:25], 0, v66
	v_cmp_eq_u32_e64 s[22:23], 0, v65
	v_cmp_eq_u32_e64 s[20:21], 0, v64
	v_add3_u32 v79, v6, v64, v63
	v_cmp_eq_u32_e64 s[18:19], 0, v63
	v_cmp_eq_u32_e64 s[16:17], 0, v62
	;; [unrolled: 1-line block ×10, first 2 shown]
	v_cmp_eq_u32_e32 vcc, 0, v15
	v_mbcnt_lo_u32_b32 v78, -1, 0
	v_lshrrev_b32_e32 v76, 6, v0
	v_or_b32_e32 v77, 63, v0
	s_cbranch_scc0 .LBB843_101
; %bb.75:
	v_cndmask_b32_e64 v6, 0, v52, s[24:25]
	v_add_u32_e32 v6, v6, v75
	v_cndmask_b32_e64 v6, 0, v6, s[22:23]
	v_add_u32_e32 v6, v6, v53
	;; [unrolled: 2-line block ×11, first 2 shown]
	v_cndmask_b32_e64 v6, 0, v6, s[2:3]
	v_add3_u32 v7, v79, v62, v61
	v_add_u32_e32 v6, v6, v16
	v_add3_u32 v7, v7, v60, v59
	v_cndmask_b32_e64 v6, 0, v6, s[0:1]
	v_add3_u32 v7, v7, v58, v57
	v_add_u32_e32 v6, v6, v69
	v_add3_u32 v7, v7, v56, v55
	v_cndmask_b32_e32 v6, 0, v6, vcc
	v_add3_u32 v7, v7, v54, v15
	v_add_u32_e32 v6, v6, v17
	v_mbcnt_hi_u32_b32 v21, -1, v78
	v_and_b32_e32 v8, 15, v21
	v_mov_b32_dpp v10, v6 row_shr:1 row_mask:0xf bank_mask:0xf
	v_cmp_eq_u32_e32 vcc, 0, v7
	v_mov_b32_dpp v9, v7 row_shr:1 row_mask:0xf bank_mask:0xf
	v_cndmask_b32_e32 v10, 0, v10, vcc
	v_cmp_eq_u32_e32 vcc, 0, v8
	v_cndmask_b32_e64 v9, v9, 0, vcc
	v_add_u32_e32 v7, v9, v7
	v_cndmask_b32_e64 v9, v10, 0, vcc
	v_add_u32_e32 v6, v9, v6
	v_cmp_eq_u32_e32 vcc, 0, v7
	v_mov_b32_dpp v9, v7 row_shr:2 row_mask:0xf bank_mask:0xf
	v_cmp_lt_u32_e64 s[26:27], 1, v8
	v_mov_b32_dpp v10, v6 row_shr:2 row_mask:0xf bank_mask:0xf
	v_cndmask_b32_e64 v9, 0, v9, s[26:27]
	s_and_b64 vcc, s[26:27], vcc
	v_cndmask_b32_e32 v10, 0, v10, vcc
	v_add_u32_e32 v7, v7, v9
	v_add_u32_e32 v6, v10, v6
	v_cmp_eq_u32_e32 vcc, 0, v7
	v_mov_b32_dpp v9, v7 row_shr:4 row_mask:0xf bank_mask:0xf
	v_cmp_lt_u32_e64 s[26:27], 3, v8
	v_mov_b32_dpp v10, v6 row_shr:4 row_mask:0xf bank_mask:0xf
	v_cndmask_b32_e64 v9, 0, v9, s[26:27]
	s_and_b64 vcc, s[26:27], vcc
	v_cndmask_b32_e32 v10, 0, v10, vcc
	v_add_u32_e32 v7, v9, v7
	v_add_u32_e32 v6, v6, v10
	v_cmp_eq_u32_e32 vcc, 0, v7
	v_cmp_lt_u32_e64 s[26:27], 7, v8
	v_mov_b32_dpp v9, v7 row_shr:8 row_mask:0xf bank_mask:0xf
	v_mov_b32_dpp v10, v6 row_shr:8 row_mask:0xf bank_mask:0xf
	s_and_b64 vcc, s[26:27], vcc
	v_cndmask_b32_e64 v8, 0, v9, s[26:27]
	v_cndmask_b32_e32 v9, 0, v10, vcc
	v_add_u32_e32 v6, v9, v6
	v_add_u32_e32 v7, v8, v7
	v_bfe_i32 v10, v21, 4, 1
	v_mov_b32_dpp v9, v6 row_bcast:15 row_mask:0xf bank_mask:0xf
	v_mov_b32_dpp v8, v7 row_bcast:15 row_mask:0xf bank_mask:0xf
	v_cmp_eq_u32_e32 vcc, 0, v7
	v_cndmask_b32_e32 v9, 0, v9, vcc
	v_and_b32_e32 v8, v10, v8
	v_add_u32_e32 v7, v8, v7
	v_and_b32_e32 v8, v10, v9
	v_add_u32_e32 v8, v8, v6
	v_mov_b32_dpp v6, v7 row_bcast:31 row_mask:0xf bank_mask:0xf
	v_cmp_eq_u32_e32 vcc, 0, v7
	v_cmp_lt_u32_e64 s[26:27], 31, v21
	v_mov_b32_dpp v9, v8 row_bcast:31 row_mask:0xf bank_mask:0xf
	v_cndmask_b32_e64 v6, 0, v6, s[26:27]
	s_and_b64 vcc, s[26:27], vcc
	v_add_u32_e32 v6, v6, v7
	v_cndmask_b32_e32 v7, 0, v9, vcc
	v_add_u32_e32 v7, v7, v8
	v_cmp_eq_u32_e32 vcc, v77, v0
	v_lshlrev_b32_e32 v8, 3, v76
	s_and_saveexec_b64 s[26:27], vcc
	s_cbranch_execz .LBB843_77
; %bb.76:
	ds_write_b64 v8, v[6:7] offset:1040
.LBB843_77:
	s_or_b64 exec, exec, s[26:27]
	v_cmp_gt_u32_e32 vcc, 4, v0
	s_waitcnt lgkmcnt(0)
	s_barrier
	s_and_saveexec_b64 s[30:31], vcc
	s_cbranch_execz .LBB843_79
; %bb.78:
	v_lshlrev_b32_e32 v9, 3, v0
	ds_read_b64 v[10:11], v9 offset:1040
	v_and_b32_e32 v18, 3, v21
	v_cmp_lt_u32_e64 s[26:27], 1, v18
	s_waitcnt lgkmcnt(0)
	v_mov_b32_dpp v20, v11 row_shr:1 row_mask:0xf bank_mask:0xf
	v_cmp_eq_u32_e32 vcc, 0, v10
	v_mov_b32_dpp v19, v10 row_shr:1 row_mask:0xf bank_mask:0xf
	v_cndmask_b32_e32 v20, 0, v20, vcc
	v_cmp_eq_u32_e32 vcc, 0, v18
	v_cndmask_b32_e64 v19, v19, 0, vcc
	v_add_u32_e32 v10, v19, v10
	v_cndmask_b32_e64 v19, v20, 0, vcc
	v_add_u32_e32 v11, v19, v11
	v_cmp_eq_u32_e32 vcc, 0, v10
	v_mov_b32_dpp v19, v10 row_shr:2 row_mask:0xf bank_mask:0xf
	v_mov_b32_dpp v20, v11 row_shr:2 row_mask:0xf bank_mask:0xf
	v_cndmask_b32_e64 v18, 0, v19, s[26:27]
	s_and_b64 vcc, s[26:27], vcc
	v_add_u32_e32 v10, v18, v10
	v_cndmask_b32_e32 v18, 0, v20, vcc
	v_add_u32_e32 v11, v18, v11
	ds_write_b64 v9, v[10:11] offset:1040
.LBB843_79:
	s_or_b64 exec, exec, s[30:31]
	v_cmp_gt_u32_e32 vcc, 64, v0
	v_cmp_lt_u32_e64 s[26:27], 63, v0
	v_mov_b32_e32 v18, 0
	v_mov_b32_e32 v19, 0
	s_waitcnt lgkmcnt(0)
	s_barrier
	s_and_saveexec_b64 s[30:31], s[26:27]
	s_cbranch_execz .LBB843_81
; %bb.80:
	ds_read_b64 v[18:19], v8 offset:1032
	v_cmp_eq_u32_e64 s[26:27], 0, v6
	s_waitcnt lgkmcnt(0)
	v_add_u32_e32 v8, v18, v6
	v_cndmask_b32_e64 v6, 0, v19, s[26:27]
	v_add_u32_e32 v7, v6, v7
	v_mov_b32_e32 v6, v8
.LBB843_81:
	s_or_b64 exec, exec, s[30:31]
	v_add_u32_e32 v8, -1, v21
	v_and_b32_e32 v9, 64, v21
	v_cmp_lt_i32_e64 s[26:27], v8, v9
	v_cndmask_b32_e64 v8, v8, v21, s[26:27]
	v_lshlrev_b32_e32 v8, 2, v8
	ds_bpermute_b32 v26, v8, v6
	ds_bpermute_b32 v27, v8, v7
	v_cmp_eq_u32_e64 s[26:27], 0, v21
	s_and_saveexec_b64 s[40:41], vcc
	s_cbranch_execz .LBB843_100
; %bb.82:
	v_mov_b32_e32 v11, 0
	ds_read_b64 v[6:7], v11 offset:1064
	s_waitcnt lgkmcnt(0)
	v_readfirstlane_b32 s7, v6
	v_readfirstlane_b32 s48, v7
	s_and_saveexec_b64 s[30:31], s[26:27]
	s_cbranch_execz .LBB843_84
; %bb.83:
	s_add_i32 s46, s6, 64
	s_mov_b32 s47, 0
	s_lshl_b64 s[50:51], s[46:47], 4
	s_add_u32 s50, s44, s50
	s_addc_u32 s51, s45, s51
	s_and_b32 s57, s48, 0xff000000
	s_mov_b32 s56, s47
	s_and_b32 s63, s48, 0xff0000
	s_mov_b32 s62, s47
	s_or_b64 s[56:57], s[62:63], s[56:57]
	s_and_b32 s63, s48, 0xff00
	s_or_b64 s[56:57], s[56:57], s[62:63]
	s_and_b32 s63, s48, 0xff
	s_or_b64 s[46:47], s[56:57], s[62:63]
	v_mov_b32_e32 v8, s7
	v_mov_b32_e32 v9, s47
	;; [unrolled: 1-line block ×3, first 2 shown]
	v_pk_mov_b32 v[6:7], s[50:51], s[50:51] op_sel:[0,1]
	;;#ASMSTART
	global_store_dwordx4 v[6:7], v[8:11] off	
s_waitcnt vmcnt(0)
	;;#ASMEND
.LBB843_84:
	s_or_b64 exec, exec, s[30:31]
	v_xad_u32 v20, v21, -1, s6
	v_add_u32_e32 v10, 64, v20
	v_lshlrev_b64 v[6:7], 4, v[10:11]
	v_mov_b32_e32 v8, s45
	v_add_co_u32_e32 v22, vcc, s44, v6
	v_addc_co_u32_e32 v23, vcc, v8, v7, vcc
	;;#ASMSTART
	global_load_dwordx4 v[6:9], v[22:23] off glc	
s_waitcnt vmcnt(0)
	;;#ASMEND
	v_and_b32_e32 v9, 0xff, v7
	v_and_b32_e32 v10, 0xff00, v7
	;; [unrolled: 1-line block ×3, first 2 shown]
	v_or3_b32 v9, 0, v9, v10
	v_or3_b32 v6, v6, 0, 0
	v_and_b32_e32 v7, 0xff000000, v7
	v_or3_b32 v7, v9, v24, v7
	v_or3_b32 v6, v6, 0, 0
	v_cmp_eq_u16_sdwa s[46:47], v8, v11 src0_sel:BYTE_0 src1_sel:DWORD
	s_and_saveexec_b64 s[30:31], s[46:47]
	s_cbranch_execz .LBB843_88
; %bb.85:
	s_mov_b64 s[46:47], 0
	v_mov_b32_e32 v10, 0
.LBB843_86:                             ; =>This Inner Loop Header: Depth=1
	;;#ASMSTART
	global_load_dwordx4 v[6:9], v[22:23] off glc	
s_waitcnt vmcnt(0)
	;;#ASMEND
	v_cmp_ne_u16_sdwa s[50:51], v8, v10 src0_sel:BYTE_0 src1_sel:DWORD
	s_or_b64 s[46:47], s[50:51], s[46:47]
	s_andn2_b64 exec, exec, s[46:47]
	s_cbranch_execnz .LBB843_86
; %bb.87:
	s_or_b64 exec, exec, s[46:47]
.LBB843_88:
	s_or_b64 exec, exec, s[30:31]
	v_mov_b32_e32 v28, 2
	v_cmp_eq_u16_sdwa s[30:31], v8, v28 src0_sel:BYTE_0 src1_sel:DWORD
	v_lshlrev_b64 v[22:23], v21, -1
	v_and_b32_e32 v9, s31, v23
	v_and_b32_e32 v29, 63, v21
	v_or_b32_e32 v9, 0x80000000, v9
	v_cmp_ne_u32_e32 vcc, 63, v29
	v_and_b32_e32 v10, s30, v22
	v_ffbl_b32_e32 v9, v9
	v_addc_co_u32_e32 v11, vcc, 0, v21, vcc
	v_add_u32_e32 v9, 32, v9
	v_ffbl_b32_e32 v10, v10
	v_lshlrev_b32_e32 v30, 2, v11
	v_min_u32_e32 v9, v10, v9
	ds_bpermute_b32 v10, v30, v7
	v_cmp_eq_u32_e32 vcc, 0, v6
	v_cmp_lt_u32_e64 s[30:31], v29, v9
	ds_bpermute_b32 v11, v30, v6
	s_and_b64 vcc, s[30:31], vcc
	s_waitcnt lgkmcnt(1)
	v_cndmask_b32_e32 v10, 0, v10, vcc
	v_cmp_gt_u32_e32 vcc, 62, v29
	v_add_u32_e32 v7, v10, v7
	v_cndmask_b32_e64 v10, 0, 1, vcc
	v_lshlrev_b32_e32 v10, 1, v10
	v_add_lshl_u32 v31, v10, v21, 2
	s_waitcnt lgkmcnt(0)
	v_cndmask_b32_e64 v11, 0, v11, s[30:31]
	ds_bpermute_b32 v10, v31, v7
	v_add_u32_e32 v6, v11, v6
	ds_bpermute_b32 v11, v31, v6
	v_add_u32_e32 v32, 2, v29
	v_cmp_eq_u32_e32 vcc, 0, v6
	s_waitcnt lgkmcnt(1)
	v_cndmask_b32_e32 v10, 0, v10, vcc
	v_cmp_gt_u32_e32 vcc, v32, v9
	v_cndmask_b32_e64 v10, v10, 0, vcc
	v_add_u32_e32 v7, v10, v7
	s_waitcnt lgkmcnt(0)
	v_cndmask_b32_e64 v10, v11, 0, vcc
	v_cmp_gt_u32_e32 vcc, 60, v29
	v_cndmask_b32_e64 v11, 0, 1, vcc
	v_lshlrev_b32_e32 v11, 2, v11
	v_add_lshl_u32 v33, v11, v21, 2
	ds_bpermute_b32 v11, v33, v7
	v_add_u32_e32 v6, v6, v10
	ds_bpermute_b32 v10, v33, v6
	v_add_u32_e32 v34, 4, v29
	v_cmp_eq_u32_e32 vcc, 0, v6
	s_waitcnt lgkmcnt(1)
	v_cndmask_b32_e32 v11, 0, v11, vcc
	v_cmp_gt_u32_e32 vcc, v34, v9
	v_cndmask_b32_e64 v11, v11, 0, vcc
	s_waitcnt lgkmcnt(0)
	v_cndmask_b32_e64 v10, v10, 0, vcc
	v_cmp_gt_u32_e32 vcc, 56, v29
	v_add_u32_e32 v7, v7, v11
	v_cndmask_b32_e64 v11, 0, 1, vcc
	v_lshlrev_b32_e32 v11, 3, v11
	v_add_lshl_u32 v35, v11, v21, 2
	ds_bpermute_b32 v11, v35, v7
	v_add_u32_e32 v6, v6, v10
	ds_bpermute_b32 v10, v35, v6
	v_add_u32_e32 v36, 8, v29
	v_cmp_eq_u32_e32 vcc, 0, v6
	s_waitcnt lgkmcnt(1)
	v_cndmask_b32_e32 v11, 0, v11, vcc
	v_cmp_gt_u32_e32 vcc, v36, v9
	v_cndmask_b32_e64 v11, v11, 0, vcc
	s_waitcnt lgkmcnt(0)
	v_cndmask_b32_e64 v10, v10, 0, vcc
	v_cmp_gt_u32_e32 vcc, 48, v29
	v_add_u32_e32 v7, v7, v11
	;; [unrolled: 16-line block ×3, first 2 shown]
	v_cndmask_b32_e64 v11, 0, 1, vcc
	v_lshlrev_b32_e32 v11, 5, v11
	v_add_lshl_u32 v39, v11, v21, 2
	ds_bpermute_b32 v11, v39, v7
	v_add_u32_e32 v6, v6, v10
	ds_bpermute_b32 v10, v39, v6
	v_add_u32_e32 v40, 32, v29
	v_cmp_eq_u32_e32 vcc, 0, v6
	s_waitcnt lgkmcnt(1)
	v_cndmask_b32_e32 v11, 0, v11, vcc
	v_cmp_gt_u32_e32 vcc, v40, v9
	v_cndmask_b32_e64 v9, v11, 0, vcc
	v_add_u32_e32 v7, v9, v7
	s_waitcnt lgkmcnt(0)
	v_cndmask_b32_e64 v9, v10, 0, vcc
	v_add_u32_e32 v6, v9, v6
	v_mov_b32_e32 v21, 0
	s_branch .LBB843_90
.LBB843_89:                             ;   in Loop: Header=BB843_90 Depth=1
	s_or_b64 exec, exec, s[30:31]
	v_cmp_eq_u16_sdwa s[30:31], v8, v28 src0_sel:BYTE_0 src1_sel:DWORD
	v_and_b32_e32 v9, s31, v23
	v_or_b32_e32 v9, 0x80000000, v9
	v_and_b32_e32 v24, s30, v22
	v_ffbl_b32_e32 v9, v9
	v_add_u32_e32 v9, 32, v9
	v_ffbl_b32_e32 v24, v24
	v_min_u32_e32 v9, v24, v9
	ds_bpermute_b32 v24, v30, v7
	v_cmp_eq_u32_e32 vcc, 0, v6
	v_cmp_lt_u32_e64 s[30:31], v29, v9
	ds_bpermute_b32 v25, v30, v6
	s_and_b64 vcc, s[30:31], vcc
	s_waitcnt lgkmcnt(1)
	v_cndmask_b32_e32 v24, 0, v24, vcc
	v_add_u32_e32 v7, v24, v7
	ds_bpermute_b32 v24, v31, v7
	s_waitcnt lgkmcnt(1)
	v_cndmask_b32_e64 v25, 0, v25, s[30:31]
	v_add_u32_e32 v6, v25, v6
	v_cmp_eq_u32_e32 vcc, 0, v6
	ds_bpermute_b32 v25, v31, v6
	s_waitcnt lgkmcnt(1)
	v_cndmask_b32_e32 v24, 0, v24, vcc
	v_cmp_gt_u32_e32 vcc, v32, v9
	v_cndmask_b32_e64 v24, v24, 0, vcc
	v_add_u32_e32 v7, v24, v7
	ds_bpermute_b32 v24, v33, v7
	s_waitcnt lgkmcnt(1)
	v_cndmask_b32_e64 v25, v25, 0, vcc
	v_add_u32_e32 v6, v6, v25
	v_cmp_eq_u32_e32 vcc, 0, v6
	ds_bpermute_b32 v25, v33, v6
	s_waitcnt lgkmcnt(1)
	v_cndmask_b32_e32 v24, 0, v24, vcc
	v_cmp_gt_u32_e32 vcc, v34, v9
	v_cndmask_b32_e64 v24, v24, 0, vcc
	v_add_u32_e32 v7, v7, v24
	ds_bpermute_b32 v24, v35, v7
	s_waitcnt lgkmcnt(1)
	v_cndmask_b32_e64 v25, v25, 0, vcc
	v_add_u32_e32 v6, v6, v25
	ds_bpermute_b32 v25, v35, v6
	v_cmp_eq_u32_e32 vcc, 0, v6
	s_waitcnt lgkmcnt(1)
	v_cndmask_b32_e32 v24, 0, v24, vcc
	v_cmp_gt_u32_e32 vcc, v36, v9
	v_cndmask_b32_e64 v24, v24, 0, vcc
	v_add_u32_e32 v7, v7, v24
	ds_bpermute_b32 v24, v37, v7
	s_waitcnt lgkmcnt(1)
	v_cndmask_b32_e64 v25, v25, 0, vcc
	v_add_u32_e32 v6, v6, v25
	ds_bpermute_b32 v25, v37, v6
	v_cmp_eq_u32_e32 vcc, 0, v6
	;; [unrolled: 11-line block ×3, first 2 shown]
	s_waitcnt lgkmcnt(1)
	v_cndmask_b32_e32 v24, 0, v24, vcc
	v_cmp_gt_u32_e32 vcc, v40, v9
	v_cndmask_b32_e64 v9, v24, 0, vcc
	v_add_u32_e32 v7, v9, v7
	s_waitcnt lgkmcnt(0)
	v_cndmask_b32_e64 v9, v25, 0, vcc
	v_cmp_eq_u32_e32 vcc, 0, v10
	v_cndmask_b32_e32 v7, 0, v7, vcc
	v_subrev_u32_e32 v20, 64, v20
	v_add3_u32 v6, v6, v10, v9
	v_add_u32_e32 v7, v7, v11
.LBB843_90:                             ; =>This Loop Header: Depth=1
                                        ;     Child Loop BB843_93 Depth 2
	v_cmp_ne_u16_sdwa s[30:31], v8, v28 src0_sel:BYTE_0 src1_sel:DWORD
	v_mov_b32_e32 v11, v7
	v_cndmask_b32_e64 v7, 0, 1, s[30:31]
	;;#ASMSTART
	;;#ASMEND
	v_cmp_ne_u32_e32 vcc, 0, v7
	s_cmp_lg_u64 vcc, exec
	v_mov_b32_e32 v10, v6
	s_cbranch_scc1 .LBB843_95
; %bb.91:                               ;   in Loop: Header=BB843_90 Depth=1
	v_lshlrev_b64 v[6:7], 4, v[20:21]
	v_mov_b32_e32 v8, s45
	v_add_co_u32_e32 v24, vcc, s44, v6
	v_addc_co_u32_e32 v25, vcc, v8, v7, vcc
	;;#ASMSTART
	global_load_dwordx4 v[6:9], v[24:25] off glc	
s_waitcnt vmcnt(0)
	;;#ASMEND
	v_and_b32_e32 v9, 0xff, v7
	v_and_b32_e32 v41, 0xff00, v7
	;; [unrolled: 1-line block ×3, first 2 shown]
	v_or3_b32 v9, 0, v9, v41
	v_or3_b32 v6, v6, 0, 0
	v_and_b32_e32 v7, 0xff000000, v7
	v_or3_b32 v7, v9, v42, v7
	v_or3_b32 v6, v6, 0, 0
	v_cmp_eq_u16_sdwa s[46:47], v8, v21 src0_sel:BYTE_0 src1_sel:DWORD
	s_and_saveexec_b64 s[30:31], s[46:47]
	s_cbranch_execz .LBB843_89
; %bb.92:                               ;   in Loop: Header=BB843_90 Depth=1
	s_mov_b64 s[46:47], 0
.LBB843_93:                             ;   Parent Loop BB843_90 Depth=1
                                        ; =>  This Inner Loop Header: Depth=2
	;;#ASMSTART
	global_load_dwordx4 v[6:9], v[24:25] off glc	
s_waitcnt vmcnt(0)
	;;#ASMEND
	v_cmp_ne_u16_sdwa s[50:51], v8, v21 src0_sel:BYTE_0 src1_sel:DWORD
	s_or_b64 s[46:47], s[50:51], s[46:47]
	s_andn2_b64 exec, exec, s[46:47]
	s_cbranch_execnz .LBB843_93
; %bb.94:                               ;   in Loop: Header=BB843_90 Depth=1
	s_or_b64 exec, exec, s[46:47]
	s_branch .LBB843_89
.LBB843_95:                             ;   in Loop: Header=BB843_90 Depth=1
                                        ; implicit-def: $vgpr7
                                        ; implicit-def: $vgpr6
                                        ; implicit-def: $vgpr8
	s_cbranch_execz .LBB843_90
; %bb.96:
	s_and_saveexec_b64 s[30:31], s[26:27]
	s_cbranch_execz .LBB843_98
; %bb.97:
	s_cmp_eq_u32 s7, 0
	s_cselect_b64 vcc, -1, 0
	s_mov_b32 s47, 0
	v_cndmask_b32_e32 v6, 0, v11, vcc
	s_add_i32 s46, s6, 64
	v_add_u32_e32 v6, s48, v6
	s_lshl_b64 s[46:47], s[46:47], 4
	s_add_u32 s46, s44, s46
	v_and_b32_e32 v7, 0xff000000, v6
	v_and_b32_e32 v8, 0xff0000, v6
	s_addc_u32 s47, s45, s47
	v_or_b32_e32 v7, v8, v7
	v_and_b32_e32 v8, 0xff00, v6
	v_and_b32_e32 v6, 0xff, v6
	v_add_u32_e32 v20, s7, v10
	v_mov_b32_e32 v23, 0
	v_or3_b32 v21, v7, v8, v6
	v_mov_b32_e32 v22, 2
	v_pk_mov_b32 v[6:7], s[46:47], s[46:47] op_sel:[0,1]
	;;#ASMSTART
	global_store_dwordx4 v[6:7], v[20:23] off	
s_waitcnt vmcnt(0)
	;;#ASMEND
	v_mov_b32_e32 v8, s7
	v_mov_b32_e32 v9, s48
	ds_write_b128 v23, v[8:11] offset:1024
.LBB843_98:
	s_or_b64 exec, exec, s[30:31]
	v_cmp_eq_u32_e32 vcc, 0, v0
	s_and_b64 exec, exec, vcc
	s_cbranch_execz .LBB843_100
; %bb.99:
	v_mov_b32_e32 v6, 0
	ds_write_b64 v6, v[10:11] offset:1064
.LBB843_100:
	s_or_b64 exec, exec, s[40:41]
	v_mov_b32_e32 v8, 0
	s_waitcnt lgkmcnt(0)
	s_barrier
	ds_read_b64 v[6:7], v8 offset:1064
	v_cndmask_b32_e64 v10, v26, v18, s[26:27]
	v_cmp_eq_u32_e32 vcc, 0, v10
	v_cndmask_b32_e64 v9, v27, v19, s[26:27]
	s_waitcnt lgkmcnt(0)
	v_cndmask_b32_e32 v11, 0, v7, vcc
	v_add_u32_e32 v9, v11, v9
	v_cmp_eq_u32_e32 vcc, 0, v0
	v_cndmask_b32_e32 v47, v9, v7, vcc
	v_cndmask_b32_e64 v7, v10, 0, vcc
	v_cmp_eq_u32_e32 vcc, 0, v68
	v_add_u32_e32 v46, v6, v7
	v_cndmask_b32_e32 v6, 0, v47, vcc
	v_add_u32_e32 v45, v6, v52
	v_cndmask_b32_e64 v6, 0, v45, s[24:25]
	v_add_u32_e32 v43, v6, v75
	v_cndmask_b32_e64 v6, 0, v43, s[22:23]
	;; [unrolled: 2-line block ×8, first 2 shown]
	v_add_u32_e32 v44, v46, v68
	v_add_u32_e32 v29, v6, v48
	v_add_u32_e32 v42, v44, v66
	v_cndmask_b32_e64 v6, 0, v29, s[8:9]
	v_add_u32_e32 v40, v42, v65
	v_add_u32_e32 v27, v6, v71
	v_add_u32_e32 v38, v40, v64
	v_cndmask_b32_e64 v6, 0, v27, s[28:29]
	;; [unrolled: 4-line block ×3, first 2 shown]
	v_add_u32_e32 v32, v34, v61
	v_add_u32_e32 v23, v6, v70
	s_barrier
	ds_read_b128 v[6:9], v8 offset:1024
	v_add_u32_e32 v30, v32, v60
	v_add_u32_e32 v28, v30, v59
	;; [unrolled: 1-line block ×4, first 2 shown]
	v_cndmask_b32_e64 v10, 0, v23, s[2:3]
	v_add_u32_e32 v22, v24, v56
	v_add_u32_e32 v21, v10, v16
	s_waitcnt lgkmcnt(0)
	v_cmp_eq_u32_e32 vcc, 0, v6
	v_add_u32_e32 v20, v22, v55
	v_cndmask_b32_e64 v10, 0, v21, s[0:1]
	v_cndmask_b32_e32 v9, 0, v9, vcc
	v_add_u32_e32 v18, v20, v54
	v_add_u32_e32 v19, v10, v69
	;; [unrolled: 1-line block ×3, first 2 shown]
	s_branch .LBB843_113
.LBB843_101:
                                        ; implicit-def: $vgpr6
                                        ; implicit-def: $vgpr67
                                        ; implicit-def: $vgpr46_vgpr47
                                        ; implicit-def: $vgpr44_vgpr45
                                        ; implicit-def: $vgpr42_vgpr43
                                        ; implicit-def: $vgpr40_vgpr41
                                        ; implicit-def: $vgpr38_vgpr39
                                        ; implicit-def: $vgpr36_vgpr37
                                        ; implicit-def: $vgpr34_vgpr35
                                        ; implicit-def: $vgpr32_vgpr33
                                        ; implicit-def: $vgpr30_vgpr31
                                        ; implicit-def: $vgpr28_vgpr29
                                        ; implicit-def: $vgpr26_vgpr27
                                        ; implicit-def: $vgpr24_vgpr25
                                        ; implicit-def: $vgpr22_vgpr23
                                        ; implicit-def: $vgpr20_vgpr21
                                        ; implicit-def: $vgpr18_vgpr19
	s_cbranch_execz .LBB843_113
; %bb.102:
	s_and_b64 s[0:1], s[38:39], exec
	s_cselect_b32 s1, 0, s61
	s_cselect_b32 s0, 0, s60
	s_cmp_eq_u64 s[0:1], 0
	v_mov_b32_e32 v10, v52
	s_cbranch_scc1 .LBB843_104
; %bb.103:
	v_mov_b32_e32 v6, 0
	global_load_dword v10, v6, s[0:1]
.LBB843_104:
	v_cmp_eq_u32_e64 s[0:1], 0, v66
	v_cndmask_b32_e64 v6, 0, v52, s[0:1]
	v_add_u32_e32 v6, v6, v75
	v_cmp_eq_u32_e64 s[2:3], 0, v65
	v_cndmask_b32_e64 v6, 0, v6, s[2:3]
	v_add_u32_e32 v6, v6, v53
	v_cmp_eq_u32_e64 s[4:5], 0, v64
	v_cndmask_b32_e64 v6, 0, v6, s[4:5]
	v_add_u32_e32 v6, v6, v74
	v_cmp_eq_u32_e64 s[6:7], 0, v63
	v_cndmask_b32_e64 v6, 0, v6, s[6:7]
	v_add_u32_e32 v6, v6, v50
	v_cmp_eq_u32_e64 s[8:9], 0, v62
	v_cndmask_b32_e64 v6, 0, v6, s[8:9]
	v_add_u32_e32 v6, v6, v73
	v_cmp_eq_u32_e64 s[10:11], 0, v61
	v_cndmask_b32_e64 v6, 0, v6, s[10:11]
	v_add_u32_e32 v6, v6, v51
	v_cmp_eq_u32_e64 s[12:13], 0, v60
	v_cndmask_b32_e64 v6, 0, v6, s[12:13]
	v_add_u32_e32 v6, v6, v72
	v_cmp_eq_u32_e64 s[14:15], 0, v59
	v_cndmask_b32_e64 v6, 0, v6, s[14:15]
	v_add_u32_e32 v6, v6, v48
	v_cmp_eq_u32_e64 s[16:17], 0, v58
	v_cndmask_b32_e64 v6, 0, v6, s[16:17]
	v_add_u32_e32 v6, v6, v71
	v_cmp_eq_u32_e64 s[18:19], 0, v57
	v_cndmask_b32_e64 v6, 0, v6, s[18:19]
	v_add_u32_e32 v6, v6, v49
	v_cmp_eq_u32_e64 s[20:21], 0, v56
	v_cndmask_b32_e64 v6, 0, v6, s[20:21]
	v_add_u32_e32 v6, v6, v70
	v_cmp_eq_u32_e64 s[22:23], 0, v55
	v_cndmask_b32_e64 v6, 0, v6, s[22:23]
	v_add3_u32 v7, v79, v62, v61
	v_add_u32_e32 v6, v6, v16
	v_cmp_eq_u32_e32 vcc, 0, v54
	v_add3_u32 v7, v7, v60, v59
	v_cndmask_b32_e32 v6, 0, v6, vcc
	v_add3_u32 v7, v7, v58, v57
	v_add_u32_e32 v6, v6, v69
	v_cmp_eq_u32_e64 s[24:25], 0, v15
	v_add3_u32 v7, v7, v56, v55
	v_cndmask_b32_e64 v6, 0, v6, s[24:25]
	v_add3_u32 v7, v7, v54, v15
	v_add_u32_e32 v6, v6, v17
	v_mbcnt_hi_u32_b32 v11, -1, v78
	v_and_b32_e32 v8, 15, v11
	v_mov_b32_dpp v17, v6 row_shr:1 row_mask:0xf bank_mask:0xf
	v_cmp_eq_u32_e64 s[24:25], 0, v7
	v_mov_b32_dpp v9, v7 row_shr:1 row_mask:0xf bank_mask:0xf
	v_cndmask_b32_e64 v17, 0, v17, s[24:25]
	v_cmp_eq_u32_e64 s[24:25], 0, v8
	v_cndmask_b32_e64 v9, v9, 0, s[24:25]
	v_add_u32_e32 v7, v9, v7
	v_cndmask_b32_e64 v9, v17, 0, s[24:25]
	v_add_u32_e32 v6, v9, v6
	v_cmp_eq_u32_e64 s[24:25], 0, v7
	v_mov_b32_dpp v9, v7 row_shr:2 row_mask:0xf bank_mask:0xf
	v_cmp_lt_u32_e64 s[26:27], 1, v8
	v_mov_b32_dpp v17, v6 row_shr:2 row_mask:0xf bank_mask:0xf
	v_cndmask_b32_e64 v9, 0, v9, s[26:27]
	s_and_b64 s[24:25], s[26:27], s[24:25]
	v_cndmask_b32_e64 v17, 0, v17, s[24:25]
	v_add_u32_e32 v7, v7, v9
	v_add_u32_e32 v6, v17, v6
	v_cmp_eq_u32_e64 s[24:25], 0, v7
	v_mov_b32_dpp v9, v7 row_shr:4 row_mask:0xf bank_mask:0xf
	v_cmp_lt_u32_e64 s[26:27], 3, v8
	v_mov_b32_dpp v17, v6 row_shr:4 row_mask:0xf bank_mask:0xf
	v_cndmask_b32_e64 v9, 0, v9, s[26:27]
	s_and_b64 s[24:25], s[26:27], s[24:25]
	v_cndmask_b32_e64 v17, 0, v17, s[24:25]
	v_add_u32_e32 v7, v9, v7
	v_add_u32_e32 v6, v6, v17
	v_cmp_eq_u32_e64 s[24:25], 0, v7
	v_cmp_lt_u32_e64 s[26:27], 7, v8
	v_mov_b32_dpp v9, v7 row_shr:8 row_mask:0xf bank_mask:0xf
	v_mov_b32_dpp v17, v6 row_shr:8 row_mask:0xf bank_mask:0xf
	s_and_b64 s[24:25], s[26:27], s[24:25]
	v_cndmask_b32_e64 v8, 0, v9, s[26:27]
	v_cndmask_b32_e64 v9, 0, v17, s[24:25]
	v_add_u32_e32 v6, v9, v6
	v_add_u32_e32 v7, v8, v7
	v_bfe_i32 v17, v11, 4, 1
	v_mov_b32_dpp v9, v6 row_bcast:15 row_mask:0xf bank_mask:0xf
	v_mov_b32_dpp v8, v7 row_bcast:15 row_mask:0xf bank_mask:0xf
	v_cmp_eq_u32_e64 s[24:25], 0, v7
	v_cndmask_b32_e64 v9, 0, v9, s[24:25]
	v_and_b32_e32 v8, v17, v8
	v_add_u32_e32 v7, v8, v7
	v_and_b32_e32 v8, v17, v9
	v_add_u32_e32 v8, v8, v6
	v_mov_b32_dpp v6, v7 row_bcast:31 row_mask:0xf bank_mask:0xf
	v_cmp_eq_u32_e64 s[24:25], 0, v7
	v_cmp_lt_u32_e64 s[26:27], 31, v11
	v_mov_b32_dpp v9, v8 row_bcast:31 row_mask:0xf bank_mask:0xf
	v_cndmask_b32_e64 v6, 0, v6, s[26:27]
	s_and_b64 s[24:25], s[26:27], s[24:25]
	v_add_u32_e32 v6, v6, v7
	v_cndmask_b32_e64 v7, 0, v9, s[24:25]
	v_add_u32_e32 v7, v7, v8
	v_cmp_eq_u32_e64 s[24:25], v77, v0
	v_lshlrev_b32_e32 v9, 3, v76
	s_and_saveexec_b64 s[26:27], s[24:25]
	s_cbranch_execz .LBB843_106
; %bb.105:
	ds_write_b64 v9, v[6:7] offset:1040
.LBB843_106:
	s_or_b64 exec, exec, s[26:27]
	v_cmp_gt_u32_e64 s[24:25], 4, v0
	s_waitcnt lgkmcnt(0)
	s_barrier
	s_and_saveexec_b64 s[28:29], s[24:25]
	s_cbranch_execz .LBB843_108
; %bb.107:
	v_lshlrev_b32_e32 v8, 3, v0
	ds_read_b64 v[18:19], v8 offset:1040
	v_and_b32_e32 v17, 3, v11
	v_cmp_lt_u32_e64 s[26:27], 1, v17
	s_waitcnt lgkmcnt(0)
	v_mov_b32_dpp v21, v19 row_shr:1 row_mask:0xf bank_mask:0xf
	v_cmp_eq_u32_e64 s[24:25], 0, v18
	v_mov_b32_dpp v20, v18 row_shr:1 row_mask:0xf bank_mask:0xf
	v_cndmask_b32_e64 v21, 0, v21, s[24:25]
	v_cmp_eq_u32_e64 s[24:25], 0, v17
	v_cndmask_b32_e64 v20, v20, 0, s[24:25]
	v_add_u32_e32 v18, v20, v18
	v_cndmask_b32_e64 v20, v21, 0, s[24:25]
	v_add_u32_e32 v19, v20, v19
	v_cmp_eq_u32_e64 s[24:25], 0, v18
	v_mov_b32_dpp v20, v18 row_shr:2 row_mask:0xf bank_mask:0xf
	v_mov_b32_dpp v21, v19 row_shr:2 row_mask:0xf bank_mask:0xf
	v_cndmask_b32_e64 v17, 0, v20, s[26:27]
	s_and_b64 s[24:25], s[26:27], s[24:25]
	v_add_u32_e32 v18, v17, v18
	v_cndmask_b32_e64 v17, 0, v21, s[24:25]
	v_add_u32_e32 v19, v17, v19
	ds_write_b64 v8, v[18:19] offset:1040
.LBB843_108:
	s_or_b64 exec, exec, s[28:29]
	v_cmp_lt_u32_e64 s[24:25], 63, v0
	v_mov_b32_e32 v17, 0
	v_mov_b32_e32 v8, 0
	s_waitcnt vmcnt(0)
	v_mov_b32_e32 v18, v10
	s_waitcnt lgkmcnt(0)
	s_barrier
	s_and_saveexec_b64 s[26:27], s[24:25]
	s_cbranch_execz .LBB843_110
; %bb.109:
	ds_read_b64 v[8:9], v9 offset:1032
	s_waitcnt lgkmcnt(0)
	v_cmp_eq_u32_e64 s[24:25], 0, v8
	v_cndmask_b32_e64 v18, 0, v10, s[24:25]
	v_add_u32_e32 v18, v18, v9
.LBB843_110:
	s_or_b64 exec, exec, s[26:27]
	v_cmp_eq_u32_e64 s[24:25], 0, v6
	v_add_u32_e32 v9, v8, v6
	v_cndmask_b32_e64 v6, 0, v18, s[24:25]
	v_add_u32_e32 v6, v6, v7
	v_add_u32_e32 v7, -1, v11
	v_and_b32_e32 v19, 64, v11
	v_cmp_lt_i32_e64 s[24:25], v7, v19
	v_cndmask_b32_e64 v7, v7, v11, s[24:25]
	v_lshlrev_b32_e32 v7, 2, v7
	ds_bpermute_b32 v9, v7, v9
	ds_bpermute_b32 v6, v7, v6
	v_cmp_eq_u32_e64 s[24:25], 0, v11
	v_cmp_eq_u32_e64 s[26:27], 0, v68
	s_waitcnt lgkmcnt(1)
	v_cndmask_b32_e64 v7, v9, v8, s[24:25]
	s_waitcnt lgkmcnt(0)
	v_cndmask_b32_e64 v6, v6, v18, s[24:25]
	v_cmp_eq_u32_e64 s[24:25], 0, v0
	v_cndmask_b32_e64 v47, v6, v10, s[24:25]
	v_cndmask_b32_e64 v6, 0, v47, s[26:27]
	v_add_u32_e32 v45, v6, v52
	v_cndmask_b32_e64 v6, 0, v45, s[0:1]
	v_add_u32_e32 v43, v6, v75
	;; [unrolled: 2-line block ×8, first 2 shown]
	v_cndmask_b32_e64 v46, v7, 0, s[24:25]
	v_cndmask_b32_e64 v6, 0, v31, s[14:15]
	v_add_u32_e32 v44, v46, v68
	v_add_u32_e32 v29, v6, v48
	v_add_u32_e32 v42, v44, v66
	v_cndmask_b32_e64 v6, 0, v29, s[16:17]
	v_add_u32_e32 v40, v42, v65
	v_add_u32_e32 v27, v6, v71
	v_add_u32_e32 v38, v40, v64
	;; [unrolled: 4-line block ×3, first 2 shown]
	v_cndmask_b32_e64 v6, 0, v25, s[20:21]
	v_add_u32_e32 v32, v34, v61
	v_add_u32_e32 v23, v6, v70
	ds_read_b64 v[6:7], v17 offset:1064
	v_add_u32_e32 v30, v32, v60
	v_add_u32_e32 v28, v30, v59
	;; [unrolled: 1-line block ×3, first 2 shown]
	v_cndmask_b32_e64 v8, 0, v23, s[22:23]
	v_add_u32_e32 v24, v26, v57
	v_add_u32_e32 v21, v8, v16
	;; [unrolled: 1-line block ×3, first 2 shown]
	v_cndmask_b32_e32 v8, 0, v21, vcc
	s_waitcnt lgkmcnt(0)
	v_cmp_eq_u32_e32 vcc, 0, v6
	v_add_u32_e32 v20, v22, v55
	v_add_u32_e32 v19, v8, v69
	v_cndmask_b32_e32 v8, 0, v10, vcc
	v_add_u32_e32 v18, v20, v54
	v_add_u32_e32 v67, v8, v7
	s_and_saveexec_b64 s[0:1], s[24:25]
	s_cbranch_execz .LBB843_112
; %bb.111:
	s_add_u32 s2, s44, 0x400
	v_and_b32_e32 v7, 0xff000000, v67
	v_and_b32_e32 v8, 0xff0000, v67
	s_addc_u32 s3, s45, 0
	v_or_b32_e32 v7, v8, v7
	v_and_b32_e32 v8, 0xff00, v67
	v_and_b32_e32 v10, 0xff, v67
	v_mov_b32_e32 v9, 0
	v_or3_b32 v7, v7, v8, v10
	v_mov_b32_e32 v8, 2
	v_pk_mov_b32 v[10:11], s[2:3], s[2:3] op_sel:[0,1]
	;;#ASMSTART
	global_store_dwordx4 v[10:11], v[6:9] off	
s_waitcnt vmcnt(0)
	;;#ASMEND
.LBB843_112:
	s_or_b64 exec, exec, s[0:1]
	v_mov_b32_e32 v8, 0
.LBB843_113:
	s_and_b64 s[0:1], s[38:39], exec
	s_cselect_b32 s1, 0, s59
	s_cselect_b32 s0, 0, s58
	s_cmp_eq_u64 s[0:1], 0
	v_pk_mov_b32 v[16:17], 0, 0
	s_barrier
	s_cbranch_scc1 .LBB843_115
; %bb.114:
	v_mov_b32_e32 v7, 0
	global_load_dwordx2 v[16:17], v7, s[0:1]
.LBB843_115:
	s_waitcnt vmcnt(0)
	v_lshlrev_b64 v[10:11], 1, v[16:17]
	v_mov_b32_e32 v7, s43
	v_add_co_u32_e32 v48, vcc, s42, v10
	v_mov_b32_e32 v9, 0
	v_addc_co_u32_e32 v49, vcc, v7, v11, vcc
	v_lshlrev_b64 v[10:11], 1, v[8:9]
	v_add_co_u32_e32 v7, vcc, v48, v10
	v_addc_co_u32_e32 v48, vcc, v49, v11, vcc
	v_cmp_eq_u32_e32 vcc, 0, v68
	v_cndmask_b32_e64 v10, 1, 2, vcc
	v_cmp_eq_u32_e32 vcc, 0, v66
	v_cndmask_b32_e64 v11, 1, 2, vcc
	v_cmp_eq_u32_e32 vcc, 0, v65
	v_and_b32_e32 v10, v11, v10
	v_cndmask_b32_e64 v11, 1, 2, vcc
	v_cmp_eq_u32_e32 vcc, 0, v64
	v_and_b32_e32 v10, v10, v11
	;; [unrolled: 3-line block ×13, first 2 shown]
	v_cndmask_b32_e64 v11, 1, 2, vcc
	s_movk_i32 s30, 0x100
	v_and_b32_e32 v10, v10, v11
	v_cmp_gt_u32_e32 vcc, s30, v6
	v_cmp_ne_u32_e64 s[28:29], 0, v68
	v_cmp_ne_u32_e64 s[26:27], 0, v66
	;; [unrolled: 1-line block ×15, first 2 shown]
	s_mov_b64 s[38:39], -1
	v_cmp_gt_i16_e64 s[30:31], 2, v10
	s_cbranch_vccz .LBB843_164
; %bb.116:
	s_and_saveexec_b64 s[38:39], s[30:31]
	s_cbranch_execz .LBB843_163
; %bb.117:
	v_cmp_ne_u16_e32 vcc, 1, v10
	s_mov_b64 s[40:41], 0
	s_and_saveexec_b64 s[30:31], vcc
	s_xor_b64 s[30:31], exec, s[30:31]
	s_cbranch_execz .LBB843_141
; %bb.118:
	s_and_saveexec_b64 s[40:41], s[28:29]
	s_cbranch_execz .LBB843_146
; %bb.119:
	v_sub_u32_e32 v50, v46, v8
	v_mov_b32_e32 v51, 0
	v_lshlrev_b64 v[50:51], 1, v[50:51]
	v_add_co_u32_e32 v50, vcc, v7, v50
	v_addc_co_u32_e32 v51, vcc, v48, v51, vcc
	global_store_short v[50:51], v1, off
	s_or_b64 exec, exec, s[40:41]
	s_and_saveexec_b64 s[40:41], s[26:27]
	s_cbranch_execnz .LBB843_147
.LBB843_120:
	s_or_b64 exec, exec, s[40:41]
	s_and_saveexec_b64 s[40:41], s[24:25]
	s_cbranch_execz .LBB843_148
.LBB843_121:
	v_sub_u32_e32 v50, v42, v8
	v_mov_b32_e32 v51, 0
	v_lshlrev_b64 v[50:51], 1, v[50:51]
	v_add_co_u32_e32 v50, vcc, v7, v50
	v_addc_co_u32_e32 v51, vcc, v48, v51, vcc
	global_store_short_d16_hi v[50:51], v2, off
	s_or_b64 exec, exec, s[40:41]
	s_and_saveexec_b64 s[40:41], s[22:23]
	s_cbranch_execnz .LBB843_149
.LBB843_122:
	s_or_b64 exec, exec, s[40:41]
	s_and_saveexec_b64 s[40:41], s[20:21]
	s_cbranch_execz .LBB843_150
.LBB843_123:
	v_sub_u32_e32 v50, v38, v8
	v_mov_b32_e32 v51, 0
	v_lshlrev_b64 v[50:51], 1, v[50:51]
	v_add_co_u32_e32 v50, vcc, v7, v50
	v_addc_co_u32_e32 v51, vcc, v48, v51, vcc
	global_store_short_d16_hi v[50:51], v3, off
	s_or_b64 exec, exec, s[40:41]
	s_and_saveexec_b64 s[40:41], s[18:19]
	s_cbranch_execnz .LBB843_151
.LBB843_124:
	s_or_b64 exec, exec, s[40:41]
	s_and_saveexec_b64 s[40:41], s[16:17]
	s_cbranch_execz .LBB843_152
.LBB843_125:
	v_sub_u32_e32 v50, v34, v8
	v_mov_b32_e32 v51, 0
	v_lshlrev_b64 v[50:51], 1, v[50:51]
	v_add_co_u32_e32 v50, vcc, v7, v50
	v_addc_co_u32_e32 v51, vcc, v48, v51, vcc
	global_store_short_d16_hi v[50:51], v4, off
	s_or_b64 exec, exec, s[40:41]
	s_and_saveexec_b64 s[40:41], s[14:15]
	s_cbranch_execnz .LBB843_153
.LBB843_126:
	s_or_b64 exec, exec, s[40:41]
	s_and_saveexec_b64 s[40:41], s[12:13]
	s_cbranch_execz .LBB843_154
.LBB843_127:
	v_sub_u32_e32 v50, v30, v8
	v_mov_b32_e32 v51, 0
	v_lshlrev_b64 v[50:51], 1, v[50:51]
	v_add_co_u32_e32 v50, vcc, v7, v50
	v_addc_co_u32_e32 v51, vcc, v48, v51, vcc
	global_store_short_d16_hi v[50:51], v5, off
	s_or_b64 exec, exec, s[40:41]
	s_and_saveexec_b64 s[40:41], s[10:11]
	s_cbranch_execnz .LBB843_155
.LBB843_128:
	s_or_b64 exec, exec, s[40:41]
	s_and_saveexec_b64 s[40:41], s[8:9]
	s_cbranch_execz .LBB843_156
.LBB843_129:
	v_sub_u32_e32 v50, v26, v8
	v_mov_b32_e32 v51, 0
	v_lshlrev_b64 v[50:51], 1, v[50:51]
	v_add_co_u32_e32 v50, vcc, v7, v50
	v_addc_co_u32_e32 v51, vcc, v48, v51, vcc
	global_store_short_d16_hi v[50:51], v12, off
	s_or_b64 exec, exec, s[40:41]
	s_and_saveexec_b64 s[40:41], s[6:7]
	s_cbranch_execnz .LBB843_157
.LBB843_130:
	s_or_b64 exec, exec, s[40:41]
	s_and_saveexec_b64 s[40:41], s[4:5]
	s_cbranch_execz .LBB843_158
.LBB843_131:
	v_sub_u32_e32 v50, v22, v8
	v_mov_b32_e32 v51, 0
	v_lshlrev_b64 v[50:51], 1, v[50:51]
	v_add_co_u32_e32 v50, vcc, v7, v50
	v_addc_co_u32_e32 v51, vcc, v48, v51, vcc
	global_store_short_d16_hi v[50:51], v13, off
	s_or_b64 exec, exec, s[40:41]
	s_and_saveexec_b64 s[40:41], s[2:3]
	s_cbranch_execnz .LBB843_159
	s_branch .LBB843_160
.LBB843_132:
                                        ; implicit-def: $sgpr0_sgpr1
                                        ; implicit-def: $vgpr15
                                        ; implicit-def: $vgpr54
                                        ; implicit-def: $vgpr55
                                        ; implicit-def: $vgpr56
                                        ; implicit-def: $vgpr57
                                        ; implicit-def: $vgpr58
                                        ; implicit-def: $vgpr59
                                        ; implicit-def: $vgpr60
                                        ; implicit-def: $vgpr61
                                        ; implicit-def: $vgpr62
                                        ; implicit-def: $vgpr63
                                        ; implicit-def: $vgpr64
                                        ; implicit-def: $vgpr65
                                        ; implicit-def: $vgpr66
	s_cbranch_execz .LBB843_70
; %bb.133:
	v_cmp_ne_u16_sdwa s[0:1], v13, v14 src0_sel:WORD_1 src1_sel:DWORD
	v_cndmask_b32_e64 v54, 0, 1, s[0:1]
	v_cmp_ne_u16_sdwa s[0:1], v13, v13 src0_sel:DWORD src1_sel:WORD_1
	v_cndmask_b32_e64 v55, 0, 1, s[0:1]
	v_cmp_ne_u16_sdwa s[0:1], v12, v13 src0_sel:WORD_1 src1_sel:DWORD
	v_cndmask_b32_e64 v56, 0, 1, s[0:1]
	v_cmp_ne_u16_sdwa s[0:1], v12, v12 src0_sel:DWORD src1_sel:WORD_1
	v_cndmask_b32_e64 v57, 0, 1, s[0:1]
	;; [unrolled: 4-line block ×4, first 2 shown]
	v_cmp_ne_u16_sdwa s[0:1], v3, v4 src0_sel:WORD_1 src1_sel:DWORD
	v_lshrrev_b32_e32 v9, 16, v14
	v_cndmask_b32_e64 v62, 0, 1, s[0:1]
	v_cmp_ne_u16_sdwa s[0:1], v3, v3 src0_sel:DWORD src1_sel:WORD_1
	v_cmp_ne_u16_e32 vcc, v14, v9
	v_cndmask_b32_e64 v63, 0, 1, s[0:1]
	v_cmp_ne_u16_sdwa s[0:1], v2, v3 src0_sel:WORD_1 src1_sel:DWORD
	v_cndmask_b32_e64 v15, 0, 1, vcc
	v_cndmask_b32_e64 v64, 0, 1, s[0:1]
	v_cmp_ne_u16_sdwa s[0:1], v2, v2 src0_sel:DWORD src1_sel:WORD_1
	v_cmp_ne_u16_e32 vcc, v1, v2
	s_mov_b32 s12, 1
	v_lshlrev_b32_e32 v7, 1, v0
	v_cndmask_b32_e64 v65, 0, 1, s[0:1]
	v_cndmask_b32_e64 v66, 0, 1, vcc
	v_cmp_ne_u32_e32 vcc, 0, v0
	ds_write_b16 v7, v9
	s_waitcnt lgkmcnt(0)
	s_barrier
	s_waitcnt lgkmcnt(0)
                                        ; implicit-def: $sgpr0_sgpr1
	s_and_saveexec_b64 s[2:3], vcc
	s_xor_b64 s[2:3], exec, s[2:3]
	s_cbranch_execz .LBB843_135
; %bb.134:
	v_add_u32_e32 v7, -2, v7
	ds_read_u16 v7, v7
	s_or_b64 s[4:5], s[4:5], exec
	s_waitcnt lgkmcnt(0)
	v_cmp_ne_u16_e32 vcc, v7, v1
	s_and_b64 s[0:1], vcc, exec
.LBB843_135:
	s_or_b64 exec, exec, s[2:3]
	s_branch .LBB843_72
.LBB843_136:
	s_mul_hi_u32 s1, s38, 0xfffff100
	s_mul_i32 s0, s39, 0xfffff100
	s_sub_i32 s1, s1, s38
	s_add_i32 s1, s1, s0
	s_mul_i32 s0, s38, 0xfffff100
	s_add_u32 s10, s0, s56
	s_addc_u32 s11, s1, s57
	s_and_b64 vcc, exec, s[8:9]
	v_lshrrev_b32_e32 v42, 16, v14
	v_mad_u32_u24 v26, v0, 15, 14
	v_cmp_ne_u16_sdwa s[12:13], v13, v14 src0_sel:WORD_1 src1_sel:DWORD
	v_mad_u32_u24 v38, v0, 15, 12
	v_cmp_ne_u16_sdwa s[16:17], v13, v13 src0_sel:DWORD src1_sel:WORD_1
	v_cmp_ne_u16_sdwa s[22:23], v12, v13 src0_sel:WORD_1 src1_sel:DWORD
	v_mad_u32_u24 v36, v0, 15, 10
	v_cmp_ne_u16_sdwa s[26:27], v12, v12 src0_sel:DWORD src1_sel:WORD_1
	v_cmp_ne_u16_sdwa s[30:31], v5, v12 src0_sel:WORD_1 src1_sel:DWORD
	v_mad_u32_u24 v34, v0, 15, 8
	v_cmp_ne_u16_sdwa s[38:39], v5, v5 src0_sel:DWORD src1_sel:WORD_1
	v_cmp_ne_u16_sdwa s[28:29], v4, v5 src0_sel:WORD_1 src1_sel:DWORD
	v_mad_u32_u24 v32, v0, 15, 6
	v_cmp_ne_u16_sdwa s[24:25], v4, v4 src0_sel:DWORD src1_sel:WORD_1
	v_cmp_ne_u16_sdwa s[20:21], v3, v4 src0_sel:WORD_1 src1_sel:DWORD
	v_mad_u32_u24 v30, v0, 15, 4
	v_cmp_ne_u16_sdwa s[18:19], v3, v3 src0_sel:DWORD src1_sel:WORD_1
	v_cmp_ne_u16_sdwa s[14:15], v2, v3 src0_sel:WORD_1 src1_sel:DWORD
	v_mad_u32_u24 v28, v0, 15, 2
	v_cmp_ne_u16_sdwa s[8:9], v2, v2 src0_sel:DWORD src1_sel:WORD_1
	v_cmp_ne_u16_e64 s[2:3], v1, v2
	v_cmp_ne_u32_e64 s[0:1], 0, v0
	s_cbranch_vccz .LBB843_143
; %bb.137:
	v_mov_b32_e32 v7, s48
	v_add_co_u32_e64 v40, vcc, -2, s7
	v_addc_co_u32_e32 v41, vcc, -1, v7, vcc
	flat_load_ushort v43, v[40:41]
	v_mov_b32_e32 v27, 0
	v_cmp_gt_u64_e32 vcc, s[10:11], v[26:27]
	v_cmp_ne_u16_e64 s[4:5], v14, v42
	v_mov_b32_e32 v25, v27
	s_and_b64 s[4:5], vcc, s[4:5]
	v_cmp_gt_u64_e32 vcc, s[10:11], v[24:25]
	v_mov_b32_e32 v39, v27
	s_and_b64 s[12:13], vcc, s[12:13]
	v_cmp_gt_u64_e32 vcc, s[10:11], v[38:39]
	v_mov_b32_e32 v23, v27
	s_and_b64 s[16:17], vcc, s[16:17]
	v_cmp_gt_u64_e32 vcc, s[10:11], v[22:23]
	v_mov_b32_e32 v37, v27
	s_and_b64 s[22:23], vcc, s[22:23]
	v_cmp_gt_u64_e32 vcc, s[10:11], v[36:37]
	v_mov_b32_e32 v21, v27
	s_and_b64 s[26:27], vcc, s[26:27]
	v_cmp_gt_u64_e32 vcc, s[10:11], v[20:21]
	v_mov_b32_e32 v35, v27
	s_and_b64 s[30:31], vcc, s[30:31]
	v_cmp_gt_u64_e32 vcc, s[10:11], v[34:35]
	v_mov_b32_e32 v19, v27
	s_and_b64 s[38:39], vcc, s[38:39]
	v_cmp_gt_u64_e32 vcc, s[10:11], v[18:19]
	v_mov_b32_e32 v33, v27
	s_and_b64 s[28:29], vcc, s[28:29]
	v_cmp_gt_u64_e32 vcc, s[10:11], v[32:33]
	v_mov_b32_e32 v11, v27
	s_and_b64 s[24:25], vcc, s[24:25]
	v_cmp_gt_u64_e32 vcc, s[10:11], v[10:11]
	v_mov_b32_e32 v31, v27
	s_and_b64 s[20:21], vcc, s[20:21]
	v_cmp_gt_u64_e32 vcc, s[10:11], v[30:31]
	v_mov_b32_e32 v9, v27
	s_and_b64 s[18:19], vcc, s[18:19]
	v_cmp_gt_u64_e32 vcc, s[10:11], v[8:9]
	v_mov_b32_e32 v29, v27
	s_and_b64 s[14:15], vcc, s[14:15]
	v_cmp_gt_u64_e32 vcc, s[10:11], v[28:29]
	v_mov_b32_e32 v7, v27
	s_and_b64 s[8:9], vcc, s[8:9]
	v_cmp_gt_u64_e32 vcc, s[10:11], v[6:7]
	v_lshlrev_b32_e32 v15, 1, v0
	v_mul_u32_u24_e32 v40, 15, v0
	s_and_b64 s[2:3], vcc, s[2:3]
	ds_write_b16 v15, v42
	s_waitcnt lgkmcnt(0)
	s_barrier
	s_and_saveexec_b64 s[40:41], s[0:1]
	s_cbranch_execz .LBB843_139
; %bb.138:
	v_add_u32_e32 v7, -2, v15
	s_waitcnt vmcnt(0)
	ds_read_u16 v43, v7
.LBB843_139:
	s_or_b64 exec, exec, s[40:41]
	v_mov_b32_e32 v41, v27
	v_cmp_gt_u64_e32 vcc, s[10:11], v[40:41]
	s_waitcnt vmcnt(0) lgkmcnt(0)
	v_cmp_ne_u16_e64 s[0:1], v43, v1
	v_cndmask_b32_e64 v15, 0, 1, s[4:5]
	v_cndmask_b32_e64 v54, 0, 1, s[12:13]
	;; [unrolled: 1-line block ×14, first 2 shown]
	s_and_b64 s[0:1], vcc, s[0:1]
	s_mov_b64 s[4:5], -1
.LBB843_140:
                                        ; implicit-def: $sgpr12
	v_mov_b32_e32 v68, s12
	s_and_saveexec_b64 s[2:3], s[4:5]
	s_cbranch_execnz .LBB843_73
	s_branch .LBB843_74
.LBB843_141:
	s_andn2_saveexec_b64 s[30:31], s[30:31]
	s_cbranch_execz .LBB843_161
.LBB843_142:
	v_sub_u32_e32 v50, v46, v8
	v_mov_b32_e32 v51, 0
	v_lshlrev_b64 v[52:53], 1, v[50:51]
	v_add_co_u32_e32 v52, vcc, v7, v52
	v_addc_co_u32_e32 v53, vcc, v48, v53, vcc
	v_sub_u32_e32 v50, v44, v8
	global_store_short v[52:53], v1, off
	v_lshlrev_b64 v[52:53], 1, v[50:51]
	v_add_co_u32_e32 v52, vcc, v7, v52
	v_addc_co_u32_e32 v53, vcc, v48, v53, vcc
	v_sub_u32_e32 v50, v42, v8
	global_store_short v[52:53], v2, off
	v_lshlrev_b64 v[52:53], 1, v[50:51]
	v_add_co_u32_e32 v52, vcc, v7, v52
	v_addc_co_u32_e32 v53, vcc, v48, v53, vcc
	v_sub_u32_e32 v50, v40, v8
	global_store_short_d16_hi v[52:53], v2, off
	v_lshlrev_b64 v[52:53], 1, v[50:51]
	v_add_co_u32_e32 v52, vcc, v7, v52
	v_addc_co_u32_e32 v53, vcc, v48, v53, vcc
	v_sub_u32_e32 v50, v38, v8
	global_store_short v[52:53], v3, off
	v_lshlrev_b64 v[52:53], 1, v[50:51]
	v_add_co_u32_e32 v52, vcc, v7, v52
	v_addc_co_u32_e32 v53, vcc, v48, v53, vcc
	v_sub_u32_e32 v50, v36, v8
	global_store_short_d16_hi v[52:53], v3, off
	;; [unrolled: 10-line block ×5, first 2 shown]
	v_lshlrev_b64 v[52:53], 1, v[50:51]
	v_add_co_u32_e32 v52, vcc, v7, v52
	v_addc_co_u32_e32 v53, vcc, v48, v53, vcc
	v_sub_u32_e32 v50, v22, v8
	global_store_short v[52:53], v13, off
	v_lshlrev_b64 v[52:53], 1, v[50:51]
	v_add_co_u32_e32 v52, vcc, v7, v52
	v_sub_u32_e32 v50, v20, v8
	v_addc_co_u32_e32 v53, vcc, v48, v53, vcc
	v_lshlrev_b64 v[50:51], 1, v[50:51]
	v_add_co_u32_e32 v50, vcc, v7, v50
	v_addc_co_u32_e32 v51, vcc, v48, v51, vcc
	s_or_b64 s[40:41], s[40:41], exec
	global_store_short_d16_hi v[52:53], v13, off
	global_store_short v[50:51], v14, off
	s_or_b64 exec, exec, s[30:31]
	s_and_b64 exec, exec, s[40:41]
	s_cbranch_execnz .LBB843_162
	s_branch .LBB843_163
.LBB843_143:
                                        ; implicit-def: $sgpr0_sgpr1
                                        ; implicit-def: $vgpr15
                                        ; implicit-def: $vgpr54
                                        ; implicit-def: $vgpr55
                                        ; implicit-def: $vgpr56
                                        ; implicit-def: $vgpr57
                                        ; implicit-def: $vgpr58
                                        ; implicit-def: $vgpr59
                                        ; implicit-def: $vgpr60
                                        ; implicit-def: $vgpr61
                                        ; implicit-def: $vgpr62
                                        ; implicit-def: $vgpr63
                                        ; implicit-def: $vgpr64
                                        ; implicit-def: $vgpr65
                                        ; implicit-def: $vgpr66
	s_cbranch_execz .LBB843_140
; %bb.144:
	v_mov_b32_e32 v27, 0
	v_cmp_gt_u64_e32 vcc, s[10:11], v[26:27]
	v_cmp_ne_u16_e64 s[0:1], v14, v42
	s_and_b64 s[0:1], vcc, s[0:1]
	v_mov_b32_e32 v25, v27
	v_cndmask_b32_e64 v15, 0, 1, s[0:1]
	v_cmp_gt_u64_e32 vcc, s[10:11], v[24:25]
	v_cmp_ne_u16_sdwa s[0:1], v13, v14 src0_sel:WORD_1 src1_sel:DWORD
	s_and_b64 s[0:1], vcc, s[0:1]
	v_mov_b32_e32 v39, v27
	v_cndmask_b32_e64 v54, 0, 1, s[0:1]
	v_cmp_gt_u64_e32 vcc, s[10:11], v[38:39]
	v_cmp_ne_u16_sdwa s[0:1], v13, v13 src0_sel:DWORD src1_sel:WORD_1
	s_and_b64 s[0:1], vcc, s[0:1]
	v_mov_b32_e32 v23, v27
	v_cndmask_b32_e64 v55, 0, 1, s[0:1]
	v_cmp_gt_u64_e32 vcc, s[10:11], v[22:23]
	v_cmp_ne_u16_sdwa s[0:1], v12, v13 src0_sel:WORD_1 src1_sel:DWORD
	s_and_b64 s[0:1], vcc, s[0:1]
	v_mov_b32_e32 v37, v27
	v_cndmask_b32_e64 v56, 0, 1, s[0:1]
	v_cmp_gt_u64_e32 vcc, s[10:11], v[36:37]
	v_cmp_ne_u16_sdwa s[0:1], v12, v12 src0_sel:DWORD src1_sel:WORD_1
	;; [unrolled: 10-line block ×6, first 2 shown]
	s_and_b64 s[0:1], vcc, s[0:1]
	v_mov_b32_e32 v7, v27
	v_cndmask_b32_e64 v65, 0, 1, s[0:1]
	v_cmp_gt_u64_e32 vcc, s[10:11], v[6:7]
	v_cmp_ne_u16_e64 s[0:1], v1, v2
	s_and_b64 s[0:1], vcc, s[0:1]
	s_mov_b32 s12, 1
	v_lshlrev_b32_e32 v40, 1, v0
	v_cndmask_b32_e64 v66, 0, 1, s[0:1]
	v_cmp_ne_u32_e32 vcc, 0, v0
	ds_write_b16 v40, v42
	s_waitcnt lgkmcnt(0)
	s_barrier
	s_waitcnt lgkmcnt(0)
                                        ; implicit-def: $sgpr0_sgpr1
	s_and_saveexec_b64 s[2:3], vcc
	s_cbranch_execz .LBB843_183
; %bb.145:
	v_add_u32_e32 v6, -2, v40
	ds_read_u16 v6, v6
	v_mul_u32_u24_e32 v26, 15, v0
	v_cmp_gt_u64_e32 vcc, s[10:11], v[26:27]
	s_or_b64 s[4:5], s[4:5], exec
	s_waitcnt lgkmcnt(0)
	v_cmp_ne_u16_e64 s[0:1], v6, v1
	s_and_b64 s[0:1], vcc, s[0:1]
	s_and_b64 s[0:1], s[0:1], exec
	s_or_b64 exec, exec, s[2:3]
	v_mov_b32_e32 v68, s12
	s_and_saveexec_b64 s[2:3], s[4:5]
	s_cbranch_execz .LBB843_74
	s_branch .LBB843_73
.LBB843_146:
	s_or_b64 exec, exec, s[40:41]
	s_and_saveexec_b64 s[40:41], s[26:27]
	s_cbranch_execz .LBB843_120
.LBB843_147:
	v_sub_u32_e32 v50, v44, v8
	v_mov_b32_e32 v51, 0
	v_lshlrev_b64 v[50:51], 1, v[50:51]
	v_add_co_u32_e32 v50, vcc, v7, v50
	v_addc_co_u32_e32 v51, vcc, v48, v51, vcc
	global_store_short v[50:51], v2, off
	s_or_b64 exec, exec, s[40:41]
	s_and_saveexec_b64 s[40:41], s[24:25]
	s_cbranch_execnz .LBB843_121
.LBB843_148:
	s_or_b64 exec, exec, s[40:41]
	s_and_saveexec_b64 s[40:41], s[22:23]
	s_cbranch_execz .LBB843_122
.LBB843_149:
	v_sub_u32_e32 v50, v40, v8
	v_mov_b32_e32 v51, 0
	v_lshlrev_b64 v[50:51], 1, v[50:51]
	v_add_co_u32_e32 v50, vcc, v7, v50
	v_addc_co_u32_e32 v51, vcc, v48, v51, vcc
	global_store_short v[50:51], v3, off
	s_or_b64 exec, exec, s[40:41]
	s_and_saveexec_b64 s[40:41], s[20:21]
	s_cbranch_execnz .LBB843_123
.LBB843_150:
	s_or_b64 exec, exec, s[40:41]
	s_and_saveexec_b64 s[40:41], s[18:19]
	s_cbranch_execz .LBB843_124
.LBB843_151:
	v_sub_u32_e32 v50, v36, v8
	v_mov_b32_e32 v51, 0
	v_lshlrev_b64 v[50:51], 1, v[50:51]
	v_add_co_u32_e32 v50, vcc, v7, v50
	v_addc_co_u32_e32 v51, vcc, v48, v51, vcc
	global_store_short v[50:51], v4, off
	s_or_b64 exec, exec, s[40:41]
	s_and_saveexec_b64 s[40:41], s[16:17]
	s_cbranch_execnz .LBB843_125
.LBB843_152:
	s_or_b64 exec, exec, s[40:41]
	s_and_saveexec_b64 s[40:41], s[14:15]
	s_cbranch_execz .LBB843_126
.LBB843_153:
	v_sub_u32_e32 v50, v32, v8
	v_mov_b32_e32 v51, 0
	v_lshlrev_b64 v[50:51], 1, v[50:51]
	v_add_co_u32_e32 v50, vcc, v7, v50
	v_addc_co_u32_e32 v51, vcc, v48, v51, vcc
	global_store_short v[50:51], v5, off
	s_or_b64 exec, exec, s[40:41]
	s_and_saveexec_b64 s[40:41], s[12:13]
	s_cbranch_execnz .LBB843_127
.LBB843_154:
	s_or_b64 exec, exec, s[40:41]
	s_and_saveexec_b64 s[40:41], s[10:11]
	s_cbranch_execz .LBB843_128
.LBB843_155:
	v_sub_u32_e32 v50, v28, v8
	v_mov_b32_e32 v51, 0
	v_lshlrev_b64 v[50:51], 1, v[50:51]
	v_add_co_u32_e32 v50, vcc, v7, v50
	v_addc_co_u32_e32 v51, vcc, v48, v51, vcc
	global_store_short v[50:51], v12, off
	s_or_b64 exec, exec, s[40:41]
	s_and_saveexec_b64 s[40:41], s[8:9]
	s_cbranch_execnz .LBB843_129
.LBB843_156:
	s_or_b64 exec, exec, s[40:41]
	s_and_saveexec_b64 s[40:41], s[6:7]
	s_cbranch_execz .LBB843_130
.LBB843_157:
	v_sub_u32_e32 v50, v24, v8
	v_mov_b32_e32 v51, 0
	v_lshlrev_b64 v[50:51], 1, v[50:51]
	v_add_co_u32_e32 v50, vcc, v7, v50
	v_addc_co_u32_e32 v51, vcc, v48, v51, vcc
	global_store_short v[50:51], v13, off
	s_or_b64 exec, exec, s[40:41]
	s_and_saveexec_b64 s[40:41], s[4:5]
	s_cbranch_execnz .LBB843_131
.LBB843_158:
	s_or_b64 exec, exec, s[40:41]
	s_and_saveexec_b64 s[40:41], s[2:3]
	s_cbranch_execz .LBB843_160
.LBB843_159:
	v_sub_u32_e32 v50, v20, v8
	v_mov_b32_e32 v51, 0
	v_lshlrev_b64 v[50:51], 1, v[50:51]
	v_add_co_u32_e32 v50, vcc, v7, v50
	v_addc_co_u32_e32 v51, vcc, v48, v51, vcc
	global_store_short v[50:51], v14, off
.LBB843_160:
	s_or_b64 exec, exec, s[40:41]
	s_and_b64 s[40:41], s[0:1], exec
	s_andn2_saveexec_b64 s[30:31], s[30:31]
	s_cbranch_execnz .LBB843_142
.LBB843_161:
	s_or_b64 exec, exec, s[30:31]
	s_and_b64 exec, exec, s[40:41]
	s_cbranch_execz .LBB843_163
.LBB843_162:
	v_sub_u32_e32 v50, v18, v8
	v_mov_b32_e32 v51, 0
	v_lshlrev_b64 v[50:51], 1, v[50:51]
	v_add_co_u32_e32 v50, vcc, v7, v50
	v_addc_co_u32_e32 v51, vcc, v48, v51, vcc
	global_store_short_d16_hi v[50:51], v14, off
.LBB843_163:
	s_or_b64 exec, exec, s[38:39]
	s_mov_b64 s[38:39], 0
.LBB843_164:
	s_and_b64 vcc, exec, s[38:39]
	s_cbranch_vccz .LBB843_217
; %bb.165:
	v_cmp_gt_i16_e32 vcc, 2, v10
	s_and_saveexec_b64 s[30:31], vcc
	s_cbranch_execz .LBB843_201
; %bb.166:
	v_cmp_ne_u16_e32 vcc, 1, v10
	s_mov_b64 s[40:41], 0
	s_and_saveexec_b64 s[38:39], vcc
	s_xor_b64 s[38:39], exec, s[38:39]
	s_cbranch_execz .LBB843_181
; %bb.167:
	s_and_saveexec_b64 s[40:41], s[28:29]
	s_cbranch_execz .LBB843_184
; %bb.168:
	v_sub_u32_e32 v10, v46, v8
	v_lshlrev_b32_e32 v10, 1, v10
	ds_write_b16 v10, v1
	s_or_b64 exec, exec, s[40:41]
	s_and_saveexec_b64 s[28:29], s[26:27]
	s_cbranch_execnz .LBB843_185
.LBB843_169:
	s_or_b64 exec, exec, s[28:29]
	s_and_saveexec_b64 s[26:27], s[24:25]
	s_cbranch_execz .LBB843_186
.LBB843_170:
	v_sub_u32_e32 v1, v42, v8
	v_lshlrev_b32_e32 v1, 1, v1
	ds_write_b16_d16_hi v1, v2
	s_or_b64 exec, exec, s[26:27]
	s_and_saveexec_b64 s[24:25], s[22:23]
	s_cbranch_execnz .LBB843_187
.LBB843_171:
	s_or_b64 exec, exec, s[24:25]
	s_and_saveexec_b64 s[22:23], s[20:21]
	s_cbranch_execz .LBB843_188
.LBB843_172:
	v_sub_u32_e32 v1, v38, v8
	v_lshlrev_b32_e32 v1, 1, v1
	ds_write_b16_d16_hi v1, v3
	s_or_b64 exec, exec, s[22:23]
	s_and_saveexec_b64 s[20:21], s[18:19]
	s_cbranch_execnz .LBB843_189
.LBB843_173:
	s_or_b64 exec, exec, s[20:21]
	s_and_saveexec_b64 s[18:19], s[16:17]
	s_cbranch_execz .LBB843_190
.LBB843_174:
	v_sub_u32_e32 v1, v34, v8
	v_lshlrev_b32_e32 v1, 1, v1
	ds_write_b16_d16_hi v1, v4
	s_or_b64 exec, exec, s[18:19]
	s_and_saveexec_b64 s[16:17], s[14:15]
	s_cbranch_execnz .LBB843_191
.LBB843_175:
	s_or_b64 exec, exec, s[16:17]
	s_and_saveexec_b64 s[14:15], s[12:13]
	s_cbranch_execz .LBB843_192
.LBB843_176:
	v_sub_u32_e32 v1, v30, v8
	v_lshlrev_b32_e32 v1, 1, v1
	ds_write_b16_d16_hi v1, v5
	s_or_b64 exec, exec, s[14:15]
	s_and_saveexec_b64 s[12:13], s[10:11]
	s_cbranch_execnz .LBB843_193
.LBB843_177:
	s_or_b64 exec, exec, s[12:13]
	s_and_saveexec_b64 s[10:11], s[8:9]
	s_cbranch_execz .LBB843_194
.LBB843_178:
	v_sub_u32_e32 v1, v26, v8
	v_lshlrev_b32_e32 v1, 1, v1
	ds_write_b16_d16_hi v1, v12
	s_or_b64 exec, exec, s[10:11]
	s_and_saveexec_b64 s[8:9], s[6:7]
	s_cbranch_execnz .LBB843_195
.LBB843_179:
	s_or_b64 exec, exec, s[8:9]
	s_and_saveexec_b64 s[6:7], s[4:5]
	s_cbranch_execz .LBB843_196
.LBB843_180:
	v_sub_u32_e32 v1, v22, v8
	v_lshlrev_b32_e32 v1, 1, v1
	ds_write_b16_d16_hi v1, v13
	s_or_b64 exec, exec, s[6:7]
	s_and_saveexec_b64 s[4:5], s[2:3]
	s_cbranch_execnz .LBB843_197
	s_branch .LBB843_198
.LBB843_181:
	s_andn2_saveexec_b64 s[0:1], s[38:39]
	s_cbranch_execz .LBB843_199
.LBB843_182:
	v_sub_u32_e32 v10, v46, v8
	v_lshlrev_b32_e32 v10, 1, v10
	ds_write_b16 v10, v1
	v_sub_u32_e32 v1, v44, v8
	v_lshlrev_b32_e32 v1, 1, v1
	ds_write_b16 v1, v2
	v_sub_u32_e32 v1, v42, v8
	v_lshlrev_b32_e32 v1, 1, v1
	ds_write_b16_d16_hi v1, v2
	v_sub_u32_e32 v1, v40, v8
	v_lshlrev_b32_e32 v1, 1, v1
	ds_write_b16 v1, v3
	v_sub_u32_e32 v1, v38, v8
	v_lshlrev_b32_e32 v1, 1, v1
	ds_write_b16_d16_hi v1, v3
	;; [unrolled: 6-line block ×6, first 2 shown]
	v_sub_u32_e32 v1, v20, v8
	v_lshlrev_b32_e32 v1, 1, v1
	s_or_b64 s[40:41], s[40:41], exec
	ds_write_b16 v1, v14
	s_or_b64 exec, exec, s[0:1]
	s_and_b64 exec, exec, s[40:41]
	s_cbranch_execnz .LBB843_200
	s_branch .LBB843_201
.LBB843_183:
	s_or_b64 exec, exec, s[2:3]
	v_mov_b32_e32 v68, s12
	s_and_saveexec_b64 s[2:3], s[4:5]
	s_cbranch_execnz .LBB843_73
	s_branch .LBB843_74
.LBB843_184:
	s_or_b64 exec, exec, s[40:41]
	s_and_saveexec_b64 s[28:29], s[26:27]
	s_cbranch_execz .LBB843_169
.LBB843_185:
	v_sub_u32_e32 v1, v44, v8
	v_lshlrev_b32_e32 v1, 1, v1
	ds_write_b16 v1, v2
	s_or_b64 exec, exec, s[28:29]
	s_and_saveexec_b64 s[26:27], s[24:25]
	s_cbranch_execnz .LBB843_170
.LBB843_186:
	s_or_b64 exec, exec, s[26:27]
	s_and_saveexec_b64 s[24:25], s[22:23]
	s_cbranch_execz .LBB843_171
.LBB843_187:
	v_sub_u32_e32 v1, v40, v8
	v_lshlrev_b32_e32 v1, 1, v1
	ds_write_b16 v1, v3
	s_or_b64 exec, exec, s[24:25]
	s_and_saveexec_b64 s[22:23], s[20:21]
	s_cbranch_execnz .LBB843_172
.LBB843_188:
	s_or_b64 exec, exec, s[22:23]
	s_and_saveexec_b64 s[20:21], s[18:19]
	s_cbranch_execz .LBB843_173
.LBB843_189:
	v_sub_u32_e32 v1, v36, v8
	v_lshlrev_b32_e32 v1, 1, v1
	ds_write_b16 v1, v4
	s_or_b64 exec, exec, s[20:21]
	s_and_saveexec_b64 s[18:19], s[16:17]
	s_cbranch_execnz .LBB843_174
.LBB843_190:
	s_or_b64 exec, exec, s[18:19]
	s_and_saveexec_b64 s[16:17], s[14:15]
	s_cbranch_execz .LBB843_175
.LBB843_191:
	v_sub_u32_e32 v1, v32, v8
	v_lshlrev_b32_e32 v1, 1, v1
	ds_write_b16 v1, v5
	s_or_b64 exec, exec, s[16:17]
	s_and_saveexec_b64 s[14:15], s[12:13]
	s_cbranch_execnz .LBB843_176
.LBB843_192:
	s_or_b64 exec, exec, s[14:15]
	s_and_saveexec_b64 s[12:13], s[10:11]
	s_cbranch_execz .LBB843_177
.LBB843_193:
	v_sub_u32_e32 v1, v28, v8
	v_lshlrev_b32_e32 v1, 1, v1
	ds_write_b16 v1, v12
	s_or_b64 exec, exec, s[12:13]
	s_and_saveexec_b64 s[10:11], s[8:9]
	s_cbranch_execnz .LBB843_178
.LBB843_194:
	s_or_b64 exec, exec, s[10:11]
	s_and_saveexec_b64 s[8:9], s[6:7]
	s_cbranch_execz .LBB843_179
.LBB843_195:
	v_sub_u32_e32 v1, v24, v8
	v_lshlrev_b32_e32 v1, 1, v1
	ds_write_b16 v1, v13
	s_or_b64 exec, exec, s[8:9]
	s_and_saveexec_b64 s[6:7], s[4:5]
	s_cbranch_execnz .LBB843_180
.LBB843_196:
	s_or_b64 exec, exec, s[6:7]
	s_and_saveexec_b64 s[4:5], s[2:3]
	s_cbranch_execz .LBB843_198
.LBB843_197:
	v_sub_u32_e32 v1, v20, v8
	v_lshlrev_b32_e32 v1, 1, v1
	ds_write_b16 v1, v14
.LBB843_198:
	s_or_b64 exec, exec, s[4:5]
	s_and_b64 s[40:41], s[0:1], exec
                                        ; implicit-def: $vgpr1
                                        ; implicit-def: $vgpr2
	s_andn2_saveexec_b64 s[0:1], s[38:39]
	s_cbranch_execnz .LBB843_182
.LBB843_199:
	s_or_b64 exec, exec, s[0:1]
	s_and_b64 exec, exec, s[40:41]
	s_cbranch_execz .LBB843_201
.LBB843_200:
	v_sub_u32_e32 v1, v18, v8
	v_lshlrev_b32_e32 v1, 1, v1
	ds_write_b16_d16_hi v1, v14
.LBB843_201:
	s_or_b64 exec, exec, s[30:31]
	v_cmp_lt_u32_e32 vcc, v0, v6
	s_waitcnt lgkmcnt(0)
	s_barrier
	s_and_saveexec_b64 s[2:3], vcc
	s_cbranch_execz .LBB843_216
; %bb.202:
	v_xad_u32 v1, v0, -1, v6
	s_movk_i32 s0, 0x1700
	v_cmp_gt_u32_e64 s[4:5], s0, v1
	s_movk_i32 s0, 0x16ff
	v_cmp_lt_u32_e32 vcc, s0, v1
	v_mov_b32_e32 v2, v0
	s_and_saveexec_b64 s[6:7], vcc
	s_cbranch_execz .LBB843_213
; %bb.203:
	v_sub_u32_e32 v2, v0, v6
	v_or_b32_e32 v2, 0xff, v2
	v_cmp_ge_u32_e32 vcc, v2, v0
	s_mov_b64 s[0:1], -1
	v_mov_b32_e32 v2, v0
	s_and_saveexec_b64 s[8:9], vcc
	s_cbranch_execz .LBB843_212
; %bb.204:
	v_lshrrev_b32_e32 v14, 8, v1
	v_or_b32_e32 v3, 0x300, v0
	v_or_b32_e32 v2, 0x200, v0
	v_add_u32_e32 v4, -3, v14
	v_or_b32_e32 v1, 0x100, v0
	v_lshrrev_b32_e32 v5, 2, v4
	v_pk_mov_b32 v[12:13], v[2:3], v[2:3] op_sel:[0,1]
	v_add_u32_e32 v50, 1, v5
	v_cmp_lt_u32_e32 vcc, 11, v4
	v_mov_b32_e32 v53, 0
	v_lshlrev_b32_e32 v49, 1, v0
	v_pk_mov_b32 v[10:11], v[0:1], v[0:1] op_sel:[0,1]
	s_and_saveexec_b64 s[10:11], vcc
	s_cbranch_execz .LBB843_208
; %bb.205:
	v_pk_mov_b32 v[12:13], v[2:3], v[2:3] op_sel:[0,1]
	v_and_b32_e32 v51, 0x7ffffffc, v50
	s_mov_b32 s14, 0
	s_mov_b64 s[12:13], 0
	v_mov_b32_e32 v5, 0
	v_mov_b32_e32 v52, v49
	v_pk_mov_b32 v[10:11], v[0:1], v[0:1] op_sel:[0,1]
.LBB843_206:                            ; =>This Inner Loop Header: Depth=1
	v_mov_b32_e32 v4, v10
	v_lshlrev_b64 v[86:87], 1, v[4:5]
	v_add_u32_e32 v72, 0x400, v11
	v_mov_b32_e32 v73, v5
	v_add_co_u32_e64 v86, s[0:1], v7, v86
	v_lshlrev_b64 v[72:73], 1, v[72:73]
	v_addc_co_u32_e64 v87, s[0:1], v48, v87, s[0:1]
	v_add_u32_e32 v70, 0x400, v12
	v_mov_b32_e32 v71, v5
	v_add_co_u32_e64 v72, s[0:1], v7, v72
	v_lshlrev_b64 v[70:71], 1, v[70:71]
	v_addc_co_u32_e64 v73, s[0:1], v48, v73, s[0:1]
	v_add_u32_e32 v2, 0x400, v13
	v_mov_b32_e32 v3, v5
	v_add_co_u32_e64 v70, s[0:1], v7, v70
	v_add_u32_e32 v51, -4, v51
	v_mov_b32_e32 v4, v11
	v_lshlrev_b64 v[2:3], 1, v[2:3]
	v_addc_co_u32_e64 v71, s[0:1], v48, v71, s[0:1]
	v_add_u32_e32 v78, 0x800, v11
	v_mov_b32_e32 v79, v5
	s_add_i32 s14, s14, 16
	v_cmp_eq_u32_e32 vcc, 0, v51
	v_lshlrev_b64 v[88:89], 1, v[4:5]
	v_add_co_u32_e64 v2, s[0:1], v7, v2
	v_lshlrev_b64 v[78:79], 1, v[78:79]
	v_mov_b32_e32 v4, v12
	v_addc_co_u32_e64 v3, s[0:1], v48, v3, s[0:1]
	s_or_b64 s[12:13], vcc, s[12:13]
	v_add_co_u32_e32 v88, vcc, v7, v88
	v_add_u32_e32 v76, 0x800, v12
	v_mov_b32_e32 v77, v5
	v_add_co_u32_e64 v78, s[0:1], v7, v78
	v_addc_co_u32_e32 v89, vcc, v48, v89, vcc
	v_lshlrev_b64 v[90:91], 1, v[4:5]
	v_lshlrev_b64 v[76:77], 1, v[76:77]
	v_addc_co_u32_e64 v79, s[0:1], v48, v79, s[0:1]
	v_mov_b32_e32 v4, v13
	v_add_co_u32_e32 v90, vcc, v7, v90
	ds_read_u16 v1, v52
	ds_read_u16 v69, v52 offset:512
	ds_read_u16 v94, v52 offset:1024
	;; [unrolled: 1-line block ×7, first 2 shown]
	v_add_u32_e32 v74, 0x800, v13
	v_mov_b32_e32 v75, v5
	v_add_co_u32_e64 v76, s[0:1], v7, v76
	v_addc_co_u32_e32 v91, vcc, v48, v91, vcc
	v_lshlrev_b64 v[92:93], 1, v[4:5]
	v_lshlrev_b64 v[74:75], 1, v[74:75]
	v_addc_co_u32_e64 v77, s[0:1], v48, v77, s[0:1]
	v_add_u32_e32 v4, 0x400, v10
	v_add_co_u32_e32 v92, vcc, v7, v92
	v_add_u32_e32 v84, 0xc00, v11
	v_mov_b32_e32 v85, v5
	ds_read_u16 v100, v52 offset:4096
	ds_read_u16 v101, v52 offset:4608
	ds_read_u16 v102, v52 offset:5120
	ds_read_u16 v103, v52 offset:5632
	ds_read_u16 v104, v52 offset:6144
	ds_read_u16 v105, v52 offset:6656
	ds_read_u16 v106, v52 offset:7168
	ds_read_u16 v107, v52 offset:7680
	v_add_co_u32_e64 v74, s[0:1], v7, v74
	v_addc_co_u32_e32 v93, vcc, v48, v93, vcc
	s_waitcnt lgkmcnt(14)
	global_store_short v[86:87], v1, off
	global_store_short v[88:89], v69, off
	s_waitcnt lgkmcnt(13)
	global_store_short v[90:91], v94, off
	v_lshlrev_b64 v[86:87], 1, v[4:5]
	v_lshlrev_b64 v[84:85], 1, v[84:85]
	v_addc_co_u32_e64 v75, s[0:1], v48, v75, s[0:1]
	v_add_u32_e32 v4, 0x800, v10
	v_add_co_u32_e32 v86, vcc, v7, v86
	v_add_u32_e32 v82, 0xc00, v12
	v_mov_b32_e32 v83, v5
	v_add_co_u32_e64 v84, s[0:1], v7, v84
	v_addc_co_u32_e32 v87, vcc, v48, v87, vcc
	v_lshlrev_b64 v[88:89], 1, v[4:5]
	v_lshlrev_b64 v[82:83], 1, v[82:83]
	v_addc_co_u32_e64 v85, s[0:1], v48, v85, s[0:1]
	s_waitcnt lgkmcnt(12)
	global_store_short v[92:93], v95, off
	v_add_u32_e32 v4, 0xc00, v10
	s_waitcnt lgkmcnt(11)
	global_store_short v[86:87], v96, off
	s_waitcnt lgkmcnt(10)
	global_store_short v[72:73], v97, off
	;; [unrolled: 2-line block ×4, first 2 shown]
	v_add_co_u32_e32 v2, vcc, v7, v88
	v_add_u32_e32 v80, 0xc00, v13
	v_mov_b32_e32 v81, v5
	v_add_co_u32_e64 v82, s[0:1], v7, v82
	v_addc_co_u32_e32 v3, vcc, v48, v89, vcc
	v_lshlrev_b64 v[70:71], 1, v[4:5]
	v_lshlrev_b64 v[80:81], 1, v[80:81]
	v_addc_co_u32_e64 v83, s[0:1], v48, v83, s[0:1]
	s_waitcnt lgkmcnt(7)
	global_store_short v[2:3], v100, off
	s_waitcnt lgkmcnt(6)
	global_store_short v[78:79], v101, off
	;; [unrolled: 2-line block ×4, first 2 shown]
	v_add_co_u32_e32 v2, vcc, v7, v70
	v_add_u32_e32 v52, 0x2000, v52
	v_add_u32_e32 v11, 0x1000, v11
	v_mov_b32_e32 v53, s14
	v_add_co_u32_e64 v80, s[0:1], v7, v80
	v_add_u32_e32 v12, 0x1000, v12
	v_add_u32_e32 v13, 0x1000, v13
	;; [unrolled: 1-line block ×3, first 2 shown]
	v_addc_co_u32_e32 v3, vcc, v48, v71, vcc
	v_addc_co_u32_e64 v81, s[0:1], v48, v81, s[0:1]
	s_waitcnt lgkmcnt(3)
	global_store_short v[2:3], v104, off
	s_waitcnt lgkmcnt(2)
	global_store_short v[84:85], v105, off
	;; [unrolled: 2-line block ×4, first 2 shown]
	s_andn2_b64 exec, exec, s[12:13]
	s_cbranch_execnz .LBB843_206
; %bb.207:
	s_or_b64 exec, exec, s[12:13]
.LBB843_208:
	s_or_b64 exec, exec, s[10:11]
	v_and_b32_e32 v1, 3, v50
	v_cmp_ne_u32_e32 vcc, 0, v1
	s_and_saveexec_b64 s[10:11], vcc
	s_cbranch_execz .LBB843_211
; %bb.209:
	v_lshl_or_b32 v4, v53, 9, v49
	s_mov_b64 s[12:13], 0
	v_mov_b32_e32 v3, 0
.LBB843_210:                            ; =>This Inner Loop Header: Depth=1
	v_mov_b32_e32 v2, v10
	v_add_u32_e32 v1, -1, v1
	v_lshlrev_b64 v[50:51], 1, v[2:3]
	v_mov_b32_e32 v2, v11
	v_cmp_eq_u32_e32 vcc, 0, v1
	v_lshlrev_b64 v[52:53], 1, v[2:3]
	ds_read_u16 v5, v4
	ds_read_u16 v49, v4 offset:512
	ds_read_u16 v69, v4 offset:1024
	;; [unrolled: 1-line block ×3, first 2 shown]
	v_mov_b32_e32 v2, v12
	s_or_b64 s[12:13], vcc, s[12:13]
	v_add_co_u32_e32 v52, vcc, v7, v52
	v_addc_co_u32_e32 v53, vcc, v48, v53, vcc
	v_lshlrev_b64 v[70:71], 1, v[2:3]
	v_mov_b32_e32 v2, v13
	v_add_co_u32_e32 v70, vcc, v7, v70
	v_add_co_u32_e64 v50, s[0:1], v7, v50
	v_addc_co_u32_e32 v71, vcc, v48, v71, vcc
	v_lshlrev_b64 v[72:73], 1, v[2:3]
	v_add_u32_e32 v10, 0x400, v10
	v_add_u32_e32 v4, 0x800, v4
	;; [unrolled: 1-line block ×3, first 2 shown]
	v_addc_co_u32_e64 v51, s[0:1], v48, v51, s[0:1]
	v_add_u32_e32 v12, 0x400, v12
	v_add_u32_e32 v13, 0x400, v13
	v_add_co_u32_e32 v72, vcc, v7, v72
	v_addc_co_u32_e32 v73, vcc, v48, v73, vcc
	s_waitcnt lgkmcnt(3)
	global_store_short v[50:51], v5, off
	s_waitcnt lgkmcnt(2)
	global_store_short v[52:53], v49, off
	;; [unrolled: 2-line block ×4, first 2 shown]
	s_andn2_b64 exec, exec, s[12:13]
	s_cbranch_execnz .LBB843_210
.LBB843_211:
	s_or_b64 exec, exec, s[10:11]
	v_add_u32_e32 v1, 1, v14
	v_and_b32_e32 v3, 0x1fffffc, v1
	v_cmp_ne_u32_e32 vcc, v1, v3
	v_lshl_or_b32 v2, v3, 8, v0
	s_orn2_b64 s[0:1], vcc, exec
.LBB843_212:
	s_or_b64 exec, exec, s[8:9]
	s_andn2_b64 s[4:5], s[4:5], exec
	s_and_b64 s[0:1], s[0:1], exec
	s_or_b64 s[4:5], s[4:5], s[0:1]
.LBB843_213:
	s_or_b64 exec, exec, s[6:7]
	s_and_b64 exec, exec, s[4:5]
	s_cbranch_execz .LBB843_216
; %bb.214:
	v_lshlrev_b32_e32 v1, 1, v2
	s_mov_b64 s[0:1], 0
	v_mov_b32_e32 v3, 0
.LBB843_215:                            ; =>This Inner Loop Header: Depth=1
	v_lshlrev_b64 v[4:5], 1, v[2:3]
	ds_read_u16 v10, v1
	v_add_co_u32_e32 v4, vcc, v7, v4
	v_add_u32_e32 v2, 0x100, v2
	v_addc_co_u32_e32 v5, vcc, v48, v5, vcc
	v_cmp_ge_u32_e32 vcc, v2, v6
	v_add_u32_e32 v1, 0x200, v1
	s_or_b64 s[0:1], vcc, s[0:1]
	s_waitcnt lgkmcnt(0)
	global_store_short v[4:5], v10, off
	s_andn2_b64 exec, exec, s[0:1]
	s_cbranch_execnz .LBB843_215
.LBB843_216:
	s_or_b64 exec, exec, s[2:3]
.LBB843_217:
	s_cmpk_lg_i32 s33, 0xf00
	s_cselect_b64 s[0:1], -1, 0
	v_cndmask_b32_e64 v1, 0, 1, s[36:37]
	s_and_b64 s[0:1], s[34:35], s[0:1]
	v_cmp_eq_u32_e32 vcc, 0, v0
	v_sub_u32_e32 v3, v6, v1
	v_cndmask_b32_e64 v2, 0, 1, s[0:1]
	s_and_b64 s[0:1], vcc, s[36:37]
	v_add_u32_e32 v7, v3, v2
	v_cndmask_b32_e64 v3, v68, 0, s[0:1]
	s_mul_hi_u32 s0, s33, 0x88888889
	s_lshr_b32 s0, s0, 3
	v_mad_i32_i24 v4, v0, -15, s33
	v_cmp_eq_u32_e32 vcc, s0, v0
	v_cmp_ne_u32_e64 s[0:1], 0, v4
	v_cndmask_b32_e64 v5, 1, v3, s[0:1]
	v_cmp_ne_u32_e64 s[0:1], 1, v4
	v_cndmask_b32_e64 v10, 1, v66, s[0:1]
	;; [unrolled: 2-line block ×15, first 2 shown]
	s_and_b64 vcc, s[34:35], vcc
	v_cndmask_b32_e32 v15, v15, v4, vcc
	v_cndmask_b32_e32 v50, v59, v50, vcc
	;; [unrolled: 1-line block ×3, first 2 shown]
	v_lshlrev_b64 v[4:5], 2, v[16:17]
	v_cndmask_b32_e32 v54, v54, v69, vcc
	v_cndmask_b32_e32 v55, v55, v68, vcc
	;; [unrolled: 1-line block ×12, first 2 shown]
	v_mov_b32_e32 v3, s53
	v_add_co_u32_e32 v10, vcc, s52, v4
	v_addc_co_u32_e32 v3, vcc, v3, v5, vcc
	v_lshlrev_b64 v[4:5], 2, v[8:9]
	v_add_co_u32_e32 v9, vcc, v10, v4
	v_addc_co_u32_e32 v10, vcc, v3, v5, vcc
	v_lshlrev_b32_e32 v3, 2, v1
	v_add_co_u32_e32 v3, vcc, v3, v9
	v_addc_co_u32_e32 v4, vcc, 0, v10, vcc
	v_add_co_u32_e32 v11, vcc, -4, v3
	v_addc_co_u32_e32 v12, vcc, -1, v4, vcc
	v_cmp_eq_u32_e32 vcc, 0, v59
	v_cndmask_b32_e64 v4, 1, 2, vcc
	v_cmp_eq_u32_e32 vcc, 0, v58
	v_cndmask_b32_e64 v5, 1, 2, vcc
	v_cmp_eq_u32_e32 vcc, 0, v57
	v_and_b32_e32 v4, v5, v4
	v_cndmask_b32_e64 v5, 1, 2, vcc
	v_cmp_eq_u32_e32 vcc, 0, v56
	v_and_b32_e32 v4, v4, v5
	;; [unrolled: 3-line block ×13, first 2 shown]
	v_cndmask_b32_e64 v5, 1, 2, vcc
	s_movk_i32 s30, 0x100
	v_and_b32_e32 v4, v4, v5
	v_cmp_gt_u32_e32 vcc, s30, v7
	v_add_u32_e32 v3, v8, v1
	v_cmp_ne_u32_e64 s[28:29], 0, v59
	v_cmp_ne_u32_e64 s[26:27], 0, v58
	;; [unrolled: 1-line block ×15, first 2 shown]
	s_mov_b64 s[36:37], -1
	v_cmp_gt_i16_e64 s[30:31], 2, v4
	s_barrier
	s_cbranch_vccz .LBB843_254
; %bb.218:
	s_and_saveexec_b64 s[36:37], s[30:31]
	s_cbranch_execz .LBB843_253
; %bb.219:
	v_cmp_ne_u16_e32 vcc, 1, v4
	s_mov_b64 s[38:39], 0
	s_and_saveexec_b64 s[30:31], vcc
	s_xor_b64 s[30:31], exec, s[30:31]
	s_cbranch_execz .LBB843_234
; %bb.220:
	s_and_saveexec_b64 s[38:39], s[28:29]
	s_cbranch_execz .LBB843_236
; %bb.221:
	v_sub_u32_e32 v14, v46, v3
	v_mov_b32_e32 v15, 0
	v_lshlrev_b64 v[14:15], 2, v[14:15]
	v_add_co_u32_e32 v14, vcc, v11, v14
	v_addc_co_u32_e32 v15, vcc, v12, v15, vcc
	global_store_dword v[14:15], v47, off
	s_or_b64 exec, exec, s[38:39]
	s_and_saveexec_b64 s[38:39], s[26:27]
	s_cbranch_execnz .LBB843_237
.LBB843_222:
	s_or_b64 exec, exec, s[38:39]
	s_and_saveexec_b64 s[38:39], s[24:25]
	s_cbranch_execz .LBB843_238
.LBB843_223:
	v_sub_u32_e32 v14, v42, v3
	v_mov_b32_e32 v15, 0
	v_lshlrev_b64 v[14:15], 2, v[14:15]
	v_add_co_u32_e32 v14, vcc, v11, v14
	v_addc_co_u32_e32 v15, vcc, v12, v15, vcc
	global_store_dword v[14:15], v43, off
	s_or_b64 exec, exec, s[38:39]
	s_and_saveexec_b64 s[38:39], s[22:23]
	s_cbranch_execnz .LBB843_239
.LBB843_224:
	s_or_b64 exec, exec, s[38:39]
	s_and_saveexec_b64 s[38:39], s[20:21]
	s_cbranch_execz .LBB843_240
.LBB843_225:
	v_sub_u32_e32 v14, v38, v3
	v_mov_b32_e32 v15, 0
	v_lshlrev_b64 v[14:15], 2, v[14:15]
	v_add_co_u32_e32 v14, vcc, v11, v14
	v_addc_co_u32_e32 v15, vcc, v12, v15, vcc
	global_store_dword v[14:15], v39, off
	s_or_b64 exec, exec, s[38:39]
	s_and_saveexec_b64 s[38:39], s[18:19]
	s_cbranch_execnz .LBB843_241
.LBB843_226:
	s_or_b64 exec, exec, s[38:39]
	s_and_saveexec_b64 s[38:39], s[16:17]
	s_cbranch_execz .LBB843_242
.LBB843_227:
	v_sub_u32_e32 v14, v34, v3
	v_mov_b32_e32 v15, 0
	v_lshlrev_b64 v[14:15], 2, v[14:15]
	v_add_co_u32_e32 v14, vcc, v11, v14
	v_addc_co_u32_e32 v15, vcc, v12, v15, vcc
	global_store_dword v[14:15], v35, off
	s_or_b64 exec, exec, s[38:39]
	s_and_saveexec_b64 s[38:39], s[14:15]
	s_cbranch_execnz .LBB843_243
.LBB843_228:
	s_or_b64 exec, exec, s[38:39]
	s_and_saveexec_b64 s[38:39], s[12:13]
	s_cbranch_execz .LBB843_244
.LBB843_229:
	v_sub_u32_e32 v14, v30, v3
	v_mov_b32_e32 v15, 0
	v_lshlrev_b64 v[14:15], 2, v[14:15]
	v_add_co_u32_e32 v14, vcc, v11, v14
	v_addc_co_u32_e32 v15, vcc, v12, v15, vcc
	global_store_dword v[14:15], v31, off
	s_or_b64 exec, exec, s[38:39]
	s_and_saveexec_b64 s[38:39], s[10:11]
	s_cbranch_execnz .LBB843_245
.LBB843_230:
	s_or_b64 exec, exec, s[38:39]
	s_and_saveexec_b64 s[38:39], s[8:9]
	s_cbranch_execz .LBB843_246
.LBB843_231:
	v_sub_u32_e32 v14, v26, v3
	v_mov_b32_e32 v15, 0
	v_lshlrev_b64 v[14:15], 2, v[14:15]
	v_add_co_u32_e32 v14, vcc, v11, v14
	v_addc_co_u32_e32 v15, vcc, v12, v15, vcc
	global_store_dword v[14:15], v27, off
	s_or_b64 exec, exec, s[38:39]
	s_and_saveexec_b64 s[38:39], s[6:7]
	s_cbranch_execnz .LBB843_247
.LBB843_232:
	s_or_b64 exec, exec, s[38:39]
	s_and_saveexec_b64 s[38:39], s[4:5]
	s_cbranch_execz .LBB843_248
.LBB843_233:
	v_sub_u32_e32 v14, v22, v3
	v_mov_b32_e32 v15, 0
	v_lshlrev_b64 v[14:15], 2, v[14:15]
	v_add_co_u32_e32 v14, vcc, v11, v14
	v_addc_co_u32_e32 v15, vcc, v12, v15, vcc
	global_store_dword v[14:15], v23, off
	s_or_b64 exec, exec, s[38:39]
	s_and_saveexec_b64 s[38:39], s[2:3]
	s_cbranch_execnz .LBB843_249
	s_branch .LBB843_250
.LBB843_234:
	s_andn2_saveexec_b64 s[30:31], s[30:31]
	s_cbranch_execz .LBB843_251
.LBB843_235:
	v_sub_u32_e32 v14, v46, v3
	v_mov_b32_e32 v15, 0
	v_lshlrev_b64 v[48:49], 2, v[14:15]
	v_add_co_u32_e32 v48, vcc, v11, v48
	v_addc_co_u32_e32 v49, vcc, v12, v49, vcc
	v_sub_u32_e32 v14, v44, v3
	global_store_dword v[48:49], v47, off
	v_lshlrev_b64 v[48:49], 2, v[14:15]
	v_add_co_u32_e32 v48, vcc, v11, v48
	v_addc_co_u32_e32 v49, vcc, v12, v49, vcc
	v_sub_u32_e32 v14, v42, v3
	global_store_dword v[48:49], v45, off
	;; [unrolled: 5-line block ×12, first 2 shown]
	v_lshlrev_b64 v[48:49], 2, v[14:15]
	v_add_co_u32_e32 v48, vcc, v11, v48
	v_sub_u32_e32 v14, v20, v3
	v_addc_co_u32_e32 v49, vcc, v12, v49, vcc
	v_lshlrev_b64 v[14:15], 2, v[14:15]
	v_add_co_u32_e32 v14, vcc, v11, v14
	v_addc_co_u32_e32 v15, vcc, v12, v15, vcc
	s_or_b64 s[38:39], s[38:39], exec
	global_store_dword v[48:49], v23, off
	global_store_dword v[14:15], v21, off
	s_or_b64 exec, exec, s[30:31]
	s_and_b64 exec, exec, s[38:39]
	s_cbranch_execnz .LBB843_252
	s_branch .LBB843_253
.LBB843_236:
	s_or_b64 exec, exec, s[38:39]
	s_and_saveexec_b64 s[38:39], s[26:27]
	s_cbranch_execz .LBB843_222
.LBB843_237:
	v_sub_u32_e32 v14, v44, v3
	v_mov_b32_e32 v15, 0
	v_lshlrev_b64 v[14:15], 2, v[14:15]
	v_add_co_u32_e32 v14, vcc, v11, v14
	v_addc_co_u32_e32 v15, vcc, v12, v15, vcc
	global_store_dword v[14:15], v45, off
	s_or_b64 exec, exec, s[38:39]
	s_and_saveexec_b64 s[38:39], s[24:25]
	s_cbranch_execnz .LBB843_223
.LBB843_238:
	s_or_b64 exec, exec, s[38:39]
	s_and_saveexec_b64 s[38:39], s[22:23]
	s_cbranch_execz .LBB843_224
.LBB843_239:
	v_sub_u32_e32 v14, v40, v3
	v_mov_b32_e32 v15, 0
	v_lshlrev_b64 v[14:15], 2, v[14:15]
	v_add_co_u32_e32 v14, vcc, v11, v14
	v_addc_co_u32_e32 v15, vcc, v12, v15, vcc
	global_store_dword v[14:15], v41, off
	s_or_b64 exec, exec, s[38:39]
	s_and_saveexec_b64 s[38:39], s[20:21]
	s_cbranch_execnz .LBB843_225
.LBB843_240:
	s_or_b64 exec, exec, s[38:39]
	s_and_saveexec_b64 s[38:39], s[18:19]
	s_cbranch_execz .LBB843_226
.LBB843_241:
	v_sub_u32_e32 v14, v36, v3
	v_mov_b32_e32 v15, 0
	v_lshlrev_b64 v[14:15], 2, v[14:15]
	v_add_co_u32_e32 v14, vcc, v11, v14
	v_addc_co_u32_e32 v15, vcc, v12, v15, vcc
	global_store_dword v[14:15], v37, off
	s_or_b64 exec, exec, s[38:39]
	s_and_saveexec_b64 s[38:39], s[16:17]
	s_cbranch_execnz .LBB843_227
.LBB843_242:
	s_or_b64 exec, exec, s[38:39]
	s_and_saveexec_b64 s[38:39], s[14:15]
	s_cbranch_execz .LBB843_228
.LBB843_243:
	v_sub_u32_e32 v14, v32, v3
	v_mov_b32_e32 v15, 0
	v_lshlrev_b64 v[14:15], 2, v[14:15]
	v_add_co_u32_e32 v14, vcc, v11, v14
	v_addc_co_u32_e32 v15, vcc, v12, v15, vcc
	global_store_dword v[14:15], v33, off
	s_or_b64 exec, exec, s[38:39]
	s_and_saveexec_b64 s[38:39], s[12:13]
	s_cbranch_execnz .LBB843_229
.LBB843_244:
	s_or_b64 exec, exec, s[38:39]
	s_and_saveexec_b64 s[38:39], s[10:11]
	s_cbranch_execz .LBB843_230
.LBB843_245:
	v_sub_u32_e32 v14, v28, v3
	v_mov_b32_e32 v15, 0
	v_lshlrev_b64 v[14:15], 2, v[14:15]
	v_add_co_u32_e32 v14, vcc, v11, v14
	v_addc_co_u32_e32 v15, vcc, v12, v15, vcc
	global_store_dword v[14:15], v29, off
	s_or_b64 exec, exec, s[38:39]
	s_and_saveexec_b64 s[38:39], s[8:9]
	s_cbranch_execnz .LBB843_231
.LBB843_246:
	s_or_b64 exec, exec, s[38:39]
	s_and_saveexec_b64 s[38:39], s[6:7]
	s_cbranch_execz .LBB843_232
.LBB843_247:
	v_sub_u32_e32 v14, v24, v3
	v_mov_b32_e32 v15, 0
	v_lshlrev_b64 v[14:15], 2, v[14:15]
	v_add_co_u32_e32 v14, vcc, v11, v14
	v_addc_co_u32_e32 v15, vcc, v12, v15, vcc
	global_store_dword v[14:15], v25, off
	s_or_b64 exec, exec, s[38:39]
	s_and_saveexec_b64 s[38:39], s[4:5]
	s_cbranch_execnz .LBB843_233
.LBB843_248:
	s_or_b64 exec, exec, s[38:39]
	s_and_saveexec_b64 s[38:39], s[2:3]
	s_cbranch_execz .LBB843_250
.LBB843_249:
	v_sub_u32_e32 v14, v20, v3
	v_mov_b32_e32 v15, 0
	v_lshlrev_b64 v[14:15], 2, v[14:15]
	v_add_co_u32_e32 v14, vcc, v11, v14
	v_addc_co_u32_e32 v15, vcc, v12, v15, vcc
	global_store_dword v[14:15], v21, off
.LBB843_250:
	s_or_b64 exec, exec, s[38:39]
	s_and_b64 s[38:39], s[0:1], exec
	s_andn2_saveexec_b64 s[30:31], s[30:31]
	s_cbranch_execnz .LBB843_235
.LBB843_251:
	s_or_b64 exec, exec, s[30:31]
	s_and_b64 exec, exec, s[38:39]
	s_cbranch_execz .LBB843_253
.LBB843_252:
	v_sub_u32_e32 v14, v18, v3
	v_mov_b32_e32 v15, 0
	v_lshlrev_b64 v[14:15], 2, v[14:15]
	v_add_co_u32_e32 v14, vcc, v11, v14
	v_addc_co_u32_e32 v15, vcc, v12, v15, vcc
	global_store_dword v[14:15], v19, off
.LBB843_253:
	s_or_b64 exec, exec, s[36:37]
	s_mov_b64 s[36:37], 0
.LBB843_254:
	s_and_b64 vcc, exec, s[36:37]
	s_cbranch_vccz .LBB843_306
; %bb.255:
	v_cmp_gt_i16_e32 vcc, 2, v4
	s_and_saveexec_b64 s[30:31], vcc
	s_cbranch_execz .LBB843_290
; %bb.256:
	v_cmp_ne_u16_e32 vcc, 1, v4
	s_mov_b64 s[38:39], 0
	s_and_saveexec_b64 s[36:37], vcc
	s_xor_b64 s[36:37], exec, s[36:37]
	s_cbranch_execz .LBB843_271
; %bb.257:
	s_and_saveexec_b64 s[38:39], s[28:29]
	s_cbranch_execz .LBB843_273
; %bb.258:
	v_sub_u32_e32 v4, v46, v3
	v_lshlrev_b32_e32 v4, 2, v4
	ds_write_b32 v4, v47
	s_or_b64 exec, exec, s[38:39]
	s_and_saveexec_b64 s[28:29], s[26:27]
	s_cbranch_execnz .LBB843_274
.LBB843_259:
	s_or_b64 exec, exec, s[28:29]
	s_and_saveexec_b64 s[26:27], s[24:25]
	s_cbranch_execz .LBB843_275
.LBB843_260:
	v_sub_u32_e32 v4, v42, v3
	v_lshlrev_b32_e32 v4, 2, v4
	ds_write_b32 v4, v43
	s_or_b64 exec, exec, s[26:27]
	s_and_saveexec_b64 s[24:25], s[22:23]
	s_cbranch_execnz .LBB843_276
.LBB843_261:
	s_or_b64 exec, exec, s[24:25]
	s_and_saveexec_b64 s[22:23], s[20:21]
	s_cbranch_execz .LBB843_277
.LBB843_262:
	v_sub_u32_e32 v4, v38, v3
	v_lshlrev_b32_e32 v4, 2, v4
	ds_write_b32 v4, v39
	s_or_b64 exec, exec, s[22:23]
	s_and_saveexec_b64 s[20:21], s[18:19]
	s_cbranch_execnz .LBB843_278
.LBB843_263:
	s_or_b64 exec, exec, s[20:21]
	s_and_saveexec_b64 s[18:19], s[16:17]
	s_cbranch_execz .LBB843_279
.LBB843_264:
	v_sub_u32_e32 v4, v34, v3
	v_lshlrev_b32_e32 v4, 2, v4
	ds_write_b32 v4, v35
	s_or_b64 exec, exec, s[18:19]
	s_and_saveexec_b64 s[16:17], s[14:15]
	s_cbranch_execnz .LBB843_280
.LBB843_265:
	s_or_b64 exec, exec, s[16:17]
	s_and_saveexec_b64 s[14:15], s[12:13]
	s_cbranch_execz .LBB843_281
.LBB843_266:
	v_sub_u32_e32 v4, v30, v3
	v_lshlrev_b32_e32 v4, 2, v4
	ds_write_b32 v4, v31
	s_or_b64 exec, exec, s[14:15]
	s_and_saveexec_b64 s[12:13], s[10:11]
	s_cbranch_execnz .LBB843_282
.LBB843_267:
	s_or_b64 exec, exec, s[12:13]
	s_and_saveexec_b64 s[10:11], s[8:9]
	s_cbranch_execz .LBB843_283
.LBB843_268:
	v_sub_u32_e32 v4, v26, v3
	v_lshlrev_b32_e32 v4, 2, v4
	ds_write_b32 v4, v27
	s_or_b64 exec, exec, s[10:11]
	s_and_saveexec_b64 s[8:9], s[6:7]
	s_cbranch_execnz .LBB843_284
.LBB843_269:
	s_or_b64 exec, exec, s[8:9]
	s_and_saveexec_b64 s[6:7], s[4:5]
	s_cbranch_execz .LBB843_285
.LBB843_270:
	v_sub_u32_e32 v4, v22, v3
	v_lshlrev_b32_e32 v4, 2, v4
	ds_write_b32 v4, v23
	s_or_b64 exec, exec, s[6:7]
	s_and_saveexec_b64 s[4:5], s[2:3]
	s_cbranch_execnz .LBB843_286
	s_branch .LBB843_287
.LBB843_271:
	s_andn2_saveexec_b64 s[0:1], s[36:37]
	s_cbranch_execz .LBB843_288
.LBB843_272:
	v_sub_u32_e32 v4, v46, v3
	v_lshlrev_b32_e32 v4, 2, v4
	ds_write_b32 v4, v47
	v_sub_u32_e32 v4, v44, v3
	v_lshlrev_b32_e32 v4, 2, v4
	ds_write_b32 v4, v45
	;; [unrolled: 3-line block ×13, first 2 shown]
	v_sub_u32_e32 v4, v20, v3
	v_lshlrev_b32_e32 v4, 2, v4
	s_or_b64 s[38:39], s[38:39], exec
	ds_write_b32 v4, v21
	s_or_b64 exec, exec, s[0:1]
	s_and_b64 exec, exec, s[38:39]
	s_cbranch_execnz .LBB843_289
	s_branch .LBB843_290
.LBB843_273:
	s_or_b64 exec, exec, s[38:39]
	s_and_saveexec_b64 s[28:29], s[26:27]
	s_cbranch_execz .LBB843_259
.LBB843_274:
	v_sub_u32_e32 v4, v44, v3
	v_lshlrev_b32_e32 v4, 2, v4
	ds_write_b32 v4, v45
	s_or_b64 exec, exec, s[28:29]
	s_and_saveexec_b64 s[26:27], s[24:25]
	s_cbranch_execnz .LBB843_260
.LBB843_275:
	s_or_b64 exec, exec, s[26:27]
	s_and_saveexec_b64 s[24:25], s[22:23]
	s_cbranch_execz .LBB843_261
.LBB843_276:
	v_sub_u32_e32 v4, v40, v3
	v_lshlrev_b32_e32 v4, 2, v4
	ds_write_b32 v4, v41
	s_or_b64 exec, exec, s[24:25]
	s_and_saveexec_b64 s[22:23], s[20:21]
	s_cbranch_execnz .LBB843_262
.LBB843_277:
	s_or_b64 exec, exec, s[22:23]
	s_and_saveexec_b64 s[20:21], s[18:19]
	s_cbranch_execz .LBB843_263
.LBB843_278:
	v_sub_u32_e32 v4, v36, v3
	v_lshlrev_b32_e32 v4, 2, v4
	ds_write_b32 v4, v37
	s_or_b64 exec, exec, s[20:21]
	s_and_saveexec_b64 s[18:19], s[16:17]
	s_cbranch_execnz .LBB843_264
.LBB843_279:
	s_or_b64 exec, exec, s[18:19]
	s_and_saveexec_b64 s[16:17], s[14:15]
	s_cbranch_execz .LBB843_265
.LBB843_280:
	v_sub_u32_e32 v4, v32, v3
	v_lshlrev_b32_e32 v4, 2, v4
	ds_write_b32 v4, v33
	s_or_b64 exec, exec, s[16:17]
	s_and_saveexec_b64 s[14:15], s[12:13]
	s_cbranch_execnz .LBB843_266
.LBB843_281:
	s_or_b64 exec, exec, s[14:15]
	s_and_saveexec_b64 s[12:13], s[10:11]
	s_cbranch_execz .LBB843_267
.LBB843_282:
	v_sub_u32_e32 v4, v28, v3
	v_lshlrev_b32_e32 v4, 2, v4
	ds_write_b32 v4, v29
	s_or_b64 exec, exec, s[12:13]
	s_and_saveexec_b64 s[10:11], s[8:9]
	s_cbranch_execnz .LBB843_268
.LBB843_283:
	s_or_b64 exec, exec, s[10:11]
	s_and_saveexec_b64 s[8:9], s[6:7]
	s_cbranch_execz .LBB843_269
.LBB843_284:
	v_sub_u32_e32 v4, v24, v3
	v_lshlrev_b32_e32 v4, 2, v4
	ds_write_b32 v4, v25
	s_or_b64 exec, exec, s[8:9]
	s_and_saveexec_b64 s[6:7], s[4:5]
	s_cbranch_execnz .LBB843_270
.LBB843_285:
	s_or_b64 exec, exec, s[6:7]
	s_and_saveexec_b64 s[4:5], s[2:3]
	s_cbranch_execz .LBB843_287
.LBB843_286:
	v_sub_u32_e32 v4, v20, v3
	v_lshlrev_b32_e32 v4, 2, v4
	ds_write_b32 v4, v21
.LBB843_287:
	s_or_b64 exec, exec, s[4:5]
	s_and_b64 s[38:39], s[0:1], exec
                                        ; implicit-def: $vgpr46_vgpr47
                                        ; implicit-def: $vgpr44_vgpr45
                                        ; implicit-def: $vgpr42_vgpr43
                                        ; implicit-def: $vgpr40_vgpr41
                                        ; implicit-def: $vgpr38_vgpr39
                                        ; implicit-def: $vgpr36_vgpr37
                                        ; implicit-def: $vgpr34_vgpr35
                                        ; implicit-def: $vgpr32_vgpr33
                                        ; implicit-def: $vgpr30_vgpr31
                                        ; implicit-def: $vgpr28_vgpr29
                                        ; implicit-def: $vgpr26_vgpr27
                                        ; implicit-def: $vgpr24_vgpr25
                                        ; implicit-def: $vgpr22_vgpr23
                                        ; implicit-def: $vgpr20_vgpr21
	s_andn2_saveexec_b64 s[0:1], s[36:37]
	s_cbranch_execnz .LBB843_272
.LBB843_288:
	s_or_b64 exec, exec, s[0:1]
	s_and_b64 exec, exec, s[38:39]
	s_cbranch_execz .LBB843_290
.LBB843_289:
	v_sub_u32_e32 v3, v18, v3
	v_lshlrev_b32_e32 v3, 2, v3
	ds_write_b32 v3, v19
.LBB843_290:
	s_or_b64 exec, exec, s[30:31]
	v_cmp_lt_u32_e32 vcc, v0, v7
	s_waitcnt lgkmcnt(0)
	s_barrier
	s_and_saveexec_b64 s[2:3], vcc
	s_cbranch_execz .LBB843_305
; %bb.291:
	v_add_u32_e32 v4, v6, v2
	v_xad_u32 v2, v0, -1, v4
	v_sub_u32_e32 v3, v2, v1
	s_movk_i32 s0, 0x1900
	v_cmp_gt_u32_e64 s[4:5], s0, v3
	s_movk_i32 s0, 0x18ff
	v_cmp_lt_u32_e32 vcc, s0, v3
	v_mov_b32_e32 v2, v0
	s_and_saveexec_b64 s[6:7], vcc
	s_cbranch_execz .LBB843_302
; %bb.292:
	v_sub_u32_e32 v2, v0, v4
	v_add_u32_e32 v1, v2, v1
	v_or_b32_e32 v1, 0xff, v1
	v_cmp_ge_u32_e32 vcc, v1, v0
	s_mov_b64 s[0:1], -1
	v_mov_b32_e32 v2, v0
	s_and_saveexec_b64 s[8:9], vcc
	s_cbranch_execz .LBB843_301
; %bb.293:
	v_lshrrev_b32_e32 v13, 8, v3
	v_add_u32_e32 v2, -1, v13
	v_or_b32_e32 v1, 0x100, v0
	v_lshrrev_b32_e32 v3, 1, v2
	v_add_u32_e32 v15, 1, v3
	v_cmp_lt_u32_e32 vcc, 13, v2
	v_mov_b32_e32 v20, 0
	v_lshlrev_b32_e32 v14, 2, v0
	v_pk_mov_b32 v[2:3], v[0:1], v[0:1] op_sel:[0,1]
	s_and_saveexec_b64 s[10:11], vcc
	s_cbranch_execz .LBB843_297
; %bb.294:
	v_and_b32_e32 v18, -8, v15
	s_mov_b32 s14, 0
	s_mov_b64 s[12:13], 0
	v_mov_b32_e32 v5, 0
	v_mov_b32_e32 v19, v14
	v_pk_mov_b32 v[2:3], v[0:1], v[0:1] op_sel:[0,1]
.LBB843_295:                            ; =>This Inner Loop Header: Depth=1
	v_mov_b32_e32 v4, v2
	v_add_u32_e32 v18, -8, v18
	v_lshlrev_b64 v[50:51], 2, v[4:5]
	v_mov_b32_e32 v4, v3
	ds_read2st64_b32 v[22:23], v19 offset1:4
	s_add_i32 s14, s14, 16
	v_cmp_eq_u32_e32 vcc, 0, v18
	v_lshlrev_b64 v[54:55], 2, v[4:5]
	v_add_u32_e32 v4, 0x200, v2
	s_or_b64 s[12:13], vcc, s[12:13]
	v_add_co_u32_e32 v54, vcc, v11, v54
	v_add_u32_e32 v20, 0x200, v3
	v_mov_b32_e32 v21, v5
	ds_read2st64_b32 v[24:25], v19 offset0:8 offset1:12
	ds_read2st64_b32 v[28:29], v19 offset0:16 offset1:20
	v_add_co_u32_e64 v50, s[0:1], v11, v50
	v_addc_co_u32_e32 v55, vcc, v12, v55, vcc
	v_lshlrev_b64 v[56:57], 2, v[4:5]
	v_lshlrev_b64 v[52:53], 2, v[20:21]
	v_addc_co_u32_e64 v51, s[0:1], v12, v51, s[0:1]
	v_add_u32_e32 v4, 0x400, v2
	v_add_co_u32_e32 v56, vcc, v11, v56
	v_add_u32_e32 v26, 0x400, v3
	v_mov_b32_e32 v27, v5
	ds_read2st64_b32 v[32:33], v19 offset0:24 offset1:28
	v_add_co_u32_e64 v52, s[0:1], v11, v52
	v_addc_co_u32_e32 v57, vcc, v12, v57, vcc
	v_lshlrev_b64 v[58:59], 2, v[4:5]
	ds_read2st64_b32 v[36:37], v19 offset0:32 offset1:36
	ds_read2st64_b32 v[40:41], v19 offset0:40 offset1:44
	;; [unrolled: 1-line block ×4, first 2 shown]
	v_lshlrev_b64 v[26:27], 2, v[26:27]
	v_addc_co_u32_e64 v53, s[0:1], v12, v53, s[0:1]
	v_add_u32_e32 v4, 0x600, v2
	s_waitcnt lgkmcnt(7)
	global_store_dword v[50:51], v22, off
	global_store_dword v[54:55], v23, off
	s_waitcnt lgkmcnt(6)
	global_store_dword v[56:57], v24, off
	global_store_dword v[52:53], v25, off
	v_add_co_u32_e32 v22, vcc, v11, v58
	v_add_u32_e32 v30, 0x600, v3
	v_mov_b32_e32 v31, v5
	v_add_co_u32_e64 v26, s[0:1], v11, v26
	v_addc_co_u32_e32 v23, vcc, v12, v59, vcc
	v_lshlrev_b64 v[24:25], 2, v[4:5]
	v_lshlrev_b64 v[30:31], 2, v[30:31]
	v_addc_co_u32_e64 v27, s[0:1], v12, v27, s[0:1]
	v_add_u32_e32 v4, 0x800, v2
	s_waitcnt lgkmcnt(5)
	global_store_dword v[22:23], v28, off
	global_store_dword v[26:27], v29, off
	v_add_co_u32_e32 v22, vcc, v11, v24
	v_add_u32_e32 v34, 0x800, v3
	v_mov_b32_e32 v35, v5
	v_add_co_u32_e64 v30, s[0:1], v11, v30
	v_addc_co_u32_e32 v23, vcc, v12, v25, vcc
	v_lshlrev_b64 v[24:25], 2, v[4:5]
	v_lshlrev_b64 v[34:35], 2, v[34:35]
	v_addc_co_u32_e64 v31, s[0:1], v12, v31, s[0:1]
	v_add_u32_e32 v4, 0xa00, v2
	;; [unrolled: 12-line block ×4, first 2 shown]
	s_waitcnt lgkmcnt(2)
	global_store_dword v[22:23], v40, off
	global_store_dword v[38:39], v41, off
	v_add_co_u32_e32 v22, vcc, v11, v24
	v_add_u32_e32 v46, 0xe00, v3
	v_mov_b32_e32 v47, v5
	v_add_co_u32_e64 v42, s[0:1], v11, v42
	v_addc_co_u32_e32 v23, vcc, v12, v25, vcc
	v_lshlrev_b64 v[24:25], 2, v[4:5]
	v_lshlrev_b64 v[46:47], 2, v[46:47]
	v_addc_co_u32_e64 v43, s[0:1], v12, v43, s[0:1]
	s_waitcnt lgkmcnt(1)
	global_store_dword v[22:23], v44, off
	global_store_dword v[42:43], v45, off
	v_add_co_u32_e32 v22, vcc, v11, v24
	v_add_u32_e32 v19, 0x4000, v19
	v_add_u32_e32 v3, 0x1000, v3
	v_mov_b32_e32 v20, s14
	v_add_co_u32_e64 v46, s[0:1], v11, v46
	v_add_u32_e32 v2, 0x1000, v2
	v_addc_co_u32_e32 v23, vcc, v12, v25, vcc
	v_addc_co_u32_e64 v47, s[0:1], v12, v47, s[0:1]
	s_waitcnt lgkmcnt(0)
	global_store_dword v[22:23], v48, off
	global_store_dword v[46:47], v49, off
	s_andn2_b64 exec, exec, s[12:13]
	s_cbranch_execnz .LBB843_295
; %bb.296:
	s_or_b64 exec, exec, s[12:13]
.LBB843_297:
	s_or_b64 exec, exec, s[10:11]
	v_and_b32_e32 v1, 7, v15
	v_cmp_ne_u32_e32 vcc, 0, v1
	s_and_saveexec_b64 s[10:11], vcc
	s_cbranch_execz .LBB843_300
; %bb.298:
	v_lshl_or_b32 v14, v20, 10, v14
	s_mov_b64 s[12:13], 0
	v_mov_b32_e32 v5, 0
.LBB843_299:                            ; =>This Inner Loop Header: Depth=1
	ds_read2st64_b32 v[18:19], v14 offset1:4
	v_mov_b32_e32 v4, v2
	v_add_u32_e32 v1, -1, v1
	v_lshlrev_b64 v[20:21], 2, v[4:5]
	v_mov_b32_e32 v4, v3
	v_cmp_eq_u32_e32 vcc, 0, v1
	v_add_co_u32_e64 v20, s[0:1], v11, v20
	v_lshlrev_b64 v[22:23], 2, v[4:5]
	v_add_u32_e32 v2, 0x200, v2
	v_add_u32_e32 v14, 0x800, v14
	;; [unrolled: 1-line block ×3, first 2 shown]
	v_addc_co_u32_e64 v21, s[0:1], v12, v21, s[0:1]
	s_or_b64 s[12:13], vcc, s[12:13]
	v_add_co_u32_e32 v22, vcc, v11, v22
	v_addc_co_u32_e32 v23, vcc, v12, v23, vcc
	s_waitcnt lgkmcnt(0)
	global_store_dword v[20:21], v18, off
	global_store_dword v[22:23], v19, off
	s_andn2_b64 exec, exec, s[12:13]
	s_cbranch_execnz .LBB843_299
.LBB843_300:
	s_or_b64 exec, exec, s[10:11]
	v_add_u32_e32 v1, 1, v13
	v_and_b32_e32 v3, 0x1fffffe, v1
	v_cmp_ne_u32_e32 vcc, v1, v3
	v_lshl_or_b32 v2, v3, 8, v0
	s_orn2_b64 s[0:1], vcc, exec
.LBB843_301:
	s_or_b64 exec, exec, s[8:9]
	s_andn2_b64 s[4:5], s[4:5], exec
	s_and_b64 s[0:1], s[0:1], exec
	s_or_b64 s[4:5], s[4:5], s[0:1]
.LBB843_302:
	s_or_b64 exec, exec, s[6:7]
	s_and_b64 exec, exec, s[4:5]
	s_cbranch_execz .LBB843_305
; %bb.303:
	v_lshlrev_b32_e32 v1, 2, v2
	s_mov_b64 s[0:1], 0
	v_mov_b32_e32 v3, 0
.LBB843_304:                            ; =>This Inner Loop Header: Depth=1
	v_lshlrev_b64 v[4:5], 2, v[2:3]
	ds_read_b32 v13, v1
	v_add_co_u32_e32 v4, vcc, v11, v4
	v_add_u32_e32 v2, 0x100, v2
	v_addc_co_u32_e32 v5, vcc, v12, v5, vcc
	v_cmp_ge_u32_e32 vcc, v2, v7
	v_add_u32_e32 v1, 0x400, v1
	s_or_b64 s[0:1], vcc, s[0:1]
	s_waitcnt lgkmcnt(0)
	global_store_dword v[4:5], v13, off
	s_andn2_b64 exec, exec, s[0:1]
	s_cbranch_execnz .LBB843_304
.LBB843_305:
	s_or_b64 exec, exec, s[2:3]
.LBB843_306:
	s_movk_i32 s0, 0xff
	v_cmp_eq_u32_e32 vcc, s0, v0
	s_and_b64 s[0:1], vcc, s[34:35]
	s_and_saveexec_b64 s[2:3], s[0:1]
	s_cbranch_execz .LBB843_309
; %bb.307:
	v_add_co_u32_e32 v0, vcc, v6, v8
	v_addc_co_u32_e64 v1, s[0:1], 0, 0, vcc
	v_add_co_u32_e32 v0, vcc, v0, v16
	v_mov_b32_e32 v7, 0
	v_addc_co_u32_e32 v1, vcc, v1, v17, vcc
	s_cmpk_lg_i32 s33, 0xf00
	global_store_dwordx2 v7, v[0:1], s[54:55]
	s_cbranch_scc1 .LBB843_309
; %bb.308:
	v_lshlrev_b64 v[0:1], 2, v[6:7]
	v_add_co_u32_e32 v0, vcc, v9, v0
	v_addc_co_u32_e32 v1, vcc, v10, v1, vcc
	global_store_dword v[0:1], v67, off offset:-4
.LBB843_309:
	s_endpgm
	.section	.rodata,"a",@progbits
	.p2align	6, 0x0
	.amdhsa_kernel _ZN7rocprim17ROCPRIM_400000_NS6detail17trampoline_kernelINS0_14default_configENS1_29reduce_by_key_config_selectorIsjN6thrust23THRUST_200600_302600_NS4plusIjEEEEZZNS1_33reduce_by_key_impl_wrapped_configILNS1_25lookback_scan_determinismE0ES3_S9_NS6_6detail15normal_iteratorINS6_10device_ptrIsEEEENSD_INSE_IjEEEESG_SI_PmS8_NS6_8equal_toIsEEEE10hipError_tPvRmT2_T3_mT4_T5_T6_T7_T8_P12ihipStream_tbENKUlT_T0_E_clISt17integral_constantIbLb0EES13_EEDaSY_SZ_EUlSY_E_NS1_11comp_targetILNS1_3genE4ELNS1_11target_archE910ELNS1_3gpuE8ELNS1_3repE0EEENS1_30default_config_static_selectorELNS0_4arch9wavefront6targetE1EEEvT1_
		.amdhsa_group_segment_fixed_size 15360
		.amdhsa_private_segment_fixed_size 0
		.amdhsa_kernarg_size 120
		.amdhsa_user_sgpr_count 6
		.amdhsa_user_sgpr_private_segment_buffer 1
		.amdhsa_user_sgpr_dispatch_ptr 0
		.amdhsa_user_sgpr_queue_ptr 0
		.amdhsa_user_sgpr_kernarg_segment_ptr 1
		.amdhsa_user_sgpr_dispatch_id 0
		.amdhsa_user_sgpr_flat_scratch_init 0
		.amdhsa_user_sgpr_kernarg_preload_length 0
		.amdhsa_user_sgpr_kernarg_preload_offset 0
		.amdhsa_user_sgpr_private_segment_size 0
		.amdhsa_uses_dynamic_stack 0
		.amdhsa_system_sgpr_private_segment_wavefront_offset 0
		.amdhsa_system_sgpr_workgroup_id_x 1
		.amdhsa_system_sgpr_workgroup_id_y 0
		.amdhsa_system_sgpr_workgroup_id_z 0
		.amdhsa_system_sgpr_workgroup_info 0
		.amdhsa_system_vgpr_workitem_id 0
		.amdhsa_next_free_vgpr 108
		.amdhsa_next_free_sgpr 64
		.amdhsa_accum_offset 108
		.amdhsa_reserve_vcc 1
		.amdhsa_reserve_flat_scratch 0
		.amdhsa_float_round_mode_32 0
		.amdhsa_float_round_mode_16_64 0
		.amdhsa_float_denorm_mode_32 3
		.amdhsa_float_denorm_mode_16_64 3
		.amdhsa_dx10_clamp 1
		.amdhsa_ieee_mode 1
		.amdhsa_fp16_overflow 0
		.amdhsa_tg_split 0
		.amdhsa_exception_fp_ieee_invalid_op 0
		.amdhsa_exception_fp_denorm_src 0
		.amdhsa_exception_fp_ieee_div_zero 0
		.amdhsa_exception_fp_ieee_overflow 0
		.amdhsa_exception_fp_ieee_underflow 0
		.amdhsa_exception_fp_ieee_inexact 0
		.amdhsa_exception_int_div_zero 0
	.end_amdhsa_kernel
	.section	.text._ZN7rocprim17ROCPRIM_400000_NS6detail17trampoline_kernelINS0_14default_configENS1_29reduce_by_key_config_selectorIsjN6thrust23THRUST_200600_302600_NS4plusIjEEEEZZNS1_33reduce_by_key_impl_wrapped_configILNS1_25lookback_scan_determinismE0ES3_S9_NS6_6detail15normal_iteratorINS6_10device_ptrIsEEEENSD_INSE_IjEEEESG_SI_PmS8_NS6_8equal_toIsEEEE10hipError_tPvRmT2_T3_mT4_T5_T6_T7_T8_P12ihipStream_tbENKUlT_T0_E_clISt17integral_constantIbLb0EES13_EEDaSY_SZ_EUlSY_E_NS1_11comp_targetILNS1_3genE4ELNS1_11target_archE910ELNS1_3gpuE8ELNS1_3repE0EEENS1_30default_config_static_selectorELNS0_4arch9wavefront6targetE1EEEvT1_,"axG",@progbits,_ZN7rocprim17ROCPRIM_400000_NS6detail17trampoline_kernelINS0_14default_configENS1_29reduce_by_key_config_selectorIsjN6thrust23THRUST_200600_302600_NS4plusIjEEEEZZNS1_33reduce_by_key_impl_wrapped_configILNS1_25lookback_scan_determinismE0ES3_S9_NS6_6detail15normal_iteratorINS6_10device_ptrIsEEEENSD_INSE_IjEEEESG_SI_PmS8_NS6_8equal_toIsEEEE10hipError_tPvRmT2_T3_mT4_T5_T6_T7_T8_P12ihipStream_tbENKUlT_T0_E_clISt17integral_constantIbLb0EES13_EEDaSY_SZ_EUlSY_E_NS1_11comp_targetILNS1_3genE4ELNS1_11target_archE910ELNS1_3gpuE8ELNS1_3repE0EEENS1_30default_config_static_selectorELNS0_4arch9wavefront6targetE1EEEvT1_,comdat
.Lfunc_end843:
	.size	_ZN7rocprim17ROCPRIM_400000_NS6detail17trampoline_kernelINS0_14default_configENS1_29reduce_by_key_config_selectorIsjN6thrust23THRUST_200600_302600_NS4plusIjEEEEZZNS1_33reduce_by_key_impl_wrapped_configILNS1_25lookback_scan_determinismE0ES3_S9_NS6_6detail15normal_iteratorINS6_10device_ptrIsEEEENSD_INSE_IjEEEESG_SI_PmS8_NS6_8equal_toIsEEEE10hipError_tPvRmT2_T3_mT4_T5_T6_T7_T8_P12ihipStream_tbENKUlT_T0_E_clISt17integral_constantIbLb0EES13_EEDaSY_SZ_EUlSY_E_NS1_11comp_targetILNS1_3genE4ELNS1_11target_archE910ELNS1_3gpuE8ELNS1_3repE0EEENS1_30default_config_static_selectorELNS0_4arch9wavefront6targetE1EEEvT1_, .Lfunc_end843-_ZN7rocprim17ROCPRIM_400000_NS6detail17trampoline_kernelINS0_14default_configENS1_29reduce_by_key_config_selectorIsjN6thrust23THRUST_200600_302600_NS4plusIjEEEEZZNS1_33reduce_by_key_impl_wrapped_configILNS1_25lookback_scan_determinismE0ES3_S9_NS6_6detail15normal_iteratorINS6_10device_ptrIsEEEENSD_INSE_IjEEEESG_SI_PmS8_NS6_8equal_toIsEEEE10hipError_tPvRmT2_T3_mT4_T5_T6_T7_T8_P12ihipStream_tbENKUlT_T0_E_clISt17integral_constantIbLb0EES13_EEDaSY_SZ_EUlSY_E_NS1_11comp_targetILNS1_3genE4ELNS1_11target_archE910ELNS1_3gpuE8ELNS1_3repE0EEENS1_30default_config_static_selectorELNS0_4arch9wavefront6targetE1EEEvT1_
                                        ; -- End function
	.section	.AMDGPU.csdata,"",@progbits
; Kernel info:
; codeLenInByte = 17704
; NumSgprs: 68
; NumVgprs: 108
; NumAgprs: 0
; TotalNumVgprs: 108
; ScratchSize: 0
; MemoryBound: 0
; FloatMode: 240
; IeeeMode: 1
; LDSByteSize: 15360 bytes/workgroup (compile time only)
; SGPRBlocks: 8
; VGPRBlocks: 13
; NumSGPRsForWavesPerEU: 68
; NumVGPRsForWavesPerEU: 108
; AccumOffset: 108
; Occupancy: 4
; WaveLimiterHint : 1
; COMPUTE_PGM_RSRC2:SCRATCH_EN: 0
; COMPUTE_PGM_RSRC2:USER_SGPR: 6
; COMPUTE_PGM_RSRC2:TRAP_HANDLER: 0
; COMPUTE_PGM_RSRC2:TGID_X_EN: 1
; COMPUTE_PGM_RSRC2:TGID_Y_EN: 0
; COMPUTE_PGM_RSRC2:TGID_Z_EN: 0
; COMPUTE_PGM_RSRC2:TIDIG_COMP_CNT: 0
; COMPUTE_PGM_RSRC3_GFX90A:ACCUM_OFFSET: 26
; COMPUTE_PGM_RSRC3_GFX90A:TG_SPLIT: 0
	.section	.text._ZN7rocprim17ROCPRIM_400000_NS6detail17trampoline_kernelINS0_14default_configENS1_29reduce_by_key_config_selectorIsjN6thrust23THRUST_200600_302600_NS4plusIjEEEEZZNS1_33reduce_by_key_impl_wrapped_configILNS1_25lookback_scan_determinismE0ES3_S9_NS6_6detail15normal_iteratorINS6_10device_ptrIsEEEENSD_INSE_IjEEEESG_SI_PmS8_NS6_8equal_toIsEEEE10hipError_tPvRmT2_T3_mT4_T5_T6_T7_T8_P12ihipStream_tbENKUlT_T0_E_clISt17integral_constantIbLb0EES13_EEDaSY_SZ_EUlSY_E_NS1_11comp_targetILNS1_3genE3ELNS1_11target_archE908ELNS1_3gpuE7ELNS1_3repE0EEENS1_30default_config_static_selectorELNS0_4arch9wavefront6targetE1EEEvT1_,"axG",@progbits,_ZN7rocprim17ROCPRIM_400000_NS6detail17trampoline_kernelINS0_14default_configENS1_29reduce_by_key_config_selectorIsjN6thrust23THRUST_200600_302600_NS4plusIjEEEEZZNS1_33reduce_by_key_impl_wrapped_configILNS1_25lookback_scan_determinismE0ES3_S9_NS6_6detail15normal_iteratorINS6_10device_ptrIsEEEENSD_INSE_IjEEEESG_SI_PmS8_NS6_8equal_toIsEEEE10hipError_tPvRmT2_T3_mT4_T5_T6_T7_T8_P12ihipStream_tbENKUlT_T0_E_clISt17integral_constantIbLb0EES13_EEDaSY_SZ_EUlSY_E_NS1_11comp_targetILNS1_3genE3ELNS1_11target_archE908ELNS1_3gpuE7ELNS1_3repE0EEENS1_30default_config_static_selectorELNS0_4arch9wavefront6targetE1EEEvT1_,comdat
	.protected	_ZN7rocprim17ROCPRIM_400000_NS6detail17trampoline_kernelINS0_14default_configENS1_29reduce_by_key_config_selectorIsjN6thrust23THRUST_200600_302600_NS4plusIjEEEEZZNS1_33reduce_by_key_impl_wrapped_configILNS1_25lookback_scan_determinismE0ES3_S9_NS6_6detail15normal_iteratorINS6_10device_ptrIsEEEENSD_INSE_IjEEEESG_SI_PmS8_NS6_8equal_toIsEEEE10hipError_tPvRmT2_T3_mT4_T5_T6_T7_T8_P12ihipStream_tbENKUlT_T0_E_clISt17integral_constantIbLb0EES13_EEDaSY_SZ_EUlSY_E_NS1_11comp_targetILNS1_3genE3ELNS1_11target_archE908ELNS1_3gpuE7ELNS1_3repE0EEENS1_30default_config_static_selectorELNS0_4arch9wavefront6targetE1EEEvT1_ ; -- Begin function _ZN7rocprim17ROCPRIM_400000_NS6detail17trampoline_kernelINS0_14default_configENS1_29reduce_by_key_config_selectorIsjN6thrust23THRUST_200600_302600_NS4plusIjEEEEZZNS1_33reduce_by_key_impl_wrapped_configILNS1_25lookback_scan_determinismE0ES3_S9_NS6_6detail15normal_iteratorINS6_10device_ptrIsEEEENSD_INSE_IjEEEESG_SI_PmS8_NS6_8equal_toIsEEEE10hipError_tPvRmT2_T3_mT4_T5_T6_T7_T8_P12ihipStream_tbENKUlT_T0_E_clISt17integral_constantIbLb0EES13_EEDaSY_SZ_EUlSY_E_NS1_11comp_targetILNS1_3genE3ELNS1_11target_archE908ELNS1_3gpuE7ELNS1_3repE0EEENS1_30default_config_static_selectorELNS0_4arch9wavefront6targetE1EEEvT1_
	.globl	_ZN7rocprim17ROCPRIM_400000_NS6detail17trampoline_kernelINS0_14default_configENS1_29reduce_by_key_config_selectorIsjN6thrust23THRUST_200600_302600_NS4plusIjEEEEZZNS1_33reduce_by_key_impl_wrapped_configILNS1_25lookback_scan_determinismE0ES3_S9_NS6_6detail15normal_iteratorINS6_10device_ptrIsEEEENSD_INSE_IjEEEESG_SI_PmS8_NS6_8equal_toIsEEEE10hipError_tPvRmT2_T3_mT4_T5_T6_T7_T8_P12ihipStream_tbENKUlT_T0_E_clISt17integral_constantIbLb0EES13_EEDaSY_SZ_EUlSY_E_NS1_11comp_targetILNS1_3genE3ELNS1_11target_archE908ELNS1_3gpuE7ELNS1_3repE0EEENS1_30default_config_static_selectorELNS0_4arch9wavefront6targetE1EEEvT1_
	.p2align	8
	.type	_ZN7rocprim17ROCPRIM_400000_NS6detail17trampoline_kernelINS0_14default_configENS1_29reduce_by_key_config_selectorIsjN6thrust23THRUST_200600_302600_NS4plusIjEEEEZZNS1_33reduce_by_key_impl_wrapped_configILNS1_25lookback_scan_determinismE0ES3_S9_NS6_6detail15normal_iteratorINS6_10device_ptrIsEEEENSD_INSE_IjEEEESG_SI_PmS8_NS6_8equal_toIsEEEE10hipError_tPvRmT2_T3_mT4_T5_T6_T7_T8_P12ihipStream_tbENKUlT_T0_E_clISt17integral_constantIbLb0EES13_EEDaSY_SZ_EUlSY_E_NS1_11comp_targetILNS1_3genE3ELNS1_11target_archE908ELNS1_3gpuE7ELNS1_3repE0EEENS1_30default_config_static_selectorELNS0_4arch9wavefront6targetE1EEEvT1_,@function
_ZN7rocprim17ROCPRIM_400000_NS6detail17trampoline_kernelINS0_14default_configENS1_29reduce_by_key_config_selectorIsjN6thrust23THRUST_200600_302600_NS4plusIjEEEEZZNS1_33reduce_by_key_impl_wrapped_configILNS1_25lookback_scan_determinismE0ES3_S9_NS6_6detail15normal_iteratorINS6_10device_ptrIsEEEENSD_INSE_IjEEEESG_SI_PmS8_NS6_8equal_toIsEEEE10hipError_tPvRmT2_T3_mT4_T5_T6_T7_T8_P12ihipStream_tbENKUlT_T0_E_clISt17integral_constantIbLb0EES13_EEDaSY_SZ_EUlSY_E_NS1_11comp_targetILNS1_3genE3ELNS1_11target_archE908ELNS1_3gpuE7ELNS1_3repE0EEENS1_30default_config_static_selectorELNS0_4arch9wavefront6targetE1EEEvT1_: ; @_ZN7rocprim17ROCPRIM_400000_NS6detail17trampoline_kernelINS0_14default_configENS1_29reduce_by_key_config_selectorIsjN6thrust23THRUST_200600_302600_NS4plusIjEEEEZZNS1_33reduce_by_key_impl_wrapped_configILNS1_25lookback_scan_determinismE0ES3_S9_NS6_6detail15normal_iteratorINS6_10device_ptrIsEEEENSD_INSE_IjEEEESG_SI_PmS8_NS6_8equal_toIsEEEE10hipError_tPvRmT2_T3_mT4_T5_T6_T7_T8_P12ihipStream_tbENKUlT_T0_E_clISt17integral_constantIbLb0EES13_EEDaSY_SZ_EUlSY_E_NS1_11comp_targetILNS1_3genE3ELNS1_11target_archE908ELNS1_3gpuE7ELNS1_3repE0EEENS1_30default_config_static_selectorELNS0_4arch9wavefront6targetE1EEEvT1_
; %bb.0:
	.section	.rodata,"a",@progbits
	.p2align	6, 0x0
	.amdhsa_kernel _ZN7rocprim17ROCPRIM_400000_NS6detail17trampoline_kernelINS0_14default_configENS1_29reduce_by_key_config_selectorIsjN6thrust23THRUST_200600_302600_NS4plusIjEEEEZZNS1_33reduce_by_key_impl_wrapped_configILNS1_25lookback_scan_determinismE0ES3_S9_NS6_6detail15normal_iteratorINS6_10device_ptrIsEEEENSD_INSE_IjEEEESG_SI_PmS8_NS6_8equal_toIsEEEE10hipError_tPvRmT2_T3_mT4_T5_T6_T7_T8_P12ihipStream_tbENKUlT_T0_E_clISt17integral_constantIbLb0EES13_EEDaSY_SZ_EUlSY_E_NS1_11comp_targetILNS1_3genE3ELNS1_11target_archE908ELNS1_3gpuE7ELNS1_3repE0EEENS1_30default_config_static_selectorELNS0_4arch9wavefront6targetE1EEEvT1_
		.amdhsa_group_segment_fixed_size 0
		.amdhsa_private_segment_fixed_size 0
		.amdhsa_kernarg_size 120
		.amdhsa_user_sgpr_count 6
		.amdhsa_user_sgpr_private_segment_buffer 1
		.amdhsa_user_sgpr_dispatch_ptr 0
		.amdhsa_user_sgpr_queue_ptr 0
		.amdhsa_user_sgpr_kernarg_segment_ptr 1
		.amdhsa_user_sgpr_dispatch_id 0
		.amdhsa_user_sgpr_flat_scratch_init 0
		.amdhsa_user_sgpr_kernarg_preload_length 0
		.amdhsa_user_sgpr_kernarg_preload_offset 0
		.amdhsa_user_sgpr_private_segment_size 0
		.amdhsa_uses_dynamic_stack 0
		.amdhsa_system_sgpr_private_segment_wavefront_offset 0
		.amdhsa_system_sgpr_workgroup_id_x 1
		.amdhsa_system_sgpr_workgroup_id_y 0
		.amdhsa_system_sgpr_workgroup_id_z 0
		.amdhsa_system_sgpr_workgroup_info 0
		.amdhsa_system_vgpr_workitem_id 0
		.amdhsa_next_free_vgpr 1
		.amdhsa_next_free_sgpr 0
		.amdhsa_accum_offset 4
		.amdhsa_reserve_vcc 0
		.amdhsa_reserve_flat_scratch 0
		.amdhsa_float_round_mode_32 0
		.amdhsa_float_round_mode_16_64 0
		.amdhsa_float_denorm_mode_32 3
		.amdhsa_float_denorm_mode_16_64 3
		.amdhsa_dx10_clamp 1
		.amdhsa_ieee_mode 1
		.amdhsa_fp16_overflow 0
		.amdhsa_tg_split 0
		.amdhsa_exception_fp_ieee_invalid_op 0
		.amdhsa_exception_fp_denorm_src 0
		.amdhsa_exception_fp_ieee_div_zero 0
		.amdhsa_exception_fp_ieee_overflow 0
		.amdhsa_exception_fp_ieee_underflow 0
		.amdhsa_exception_fp_ieee_inexact 0
		.amdhsa_exception_int_div_zero 0
	.end_amdhsa_kernel
	.section	.text._ZN7rocprim17ROCPRIM_400000_NS6detail17trampoline_kernelINS0_14default_configENS1_29reduce_by_key_config_selectorIsjN6thrust23THRUST_200600_302600_NS4plusIjEEEEZZNS1_33reduce_by_key_impl_wrapped_configILNS1_25lookback_scan_determinismE0ES3_S9_NS6_6detail15normal_iteratorINS6_10device_ptrIsEEEENSD_INSE_IjEEEESG_SI_PmS8_NS6_8equal_toIsEEEE10hipError_tPvRmT2_T3_mT4_T5_T6_T7_T8_P12ihipStream_tbENKUlT_T0_E_clISt17integral_constantIbLb0EES13_EEDaSY_SZ_EUlSY_E_NS1_11comp_targetILNS1_3genE3ELNS1_11target_archE908ELNS1_3gpuE7ELNS1_3repE0EEENS1_30default_config_static_selectorELNS0_4arch9wavefront6targetE1EEEvT1_,"axG",@progbits,_ZN7rocprim17ROCPRIM_400000_NS6detail17trampoline_kernelINS0_14default_configENS1_29reduce_by_key_config_selectorIsjN6thrust23THRUST_200600_302600_NS4plusIjEEEEZZNS1_33reduce_by_key_impl_wrapped_configILNS1_25lookback_scan_determinismE0ES3_S9_NS6_6detail15normal_iteratorINS6_10device_ptrIsEEEENSD_INSE_IjEEEESG_SI_PmS8_NS6_8equal_toIsEEEE10hipError_tPvRmT2_T3_mT4_T5_T6_T7_T8_P12ihipStream_tbENKUlT_T0_E_clISt17integral_constantIbLb0EES13_EEDaSY_SZ_EUlSY_E_NS1_11comp_targetILNS1_3genE3ELNS1_11target_archE908ELNS1_3gpuE7ELNS1_3repE0EEENS1_30default_config_static_selectorELNS0_4arch9wavefront6targetE1EEEvT1_,comdat
.Lfunc_end844:
	.size	_ZN7rocprim17ROCPRIM_400000_NS6detail17trampoline_kernelINS0_14default_configENS1_29reduce_by_key_config_selectorIsjN6thrust23THRUST_200600_302600_NS4plusIjEEEEZZNS1_33reduce_by_key_impl_wrapped_configILNS1_25lookback_scan_determinismE0ES3_S9_NS6_6detail15normal_iteratorINS6_10device_ptrIsEEEENSD_INSE_IjEEEESG_SI_PmS8_NS6_8equal_toIsEEEE10hipError_tPvRmT2_T3_mT4_T5_T6_T7_T8_P12ihipStream_tbENKUlT_T0_E_clISt17integral_constantIbLb0EES13_EEDaSY_SZ_EUlSY_E_NS1_11comp_targetILNS1_3genE3ELNS1_11target_archE908ELNS1_3gpuE7ELNS1_3repE0EEENS1_30default_config_static_selectorELNS0_4arch9wavefront6targetE1EEEvT1_, .Lfunc_end844-_ZN7rocprim17ROCPRIM_400000_NS6detail17trampoline_kernelINS0_14default_configENS1_29reduce_by_key_config_selectorIsjN6thrust23THRUST_200600_302600_NS4plusIjEEEEZZNS1_33reduce_by_key_impl_wrapped_configILNS1_25lookback_scan_determinismE0ES3_S9_NS6_6detail15normal_iteratorINS6_10device_ptrIsEEEENSD_INSE_IjEEEESG_SI_PmS8_NS6_8equal_toIsEEEE10hipError_tPvRmT2_T3_mT4_T5_T6_T7_T8_P12ihipStream_tbENKUlT_T0_E_clISt17integral_constantIbLb0EES13_EEDaSY_SZ_EUlSY_E_NS1_11comp_targetILNS1_3genE3ELNS1_11target_archE908ELNS1_3gpuE7ELNS1_3repE0EEENS1_30default_config_static_selectorELNS0_4arch9wavefront6targetE1EEEvT1_
                                        ; -- End function
	.section	.AMDGPU.csdata,"",@progbits
; Kernel info:
; codeLenInByte = 0
; NumSgprs: 4
; NumVgprs: 0
; NumAgprs: 0
; TotalNumVgprs: 0
; ScratchSize: 0
; MemoryBound: 0
; FloatMode: 240
; IeeeMode: 1
; LDSByteSize: 0 bytes/workgroup (compile time only)
; SGPRBlocks: 0
; VGPRBlocks: 0
; NumSGPRsForWavesPerEU: 4
; NumVGPRsForWavesPerEU: 1
; AccumOffset: 4
; Occupancy: 8
; WaveLimiterHint : 0
; COMPUTE_PGM_RSRC2:SCRATCH_EN: 0
; COMPUTE_PGM_RSRC2:USER_SGPR: 6
; COMPUTE_PGM_RSRC2:TRAP_HANDLER: 0
; COMPUTE_PGM_RSRC2:TGID_X_EN: 1
; COMPUTE_PGM_RSRC2:TGID_Y_EN: 0
; COMPUTE_PGM_RSRC2:TGID_Z_EN: 0
; COMPUTE_PGM_RSRC2:TIDIG_COMP_CNT: 0
; COMPUTE_PGM_RSRC3_GFX90A:ACCUM_OFFSET: 0
; COMPUTE_PGM_RSRC3_GFX90A:TG_SPLIT: 0
	.section	.text._ZN7rocprim17ROCPRIM_400000_NS6detail17trampoline_kernelINS0_14default_configENS1_29reduce_by_key_config_selectorIsjN6thrust23THRUST_200600_302600_NS4plusIjEEEEZZNS1_33reduce_by_key_impl_wrapped_configILNS1_25lookback_scan_determinismE0ES3_S9_NS6_6detail15normal_iteratorINS6_10device_ptrIsEEEENSD_INSE_IjEEEESG_SI_PmS8_NS6_8equal_toIsEEEE10hipError_tPvRmT2_T3_mT4_T5_T6_T7_T8_P12ihipStream_tbENKUlT_T0_E_clISt17integral_constantIbLb0EES13_EEDaSY_SZ_EUlSY_E_NS1_11comp_targetILNS1_3genE2ELNS1_11target_archE906ELNS1_3gpuE6ELNS1_3repE0EEENS1_30default_config_static_selectorELNS0_4arch9wavefront6targetE1EEEvT1_,"axG",@progbits,_ZN7rocprim17ROCPRIM_400000_NS6detail17trampoline_kernelINS0_14default_configENS1_29reduce_by_key_config_selectorIsjN6thrust23THRUST_200600_302600_NS4plusIjEEEEZZNS1_33reduce_by_key_impl_wrapped_configILNS1_25lookback_scan_determinismE0ES3_S9_NS6_6detail15normal_iteratorINS6_10device_ptrIsEEEENSD_INSE_IjEEEESG_SI_PmS8_NS6_8equal_toIsEEEE10hipError_tPvRmT2_T3_mT4_T5_T6_T7_T8_P12ihipStream_tbENKUlT_T0_E_clISt17integral_constantIbLb0EES13_EEDaSY_SZ_EUlSY_E_NS1_11comp_targetILNS1_3genE2ELNS1_11target_archE906ELNS1_3gpuE6ELNS1_3repE0EEENS1_30default_config_static_selectorELNS0_4arch9wavefront6targetE1EEEvT1_,comdat
	.protected	_ZN7rocprim17ROCPRIM_400000_NS6detail17trampoline_kernelINS0_14default_configENS1_29reduce_by_key_config_selectorIsjN6thrust23THRUST_200600_302600_NS4plusIjEEEEZZNS1_33reduce_by_key_impl_wrapped_configILNS1_25lookback_scan_determinismE0ES3_S9_NS6_6detail15normal_iteratorINS6_10device_ptrIsEEEENSD_INSE_IjEEEESG_SI_PmS8_NS6_8equal_toIsEEEE10hipError_tPvRmT2_T3_mT4_T5_T6_T7_T8_P12ihipStream_tbENKUlT_T0_E_clISt17integral_constantIbLb0EES13_EEDaSY_SZ_EUlSY_E_NS1_11comp_targetILNS1_3genE2ELNS1_11target_archE906ELNS1_3gpuE6ELNS1_3repE0EEENS1_30default_config_static_selectorELNS0_4arch9wavefront6targetE1EEEvT1_ ; -- Begin function _ZN7rocprim17ROCPRIM_400000_NS6detail17trampoline_kernelINS0_14default_configENS1_29reduce_by_key_config_selectorIsjN6thrust23THRUST_200600_302600_NS4plusIjEEEEZZNS1_33reduce_by_key_impl_wrapped_configILNS1_25lookback_scan_determinismE0ES3_S9_NS6_6detail15normal_iteratorINS6_10device_ptrIsEEEENSD_INSE_IjEEEESG_SI_PmS8_NS6_8equal_toIsEEEE10hipError_tPvRmT2_T3_mT4_T5_T6_T7_T8_P12ihipStream_tbENKUlT_T0_E_clISt17integral_constantIbLb0EES13_EEDaSY_SZ_EUlSY_E_NS1_11comp_targetILNS1_3genE2ELNS1_11target_archE906ELNS1_3gpuE6ELNS1_3repE0EEENS1_30default_config_static_selectorELNS0_4arch9wavefront6targetE1EEEvT1_
	.globl	_ZN7rocprim17ROCPRIM_400000_NS6detail17trampoline_kernelINS0_14default_configENS1_29reduce_by_key_config_selectorIsjN6thrust23THRUST_200600_302600_NS4plusIjEEEEZZNS1_33reduce_by_key_impl_wrapped_configILNS1_25lookback_scan_determinismE0ES3_S9_NS6_6detail15normal_iteratorINS6_10device_ptrIsEEEENSD_INSE_IjEEEESG_SI_PmS8_NS6_8equal_toIsEEEE10hipError_tPvRmT2_T3_mT4_T5_T6_T7_T8_P12ihipStream_tbENKUlT_T0_E_clISt17integral_constantIbLb0EES13_EEDaSY_SZ_EUlSY_E_NS1_11comp_targetILNS1_3genE2ELNS1_11target_archE906ELNS1_3gpuE6ELNS1_3repE0EEENS1_30default_config_static_selectorELNS0_4arch9wavefront6targetE1EEEvT1_
	.p2align	8
	.type	_ZN7rocprim17ROCPRIM_400000_NS6detail17trampoline_kernelINS0_14default_configENS1_29reduce_by_key_config_selectorIsjN6thrust23THRUST_200600_302600_NS4plusIjEEEEZZNS1_33reduce_by_key_impl_wrapped_configILNS1_25lookback_scan_determinismE0ES3_S9_NS6_6detail15normal_iteratorINS6_10device_ptrIsEEEENSD_INSE_IjEEEESG_SI_PmS8_NS6_8equal_toIsEEEE10hipError_tPvRmT2_T3_mT4_T5_T6_T7_T8_P12ihipStream_tbENKUlT_T0_E_clISt17integral_constantIbLb0EES13_EEDaSY_SZ_EUlSY_E_NS1_11comp_targetILNS1_3genE2ELNS1_11target_archE906ELNS1_3gpuE6ELNS1_3repE0EEENS1_30default_config_static_selectorELNS0_4arch9wavefront6targetE1EEEvT1_,@function
_ZN7rocprim17ROCPRIM_400000_NS6detail17trampoline_kernelINS0_14default_configENS1_29reduce_by_key_config_selectorIsjN6thrust23THRUST_200600_302600_NS4plusIjEEEEZZNS1_33reduce_by_key_impl_wrapped_configILNS1_25lookback_scan_determinismE0ES3_S9_NS6_6detail15normal_iteratorINS6_10device_ptrIsEEEENSD_INSE_IjEEEESG_SI_PmS8_NS6_8equal_toIsEEEE10hipError_tPvRmT2_T3_mT4_T5_T6_T7_T8_P12ihipStream_tbENKUlT_T0_E_clISt17integral_constantIbLb0EES13_EEDaSY_SZ_EUlSY_E_NS1_11comp_targetILNS1_3genE2ELNS1_11target_archE906ELNS1_3gpuE6ELNS1_3repE0EEENS1_30default_config_static_selectorELNS0_4arch9wavefront6targetE1EEEvT1_: ; @_ZN7rocprim17ROCPRIM_400000_NS6detail17trampoline_kernelINS0_14default_configENS1_29reduce_by_key_config_selectorIsjN6thrust23THRUST_200600_302600_NS4plusIjEEEEZZNS1_33reduce_by_key_impl_wrapped_configILNS1_25lookback_scan_determinismE0ES3_S9_NS6_6detail15normal_iteratorINS6_10device_ptrIsEEEENSD_INSE_IjEEEESG_SI_PmS8_NS6_8equal_toIsEEEE10hipError_tPvRmT2_T3_mT4_T5_T6_T7_T8_P12ihipStream_tbENKUlT_T0_E_clISt17integral_constantIbLb0EES13_EEDaSY_SZ_EUlSY_E_NS1_11comp_targetILNS1_3genE2ELNS1_11target_archE906ELNS1_3gpuE6ELNS1_3repE0EEENS1_30default_config_static_selectorELNS0_4arch9wavefront6targetE1EEEvT1_
; %bb.0:
	.section	.rodata,"a",@progbits
	.p2align	6, 0x0
	.amdhsa_kernel _ZN7rocprim17ROCPRIM_400000_NS6detail17trampoline_kernelINS0_14default_configENS1_29reduce_by_key_config_selectorIsjN6thrust23THRUST_200600_302600_NS4plusIjEEEEZZNS1_33reduce_by_key_impl_wrapped_configILNS1_25lookback_scan_determinismE0ES3_S9_NS6_6detail15normal_iteratorINS6_10device_ptrIsEEEENSD_INSE_IjEEEESG_SI_PmS8_NS6_8equal_toIsEEEE10hipError_tPvRmT2_T3_mT4_T5_T6_T7_T8_P12ihipStream_tbENKUlT_T0_E_clISt17integral_constantIbLb0EES13_EEDaSY_SZ_EUlSY_E_NS1_11comp_targetILNS1_3genE2ELNS1_11target_archE906ELNS1_3gpuE6ELNS1_3repE0EEENS1_30default_config_static_selectorELNS0_4arch9wavefront6targetE1EEEvT1_
		.amdhsa_group_segment_fixed_size 0
		.amdhsa_private_segment_fixed_size 0
		.amdhsa_kernarg_size 120
		.amdhsa_user_sgpr_count 6
		.amdhsa_user_sgpr_private_segment_buffer 1
		.amdhsa_user_sgpr_dispatch_ptr 0
		.amdhsa_user_sgpr_queue_ptr 0
		.amdhsa_user_sgpr_kernarg_segment_ptr 1
		.amdhsa_user_sgpr_dispatch_id 0
		.amdhsa_user_sgpr_flat_scratch_init 0
		.amdhsa_user_sgpr_kernarg_preload_length 0
		.amdhsa_user_sgpr_kernarg_preload_offset 0
		.amdhsa_user_sgpr_private_segment_size 0
		.amdhsa_uses_dynamic_stack 0
		.amdhsa_system_sgpr_private_segment_wavefront_offset 0
		.amdhsa_system_sgpr_workgroup_id_x 1
		.amdhsa_system_sgpr_workgroup_id_y 0
		.amdhsa_system_sgpr_workgroup_id_z 0
		.amdhsa_system_sgpr_workgroup_info 0
		.amdhsa_system_vgpr_workitem_id 0
		.amdhsa_next_free_vgpr 1
		.amdhsa_next_free_sgpr 0
		.amdhsa_accum_offset 4
		.amdhsa_reserve_vcc 0
		.amdhsa_reserve_flat_scratch 0
		.amdhsa_float_round_mode_32 0
		.amdhsa_float_round_mode_16_64 0
		.amdhsa_float_denorm_mode_32 3
		.amdhsa_float_denorm_mode_16_64 3
		.amdhsa_dx10_clamp 1
		.amdhsa_ieee_mode 1
		.amdhsa_fp16_overflow 0
		.amdhsa_tg_split 0
		.amdhsa_exception_fp_ieee_invalid_op 0
		.amdhsa_exception_fp_denorm_src 0
		.amdhsa_exception_fp_ieee_div_zero 0
		.amdhsa_exception_fp_ieee_overflow 0
		.amdhsa_exception_fp_ieee_underflow 0
		.amdhsa_exception_fp_ieee_inexact 0
		.amdhsa_exception_int_div_zero 0
	.end_amdhsa_kernel
	.section	.text._ZN7rocprim17ROCPRIM_400000_NS6detail17trampoline_kernelINS0_14default_configENS1_29reduce_by_key_config_selectorIsjN6thrust23THRUST_200600_302600_NS4plusIjEEEEZZNS1_33reduce_by_key_impl_wrapped_configILNS1_25lookback_scan_determinismE0ES3_S9_NS6_6detail15normal_iteratorINS6_10device_ptrIsEEEENSD_INSE_IjEEEESG_SI_PmS8_NS6_8equal_toIsEEEE10hipError_tPvRmT2_T3_mT4_T5_T6_T7_T8_P12ihipStream_tbENKUlT_T0_E_clISt17integral_constantIbLb0EES13_EEDaSY_SZ_EUlSY_E_NS1_11comp_targetILNS1_3genE2ELNS1_11target_archE906ELNS1_3gpuE6ELNS1_3repE0EEENS1_30default_config_static_selectorELNS0_4arch9wavefront6targetE1EEEvT1_,"axG",@progbits,_ZN7rocprim17ROCPRIM_400000_NS6detail17trampoline_kernelINS0_14default_configENS1_29reduce_by_key_config_selectorIsjN6thrust23THRUST_200600_302600_NS4plusIjEEEEZZNS1_33reduce_by_key_impl_wrapped_configILNS1_25lookback_scan_determinismE0ES3_S9_NS6_6detail15normal_iteratorINS6_10device_ptrIsEEEENSD_INSE_IjEEEESG_SI_PmS8_NS6_8equal_toIsEEEE10hipError_tPvRmT2_T3_mT4_T5_T6_T7_T8_P12ihipStream_tbENKUlT_T0_E_clISt17integral_constantIbLb0EES13_EEDaSY_SZ_EUlSY_E_NS1_11comp_targetILNS1_3genE2ELNS1_11target_archE906ELNS1_3gpuE6ELNS1_3repE0EEENS1_30default_config_static_selectorELNS0_4arch9wavefront6targetE1EEEvT1_,comdat
.Lfunc_end845:
	.size	_ZN7rocprim17ROCPRIM_400000_NS6detail17trampoline_kernelINS0_14default_configENS1_29reduce_by_key_config_selectorIsjN6thrust23THRUST_200600_302600_NS4plusIjEEEEZZNS1_33reduce_by_key_impl_wrapped_configILNS1_25lookback_scan_determinismE0ES3_S9_NS6_6detail15normal_iteratorINS6_10device_ptrIsEEEENSD_INSE_IjEEEESG_SI_PmS8_NS6_8equal_toIsEEEE10hipError_tPvRmT2_T3_mT4_T5_T6_T7_T8_P12ihipStream_tbENKUlT_T0_E_clISt17integral_constantIbLb0EES13_EEDaSY_SZ_EUlSY_E_NS1_11comp_targetILNS1_3genE2ELNS1_11target_archE906ELNS1_3gpuE6ELNS1_3repE0EEENS1_30default_config_static_selectorELNS0_4arch9wavefront6targetE1EEEvT1_, .Lfunc_end845-_ZN7rocprim17ROCPRIM_400000_NS6detail17trampoline_kernelINS0_14default_configENS1_29reduce_by_key_config_selectorIsjN6thrust23THRUST_200600_302600_NS4plusIjEEEEZZNS1_33reduce_by_key_impl_wrapped_configILNS1_25lookback_scan_determinismE0ES3_S9_NS6_6detail15normal_iteratorINS6_10device_ptrIsEEEENSD_INSE_IjEEEESG_SI_PmS8_NS6_8equal_toIsEEEE10hipError_tPvRmT2_T3_mT4_T5_T6_T7_T8_P12ihipStream_tbENKUlT_T0_E_clISt17integral_constantIbLb0EES13_EEDaSY_SZ_EUlSY_E_NS1_11comp_targetILNS1_3genE2ELNS1_11target_archE906ELNS1_3gpuE6ELNS1_3repE0EEENS1_30default_config_static_selectorELNS0_4arch9wavefront6targetE1EEEvT1_
                                        ; -- End function
	.section	.AMDGPU.csdata,"",@progbits
; Kernel info:
; codeLenInByte = 0
; NumSgprs: 4
; NumVgprs: 0
; NumAgprs: 0
; TotalNumVgprs: 0
; ScratchSize: 0
; MemoryBound: 0
; FloatMode: 240
; IeeeMode: 1
; LDSByteSize: 0 bytes/workgroup (compile time only)
; SGPRBlocks: 0
; VGPRBlocks: 0
; NumSGPRsForWavesPerEU: 4
; NumVGPRsForWavesPerEU: 1
; AccumOffset: 4
; Occupancy: 8
; WaveLimiterHint : 0
; COMPUTE_PGM_RSRC2:SCRATCH_EN: 0
; COMPUTE_PGM_RSRC2:USER_SGPR: 6
; COMPUTE_PGM_RSRC2:TRAP_HANDLER: 0
; COMPUTE_PGM_RSRC2:TGID_X_EN: 1
; COMPUTE_PGM_RSRC2:TGID_Y_EN: 0
; COMPUTE_PGM_RSRC2:TGID_Z_EN: 0
; COMPUTE_PGM_RSRC2:TIDIG_COMP_CNT: 0
; COMPUTE_PGM_RSRC3_GFX90A:ACCUM_OFFSET: 0
; COMPUTE_PGM_RSRC3_GFX90A:TG_SPLIT: 0
	.section	.text._ZN7rocprim17ROCPRIM_400000_NS6detail17trampoline_kernelINS0_14default_configENS1_29reduce_by_key_config_selectorIsjN6thrust23THRUST_200600_302600_NS4plusIjEEEEZZNS1_33reduce_by_key_impl_wrapped_configILNS1_25lookback_scan_determinismE0ES3_S9_NS6_6detail15normal_iteratorINS6_10device_ptrIsEEEENSD_INSE_IjEEEESG_SI_PmS8_NS6_8equal_toIsEEEE10hipError_tPvRmT2_T3_mT4_T5_T6_T7_T8_P12ihipStream_tbENKUlT_T0_E_clISt17integral_constantIbLb0EES13_EEDaSY_SZ_EUlSY_E_NS1_11comp_targetILNS1_3genE10ELNS1_11target_archE1201ELNS1_3gpuE5ELNS1_3repE0EEENS1_30default_config_static_selectorELNS0_4arch9wavefront6targetE1EEEvT1_,"axG",@progbits,_ZN7rocprim17ROCPRIM_400000_NS6detail17trampoline_kernelINS0_14default_configENS1_29reduce_by_key_config_selectorIsjN6thrust23THRUST_200600_302600_NS4plusIjEEEEZZNS1_33reduce_by_key_impl_wrapped_configILNS1_25lookback_scan_determinismE0ES3_S9_NS6_6detail15normal_iteratorINS6_10device_ptrIsEEEENSD_INSE_IjEEEESG_SI_PmS8_NS6_8equal_toIsEEEE10hipError_tPvRmT2_T3_mT4_T5_T6_T7_T8_P12ihipStream_tbENKUlT_T0_E_clISt17integral_constantIbLb0EES13_EEDaSY_SZ_EUlSY_E_NS1_11comp_targetILNS1_3genE10ELNS1_11target_archE1201ELNS1_3gpuE5ELNS1_3repE0EEENS1_30default_config_static_selectorELNS0_4arch9wavefront6targetE1EEEvT1_,comdat
	.protected	_ZN7rocprim17ROCPRIM_400000_NS6detail17trampoline_kernelINS0_14default_configENS1_29reduce_by_key_config_selectorIsjN6thrust23THRUST_200600_302600_NS4plusIjEEEEZZNS1_33reduce_by_key_impl_wrapped_configILNS1_25lookback_scan_determinismE0ES3_S9_NS6_6detail15normal_iteratorINS6_10device_ptrIsEEEENSD_INSE_IjEEEESG_SI_PmS8_NS6_8equal_toIsEEEE10hipError_tPvRmT2_T3_mT4_T5_T6_T7_T8_P12ihipStream_tbENKUlT_T0_E_clISt17integral_constantIbLb0EES13_EEDaSY_SZ_EUlSY_E_NS1_11comp_targetILNS1_3genE10ELNS1_11target_archE1201ELNS1_3gpuE5ELNS1_3repE0EEENS1_30default_config_static_selectorELNS0_4arch9wavefront6targetE1EEEvT1_ ; -- Begin function _ZN7rocprim17ROCPRIM_400000_NS6detail17trampoline_kernelINS0_14default_configENS1_29reduce_by_key_config_selectorIsjN6thrust23THRUST_200600_302600_NS4plusIjEEEEZZNS1_33reduce_by_key_impl_wrapped_configILNS1_25lookback_scan_determinismE0ES3_S9_NS6_6detail15normal_iteratorINS6_10device_ptrIsEEEENSD_INSE_IjEEEESG_SI_PmS8_NS6_8equal_toIsEEEE10hipError_tPvRmT2_T3_mT4_T5_T6_T7_T8_P12ihipStream_tbENKUlT_T0_E_clISt17integral_constantIbLb0EES13_EEDaSY_SZ_EUlSY_E_NS1_11comp_targetILNS1_3genE10ELNS1_11target_archE1201ELNS1_3gpuE5ELNS1_3repE0EEENS1_30default_config_static_selectorELNS0_4arch9wavefront6targetE1EEEvT1_
	.globl	_ZN7rocprim17ROCPRIM_400000_NS6detail17trampoline_kernelINS0_14default_configENS1_29reduce_by_key_config_selectorIsjN6thrust23THRUST_200600_302600_NS4plusIjEEEEZZNS1_33reduce_by_key_impl_wrapped_configILNS1_25lookback_scan_determinismE0ES3_S9_NS6_6detail15normal_iteratorINS6_10device_ptrIsEEEENSD_INSE_IjEEEESG_SI_PmS8_NS6_8equal_toIsEEEE10hipError_tPvRmT2_T3_mT4_T5_T6_T7_T8_P12ihipStream_tbENKUlT_T0_E_clISt17integral_constantIbLb0EES13_EEDaSY_SZ_EUlSY_E_NS1_11comp_targetILNS1_3genE10ELNS1_11target_archE1201ELNS1_3gpuE5ELNS1_3repE0EEENS1_30default_config_static_selectorELNS0_4arch9wavefront6targetE1EEEvT1_
	.p2align	8
	.type	_ZN7rocprim17ROCPRIM_400000_NS6detail17trampoline_kernelINS0_14default_configENS1_29reduce_by_key_config_selectorIsjN6thrust23THRUST_200600_302600_NS4plusIjEEEEZZNS1_33reduce_by_key_impl_wrapped_configILNS1_25lookback_scan_determinismE0ES3_S9_NS6_6detail15normal_iteratorINS6_10device_ptrIsEEEENSD_INSE_IjEEEESG_SI_PmS8_NS6_8equal_toIsEEEE10hipError_tPvRmT2_T3_mT4_T5_T6_T7_T8_P12ihipStream_tbENKUlT_T0_E_clISt17integral_constantIbLb0EES13_EEDaSY_SZ_EUlSY_E_NS1_11comp_targetILNS1_3genE10ELNS1_11target_archE1201ELNS1_3gpuE5ELNS1_3repE0EEENS1_30default_config_static_selectorELNS0_4arch9wavefront6targetE1EEEvT1_,@function
_ZN7rocprim17ROCPRIM_400000_NS6detail17trampoline_kernelINS0_14default_configENS1_29reduce_by_key_config_selectorIsjN6thrust23THRUST_200600_302600_NS4plusIjEEEEZZNS1_33reduce_by_key_impl_wrapped_configILNS1_25lookback_scan_determinismE0ES3_S9_NS6_6detail15normal_iteratorINS6_10device_ptrIsEEEENSD_INSE_IjEEEESG_SI_PmS8_NS6_8equal_toIsEEEE10hipError_tPvRmT2_T3_mT4_T5_T6_T7_T8_P12ihipStream_tbENKUlT_T0_E_clISt17integral_constantIbLb0EES13_EEDaSY_SZ_EUlSY_E_NS1_11comp_targetILNS1_3genE10ELNS1_11target_archE1201ELNS1_3gpuE5ELNS1_3repE0EEENS1_30default_config_static_selectorELNS0_4arch9wavefront6targetE1EEEvT1_: ; @_ZN7rocprim17ROCPRIM_400000_NS6detail17trampoline_kernelINS0_14default_configENS1_29reduce_by_key_config_selectorIsjN6thrust23THRUST_200600_302600_NS4plusIjEEEEZZNS1_33reduce_by_key_impl_wrapped_configILNS1_25lookback_scan_determinismE0ES3_S9_NS6_6detail15normal_iteratorINS6_10device_ptrIsEEEENSD_INSE_IjEEEESG_SI_PmS8_NS6_8equal_toIsEEEE10hipError_tPvRmT2_T3_mT4_T5_T6_T7_T8_P12ihipStream_tbENKUlT_T0_E_clISt17integral_constantIbLb0EES13_EEDaSY_SZ_EUlSY_E_NS1_11comp_targetILNS1_3genE10ELNS1_11target_archE1201ELNS1_3gpuE5ELNS1_3repE0EEENS1_30default_config_static_selectorELNS0_4arch9wavefront6targetE1EEEvT1_
; %bb.0:
	.section	.rodata,"a",@progbits
	.p2align	6, 0x0
	.amdhsa_kernel _ZN7rocprim17ROCPRIM_400000_NS6detail17trampoline_kernelINS0_14default_configENS1_29reduce_by_key_config_selectorIsjN6thrust23THRUST_200600_302600_NS4plusIjEEEEZZNS1_33reduce_by_key_impl_wrapped_configILNS1_25lookback_scan_determinismE0ES3_S9_NS6_6detail15normal_iteratorINS6_10device_ptrIsEEEENSD_INSE_IjEEEESG_SI_PmS8_NS6_8equal_toIsEEEE10hipError_tPvRmT2_T3_mT4_T5_T6_T7_T8_P12ihipStream_tbENKUlT_T0_E_clISt17integral_constantIbLb0EES13_EEDaSY_SZ_EUlSY_E_NS1_11comp_targetILNS1_3genE10ELNS1_11target_archE1201ELNS1_3gpuE5ELNS1_3repE0EEENS1_30default_config_static_selectorELNS0_4arch9wavefront6targetE1EEEvT1_
		.amdhsa_group_segment_fixed_size 0
		.amdhsa_private_segment_fixed_size 0
		.amdhsa_kernarg_size 120
		.amdhsa_user_sgpr_count 6
		.amdhsa_user_sgpr_private_segment_buffer 1
		.amdhsa_user_sgpr_dispatch_ptr 0
		.amdhsa_user_sgpr_queue_ptr 0
		.amdhsa_user_sgpr_kernarg_segment_ptr 1
		.amdhsa_user_sgpr_dispatch_id 0
		.amdhsa_user_sgpr_flat_scratch_init 0
		.amdhsa_user_sgpr_kernarg_preload_length 0
		.amdhsa_user_sgpr_kernarg_preload_offset 0
		.amdhsa_user_sgpr_private_segment_size 0
		.amdhsa_uses_dynamic_stack 0
		.amdhsa_system_sgpr_private_segment_wavefront_offset 0
		.amdhsa_system_sgpr_workgroup_id_x 1
		.amdhsa_system_sgpr_workgroup_id_y 0
		.amdhsa_system_sgpr_workgroup_id_z 0
		.amdhsa_system_sgpr_workgroup_info 0
		.amdhsa_system_vgpr_workitem_id 0
		.amdhsa_next_free_vgpr 1
		.amdhsa_next_free_sgpr 0
		.amdhsa_accum_offset 4
		.amdhsa_reserve_vcc 0
		.amdhsa_reserve_flat_scratch 0
		.amdhsa_float_round_mode_32 0
		.amdhsa_float_round_mode_16_64 0
		.amdhsa_float_denorm_mode_32 3
		.amdhsa_float_denorm_mode_16_64 3
		.amdhsa_dx10_clamp 1
		.amdhsa_ieee_mode 1
		.amdhsa_fp16_overflow 0
		.amdhsa_tg_split 0
		.amdhsa_exception_fp_ieee_invalid_op 0
		.amdhsa_exception_fp_denorm_src 0
		.amdhsa_exception_fp_ieee_div_zero 0
		.amdhsa_exception_fp_ieee_overflow 0
		.amdhsa_exception_fp_ieee_underflow 0
		.amdhsa_exception_fp_ieee_inexact 0
		.amdhsa_exception_int_div_zero 0
	.end_amdhsa_kernel
	.section	.text._ZN7rocprim17ROCPRIM_400000_NS6detail17trampoline_kernelINS0_14default_configENS1_29reduce_by_key_config_selectorIsjN6thrust23THRUST_200600_302600_NS4plusIjEEEEZZNS1_33reduce_by_key_impl_wrapped_configILNS1_25lookback_scan_determinismE0ES3_S9_NS6_6detail15normal_iteratorINS6_10device_ptrIsEEEENSD_INSE_IjEEEESG_SI_PmS8_NS6_8equal_toIsEEEE10hipError_tPvRmT2_T3_mT4_T5_T6_T7_T8_P12ihipStream_tbENKUlT_T0_E_clISt17integral_constantIbLb0EES13_EEDaSY_SZ_EUlSY_E_NS1_11comp_targetILNS1_3genE10ELNS1_11target_archE1201ELNS1_3gpuE5ELNS1_3repE0EEENS1_30default_config_static_selectorELNS0_4arch9wavefront6targetE1EEEvT1_,"axG",@progbits,_ZN7rocprim17ROCPRIM_400000_NS6detail17trampoline_kernelINS0_14default_configENS1_29reduce_by_key_config_selectorIsjN6thrust23THRUST_200600_302600_NS4plusIjEEEEZZNS1_33reduce_by_key_impl_wrapped_configILNS1_25lookback_scan_determinismE0ES3_S9_NS6_6detail15normal_iteratorINS6_10device_ptrIsEEEENSD_INSE_IjEEEESG_SI_PmS8_NS6_8equal_toIsEEEE10hipError_tPvRmT2_T3_mT4_T5_T6_T7_T8_P12ihipStream_tbENKUlT_T0_E_clISt17integral_constantIbLb0EES13_EEDaSY_SZ_EUlSY_E_NS1_11comp_targetILNS1_3genE10ELNS1_11target_archE1201ELNS1_3gpuE5ELNS1_3repE0EEENS1_30default_config_static_selectorELNS0_4arch9wavefront6targetE1EEEvT1_,comdat
.Lfunc_end846:
	.size	_ZN7rocprim17ROCPRIM_400000_NS6detail17trampoline_kernelINS0_14default_configENS1_29reduce_by_key_config_selectorIsjN6thrust23THRUST_200600_302600_NS4plusIjEEEEZZNS1_33reduce_by_key_impl_wrapped_configILNS1_25lookback_scan_determinismE0ES3_S9_NS6_6detail15normal_iteratorINS6_10device_ptrIsEEEENSD_INSE_IjEEEESG_SI_PmS8_NS6_8equal_toIsEEEE10hipError_tPvRmT2_T3_mT4_T5_T6_T7_T8_P12ihipStream_tbENKUlT_T0_E_clISt17integral_constantIbLb0EES13_EEDaSY_SZ_EUlSY_E_NS1_11comp_targetILNS1_3genE10ELNS1_11target_archE1201ELNS1_3gpuE5ELNS1_3repE0EEENS1_30default_config_static_selectorELNS0_4arch9wavefront6targetE1EEEvT1_, .Lfunc_end846-_ZN7rocprim17ROCPRIM_400000_NS6detail17trampoline_kernelINS0_14default_configENS1_29reduce_by_key_config_selectorIsjN6thrust23THRUST_200600_302600_NS4plusIjEEEEZZNS1_33reduce_by_key_impl_wrapped_configILNS1_25lookback_scan_determinismE0ES3_S9_NS6_6detail15normal_iteratorINS6_10device_ptrIsEEEENSD_INSE_IjEEEESG_SI_PmS8_NS6_8equal_toIsEEEE10hipError_tPvRmT2_T3_mT4_T5_T6_T7_T8_P12ihipStream_tbENKUlT_T0_E_clISt17integral_constantIbLb0EES13_EEDaSY_SZ_EUlSY_E_NS1_11comp_targetILNS1_3genE10ELNS1_11target_archE1201ELNS1_3gpuE5ELNS1_3repE0EEENS1_30default_config_static_selectorELNS0_4arch9wavefront6targetE1EEEvT1_
                                        ; -- End function
	.section	.AMDGPU.csdata,"",@progbits
; Kernel info:
; codeLenInByte = 0
; NumSgprs: 4
; NumVgprs: 0
; NumAgprs: 0
; TotalNumVgprs: 0
; ScratchSize: 0
; MemoryBound: 0
; FloatMode: 240
; IeeeMode: 1
; LDSByteSize: 0 bytes/workgroup (compile time only)
; SGPRBlocks: 0
; VGPRBlocks: 0
; NumSGPRsForWavesPerEU: 4
; NumVGPRsForWavesPerEU: 1
; AccumOffset: 4
; Occupancy: 8
; WaveLimiterHint : 0
; COMPUTE_PGM_RSRC2:SCRATCH_EN: 0
; COMPUTE_PGM_RSRC2:USER_SGPR: 6
; COMPUTE_PGM_RSRC2:TRAP_HANDLER: 0
; COMPUTE_PGM_RSRC2:TGID_X_EN: 1
; COMPUTE_PGM_RSRC2:TGID_Y_EN: 0
; COMPUTE_PGM_RSRC2:TGID_Z_EN: 0
; COMPUTE_PGM_RSRC2:TIDIG_COMP_CNT: 0
; COMPUTE_PGM_RSRC3_GFX90A:ACCUM_OFFSET: 0
; COMPUTE_PGM_RSRC3_GFX90A:TG_SPLIT: 0
	.section	.text._ZN7rocprim17ROCPRIM_400000_NS6detail17trampoline_kernelINS0_14default_configENS1_29reduce_by_key_config_selectorIsjN6thrust23THRUST_200600_302600_NS4plusIjEEEEZZNS1_33reduce_by_key_impl_wrapped_configILNS1_25lookback_scan_determinismE0ES3_S9_NS6_6detail15normal_iteratorINS6_10device_ptrIsEEEENSD_INSE_IjEEEESG_SI_PmS8_NS6_8equal_toIsEEEE10hipError_tPvRmT2_T3_mT4_T5_T6_T7_T8_P12ihipStream_tbENKUlT_T0_E_clISt17integral_constantIbLb0EES13_EEDaSY_SZ_EUlSY_E_NS1_11comp_targetILNS1_3genE10ELNS1_11target_archE1200ELNS1_3gpuE4ELNS1_3repE0EEENS1_30default_config_static_selectorELNS0_4arch9wavefront6targetE1EEEvT1_,"axG",@progbits,_ZN7rocprim17ROCPRIM_400000_NS6detail17trampoline_kernelINS0_14default_configENS1_29reduce_by_key_config_selectorIsjN6thrust23THRUST_200600_302600_NS4plusIjEEEEZZNS1_33reduce_by_key_impl_wrapped_configILNS1_25lookback_scan_determinismE0ES3_S9_NS6_6detail15normal_iteratorINS6_10device_ptrIsEEEENSD_INSE_IjEEEESG_SI_PmS8_NS6_8equal_toIsEEEE10hipError_tPvRmT2_T3_mT4_T5_T6_T7_T8_P12ihipStream_tbENKUlT_T0_E_clISt17integral_constantIbLb0EES13_EEDaSY_SZ_EUlSY_E_NS1_11comp_targetILNS1_3genE10ELNS1_11target_archE1200ELNS1_3gpuE4ELNS1_3repE0EEENS1_30default_config_static_selectorELNS0_4arch9wavefront6targetE1EEEvT1_,comdat
	.protected	_ZN7rocprim17ROCPRIM_400000_NS6detail17trampoline_kernelINS0_14default_configENS1_29reduce_by_key_config_selectorIsjN6thrust23THRUST_200600_302600_NS4plusIjEEEEZZNS1_33reduce_by_key_impl_wrapped_configILNS1_25lookback_scan_determinismE0ES3_S9_NS6_6detail15normal_iteratorINS6_10device_ptrIsEEEENSD_INSE_IjEEEESG_SI_PmS8_NS6_8equal_toIsEEEE10hipError_tPvRmT2_T3_mT4_T5_T6_T7_T8_P12ihipStream_tbENKUlT_T0_E_clISt17integral_constantIbLb0EES13_EEDaSY_SZ_EUlSY_E_NS1_11comp_targetILNS1_3genE10ELNS1_11target_archE1200ELNS1_3gpuE4ELNS1_3repE0EEENS1_30default_config_static_selectorELNS0_4arch9wavefront6targetE1EEEvT1_ ; -- Begin function _ZN7rocprim17ROCPRIM_400000_NS6detail17trampoline_kernelINS0_14default_configENS1_29reduce_by_key_config_selectorIsjN6thrust23THRUST_200600_302600_NS4plusIjEEEEZZNS1_33reduce_by_key_impl_wrapped_configILNS1_25lookback_scan_determinismE0ES3_S9_NS6_6detail15normal_iteratorINS6_10device_ptrIsEEEENSD_INSE_IjEEEESG_SI_PmS8_NS6_8equal_toIsEEEE10hipError_tPvRmT2_T3_mT4_T5_T6_T7_T8_P12ihipStream_tbENKUlT_T0_E_clISt17integral_constantIbLb0EES13_EEDaSY_SZ_EUlSY_E_NS1_11comp_targetILNS1_3genE10ELNS1_11target_archE1200ELNS1_3gpuE4ELNS1_3repE0EEENS1_30default_config_static_selectorELNS0_4arch9wavefront6targetE1EEEvT1_
	.globl	_ZN7rocprim17ROCPRIM_400000_NS6detail17trampoline_kernelINS0_14default_configENS1_29reduce_by_key_config_selectorIsjN6thrust23THRUST_200600_302600_NS4plusIjEEEEZZNS1_33reduce_by_key_impl_wrapped_configILNS1_25lookback_scan_determinismE0ES3_S9_NS6_6detail15normal_iteratorINS6_10device_ptrIsEEEENSD_INSE_IjEEEESG_SI_PmS8_NS6_8equal_toIsEEEE10hipError_tPvRmT2_T3_mT4_T5_T6_T7_T8_P12ihipStream_tbENKUlT_T0_E_clISt17integral_constantIbLb0EES13_EEDaSY_SZ_EUlSY_E_NS1_11comp_targetILNS1_3genE10ELNS1_11target_archE1200ELNS1_3gpuE4ELNS1_3repE0EEENS1_30default_config_static_selectorELNS0_4arch9wavefront6targetE1EEEvT1_
	.p2align	8
	.type	_ZN7rocprim17ROCPRIM_400000_NS6detail17trampoline_kernelINS0_14default_configENS1_29reduce_by_key_config_selectorIsjN6thrust23THRUST_200600_302600_NS4plusIjEEEEZZNS1_33reduce_by_key_impl_wrapped_configILNS1_25lookback_scan_determinismE0ES3_S9_NS6_6detail15normal_iteratorINS6_10device_ptrIsEEEENSD_INSE_IjEEEESG_SI_PmS8_NS6_8equal_toIsEEEE10hipError_tPvRmT2_T3_mT4_T5_T6_T7_T8_P12ihipStream_tbENKUlT_T0_E_clISt17integral_constantIbLb0EES13_EEDaSY_SZ_EUlSY_E_NS1_11comp_targetILNS1_3genE10ELNS1_11target_archE1200ELNS1_3gpuE4ELNS1_3repE0EEENS1_30default_config_static_selectorELNS0_4arch9wavefront6targetE1EEEvT1_,@function
_ZN7rocprim17ROCPRIM_400000_NS6detail17trampoline_kernelINS0_14default_configENS1_29reduce_by_key_config_selectorIsjN6thrust23THRUST_200600_302600_NS4plusIjEEEEZZNS1_33reduce_by_key_impl_wrapped_configILNS1_25lookback_scan_determinismE0ES3_S9_NS6_6detail15normal_iteratorINS6_10device_ptrIsEEEENSD_INSE_IjEEEESG_SI_PmS8_NS6_8equal_toIsEEEE10hipError_tPvRmT2_T3_mT4_T5_T6_T7_T8_P12ihipStream_tbENKUlT_T0_E_clISt17integral_constantIbLb0EES13_EEDaSY_SZ_EUlSY_E_NS1_11comp_targetILNS1_3genE10ELNS1_11target_archE1200ELNS1_3gpuE4ELNS1_3repE0EEENS1_30default_config_static_selectorELNS0_4arch9wavefront6targetE1EEEvT1_: ; @_ZN7rocprim17ROCPRIM_400000_NS6detail17trampoline_kernelINS0_14default_configENS1_29reduce_by_key_config_selectorIsjN6thrust23THRUST_200600_302600_NS4plusIjEEEEZZNS1_33reduce_by_key_impl_wrapped_configILNS1_25lookback_scan_determinismE0ES3_S9_NS6_6detail15normal_iteratorINS6_10device_ptrIsEEEENSD_INSE_IjEEEESG_SI_PmS8_NS6_8equal_toIsEEEE10hipError_tPvRmT2_T3_mT4_T5_T6_T7_T8_P12ihipStream_tbENKUlT_T0_E_clISt17integral_constantIbLb0EES13_EEDaSY_SZ_EUlSY_E_NS1_11comp_targetILNS1_3genE10ELNS1_11target_archE1200ELNS1_3gpuE4ELNS1_3repE0EEENS1_30default_config_static_selectorELNS0_4arch9wavefront6targetE1EEEvT1_
; %bb.0:
	.section	.rodata,"a",@progbits
	.p2align	6, 0x0
	.amdhsa_kernel _ZN7rocprim17ROCPRIM_400000_NS6detail17trampoline_kernelINS0_14default_configENS1_29reduce_by_key_config_selectorIsjN6thrust23THRUST_200600_302600_NS4plusIjEEEEZZNS1_33reduce_by_key_impl_wrapped_configILNS1_25lookback_scan_determinismE0ES3_S9_NS6_6detail15normal_iteratorINS6_10device_ptrIsEEEENSD_INSE_IjEEEESG_SI_PmS8_NS6_8equal_toIsEEEE10hipError_tPvRmT2_T3_mT4_T5_T6_T7_T8_P12ihipStream_tbENKUlT_T0_E_clISt17integral_constantIbLb0EES13_EEDaSY_SZ_EUlSY_E_NS1_11comp_targetILNS1_3genE10ELNS1_11target_archE1200ELNS1_3gpuE4ELNS1_3repE0EEENS1_30default_config_static_selectorELNS0_4arch9wavefront6targetE1EEEvT1_
		.amdhsa_group_segment_fixed_size 0
		.amdhsa_private_segment_fixed_size 0
		.amdhsa_kernarg_size 120
		.amdhsa_user_sgpr_count 6
		.amdhsa_user_sgpr_private_segment_buffer 1
		.amdhsa_user_sgpr_dispatch_ptr 0
		.amdhsa_user_sgpr_queue_ptr 0
		.amdhsa_user_sgpr_kernarg_segment_ptr 1
		.amdhsa_user_sgpr_dispatch_id 0
		.amdhsa_user_sgpr_flat_scratch_init 0
		.amdhsa_user_sgpr_kernarg_preload_length 0
		.amdhsa_user_sgpr_kernarg_preload_offset 0
		.amdhsa_user_sgpr_private_segment_size 0
		.amdhsa_uses_dynamic_stack 0
		.amdhsa_system_sgpr_private_segment_wavefront_offset 0
		.amdhsa_system_sgpr_workgroup_id_x 1
		.amdhsa_system_sgpr_workgroup_id_y 0
		.amdhsa_system_sgpr_workgroup_id_z 0
		.amdhsa_system_sgpr_workgroup_info 0
		.amdhsa_system_vgpr_workitem_id 0
		.amdhsa_next_free_vgpr 1
		.amdhsa_next_free_sgpr 0
		.amdhsa_accum_offset 4
		.amdhsa_reserve_vcc 0
		.amdhsa_reserve_flat_scratch 0
		.amdhsa_float_round_mode_32 0
		.amdhsa_float_round_mode_16_64 0
		.amdhsa_float_denorm_mode_32 3
		.amdhsa_float_denorm_mode_16_64 3
		.amdhsa_dx10_clamp 1
		.amdhsa_ieee_mode 1
		.amdhsa_fp16_overflow 0
		.amdhsa_tg_split 0
		.amdhsa_exception_fp_ieee_invalid_op 0
		.amdhsa_exception_fp_denorm_src 0
		.amdhsa_exception_fp_ieee_div_zero 0
		.amdhsa_exception_fp_ieee_overflow 0
		.amdhsa_exception_fp_ieee_underflow 0
		.amdhsa_exception_fp_ieee_inexact 0
		.amdhsa_exception_int_div_zero 0
	.end_amdhsa_kernel
	.section	.text._ZN7rocprim17ROCPRIM_400000_NS6detail17trampoline_kernelINS0_14default_configENS1_29reduce_by_key_config_selectorIsjN6thrust23THRUST_200600_302600_NS4plusIjEEEEZZNS1_33reduce_by_key_impl_wrapped_configILNS1_25lookback_scan_determinismE0ES3_S9_NS6_6detail15normal_iteratorINS6_10device_ptrIsEEEENSD_INSE_IjEEEESG_SI_PmS8_NS6_8equal_toIsEEEE10hipError_tPvRmT2_T3_mT4_T5_T6_T7_T8_P12ihipStream_tbENKUlT_T0_E_clISt17integral_constantIbLb0EES13_EEDaSY_SZ_EUlSY_E_NS1_11comp_targetILNS1_3genE10ELNS1_11target_archE1200ELNS1_3gpuE4ELNS1_3repE0EEENS1_30default_config_static_selectorELNS0_4arch9wavefront6targetE1EEEvT1_,"axG",@progbits,_ZN7rocprim17ROCPRIM_400000_NS6detail17trampoline_kernelINS0_14default_configENS1_29reduce_by_key_config_selectorIsjN6thrust23THRUST_200600_302600_NS4plusIjEEEEZZNS1_33reduce_by_key_impl_wrapped_configILNS1_25lookback_scan_determinismE0ES3_S9_NS6_6detail15normal_iteratorINS6_10device_ptrIsEEEENSD_INSE_IjEEEESG_SI_PmS8_NS6_8equal_toIsEEEE10hipError_tPvRmT2_T3_mT4_T5_T6_T7_T8_P12ihipStream_tbENKUlT_T0_E_clISt17integral_constantIbLb0EES13_EEDaSY_SZ_EUlSY_E_NS1_11comp_targetILNS1_3genE10ELNS1_11target_archE1200ELNS1_3gpuE4ELNS1_3repE0EEENS1_30default_config_static_selectorELNS0_4arch9wavefront6targetE1EEEvT1_,comdat
.Lfunc_end847:
	.size	_ZN7rocprim17ROCPRIM_400000_NS6detail17trampoline_kernelINS0_14default_configENS1_29reduce_by_key_config_selectorIsjN6thrust23THRUST_200600_302600_NS4plusIjEEEEZZNS1_33reduce_by_key_impl_wrapped_configILNS1_25lookback_scan_determinismE0ES3_S9_NS6_6detail15normal_iteratorINS6_10device_ptrIsEEEENSD_INSE_IjEEEESG_SI_PmS8_NS6_8equal_toIsEEEE10hipError_tPvRmT2_T3_mT4_T5_T6_T7_T8_P12ihipStream_tbENKUlT_T0_E_clISt17integral_constantIbLb0EES13_EEDaSY_SZ_EUlSY_E_NS1_11comp_targetILNS1_3genE10ELNS1_11target_archE1200ELNS1_3gpuE4ELNS1_3repE0EEENS1_30default_config_static_selectorELNS0_4arch9wavefront6targetE1EEEvT1_, .Lfunc_end847-_ZN7rocprim17ROCPRIM_400000_NS6detail17trampoline_kernelINS0_14default_configENS1_29reduce_by_key_config_selectorIsjN6thrust23THRUST_200600_302600_NS4plusIjEEEEZZNS1_33reduce_by_key_impl_wrapped_configILNS1_25lookback_scan_determinismE0ES3_S9_NS6_6detail15normal_iteratorINS6_10device_ptrIsEEEENSD_INSE_IjEEEESG_SI_PmS8_NS6_8equal_toIsEEEE10hipError_tPvRmT2_T3_mT4_T5_T6_T7_T8_P12ihipStream_tbENKUlT_T0_E_clISt17integral_constantIbLb0EES13_EEDaSY_SZ_EUlSY_E_NS1_11comp_targetILNS1_3genE10ELNS1_11target_archE1200ELNS1_3gpuE4ELNS1_3repE0EEENS1_30default_config_static_selectorELNS0_4arch9wavefront6targetE1EEEvT1_
                                        ; -- End function
	.section	.AMDGPU.csdata,"",@progbits
; Kernel info:
; codeLenInByte = 0
; NumSgprs: 4
; NumVgprs: 0
; NumAgprs: 0
; TotalNumVgprs: 0
; ScratchSize: 0
; MemoryBound: 0
; FloatMode: 240
; IeeeMode: 1
; LDSByteSize: 0 bytes/workgroup (compile time only)
; SGPRBlocks: 0
; VGPRBlocks: 0
; NumSGPRsForWavesPerEU: 4
; NumVGPRsForWavesPerEU: 1
; AccumOffset: 4
; Occupancy: 8
; WaveLimiterHint : 0
; COMPUTE_PGM_RSRC2:SCRATCH_EN: 0
; COMPUTE_PGM_RSRC2:USER_SGPR: 6
; COMPUTE_PGM_RSRC2:TRAP_HANDLER: 0
; COMPUTE_PGM_RSRC2:TGID_X_EN: 1
; COMPUTE_PGM_RSRC2:TGID_Y_EN: 0
; COMPUTE_PGM_RSRC2:TGID_Z_EN: 0
; COMPUTE_PGM_RSRC2:TIDIG_COMP_CNT: 0
; COMPUTE_PGM_RSRC3_GFX90A:ACCUM_OFFSET: 0
; COMPUTE_PGM_RSRC3_GFX90A:TG_SPLIT: 0
	.section	.text._ZN7rocprim17ROCPRIM_400000_NS6detail17trampoline_kernelINS0_14default_configENS1_29reduce_by_key_config_selectorIsjN6thrust23THRUST_200600_302600_NS4plusIjEEEEZZNS1_33reduce_by_key_impl_wrapped_configILNS1_25lookback_scan_determinismE0ES3_S9_NS6_6detail15normal_iteratorINS6_10device_ptrIsEEEENSD_INSE_IjEEEESG_SI_PmS8_NS6_8equal_toIsEEEE10hipError_tPvRmT2_T3_mT4_T5_T6_T7_T8_P12ihipStream_tbENKUlT_T0_E_clISt17integral_constantIbLb0EES13_EEDaSY_SZ_EUlSY_E_NS1_11comp_targetILNS1_3genE9ELNS1_11target_archE1100ELNS1_3gpuE3ELNS1_3repE0EEENS1_30default_config_static_selectorELNS0_4arch9wavefront6targetE1EEEvT1_,"axG",@progbits,_ZN7rocprim17ROCPRIM_400000_NS6detail17trampoline_kernelINS0_14default_configENS1_29reduce_by_key_config_selectorIsjN6thrust23THRUST_200600_302600_NS4plusIjEEEEZZNS1_33reduce_by_key_impl_wrapped_configILNS1_25lookback_scan_determinismE0ES3_S9_NS6_6detail15normal_iteratorINS6_10device_ptrIsEEEENSD_INSE_IjEEEESG_SI_PmS8_NS6_8equal_toIsEEEE10hipError_tPvRmT2_T3_mT4_T5_T6_T7_T8_P12ihipStream_tbENKUlT_T0_E_clISt17integral_constantIbLb0EES13_EEDaSY_SZ_EUlSY_E_NS1_11comp_targetILNS1_3genE9ELNS1_11target_archE1100ELNS1_3gpuE3ELNS1_3repE0EEENS1_30default_config_static_selectorELNS0_4arch9wavefront6targetE1EEEvT1_,comdat
	.protected	_ZN7rocprim17ROCPRIM_400000_NS6detail17trampoline_kernelINS0_14default_configENS1_29reduce_by_key_config_selectorIsjN6thrust23THRUST_200600_302600_NS4plusIjEEEEZZNS1_33reduce_by_key_impl_wrapped_configILNS1_25lookback_scan_determinismE0ES3_S9_NS6_6detail15normal_iteratorINS6_10device_ptrIsEEEENSD_INSE_IjEEEESG_SI_PmS8_NS6_8equal_toIsEEEE10hipError_tPvRmT2_T3_mT4_T5_T6_T7_T8_P12ihipStream_tbENKUlT_T0_E_clISt17integral_constantIbLb0EES13_EEDaSY_SZ_EUlSY_E_NS1_11comp_targetILNS1_3genE9ELNS1_11target_archE1100ELNS1_3gpuE3ELNS1_3repE0EEENS1_30default_config_static_selectorELNS0_4arch9wavefront6targetE1EEEvT1_ ; -- Begin function _ZN7rocprim17ROCPRIM_400000_NS6detail17trampoline_kernelINS0_14default_configENS1_29reduce_by_key_config_selectorIsjN6thrust23THRUST_200600_302600_NS4plusIjEEEEZZNS1_33reduce_by_key_impl_wrapped_configILNS1_25lookback_scan_determinismE0ES3_S9_NS6_6detail15normal_iteratorINS6_10device_ptrIsEEEENSD_INSE_IjEEEESG_SI_PmS8_NS6_8equal_toIsEEEE10hipError_tPvRmT2_T3_mT4_T5_T6_T7_T8_P12ihipStream_tbENKUlT_T0_E_clISt17integral_constantIbLb0EES13_EEDaSY_SZ_EUlSY_E_NS1_11comp_targetILNS1_3genE9ELNS1_11target_archE1100ELNS1_3gpuE3ELNS1_3repE0EEENS1_30default_config_static_selectorELNS0_4arch9wavefront6targetE1EEEvT1_
	.globl	_ZN7rocprim17ROCPRIM_400000_NS6detail17trampoline_kernelINS0_14default_configENS1_29reduce_by_key_config_selectorIsjN6thrust23THRUST_200600_302600_NS4plusIjEEEEZZNS1_33reduce_by_key_impl_wrapped_configILNS1_25lookback_scan_determinismE0ES3_S9_NS6_6detail15normal_iteratorINS6_10device_ptrIsEEEENSD_INSE_IjEEEESG_SI_PmS8_NS6_8equal_toIsEEEE10hipError_tPvRmT2_T3_mT4_T5_T6_T7_T8_P12ihipStream_tbENKUlT_T0_E_clISt17integral_constantIbLb0EES13_EEDaSY_SZ_EUlSY_E_NS1_11comp_targetILNS1_3genE9ELNS1_11target_archE1100ELNS1_3gpuE3ELNS1_3repE0EEENS1_30default_config_static_selectorELNS0_4arch9wavefront6targetE1EEEvT1_
	.p2align	8
	.type	_ZN7rocprim17ROCPRIM_400000_NS6detail17trampoline_kernelINS0_14default_configENS1_29reduce_by_key_config_selectorIsjN6thrust23THRUST_200600_302600_NS4plusIjEEEEZZNS1_33reduce_by_key_impl_wrapped_configILNS1_25lookback_scan_determinismE0ES3_S9_NS6_6detail15normal_iteratorINS6_10device_ptrIsEEEENSD_INSE_IjEEEESG_SI_PmS8_NS6_8equal_toIsEEEE10hipError_tPvRmT2_T3_mT4_T5_T6_T7_T8_P12ihipStream_tbENKUlT_T0_E_clISt17integral_constantIbLb0EES13_EEDaSY_SZ_EUlSY_E_NS1_11comp_targetILNS1_3genE9ELNS1_11target_archE1100ELNS1_3gpuE3ELNS1_3repE0EEENS1_30default_config_static_selectorELNS0_4arch9wavefront6targetE1EEEvT1_,@function
_ZN7rocprim17ROCPRIM_400000_NS6detail17trampoline_kernelINS0_14default_configENS1_29reduce_by_key_config_selectorIsjN6thrust23THRUST_200600_302600_NS4plusIjEEEEZZNS1_33reduce_by_key_impl_wrapped_configILNS1_25lookback_scan_determinismE0ES3_S9_NS6_6detail15normal_iteratorINS6_10device_ptrIsEEEENSD_INSE_IjEEEESG_SI_PmS8_NS6_8equal_toIsEEEE10hipError_tPvRmT2_T3_mT4_T5_T6_T7_T8_P12ihipStream_tbENKUlT_T0_E_clISt17integral_constantIbLb0EES13_EEDaSY_SZ_EUlSY_E_NS1_11comp_targetILNS1_3genE9ELNS1_11target_archE1100ELNS1_3gpuE3ELNS1_3repE0EEENS1_30default_config_static_selectorELNS0_4arch9wavefront6targetE1EEEvT1_: ; @_ZN7rocprim17ROCPRIM_400000_NS6detail17trampoline_kernelINS0_14default_configENS1_29reduce_by_key_config_selectorIsjN6thrust23THRUST_200600_302600_NS4plusIjEEEEZZNS1_33reduce_by_key_impl_wrapped_configILNS1_25lookback_scan_determinismE0ES3_S9_NS6_6detail15normal_iteratorINS6_10device_ptrIsEEEENSD_INSE_IjEEEESG_SI_PmS8_NS6_8equal_toIsEEEE10hipError_tPvRmT2_T3_mT4_T5_T6_T7_T8_P12ihipStream_tbENKUlT_T0_E_clISt17integral_constantIbLb0EES13_EEDaSY_SZ_EUlSY_E_NS1_11comp_targetILNS1_3genE9ELNS1_11target_archE1100ELNS1_3gpuE3ELNS1_3repE0EEENS1_30default_config_static_selectorELNS0_4arch9wavefront6targetE1EEEvT1_
; %bb.0:
	.section	.rodata,"a",@progbits
	.p2align	6, 0x0
	.amdhsa_kernel _ZN7rocprim17ROCPRIM_400000_NS6detail17trampoline_kernelINS0_14default_configENS1_29reduce_by_key_config_selectorIsjN6thrust23THRUST_200600_302600_NS4plusIjEEEEZZNS1_33reduce_by_key_impl_wrapped_configILNS1_25lookback_scan_determinismE0ES3_S9_NS6_6detail15normal_iteratorINS6_10device_ptrIsEEEENSD_INSE_IjEEEESG_SI_PmS8_NS6_8equal_toIsEEEE10hipError_tPvRmT2_T3_mT4_T5_T6_T7_T8_P12ihipStream_tbENKUlT_T0_E_clISt17integral_constantIbLb0EES13_EEDaSY_SZ_EUlSY_E_NS1_11comp_targetILNS1_3genE9ELNS1_11target_archE1100ELNS1_3gpuE3ELNS1_3repE0EEENS1_30default_config_static_selectorELNS0_4arch9wavefront6targetE1EEEvT1_
		.amdhsa_group_segment_fixed_size 0
		.amdhsa_private_segment_fixed_size 0
		.amdhsa_kernarg_size 120
		.amdhsa_user_sgpr_count 6
		.amdhsa_user_sgpr_private_segment_buffer 1
		.amdhsa_user_sgpr_dispatch_ptr 0
		.amdhsa_user_sgpr_queue_ptr 0
		.amdhsa_user_sgpr_kernarg_segment_ptr 1
		.amdhsa_user_sgpr_dispatch_id 0
		.amdhsa_user_sgpr_flat_scratch_init 0
		.amdhsa_user_sgpr_kernarg_preload_length 0
		.amdhsa_user_sgpr_kernarg_preload_offset 0
		.amdhsa_user_sgpr_private_segment_size 0
		.amdhsa_uses_dynamic_stack 0
		.amdhsa_system_sgpr_private_segment_wavefront_offset 0
		.amdhsa_system_sgpr_workgroup_id_x 1
		.amdhsa_system_sgpr_workgroup_id_y 0
		.amdhsa_system_sgpr_workgroup_id_z 0
		.amdhsa_system_sgpr_workgroup_info 0
		.amdhsa_system_vgpr_workitem_id 0
		.amdhsa_next_free_vgpr 1
		.amdhsa_next_free_sgpr 0
		.amdhsa_accum_offset 4
		.amdhsa_reserve_vcc 0
		.amdhsa_reserve_flat_scratch 0
		.amdhsa_float_round_mode_32 0
		.amdhsa_float_round_mode_16_64 0
		.amdhsa_float_denorm_mode_32 3
		.amdhsa_float_denorm_mode_16_64 3
		.amdhsa_dx10_clamp 1
		.amdhsa_ieee_mode 1
		.amdhsa_fp16_overflow 0
		.amdhsa_tg_split 0
		.amdhsa_exception_fp_ieee_invalid_op 0
		.amdhsa_exception_fp_denorm_src 0
		.amdhsa_exception_fp_ieee_div_zero 0
		.amdhsa_exception_fp_ieee_overflow 0
		.amdhsa_exception_fp_ieee_underflow 0
		.amdhsa_exception_fp_ieee_inexact 0
		.amdhsa_exception_int_div_zero 0
	.end_amdhsa_kernel
	.section	.text._ZN7rocprim17ROCPRIM_400000_NS6detail17trampoline_kernelINS0_14default_configENS1_29reduce_by_key_config_selectorIsjN6thrust23THRUST_200600_302600_NS4plusIjEEEEZZNS1_33reduce_by_key_impl_wrapped_configILNS1_25lookback_scan_determinismE0ES3_S9_NS6_6detail15normal_iteratorINS6_10device_ptrIsEEEENSD_INSE_IjEEEESG_SI_PmS8_NS6_8equal_toIsEEEE10hipError_tPvRmT2_T3_mT4_T5_T6_T7_T8_P12ihipStream_tbENKUlT_T0_E_clISt17integral_constantIbLb0EES13_EEDaSY_SZ_EUlSY_E_NS1_11comp_targetILNS1_3genE9ELNS1_11target_archE1100ELNS1_3gpuE3ELNS1_3repE0EEENS1_30default_config_static_selectorELNS0_4arch9wavefront6targetE1EEEvT1_,"axG",@progbits,_ZN7rocprim17ROCPRIM_400000_NS6detail17trampoline_kernelINS0_14default_configENS1_29reduce_by_key_config_selectorIsjN6thrust23THRUST_200600_302600_NS4plusIjEEEEZZNS1_33reduce_by_key_impl_wrapped_configILNS1_25lookback_scan_determinismE0ES3_S9_NS6_6detail15normal_iteratorINS6_10device_ptrIsEEEENSD_INSE_IjEEEESG_SI_PmS8_NS6_8equal_toIsEEEE10hipError_tPvRmT2_T3_mT4_T5_T6_T7_T8_P12ihipStream_tbENKUlT_T0_E_clISt17integral_constantIbLb0EES13_EEDaSY_SZ_EUlSY_E_NS1_11comp_targetILNS1_3genE9ELNS1_11target_archE1100ELNS1_3gpuE3ELNS1_3repE0EEENS1_30default_config_static_selectorELNS0_4arch9wavefront6targetE1EEEvT1_,comdat
.Lfunc_end848:
	.size	_ZN7rocprim17ROCPRIM_400000_NS6detail17trampoline_kernelINS0_14default_configENS1_29reduce_by_key_config_selectorIsjN6thrust23THRUST_200600_302600_NS4plusIjEEEEZZNS1_33reduce_by_key_impl_wrapped_configILNS1_25lookback_scan_determinismE0ES3_S9_NS6_6detail15normal_iteratorINS6_10device_ptrIsEEEENSD_INSE_IjEEEESG_SI_PmS8_NS6_8equal_toIsEEEE10hipError_tPvRmT2_T3_mT4_T5_T6_T7_T8_P12ihipStream_tbENKUlT_T0_E_clISt17integral_constantIbLb0EES13_EEDaSY_SZ_EUlSY_E_NS1_11comp_targetILNS1_3genE9ELNS1_11target_archE1100ELNS1_3gpuE3ELNS1_3repE0EEENS1_30default_config_static_selectorELNS0_4arch9wavefront6targetE1EEEvT1_, .Lfunc_end848-_ZN7rocprim17ROCPRIM_400000_NS6detail17trampoline_kernelINS0_14default_configENS1_29reduce_by_key_config_selectorIsjN6thrust23THRUST_200600_302600_NS4plusIjEEEEZZNS1_33reduce_by_key_impl_wrapped_configILNS1_25lookback_scan_determinismE0ES3_S9_NS6_6detail15normal_iteratorINS6_10device_ptrIsEEEENSD_INSE_IjEEEESG_SI_PmS8_NS6_8equal_toIsEEEE10hipError_tPvRmT2_T3_mT4_T5_T6_T7_T8_P12ihipStream_tbENKUlT_T0_E_clISt17integral_constantIbLb0EES13_EEDaSY_SZ_EUlSY_E_NS1_11comp_targetILNS1_3genE9ELNS1_11target_archE1100ELNS1_3gpuE3ELNS1_3repE0EEENS1_30default_config_static_selectorELNS0_4arch9wavefront6targetE1EEEvT1_
                                        ; -- End function
	.section	.AMDGPU.csdata,"",@progbits
; Kernel info:
; codeLenInByte = 0
; NumSgprs: 4
; NumVgprs: 0
; NumAgprs: 0
; TotalNumVgprs: 0
; ScratchSize: 0
; MemoryBound: 0
; FloatMode: 240
; IeeeMode: 1
; LDSByteSize: 0 bytes/workgroup (compile time only)
; SGPRBlocks: 0
; VGPRBlocks: 0
; NumSGPRsForWavesPerEU: 4
; NumVGPRsForWavesPerEU: 1
; AccumOffset: 4
; Occupancy: 8
; WaveLimiterHint : 0
; COMPUTE_PGM_RSRC2:SCRATCH_EN: 0
; COMPUTE_PGM_RSRC2:USER_SGPR: 6
; COMPUTE_PGM_RSRC2:TRAP_HANDLER: 0
; COMPUTE_PGM_RSRC2:TGID_X_EN: 1
; COMPUTE_PGM_RSRC2:TGID_Y_EN: 0
; COMPUTE_PGM_RSRC2:TGID_Z_EN: 0
; COMPUTE_PGM_RSRC2:TIDIG_COMP_CNT: 0
; COMPUTE_PGM_RSRC3_GFX90A:ACCUM_OFFSET: 0
; COMPUTE_PGM_RSRC3_GFX90A:TG_SPLIT: 0
	.section	.text._ZN7rocprim17ROCPRIM_400000_NS6detail17trampoline_kernelINS0_14default_configENS1_29reduce_by_key_config_selectorIsjN6thrust23THRUST_200600_302600_NS4plusIjEEEEZZNS1_33reduce_by_key_impl_wrapped_configILNS1_25lookback_scan_determinismE0ES3_S9_NS6_6detail15normal_iteratorINS6_10device_ptrIsEEEENSD_INSE_IjEEEESG_SI_PmS8_NS6_8equal_toIsEEEE10hipError_tPvRmT2_T3_mT4_T5_T6_T7_T8_P12ihipStream_tbENKUlT_T0_E_clISt17integral_constantIbLb0EES13_EEDaSY_SZ_EUlSY_E_NS1_11comp_targetILNS1_3genE8ELNS1_11target_archE1030ELNS1_3gpuE2ELNS1_3repE0EEENS1_30default_config_static_selectorELNS0_4arch9wavefront6targetE1EEEvT1_,"axG",@progbits,_ZN7rocprim17ROCPRIM_400000_NS6detail17trampoline_kernelINS0_14default_configENS1_29reduce_by_key_config_selectorIsjN6thrust23THRUST_200600_302600_NS4plusIjEEEEZZNS1_33reduce_by_key_impl_wrapped_configILNS1_25lookback_scan_determinismE0ES3_S9_NS6_6detail15normal_iteratorINS6_10device_ptrIsEEEENSD_INSE_IjEEEESG_SI_PmS8_NS6_8equal_toIsEEEE10hipError_tPvRmT2_T3_mT4_T5_T6_T7_T8_P12ihipStream_tbENKUlT_T0_E_clISt17integral_constantIbLb0EES13_EEDaSY_SZ_EUlSY_E_NS1_11comp_targetILNS1_3genE8ELNS1_11target_archE1030ELNS1_3gpuE2ELNS1_3repE0EEENS1_30default_config_static_selectorELNS0_4arch9wavefront6targetE1EEEvT1_,comdat
	.protected	_ZN7rocprim17ROCPRIM_400000_NS6detail17trampoline_kernelINS0_14default_configENS1_29reduce_by_key_config_selectorIsjN6thrust23THRUST_200600_302600_NS4plusIjEEEEZZNS1_33reduce_by_key_impl_wrapped_configILNS1_25lookback_scan_determinismE0ES3_S9_NS6_6detail15normal_iteratorINS6_10device_ptrIsEEEENSD_INSE_IjEEEESG_SI_PmS8_NS6_8equal_toIsEEEE10hipError_tPvRmT2_T3_mT4_T5_T6_T7_T8_P12ihipStream_tbENKUlT_T0_E_clISt17integral_constantIbLb0EES13_EEDaSY_SZ_EUlSY_E_NS1_11comp_targetILNS1_3genE8ELNS1_11target_archE1030ELNS1_3gpuE2ELNS1_3repE0EEENS1_30default_config_static_selectorELNS0_4arch9wavefront6targetE1EEEvT1_ ; -- Begin function _ZN7rocprim17ROCPRIM_400000_NS6detail17trampoline_kernelINS0_14default_configENS1_29reduce_by_key_config_selectorIsjN6thrust23THRUST_200600_302600_NS4plusIjEEEEZZNS1_33reduce_by_key_impl_wrapped_configILNS1_25lookback_scan_determinismE0ES3_S9_NS6_6detail15normal_iteratorINS6_10device_ptrIsEEEENSD_INSE_IjEEEESG_SI_PmS8_NS6_8equal_toIsEEEE10hipError_tPvRmT2_T3_mT4_T5_T6_T7_T8_P12ihipStream_tbENKUlT_T0_E_clISt17integral_constantIbLb0EES13_EEDaSY_SZ_EUlSY_E_NS1_11comp_targetILNS1_3genE8ELNS1_11target_archE1030ELNS1_3gpuE2ELNS1_3repE0EEENS1_30default_config_static_selectorELNS0_4arch9wavefront6targetE1EEEvT1_
	.globl	_ZN7rocprim17ROCPRIM_400000_NS6detail17trampoline_kernelINS0_14default_configENS1_29reduce_by_key_config_selectorIsjN6thrust23THRUST_200600_302600_NS4plusIjEEEEZZNS1_33reduce_by_key_impl_wrapped_configILNS1_25lookback_scan_determinismE0ES3_S9_NS6_6detail15normal_iteratorINS6_10device_ptrIsEEEENSD_INSE_IjEEEESG_SI_PmS8_NS6_8equal_toIsEEEE10hipError_tPvRmT2_T3_mT4_T5_T6_T7_T8_P12ihipStream_tbENKUlT_T0_E_clISt17integral_constantIbLb0EES13_EEDaSY_SZ_EUlSY_E_NS1_11comp_targetILNS1_3genE8ELNS1_11target_archE1030ELNS1_3gpuE2ELNS1_3repE0EEENS1_30default_config_static_selectorELNS0_4arch9wavefront6targetE1EEEvT1_
	.p2align	8
	.type	_ZN7rocprim17ROCPRIM_400000_NS6detail17trampoline_kernelINS0_14default_configENS1_29reduce_by_key_config_selectorIsjN6thrust23THRUST_200600_302600_NS4plusIjEEEEZZNS1_33reduce_by_key_impl_wrapped_configILNS1_25lookback_scan_determinismE0ES3_S9_NS6_6detail15normal_iteratorINS6_10device_ptrIsEEEENSD_INSE_IjEEEESG_SI_PmS8_NS6_8equal_toIsEEEE10hipError_tPvRmT2_T3_mT4_T5_T6_T7_T8_P12ihipStream_tbENKUlT_T0_E_clISt17integral_constantIbLb0EES13_EEDaSY_SZ_EUlSY_E_NS1_11comp_targetILNS1_3genE8ELNS1_11target_archE1030ELNS1_3gpuE2ELNS1_3repE0EEENS1_30default_config_static_selectorELNS0_4arch9wavefront6targetE1EEEvT1_,@function
_ZN7rocprim17ROCPRIM_400000_NS6detail17trampoline_kernelINS0_14default_configENS1_29reduce_by_key_config_selectorIsjN6thrust23THRUST_200600_302600_NS4plusIjEEEEZZNS1_33reduce_by_key_impl_wrapped_configILNS1_25lookback_scan_determinismE0ES3_S9_NS6_6detail15normal_iteratorINS6_10device_ptrIsEEEENSD_INSE_IjEEEESG_SI_PmS8_NS6_8equal_toIsEEEE10hipError_tPvRmT2_T3_mT4_T5_T6_T7_T8_P12ihipStream_tbENKUlT_T0_E_clISt17integral_constantIbLb0EES13_EEDaSY_SZ_EUlSY_E_NS1_11comp_targetILNS1_3genE8ELNS1_11target_archE1030ELNS1_3gpuE2ELNS1_3repE0EEENS1_30default_config_static_selectorELNS0_4arch9wavefront6targetE1EEEvT1_: ; @_ZN7rocprim17ROCPRIM_400000_NS6detail17trampoline_kernelINS0_14default_configENS1_29reduce_by_key_config_selectorIsjN6thrust23THRUST_200600_302600_NS4plusIjEEEEZZNS1_33reduce_by_key_impl_wrapped_configILNS1_25lookback_scan_determinismE0ES3_S9_NS6_6detail15normal_iteratorINS6_10device_ptrIsEEEENSD_INSE_IjEEEESG_SI_PmS8_NS6_8equal_toIsEEEE10hipError_tPvRmT2_T3_mT4_T5_T6_T7_T8_P12ihipStream_tbENKUlT_T0_E_clISt17integral_constantIbLb0EES13_EEDaSY_SZ_EUlSY_E_NS1_11comp_targetILNS1_3genE8ELNS1_11target_archE1030ELNS1_3gpuE2ELNS1_3repE0EEENS1_30default_config_static_selectorELNS0_4arch9wavefront6targetE1EEEvT1_
; %bb.0:
	.section	.rodata,"a",@progbits
	.p2align	6, 0x0
	.amdhsa_kernel _ZN7rocprim17ROCPRIM_400000_NS6detail17trampoline_kernelINS0_14default_configENS1_29reduce_by_key_config_selectorIsjN6thrust23THRUST_200600_302600_NS4plusIjEEEEZZNS1_33reduce_by_key_impl_wrapped_configILNS1_25lookback_scan_determinismE0ES3_S9_NS6_6detail15normal_iteratorINS6_10device_ptrIsEEEENSD_INSE_IjEEEESG_SI_PmS8_NS6_8equal_toIsEEEE10hipError_tPvRmT2_T3_mT4_T5_T6_T7_T8_P12ihipStream_tbENKUlT_T0_E_clISt17integral_constantIbLb0EES13_EEDaSY_SZ_EUlSY_E_NS1_11comp_targetILNS1_3genE8ELNS1_11target_archE1030ELNS1_3gpuE2ELNS1_3repE0EEENS1_30default_config_static_selectorELNS0_4arch9wavefront6targetE1EEEvT1_
		.amdhsa_group_segment_fixed_size 0
		.amdhsa_private_segment_fixed_size 0
		.amdhsa_kernarg_size 120
		.amdhsa_user_sgpr_count 6
		.amdhsa_user_sgpr_private_segment_buffer 1
		.amdhsa_user_sgpr_dispatch_ptr 0
		.amdhsa_user_sgpr_queue_ptr 0
		.amdhsa_user_sgpr_kernarg_segment_ptr 1
		.amdhsa_user_sgpr_dispatch_id 0
		.amdhsa_user_sgpr_flat_scratch_init 0
		.amdhsa_user_sgpr_kernarg_preload_length 0
		.amdhsa_user_sgpr_kernarg_preload_offset 0
		.amdhsa_user_sgpr_private_segment_size 0
		.amdhsa_uses_dynamic_stack 0
		.amdhsa_system_sgpr_private_segment_wavefront_offset 0
		.amdhsa_system_sgpr_workgroup_id_x 1
		.amdhsa_system_sgpr_workgroup_id_y 0
		.amdhsa_system_sgpr_workgroup_id_z 0
		.amdhsa_system_sgpr_workgroup_info 0
		.amdhsa_system_vgpr_workitem_id 0
		.amdhsa_next_free_vgpr 1
		.amdhsa_next_free_sgpr 0
		.amdhsa_accum_offset 4
		.amdhsa_reserve_vcc 0
		.amdhsa_reserve_flat_scratch 0
		.amdhsa_float_round_mode_32 0
		.amdhsa_float_round_mode_16_64 0
		.amdhsa_float_denorm_mode_32 3
		.amdhsa_float_denorm_mode_16_64 3
		.amdhsa_dx10_clamp 1
		.amdhsa_ieee_mode 1
		.amdhsa_fp16_overflow 0
		.amdhsa_tg_split 0
		.amdhsa_exception_fp_ieee_invalid_op 0
		.amdhsa_exception_fp_denorm_src 0
		.amdhsa_exception_fp_ieee_div_zero 0
		.amdhsa_exception_fp_ieee_overflow 0
		.amdhsa_exception_fp_ieee_underflow 0
		.amdhsa_exception_fp_ieee_inexact 0
		.amdhsa_exception_int_div_zero 0
	.end_amdhsa_kernel
	.section	.text._ZN7rocprim17ROCPRIM_400000_NS6detail17trampoline_kernelINS0_14default_configENS1_29reduce_by_key_config_selectorIsjN6thrust23THRUST_200600_302600_NS4plusIjEEEEZZNS1_33reduce_by_key_impl_wrapped_configILNS1_25lookback_scan_determinismE0ES3_S9_NS6_6detail15normal_iteratorINS6_10device_ptrIsEEEENSD_INSE_IjEEEESG_SI_PmS8_NS6_8equal_toIsEEEE10hipError_tPvRmT2_T3_mT4_T5_T6_T7_T8_P12ihipStream_tbENKUlT_T0_E_clISt17integral_constantIbLb0EES13_EEDaSY_SZ_EUlSY_E_NS1_11comp_targetILNS1_3genE8ELNS1_11target_archE1030ELNS1_3gpuE2ELNS1_3repE0EEENS1_30default_config_static_selectorELNS0_4arch9wavefront6targetE1EEEvT1_,"axG",@progbits,_ZN7rocprim17ROCPRIM_400000_NS6detail17trampoline_kernelINS0_14default_configENS1_29reduce_by_key_config_selectorIsjN6thrust23THRUST_200600_302600_NS4plusIjEEEEZZNS1_33reduce_by_key_impl_wrapped_configILNS1_25lookback_scan_determinismE0ES3_S9_NS6_6detail15normal_iteratorINS6_10device_ptrIsEEEENSD_INSE_IjEEEESG_SI_PmS8_NS6_8equal_toIsEEEE10hipError_tPvRmT2_T3_mT4_T5_T6_T7_T8_P12ihipStream_tbENKUlT_T0_E_clISt17integral_constantIbLb0EES13_EEDaSY_SZ_EUlSY_E_NS1_11comp_targetILNS1_3genE8ELNS1_11target_archE1030ELNS1_3gpuE2ELNS1_3repE0EEENS1_30default_config_static_selectorELNS0_4arch9wavefront6targetE1EEEvT1_,comdat
.Lfunc_end849:
	.size	_ZN7rocprim17ROCPRIM_400000_NS6detail17trampoline_kernelINS0_14default_configENS1_29reduce_by_key_config_selectorIsjN6thrust23THRUST_200600_302600_NS4plusIjEEEEZZNS1_33reduce_by_key_impl_wrapped_configILNS1_25lookback_scan_determinismE0ES3_S9_NS6_6detail15normal_iteratorINS6_10device_ptrIsEEEENSD_INSE_IjEEEESG_SI_PmS8_NS6_8equal_toIsEEEE10hipError_tPvRmT2_T3_mT4_T5_T6_T7_T8_P12ihipStream_tbENKUlT_T0_E_clISt17integral_constantIbLb0EES13_EEDaSY_SZ_EUlSY_E_NS1_11comp_targetILNS1_3genE8ELNS1_11target_archE1030ELNS1_3gpuE2ELNS1_3repE0EEENS1_30default_config_static_selectorELNS0_4arch9wavefront6targetE1EEEvT1_, .Lfunc_end849-_ZN7rocprim17ROCPRIM_400000_NS6detail17trampoline_kernelINS0_14default_configENS1_29reduce_by_key_config_selectorIsjN6thrust23THRUST_200600_302600_NS4plusIjEEEEZZNS1_33reduce_by_key_impl_wrapped_configILNS1_25lookback_scan_determinismE0ES3_S9_NS6_6detail15normal_iteratorINS6_10device_ptrIsEEEENSD_INSE_IjEEEESG_SI_PmS8_NS6_8equal_toIsEEEE10hipError_tPvRmT2_T3_mT4_T5_T6_T7_T8_P12ihipStream_tbENKUlT_T0_E_clISt17integral_constantIbLb0EES13_EEDaSY_SZ_EUlSY_E_NS1_11comp_targetILNS1_3genE8ELNS1_11target_archE1030ELNS1_3gpuE2ELNS1_3repE0EEENS1_30default_config_static_selectorELNS0_4arch9wavefront6targetE1EEEvT1_
                                        ; -- End function
	.section	.AMDGPU.csdata,"",@progbits
; Kernel info:
; codeLenInByte = 0
; NumSgprs: 4
; NumVgprs: 0
; NumAgprs: 0
; TotalNumVgprs: 0
; ScratchSize: 0
; MemoryBound: 0
; FloatMode: 240
; IeeeMode: 1
; LDSByteSize: 0 bytes/workgroup (compile time only)
; SGPRBlocks: 0
; VGPRBlocks: 0
; NumSGPRsForWavesPerEU: 4
; NumVGPRsForWavesPerEU: 1
; AccumOffset: 4
; Occupancy: 8
; WaveLimiterHint : 0
; COMPUTE_PGM_RSRC2:SCRATCH_EN: 0
; COMPUTE_PGM_RSRC2:USER_SGPR: 6
; COMPUTE_PGM_RSRC2:TRAP_HANDLER: 0
; COMPUTE_PGM_RSRC2:TGID_X_EN: 1
; COMPUTE_PGM_RSRC2:TGID_Y_EN: 0
; COMPUTE_PGM_RSRC2:TGID_Z_EN: 0
; COMPUTE_PGM_RSRC2:TIDIG_COMP_CNT: 0
; COMPUTE_PGM_RSRC3_GFX90A:ACCUM_OFFSET: 0
; COMPUTE_PGM_RSRC3_GFX90A:TG_SPLIT: 0
	.section	.text._ZN7rocprim17ROCPRIM_400000_NS6detail17trampoline_kernelINS0_14default_configENS1_29reduce_by_key_config_selectorIsjN6thrust23THRUST_200600_302600_NS4plusIjEEEEZZNS1_33reduce_by_key_impl_wrapped_configILNS1_25lookback_scan_determinismE0ES3_S9_NS6_6detail15normal_iteratorINS6_10device_ptrIsEEEENSD_INSE_IjEEEESG_SI_PmS8_NS6_8equal_toIsEEEE10hipError_tPvRmT2_T3_mT4_T5_T6_T7_T8_P12ihipStream_tbENKUlT_T0_E_clISt17integral_constantIbLb1EES13_EEDaSY_SZ_EUlSY_E_NS1_11comp_targetILNS1_3genE0ELNS1_11target_archE4294967295ELNS1_3gpuE0ELNS1_3repE0EEENS1_30default_config_static_selectorELNS0_4arch9wavefront6targetE1EEEvT1_,"axG",@progbits,_ZN7rocprim17ROCPRIM_400000_NS6detail17trampoline_kernelINS0_14default_configENS1_29reduce_by_key_config_selectorIsjN6thrust23THRUST_200600_302600_NS4plusIjEEEEZZNS1_33reduce_by_key_impl_wrapped_configILNS1_25lookback_scan_determinismE0ES3_S9_NS6_6detail15normal_iteratorINS6_10device_ptrIsEEEENSD_INSE_IjEEEESG_SI_PmS8_NS6_8equal_toIsEEEE10hipError_tPvRmT2_T3_mT4_T5_T6_T7_T8_P12ihipStream_tbENKUlT_T0_E_clISt17integral_constantIbLb1EES13_EEDaSY_SZ_EUlSY_E_NS1_11comp_targetILNS1_3genE0ELNS1_11target_archE4294967295ELNS1_3gpuE0ELNS1_3repE0EEENS1_30default_config_static_selectorELNS0_4arch9wavefront6targetE1EEEvT1_,comdat
	.protected	_ZN7rocprim17ROCPRIM_400000_NS6detail17trampoline_kernelINS0_14default_configENS1_29reduce_by_key_config_selectorIsjN6thrust23THRUST_200600_302600_NS4plusIjEEEEZZNS1_33reduce_by_key_impl_wrapped_configILNS1_25lookback_scan_determinismE0ES3_S9_NS6_6detail15normal_iteratorINS6_10device_ptrIsEEEENSD_INSE_IjEEEESG_SI_PmS8_NS6_8equal_toIsEEEE10hipError_tPvRmT2_T3_mT4_T5_T6_T7_T8_P12ihipStream_tbENKUlT_T0_E_clISt17integral_constantIbLb1EES13_EEDaSY_SZ_EUlSY_E_NS1_11comp_targetILNS1_3genE0ELNS1_11target_archE4294967295ELNS1_3gpuE0ELNS1_3repE0EEENS1_30default_config_static_selectorELNS0_4arch9wavefront6targetE1EEEvT1_ ; -- Begin function _ZN7rocprim17ROCPRIM_400000_NS6detail17trampoline_kernelINS0_14default_configENS1_29reduce_by_key_config_selectorIsjN6thrust23THRUST_200600_302600_NS4plusIjEEEEZZNS1_33reduce_by_key_impl_wrapped_configILNS1_25lookback_scan_determinismE0ES3_S9_NS6_6detail15normal_iteratorINS6_10device_ptrIsEEEENSD_INSE_IjEEEESG_SI_PmS8_NS6_8equal_toIsEEEE10hipError_tPvRmT2_T3_mT4_T5_T6_T7_T8_P12ihipStream_tbENKUlT_T0_E_clISt17integral_constantIbLb1EES13_EEDaSY_SZ_EUlSY_E_NS1_11comp_targetILNS1_3genE0ELNS1_11target_archE4294967295ELNS1_3gpuE0ELNS1_3repE0EEENS1_30default_config_static_selectorELNS0_4arch9wavefront6targetE1EEEvT1_
	.globl	_ZN7rocprim17ROCPRIM_400000_NS6detail17trampoline_kernelINS0_14default_configENS1_29reduce_by_key_config_selectorIsjN6thrust23THRUST_200600_302600_NS4plusIjEEEEZZNS1_33reduce_by_key_impl_wrapped_configILNS1_25lookback_scan_determinismE0ES3_S9_NS6_6detail15normal_iteratorINS6_10device_ptrIsEEEENSD_INSE_IjEEEESG_SI_PmS8_NS6_8equal_toIsEEEE10hipError_tPvRmT2_T3_mT4_T5_T6_T7_T8_P12ihipStream_tbENKUlT_T0_E_clISt17integral_constantIbLb1EES13_EEDaSY_SZ_EUlSY_E_NS1_11comp_targetILNS1_3genE0ELNS1_11target_archE4294967295ELNS1_3gpuE0ELNS1_3repE0EEENS1_30default_config_static_selectorELNS0_4arch9wavefront6targetE1EEEvT1_
	.p2align	8
	.type	_ZN7rocprim17ROCPRIM_400000_NS6detail17trampoline_kernelINS0_14default_configENS1_29reduce_by_key_config_selectorIsjN6thrust23THRUST_200600_302600_NS4plusIjEEEEZZNS1_33reduce_by_key_impl_wrapped_configILNS1_25lookback_scan_determinismE0ES3_S9_NS6_6detail15normal_iteratorINS6_10device_ptrIsEEEENSD_INSE_IjEEEESG_SI_PmS8_NS6_8equal_toIsEEEE10hipError_tPvRmT2_T3_mT4_T5_T6_T7_T8_P12ihipStream_tbENKUlT_T0_E_clISt17integral_constantIbLb1EES13_EEDaSY_SZ_EUlSY_E_NS1_11comp_targetILNS1_3genE0ELNS1_11target_archE4294967295ELNS1_3gpuE0ELNS1_3repE0EEENS1_30default_config_static_selectorELNS0_4arch9wavefront6targetE1EEEvT1_,@function
_ZN7rocprim17ROCPRIM_400000_NS6detail17trampoline_kernelINS0_14default_configENS1_29reduce_by_key_config_selectorIsjN6thrust23THRUST_200600_302600_NS4plusIjEEEEZZNS1_33reduce_by_key_impl_wrapped_configILNS1_25lookback_scan_determinismE0ES3_S9_NS6_6detail15normal_iteratorINS6_10device_ptrIsEEEENSD_INSE_IjEEEESG_SI_PmS8_NS6_8equal_toIsEEEE10hipError_tPvRmT2_T3_mT4_T5_T6_T7_T8_P12ihipStream_tbENKUlT_T0_E_clISt17integral_constantIbLb1EES13_EEDaSY_SZ_EUlSY_E_NS1_11comp_targetILNS1_3genE0ELNS1_11target_archE4294967295ELNS1_3gpuE0ELNS1_3repE0EEENS1_30default_config_static_selectorELNS0_4arch9wavefront6targetE1EEEvT1_: ; @_ZN7rocprim17ROCPRIM_400000_NS6detail17trampoline_kernelINS0_14default_configENS1_29reduce_by_key_config_selectorIsjN6thrust23THRUST_200600_302600_NS4plusIjEEEEZZNS1_33reduce_by_key_impl_wrapped_configILNS1_25lookback_scan_determinismE0ES3_S9_NS6_6detail15normal_iteratorINS6_10device_ptrIsEEEENSD_INSE_IjEEEESG_SI_PmS8_NS6_8equal_toIsEEEE10hipError_tPvRmT2_T3_mT4_T5_T6_T7_T8_P12ihipStream_tbENKUlT_T0_E_clISt17integral_constantIbLb1EES13_EEDaSY_SZ_EUlSY_E_NS1_11comp_targetILNS1_3genE0ELNS1_11target_archE4294967295ELNS1_3gpuE0ELNS1_3repE0EEENS1_30default_config_static_selectorELNS0_4arch9wavefront6targetE1EEEvT1_
; %bb.0:
	.section	.rodata,"a",@progbits
	.p2align	6, 0x0
	.amdhsa_kernel _ZN7rocprim17ROCPRIM_400000_NS6detail17trampoline_kernelINS0_14default_configENS1_29reduce_by_key_config_selectorIsjN6thrust23THRUST_200600_302600_NS4plusIjEEEEZZNS1_33reduce_by_key_impl_wrapped_configILNS1_25lookback_scan_determinismE0ES3_S9_NS6_6detail15normal_iteratorINS6_10device_ptrIsEEEENSD_INSE_IjEEEESG_SI_PmS8_NS6_8equal_toIsEEEE10hipError_tPvRmT2_T3_mT4_T5_T6_T7_T8_P12ihipStream_tbENKUlT_T0_E_clISt17integral_constantIbLb1EES13_EEDaSY_SZ_EUlSY_E_NS1_11comp_targetILNS1_3genE0ELNS1_11target_archE4294967295ELNS1_3gpuE0ELNS1_3repE0EEENS1_30default_config_static_selectorELNS0_4arch9wavefront6targetE1EEEvT1_
		.amdhsa_group_segment_fixed_size 0
		.amdhsa_private_segment_fixed_size 0
		.amdhsa_kernarg_size 120
		.amdhsa_user_sgpr_count 6
		.amdhsa_user_sgpr_private_segment_buffer 1
		.amdhsa_user_sgpr_dispatch_ptr 0
		.amdhsa_user_sgpr_queue_ptr 0
		.amdhsa_user_sgpr_kernarg_segment_ptr 1
		.amdhsa_user_sgpr_dispatch_id 0
		.amdhsa_user_sgpr_flat_scratch_init 0
		.amdhsa_user_sgpr_kernarg_preload_length 0
		.amdhsa_user_sgpr_kernarg_preload_offset 0
		.amdhsa_user_sgpr_private_segment_size 0
		.amdhsa_uses_dynamic_stack 0
		.amdhsa_system_sgpr_private_segment_wavefront_offset 0
		.amdhsa_system_sgpr_workgroup_id_x 1
		.amdhsa_system_sgpr_workgroup_id_y 0
		.amdhsa_system_sgpr_workgroup_id_z 0
		.amdhsa_system_sgpr_workgroup_info 0
		.amdhsa_system_vgpr_workitem_id 0
		.amdhsa_next_free_vgpr 1
		.amdhsa_next_free_sgpr 0
		.amdhsa_accum_offset 4
		.amdhsa_reserve_vcc 0
		.amdhsa_reserve_flat_scratch 0
		.amdhsa_float_round_mode_32 0
		.amdhsa_float_round_mode_16_64 0
		.amdhsa_float_denorm_mode_32 3
		.amdhsa_float_denorm_mode_16_64 3
		.amdhsa_dx10_clamp 1
		.amdhsa_ieee_mode 1
		.amdhsa_fp16_overflow 0
		.amdhsa_tg_split 0
		.amdhsa_exception_fp_ieee_invalid_op 0
		.amdhsa_exception_fp_denorm_src 0
		.amdhsa_exception_fp_ieee_div_zero 0
		.amdhsa_exception_fp_ieee_overflow 0
		.amdhsa_exception_fp_ieee_underflow 0
		.amdhsa_exception_fp_ieee_inexact 0
		.amdhsa_exception_int_div_zero 0
	.end_amdhsa_kernel
	.section	.text._ZN7rocprim17ROCPRIM_400000_NS6detail17trampoline_kernelINS0_14default_configENS1_29reduce_by_key_config_selectorIsjN6thrust23THRUST_200600_302600_NS4plusIjEEEEZZNS1_33reduce_by_key_impl_wrapped_configILNS1_25lookback_scan_determinismE0ES3_S9_NS6_6detail15normal_iteratorINS6_10device_ptrIsEEEENSD_INSE_IjEEEESG_SI_PmS8_NS6_8equal_toIsEEEE10hipError_tPvRmT2_T3_mT4_T5_T6_T7_T8_P12ihipStream_tbENKUlT_T0_E_clISt17integral_constantIbLb1EES13_EEDaSY_SZ_EUlSY_E_NS1_11comp_targetILNS1_3genE0ELNS1_11target_archE4294967295ELNS1_3gpuE0ELNS1_3repE0EEENS1_30default_config_static_selectorELNS0_4arch9wavefront6targetE1EEEvT1_,"axG",@progbits,_ZN7rocprim17ROCPRIM_400000_NS6detail17trampoline_kernelINS0_14default_configENS1_29reduce_by_key_config_selectorIsjN6thrust23THRUST_200600_302600_NS4plusIjEEEEZZNS1_33reduce_by_key_impl_wrapped_configILNS1_25lookback_scan_determinismE0ES3_S9_NS6_6detail15normal_iteratorINS6_10device_ptrIsEEEENSD_INSE_IjEEEESG_SI_PmS8_NS6_8equal_toIsEEEE10hipError_tPvRmT2_T3_mT4_T5_T6_T7_T8_P12ihipStream_tbENKUlT_T0_E_clISt17integral_constantIbLb1EES13_EEDaSY_SZ_EUlSY_E_NS1_11comp_targetILNS1_3genE0ELNS1_11target_archE4294967295ELNS1_3gpuE0ELNS1_3repE0EEENS1_30default_config_static_selectorELNS0_4arch9wavefront6targetE1EEEvT1_,comdat
.Lfunc_end850:
	.size	_ZN7rocprim17ROCPRIM_400000_NS6detail17trampoline_kernelINS0_14default_configENS1_29reduce_by_key_config_selectorIsjN6thrust23THRUST_200600_302600_NS4plusIjEEEEZZNS1_33reduce_by_key_impl_wrapped_configILNS1_25lookback_scan_determinismE0ES3_S9_NS6_6detail15normal_iteratorINS6_10device_ptrIsEEEENSD_INSE_IjEEEESG_SI_PmS8_NS6_8equal_toIsEEEE10hipError_tPvRmT2_T3_mT4_T5_T6_T7_T8_P12ihipStream_tbENKUlT_T0_E_clISt17integral_constantIbLb1EES13_EEDaSY_SZ_EUlSY_E_NS1_11comp_targetILNS1_3genE0ELNS1_11target_archE4294967295ELNS1_3gpuE0ELNS1_3repE0EEENS1_30default_config_static_selectorELNS0_4arch9wavefront6targetE1EEEvT1_, .Lfunc_end850-_ZN7rocprim17ROCPRIM_400000_NS6detail17trampoline_kernelINS0_14default_configENS1_29reduce_by_key_config_selectorIsjN6thrust23THRUST_200600_302600_NS4plusIjEEEEZZNS1_33reduce_by_key_impl_wrapped_configILNS1_25lookback_scan_determinismE0ES3_S9_NS6_6detail15normal_iteratorINS6_10device_ptrIsEEEENSD_INSE_IjEEEESG_SI_PmS8_NS6_8equal_toIsEEEE10hipError_tPvRmT2_T3_mT4_T5_T6_T7_T8_P12ihipStream_tbENKUlT_T0_E_clISt17integral_constantIbLb1EES13_EEDaSY_SZ_EUlSY_E_NS1_11comp_targetILNS1_3genE0ELNS1_11target_archE4294967295ELNS1_3gpuE0ELNS1_3repE0EEENS1_30default_config_static_selectorELNS0_4arch9wavefront6targetE1EEEvT1_
                                        ; -- End function
	.section	.AMDGPU.csdata,"",@progbits
; Kernel info:
; codeLenInByte = 0
; NumSgprs: 4
; NumVgprs: 0
; NumAgprs: 0
; TotalNumVgprs: 0
; ScratchSize: 0
; MemoryBound: 0
; FloatMode: 240
; IeeeMode: 1
; LDSByteSize: 0 bytes/workgroup (compile time only)
; SGPRBlocks: 0
; VGPRBlocks: 0
; NumSGPRsForWavesPerEU: 4
; NumVGPRsForWavesPerEU: 1
; AccumOffset: 4
; Occupancy: 8
; WaveLimiterHint : 0
; COMPUTE_PGM_RSRC2:SCRATCH_EN: 0
; COMPUTE_PGM_RSRC2:USER_SGPR: 6
; COMPUTE_PGM_RSRC2:TRAP_HANDLER: 0
; COMPUTE_PGM_RSRC2:TGID_X_EN: 1
; COMPUTE_PGM_RSRC2:TGID_Y_EN: 0
; COMPUTE_PGM_RSRC2:TGID_Z_EN: 0
; COMPUTE_PGM_RSRC2:TIDIG_COMP_CNT: 0
; COMPUTE_PGM_RSRC3_GFX90A:ACCUM_OFFSET: 0
; COMPUTE_PGM_RSRC3_GFX90A:TG_SPLIT: 0
	.section	.text._ZN7rocprim17ROCPRIM_400000_NS6detail17trampoline_kernelINS0_14default_configENS1_29reduce_by_key_config_selectorIsjN6thrust23THRUST_200600_302600_NS4plusIjEEEEZZNS1_33reduce_by_key_impl_wrapped_configILNS1_25lookback_scan_determinismE0ES3_S9_NS6_6detail15normal_iteratorINS6_10device_ptrIsEEEENSD_INSE_IjEEEESG_SI_PmS8_NS6_8equal_toIsEEEE10hipError_tPvRmT2_T3_mT4_T5_T6_T7_T8_P12ihipStream_tbENKUlT_T0_E_clISt17integral_constantIbLb1EES13_EEDaSY_SZ_EUlSY_E_NS1_11comp_targetILNS1_3genE5ELNS1_11target_archE942ELNS1_3gpuE9ELNS1_3repE0EEENS1_30default_config_static_selectorELNS0_4arch9wavefront6targetE1EEEvT1_,"axG",@progbits,_ZN7rocprim17ROCPRIM_400000_NS6detail17trampoline_kernelINS0_14default_configENS1_29reduce_by_key_config_selectorIsjN6thrust23THRUST_200600_302600_NS4plusIjEEEEZZNS1_33reduce_by_key_impl_wrapped_configILNS1_25lookback_scan_determinismE0ES3_S9_NS6_6detail15normal_iteratorINS6_10device_ptrIsEEEENSD_INSE_IjEEEESG_SI_PmS8_NS6_8equal_toIsEEEE10hipError_tPvRmT2_T3_mT4_T5_T6_T7_T8_P12ihipStream_tbENKUlT_T0_E_clISt17integral_constantIbLb1EES13_EEDaSY_SZ_EUlSY_E_NS1_11comp_targetILNS1_3genE5ELNS1_11target_archE942ELNS1_3gpuE9ELNS1_3repE0EEENS1_30default_config_static_selectorELNS0_4arch9wavefront6targetE1EEEvT1_,comdat
	.protected	_ZN7rocprim17ROCPRIM_400000_NS6detail17trampoline_kernelINS0_14default_configENS1_29reduce_by_key_config_selectorIsjN6thrust23THRUST_200600_302600_NS4plusIjEEEEZZNS1_33reduce_by_key_impl_wrapped_configILNS1_25lookback_scan_determinismE0ES3_S9_NS6_6detail15normal_iteratorINS6_10device_ptrIsEEEENSD_INSE_IjEEEESG_SI_PmS8_NS6_8equal_toIsEEEE10hipError_tPvRmT2_T3_mT4_T5_T6_T7_T8_P12ihipStream_tbENKUlT_T0_E_clISt17integral_constantIbLb1EES13_EEDaSY_SZ_EUlSY_E_NS1_11comp_targetILNS1_3genE5ELNS1_11target_archE942ELNS1_3gpuE9ELNS1_3repE0EEENS1_30default_config_static_selectorELNS0_4arch9wavefront6targetE1EEEvT1_ ; -- Begin function _ZN7rocprim17ROCPRIM_400000_NS6detail17trampoline_kernelINS0_14default_configENS1_29reduce_by_key_config_selectorIsjN6thrust23THRUST_200600_302600_NS4plusIjEEEEZZNS1_33reduce_by_key_impl_wrapped_configILNS1_25lookback_scan_determinismE0ES3_S9_NS6_6detail15normal_iteratorINS6_10device_ptrIsEEEENSD_INSE_IjEEEESG_SI_PmS8_NS6_8equal_toIsEEEE10hipError_tPvRmT2_T3_mT4_T5_T6_T7_T8_P12ihipStream_tbENKUlT_T0_E_clISt17integral_constantIbLb1EES13_EEDaSY_SZ_EUlSY_E_NS1_11comp_targetILNS1_3genE5ELNS1_11target_archE942ELNS1_3gpuE9ELNS1_3repE0EEENS1_30default_config_static_selectorELNS0_4arch9wavefront6targetE1EEEvT1_
	.globl	_ZN7rocprim17ROCPRIM_400000_NS6detail17trampoline_kernelINS0_14default_configENS1_29reduce_by_key_config_selectorIsjN6thrust23THRUST_200600_302600_NS4plusIjEEEEZZNS1_33reduce_by_key_impl_wrapped_configILNS1_25lookback_scan_determinismE0ES3_S9_NS6_6detail15normal_iteratorINS6_10device_ptrIsEEEENSD_INSE_IjEEEESG_SI_PmS8_NS6_8equal_toIsEEEE10hipError_tPvRmT2_T3_mT4_T5_T6_T7_T8_P12ihipStream_tbENKUlT_T0_E_clISt17integral_constantIbLb1EES13_EEDaSY_SZ_EUlSY_E_NS1_11comp_targetILNS1_3genE5ELNS1_11target_archE942ELNS1_3gpuE9ELNS1_3repE0EEENS1_30default_config_static_selectorELNS0_4arch9wavefront6targetE1EEEvT1_
	.p2align	8
	.type	_ZN7rocprim17ROCPRIM_400000_NS6detail17trampoline_kernelINS0_14default_configENS1_29reduce_by_key_config_selectorIsjN6thrust23THRUST_200600_302600_NS4plusIjEEEEZZNS1_33reduce_by_key_impl_wrapped_configILNS1_25lookback_scan_determinismE0ES3_S9_NS6_6detail15normal_iteratorINS6_10device_ptrIsEEEENSD_INSE_IjEEEESG_SI_PmS8_NS6_8equal_toIsEEEE10hipError_tPvRmT2_T3_mT4_T5_T6_T7_T8_P12ihipStream_tbENKUlT_T0_E_clISt17integral_constantIbLb1EES13_EEDaSY_SZ_EUlSY_E_NS1_11comp_targetILNS1_3genE5ELNS1_11target_archE942ELNS1_3gpuE9ELNS1_3repE0EEENS1_30default_config_static_selectorELNS0_4arch9wavefront6targetE1EEEvT1_,@function
_ZN7rocprim17ROCPRIM_400000_NS6detail17trampoline_kernelINS0_14default_configENS1_29reduce_by_key_config_selectorIsjN6thrust23THRUST_200600_302600_NS4plusIjEEEEZZNS1_33reduce_by_key_impl_wrapped_configILNS1_25lookback_scan_determinismE0ES3_S9_NS6_6detail15normal_iteratorINS6_10device_ptrIsEEEENSD_INSE_IjEEEESG_SI_PmS8_NS6_8equal_toIsEEEE10hipError_tPvRmT2_T3_mT4_T5_T6_T7_T8_P12ihipStream_tbENKUlT_T0_E_clISt17integral_constantIbLb1EES13_EEDaSY_SZ_EUlSY_E_NS1_11comp_targetILNS1_3genE5ELNS1_11target_archE942ELNS1_3gpuE9ELNS1_3repE0EEENS1_30default_config_static_selectorELNS0_4arch9wavefront6targetE1EEEvT1_: ; @_ZN7rocprim17ROCPRIM_400000_NS6detail17trampoline_kernelINS0_14default_configENS1_29reduce_by_key_config_selectorIsjN6thrust23THRUST_200600_302600_NS4plusIjEEEEZZNS1_33reduce_by_key_impl_wrapped_configILNS1_25lookback_scan_determinismE0ES3_S9_NS6_6detail15normal_iteratorINS6_10device_ptrIsEEEENSD_INSE_IjEEEESG_SI_PmS8_NS6_8equal_toIsEEEE10hipError_tPvRmT2_T3_mT4_T5_T6_T7_T8_P12ihipStream_tbENKUlT_T0_E_clISt17integral_constantIbLb1EES13_EEDaSY_SZ_EUlSY_E_NS1_11comp_targetILNS1_3genE5ELNS1_11target_archE942ELNS1_3gpuE9ELNS1_3repE0EEENS1_30default_config_static_selectorELNS0_4arch9wavefront6targetE1EEEvT1_
; %bb.0:
	.section	.rodata,"a",@progbits
	.p2align	6, 0x0
	.amdhsa_kernel _ZN7rocprim17ROCPRIM_400000_NS6detail17trampoline_kernelINS0_14default_configENS1_29reduce_by_key_config_selectorIsjN6thrust23THRUST_200600_302600_NS4plusIjEEEEZZNS1_33reduce_by_key_impl_wrapped_configILNS1_25lookback_scan_determinismE0ES3_S9_NS6_6detail15normal_iteratorINS6_10device_ptrIsEEEENSD_INSE_IjEEEESG_SI_PmS8_NS6_8equal_toIsEEEE10hipError_tPvRmT2_T3_mT4_T5_T6_T7_T8_P12ihipStream_tbENKUlT_T0_E_clISt17integral_constantIbLb1EES13_EEDaSY_SZ_EUlSY_E_NS1_11comp_targetILNS1_3genE5ELNS1_11target_archE942ELNS1_3gpuE9ELNS1_3repE0EEENS1_30default_config_static_selectorELNS0_4arch9wavefront6targetE1EEEvT1_
		.amdhsa_group_segment_fixed_size 0
		.amdhsa_private_segment_fixed_size 0
		.amdhsa_kernarg_size 120
		.amdhsa_user_sgpr_count 6
		.amdhsa_user_sgpr_private_segment_buffer 1
		.amdhsa_user_sgpr_dispatch_ptr 0
		.amdhsa_user_sgpr_queue_ptr 0
		.amdhsa_user_sgpr_kernarg_segment_ptr 1
		.amdhsa_user_sgpr_dispatch_id 0
		.amdhsa_user_sgpr_flat_scratch_init 0
		.amdhsa_user_sgpr_kernarg_preload_length 0
		.amdhsa_user_sgpr_kernarg_preload_offset 0
		.amdhsa_user_sgpr_private_segment_size 0
		.amdhsa_uses_dynamic_stack 0
		.amdhsa_system_sgpr_private_segment_wavefront_offset 0
		.amdhsa_system_sgpr_workgroup_id_x 1
		.amdhsa_system_sgpr_workgroup_id_y 0
		.amdhsa_system_sgpr_workgroup_id_z 0
		.amdhsa_system_sgpr_workgroup_info 0
		.amdhsa_system_vgpr_workitem_id 0
		.amdhsa_next_free_vgpr 1
		.amdhsa_next_free_sgpr 0
		.amdhsa_accum_offset 4
		.amdhsa_reserve_vcc 0
		.amdhsa_reserve_flat_scratch 0
		.amdhsa_float_round_mode_32 0
		.amdhsa_float_round_mode_16_64 0
		.amdhsa_float_denorm_mode_32 3
		.amdhsa_float_denorm_mode_16_64 3
		.amdhsa_dx10_clamp 1
		.amdhsa_ieee_mode 1
		.amdhsa_fp16_overflow 0
		.amdhsa_tg_split 0
		.amdhsa_exception_fp_ieee_invalid_op 0
		.amdhsa_exception_fp_denorm_src 0
		.amdhsa_exception_fp_ieee_div_zero 0
		.amdhsa_exception_fp_ieee_overflow 0
		.amdhsa_exception_fp_ieee_underflow 0
		.amdhsa_exception_fp_ieee_inexact 0
		.amdhsa_exception_int_div_zero 0
	.end_amdhsa_kernel
	.section	.text._ZN7rocprim17ROCPRIM_400000_NS6detail17trampoline_kernelINS0_14default_configENS1_29reduce_by_key_config_selectorIsjN6thrust23THRUST_200600_302600_NS4plusIjEEEEZZNS1_33reduce_by_key_impl_wrapped_configILNS1_25lookback_scan_determinismE0ES3_S9_NS6_6detail15normal_iteratorINS6_10device_ptrIsEEEENSD_INSE_IjEEEESG_SI_PmS8_NS6_8equal_toIsEEEE10hipError_tPvRmT2_T3_mT4_T5_T6_T7_T8_P12ihipStream_tbENKUlT_T0_E_clISt17integral_constantIbLb1EES13_EEDaSY_SZ_EUlSY_E_NS1_11comp_targetILNS1_3genE5ELNS1_11target_archE942ELNS1_3gpuE9ELNS1_3repE0EEENS1_30default_config_static_selectorELNS0_4arch9wavefront6targetE1EEEvT1_,"axG",@progbits,_ZN7rocprim17ROCPRIM_400000_NS6detail17trampoline_kernelINS0_14default_configENS1_29reduce_by_key_config_selectorIsjN6thrust23THRUST_200600_302600_NS4plusIjEEEEZZNS1_33reduce_by_key_impl_wrapped_configILNS1_25lookback_scan_determinismE0ES3_S9_NS6_6detail15normal_iteratorINS6_10device_ptrIsEEEENSD_INSE_IjEEEESG_SI_PmS8_NS6_8equal_toIsEEEE10hipError_tPvRmT2_T3_mT4_T5_T6_T7_T8_P12ihipStream_tbENKUlT_T0_E_clISt17integral_constantIbLb1EES13_EEDaSY_SZ_EUlSY_E_NS1_11comp_targetILNS1_3genE5ELNS1_11target_archE942ELNS1_3gpuE9ELNS1_3repE0EEENS1_30default_config_static_selectorELNS0_4arch9wavefront6targetE1EEEvT1_,comdat
.Lfunc_end851:
	.size	_ZN7rocprim17ROCPRIM_400000_NS6detail17trampoline_kernelINS0_14default_configENS1_29reduce_by_key_config_selectorIsjN6thrust23THRUST_200600_302600_NS4plusIjEEEEZZNS1_33reduce_by_key_impl_wrapped_configILNS1_25lookback_scan_determinismE0ES3_S9_NS6_6detail15normal_iteratorINS6_10device_ptrIsEEEENSD_INSE_IjEEEESG_SI_PmS8_NS6_8equal_toIsEEEE10hipError_tPvRmT2_T3_mT4_T5_T6_T7_T8_P12ihipStream_tbENKUlT_T0_E_clISt17integral_constantIbLb1EES13_EEDaSY_SZ_EUlSY_E_NS1_11comp_targetILNS1_3genE5ELNS1_11target_archE942ELNS1_3gpuE9ELNS1_3repE0EEENS1_30default_config_static_selectorELNS0_4arch9wavefront6targetE1EEEvT1_, .Lfunc_end851-_ZN7rocprim17ROCPRIM_400000_NS6detail17trampoline_kernelINS0_14default_configENS1_29reduce_by_key_config_selectorIsjN6thrust23THRUST_200600_302600_NS4plusIjEEEEZZNS1_33reduce_by_key_impl_wrapped_configILNS1_25lookback_scan_determinismE0ES3_S9_NS6_6detail15normal_iteratorINS6_10device_ptrIsEEEENSD_INSE_IjEEEESG_SI_PmS8_NS6_8equal_toIsEEEE10hipError_tPvRmT2_T3_mT4_T5_T6_T7_T8_P12ihipStream_tbENKUlT_T0_E_clISt17integral_constantIbLb1EES13_EEDaSY_SZ_EUlSY_E_NS1_11comp_targetILNS1_3genE5ELNS1_11target_archE942ELNS1_3gpuE9ELNS1_3repE0EEENS1_30default_config_static_selectorELNS0_4arch9wavefront6targetE1EEEvT1_
                                        ; -- End function
	.section	.AMDGPU.csdata,"",@progbits
; Kernel info:
; codeLenInByte = 0
; NumSgprs: 4
; NumVgprs: 0
; NumAgprs: 0
; TotalNumVgprs: 0
; ScratchSize: 0
; MemoryBound: 0
; FloatMode: 240
; IeeeMode: 1
; LDSByteSize: 0 bytes/workgroup (compile time only)
; SGPRBlocks: 0
; VGPRBlocks: 0
; NumSGPRsForWavesPerEU: 4
; NumVGPRsForWavesPerEU: 1
; AccumOffset: 4
; Occupancy: 8
; WaveLimiterHint : 0
; COMPUTE_PGM_RSRC2:SCRATCH_EN: 0
; COMPUTE_PGM_RSRC2:USER_SGPR: 6
; COMPUTE_PGM_RSRC2:TRAP_HANDLER: 0
; COMPUTE_PGM_RSRC2:TGID_X_EN: 1
; COMPUTE_PGM_RSRC2:TGID_Y_EN: 0
; COMPUTE_PGM_RSRC2:TGID_Z_EN: 0
; COMPUTE_PGM_RSRC2:TIDIG_COMP_CNT: 0
; COMPUTE_PGM_RSRC3_GFX90A:ACCUM_OFFSET: 0
; COMPUTE_PGM_RSRC3_GFX90A:TG_SPLIT: 0
	.section	.text._ZN7rocprim17ROCPRIM_400000_NS6detail17trampoline_kernelINS0_14default_configENS1_29reduce_by_key_config_selectorIsjN6thrust23THRUST_200600_302600_NS4plusIjEEEEZZNS1_33reduce_by_key_impl_wrapped_configILNS1_25lookback_scan_determinismE0ES3_S9_NS6_6detail15normal_iteratorINS6_10device_ptrIsEEEENSD_INSE_IjEEEESG_SI_PmS8_NS6_8equal_toIsEEEE10hipError_tPvRmT2_T3_mT4_T5_T6_T7_T8_P12ihipStream_tbENKUlT_T0_E_clISt17integral_constantIbLb1EES13_EEDaSY_SZ_EUlSY_E_NS1_11comp_targetILNS1_3genE4ELNS1_11target_archE910ELNS1_3gpuE8ELNS1_3repE0EEENS1_30default_config_static_selectorELNS0_4arch9wavefront6targetE1EEEvT1_,"axG",@progbits,_ZN7rocprim17ROCPRIM_400000_NS6detail17trampoline_kernelINS0_14default_configENS1_29reduce_by_key_config_selectorIsjN6thrust23THRUST_200600_302600_NS4plusIjEEEEZZNS1_33reduce_by_key_impl_wrapped_configILNS1_25lookback_scan_determinismE0ES3_S9_NS6_6detail15normal_iteratorINS6_10device_ptrIsEEEENSD_INSE_IjEEEESG_SI_PmS8_NS6_8equal_toIsEEEE10hipError_tPvRmT2_T3_mT4_T5_T6_T7_T8_P12ihipStream_tbENKUlT_T0_E_clISt17integral_constantIbLb1EES13_EEDaSY_SZ_EUlSY_E_NS1_11comp_targetILNS1_3genE4ELNS1_11target_archE910ELNS1_3gpuE8ELNS1_3repE0EEENS1_30default_config_static_selectorELNS0_4arch9wavefront6targetE1EEEvT1_,comdat
	.protected	_ZN7rocprim17ROCPRIM_400000_NS6detail17trampoline_kernelINS0_14default_configENS1_29reduce_by_key_config_selectorIsjN6thrust23THRUST_200600_302600_NS4plusIjEEEEZZNS1_33reduce_by_key_impl_wrapped_configILNS1_25lookback_scan_determinismE0ES3_S9_NS6_6detail15normal_iteratorINS6_10device_ptrIsEEEENSD_INSE_IjEEEESG_SI_PmS8_NS6_8equal_toIsEEEE10hipError_tPvRmT2_T3_mT4_T5_T6_T7_T8_P12ihipStream_tbENKUlT_T0_E_clISt17integral_constantIbLb1EES13_EEDaSY_SZ_EUlSY_E_NS1_11comp_targetILNS1_3genE4ELNS1_11target_archE910ELNS1_3gpuE8ELNS1_3repE0EEENS1_30default_config_static_selectorELNS0_4arch9wavefront6targetE1EEEvT1_ ; -- Begin function _ZN7rocprim17ROCPRIM_400000_NS6detail17trampoline_kernelINS0_14default_configENS1_29reduce_by_key_config_selectorIsjN6thrust23THRUST_200600_302600_NS4plusIjEEEEZZNS1_33reduce_by_key_impl_wrapped_configILNS1_25lookback_scan_determinismE0ES3_S9_NS6_6detail15normal_iteratorINS6_10device_ptrIsEEEENSD_INSE_IjEEEESG_SI_PmS8_NS6_8equal_toIsEEEE10hipError_tPvRmT2_T3_mT4_T5_T6_T7_T8_P12ihipStream_tbENKUlT_T0_E_clISt17integral_constantIbLb1EES13_EEDaSY_SZ_EUlSY_E_NS1_11comp_targetILNS1_3genE4ELNS1_11target_archE910ELNS1_3gpuE8ELNS1_3repE0EEENS1_30default_config_static_selectorELNS0_4arch9wavefront6targetE1EEEvT1_
	.globl	_ZN7rocprim17ROCPRIM_400000_NS6detail17trampoline_kernelINS0_14default_configENS1_29reduce_by_key_config_selectorIsjN6thrust23THRUST_200600_302600_NS4plusIjEEEEZZNS1_33reduce_by_key_impl_wrapped_configILNS1_25lookback_scan_determinismE0ES3_S9_NS6_6detail15normal_iteratorINS6_10device_ptrIsEEEENSD_INSE_IjEEEESG_SI_PmS8_NS6_8equal_toIsEEEE10hipError_tPvRmT2_T3_mT4_T5_T6_T7_T8_P12ihipStream_tbENKUlT_T0_E_clISt17integral_constantIbLb1EES13_EEDaSY_SZ_EUlSY_E_NS1_11comp_targetILNS1_3genE4ELNS1_11target_archE910ELNS1_3gpuE8ELNS1_3repE0EEENS1_30default_config_static_selectorELNS0_4arch9wavefront6targetE1EEEvT1_
	.p2align	8
	.type	_ZN7rocprim17ROCPRIM_400000_NS6detail17trampoline_kernelINS0_14default_configENS1_29reduce_by_key_config_selectorIsjN6thrust23THRUST_200600_302600_NS4plusIjEEEEZZNS1_33reduce_by_key_impl_wrapped_configILNS1_25lookback_scan_determinismE0ES3_S9_NS6_6detail15normal_iteratorINS6_10device_ptrIsEEEENSD_INSE_IjEEEESG_SI_PmS8_NS6_8equal_toIsEEEE10hipError_tPvRmT2_T3_mT4_T5_T6_T7_T8_P12ihipStream_tbENKUlT_T0_E_clISt17integral_constantIbLb1EES13_EEDaSY_SZ_EUlSY_E_NS1_11comp_targetILNS1_3genE4ELNS1_11target_archE910ELNS1_3gpuE8ELNS1_3repE0EEENS1_30default_config_static_selectorELNS0_4arch9wavefront6targetE1EEEvT1_,@function
_ZN7rocprim17ROCPRIM_400000_NS6detail17trampoline_kernelINS0_14default_configENS1_29reduce_by_key_config_selectorIsjN6thrust23THRUST_200600_302600_NS4plusIjEEEEZZNS1_33reduce_by_key_impl_wrapped_configILNS1_25lookback_scan_determinismE0ES3_S9_NS6_6detail15normal_iteratorINS6_10device_ptrIsEEEENSD_INSE_IjEEEESG_SI_PmS8_NS6_8equal_toIsEEEE10hipError_tPvRmT2_T3_mT4_T5_T6_T7_T8_P12ihipStream_tbENKUlT_T0_E_clISt17integral_constantIbLb1EES13_EEDaSY_SZ_EUlSY_E_NS1_11comp_targetILNS1_3genE4ELNS1_11target_archE910ELNS1_3gpuE8ELNS1_3repE0EEENS1_30default_config_static_selectorELNS0_4arch9wavefront6targetE1EEEvT1_: ; @_ZN7rocprim17ROCPRIM_400000_NS6detail17trampoline_kernelINS0_14default_configENS1_29reduce_by_key_config_selectorIsjN6thrust23THRUST_200600_302600_NS4plusIjEEEEZZNS1_33reduce_by_key_impl_wrapped_configILNS1_25lookback_scan_determinismE0ES3_S9_NS6_6detail15normal_iteratorINS6_10device_ptrIsEEEENSD_INSE_IjEEEESG_SI_PmS8_NS6_8equal_toIsEEEE10hipError_tPvRmT2_T3_mT4_T5_T6_T7_T8_P12ihipStream_tbENKUlT_T0_E_clISt17integral_constantIbLb1EES13_EEDaSY_SZ_EUlSY_E_NS1_11comp_targetILNS1_3genE4ELNS1_11target_archE910ELNS1_3gpuE8ELNS1_3repE0EEENS1_30default_config_static_selectorELNS0_4arch9wavefront6targetE1EEEvT1_
; %bb.0:
	s_load_dwordx8 s[36:43], s[4:5], 0x0
	s_load_dwordx4 s[52:55], s[4:5], 0x20
	s_load_dwordx8 s[44:51], s[4:5], 0x38
	s_load_dwordx2 s[60:61], s[4:5], 0x68
	s_load_dwordx4 s[56:59], s[4:5], 0x58
	v_cmp_ne_u32_e64 s[2:3], 0, v0
	v_cmp_eq_u32_e64 s[0:1], 0, v0
	s_and_saveexec_b64 s[6:7], s[0:1]
	s_cbranch_execz .LBB852_4
; %bb.1:
	s_mov_b64 s[10:11], exec
	v_mbcnt_lo_u32_b32 v1, s10, 0
	v_mbcnt_hi_u32_b32 v1, s11, v1
	v_cmp_eq_u32_e32 vcc, 0, v1
                                        ; implicit-def: $vgpr2
	s_and_saveexec_b64 s[8:9], vcc
	s_cbranch_execz .LBB852_3
; %bb.2:
	s_load_dwordx2 s[4:5], s[4:5], 0x70
	s_bcnt1_i32_b64 s10, s[10:11]
	v_mov_b32_e32 v2, 0
	v_mov_b32_e32 v3, s10
	s_waitcnt lgkmcnt(0)
	global_atomic_add v2, v2, v3, s[4:5] glc
.LBB852_3:
	s_or_b64 exec, exec, s[8:9]
	s_waitcnt vmcnt(0)
	v_readfirstlane_b32 s4, v2
	v_add_u32_e32 v1, s4, v1
	v_mov_b32_e32 v2, 0
	ds_write_b32 v2, v1
.LBB852_4:
	s_or_b64 exec, exec, s[6:7]
	v_mov_b32_e32 v3, 0
	s_waitcnt lgkmcnt(0)
	s_lshl_b64 s[4:5], s[38:39], 1
	s_barrier
	ds_read_b32 v1, v3
	s_add_u32 s6, s36, s4
	s_addc_u32 s7, s37, s5
	s_lshl_b64 s[4:5], s[38:39], 2
	s_add_u32 s4, s40, s4
	s_mul_i32 s8, s48, s47
	s_mul_hi_u32 s9, s48, s46
	s_addc_u32 s5, s41, s5
	s_add_i32 s8, s9, s8
	s_mul_i32 s9, s49, s46
	s_add_i32 s8, s8, s9
	s_mul_i32 s9, s48, s46
	s_waitcnt lgkmcnt(0)
	v_readfirstlane_b32 s62, v1
	s_movk_i32 s10, 0xf00
	v_mul_lo_u32 v2, v1, s10
	s_add_u32 s40, s9, s62
	v_lshlrev_b64 v[4:5], 1, v[2:3]
	s_addc_u32 s41, s8, 0
	v_mov_b32_e32 v1, s7
	v_add_co_u32_e32 v6, vcc, s6, v4
	s_add_u32 s6, s50, -1
	v_addc_co_u32_e32 v7, vcc, v1, v5, vcc
	v_lshlrev_b64 v[2:3], 2, v[2:3]
	s_addc_u32 s7, s51, -1
	v_mov_b32_e32 v1, s5
	v_add_co_u32_e32 v8, vcc, s4, v2
	s_cmp_eq_u64 s[40:41], s[6:7]
	v_addc_co_u32_e32 v9, vcc, v1, v3, vcc
	s_cselect_b64 s[36:37], -1, 0
	s_cmp_lg_u64 s[40:41], s[6:7]
	s_mov_b64 s[4:5], -1
	s_cselect_b64 s[48:49], -1, 0
	s_mul_i32 s33, s6, 0xfffff100
	s_and_b64 vcc, exec, s[36:37]
	s_barrier
	s_cbranch_vccnz .LBB852_6
; %bb.5:
	v_lshlrev_b32_e32 v1, 1, v0
	v_add_co_u32_e32 v2, vcc, v6, v1
	v_addc_co_u32_e32 v3, vcc, 0, v7, vcc
	flat_load_ushort v4, v[2:3]
	flat_load_ushort v5, v[2:3] offset:512
	flat_load_ushort v12, v[2:3] offset:1024
	flat_load_ushort v13, v[2:3] offset:1536
	flat_load_ushort v14, v[2:3] offset:2048
	flat_load_ushort v15, v[2:3] offset:2560
	flat_load_ushort v22, v[2:3] offset:3072
	flat_load_ushort v23, v[2:3] offset:3584
	v_add_co_u32_e32 v2, vcc, 0x1000, v2
	v_addc_co_u32_e32 v3, vcc, 0, v3, vcc
	flat_load_ushort v24, v[2:3]
	flat_load_ushort v25, v[2:3] offset:512
	flat_load_ushort v26, v[2:3] offset:1024
	flat_load_ushort v27, v[2:3] offset:1536
	flat_load_ushort v28, v[2:3] offset:2048
	flat_load_ushort v29, v[2:3] offset:2560
	flat_load_ushort v30, v[2:3] offset:3072
	v_lshlrev_b32_e32 v2, 2, v0
	v_add_co_u32_e32 v10, vcc, v8, v2
	s_movk_i32 s4, 0x1000
	v_addc_co_u32_e32 v11, vcc, 0, v9, vcc
	v_add_co_u32_e32 v16, vcc, s4, v10
	s_movk_i32 s5, 0x2000
	v_addc_co_u32_e32 v17, vcc, 0, v11, vcc
	;; [unrolled: 3-line block ×3, first 2 shown]
	v_mad_u32_u24 v31, v0, 28, v1
	v_add_co_u32_e32 v20, vcc, s6, v10
	v_addc_co_u32_e32 v21, vcc, 0, v11, vcc
	s_movk_i32 s4, 0xffe6
	v_mad_u32_u24 v35, v0, 15, 3
	v_mad_u32_u24 v34, v0, 15, 5
	;; [unrolled: 1-line block ×4, first 2 shown]
	s_waitcnt vmcnt(0) lgkmcnt(0)
	ds_write_b16 v1, v4
	ds_write_b16 v1, v5 offset:512
	ds_write_b16 v1, v12 offset:1024
	;; [unrolled: 1-line block ×14, first 2 shown]
	s_waitcnt lgkmcnt(0)
	s_barrier
	ds_read_u16 v1, v31
	ds_read_b128 v[2:5], v31 offset:2
	ds_read_b96 v[12:14], v31 offset:18
	s_waitcnt lgkmcnt(0)
	s_barrier
	flat_load_dword v22, v[10:11]
	flat_load_dword v23, v[10:11] offset:1024
	flat_load_dword v24, v[10:11] offset:2048
	flat_load_dword v25, v[10:11] offset:3072
	flat_load_dword v26, v[16:17]
	flat_load_dword v27, v[16:17] offset:1024
	flat_load_dword v28, v[16:17] offset:2048
	flat_load_dword v29, v[16:17] offset:3072
	;; [unrolled: 4-line block ×3, first 2 shown]
	flat_load_dword v39, v[20:21]
	flat_load_dword v40, v[20:21] offset:1024
	flat_load_dword v41, v[20:21] offset:2048
	v_mul_u32_u24_e32 v11, 15, v0
	v_mad_u32_u24 v20, v0, 15, 1
	v_mad_u32_u24 v15, v0, 15, 9
	v_mad_u32_u24 v21, v0, 15, 13
	v_mad_i32_i24 v10, v0, s4, v31
	s_waitcnt vmcnt(0) lgkmcnt(0)
	ds_write2st64_b32 v10, v22, v23 offset1:4
	ds_write2st64_b32 v10, v24, v25 offset0:8 offset1:12
	ds_write2st64_b32 v10, v26, v27 offset0:16 offset1:20
	;; [unrolled: 1-line block ×6, first 2 shown]
	ds_write_b32 v10, v41 offset:14336
	s_waitcnt lgkmcnt(0)
	s_barrier
	s_add_i32 s33, s33, s56
	s_cbranch_execz .LBB852_7
	s_branch .LBB852_68
.LBB852_6:
                                        ; implicit-def: $vgpr2
                                        ; implicit-def: $vgpr12
                                        ; implicit-def: $vgpr21
                                        ; implicit-def: $vgpr33
                                        ; implicit-def: $vgpr15
                                        ; implicit-def: $vgpr32
                                        ; implicit-def: $vgpr34
                                        ; implicit-def: $vgpr35
                                        ; implicit-def: $vgpr20
                                        ; implicit-def: $vgpr11
                                        ; implicit-def: $vgpr1
	s_andn2_b64 vcc, exec, s[4:5]
	s_add_i32 s33, s33, s56
	s_cbranch_vccnz .LBB852_68
.LBB852_7:
	v_cmp_gt_u32_e32 vcc, s33, v0
                                        ; implicit-def: $vgpr1
	s_and_saveexec_b64 s[6:7], vcc
	s_cbranch_execz .LBB852_9
; %bb.8:
	v_lshlrev_b32_e32 v1, 1, v0
	v_add_co_u32_e64 v2, s[4:5], v6, v1
	v_addc_co_u32_e64 v3, s[4:5], 0, v7, s[4:5]
	flat_load_ushort v1, v[2:3]
.LBB852_9:
	s_or_b64 exec, exec, s[6:7]
	v_or_b32_e32 v2, 0x100, v0
	v_cmp_gt_u32_e64 s[4:5], s33, v2
                                        ; implicit-def: $vgpr2
	s_and_saveexec_b64 s[8:9], s[4:5]
	s_cbranch_execz .LBB852_11
; %bb.10:
	v_lshlrev_b32_e32 v2, 1, v0
	v_add_co_u32_e64 v2, s[6:7], v6, v2
	v_addc_co_u32_e64 v3, s[6:7], 0, v7, s[6:7]
	flat_load_ushort v2, v[2:3] offset:512
.LBB852_11:
	s_or_b64 exec, exec, s[8:9]
	v_or_b32_e32 v3, 0x200, v0
	v_cmp_gt_u32_e64 s[6:7], s33, v3
                                        ; implicit-def: $vgpr3
	s_and_saveexec_b64 s[10:11], s[6:7]
	s_cbranch_execz .LBB852_13
; %bb.12:
	v_lshlrev_b32_e32 v3, 1, v0
	v_add_co_u32_e64 v4, s[8:9], v6, v3
	v_addc_co_u32_e64 v5, s[8:9], 0, v7, s[8:9]
	flat_load_ushort v3, v[4:5] offset:1024
.LBB852_13:
	s_or_b64 exec, exec, s[10:11]
	v_or_b32_e32 v4, 0x300, v0
	v_cmp_gt_u32_e64 s[8:9], s33, v4
                                        ; implicit-def: $vgpr4
	s_and_saveexec_b64 s[12:13], s[8:9]
	s_cbranch_execz .LBB852_15
; %bb.14:
	v_lshlrev_b32_e32 v4, 1, v0
	v_add_co_u32_e64 v4, s[10:11], v6, v4
	v_addc_co_u32_e64 v5, s[10:11], 0, v7, s[10:11]
	flat_load_ushort v4, v[4:5] offset:1536
.LBB852_15:
	s_or_b64 exec, exec, s[12:13]
	v_or_b32_e32 v10, 0x400, v0
	v_cmp_gt_u32_e64 s[10:11], s33, v10
                                        ; implicit-def: $vgpr5
	s_and_saveexec_b64 s[14:15], s[10:11]
	s_cbranch_execz .LBB852_17
; %bb.16:
	v_lshlrev_b32_e32 v5, 1, v0
	v_add_co_u32_e64 v12, s[12:13], v6, v5
	v_addc_co_u32_e64 v13, s[12:13], 0, v7, s[12:13]
	flat_load_ushort v5, v[12:13] offset:2048
.LBB852_17:
	s_or_b64 exec, exec, s[14:15]
	v_or_b32_e32 v11, 0x500, v0
	v_cmp_gt_u32_e64 s[12:13], s33, v11
                                        ; implicit-def: $vgpr12
	s_and_saveexec_b64 s[16:17], s[12:13]
	s_cbranch_execz .LBB852_19
; %bb.18:
	v_lshlrev_b32_e32 v12, 1, v0
	v_add_co_u32_e64 v12, s[14:15], v6, v12
	v_addc_co_u32_e64 v13, s[14:15], 0, v7, s[14:15]
	flat_load_ushort v12, v[12:13] offset:2560
.LBB852_19:
	s_or_b64 exec, exec, s[16:17]
	v_or_b32_e32 v15, 0x600, v0
	v_cmp_gt_u32_e64 s[14:15], s33, v15
                                        ; implicit-def: $vgpr13
	s_and_saveexec_b64 s[18:19], s[14:15]
	s_cbranch_execz .LBB852_21
; %bb.20:
	v_lshlrev_b32_e32 v13, 1, v0
	v_add_co_u32_e64 v16, s[16:17], v6, v13
	v_addc_co_u32_e64 v17, s[16:17], 0, v7, s[16:17]
	flat_load_ushort v13, v[16:17] offset:3072
.LBB852_21:
	s_or_b64 exec, exec, s[18:19]
	v_or_b32_e32 v16, 0x700, v0
	v_cmp_gt_u32_e64 s[16:17], s33, v16
                                        ; implicit-def: $vgpr14
	s_and_saveexec_b64 s[20:21], s[16:17]
	s_cbranch_execz .LBB852_23
; %bb.22:
	v_lshlrev_b32_e32 v14, 1, v0
	v_add_co_u32_e64 v18, s[18:19], v6, v14
	v_addc_co_u32_e64 v19, s[18:19], 0, v7, s[18:19]
	flat_load_ushort v14, v[18:19] offset:3584
.LBB852_23:
	s_or_b64 exec, exec, s[20:21]
	v_or_b32_e32 v17, 0x800, v0
	v_cmp_gt_u32_e64 s[18:19], s33, v17
                                        ; implicit-def: $vgpr24
	s_and_saveexec_b64 s[22:23], s[18:19]
	s_cbranch_execz .LBB852_25
; %bb.24:
	v_lshlrev_b32_e32 v18, 1, v17
	v_add_co_u32_e64 v18, s[20:21], v6, v18
	v_addc_co_u32_e64 v19, s[20:21], 0, v7, s[20:21]
	flat_load_ushort v24, v[18:19]
.LBB852_25:
	s_or_b64 exec, exec, s[22:23]
	v_or_b32_e32 v18, 0x900, v0
	v_cmp_gt_u32_e64 s[20:21], s33, v18
                                        ; implicit-def: $vgpr25
	s_and_saveexec_b64 s[24:25], s[20:21]
	s_cbranch_execz .LBB852_27
; %bb.26:
	v_lshlrev_b32_e32 v19, 1, v18
	v_add_co_u32_e64 v20, s[22:23], v6, v19
	v_addc_co_u32_e64 v21, s[22:23], 0, v7, s[22:23]
	flat_load_ushort v25, v[20:21]
.LBB852_27:
	s_or_b64 exec, exec, s[24:25]
	v_or_b32_e32 v19, 0xa00, v0
	v_cmp_gt_u32_e64 s[22:23], s33, v19
                                        ; implicit-def: $vgpr26
	s_and_saveexec_b64 s[26:27], s[22:23]
	s_cbranch_execz .LBB852_29
; %bb.28:
	v_lshlrev_b32_e32 v20, 1, v19
	v_add_co_u32_e64 v20, s[24:25], v6, v20
	v_addc_co_u32_e64 v21, s[24:25], 0, v7, s[24:25]
	flat_load_ushort v26, v[20:21]
.LBB852_29:
	s_or_b64 exec, exec, s[26:27]
	v_or_b32_e32 v20, 0xb00, v0
	v_cmp_gt_u32_e64 s[24:25], s33, v20
                                        ; implicit-def: $vgpr27
	s_and_saveexec_b64 s[28:29], s[24:25]
	s_cbranch_execz .LBB852_31
; %bb.30:
	v_lshlrev_b32_e32 v21, 1, v20
	v_add_co_u32_e64 v22, s[26:27], v6, v21
	v_addc_co_u32_e64 v23, s[26:27], 0, v7, s[26:27]
	flat_load_ushort v27, v[22:23]
.LBB852_31:
	s_or_b64 exec, exec, s[28:29]
	v_or_b32_e32 v21, 0xc00, v0
	v_cmp_gt_u32_e64 s[26:27], s33, v21
                                        ; implicit-def: $vgpr28
	s_and_saveexec_b64 s[30:31], s[26:27]
	s_cbranch_execz .LBB852_33
; %bb.32:
	v_lshlrev_b32_e32 v22, 1, v21
	v_add_co_u32_e64 v22, s[28:29], v6, v22
	v_addc_co_u32_e64 v23, s[28:29], 0, v7, s[28:29]
	flat_load_ushort v28, v[22:23]
.LBB852_33:
	s_or_b64 exec, exec, s[30:31]
	v_or_b32_e32 v22, 0xd00, v0
	v_cmp_gt_u32_e64 s[28:29], s33, v22
                                        ; implicit-def: $vgpr29
	s_and_saveexec_b64 s[34:35], s[28:29]
	s_cbranch_execz .LBB852_35
; %bb.34:
	v_lshlrev_b32_e32 v23, 1, v22
	v_add_co_u32_e64 v30, s[30:31], v6, v23
	v_addc_co_u32_e64 v31, s[30:31], 0, v7, s[30:31]
	flat_load_ushort v29, v[30:31]
.LBB852_35:
	s_or_b64 exec, exec, s[34:35]
	v_or_b32_e32 v23, 0xe00, v0
	v_cmp_gt_u32_e64 s[30:31], s33, v23
                                        ; implicit-def: $vgpr30
	s_and_saveexec_b64 s[38:39], s[30:31]
	s_cbranch_execz .LBB852_37
; %bb.36:
	v_lshlrev_b32_e32 v30, 1, v23
	v_add_co_u32_e64 v30, s[34:35], v6, v30
	v_addc_co_u32_e64 v31, s[34:35], 0, v7, s[34:35]
	flat_load_ushort v30, v[30:31]
.LBB852_37:
	s_or_b64 exec, exec, s[38:39]
	v_lshlrev_b32_e32 v31, 1, v0
	s_waitcnt vmcnt(0) lgkmcnt(0)
	ds_write_b16 v31, v1
	ds_write_b16 v31, v2 offset:512
	ds_write_b16 v31, v3 offset:1024
	;; [unrolled: 1-line block ×14, first 2 shown]
	v_mad_u32_u24 v24, v0, 28, v31
	s_waitcnt lgkmcnt(0)
	s_barrier
	ds_read_u16 v1, v24
	ds_read_b128 v[2:5], v24 offset:2
	ds_read_b96 v[12:14], v24 offset:18
	s_waitcnt lgkmcnt(0)
	s_barrier
	s_waitcnt lgkmcnt(0)
                                        ; implicit-def: $vgpr25
	s_and_saveexec_b64 s[34:35], vcc
	s_cbranch_execz .LBB852_51
; %bb.38:
	v_lshlrev_b32_e32 v25, 2, v0
	v_add_co_u32_e32 v26, vcc, v8, v25
	v_addc_co_u32_e32 v27, vcc, 0, v9, vcc
	flat_load_dword v25, v[26:27]
	s_or_b64 exec, exec, s[34:35]
                                        ; implicit-def: $vgpr26
	s_and_saveexec_b64 s[34:35], s[4:5]
	s_cbranch_execnz .LBB852_52
.LBB852_39:
	s_or_b64 exec, exec, s[34:35]
                                        ; implicit-def: $vgpr27
	s_and_saveexec_b64 s[4:5], s[6:7]
	s_cbranch_execz .LBB852_53
.LBB852_40:
	v_lshlrev_b32_e32 v27, 2, v0
	v_add_co_u32_e32 v28, vcc, v8, v27
	v_addc_co_u32_e32 v29, vcc, 0, v9, vcc
	flat_load_dword v27, v[28:29] offset:2048
	s_or_b64 exec, exec, s[4:5]
                                        ; implicit-def: $vgpr28
	s_and_saveexec_b64 s[4:5], s[8:9]
	s_cbranch_execnz .LBB852_54
.LBB852_41:
	s_or_b64 exec, exec, s[4:5]
                                        ; implicit-def: $vgpr29
	s_and_saveexec_b64 s[4:5], s[10:11]
	s_cbranch_execz .LBB852_55
.LBB852_42:
	v_lshlrev_b32_e32 v10, 2, v10
	v_add_co_u32_e32 v30, vcc, v8, v10
	v_addc_co_u32_e32 v31, vcc, 0, v9, vcc
	flat_load_dword v29, v[30:31]
	s_or_b64 exec, exec, s[4:5]
                                        ; implicit-def: $vgpr10
	s_and_saveexec_b64 s[4:5], s[12:13]
	s_cbranch_execnz .LBB852_56
.LBB852_43:
	s_or_b64 exec, exec, s[4:5]
                                        ; implicit-def: $vgpr30
	s_and_saveexec_b64 s[4:5], s[14:15]
	s_cbranch_execz .LBB852_57
.LBB852_44:
	v_lshlrev_b32_e32 v11, 2, v15
	v_add_co_u32_e32 v30, vcc, v8, v11
	v_addc_co_u32_e32 v31, vcc, 0, v9, vcc
	flat_load_dword v30, v[30:31]
	s_or_b64 exec, exec, s[4:5]
                                        ; implicit-def: $vgpr31
	s_and_saveexec_b64 s[4:5], s[16:17]
	s_cbranch_execnz .LBB852_58
.LBB852_45:
	s_or_b64 exec, exec, s[4:5]
                                        ; implicit-def: $vgpr16
	s_and_saveexec_b64 s[4:5], s[18:19]
	s_cbranch_execz .LBB852_59
.LBB852_46:
	v_lshlrev_b32_e32 v11, 2, v17
	v_add_co_u32_e32 v16, vcc, v8, v11
	v_addc_co_u32_e32 v17, vcc, 0, v9, vcc
	flat_load_dword v16, v[16:17]
	s_or_b64 exec, exec, s[4:5]
                                        ; implicit-def: $vgpr17
	s_and_saveexec_b64 s[4:5], s[20:21]
	s_cbranch_execnz .LBB852_60
.LBB852_47:
	s_or_b64 exec, exec, s[4:5]
                                        ; implicit-def: $vgpr18
	s_and_saveexec_b64 s[4:5], s[22:23]
	s_cbranch_execz .LBB852_61
.LBB852_48:
	v_lshlrev_b32_e32 v11, 2, v19
	v_add_co_u32_e32 v18, vcc, v8, v11
	v_addc_co_u32_e32 v19, vcc, 0, v9, vcc
	flat_load_dword v18, v[18:19]
	s_or_b64 exec, exec, s[4:5]
                                        ; implicit-def: $vgpr19
	s_and_saveexec_b64 s[4:5], s[24:25]
	s_cbranch_execnz .LBB852_62
.LBB852_49:
	s_or_b64 exec, exec, s[4:5]
                                        ; implicit-def: $vgpr36
	s_and_saveexec_b64 s[4:5], s[26:27]
	s_cbranch_execz .LBB852_63
.LBB852_50:
	v_lshlrev_b32_e32 v11, 2, v21
	v_add_co_u32_e32 v20, vcc, v8, v11
	v_addc_co_u32_e32 v21, vcc, 0, v9, vcc
	flat_load_dword v36, v[20:21]
	s_or_b64 exec, exec, s[4:5]
                                        ; implicit-def: $vgpr37
	s_and_saveexec_b64 s[4:5], s[28:29]
	s_cbranch_execz .LBB852_65
	s_branch .LBB852_64
.LBB852_51:
	s_or_b64 exec, exec, s[34:35]
                                        ; implicit-def: $vgpr26
	s_and_saveexec_b64 s[34:35], s[4:5]
	s_cbranch_execz .LBB852_39
.LBB852_52:
	v_lshlrev_b32_e32 v26, 2, v0
	v_add_co_u32_e32 v26, vcc, v8, v26
	v_addc_co_u32_e32 v27, vcc, 0, v9, vcc
	flat_load_dword v26, v[26:27] offset:1024
	s_or_b64 exec, exec, s[34:35]
                                        ; implicit-def: $vgpr27
	s_and_saveexec_b64 s[4:5], s[6:7]
	s_cbranch_execnz .LBB852_40
.LBB852_53:
	s_or_b64 exec, exec, s[4:5]
                                        ; implicit-def: $vgpr28
	s_and_saveexec_b64 s[4:5], s[8:9]
	s_cbranch_execz .LBB852_41
.LBB852_54:
	v_lshlrev_b32_e32 v28, 2, v0
	v_add_co_u32_e32 v28, vcc, v8, v28
	v_addc_co_u32_e32 v29, vcc, 0, v9, vcc
	flat_load_dword v28, v[28:29] offset:3072
	s_or_b64 exec, exec, s[4:5]
                                        ; implicit-def: $vgpr29
	s_and_saveexec_b64 s[4:5], s[10:11]
	s_cbranch_execnz .LBB852_42
.LBB852_55:
	s_or_b64 exec, exec, s[4:5]
                                        ; implicit-def: $vgpr10
	s_and_saveexec_b64 s[4:5], s[12:13]
	s_cbranch_execz .LBB852_43
.LBB852_56:
	v_lshlrev_b32_e32 v10, 2, v11
	v_add_co_u32_e32 v10, vcc, v8, v10
	v_addc_co_u32_e32 v11, vcc, 0, v9, vcc
	flat_load_dword v10, v[10:11]
	s_or_b64 exec, exec, s[4:5]
                                        ; implicit-def: $vgpr30
	s_and_saveexec_b64 s[4:5], s[14:15]
	s_cbranch_execnz .LBB852_44
.LBB852_57:
	s_or_b64 exec, exec, s[4:5]
                                        ; implicit-def: $vgpr31
	s_and_saveexec_b64 s[4:5], s[16:17]
	s_cbranch_execz .LBB852_45
.LBB852_58:
	v_lshlrev_b32_e32 v11, 2, v16
	v_add_co_u32_e32 v32, vcc, v8, v11
	v_addc_co_u32_e32 v33, vcc, 0, v9, vcc
	flat_load_dword v31, v[32:33]
	s_or_b64 exec, exec, s[4:5]
                                        ; implicit-def: $vgpr16
	s_and_saveexec_b64 s[4:5], s[18:19]
	s_cbranch_execnz .LBB852_46
.LBB852_59:
	s_or_b64 exec, exec, s[4:5]
                                        ; implicit-def: $vgpr17
	s_and_saveexec_b64 s[4:5], s[20:21]
	s_cbranch_execz .LBB852_47
.LBB852_60:
	v_lshlrev_b32_e32 v11, 2, v18
	v_add_co_u32_e32 v32, vcc, v8, v11
	v_addc_co_u32_e32 v33, vcc, 0, v9, vcc
	flat_load_dword v17, v[32:33]
	s_or_b64 exec, exec, s[4:5]
                                        ; implicit-def: $vgpr18
	s_and_saveexec_b64 s[4:5], s[22:23]
	s_cbranch_execnz .LBB852_48
.LBB852_61:
	s_or_b64 exec, exec, s[4:5]
                                        ; implicit-def: $vgpr19
	s_and_saveexec_b64 s[4:5], s[24:25]
	s_cbranch_execz .LBB852_49
.LBB852_62:
	v_lshlrev_b32_e32 v11, 2, v20
	v_add_co_u32_e32 v32, vcc, v8, v11
	v_addc_co_u32_e32 v33, vcc, 0, v9, vcc
	flat_load_dword v19, v[32:33]
	s_or_b64 exec, exec, s[4:5]
                                        ; implicit-def: $vgpr36
	s_and_saveexec_b64 s[4:5], s[26:27]
	s_cbranch_execnz .LBB852_50
.LBB852_63:
	s_or_b64 exec, exec, s[4:5]
                                        ; implicit-def: $vgpr37
	s_and_saveexec_b64 s[4:5], s[28:29]
	s_cbranch_execz .LBB852_65
.LBB852_64:
	v_lshlrev_b32_e32 v11, 2, v22
	v_add_co_u32_e32 v20, vcc, v8, v11
	v_addc_co_u32_e32 v21, vcc, 0, v9, vcc
	flat_load_dword v37, v[20:21]
.LBB852_65:
	s_or_b64 exec, exec, s[4:5]
	v_mul_u32_u24_e32 v11, 15, v0
                                        ; implicit-def: $vgpr22
	s_and_saveexec_b64 s[4:5], s[30:31]
	s_cbranch_execz .LBB852_67
; %bb.66:
	v_lshlrev_b32_e32 v15, 2, v23
	v_add_co_u32_e32 v8, vcc, v8, v15
	v_addc_co_u32_e32 v9, vcc, 0, v9, vcc
	flat_load_dword v22, v[8:9]
.LBB852_67:
	s_or_b64 exec, exec, s[4:5]
	s_movk_i32 s4, 0xffe6
	v_add_u32_e32 v20, 1, v11
	v_add_u32_e32 v35, 3, v11
	;; [unrolled: 1-line block ×7, first 2 shown]
	v_mad_i32_i24 v8, v0, s4, v24
	s_waitcnt vmcnt(0) lgkmcnt(0)
	ds_write2st64_b32 v8, v25, v26 offset1:4
	ds_write2st64_b32 v8, v27, v28 offset0:8 offset1:12
	ds_write2st64_b32 v8, v29, v10 offset0:16 offset1:20
	;; [unrolled: 1-line block ×6, first 2 shown]
	ds_write_b32 v8, v22 offset:14336
	s_waitcnt lgkmcnt(0)
	s_barrier
.LBB852_68:
	v_lshlrev_b32_e32 v8, 2, v11
	ds_read2_b32 v[30:31], v8 offset1:2
	ds_read2_b32 v[22:23], v8 offset0:4 offset1:6
	ds_read2_b32 v[18:19], v8 offset0:8 offset1:10
	;; [unrolled: 1-line block ×3, first 2 shown]
	v_lshlrev_b32_e32 v8, 2, v20
	v_lshlrev_b32_e32 v9, 2, v35
	;; [unrolled: 1-line block ×7, first 2 shown]
	ds_read_b32 v75, v8
	ds_read_b32 v74, v9
	;; [unrolled: 1-line block ×7, first 2 shown]
	s_cmp_eq_u64 s[40:41], 0
	s_cselect_b64 s[38:39], -1, 0
	s_cmp_lg_u64 s[40:41], 0
	s_mov_b64 s[6:7], 0
	s_cselect_b64 s[8:9], -1, 0
	s_and_b64 vcc, exec, s[48:49]
	s_waitcnt lgkmcnt(0)
	s_barrier
	s_cbranch_vccz .LBB852_74
; %bb.69:
	s_and_b64 vcc, exec, s[8:9]
	s_cbranch_vccz .LBB852_139
; %bb.70:
	v_add_co_u32_e32 v8, vcc, -2, v6
	v_addc_co_u32_e32 v9, vcc, -1, v7, vcc
	flat_load_ushort v8, v[8:9]
	v_lshrrev_b32_e32 v10, 16, v14
	v_lshlrev_b32_e32 v9, 1, v0
	v_cmp_ne_u16_e32 vcc, v14, v10
	v_cmp_ne_u16_sdwa s[6:7], v13, v14 src0_sel:WORD_1 src1_sel:DWORD
	v_cmp_ne_u16_sdwa s[10:11], v13, v13 src0_sel:DWORD src1_sel:WORD_1
	v_cmp_ne_u16_sdwa s[12:13], v12, v13 src0_sel:WORD_1 src1_sel:DWORD
	v_cmp_ne_u16_sdwa s[14:15], v12, v12 src0_sel:DWORD src1_sel:WORD_1
	;; [unrolled: 2-line block ×6, first 2 shown]
	v_cmp_ne_u16_e64 s[4:5], v1, v2
	ds_write_b16 v9, v10
	s_waitcnt lgkmcnt(0)
	s_barrier
	s_and_saveexec_b64 s[34:35], s[2:3]
	s_cbranch_execz .LBB852_72
; %bb.71:
	s_waitcnt vmcnt(0)
	v_add_u32_e32 v8, -2, v9
	ds_read_u16 v8, v8
.LBB852_72:
	s_or_b64 exec, exec, s[34:35]
	v_cndmask_b32_e64 v15, 0, 1, vcc
	v_cndmask_b32_e64 v54, 0, 1, s[6:7]
	v_cndmask_b32_e64 v55, 0, 1, s[10:11]
	v_cndmask_b32_e64 v56, 0, 1, s[12:13]
	v_cndmask_b32_e64 v57, 0, 1, s[14:15]
	v_cndmask_b32_e64 v58, 0, 1, s[16:17]
	v_cndmask_b32_e64 v59, 0, 1, s[18:19]
	v_cndmask_b32_e64 v60, 0, 1, s[20:21]
	v_cndmask_b32_e64 v61, 0, 1, s[22:23]
	v_cndmask_b32_e64 v62, 0, 1, s[24:25]
	v_cndmask_b32_e64 v63, 0, 1, s[26:27]
	v_cndmask_b32_e64 v64, 0, 1, s[28:29]
	v_cndmask_b32_e64 v65, 0, 1, s[30:31]
	v_cndmask_b32_e64 v66, 0, 1, s[4:5]
	s_waitcnt vmcnt(0) lgkmcnt(0)
	v_cmp_ne_u16_e64 s[4:5], v8, v1
	s_mov_b64 s[6:7], -1
.LBB852_73:
                                        ; implicit-def: $sgpr12
	s_branch .LBB852_75
.LBB852_74:
                                        ; implicit-def: $sgpr4_sgpr5
                                        ; implicit-def: $vgpr15
                                        ; implicit-def: $vgpr54
                                        ; implicit-def: $vgpr55
                                        ; implicit-def: $vgpr56
                                        ; implicit-def: $vgpr57
                                        ; implicit-def: $vgpr58
                                        ; implicit-def: $vgpr59
                                        ; implicit-def: $vgpr60
                                        ; implicit-def: $vgpr61
                                        ; implicit-def: $vgpr62
                                        ; implicit-def: $vgpr63
                                        ; implicit-def: $vgpr64
                                        ; implicit-def: $vgpr65
                                        ; implicit-def: $vgpr66
                                        ; implicit-def: $sgpr12
	s_cbranch_execnz .LBB852_143
.LBB852_75:
	v_mov_b32_e32 v68, s12
	s_and_saveexec_b64 s[2:3], s[6:7]
.LBB852_76:
	v_cndmask_b32_e64 v68, 0, 1, s[4:5]
.LBB852_77:
	s_or_b64 exec, exec, s[2:3]
	s_cmp_eq_u64 s[46:47], 0
	v_add3_u32 v6, v66, v68, v65
	s_cselect_b64 s[34:35], -1, 0
	s_cmp_lg_u32 s62, 0
	v_cmp_eq_u32_e64 s[26:27], 0, v66
	v_cmp_eq_u32_e64 s[24:25], 0, v65
	;; [unrolled: 1-line block ×3, first 2 shown]
	v_add3_u32 v79, v6, v64, v63
	v_cmp_eq_u32_e64 s[20:21], 0, v63
	v_cmp_eq_u32_e64 s[18:19], 0, v62
	v_cmp_eq_u32_e64 s[16:17], 0, v61
	v_cmp_eq_u32_e64 s[14:15], 0, v60
	v_cmp_eq_u32_e64 s[12:13], 0, v59
	v_cmp_eq_u32_e64 s[10:11], 0, v58
	v_cmp_eq_u32_e64 s[8:9], 0, v57
	v_cmp_eq_u32_e64 s[6:7], 0, v56
	v_cmp_eq_u32_e64 s[4:5], 0, v55
	v_cmp_eq_u32_e64 s[2:3], 0, v54
	v_cmp_eq_u32_e32 vcc, 0, v15
	v_mbcnt_lo_u32_b32 v78, -1, 0
	v_lshrrev_b32_e32 v76, 6, v0
	v_or_b32_e32 v77, 63, v0
	s_cbranch_scc0 .LBB852_108
; %bb.78:
	v_cndmask_b32_e64 v6, 0, v30, s[26:27]
	v_add_u32_e32 v6, v6, v75
	v_cndmask_b32_e64 v6, 0, v6, s[24:25]
	v_add_u32_e32 v6, v6, v31
	;; [unrolled: 2-line block ×11, first 2 shown]
	v_cndmask_b32_e64 v6, 0, v6, s[4:5]
	v_add3_u32 v7, v79, v62, v61
	v_add_u32_e32 v6, v6, v16
	v_add3_u32 v7, v7, v60, v59
	v_cndmask_b32_e64 v6, 0, v6, s[2:3]
	v_add3_u32 v7, v7, v58, v57
	v_add_u32_e32 v6, v6, v69
	v_add3_u32 v7, v7, v56, v55
	v_cndmask_b32_e32 v6, 0, v6, vcc
	v_add3_u32 v7, v7, v54, v15
	v_add_u32_e32 v6, v6, v17
	v_mbcnt_hi_u32_b32 v25, -1, v78
	v_and_b32_e32 v8, 15, v25
	v_mov_b32_dpp v10, v6 row_shr:1 row_mask:0xf bank_mask:0xf
	v_cmp_eq_u32_e32 vcc, 0, v7
	v_mov_b32_dpp v9, v7 row_shr:1 row_mask:0xf bank_mask:0xf
	v_cndmask_b32_e32 v10, 0, v10, vcc
	v_cmp_eq_u32_e32 vcc, 0, v8
	v_cndmask_b32_e64 v9, v9, 0, vcc
	v_add_u32_e32 v7, v9, v7
	v_cndmask_b32_e64 v9, v10, 0, vcc
	v_add_u32_e32 v6, v9, v6
	v_cmp_eq_u32_e32 vcc, 0, v7
	v_mov_b32_dpp v9, v7 row_shr:2 row_mask:0xf bank_mask:0xf
	v_cmp_lt_u32_e64 s[28:29], 1, v8
	v_mov_b32_dpp v10, v6 row_shr:2 row_mask:0xf bank_mask:0xf
	v_cndmask_b32_e64 v9, 0, v9, s[28:29]
	s_and_b64 vcc, s[28:29], vcc
	v_cndmask_b32_e32 v10, 0, v10, vcc
	v_add_u32_e32 v7, v7, v9
	v_add_u32_e32 v6, v10, v6
	v_cmp_eq_u32_e32 vcc, 0, v7
	v_mov_b32_dpp v9, v7 row_shr:4 row_mask:0xf bank_mask:0xf
	v_cmp_lt_u32_e64 s[28:29], 3, v8
	v_mov_b32_dpp v10, v6 row_shr:4 row_mask:0xf bank_mask:0xf
	v_cndmask_b32_e64 v9, 0, v9, s[28:29]
	s_and_b64 vcc, s[28:29], vcc
	v_cndmask_b32_e32 v10, 0, v10, vcc
	v_add_u32_e32 v7, v9, v7
	v_add_u32_e32 v6, v6, v10
	v_cmp_eq_u32_e32 vcc, 0, v7
	v_cmp_lt_u32_e64 s[28:29], 7, v8
	v_mov_b32_dpp v9, v7 row_shr:8 row_mask:0xf bank_mask:0xf
	v_mov_b32_dpp v10, v6 row_shr:8 row_mask:0xf bank_mask:0xf
	s_and_b64 vcc, s[28:29], vcc
	v_cndmask_b32_e64 v8, 0, v9, s[28:29]
	v_cndmask_b32_e32 v9, 0, v10, vcc
	v_add_u32_e32 v6, v9, v6
	v_add_u32_e32 v7, v8, v7
	v_bfe_i32 v10, v25, 4, 1
	v_mov_b32_dpp v9, v6 row_bcast:15 row_mask:0xf bank_mask:0xf
	v_mov_b32_dpp v8, v7 row_bcast:15 row_mask:0xf bank_mask:0xf
	v_cmp_eq_u32_e32 vcc, 0, v7
	v_cndmask_b32_e32 v9, 0, v9, vcc
	v_and_b32_e32 v8, v10, v8
	v_add_u32_e32 v7, v8, v7
	v_and_b32_e32 v8, v10, v9
	v_add_u32_e32 v8, v8, v6
	v_mov_b32_dpp v6, v7 row_bcast:31 row_mask:0xf bank_mask:0xf
	v_cmp_eq_u32_e32 vcc, 0, v7
	v_cmp_lt_u32_e64 s[28:29], 31, v25
	v_mov_b32_dpp v9, v8 row_bcast:31 row_mask:0xf bank_mask:0xf
	v_cndmask_b32_e64 v6, 0, v6, s[28:29]
	s_and_b64 vcc, s[28:29], vcc
	v_add_u32_e32 v6, v6, v7
	v_cndmask_b32_e32 v7, 0, v9, vcc
	v_add_u32_e32 v7, v7, v8
	v_cmp_eq_u32_e32 vcc, v77, v0
	v_lshlrev_b32_e32 v8, 3, v76
	s_and_saveexec_b64 s[28:29], vcc
	s_cbranch_execz .LBB852_80
; %bb.79:
	ds_write_b64 v8, v[6:7] offset:1040
.LBB852_80:
	s_or_b64 exec, exec, s[28:29]
	v_cmp_gt_u32_e32 vcc, 4, v0
	s_waitcnt lgkmcnt(0)
	s_barrier
	s_and_saveexec_b64 s[30:31], vcc
	s_cbranch_execz .LBB852_82
; %bb.81:
	v_lshlrev_b32_e32 v9, 3, v0
	ds_read_b64 v[10:11], v9 offset:1040
	v_and_b32_e32 v20, 3, v25
	v_cmp_lt_u32_e64 s[28:29], 1, v20
	s_waitcnt lgkmcnt(0)
	v_mov_b32_dpp v24, v11 row_shr:1 row_mask:0xf bank_mask:0xf
	v_cmp_eq_u32_e32 vcc, 0, v10
	v_mov_b32_dpp v21, v10 row_shr:1 row_mask:0xf bank_mask:0xf
	v_cndmask_b32_e32 v24, 0, v24, vcc
	v_cmp_eq_u32_e32 vcc, 0, v20
	v_cndmask_b32_e64 v21, v21, 0, vcc
	v_add_u32_e32 v10, v21, v10
	v_cndmask_b32_e64 v21, v24, 0, vcc
	v_add_u32_e32 v11, v21, v11
	v_cmp_eq_u32_e32 vcc, 0, v10
	v_mov_b32_dpp v21, v10 row_shr:2 row_mask:0xf bank_mask:0xf
	v_mov_b32_dpp v24, v11 row_shr:2 row_mask:0xf bank_mask:0xf
	v_cndmask_b32_e64 v20, 0, v21, s[28:29]
	s_and_b64 vcc, s[28:29], vcc
	v_add_u32_e32 v10, v20, v10
	v_cndmask_b32_e32 v20, 0, v24, vcc
	v_add_u32_e32 v11, v20, v11
	ds_write_b64 v9, v[10:11] offset:1040
.LBB852_82:
	s_or_b64 exec, exec, s[30:31]
	v_cmp_gt_u32_e32 vcc, 64, v0
	v_cmp_lt_u32_e64 s[28:29], 63, v0
	v_mov_b32_e32 v20, 0
	v_mov_b32_e32 v21, 0
	s_waitcnt lgkmcnt(0)
	s_barrier
	s_and_saveexec_b64 s[30:31], s[28:29]
	s_cbranch_execz .LBB852_84
; %bb.83:
	ds_read_b64 v[20:21], v8 offset:1032
	v_cmp_eq_u32_e64 s[28:29], 0, v6
	s_waitcnt lgkmcnt(0)
	v_add_u32_e32 v8, v20, v6
	v_cndmask_b32_e64 v6, 0, v21, s[28:29]
	v_add_u32_e32 v7, v6, v7
	v_mov_b32_e32 v6, v8
.LBB852_84:
	s_or_b64 exec, exec, s[30:31]
	v_add_u32_e32 v8, -1, v25
	v_and_b32_e32 v9, 64, v25
	v_cmp_lt_i32_e64 s[28:29], v8, v9
	v_cndmask_b32_e64 v8, v8, v25, s[28:29]
	v_lshlrev_b32_e32 v8, 2, v8
	ds_bpermute_b32 v32, v8, v6
	ds_bpermute_b32 v33, v8, v7
	v_cmp_eq_u32_e64 s[28:29], 0, v25
	s_and_saveexec_b64 s[40:41], vcc
	s_cbranch_execz .LBB852_107
; %bb.85:
	v_mov_b32_e32 v11, 0
	ds_read_b64 v[6:7], v11 offset:1064
	s_waitcnt lgkmcnt(0)
	v_readfirstlane_b32 s48, v6
	v_readfirstlane_b32 s49, v7
	s_and_saveexec_b64 s[30:31], s[28:29]
	s_cbranch_execz .LBB852_87
; %bb.86:
	s_add_i32 s46, s62, 64
	s_mov_b32 s47, 0
	s_lshl_b64 s[50:51], s[46:47], 4
	s_add_u32 s50, s44, s50
	s_addc_u32 s51, s45, s51
	s_and_b32 s57, s49, 0xff000000
	s_mov_b32 s56, s47
	s_and_b32 s65, s49, 0xff0000
	s_mov_b32 s64, s47
	s_or_b64 s[56:57], s[64:65], s[56:57]
	s_and_b32 s65, s49, 0xff00
	s_or_b64 s[56:57], s[56:57], s[64:65]
	s_and_b32 s65, s49, 0xff
	s_or_b64 s[46:47], s[56:57], s[64:65]
	v_mov_b32_e32 v8, s48
	v_mov_b32_e32 v9, s47
	;; [unrolled: 1-line block ×3, first 2 shown]
	v_pk_mov_b32 v[6:7], s[50:51], s[50:51] op_sel:[0,1]
	;;#ASMSTART
	global_store_dwordx4 v[6:7], v[8:11] off	
s_waitcnt vmcnt(0)
	;;#ASMEND
.LBB852_87:
	s_or_b64 exec, exec, s[30:31]
	v_xad_u32 v24, v25, -1, s62
	v_add_u32_e32 v10, 64, v24
	v_lshlrev_b64 v[6:7], 4, v[10:11]
	v_mov_b32_e32 v8, s45
	v_add_co_u32_e32 v26, vcc, s44, v6
	v_addc_co_u32_e32 v27, vcc, v8, v7, vcc
	;;#ASMSTART
	global_load_dwordx4 v[6:9], v[26:27] off glc	
s_waitcnt vmcnt(0)
	;;#ASMEND
	v_and_b32_e32 v9, 0xff, v7
	v_and_b32_e32 v10, 0xff00, v7
	;; [unrolled: 1-line block ×3, first 2 shown]
	v_or3_b32 v9, 0, v9, v10
	v_or3_b32 v6, v6, 0, 0
	v_and_b32_e32 v7, 0xff000000, v7
	v_or3_b32 v7, v9, v28, v7
	v_or3_b32 v6, v6, 0, 0
	v_cmp_eq_u16_sdwa s[46:47], v8, v11 src0_sel:BYTE_0 src1_sel:DWORD
	s_and_saveexec_b64 s[30:31], s[46:47]
	s_cbranch_execz .LBB852_93
; %bb.88:
	s_mov_b32 s50, 1
	s_mov_b64 s[46:47], 0
	v_mov_b32_e32 v10, 0
.LBB852_89:                             ; =>This Loop Header: Depth=1
                                        ;     Child Loop BB852_90 Depth 2
	s_max_u32 s51, s50, 1
.LBB852_90:                             ;   Parent Loop BB852_89 Depth=1
                                        ; =>  This Inner Loop Header: Depth=2
	s_add_i32 s51, s51, -1
	s_cmp_eq_u32 s51, 0
	s_sleep 1
	s_cbranch_scc0 .LBB852_90
; %bb.91:                               ;   in Loop: Header=BB852_89 Depth=1
	s_cmp_lt_u32 s50, 32
	s_cselect_b64 s[56:57], -1, 0
	s_cmp_lg_u64 s[56:57], 0
	s_addc_u32 s50, s50, 0
	;;#ASMSTART
	global_load_dwordx4 v[6:9], v[26:27] off glc	
s_waitcnt vmcnt(0)
	;;#ASMEND
	v_cmp_ne_u16_sdwa s[56:57], v8, v10 src0_sel:BYTE_0 src1_sel:DWORD
	s_or_b64 s[46:47], s[56:57], s[46:47]
	s_andn2_b64 exec, exec, s[46:47]
	s_cbranch_execnz .LBB852_89
; %bb.92:
	s_or_b64 exec, exec, s[46:47]
.LBB852_93:
	s_or_b64 exec, exec, s[30:31]
	v_mov_b32_e32 v34, 2
	v_cmp_eq_u16_sdwa s[30:31], v8, v34 src0_sel:BYTE_0 src1_sel:DWORD
	v_lshlrev_b64 v[26:27], v25, -1
	v_and_b32_e32 v9, s31, v27
	v_and_b32_e32 v35, 63, v25
	v_or_b32_e32 v9, 0x80000000, v9
	v_cmp_ne_u32_e32 vcc, 63, v35
	v_and_b32_e32 v10, s30, v26
	v_ffbl_b32_e32 v9, v9
	v_addc_co_u32_e32 v11, vcc, 0, v25, vcc
	v_add_u32_e32 v9, 32, v9
	v_ffbl_b32_e32 v10, v10
	v_lshlrev_b32_e32 v36, 2, v11
	v_min_u32_e32 v9, v10, v9
	ds_bpermute_b32 v10, v36, v7
	v_cmp_eq_u32_e32 vcc, 0, v6
	v_cmp_lt_u32_e64 s[30:31], v35, v9
	ds_bpermute_b32 v11, v36, v6
	s_and_b64 vcc, s[30:31], vcc
	s_waitcnt lgkmcnt(1)
	v_cndmask_b32_e32 v10, 0, v10, vcc
	v_cmp_gt_u32_e32 vcc, 62, v35
	v_add_u32_e32 v7, v10, v7
	v_cndmask_b32_e64 v10, 0, 1, vcc
	v_lshlrev_b32_e32 v10, 1, v10
	v_add_lshl_u32 v37, v10, v25, 2
	s_waitcnt lgkmcnt(0)
	v_cndmask_b32_e64 v11, 0, v11, s[30:31]
	ds_bpermute_b32 v10, v37, v7
	v_add_u32_e32 v6, v11, v6
	ds_bpermute_b32 v11, v37, v6
	v_add_u32_e32 v38, 2, v35
	v_cmp_eq_u32_e32 vcc, 0, v6
	s_waitcnt lgkmcnt(1)
	v_cndmask_b32_e32 v10, 0, v10, vcc
	v_cmp_gt_u32_e32 vcc, v38, v9
	v_cndmask_b32_e64 v10, v10, 0, vcc
	v_add_u32_e32 v7, v10, v7
	s_waitcnt lgkmcnt(0)
	v_cndmask_b32_e64 v10, v11, 0, vcc
	v_cmp_gt_u32_e32 vcc, 60, v35
	v_cndmask_b32_e64 v11, 0, 1, vcc
	v_lshlrev_b32_e32 v11, 2, v11
	v_add_lshl_u32 v39, v11, v25, 2
	ds_bpermute_b32 v11, v39, v7
	v_add_u32_e32 v6, v6, v10
	ds_bpermute_b32 v10, v39, v6
	v_add_u32_e32 v40, 4, v35
	v_cmp_eq_u32_e32 vcc, 0, v6
	s_waitcnt lgkmcnt(1)
	v_cndmask_b32_e32 v11, 0, v11, vcc
	v_cmp_gt_u32_e32 vcc, v40, v9
	v_cndmask_b32_e64 v11, v11, 0, vcc
	s_waitcnt lgkmcnt(0)
	v_cndmask_b32_e64 v10, v10, 0, vcc
	v_cmp_gt_u32_e32 vcc, 56, v35
	v_add_u32_e32 v7, v7, v11
	v_cndmask_b32_e64 v11, 0, 1, vcc
	v_lshlrev_b32_e32 v11, 3, v11
	v_add_lshl_u32 v41, v11, v25, 2
	ds_bpermute_b32 v11, v41, v7
	v_add_u32_e32 v6, v6, v10
	ds_bpermute_b32 v10, v41, v6
	v_add_u32_e32 v42, 8, v35
	v_cmp_eq_u32_e32 vcc, 0, v6
	s_waitcnt lgkmcnt(1)
	v_cndmask_b32_e32 v11, 0, v11, vcc
	v_cmp_gt_u32_e32 vcc, v42, v9
	v_cndmask_b32_e64 v11, v11, 0, vcc
	s_waitcnt lgkmcnt(0)
	v_cndmask_b32_e64 v10, v10, 0, vcc
	v_cmp_gt_u32_e32 vcc, 48, v35
	v_add_u32_e32 v7, v7, v11
	;; [unrolled: 16-line block ×3, first 2 shown]
	v_cndmask_b32_e64 v11, 0, 1, vcc
	v_lshlrev_b32_e32 v11, 5, v11
	v_add_lshl_u32 v45, v11, v25, 2
	ds_bpermute_b32 v11, v45, v7
	v_add_u32_e32 v6, v6, v10
	ds_bpermute_b32 v10, v45, v6
	v_add_u32_e32 v46, 32, v35
	v_cmp_eq_u32_e32 vcc, 0, v6
	s_waitcnt lgkmcnt(1)
	v_cndmask_b32_e32 v11, 0, v11, vcc
	v_cmp_gt_u32_e32 vcc, v46, v9
	v_cndmask_b32_e64 v9, v11, 0, vcc
	v_add_u32_e32 v7, v9, v7
	s_waitcnt lgkmcnt(0)
	v_cndmask_b32_e64 v9, v10, 0, vcc
	v_add_u32_e32 v6, v9, v6
	v_mov_b32_e32 v25, 0
	s_branch .LBB852_95
.LBB852_94:                             ;   in Loop: Header=BB852_95 Depth=1
	s_or_b64 exec, exec, s[30:31]
	v_cmp_eq_u16_sdwa s[30:31], v8, v34 src0_sel:BYTE_0 src1_sel:DWORD
	v_and_b32_e32 v9, s31, v27
	v_or_b32_e32 v9, 0x80000000, v9
	v_and_b32_e32 v28, s30, v26
	v_ffbl_b32_e32 v9, v9
	v_add_u32_e32 v9, 32, v9
	v_ffbl_b32_e32 v28, v28
	v_min_u32_e32 v9, v28, v9
	ds_bpermute_b32 v28, v36, v7
	v_cmp_eq_u32_e32 vcc, 0, v6
	v_cmp_lt_u32_e64 s[30:31], v35, v9
	ds_bpermute_b32 v29, v36, v6
	s_and_b64 vcc, s[30:31], vcc
	s_waitcnt lgkmcnt(1)
	v_cndmask_b32_e32 v28, 0, v28, vcc
	v_add_u32_e32 v7, v28, v7
	ds_bpermute_b32 v28, v37, v7
	s_waitcnt lgkmcnt(1)
	v_cndmask_b32_e64 v29, 0, v29, s[30:31]
	v_add_u32_e32 v6, v29, v6
	v_cmp_eq_u32_e32 vcc, 0, v6
	ds_bpermute_b32 v29, v37, v6
	s_waitcnt lgkmcnt(1)
	v_cndmask_b32_e32 v28, 0, v28, vcc
	v_cmp_gt_u32_e32 vcc, v38, v9
	v_cndmask_b32_e64 v28, v28, 0, vcc
	v_add_u32_e32 v7, v28, v7
	ds_bpermute_b32 v28, v39, v7
	s_waitcnt lgkmcnt(1)
	v_cndmask_b32_e64 v29, v29, 0, vcc
	v_add_u32_e32 v6, v6, v29
	v_cmp_eq_u32_e32 vcc, 0, v6
	ds_bpermute_b32 v29, v39, v6
	s_waitcnt lgkmcnt(1)
	v_cndmask_b32_e32 v28, 0, v28, vcc
	v_cmp_gt_u32_e32 vcc, v40, v9
	v_cndmask_b32_e64 v28, v28, 0, vcc
	v_add_u32_e32 v7, v7, v28
	ds_bpermute_b32 v28, v41, v7
	s_waitcnt lgkmcnt(1)
	v_cndmask_b32_e64 v29, v29, 0, vcc
	v_add_u32_e32 v6, v6, v29
	ds_bpermute_b32 v29, v41, v6
	v_cmp_eq_u32_e32 vcc, 0, v6
	s_waitcnt lgkmcnt(1)
	v_cndmask_b32_e32 v28, 0, v28, vcc
	v_cmp_gt_u32_e32 vcc, v42, v9
	v_cndmask_b32_e64 v28, v28, 0, vcc
	v_add_u32_e32 v7, v7, v28
	ds_bpermute_b32 v28, v43, v7
	s_waitcnt lgkmcnt(1)
	v_cndmask_b32_e64 v29, v29, 0, vcc
	v_add_u32_e32 v6, v6, v29
	ds_bpermute_b32 v29, v43, v6
	v_cmp_eq_u32_e32 vcc, 0, v6
	;; [unrolled: 11-line block ×3, first 2 shown]
	s_waitcnt lgkmcnt(1)
	v_cndmask_b32_e32 v28, 0, v28, vcc
	v_cmp_gt_u32_e32 vcc, v46, v9
	v_cndmask_b32_e64 v9, v28, 0, vcc
	v_add_u32_e32 v7, v9, v7
	s_waitcnt lgkmcnt(0)
	v_cndmask_b32_e64 v9, v29, 0, vcc
	v_cmp_eq_u32_e32 vcc, 0, v10
	v_cndmask_b32_e32 v7, 0, v7, vcc
	v_subrev_u32_e32 v24, 64, v24
	v_add3_u32 v6, v6, v10, v9
	v_add_u32_e32 v7, v7, v11
.LBB852_95:                             ; =>This Loop Header: Depth=1
                                        ;     Child Loop BB852_98 Depth 2
                                        ;       Child Loop BB852_99 Depth 3
	v_cmp_ne_u16_sdwa s[30:31], v8, v34 src0_sel:BYTE_0 src1_sel:DWORD
	v_mov_b32_e32 v11, v7
	v_cndmask_b32_e64 v7, 0, 1, s[30:31]
	;;#ASMSTART
	;;#ASMEND
	v_cmp_ne_u32_e32 vcc, 0, v7
	s_cmp_lg_u64 vcc, exec
	v_mov_b32_e32 v10, v6
	s_cbranch_scc1 .LBB852_102
; %bb.96:                               ;   in Loop: Header=BB852_95 Depth=1
	v_lshlrev_b64 v[6:7], 4, v[24:25]
	v_mov_b32_e32 v8, s45
	v_add_co_u32_e32 v28, vcc, s44, v6
	v_addc_co_u32_e32 v29, vcc, v8, v7, vcc
	;;#ASMSTART
	global_load_dwordx4 v[6:9], v[28:29] off glc	
s_waitcnt vmcnt(0)
	;;#ASMEND
	v_and_b32_e32 v9, 0xff, v7
	v_and_b32_e32 v47, 0xff00, v7
	;; [unrolled: 1-line block ×3, first 2 shown]
	v_or3_b32 v9, 0, v9, v47
	v_or3_b32 v6, v6, 0, 0
	v_and_b32_e32 v7, 0xff000000, v7
	v_or3_b32 v7, v9, v48, v7
	v_or3_b32 v6, v6, 0, 0
	v_cmp_eq_u16_sdwa s[46:47], v8, v25 src0_sel:BYTE_0 src1_sel:DWORD
	s_and_saveexec_b64 s[30:31], s[46:47]
	s_cbranch_execz .LBB852_94
; %bb.97:                               ;   in Loop: Header=BB852_95 Depth=1
	s_mov_b32 s50, 1
	s_mov_b64 s[46:47], 0
.LBB852_98:                             ;   Parent Loop BB852_95 Depth=1
                                        ; =>  This Loop Header: Depth=2
                                        ;       Child Loop BB852_99 Depth 3
	s_max_u32 s51, s50, 1
.LBB852_99:                             ;   Parent Loop BB852_95 Depth=1
                                        ;     Parent Loop BB852_98 Depth=2
                                        ; =>    This Inner Loop Header: Depth=3
	s_add_i32 s51, s51, -1
	s_cmp_eq_u32 s51, 0
	s_sleep 1
	s_cbranch_scc0 .LBB852_99
; %bb.100:                              ;   in Loop: Header=BB852_98 Depth=2
	s_cmp_lt_u32 s50, 32
	s_cselect_b64 s[56:57], -1, 0
	s_cmp_lg_u64 s[56:57], 0
	s_addc_u32 s50, s50, 0
	;;#ASMSTART
	global_load_dwordx4 v[6:9], v[28:29] off glc	
s_waitcnt vmcnt(0)
	;;#ASMEND
	v_cmp_ne_u16_sdwa s[56:57], v8, v25 src0_sel:BYTE_0 src1_sel:DWORD
	s_or_b64 s[46:47], s[56:57], s[46:47]
	s_andn2_b64 exec, exec, s[46:47]
	s_cbranch_execnz .LBB852_98
; %bb.101:                              ;   in Loop: Header=BB852_95 Depth=1
	s_or_b64 exec, exec, s[46:47]
	s_branch .LBB852_94
.LBB852_102:                            ;   in Loop: Header=BB852_95 Depth=1
                                        ; implicit-def: $vgpr7
                                        ; implicit-def: $vgpr6
                                        ; implicit-def: $vgpr8
	s_cbranch_execz .LBB852_95
; %bb.103:
	s_and_saveexec_b64 s[30:31], s[28:29]
	s_cbranch_execz .LBB852_105
; %bb.104:
	s_cmp_eq_u32 s48, 0
	s_cselect_b64 vcc, -1, 0
	s_mov_b32 s47, 0
	v_cndmask_b32_e32 v6, 0, v11, vcc
	s_add_i32 s46, s62, 64
	v_add_u32_e32 v6, s49, v6
	s_lshl_b64 s[46:47], s[46:47], 4
	s_add_u32 s46, s44, s46
	v_and_b32_e32 v7, 0xff000000, v6
	v_and_b32_e32 v8, 0xff0000, v6
	s_addc_u32 s47, s45, s47
	v_or_b32_e32 v7, v8, v7
	v_and_b32_e32 v8, 0xff00, v6
	v_and_b32_e32 v6, 0xff, v6
	v_add_u32_e32 v24, s48, v10
	v_mov_b32_e32 v27, 0
	v_or3_b32 v25, v7, v8, v6
	v_mov_b32_e32 v26, 2
	v_pk_mov_b32 v[6:7], s[46:47], s[46:47] op_sel:[0,1]
	;;#ASMSTART
	global_store_dwordx4 v[6:7], v[24:27] off	
s_waitcnt vmcnt(0)
	;;#ASMEND
	v_mov_b32_e32 v8, s48
	v_mov_b32_e32 v9, s49
	ds_write_b128 v27, v[8:11] offset:1024
.LBB852_105:
	s_or_b64 exec, exec, s[30:31]
	s_and_b64 exec, exec, s[0:1]
	s_cbranch_execz .LBB852_107
; %bb.106:
	v_mov_b32_e32 v6, 0
	ds_write_b64 v6, v[10:11] offset:1064
.LBB852_107:
	s_or_b64 exec, exec, s[40:41]
	v_mov_b32_e32 v8, 0
	s_waitcnt lgkmcnt(0)
	s_barrier
	ds_read_b64 v[6:7], v8 offset:1064
	v_cndmask_b32_e64 v10, v32, v20, s[28:29]
	v_cmp_eq_u32_e32 vcc, 0, v10
	v_cndmask_b32_e64 v9, v33, v21, s[28:29]
	s_waitcnt lgkmcnt(0)
	v_cndmask_b32_e32 v11, 0, v7, vcc
	v_add_u32_e32 v9, v11, v9
	v_cndmask_b32_e64 v53, v9, v7, s[0:1]
	v_cndmask_b32_e64 v7, v10, 0, s[0:1]
	v_cmp_eq_u32_e32 vcc, 0, v68
	v_add_u32_e32 v52, v6, v7
	v_cndmask_b32_e32 v6, 0, v53, vcc
	v_add_u32_e32 v51, v6, v30
	v_cndmask_b32_e64 v6, 0, v51, s[26:27]
	v_add_u32_e32 v49, v6, v75
	v_cndmask_b32_e64 v6, 0, v49, s[24:25]
	;; [unrolled: 2-line block ×8, first 2 shown]
	v_add_u32_e32 v50, v52, v68
	v_add_u32_e32 v35, v6, v18
	v_add_u32_e32 v48, v50, v66
	v_cndmask_b32_e64 v6, 0, v35, s[10:11]
	v_add_u32_e32 v46, v48, v65
	v_add_u32_e32 v33, v6, v71
	v_add_u32_e32 v44, v46, v64
	v_cndmask_b32_e64 v6, 0, v33, s[8:9]
	;; [unrolled: 4-line block ×3, first 2 shown]
	v_add_u32_e32 v38, v40, v61
	v_add_u32_e32 v27, v6, v70
	s_barrier
	ds_read_b128 v[6:9], v8 offset:1024
	v_add_u32_e32 v36, v38, v60
	v_add_u32_e32 v34, v36, v59
	;; [unrolled: 1-line block ×4, first 2 shown]
	v_cndmask_b32_e64 v10, 0, v27, s[4:5]
	v_add_u32_e32 v26, v28, v56
	v_add_u32_e32 v25, v10, v16
	s_waitcnt lgkmcnt(0)
	v_cmp_eq_u32_e32 vcc, 0, v6
	v_add_u32_e32 v24, v26, v55
	v_cndmask_b32_e64 v10, 0, v25, s[2:3]
	v_cndmask_b32_e32 v9, 0, v9, vcc
	v_add_u32_e32 v20, v24, v54
	v_add_u32_e32 v21, v10, v69
	;; [unrolled: 1-line block ×3, first 2 shown]
	s_branch .LBB852_120
.LBB852_108:
                                        ; implicit-def: $vgpr6
                                        ; implicit-def: $vgpr67
                                        ; implicit-def: $vgpr52_vgpr53
                                        ; implicit-def: $vgpr50_vgpr51
                                        ; implicit-def: $vgpr48_vgpr49
                                        ; implicit-def: $vgpr46_vgpr47
                                        ; implicit-def: $vgpr44_vgpr45
                                        ; implicit-def: $vgpr42_vgpr43
                                        ; implicit-def: $vgpr40_vgpr41
                                        ; implicit-def: $vgpr38_vgpr39
                                        ; implicit-def: $vgpr36_vgpr37
                                        ; implicit-def: $vgpr34_vgpr35
                                        ; implicit-def: $vgpr32_vgpr33
                                        ; implicit-def: $vgpr28_vgpr29
                                        ; implicit-def: $vgpr26_vgpr27
                                        ; implicit-def: $vgpr24_vgpr25
                                        ; implicit-def: $vgpr20_vgpr21
	s_cbranch_execz .LBB852_120
; %bb.109:
	s_and_b64 s[2:3], s[34:35], exec
	s_cselect_b32 s3, 0, s61
	s_cselect_b32 s2, 0, s60
	s_cmp_eq_u64 s[2:3], 0
	v_mov_b32_e32 v10, v30
	s_cbranch_scc1 .LBB852_111
; %bb.110:
	v_mov_b32_e32 v6, 0
	global_load_dword v10, v6, s[2:3]
.LBB852_111:
	v_cmp_eq_u32_e64 s[2:3], 0, v66
	v_cndmask_b32_e64 v6, 0, v30, s[2:3]
	v_add_u32_e32 v6, v6, v75
	v_cmp_eq_u32_e64 s[4:5], 0, v65
	v_cndmask_b32_e64 v6, 0, v6, s[4:5]
	v_add_u32_e32 v6, v6, v31
	v_cmp_eq_u32_e64 s[6:7], 0, v64
	v_cndmask_b32_e64 v6, 0, v6, s[6:7]
	v_add_u32_e32 v6, v6, v74
	v_cmp_eq_u32_e64 s[8:9], 0, v63
	v_cndmask_b32_e64 v6, 0, v6, s[8:9]
	v_add_u32_e32 v6, v6, v22
	v_cmp_eq_u32_e64 s[10:11], 0, v62
	v_cndmask_b32_e64 v6, 0, v6, s[10:11]
	v_add_u32_e32 v6, v6, v73
	v_cmp_eq_u32_e64 s[12:13], 0, v61
	v_cndmask_b32_e64 v6, 0, v6, s[12:13]
	v_add_u32_e32 v6, v6, v23
	v_cmp_eq_u32_e64 s[14:15], 0, v60
	v_cndmask_b32_e64 v6, 0, v6, s[14:15]
	v_add_u32_e32 v6, v6, v72
	v_cmp_eq_u32_e64 s[16:17], 0, v59
	v_cndmask_b32_e64 v6, 0, v6, s[16:17]
	v_add_u32_e32 v6, v6, v18
	v_cmp_eq_u32_e64 s[18:19], 0, v58
	v_cndmask_b32_e64 v6, 0, v6, s[18:19]
	v_add_u32_e32 v6, v6, v71
	v_cmp_eq_u32_e64 s[20:21], 0, v57
	v_cndmask_b32_e64 v6, 0, v6, s[20:21]
	v_add_u32_e32 v6, v6, v19
	v_cmp_eq_u32_e64 s[22:23], 0, v56
	v_cndmask_b32_e64 v6, 0, v6, s[22:23]
	v_add_u32_e32 v6, v6, v70
	v_cmp_eq_u32_e64 s[24:25], 0, v55
	v_cndmask_b32_e64 v6, 0, v6, s[24:25]
	v_add3_u32 v7, v79, v62, v61
	v_add_u32_e32 v6, v6, v16
	v_cmp_eq_u32_e32 vcc, 0, v54
	v_add3_u32 v7, v7, v60, v59
	v_cndmask_b32_e32 v6, 0, v6, vcc
	v_add3_u32 v7, v7, v58, v57
	v_add_u32_e32 v6, v6, v69
	v_cmp_eq_u32_e64 s[26:27], 0, v15
	v_add3_u32 v7, v7, v56, v55
	v_cndmask_b32_e64 v6, 0, v6, s[26:27]
	v_add3_u32 v7, v7, v54, v15
	v_add_u32_e32 v6, v6, v17
	v_mbcnt_hi_u32_b32 v11, -1, v78
	v_and_b32_e32 v8, 15, v11
	v_mov_b32_dpp v17, v6 row_shr:1 row_mask:0xf bank_mask:0xf
	v_cmp_eq_u32_e64 s[26:27], 0, v7
	v_mov_b32_dpp v9, v7 row_shr:1 row_mask:0xf bank_mask:0xf
	v_cndmask_b32_e64 v17, 0, v17, s[26:27]
	v_cmp_eq_u32_e64 s[26:27], 0, v8
	v_cndmask_b32_e64 v9, v9, 0, s[26:27]
	v_add_u32_e32 v7, v9, v7
	v_cndmask_b32_e64 v9, v17, 0, s[26:27]
	v_add_u32_e32 v6, v9, v6
	v_cmp_eq_u32_e64 s[26:27], 0, v7
	v_mov_b32_dpp v9, v7 row_shr:2 row_mask:0xf bank_mask:0xf
	v_cmp_lt_u32_e64 s[28:29], 1, v8
	v_mov_b32_dpp v17, v6 row_shr:2 row_mask:0xf bank_mask:0xf
	v_cndmask_b32_e64 v9, 0, v9, s[28:29]
	s_and_b64 s[26:27], s[28:29], s[26:27]
	v_cndmask_b32_e64 v17, 0, v17, s[26:27]
	v_add_u32_e32 v7, v7, v9
	v_add_u32_e32 v6, v17, v6
	v_cmp_eq_u32_e64 s[26:27], 0, v7
	v_mov_b32_dpp v9, v7 row_shr:4 row_mask:0xf bank_mask:0xf
	v_cmp_lt_u32_e64 s[28:29], 3, v8
	v_mov_b32_dpp v17, v6 row_shr:4 row_mask:0xf bank_mask:0xf
	v_cndmask_b32_e64 v9, 0, v9, s[28:29]
	s_and_b64 s[26:27], s[28:29], s[26:27]
	v_cndmask_b32_e64 v17, 0, v17, s[26:27]
	v_add_u32_e32 v7, v9, v7
	v_add_u32_e32 v6, v6, v17
	v_cmp_eq_u32_e64 s[26:27], 0, v7
	v_cmp_lt_u32_e64 s[28:29], 7, v8
	v_mov_b32_dpp v9, v7 row_shr:8 row_mask:0xf bank_mask:0xf
	v_mov_b32_dpp v17, v6 row_shr:8 row_mask:0xf bank_mask:0xf
	s_and_b64 s[26:27], s[28:29], s[26:27]
	v_cndmask_b32_e64 v8, 0, v9, s[28:29]
	v_cndmask_b32_e64 v9, 0, v17, s[26:27]
	v_add_u32_e32 v6, v9, v6
	v_add_u32_e32 v7, v8, v7
	v_bfe_i32 v17, v11, 4, 1
	v_mov_b32_dpp v9, v6 row_bcast:15 row_mask:0xf bank_mask:0xf
	v_mov_b32_dpp v8, v7 row_bcast:15 row_mask:0xf bank_mask:0xf
	v_cmp_eq_u32_e64 s[26:27], 0, v7
	v_cndmask_b32_e64 v9, 0, v9, s[26:27]
	v_and_b32_e32 v8, v17, v8
	v_add_u32_e32 v7, v8, v7
	v_and_b32_e32 v8, v17, v9
	v_add_u32_e32 v8, v8, v6
	v_mov_b32_dpp v6, v7 row_bcast:31 row_mask:0xf bank_mask:0xf
	v_cmp_eq_u32_e64 s[26:27], 0, v7
	v_cmp_lt_u32_e64 s[28:29], 31, v11
	v_mov_b32_dpp v9, v8 row_bcast:31 row_mask:0xf bank_mask:0xf
	v_cndmask_b32_e64 v6, 0, v6, s[28:29]
	s_and_b64 s[26:27], s[28:29], s[26:27]
	v_add_u32_e32 v6, v6, v7
	v_cndmask_b32_e64 v7, 0, v9, s[26:27]
	v_add_u32_e32 v7, v7, v8
	v_cmp_eq_u32_e64 s[26:27], v77, v0
	s_and_saveexec_b64 s[28:29], s[26:27]
	s_cbranch_execz .LBB852_113
; %bb.112:
	v_lshlrev_b32_e32 v8, 3, v76
	ds_write_b64 v8, v[6:7] offset:1040
.LBB852_113:
	s_or_b64 exec, exec, s[28:29]
	v_cmp_gt_u32_e64 s[26:27], 4, v0
	s_waitcnt lgkmcnt(0)
	s_barrier
	s_and_saveexec_b64 s[30:31], s[26:27]
	s_cbranch_execz .LBB852_115
; %bb.114:
	v_lshlrev_b32_e32 v17, 3, v0
	ds_read_b64 v[8:9], v17 offset:1040
	v_and_b32_e32 v20, 3, v11
	v_cmp_lt_u32_e64 s[28:29], 1, v20
	s_waitcnt lgkmcnt(0)
	v_mov_b32_dpp v24, v9 row_shr:1 row_mask:0xf bank_mask:0xf
	v_cmp_eq_u32_e64 s[26:27], 0, v8
	v_mov_b32_dpp v21, v8 row_shr:1 row_mask:0xf bank_mask:0xf
	v_cndmask_b32_e64 v24, 0, v24, s[26:27]
	v_cmp_eq_u32_e64 s[26:27], 0, v20
	v_cndmask_b32_e64 v21, v21, 0, s[26:27]
	v_add_u32_e32 v8, v21, v8
	v_cndmask_b32_e64 v21, v24, 0, s[26:27]
	v_add_u32_e32 v9, v21, v9
	v_cmp_eq_u32_e64 s[26:27], 0, v8
	v_mov_b32_dpp v21, v8 row_shr:2 row_mask:0xf bank_mask:0xf
	v_mov_b32_dpp v24, v9 row_shr:2 row_mask:0xf bank_mask:0xf
	v_cndmask_b32_e64 v20, 0, v21, s[28:29]
	s_and_b64 s[26:27], s[28:29], s[26:27]
	v_add_u32_e32 v8, v20, v8
	v_cndmask_b32_e64 v20, 0, v24, s[26:27]
	v_add_u32_e32 v9, v20, v9
	ds_write_b64 v17, v[8:9] offset:1040
.LBB852_115:
	s_or_b64 exec, exec, s[30:31]
	v_cmp_lt_u32_e64 s[26:27], 63, v0
	v_mov_b32_e32 v17, 0
	v_mov_b32_e32 v8, 0
	s_waitcnt vmcnt(0)
	v_mov_b32_e32 v9, v10
	s_waitcnt lgkmcnt(0)
	s_barrier
	s_and_saveexec_b64 s[28:29], s[26:27]
	s_cbranch_execz .LBB852_117
; %bb.116:
	v_lshlrev_b32_e32 v8, 3, v76
	ds_read_b64 v[8:9], v8 offset:1032
	s_waitcnt lgkmcnt(0)
	v_cmp_eq_u32_e64 s[26:27], 0, v8
	v_cndmask_b32_e64 v20, 0, v10, s[26:27]
	v_add_u32_e32 v9, v20, v9
.LBB852_117:
	s_or_b64 exec, exec, s[28:29]
	v_cmp_eq_u32_e64 s[26:27], 0, v6
	v_add_u32_e32 v20, v8, v6
	v_cndmask_b32_e64 v6, 0, v9, s[26:27]
	v_add_u32_e32 v6, v6, v7
	v_add_u32_e32 v7, -1, v11
	v_and_b32_e32 v21, 64, v11
	v_cmp_lt_i32_e64 s[26:27], v7, v21
	v_cndmask_b32_e64 v7, v7, v11, s[26:27]
	v_lshlrev_b32_e32 v7, 2, v7
	ds_bpermute_b32 v6, v7, v6
	ds_bpermute_b32 v20, v7, v20
	v_cmp_eq_u32_e64 s[26:27], 0, v11
	s_waitcnt lgkmcnt(1)
	v_cndmask_b32_e64 v6, v6, v9, s[26:27]
	s_waitcnt lgkmcnt(0)
	v_cndmask_b32_e64 v7, v20, v8, s[26:27]
	v_cndmask_b32_e64 v53, v6, v10, s[0:1]
	v_cmp_eq_u32_e64 s[26:27], 0, v68
	v_cndmask_b32_e64 v6, 0, v53, s[26:27]
	v_add_u32_e32 v51, v6, v30
	v_cndmask_b32_e64 v6, 0, v51, s[2:3]
	v_add_u32_e32 v49, v6, v75
	;; [unrolled: 2-line block ×8, first 2 shown]
	v_cndmask_b32_e64 v52, v7, 0, s[0:1]
	v_cndmask_b32_e64 v6, 0, v37, s[16:17]
	v_add_u32_e32 v50, v52, v68
	v_add_u32_e32 v35, v6, v18
	v_add_u32_e32 v48, v50, v66
	v_cndmask_b32_e64 v6, 0, v35, s[18:19]
	v_add_u32_e32 v46, v48, v65
	v_add_u32_e32 v33, v6, v71
	v_add_u32_e32 v44, v46, v64
	;; [unrolled: 4-line block ×3, first 2 shown]
	v_cndmask_b32_e64 v6, 0, v29, s[22:23]
	v_add_u32_e32 v38, v40, v61
	v_add_u32_e32 v27, v6, v70
	ds_read_b64 v[6:7], v17 offset:1064
	v_add_u32_e32 v36, v38, v60
	v_add_u32_e32 v34, v36, v59
	;; [unrolled: 1-line block ×3, first 2 shown]
	v_cndmask_b32_e64 v8, 0, v27, s[24:25]
	v_add_u32_e32 v28, v32, v57
	v_add_u32_e32 v25, v8, v16
	;; [unrolled: 1-line block ×3, first 2 shown]
	v_cndmask_b32_e32 v8, 0, v25, vcc
	s_waitcnt lgkmcnt(0)
	v_cmp_eq_u32_e32 vcc, 0, v6
	v_add_u32_e32 v24, v26, v55
	v_add_u32_e32 v21, v8, v69
	v_cndmask_b32_e32 v8, 0, v10, vcc
	v_add_u32_e32 v20, v24, v54
	v_add_u32_e32 v67, v8, v7
	s_and_saveexec_b64 s[2:3], s[0:1]
	s_cbranch_execz .LBB852_119
; %bb.118:
	s_add_u32 s4, s44, 0x400
	v_and_b32_e32 v7, 0xff000000, v67
	v_and_b32_e32 v8, 0xff0000, v67
	s_addc_u32 s5, s45, 0
	v_or_b32_e32 v7, v8, v7
	v_and_b32_e32 v8, 0xff00, v67
	v_and_b32_e32 v10, 0xff, v67
	v_mov_b32_e32 v9, 0
	v_or3_b32 v7, v7, v8, v10
	v_mov_b32_e32 v8, 2
	v_pk_mov_b32 v[10:11], s[4:5], s[4:5] op_sel:[0,1]
	;;#ASMSTART
	global_store_dwordx4 v[10:11], v[6:9] off	
s_waitcnt vmcnt(0)
	;;#ASMEND
.LBB852_119:
	s_or_b64 exec, exec, s[2:3]
	v_mov_b32_e32 v8, 0
.LBB852_120:
	s_and_b64 s[2:3], s[34:35], exec
	s_cselect_b32 s3, 0, s59
	s_cselect_b32 s2, 0, s58
	s_cmp_eq_u64 s[2:3], 0
	v_pk_mov_b32 v[16:17], 0, 0
	s_barrier
	s_cbranch_scc1 .LBB852_122
; %bb.121:
	v_mov_b32_e32 v7, 0
	global_load_dwordx2 v[16:17], v7, s[2:3]
.LBB852_122:
	s_waitcnt vmcnt(0)
	v_lshlrev_b64 v[10:11], 1, v[16:17]
	v_mov_b32_e32 v7, s43
	v_add_co_u32_e32 v18, vcc, s42, v10
	v_mov_b32_e32 v9, 0
	v_addc_co_u32_e32 v19, vcc, v7, v11, vcc
	v_lshlrev_b64 v[10:11], 1, v[8:9]
	v_add_co_u32_e32 v7, vcc, v18, v10
	v_addc_co_u32_e32 v18, vcc, v19, v11, vcc
	v_cmp_eq_u32_e32 vcc, 0, v68
	v_cndmask_b32_e64 v10, 1, 2, vcc
	v_cmp_eq_u32_e32 vcc, 0, v66
	v_cndmask_b32_e64 v11, 1, 2, vcc
	v_cmp_eq_u32_e32 vcc, 0, v65
	v_and_b32_e32 v10, v11, v10
	v_cndmask_b32_e64 v11, 1, 2, vcc
	v_cmp_eq_u32_e32 vcc, 0, v64
	v_and_b32_e32 v10, v10, v11
	;; [unrolled: 3-line block ×13, first 2 shown]
	v_cndmask_b32_e64 v11, 1, 2, vcc
	s_movk_i32 s34, 0x100
	v_and_b32_e32 v10, v10, v11
	v_cmp_gt_u32_e32 vcc, s34, v6
	v_cmp_ne_u32_e64 s[30:31], 0, v68
	v_cmp_ne_u32_e64 s[28:29], 0, v66
	;; [unrolled: 1-line block ×15, first 2 shown]
	s_mov_b64 s[40:41], -1
	v_cmp_gt_i16_e64 s[34:35], 2, v10
	s_cbranch_vccz .LBB852_171
; %bb.123:
	s_and_saveexec_b64 s[40:41], s[34:35]
	s_cbranch_execz .LBB852_170
; %bb.124:
	v_cmp_ne_u16_e32 vcc, 1, v10
	s_mov_b64 s[42:43], 0
	s_and_saveexec_b64 s[34:35], vcc
	s_xor_b64 s[34:35], exec, s[34:35]
	s_cbranch_execz .LBB852_148
; %bb.125:
	s_and_saveexec_b64 s[42:43], s[30:31]
	s_cbranch_execz .LBB852_153
; %bb.126:
	v_sub_u32_e32 v22, v52, v8
	v_mov_b32_e32 v23, 0
	v_lshlrev_b64 v[22:23], 1, v[22:23]
	v_add_co_u32_e32 v22, vcc, v7, v22
	v_addc_co_u32_e32 v23, vcc, v18, v23, vcc
	global_store_short v[22:23], v1, off
	s_or_b64 exec, exec, s[42:43]
	s_and_saveexec_b64 s[42:43], s[28:29]
	s_cbranch_execnz .LBB852_154
.LBB852_127:
	s_or_b64 exec, exec, s[42:43]
	s_and_saveexec_b64 s[42:43], s[26:27]
	s_cbranch_execz .LBB852_155
.LBB852_128:
	v_sub_u32_e32 v22, v48, v8
	v_mov_b32_e32 v23, 0
	v_lshlrev_b64 v[22:23], 1, v[22:23]
	v_add_co_u32_e32 v22, vcc, v7, v22
	v_addc_co_u32_e32 v23, vcc, v18, v23, vcc
	global_store_short_d16_hi v[22:23], v2, off
	s_or_b64 exec, exec, s[42:43]
	s_and_saveexec_b64 s[42:43], s[24:25]
	s_cbranch_execnz .LBB852_156
.LBB852_129:
	s_or_b64 exec, exec, s[42:43]
	s_and_saveexec_b64 s[42:43], s[22:23]
	s_cbranch_execz .LBB852_157
.LBB852_130:
	v_sub_u32_e32 v22, v44, v8
	v_mov_b32_e32 v23, 0
	v_lshlrev_b64 v[22:23], 1, v[22:23]
	v_add_co_u32_e32 v22, vcc, v7, v22
	v_addc_co_u32_e32 v23, vcc, v18, v23, vcc
	global_store_short_d16_hi v[22:23], v3, off
	s_or_b64 exec, exec, s[42:43]
	s_and_saveexec_b64 s[42:43], s[20:21]
	s_cbranch_execnz .LBB852_158
.LBB852_131:
	s_or_b64 exec, exec, s[42:43]
	s_and_saveexec_b64 s[42:43], s[18:19]
	s_cbranch_execz .LBB852_159
.LBB852_132:
	v_sub_u32_e32 v22, v40, v8
	v_mov_b32_e32 v23, 0
	v_lshlrev_b64 v[22:23], 1, v[22:23]
	v_add_co_u32_e32 v22, vcc, v7, v22
	v_addc_co_u32_e32 v23, vcc, v18, v23, vcc
	global_store_short_d16_hi v[22:23], v4, off
	s_or_b64 exec, exec, s[42:43]
	s_and_saveexec_b64 s[42:43], s[16:17]
	s_cbranch_execnz .LBB852_160
.LBB852_133:
	s_or_b64 exec, exec, s[42:43]
	s_and_saveexec_b64 s[42:43], s[14:15]
	s_cbranch_execz .LBB852_161
.LBB852_134:
	v_sub_u32_e32 v22, v36, v8
	v_mov_b32_e32 v23, 0
	v_lshlrev_b64 v[22:23], 1, v[22:23]
	v_add_co_u32_e32 v22, vcc, v7, v22
	v_addc_co_u32_e32 v23, vcc, v18, v23, vcc
	global_store_short_d16_hi v[22:23], v5, off
	s_or_b64 exec, exec, s[42:43]
	s_and_saveexec_b64 s[42:43], s[12:13]
	s_cbranch_execnz .LBB852_162
.LBB852_135:
	s_or_b64 exec, exec, s[42:43]
	s_and_saveexec_b64 s[42:43], s[10:11]
	s_cbranch_execz .LBB852_163
.LBB852_136:
	v_sub_u32_e32 v22, v32, v8
	v_mov_b32_e32 v23, 0
	v_lshlrev_b64 v[22:23], 1, v[22:23]
	v_add_co_u32_e32 v22, vcc, v7, v22
	v_addc_co_u32_e32 v23, vcc, v18, v23, vcc
	global_store_short_d16_hi v[22:23], v12, off
	s_or_b64 exec, exec, s[42:43]
	s_and_saveexec_b64 s[42:43], s[8:9]
	s_cbranch_execnz .LBB852_164
.LBB852_137:
	s_or_b64 exec, exec, s[42:43]
	s_and_saveexec_b64 s[42:43], s[6:7]
	s_cbranch_execz .LBB852_165
.LBB852_138:
	v_sub_u32_e32 v22, v26, v8
	v_mov_b32_e32 v23, 0
	v_lshlrev_b64 v[22:23], 1, v[22:23]
	v_add_co_u32_e32 v22, vcc, v7, v22
	v_addc_co_u32_e32 v23, vcc, v18, v23, vcc
	global_store_short_d16_hi v[22:23], v13, off
	s_or_b64 exec, exec, s[42:43]
	s_and_saveexec_b64 s[42:43], s[4:5]
	s_cbranch_execnz .LBB852_166
	s_branch .LBB852_167
.LBB852_139:
                                        ; implicit-def: $sgpr4_sgpr5
                                        ; implicit-def: $vgpr15
                                        ; implicit-def: $vgpr54
                                        ; implicit-def: $vgpr55
                                        ; implicit-def: $vgpr56
                                        ; implicit-def: $vgpr57
                                        ; implicit-def: $vgpr58
                                        ; implicit-def: $vgpr59
                                        ; implicit-def: $vgpr60
                                        ; implicit-def: $vgpr61
                                        ; implicit-def: $vgpr62
                                        ; implicit-def: $vgpr63
                                        ; implicit-def: $vgpr64
                                        ; implicit-def: $vgpr65
                                        ; implicit-def: $vgpr66
	s_cbranch_execz .LBB852_73
; %bb.140:
	v_cmp_ne_u16_sdwa s[4:5], v13, v14 src0_sel:WORD_1 src1_sel:DWORD
	v_cndmask_b32_e64 v54, 0, 1, s[4:5]
	v_cmp_ne_u16_sdwa s[4:5], v13, v13 src0_sel:DWORD src1_sel:WORD_1
	v_cndmask_b32_e64 v55, 0, 1, s[4:5]
	v_cmp_ne_u16_sdwa s[4:5], v12, v13 src0_sel:WORD_1 src1_sel:DWORD
	v_cndmask_b32_e64 v56, 0, 1, s[4:5]
	v_cmp_ne_u16_sdwa s[4:5], v12, v12 src0_sel:DWORD src1_sel:WORD_1
	v_cndmask_b32_e64 v57, 0, 1, s[4:5]
	;; [unrolled: 4-line block ×4, first 2 shown]
	v_cmp_ne_u16_sdwa s[4:5], v3, v4 src0_sel:WORD_1 src1_sel:DWORD
	v_lshrrev_b32_e32 v9, 16, v14
	v_cndmask_b32_e64 v62, 0, 1, s[4:5]
	v_cmp_ne_u16_sdwa s[4:5], v3, v3 src0_sel:DWORD src1_sel:WORD_1
	v_cmp_ne_u16_e32 vcc, v14, v9
	v_cndmask_b32_e64 v63, 0, 1, s[4:5]
	v_cmp_ne_u16_sdwa s[4:5], v2, v3 src0_sel:WORD_1 src1_sel:DWORD
	v_cndmask_b32_e64 v15, 0, 1, vcc
	v_cndmask_b32_e64 v64, 0, 1, s[4:5]
	v_cmp_ne_u16_sdwa s[4:5], v2, v2 src0_sel:DWORD src1_sel:WORD_1
	v_cmp_ne_u16_e32 vcc, v1, v2
	s_mov_b32 s12, 1
	v_lshlrev_b32_e32 v8, 1, v0
	v_cndmask_b32_e64 v65, 0, 1, s[4:5]
	v_cndmask_b32_e64 v66, 0, 1, vcc
	ds_write_b16 v8, v9
	s_waitcnt lgkmcnt(0)
	s_barrier
	s_waitcnt lgkmcnt(0)
                                        ; implicit-def: $sgpr4_sgpr5
	s_and_saveexec_b64 s[10:11], s[2:3]
	s_xor_b64 s[10:11], exec, s[10:11]
	s_cbranch_execz .LBB852_142
; %bb.141:
	v_add_u32_e32 v8, -2, v8
	ds_read_u16 v8, v8
	s_or_b64 s[6:7], s[6:7], exec
	s_waitcnt lgkmcnt(0)
	v_cmp_ne_u16_e32 vcc, v8, v1
	s_and_b64 s[4:5], vcc, exec
.LBB852_142:
	s_or_b64 exec, exec, s[10:11]
	s_branch .LBB852_75
.LBB852_143:
	s_mul_hi_u32 s5, s40, 0xfffff100
	s_mul_i32 s4, s41, 0xfffff100
	s_sub_i32 s5, s5, s40
	s_add_i32 s5, s5, s4
	s_mul_i32 s4, s40, 0xfffff100
	s_add_u32 s10, s4, s56
	s_addc_u32 s11, s5, s57
	s_and_b64 vcc, exec, s[8:9]
	s_cbranch_vccz .LBB852_150
; %bb.144:
	v_add_co_u32_e32 v6, vcc, -2, v6
	v_addc_co_u32_e32 v7, vcc, -1, v7, vcc
	flat_load_ushort v10, v[6:7]
	v_lshrrev_b32_e32 v11, 16, v14
	v_mad_u32_u24 v8, v0, 15, 14
	v_mov_b32_e32 v9, 0
	v_cmp_gt_u64_e32 vcc, s[10:11], v[8:9]
	v_cmp_ne_u16_e64 s[4:5], v14, v11
	v_mad_u32_u24 v8, v0, 15, 13
	s_and_b64 s[6:7], vcc, s[4:5]
	v_cmp_gt_u64_e32 vcc, s[10:11], v[8:9]
	v_cmp_ne_u16_sdwa s[4:5], v13, v14 src0_sel:WORD_1 src1_sel:DWORD
	v_mad_u32_u24 v8, v0, 15, 12
	s_and_b64 s[8:9], vcc, s[4:5]
	v_cmp_gt_u64_e32 vcc, s[10:11], v[8:9]
	v_cmp_ne_u16_sdwa s[4:5], v13, v13 src0_sel:DWORD src1_sel:WORD_1
	v_mad_u32_u24 v8, v0, 15, 11
	s_and_b64 s[12:13], vcc, s[4:5]
	v_cmp_gt_u64_e32 vcc, s[10:11], v[8:9]
	v_cmp_ne_u16_sdwa s[4:5], v12, v13 src0_sel:WORD_1 src1_sel:DWORD
	v_mad_u32_u24 v8, v0, 15, 10
	s_and_b64 s[14:15], vcc, s[4:5]
	v_cmp_gt_u64_e32 vcc, s[10:11], v[8:9]
	v_cmp_ne_u16_sdwa s[4:5], v12, v12 src0_sel:DWORD src1_sel:WORD_1
	;; [unrolled: 8-line block ×6, first 2 shown]
	v_mad_u32_u24 v8, v0, 15, 1
	s_and_b64 s[34:35], vcc, s[4:5]
	v_cmp_gt_u64_e32 vcc, s[10:11], v[8:9]
	v_cmp_ne_u16_e64 s[4:5], v1, v2
	v_lshlrev_b32_e32 v7, 1, v0
	v_mul_u32_u24_e32 v6, 15, v0
	s_and_b64 s[4:5], vcc, s[4:5]
	ds_write_b16 v7, v11
	s_waitcnt lgkmcnt(0)
	s_barrier
	s_and_saveexec_b64 s[40:41], s[2:3]
	s_cbranch_execz .LBB852_146
; %bb.145:
	v_add_u32_e32 v7, -2, v7
	s_waitcnt vmcnt(0)
	ds_read_u16 v10, v7
.LBB852_146:
	s_or_b64 exec, exec, s[40:41]
	v_mov_b32_e32 v7, v9
	v_cndmask_b32_e64 v66, 0, 1, s[4:5]
	v_cmp_gt_u64_e32 vcc, s[10:11], v[6:7]
	s_waitcnt vmcnt(0) lgkmcnt(0)
	v_cmp_ne_u16_e64 s[4:5], v10, v1
	v_cndmask_b32_e64 v15, 0, 1, s[6:7]
	v_cndmask_b32_e64 v54, 0, 1, s[8:9]
	;; [unrolled: 1-line block ×13, first 2 shown]
	s_and_b64 s[4:5], vcc, s[4:5]
	s_mov_b64 s[6:7], -1
.LBB852_147:
                                        ; implicit-def: $sgpr12
	v_mov_b32_e32 v68, s12
	s_and_saveexec_b64 s[2:3], s[6:7]
	s_cbranch_execnz .LBB852_76
	s_branch .LBB852_77
.LBB852_148:
	s_andn2_saveexec_b64 s[34:35], s[34:35]
	s_cbranch_execz .LBB852_168
.LBB852_149:
	v_sub_u32_e32 v22, v52, v8
	v_mov_b32_e32 v23, 0
	v_lshlrev_b64 v[30:31], 1, v[22:23]
	v_add_co_u32_e32 v30, vcc, v7, v30
	v_addc_co_u32_e32 v31, vcc, v18, v31, vcc
	v_sub_u32_e32 v22, v50, v8
	global_store_short v[30:31], v1, off
	v_lshlrev_b64 v[30:31], 1, v[22:23]
	v_add_co_u32_e32 v30, vcc, v7, v30
	v_addc_co_u32_e32 v31, vcc, v18, v31, vcc
	v_sub_u32_e32 v22, v48, v8
	global_store_short v[30:31], v2, off
	v_lshlrev_b64 v[30:31], 1, v[22:23]
	v_add_co_u32_e32 v30, vcc, v7, v30
	v_addc_co_u32_e32 v31, vcc, v18, v31, vcc
	v_sub_u32_e32 v22, v46, v8
	global_store_short_d16_hi v[30:31], v2, off
	v_lshlrev_b64 v[30:31], 1, v[22:23]
	v_add_co_u32_e32 v30, vcc, v7, v30
	v_addc_co_u32_e32 v31, vcc, v18, v31, vcc
	v_sub_u32_e32 v22, v44, v8
	global_store_short v[30:31], v3, off
	v_lshlrev_b64 v[30:31], 1, v[22:23]
	v_add_co_u32_e32 v30, vcc, v7, v30
	v_addc_co_u32_e32 v31, vcc, v18, v31, vcc
	v_sub_u32_e32 v22, v42, v8
	global_store_short_d16_hi v[30:31], v3, off
	;; [unrolled: 10-line block ×5, first 2 shown]
	v_lshlrev_b64 v[30:31], 1, v[22:23]
	v_add_co_u32_e32 v30, vcc, v7, v30
	v_addc_co_u32_e32 v31, vcc, v18, v31, vcc
	v_sub_u32_e32 v22, v26, v8
	global_store_short v[30:31], v13, off
	v_lshlrev_b64 v[30:31], 1, v[22:23]
	v_add_co_u32_e32 v30, vcc, v7, v30
	v_sub_u32_e32 v22, v24, v8
	v_addc_co_u32_e32 v31, vcc, v18, v31, vcc
	v_lshlrev_b64 v[22:23], 1, v[22:23]
	v_add_co_u32_e32 v22, vcc, v7, v22
	v_addc_co_u32_e32 v23, vcc, v18, v23, vcc
	s_or_b64 s[42:43], s[42:43], exec
	global_store_short_d16_hi v[30:31], v13, off
	global_store_short v[22:23], v14, off
	s_or_b64 exec, exec, s[34:35]
	s_and_b64 exec, exec, s[42:43]
	s_cbranch_execnz .LBB852_169
	s_branch .LBB852_170
.LBB852_150:
                                        ; implicit-def: $sgpr4_sgpr5
                                        ; implicit-def: $vgpr15
                                        ; implicit-def: $vgpr54
                                        ; implicit-def: $vgpr55
                                        ; implicit-def: $vgpr56
                                        ; implicit-def: $vgpr57
                                        ; implicit-def: $vgpr58
                                        ; implicit-def: $vgpr59
                                        ; implicit-def: $vgpr60
                                        ; implicit-def: $vgpr61
                                        ; implicit-def: $vgpr62
                                        ; implicit-def: $vgpr63
                                        ; implicit-def: $vgpr64
                                        ; implicit-def: $vgpr65
                                        ; implicit-def: $vgpr66
	s_cbranch_execz .LBB852_147
; %bb.151:
	v_lshrrev_b32_e32 v9, 16, v14
	v_mad_u32_u24 v6, v0, 15, 14
	v_mov_b32_e32 v7, 0
	v_cmp_gt_u64_e32 vcc, s[10:11], v[6:7]
	v_cmp_ne_u16_e64 s[4:5], v14, v9
	s_and_b64 s[4:5], vcc, s[4:5]
	v_mad_u32_u24 v6, v0, 15, 13
	v_cndmask_b32_e64 v15, 0, 1, s[4:5]
	v_cmp_gt_u64_e32 vcc, s[10:11], v[6:7]
	v_cmp_ne_u16_sdwa s[4:5], v13, v14 src0_sel:WORD_1 src1_sel:DWORD
	s_and_b64 s[4:5], vcc, s[4:5]
	v_mad_u32_u24 v6, v0, 15, 12
	v_cndmask_b32_e64 v54, 0, 1, s[4:5]
	v_cmp_gt_u64_e32 vcc, s[10:11], v[6:7]
	v_cmp_ne_u16_sdwa s[4:5], v13, v13 src0_sel:DWORD src1_sel:WORD_1
	s_and_b64 s[4:5], vcc, s[4:5]
	v_mad_u32_u24 v6, v0, 15, 11
	v_cndmask_b32_e64 v55, 0, 1, s[4:5]
	v_cmp_gt_u64_e32 vcc, s[10:11], v[6:7]
	v_cmp_ne_u16_sdwa s[4:5], v12, v13 src0_sel:WORD_1 src1_sel:DWORD
	s_and_b64 s[4:5], vcc, s[4:5]
	v_mad_u32_u24 v6, v0, 15, 10
	v_cndmask_b32_e64 v56, 0, 1, s[4:5]
	v_cmp_gt_u64_e32 vcc, s[10:11], v[6:7]
	v_cmp_ne_u16_sdwa s[4:5], v12, v12 src0_sel:DWORD src1_sel:WORD_1
	;; [unrolled: 10-line block ×6, first 2 shown]
	s_and_b64 s[4:5], vcc, s[4:5]
	v_mad_u32_u24 v6, v0, 15, 1
	v_cndmask_b32_e64 v65, 0, 1, s[4:5]
	v_cmp_gt_u64_e32 vcc, s[10:11], v[6:7]
	v_cmp_ne_u16_e64 s[4:5], v1, v2
	s_and_b64 s[4:5], vcc, s[4:5]
	s_mov_b32 s12, 1
	v_lshlrev_b32_e32 v8, 1, v0
	v_cndmask_b32_e64 v66, 0, 1, s[4:5]
	ds_write_b16 v8, v9
	s_waitcnt lgkmcnt(0)
	s_barrier
	s_waitcnt lgkmcnt(0)
                                        ; implicit-def: $sgpr4_sgpr5
	s_and_saveexec_b64 s[8:9], s[2:3]
	s_cbranch_execz .LBB852_190
; %bb.152:
	v_add_u32_e32 v6, -2, v8
	ds_read_u16 v8, v6
	v_mul_u32_u24_e32 v6, 15, v0
	v_cmp_gt_u64_e32 vcc, s[10:11], v[6:7]
	s_or_b64 s[6:7], s[6:7], exec
	s_waitcnt lgkmcnt(0)
	v_cmp_ne_u16_e64 s[2:3], v8, v1
	s_and_b64 s[2:3], vcc, s[2:3]
	s_and_b64 s[4:5], s[2:3], exec
	s_or_b64 exec, exec, s[8:9]
	v_mov_b32_e32 v68, s12
	s_and_saveexec_b64 s[2:3], s[6:7]
	s_cbranch_execz .LBB852_77
	s_branch .LBB852_76
.LBB852_153:
	s_or_b64 exec, exec, s[42:43]
	s_and_saveexec_b64 s[42:43], s[28:29]
	s_cbranch_execz .LBB852_127
.LBB852_154:
	v_sub_u32_e32 v22, v50, v8
	v_mov_b32_e32 v23, 0
	v_lshlrev_b64 v[22:23], 1, v[22:23]
	v_add_co_u32_e32 v22, vcc, v7, v22
	v_addc_co_u32_e32 v23, vcc, v18, v23, vcc
	global_store_short v[22:23], v2, off
	s_or_b64 exec, exec, s[42:43]
	s_and_saveexec_b64 s[42:43], s[26:27]
	s_cbranch_execnz .LBB852_128
.LBB852_155:
	s_or_b64 exec, exec, s[42:43]
	s_and_saveexec_b64 s[42:43], s[24:25]
	s_cbranch_execz .LBB852_129
.LBB852_156:
	v_sub_u32_e32 v22, v46, v8
	v_mov_b32_e32 v23, 0
	v_lshlrev_b64 v[22:23], 1, v[22:23]
	v_add_co_u32_e32 v22, vcc, v7, v22
	v_addc_co_u32_e32 v23, vcc, v18, v23, vcc
	global_store_short v[22:23], v3, off
	s_or_b64 exec, exec, s[42:43]
	s_and_saveexec_b64 s[42:43], s[22:23]
	s_cbranch_execnz .LBB852_130
.LBB852_157:
	s_or_b64 exec, exec, s[42:43]
	s_and_saveexec_b64 s[42:43], s[20:21]
	s_cbranch_execz .LBB852_131
.LBB852_158:
	v_sub_u32_e32 v22, v42, v8
	v_mov_b32_e32 v23, 0
	v_lshlrev_b64 v[22:23], 1, v[22:23]
	v_add_co_u32_e32 v22, vcc, v7, v22
	v_addc_co_u32_e32 v23, vcc, v18, v23, vcc
	global_store_short v[22:23], v4, off
	s_or_b64 exec, exec, s[42:43]
	s_and_saveexec_b64 s[42:43], s[18:19]
	s_cbranch_execnz .LBB852_132
.LBB852_159:
	s_or_b64 exec, exec, s[42:43]
	s_and_saveexec_b64 s[42:43], s[16:17]
	s_cbranch_execz .LBB852_133
.LBB852_160:
	v_sub_u32_e32 v22, v38, v8
	v_mov_b32_e32 v23, 0
	v_lshlrev_b64 v[22:23], 1, v[22:23]
	v_add_co_u32_e32 v22, vcc, v7, v22
	v_addc_co_u32_e32 v23, vcc, v18, v23, vcc
	global_store_short v[22:23], v5, off
	s_or_b64 exec, exec, s[42:43]
	s_and_saveexec_b64 s[42:43], s[14:15]
	s_cbranch_execnz .LBB852_134
.LBB852_161:
	s_or_b64 exec, exec, s[42:43]
	s_and_saveexec_b64 s[42:43], s[12:13]
	s_cbranch_execz .LBB852_135
.LBB852_162:
	v_sub_u32_e32 v22, v34, v8
	v_mov_b32_e32 v23, 0
	v_lshlrev_b64 v[22:23], 1, v[22:23]
	v_add_co_u32_e32 v22, vcc, v7, v22
	v_addc_co_u32_e32 v23, vcc, v18, v23, vcc
	global_store_short v[22:23], v12, off
	s_or_b64 exec, exec, s[42:43]
	s_and_saveexec_b64 s[42:43], s[10:11]
	s_cbranch_execnz .LBB852_136
.LBB852_163:
	s_or_b64 exec, exec, s[42:43]
	s_and_saveexec_b64 s[42:43], s[8:9]
	s_cbranch_execz .LBB852_137
.LBB852_164:
	v_sub_u32_e32 v22, v28, v8
	v_mov_b32_e32 v23, 0
	v_lshlrev_b64 v[22:23], 1, v[22:23]
	v_add_co_u32_e32 v22, vcc, v7, v22
	v_addc_co_u32_e32 v23, vcc, v18, v23, vcc
	global_store_short v[22:23], v13, off
	s_or_b64 exec, exec, s[42:43]
	s_and_saveexec_b64 s[42:43], s[6:7]
	s_cbranch_execnz .LBB852_138
.LBB852_165:
	s_or_b64 exec, exec, s[42:43]
	s_and_saveexec_b64 s[42:43], s[4:5]
	s_cbranch_execz .LBB852_167
.LBB852_166:
	v_sub_u32_e32 v22, v24, v8
	v_mov_b32_e32 v23, 0
	v_lshlrev_b64 v[22:23], 1, v[22:23]
	v_add_co_u32_e32 v22, vcc, v7, v22
	v_addc_co_u32_e32 v23, vcc, v18, v23, vcc
	global_store_short v[22:23], v14, off
.LBB852_167:
	s_or_b64 exec, exec, s[42:43]
	s_and_b64 s[42:43], s[2:3], exec
	s_andn2_saveexec_b64 s[34:35], s[34:35]
	s_cbranch_execnz .LBB852_149
.LBB852_168:
	s_or_b64 exec, exec, s[34:35]
	s_and_b64 exec, exec, s[42:43]
	s_cbranch_execz .LBB852_170
.LBB852_169:
	v_sub_u32_e32 v22, v20, v8
	v_mov_b32_e32 v23, 0
	v_lshlrev_b64 v[22:23], 1, v[22:23]
	v_add_co_u32_e32 v22, vcc, v7, v22
	v_addc_co_u32_e32 v23, vcc, v18, v23, vcc
	global_store_short_d16_hi v[22:23], v14, off
.LBB852_170:
	s_or_b64 exec, exec, s[40:41]
	s_mov_b64 s[40:41], 0
.LBB852_171:
	s_and_b64 vcc, exec, s[40:41]
	s_cbranch_vccz .LBB852_224
; %bb.172:
	v_cmp_gt_i16_e32 vcc, 2, v10
	s_and_saveexec_b64 s[34:35], vcc
	s_cbranch_execz .LBB852_208
; %bb.173:
	v_cmp_ne_u16_e32 vcc, 1, v10
	s_mov_b64 s[42:43], 0
	s_and_saveexec_b64 s[40:41], vcc
	s_xor_b64 s[40:41], exec, s[40:41]
	s_cbranch_execz .LBB852_188
; %bb.174:
	s_and_saveexec_b64 s[42:43], s[30:31]
	s_cbranch_execz .LBB852_191
; %bb.175:
	v_sub_u32_e32 v10, v52, v8
	v_lshlrev_b32_e32 v10, 1, v10
	ds_write_b16 v10, v1
	s_or_b64 exec, exec, s[42:43]
	s_and_saveexec_b64 s[30:31], s[28:29]
	s_cbranch_execnz .LBB852_192
.LBB852_176:
	s_or_b64 exec, exec, s[30:31]
	s_and_saveexec_b64 s[28:29], s[26:27]
	s_cbranch_execz .LBB852_193
.LBB852_177:
	v_sub_u32_e32 v1, v48, v8
	v_lshlrev_b32_e32 v1, 1, v1
	ds_write_b16_d16_hi v1, v2
	s_or_b64 exec, exec, s[28:29]
	s_and_saveexec_b64 s[26:27], s[24:25]
	s_cbranch_execnz .LBB852_194
.LBB852_178:
	s_or_b64 exec, exec, s[26:27]
	s_and_saveexec_b64 s[24:25], s[22:23]
	s_cbranch_execz .LBB852_195
.LBB852_179:
	v_sub_u32_e32 v1, v44, v8
	v_lshlrev_b32_e32 v1, 1, v1
	ds_write_b16_d16_hi v1, v3
	s_or_b64 exec, exec, s[24:25]
	s_and_saveexec_b64 s[22:23], s[20:21]
	s_cbranch_execnz .LBB852_196
.LBB852_180:
	s_or_b64 exec, exec, s[22:23]
	s_and_saveexec_b64 s[20:21], s[18:19]
	s_cbranch_execz .LBB852_197
.LBB852_181:
	v_sub_u32_e32 v1, v40, v8
	v_lshlrev_b32_e32 v1, 1, v1
	ds_write_b16_d16_hi v1, v4
	s_or_b64 exec, exec, s[20:21]
	s_and_saveexec_b64 s[18:19], s[16:17]
	s_cbranch_execnz .LBB852_198
.LBB852_182:
	s_or_b64 exec, exec, s[18:19]
	s_and_saveexec_b64 s[16:17], s[14:15]
	s_cbranch_execz .LBB852_199
.LBB852_183:
	v_sub_u32_e32 v1, v36, v8
	v_lshlrev_b32_e32 v1, 1, v1
	ds_write_b16_d16_hi v1, v5
	s_or_b64 exec, exec, s[16:17]
	s_and_saveexec_b64 s[14:15], s[12:13]
	s_cbranch_execnz .LBB852_200
.LBB852_184:
	s_or_b64 exec, exec, s[14:15]
	s_and_saveexec_b64 s[12:13], s[10:11]
	s_cbranch_execz .LBB852_201
.LBB852_185:
	v_sub_u32_e32 v1, v32, v8
	v_lshlrev_b32_e32 v1, 1, v1
	ds_write_b16_d16_hi v1, v12
	s_or_b64 exec, exec, s[12:13]
	s_and_saveexec_b64 s[10:11], s[8:9]
	s_cbranch_execnz .LBB852_202
.LBB852_186:
	s_or_b64 exec, exec, s[10:11]
	s_and_saveexec_b64 s[8:9], s[6:7]
	s_cbranch_execz .LBB852_203
.LBB852_187:
	v_sub_u32_e32 v1, v26, v8
	v_lshlrev_b32_e32 v1, 1, v1
	ds_write_b16_d16_hi v1, v13
	s_or_b64 exec, exec, s[8:9]
	s_and_saveexec_b64 s[6:7], s[4:5]
	s_cbranch_execnz .LBB852_204
	s_branch .LBB852_205
.LBB852_188:
	s_andn2_saveexec_b64 s[2:3], s[40:41]
	s_cbranch_execz .LBB852_206
.LBB852_189:
	v_sub_u32_e32 v10, v52, v8
	v_lshlrev_b32_e32 v10, 1, v10
	ds_write_b16 v10, v1
	v_sub_u32_e32 v1, v50, v8
	v_lshlrev_b32_e32 v1, 1, v1
	ds_write_b16 v1, v2
	v_sub_u32_e32 v1, v48, v8
	v_lshlrev_b32_e32 v1, 1, v1
	ds_write_b16_d16_hi v1, v2
	v_sub_u32_e32 v1, v46, v8
	v_lshlrev_b32_e32 v1, 1, v1
	ds_write_b16 v1, v3
	v_sub_u32_e32 v1, v44, v8
	v_lshlrev_b32_e32 v1, 1, v1
	ds_write_b16_d16_hi v1, v3
	;; [unrolled: 6-line block ×6, first 2 shown]
	v_sub_u32_e32 v1, v24, v8
	v_lshlrev_b32_e32 v1, 1, v1
	s_or_b64 s[42:43], s[42:43], exec
	ds_write_b16 v1, v14
	s_or_b64 exec, exec, s[2:3]
	s_and_b64 exec, exec, s[42:43]
	s_cbranch_execnz .LBB852_207
	s_branch .LBB852_208
.LBB852_190:
	s_or_b64 exec, exec, s[8:9]
	v_mov_b32_e32 v68, s12
	s_and_saveexec_b64 s[2:3], s[6:7]
	s_cbranch_execnz .LBB852_76
	s_branch .LBB852_77
.LBB852_191:
	s_or_b64 exec, exec, s[42:43]
	s_and_saveexec_b64 s[30:31], s[28:29]
	s_cbranch_execz .LBB852_176
.LBB852_192:
	v_sub_u32_e32 v1, v50, v8
	v_lshlrev_b32_e32 v1, 1, v1
	ds_write_b16 v1, v2
	s_or_b64 exec, exec, s[30:31]
	s_and_saveexec_b64 s[28:29], s[26:27]
	s_cbranch_execnz .LBB852_177
.LBB852_193:
	s_or_b64 exec, exec, s[28:29]
	s_and_saveexec_b64 s[26:27], s[24:25]
	s_cbranch_execz .LBB852_178
.LBB852_194:
	v_sub_u32_e32 v1, v46, v8
	v_lshlrev_b32_e32 v1, 1, v1
	ds_write_b16 v1, v3
	s_or_b64 exec, exec, s[26:27]
	s_and_saveexec_b64 s[24:25], s[22:23]
	s_cbranch_execnz .LBB852_179
.LBB852_195:
	s_or_b64 exec, exec, s[24:25]
	s_and_saveexec_b64 s[22:23], s[20:21]
	s_cbranch_execz .LBB852_180
.LBB852_196:
	v_sub_u32_e32 v1, v42, v8
	v_lshlrev_b32_e32 v1, 1, v1
	ds_write_b16 v1, v4
	s_or_b64 exec, exec, s[22:23]
	s_and_saveexec_b64 s[20:21], s[18:19]
	s_cbranch_execnz .LBB852_181
.LBB852_197:
	s_or_b64 exec, exec, s[20:21]
	s_and_saveexec_b64 s[18:19], s[16:17]
	s_cbranch_execz .LBB852_182
.LBB852_198:
	v_sub_u32_e32 v1, v38, v8
	v_lshlrev_b32_e32 v1, 1, v1
	ds_write_b16 v1, v5
	s_or_b64 exec, exec, s[18:19]
	s_and_saveexec_b64 s[16:17], s[14:15]
	s_cbranch_execnz .LBB852_183
.LBB852_199:
	s_or_b64 exec, exec, s[16:17]
	s_and_saveexec_b64 s[14:15], s[12:13]
	s_cbranch_execz .LBB852_184
.LBB852_200:
	v_sub_u32_e32 v1, v34, v8
	v_lshlrev_b32_e32 v1, 1, v1
	ds_write_b16 v1, v12
	s_or_b64 exec, exec, s[14:15]
	s_and_saveexec_b64 s[12:13], s[10:11]
	s_cbranch_execnz .LBB852_185
.LBB852_201:
	s_or_b64 exec, exec, s[12:13]
	s_and_saveexec_b64 s[10:11], s[8:9]
	s_cbranch_execz .LBB852_186
.LBB852_202:
	v_sub_u32_e32 v1, v28, v8
	v_lshlrev_b32_e32 v1, 1, v1
	ds_write_b16 v1, v13
	s_or_b64 exec, exec, s[10:11]
	s_and_saveexec_b64 s[8:9], s[6:7]
	s_cbranch_execnz .LBB852_187
.LBB852_203:
	s_or_b64 exec, exec, s[8:9]
	s_and_saveexec_b64 s[6:7], s[4:5]
	s_cbranch_execz .LBB852_205
.LBB852_204:
	v_sub_u32_e32 v1, v24, v8
	v_lshlrev_b32_e32 v1, 1, v1
	ds_write_b16 v1, v14
.LBB852_205:
	s_or_b64 exec, exec, s[6:7]
	s_and_b64 s[42:43], s[2:3], exec
                                        ; implicit-def: $vgpr1
                                        ; implicit-def: $vgpr2
	s_andn2_saveexec_b64 s[2:3], s[40:41]
	s_cbranch_execnz .LBB852_189
.LBB852_206:
	s_or_b64 exec, exec, s[2:3]
	s_and_b64 exec, exec, s[42:43]
	s_cbranch_execz .LBB852_208
.LBB852_207:
	v_sub_u32_e32 v1, v20, v8
	v_lshlrev_b32_e32 v1, 1, v1
	ds_write_b16_d16_hi v1, v14
.LBB852_208:
	s_or_b64 exec, exec, s[34:35]
	v_cmp_lt_u32_e32 vcc, v0, v6
	s_waitcnt lgkmcnt(0)
	s_barrier
	s_and_saveexec_b64 s[4:5], vcc
	s_cbranch_execz .LBB852_223
; %bb.209:
	v_xad_u32 v1, v0, -1, v6
	s_movk_i32 s2, 0x1700
	v_cmp_gt_u32_e64 s[6:7], s2, v1
	s_movk_i32 s2, 0x16ff
	v_cmp_lt_u32_e32 vcc, s2, v1
	v_mov_b32_e32 v2, v0
	s_and_saveexec_b64 s[8:9], vcc
	s_cbranch_execz .LBB852_220
; %bb.210:
	v_sub_u32_e32 v2, v0, v6
	v_or_b32_e32 v2, 0xff, v2
	v_cmp_ge_u32_e32 vcc, v2, v0
	s_mov_b64 s[2:3], -1
	v_mov_b32_e32 v2, v0
	s_and_saveexec_b64 s[10:11], vcc
	s_cbranch_execz .LBB852_219
; %bb.211:
	v_lshrrev_b32_e32 v14, 8, v1
	v_or_b32_e32 v3, 0x300, v0
	v_or_b32_e32 v2, 0x200, v0
	v_add_u32_e32 v4, -3, v14
	v_or_b32_e32 v1, 0x100, v0
	v_lshrrev_b32_e32 v5, 2, v4
	v_pk_mov_b32 v[12:13], v[2:3], v[2:3] op_sel:[0,1]
	v_add_u32_e32 v22, 1, v5
	v_cmp_lt_u32_e32 vcc, 11, v4
	v_mov_b32_e32 v31, 0
	v_lshlrev_b32_e32 v19, 1, v0
	v_pk_mov_b32 v[10:11], v[0:1], v[0:1] op_sel:[0,1]
	s_and_saveexec_b64 s[12:13], vcc
	s_cbranch_execz .LBB852_215
; %bb.212:
	v_pk_mov_b32 v[12:13], v[2:3], v[2:3] op_sel:[0,1]
	v_and_b32_e32 v23, 0x7ffffffc, v22
	s_mov_b32 s16, 0
	s_mov_b64 s[14:15], 0
	v_mov_b32_e32 v5, 0
	v_mov_b32_e32 v30, v19
	v_pk_mov_b32 v[10:11], v[0:1], v[0:1] op_sel:[0,1]
.LBB852_213:                            ; =>This Inner Loop Header: Depth=1
	v_mov_b32_e32 v4, v10
	v_lshlrev_b64 v[86:87], 1, v[4:5]
	v_add_u32_e32 v72, 0x400, v11
	v_mov_b32_e32 v73, v5
	v_add_co_u32_e64 v86, s[2:3], v7, v86
	v_lshlrev_b64 v[72:73], 1, v[72:73]
	v_addc_co_u32_e64 v87, s[2:3], v18, v87, s[2:3]
	v_add_u32_e32 v70, 0x400, v12
	v_mov_b32_e32 v71, v5
	v_add_co_u32_e64 v72, s[2:3], v7, v72
	v_lshlrev_b64 v[70:71], 1, v[70:71]
	v_addc_co_u32_e64 v73, s[2:3], v18, v73, s[2:3]
	v_add_u32_e32 v2, 0x400, v13
	v_mov_b32_e32 v3, v5
	v_add_co_u32_e64 v70, s[2:3], v7, v70
	v_add_u32_e32 v23, -4, v23
	v_mov_b32_e32 v4, v11
	v_lshlrev_b64 v[2:3], 1, v[2:3]
	v_addc_co_u32_e64 v71, s[2:3], v18, v71, s[2:3]
	v_add_u32_e32 v78, 0x800, v11
	v_mov_b32_e32 v79, v5
	s_add_i32 s16, s16, 16
	v_cmp_eq_u32_e32 vcc, 0, v23
	v_lshlrev_b64 v[88:89], 1, v[4:5]
	v_add_co_u32_e64 v2, s[2:3], v7, v2
	v_lshlrev_b64 v[78:79], 1, v[78:79]
	v_mov_b32_e32 v4, v12
	v_addc_co_u32_e64 v3, s[2:3], v18, v3, s[2:3]
	s_or_b64 s[14:15], vcc, s[14:15]
	v_add_co_u32_e32 v88, vcc, v7, v88
	v_add_u32_e32 v76, 0x800, v12
	v_mov_b32_e32 v77, v5
	v_add_co_u32_e64 v78, s[2:3], v7, v78
	v_addc_co_u32_e32 v89, vcc, v18, v89, vcc
	v_lshlrev_b64 v[90:91], 1, v[4:5]
	v_lshlrev_b64 v[76:77], 1, v[76:77]
	v_addc_co_u32_e64 v79, s[2:3], v18, v79, s[2:3]
	v_mov_b32_e32 v4, v13
	v_add_co_u32_e32 v90, vcc, v7, v90
	ds_read_u16 v1, v30
	ds_read_u16 v69, v30 offset:512
	ds_read_u16 v94, v30 offset:1024
	;; [unrolled: 1-line block ×7, first 2 shown]
	v_add_u32_e32 v74, 0x800, v13
	v_mov_b32_e32 v75, v5
	v_add_co_u32_e64 v76, s[2:3], v7, v76
	v_addc_co_u32_e32 v91, vcc, v18, v91, vcc
	v_lshlrev_b64 v[92:93], 1, v[4:5]
	v_lshlrev_b64 v[74:75], 1, v[74:75]
	v_addc_co_u32_e64 v77, s[2:3], v18, v77, s[2:3]
	v_add_u32_e32 v4, 0x400, v10
	v_add_co_u32_e32 v92, vcc, v7, v92
	v_add_u32_e32 v84, 0xc00, v11
	v_mov_b32_e32 v85, v5
	ds_read_u16 v100, v30 offset:4096
	ds_read_u16 v101, v30 offset:4608
	;; [unrolled: 1-line block ×8, first 2 shown]
	v_add_co_u32_e64 v74, s[2:3], v7, v74
	v_addc_co_u32_e32 v93, vcc, v18, v93, vcc
	s_waitcnt lgkmcnt(14)
	global_store_short v[86:87], v1, off
	global_store_short v[88:89], v69, off
	s_waitcnt lgkmcnt(13)
	global_store_short v[90:91], v94, off
	v_lshlrev_b64 v[86:87], 1, v[4:5]
	v_lshlrev_b64 v[84:85], 1, v[84:85]
	v_addc_co_u32_e64 v75, s[2:3], v18, v75, s[2:3]
	v_add_u32_e32 v4, 0x800, v10
	v_add_co_u32_e32 v86, vcc, v7, v86
	v_add_u32_e32 v82, 0xc00, v12
	v_mov_b32_e32 v83, v5
	v_add_co_u32_e64 v84, s[2:3], v7, v84
	v_addc_co_u32_e32 v87, vcc, v18, v87, vcc
	v_lshlrev_b64 v[88:89], 1, v[4:5]
	v_lshlrev_b64 v[82:83], 1, v[82:83]
	v_addc_co_u32_e64 v85, s[2:3], v18, v85, s[2:3]
	s_waitcnt lgkmcnt(12)
	global_store_short v[92:93], v95, off
	v_add_u32_e32 v4, 0xc00, v10
	s_waitcnt lgkmcnt(11)
	global_store_short v[86:87], v96, off
	s_waitcnt lgkmcnt(10)
	global_store_short v[72:73], v97, off
	;; [unrolled: 2-line block ×4, first 2 shown]
	v_add_co_u32_e32 v2, vcc, v7, v88
	v_add_u32_e32 v80, 0xc00, v13
	v_mov_b32_e32 v81, v5
	v_add_co_u32_e64 v82, s[2:3], v7, v82
	v_addc_co_u32_e32 v3, vcc, v18, v89, vcc
	v_lshlrev_b64 v[70:71], 1, v[4:5]
	v_lshlrev_b64 v[80:81], 1, v[80:81]
	v_addc_co_u32_e64 v83, s[2:3], v18, v83, s[2:3]
	s_waitcnt lgkmcnt(7)
	global_store_short v[2:3], v100, off
	s_waitcnt lgkmcnt(6)
	global_store_short v[78:79], v101, off
	;; [unrolled: 2-line block ×4, first 2 shown]
	v_add_co_u32_e32 v2, vcc, v7, v70
	v_add_u32_e32 v30, 0x2000, v30
	v_add_u32_e32 v11, 0x1000, v11
	v_mov_b32_e32 v31, s16
	v_add_co_u32_e64 v80, s[2:3], v7, v80
	v_add_u32_e32 v12, 0x1000, v12
	v_add_u32_e32 v13, 0x1000, v13
	;; [unrolled: 1-line block ×3, first 2 shown]
	v_addc_co_u32_e32 v3, vcc, v18, v71, vcc
	v_addc_co_u32_e64 v81, s[2:3], v18, v81, s[2:3]
	s_waitcnt lgkmcnt(3)
	global_store_short v[2:3], v104, off
	s_waitcnt lgkmcnt(2)
	global_store_short v[84:85], v105, off
	;; [unrolled: 2-line block ×4, first 2 shown]
	s_andn2_b64 exec, exec, s[14:15]
	s_cbranch_execnz .LBB852_213
; %bb.214:
	s_or_b64 exec, exec, s[14:15]
.LBB852_215:
	s_or_b64 exec, exec, s[12:13]
	v_and_b32_e32 v1, 3, v22
	v_cmp_ne_u32_e32 vcc, 0, v1
	s_and_saveexec_b64 s[12:13], vcc
	s_cbranch_execz .LBB852_218
; %bb.216:
	v_lshl_or_b32 v4, v31, 9, v19
	s_mov_b64 s[14:15], 0
	v_mov_b32_e32 v3, 0
.LBB852_217:                            ; =>This Inner Loop Header: Depth=1
	v_mov_b32_e32 v2, v10
	v_add_u32_e32 v1, -1, v1
	v_lshlrev_b64 v[22:23], 1, v[2:3]
	v_mov_b32_e32 v2, v11
	v_cmp_eq_u32_e32 vcc, 0, v1
	v_lshlrev_b64 v[30:31], 1, v[2:3]
	ds_read_u16 v5, v4
	ds_read_u16 v19, v4 offset:512
	ds_read_u16 v69, v4 offset:1024
	;; [unrolled: 1-line block ×3, first 2 shown]
	v_mov_b32_e32 v2, v12
	s_or_b64 s[14:15], vcc, s[14:15]
	v_add_co_u32_e32 v30, vcc, v7, v30
	v_addc_co_u32_e32 v31, vcc, v18, v31, vcc
	v_lshlrev_b64 v[70:71], 1, v[2:3]
	v_mov_b32_e32 v2, v13
	v_add_co_u32_e32 v70, vcc, v7, v70
	v_add_co_u32_e64 v22, s[2:3], v7, v22
	v_addc_co_u32_e32 v71, vcc, v18, v71, vcc
	v_lshlrev_b64 v[72:73], 1, v[2:3]
	v_add_u32_e32 v10, 0x400, v10
	v_add_u32_e32 v4, 0x800, v4
	;; [unrolled: 1-line block ×3, first 2 shown]
	v_addc_co_u32_e64 v23, s[2:3], v18, v23, s[2:3]
	v_add_u32_e32 v12, 0x400, v12
	v_add_u32_e32 v13, 0x400, v13
	v_add_co_u32_e32 v72, vcc, v7, v72
	v_addc_co_u32_e32 v73, vcc, v18, v73, vcc
	s_waitcnt lgkmcnt(3)
	global_store_short v[22:23], v5, off
	s_waitcnt lgkmcnt(2)
	global_store_short v[30:31], v19, off
	;; [unrolled: 2-line block ×4, first 2 shown]
	s_andn2_b64 exec, exec, s[14:15]
	s_cbranch_execnz .LBB852_217
.LBB852_218:
	s_or_b64 exec, exec, s[12:13]
	v_add_u32_e32 v1, 1, v14
	v_and_b32_e32 v3, 0x1fffffc, v1
	v_cmp_ne_u32_e32 vcc, v1, v3
	v_lshl_or_b32 v2, v3, 8, v0
	s_orn2_b64 s[2:3], vcc, exec
.LBB852_219:
	s_or_b64 exec, exec, s[10:11]
	s_andn2_b64 s[6:7], s[6:7], exec
	s_and_b64 s[2:3], s[2:3], exec
	s_or_b64 s[6:7], s[6:7], s[2:3]
.LBB852_220:
	s_or_b64 exec, exec, s[8:9]
	s_and_b64 exec, exec, s[6:7]
	s_cbranch_execz .LBB852_223
; %bb.221:
	v_lshlrev_b32_e32 v1, 1, v2
	s_mov_b64 s[2:3], 0
	v_mov_b32_e32 v3, 0
.LBB852_222:                            ; =>This Inner Loop Header: Depth=1
	v_lshlrev_b64 v[4:5], 1, v[2:3]
	ds_read_u16 v10, v1
	v_add_co_u32_e32 v4, vcc, v7, v4
	v_add_u32_e32 v2, 0x100, v2
	v_addc_co_u32_e32 v5, vcc, v18, v5, vcc
	v_cmp_ge_u32_e32 vcc, v2, v6
	v_add_u32_e32 v1, 0x200, v1
	s_or_b64 s[2:3], vcc, s[2:3]
	s_waitcnt lgkmcnt(0)
	global_store_short v[4:5], v10, off
	s_andn2_b64 exec, exec, s[2:3]
	s_cbranch_execnz .LBB852_222
.LBB852_223:
	s_or_b64 exec, exec, s[4:5]
.LBB852_224:
	s_cmpk_lg_i32 s33, 0xf00
	s_cselect_b64 s[2:3], -1, 0
	v_cndmask_b32_e64 v1, 0, 1, s[38:39]
	s_and_b64 s[2:3], s[2:3], s[36:37]
	v_sub_u32_e32 v3, v6, v1
	v_cndmask_b32_e64 v2, 0, 1, s[2:3]
	s_and_b64 s[0:1], s[0:1], s[38:39]
	v_add_u32_e32 v7, v3, v2
	v_cndmask_b32_e64 v3, v68, 0, s[0:1]
	s_mul_hi_u32 s0, s33, 0x88888889
	s_lshr_b32 s0, s0, 3
	v_mad_i32_i24 v4, v0, -15, s33
	v_cmp_eq_u32_e32 vcc, s0, v0
	v_cmp_ne_u32_e64 s[0:1], 0, v4
	v_cndmask_b32_e64 v5, 1, v3, s[0:1]
	v_cmp_ne_u32_e64 s[0:1], 1, v4
	v_cndmask_b32_e64 v10, 1, v66, s[0:1]
	;; [unrolled: 2-line block ×15, first 2 shown]
	s_and_b64 vcc, vcc, s[36:37]
	v_cndmask_b32_e32 v15, v15, v4, vcc
	v_cndmask_b32_e32 v22, v59, v22, vcc
	;; [unrolled: 1-line block ×3, first 2 shown]
	v_lshlrev_b64 v[4:5], 2, v[16:17]
	v_cndmask_b32_e32 v54, v54, v69, vcc
	v_cndmask_b32_e32 v55, v55, v68, vcc
	;; [unrolled: 1-line block ×12, first 2 shown]
	v_mov_b32_e32 v3, s53
	v_add_co_u32_e32 v10, vcc, s52, v4
	v_addc_co_u32_e32 v3, vcc, v3, v5, vcc
	v_lshlrev_b64 v[4:5], 2, v[8:9]
	v_add_co_u32_e32 v9, vcc, v10, v4
	v_addc_co_u32_e32 v10, vcc, v3, v5, vcc
	v_lshlrev_b32_e32 v3, 2, v1
	v_add_co_u32_e32 v3, vcc, v3, v9
	v_addc_co_u32_e32 v4, vcc, 0, v10, vcc
	v_add_co_u32_e32 v11, vcc, -4, v3
	v_addc_co_u32_e32 v12, vcc, -1, v4, vcc
	v_cmp_eq_u32_e32 vcc, 0, v59
	v_cndmask_b32_e64 v4, 1, 2, vcc
	v_cmp_eq_u32_e32 vcc, 0, v58
	v_cndmask_b32_e64 v5, 1, 2, vcc
	v_cmp_eq_u32_e32 vcc, 0, v57
	v_and_b32_e32 v4, v5, v4
	v_cndmask_b32_e64 v5, 1, 2, vcc
	v_cmp_eq_u32_e32 vcc, 0, v56
	v_and_b32_e32 v4, v4, v5
	;; [unrolled: 3-line block ×13, first 2 shown]
	v_cndmask_b32_e64 v5, 1, 2, vcc
	s_movk_i32 s30, 0x100
	v_and_b32_e32 v4, v4, v5
	v_cmp_gt_u32_e32 vcc, s30, v7
	v_add_u32_e32 v3, v8, v1
	v_cmp_ne_u32_e64 s[28:29], 0, v59
	v_cmp_ne_u32_e64 s[26:27], 0, v58
	;; [unrolled: 1-line block ×15, first 2 shown]
	s_mov_b64 s[34:35], -1
	v_cmp_gt_i16_e64 s[30:31], 2, v4
	s_barrier
	s_cbranch_vccz .LBB852_261
; %bb.225:
	s_and_saveexec_b64 s[34:35], s[30:31]
	s_cbranch_execz .LBB852_260
; %bb.226:
	v_cmp_ne_u16_e32 vcc, 1, v4
	s_mov_b64 s[38:39], 0
	s_and_saveexec_b64 s[30:31], vcc
	s_xor_b64 s[30:31], exec, s[30:31]
	s_cbranch_execz .LBB852_241
; %bb.227:
	s_and_saveexec_b64 s[38:39], s[28:29]
	s_cbranch_execz .LBB852_243
; %bb.228:
	v_sub_u32_e32 v14, v52, v3
	v_mov_b32_e32 v15, 0
	v_lshlrev_b64 v[14:15], 2, v[14:15]
	v_add_co_u32_e32 v14, vcc, v11, v14
	v_addc_co_u32_e32 v15, vcc, v12, v15, vcc
	global_store_dword v[14:15], v53, off
	s_or_b64 exec, exec, s[38:39]
	s_and_saveexec_b64 s[38:39], s[26:27]
	s_cbranch_execnz .LBB852_244
.LBB852_229:
	s_or_b64 exec, exec, s[38:39]
	s_and_saveexec_b64 s[38:39], s[24:25]
	s_cbranch_execz .LBB852_245
.LBB852_230:
	v_sub_u32_e32 v14, v48, v3
	v_mov_b32_e32 v15, 0
	v_lshlrev_b64 v[14:15], 2, v[14:15]
	v_add_co_u32_e32 v14, vcc, v11, v14
	v_addc_co_u32_e32 v15, vcc, v12, v15, vcc
	global_store_dword v[14:15], v49, off
	s_or_b64 exec, exec, s[38:39]
	s_and_saveexec_b64 s[38:39], s[22:23]
	s_cbranch_execnz .LBB852_246
.LBB852_231:
	s_or_b64 exec, exec, s[38:39]
	s_and_saveexec_b64 s[38:39], s[20:21]
	s_cbranch_execz .LBB852_247
.LBB852_232:
	v_sub_u32_e32 v14, v44, v3
	v_mov_b32_e32 v15, 0
	v_lshlrev_b64 v[14:15], 2, v[14:15]
	v_add_co_u32_e32 v14, vcc, v11, v14
	v_addc_co_u32_e32 v15, vcc, v12, v15, vcc
	global_store_dword v[14:15], v45, off
	s_or_b64 exec, exec, s[38:39]
	s_and_saveexec_b64 s[38:39], s[18:19]
	s_cbranch_execnz .LBB852_248
.LBB852_233:
	s_or_b64 exec, exec, s[38:39]
	s_and_saveexec_b64 s[38:39], s[16:17]
	s_cbranch_execz .LBB852_249
.LBB852_234:
	v_sub_u32_e32 v14, v40, v3
	v_mov_b32_e32 v15, 0
	v_lshlrev_b64 v[14:15], 2, v[14:15]
	v_add_co_u32_e32 v14, vcc, v11, v14
	v_addc_co_u32_e32 v15, vcc, v12, v15, vcc
	global_store_dword v[14:15], v41, off
	s_or_b64 exec, exec, s[38:39]
	s_and_saveexec_b64 s[38:39], s[14:15]
	s_cbranch_execnz .LBB852_250
.LBB852_235:
	s_or_b64 exec, exec, s[38:39]
	s_and_saveexec_b64 s[38:39], s[12:13]
	s_cbranch_execz .LBB852_251
.LBB852_236:
	v_sub_u32_e32 v14, v36, v3
	v_mov_b32_e32 v15, 0
	v_lshlrev_b64 v[14:15], 2, v[14:15]
	v_add_co_u32_e32 v14, vcc, v11, v14
	v_addc_co_u32_e32 v15, vcc, v12, v15, vcc
	global_store_dword v[14:15], v37, off
	s_or_b64 exec, exec, s[38:39]
	s_and_saveexec_b64 s[38:39], s[10:11]
	s_cbranch_execnz .LBB852_252
.LBB852_237:
	s_or_b64 exec, exec, s[38:39]
	s_and_saveexec_b64 s[38:39], s[8:9]
	s_cbranch_execz .LBB852_253
.LBB852_238:
	v_sub_u32_e32 v14, v32, v3
	v_mov_b32_e32 v15, 0
	v_lshlrev_b64 v[14:15], 2, v[14:15]
	v_add_co_u32_e32 v14, vcc, v11, v14
	v_addc_co_u32_e32 v15, vcc, v12, v15, vcc
	global_store_dword v[14:15], v33, off
	s_or_b64 exec, exec, s[38:39]
	s_and_saveexec_b64 s[38:39], s[6:7]
	s_cbranch_execnz .LBB852_254
.LBB852_239:
	s_or_b64 exec, exec, s[38:39]
	s_and_saveexec_b64 s[38:39], s[4:5]
	s_cbranch_execz .LBB852_255
.LBB852_240:
	v_sub_u32_e32 v14, v26, v3
	v_mov_b32_e32 v15, 0
	v_lshlrev_b64 v[14:15], 2, v[14:15]
	v_add_co_u32_e32 v14, vcc, v11, v14
	v_addc_co_u32_e32 v15, vcc, v12, v15, vcc
	global_store_dword v[14:15], v27, off
	s_or_b64 exec, exec, s[38:39]
	s_and_saveexec_b64 s[38:39], s[2:3]
	s_cbranch_execnz .LBB852_256
	s_branch .LBB852_257
.LBB852_241:
	s_andn2_saveexec_b64 s[30:31], s[30:31]
	s_cbranch_execz .LBB852_258
.LBB852_242:
	v_sub_u32_e32 v14, v52, v3
	v_mov_b32_e32 v15, 0
	v_lshlrev_b64 v[18:19], 2, v[14:15]
	v_add_co_u32_e32 v18, vcc, v11, v18
	v_addc_co_u32_e32 v19, vcc, v12, v19, vcc
	v_sub_u32_e32 v14, v50, v3
	global_store_dword v[18:19], v53, off
	v_lshlrev_b64 v[18:19], 2, v[14:15]
	v_add_co_u32_e32 v18, vcc, v11, v18
	v_addc_co_u32_e32 v19, vcc, v12, v19, vcc
	v_sub_u32_e32 v14, v48, v3
	global_store_dword v[18:19], v51, off
	;; [unrolled: 5-line block ×12, first 2 shown]
	v_lshlrev_b64 v[18:19], 2, v[14:15]
	v_add_co_u32_e32 v18, vcc, v11, v18
	v_sub_u32_e32 v14, v24, v3
	v_addc_co_u32_e32 v19, vcc, v12, v19, vcc
	v_lshlrev_b64 v[14:15], 2, v[14:15]
	v_add_co_u32_e32 v14, vcc, v11, v14
	v_addc_co_u32_e32 v15, vcc, v12, v15, vcc
	s_or_b64 s[38:39], s[38:39], exec
	global_store_dword v[18:19], v27, off
	global_store_dword v[14:15], v25, off
	s_or_b64 exec, exec, s[30:31]
	s_and_b64 exec, exec, s[38:39]
	s_cbranch_execnz .LBB852_259
	s_branch .LBB852_260
.LBB852_243:
	s_or_b64 exec, exec, s[38:39]
	s_and_saveexec_b64 s[38:39], s[26:27]
	s_cbranch_execz .LBB852_229
.LBB852_244:
	v_sub_u32_e32 v14, v50, v3
	v_mov_b32_e32 v15, 0
	v_lshlrev_b64 v[14:15], 2, v[14:15]
	v_add_co_u32_e32 v14, vcc, v11, v14
	v_addc_co_u32_e32 v15, vcc, v12, v15, vcc
	global_store_dword v[14:15], v51, off
	s_or_b64 exec, exec, s[38:39]
	s_and_saveexec_b64 s[38:39], s[24:25]
	s_cbranch_execnz .LBB852_230
.LBB852_245:
	s_or_b64 exec, exec, s[38:39]
	s_and_saveexec_b64 s[38:39], s[22:23]
	s_cbranch_execz .LBB852_231
.LBB852_246:
	v_sub_u32_e32 v14, v46, v3
	v_mov_b32_e32 v15, 0
	v_lshlrev_b64 v[14:15], 2, v[14:15]
	v_add_co_u32_e32 v14, vcc, v11, v14
	v_addc_co_u32_e32 v15, vcc, v12, v15, vcc
	global_store_dword v[14:15], v47, off
	s_or_b64 exec, exec, s[38:39]
	s_and_saveexec_b64 s[38:39], s[20:21]
	s_cbranch_execnz .LBB852_232
.LBB852_247:
	s_or_b64 exec, exec, s[38:39]
	s_and_saveexec_b64 s[38:39], s[18:19]
	s_cbranch_execz .LBB852_233
.LBB852_248:
	v_sub_u32_e32 v14, v42, v3
	v_mov_b32_e32 v15, 0
	v_lshlrev_b64 v[14:15], 2, v[14:15]
	v_add_co_u32_e32 v14, vcc, v11, v14
	v_addc_co_u32_e32 v15, vcc, v12, v15, vcc
	global_store_dword v[14:15], v43, off
	s_or_b64 exec, exec, s[38:39]
	s_and_saveexec_b64 s[38:39], s[16:17]
	s_cbranch_execnz .LBB852_234
.LBB852_249:
	s_or_b64 exec, exec, s[38:39]
	s_and_saveexec_b64 s[38:39], s[14:15]
	s_cbranch_execz .LBB852_235
.LBB852_250:
	v_sub_u32_e32 v14, v38, v3
	v_mov_b32_e32 v15, 0
	v_lshlrev_b64 v[14:15], 2, v[14:15]
	v_add_co_u32_e32 v14, vcc, v11, v14
	v_addc_co_u32_e32 v15, vcc, v12, v15, vcc
	global_store_dword v[14:15], v39, off
	s_or_b64 exec, exec, s[38:39]
	s_and_saveexec_b64 s[38:39], s[12:13]
	s_cbranch_execnz .LBB852_236
.LBB852_251:
	s_or_b64 exec, exec, s[38:39]
	s_and_saveexec_b64 s[38:39], s[10:11]
	s_cbranch_execz .LBB852_237
.LBB852_252:
	v_sub_u32_e32 v14, v34, v3
	v_mov_b32_e32 v15, 0
	v_lshlrev_b64 v[14:15], 2, v[14:15]
	v_add_co_u32_e32 v14, vcc, v11, v14
	v_addc_co_u32_e32 v15, vcc, v12, v15, vcc
	global_store_dword v[14:15], v35, off
	s_or_b64 exec, exec, s[38:39]
	s_and_saveexec_b64 s[38:39], s[8:9]
	s_cbranch_execnz .LBB852_238
.LBB852_253:
	s_or_b64 exec, exec, s[38:39]
	s_and_saveexec_b64 s[38:39], s[6:7]
	s_cbranch_execz .LBB852_239
.LBB852_254:
	v_sub_u32_e32 v14, v28, v3
	v_mov_b32_e32 v15, 0
	v_lshlrev_b64 v[14:15], 2, v[14:15]
	v_add_co_u32_e32 v14, vcc, v11, v14
	v_addc_co_u32_e32 v15, vcc, v12, v15, vcc
	global_store_dword v[14:15], v29, off
	s_or_b64 exec, exec, s[38:39]
	s_and_saveexec_b64 s[38:39], s[4:5]
	s_cbranch_execnz .LBB852_240
.LBB852_255:
	s_or_b64 exec, exec, s[38:39]
	s_and_saveexec_b64 s[38:39], s[2:3]
	s_cbranch_execz .LBB852_257
.LBB852_256:
	v_sub_u32_e32 v14, v24, v3
	v_mov_b32_e32 v15, 0
	v_lshlrev_b64 v[14:15], 2, v[14:15]
	v_add_co_u32_e32 v14, vcc, v11, v14
	v_addc_co_u32_e32 v15, vcc, v12, v15, vcc
	global_store_dword v[14:15], v25, off
.LBB852_257:
	s_or_b64 exec, exec, s[38:39]
	s_and_b64 s[38:39], s[0:1], exec
	s_andn2_saveexec_b64 s[30:31], s[30:31]
	s_cbranch_execnz .LBB852_242
.LBB852_258:
	s_or_b64 exec, exec, s[30:31]
	s_and_b64 exec, exec, s[38:39]
	s_cbranch_execz .LBB852_260
.LBB852_259:
	v_sub_u32_e32 v14, v20, v3
	v_mov_b32_e32 v15, 0
	v_lshlrev_b64 v[14:15], 2, v[14:15]
	v_add_co_u32_e32 v14, vcc, v11, v14
	v_addc_co_u32_e32 v15, vcc, v12, v15, vcc
	global_store_dword v[14:15], v21, off
.LBB852_260:
	s_or_b64 exec, exec, s[34:35]
	s_mov_b64 s[34:35], 0
.LBB852_261:
	s_and_b64 vcc, exec, s[34:35]
	s_cbranch_vccz .LBB852_313
; %bb.262:
	v_cmp_gt_i16_e32 vcc, 2, v4
	s_and_saveexec_b64 s[30:31], vcc
	s_cbranch_execz .LBB852_297
; %bb.263:
	v_cmp_ne_u16_e32 vcc, 1, v4
	s_mov_b64 s[38:39], 0
	s_and_saveexec_b64 s[34:35], vcc
	s_xor_b64 s[34:35], exec, s[34:35]
	s_cbranch_execz .LBB852_278
; %bb.264:
	s_and_saveexec_b64 s[38:39], s[28:29]
	s_cbranch_execz .LBB852_280
; %bb.265:
	v_sub_u32_e32 v4, v52, v3
	v_lshlrev_b32_e32 v4, 2, v4
	ds_write_b32 v4, v53
	s_or_b64 exec, exec, s[38:39]
	s_and_saveexec_b64 s[28:29], s[26:27]
	s_cbranch_execnz .LBB852_281
.LBB852_266:
	s_or_b64 exec, exec, s[28:29]
	s_and_saveexec_b64 s[26:27], s[24:25]
	s_cbranch_execz .LBB852_282
.LBB852_267:
	v_sub_u32_e32 v4, v48, v3
	v_lshlrev_b32_e32 v4, 2, v4
	ds_write_b32 v4, v49
	s_or_b64 exec, exec, s[26:27]
	s_and_saveexec_b64 s[24:25], s[22:23]
	s_cbranch_execnz .LBB852_283
.LBB852_268:
	s_or_b64 exec, exec, s[24:25]
	s_and_saveexec_b64 s[22:23], s[20:21]
	s_cbranch_execz .LBB852_284
.LBB852_269:
	v_sub_u32_e32 v4, v44, v3
	v_lshlrev_b32_e32 v4, 2, v4
	ds_write_b32 v4, v45
	s_or_b64 exec, exec, s[22:23]
	s_and_saveexec_b64 s[20:21], s[18:19]
	s_cbranch_execnz .LBB852_285
.LBB852_270:
	s_or_b64 exec, exec, s[20:21]
	s_and_saveexec_b64 s[18:19], s[16:17]
	s_cbranch_execz .LBB852_286
.LBB852_271:
	v_sub_u32_e32 v4, v40, v3
	v_lshlrev_b32_e32 v4, 2, v4
	ds_write_b32 v4, v41
	s_or_b64 exec, exec, s[18:19]
	s_and_saveexec_b64 s[16:17], s[14:15]
	s_cbranch_execnz .LBB852_287
.LBB852_272:
	s_or_b64 exec, exec, s[16:17]
	s_and_saveexec_b64 s[14:15], s[12:13]
	s_cbranch_execz .LBB852_288
.LBB852_273:
	v_sub_u32_e32 v4, v36, v3
	v_lshlrev_b32_e32 v4, 2, v4
	ds_write_b32 v4, v37
	s_or_b64 exec, exec, s[14:15]
	s_and_saveexec_b64 s[12:13], s[10:11]
	s_cbranch_execnz .LBB852_289
.LBB852_274:
	s_or_b64 exec, exec, s[12:13]
	s_and_saveexec_b64 s[10:11], s[8:9]
	s_cbranch_execz .LBB852_290
.LBB852_275:
	v_sub_u32_e32 v4, v32, v3
	v_lshlrev_b32_e32 v4, 2, v4
	ds_write_b32 v4, v33
	s_or_b64 exec, exec, s[10:11]
	s_and_saveexec_b64 s[8:9], s[6:7]
	s_cbranch_execnz .LBB852_291
.LBB852_276:
	s_or_b64 exec, exec, s[8:9]
	s_and_saveexec_b64 s[6:7], s[4:5]
	s_cbranch_execz .LBB852_292
.LBB852_277:
	v_sub_u32_e32 v4, v26, v3
	v_lshlrev_b32_e32 v4, 2, v4
	ds_write_b32 v4, v27
	s_or_b64 exec, exec, s[6:7]
	s_and_saveexec_b64 s[4:5], s[2:3]
	s_cbranch_execnz .LBB852_293
	s_branch .LBB852_294
.LBB852_278:
	s_andn2_saveexec_b64 s[0:1], s[34:35]
	s_cbranch_execz .LBB852_295
.LBB852_279:
	v_sub_u32_e32 v4, v52, v3
	v_lshlrev_b32_e32 v4, 2, v4
	ds_write_b32 v4, v53
	v_sub_u32_e32 v4, v50, v3
	v_lshlrev_b32_e32 v4, 2, v4
	ds_write_b32 v4, v51
	;; [unrolled: 3-line block ×13, first 2 shown]
	v_sub_u32_e32 v4, v24, v3
	v_lshlrev_b32_e32 v4, 2, v4
	s_or_b64 s[38:39], s[38:39], exec
	ds_write_b32 v4, v25
	s_or_b64 exec, exec, s[0:1]
	s_and_b64 exec, exec, s[38:39]
	s_cbranch_execnz .LBB852_296
	s_branch .LBB852_297
.LBB852_280:
	s_or_b64 exec, exec, s[38:39]
	s_and_saveexec_b64 s[28:29], s[26:27]
	s_cbranch_execz .LBB852_266
.LBB852_281:
	v_sub_u32_e32 v4, v50, v3
	v_lshlrev_b32_e32 v4, 2, v4
	ds_write_b32 v4, v51
	s_or_b64 exec, exec, s[28:29]
	s_and_saveexec_b64 s[26:27], s[24:25]
	s_cbranch_execnz .LBB852_267
.LBB852_282:
	s_or_b64 exec, exec, s[26:27]
	s_and_saveexec_b64 s[24:25], s[22:23]
	s_cbranch_execz .LBB852_268
.LBB852_283:
	v_sub_u32_e32 v4, v46, v3
	v_lshlrev_b32_e32 v4, 2, v4
	ds_write_b32 v4, v47
	s_or_b64 exec, exec, s[24:25]
	s_and_saveexec_b64 s[22:23], s[20:21]
	s_cbranch_execnz .LBB852_269
.LBB852_284:
	s_or_b64 exec, exec, s[22:23]
	s_and_saveexec_b64 s[20:21], s[18:19]
	s_cbranch_execz .LBB852_270
.LBB852_285:
	v_sub_u32_e32 v4, v42, v3
	v_lshlrev_b32_e32 v4, 2, v4
	ds_write_b32 v4, v43
	s_or_b64 exec, exec, s[20:21]
	s_and_saveexec_b64 s[18:19], s[16:17]
	s_cbranch_execnz .LBB852_271
.LBB852_286:
	s_or_b64 exec, exec, s[18:19]
	s_and_saveexec_b64 s[16:17], s[14:15]
	s_cbranch_execz .LBB852_272
.LBB852_287:
	v_sub_u32_e32 v4, v38, v3
	v_lshlrev_b32_e32 v4, 2, v4
	ds_write_b32 v4, v39
	s_or_b64 exec, exec, s[16:17]
	s_and_saveexec_b64 s[14:15], s[12:13]
	s_cbranch_execnz .LBB852_273
.LBB852_288:
	s_or_b64 exec, exec, s[14:15]
	s_and_saveexec_b64 s[12:13], s[10:11]
	s_cbranch_execz .LBB852_274
.LBB852_289:
	v_sub_u32_e32 v4, v34, v3
	v_lshlrev_b32_e32 v4, 2, v4
	ds_write_b32 v4, v35
	s_or_b64 exec, exec, s[12:13]
	s_and_saveexec_b64 s[10:11], s[8:9]
	s_cbranch_execnz .LBB852_275
.LBB852_290:
	s_or_b64 exec, exec, s[10:11]
	s_and_saveexec_b64 s[8:9], s[6:7]
	s_cbranch_execz .LBB852_276
.LBB852_291:
	v_sub_u32_e32 v4, v28, v3
	v_lshlrev_b32_e32 v4, 2, v4
	ds_write_b32 v4, v29
	s_or_b64 exec, exec, s[8:9]
	s_and_saveexec_b64 s[6:7], s[4:5]
	s_cbranch_execnz .LBB852_277
.LBB852_292:
	s_or_b64 exec, exec, s[6:7]
	s_and_saveexec_b64 s[4:5], s[2:3]
	s_cbranch_execz .LBB852_294
.LBB852_293:
	v_sub_u32_e32 v4, v24, v3
	v_lshlrev_b32_e32 v4, 2, v4
	ds_write_b32 v4, v25
.LBB852_294:
	s_or_b64 exec, exec, s[4:5]
	s_and_b64 s[38:39], s[0:1], exec
                                        ; implicit-def: $vgpr52_vgpr53
                                        ; implicit-def: $vgpr50_vgpr51
                                        ; implicit-def: $vgpr48_vgpr49
                                        ; implicit-def: $vgpr46_vgpr47
                                        ; implicit-def: $vgpr44_vgpr45
                                        ; implicit-def: $vgpr42_vgpr43
                                        ; implicit-def: $vgpr40_vgpr41
                                        ; implicit-def: $vgpr38_vgpr39
                                        ; implicit-def: $vgpr36_vgpr37
                                        ; implicit-def: $vgpr34_vgpr35
                                        ; implicit-def: $vgpr32_vgpr33
                                        ; implicit-def: $vgpr28_vgpr29
                                        ; implicit-def: $vgpr26_vgpr27
                                        ; implicit-def: $vgpr24_vgpr25
	s_andn2_saveexec_b64 s[0:1], s[34:35]
	s_cbranch_execnz .LBB852_279
.LBB852_295:
	s_or_b64 exec, exec, s[0:1]
	s_and_b64 exec, exec, s[38:39]
	s_cbranch_execz .LBB852_297
.LBB852_296:
	v_sub_u32_e32 v3, v20, v3
	v_lshlrev_b32_e32 v3, 2, v3
	ds_write_b32 v3, v21
.LBB852_297:
	s_or_b64 exec, exec, s[30:31]
	v_cmp_lt_u32_e32 vcc, v0, v7
	s_waitcnt lgkmcnt(0)
	s_barrier
	s_and_saveexec_b64 s[2:3], vcc
	s_cbranch_execz .LBB852_312
; %bb.298:
	v_add_u32_e32 v4, v6, v2
	v_xad_u32 v2, v0, -1, v4
	v_sub_u32_e32 v3, v2, v1
	s_movk_i32 s0, 0x1900
	v_cmp_gt_u32_e64 s[4:5], s0, v3
	s_movk_i32 s0, 0x18ff
	v_cmp_lt_u32_e32 vcc, s0, v3
	v_mov_b32_e32 v2, v0
	s_and_saveexec_b64 s[6:7], vcc
	s_cbranch_execz .LBB852_309
; %bb.299:
	v_sub_u32_e32 v2, v0, v4
	v_add_u32_e32 v1, v2, v1
	v_or_b32_e32 v1, 0xff, v1
	v_cmp_ge_u32_e32 vcc, v1, v0
	s_mov_b64 s[0:1], -1
	v_mov_b32_e32 v2, v0
	s_and_saveexec_b64 s[8:9], vcc
	s_cbranch_execz .LBB852_308
; %bb.300:
	v_lshrrev_b32_e32 v13, 8, v3
	v_add_u32_e32 v2, -1, v13
	v_or_b32_e32 v1, 0x100, v0
	v_lshrrev_b32_e32 v3, 1, v2
	v_add_u32_e32 v15, 1, v3
	v_cmp_lt_u32_e32 vcc, 13, v2
	v_mov_b32_e32 v20, 0
	v_lshlrev_b32_e32 v14, 2, v0
	v_pk_mov_b32 v[2:3], v[0:1], v[0:1] op_sel:[0,1]
	s_and_saveexec_b64 s[10:11], vcc
	s_cbranch_execz .LBB852_304
; %bb.301:
	v_and_b32_e32 v18, -8, v15
	s_mov_b32 s14, 0
	s_mov_b64 s[12:13], 0
	v_mov_b32_e32 v5, 0
	v_mov_b32_e32 v19, v14
	v_pk_mov_b32 v[2:3], v[0:1], v[0:1] op_sel:[0,1]
.LBB852_302:                            ; =>This Inner Loop Header: Depth=1
	v_mov_b32_e32 v4, v2
	v_add_u32_e32 v18, -8, v18
	v_lshlrev_b64 v[50:51], 2, v[4:5]
	v_mov_b32_e32 v4, v3
	ds_read2st64_b32 v[22:23], v19 offset1:4
	s_add_i32 s14, s14, 16
	v_cmp_eq_u32_e32 vcc, 0, v18
	v_lshlrev_b64 v[54:55], 2, v[4:5]
	v_add_u32_e32 v4, 0x200, v2
	s_or_b64 s[12:13], vcc, s[12:13]
	v_add_co_u32_e32 v54, vcc, v11, v54
	v_add_u32_e32 v20, 0x200, v3
	v_mov_b32_e32 v21, v5
	ds_read2st64_b32 v[24:25], v19 offset0:8 offset1:12
	ds_read2st64_b32 v[28:29], v19 offset0:16 offset1:20
	v_add_co_u32_e64 v50, s[0:1], v11, v50
	v_addc_co_u32_e32 v55, vcc, v12, v55, vcc
	v_lshlrev_b64 v[56:57], 2, v[4:5]
	v_lshlrev_b64 v[52:53], 2, v[20:21]
	v_addc_co_u32_e64 v51, s[0:1], v12, v51, s[0:1]
	v_add_u32_e32 v4, 0x400, v2
	v_add_co_u32_e32 v56, vcc, v11, v56
	v_add_u32_e32 v26, 0x400, v3
	v_mov_b32_e32 v27, v5
	ds_read2st64_b32 v[32:33], v19 offset0:24 offset1:28
	v_add_co_u32_e64 v52, s[0:1], v11, v52
	v_addc_co_u32_e32 v57, vcc, v12, v57, vcc
	v_lshlrev_b64 v[58:59], 2, v[4:5]
	ds_read2st64_b32 v[36:37], v19 offset0:32 offset1:36
	ds_read2st64_b32 v[40:41], v19 offset0:40 offset1:44
	;; [unrolled: 1-line block ×4, first 2 shown]
	v_lshlrev_b64 v[26:27], 2, v[26:27]
	v_addc_co_u32_e64 v53, s[0:1], v12, v53, s[0:1]
	v_add_u32_e32 v4, 0x600, v2
	s_waitcnt lgkmcnt(7)
	global_store_dword v[50:51], v22, off
	global_store_dword v[54:55], v23, off
	s_waitcnt lgkmcnt(6)
	global_store_dword v[56:57], v24, off
	global_store_dword v[52:53], v25, off
	v_add_co_u32_e32 v22, vcc, v11, v58
	v_add_u32_e32 v30, 0x600, v3
	v_mov_b32_e32 v31, v5
	v_add_co_u32_e64 v26, s[0:1], v11, v26
	v_addc_co_u32_e32 v23, vcc, v12, v59, vcc
	v_lshlrev_b64 v[24:25], 2, v[4:5]
	v_lshlrev_b64 v[30:31], 2, v[30:31]
	v_addc_co_u32_e64 v27, s[0:1], v12, v27, s[0:1]
	v_add_u32_e32 v4, 0x800, v2
	s_waitcnt lgkmcnt(5)
	global_store_dword v[22:23], v28, off
	global_store_dword v[26:27], v29, off
	v_add_co_u32_e32 v22, vcc, v11, v24
	v_add_u32_e32 v34, 0x800, v3
	v_mov_b32_e32 v35, v5
	v_add_co_u32_e64 v30, s[0:1], v11, v30
	v_addc_co_u32_e32 v23, vcc, v12, v25, vcc
	v_lshlrev_b64 v[24:25], 2, v[4:5]
	v_lshlrev_b64 v[34:35], 2, v[34:35]
	v_addc_co_u32_e64 v31, s[0:1], v12, v31, s[0:1]
	v_add_u32_e32 v4, 0xa00, v2
	;; [unrolled: 12-line block ×4, first 2 shown]
	s_waitcnt lgkmcnt(2)
	global_store_dword v[22:23], v40, off
	global_store_dword v[38:39], v41, off
	v_add_co_u32_e32 v22, vcc, v11, v24
	v_add_u32_e32 v46, 0xe00, v3
	v_mov_b32_e32 v47, v5
	v_add_co_u32_e64 v42, s[0:1], v11, v42
	v_addc_co_u32_e32 v23, vcc, v12, v25, vcc
	v_lshlrev_b64 v[24:25], 2, v[4:5]
	v_lshlrev_b64 v[46:47], 2, v[46:47]
	v_addc_co_u32_e64 v43, s[0:1], v12, v43, s[0:1]
	s_waitcnt lgkmcnt(1)
	global_store_dword v[22:23], v44, off
	global_store_dword v[42:43], v45, off
	v_add_co_u32_e32 v22, vcc, v11, v24
	v_add_u32_e32 v19, 0x4000, v19
	v_add_u32_e32 v3, 0x1000, v3
	v_mov_b32_e32 v20, s14
	v_add_co_u32_e64 v46, s[0:1], v11, v46
	v_add_u32_e32 v2, 0x1000, v2
	v_addc_co_u32_e32 v23, vcc, v12, v25, vcc
	v_addc_co_u32_e64 v47, s[0:1], v12, v47, s[0:1]
	s_waitcnt lgkmcnt(0)
	global_store_dword v[22:23], v48, off
	global_store_dword v[46:47], v49, off
	s_andn2_b64 exec, exec, s[12:13]
	s_cbranch_execnz .LBB852_302
; %bb.303:
	s_or_b64 exec, exec, s[12:13]
.LBB852_304:
	s_or_b64 exec, exec, s[10:11]
	v_and_b32_e32 v1, 7, v15
	v_cmp_ne_u32_e32 vcc, 0, v1
	s_and_saveexec_b64 s[10:11], vcc
	s_cbranch_execz .LBB852_307
; %bb.305:
	v_lshl_or_b32 v14, v20, 10, v14
	s_mov_b64 s[12:13], 0
	v_mov_b32_e32 v5, 0
.LBB852_306:                            ; =>This Inner Loop Header: Depth=1
	ds_read2st64_b32 v[18:19], v14 offset1:4
	v_mov_b32_e32 v4, v2
	v_add_u32_e32 v1, -1, v1
	v_lshlrev_b64 v[20:21], 2, v[4:5]
	v_mov_b32_e32 v4, v3
	v_cmp_eq_u32_e32 vcc, 0, v1
	v_add_co_u32_e64 v20, s[0:1], v11, v20
	v_lshlrev_b64 v[22:23], 2, v[4:5]
	v_add_u32_e32 v2, 0x200, v2
	v_add_u32_e32 v14, 0x800, v14
	;; [unrolled: 1-line block ×3, first 2 shown]
	v_addc_co_u32_e64 v21, s[0:1], v12, v21, s[0:1]
	s_or_b64 s[12:13], vcc, s[12:13]
	v_add_co_u32_e32 v22, vcc, v11, v22
	v_addc_co_u32_e32 v23, vcc, v12, v23, vcc
	s_waitcnt lgkmcnt(0)
	global_store_dword v[20:21], v18, off
	global_store_dword v[22:23], v19, off
	s_andn2_b64 exec, exec, s[12:13]
	s_cbranch_execnz .LBB852_306
.LBB852_307:
	s_or_b64 exec, exec, s[10:11]
	v_add_u32_e32 v1, 1, v13
	v_and_b32_e32 v3, 0x1fffffe, v1
	v_cmp_ne_u32_e32 vcc, v1, v3
	v_lshl_or_b32 v2, v3, 8, v0
	s_orn2_b64 s[0:1], vcc, exec
.LBB852_308:
	s_or_b64 exec, exec, s[8:9]
	s_andn2_b64 s[4:5], s[4:5], exec
	s_and_b64 s[0:1], s[0:1], exec
	s_or_b64 s[4:5], s[4:5], s[0:1]
.LBB852_309:
	s_or_b64 exec, exec, s[6:7]
	s_and_b64 exec, exec, s[4:5]
	s_cbranch_execz .LBB852_312
; %bb.310:
	v_lshlrev_b32_e32 v1, 2, v2
	s_mov_b64 s[0:1], 0
	v_mov_b32_e32 v3, 0
.LBB852_311:                            ; =>This Inner Loop Header: Depth=1
	v_lshlrev_b64 v[4:5], 2, v[2:3]
	ds_read_b32 v13, v1
	v_add_co_u32_e32 v4, vcc, v11, v4
	v_add_u32_e32 v2, 0x100, v2
	v_addc_co_u32_e32 v5, vcc, v12, v5, vcc
	v_cmp_ge_u32_e32 vcc, v2, v7
	v_add_u32_e32 v1, 0x400, v1
	s_or_b64 s[0:1], vcc, s[0:1]
	s_waitcnt lgkmcnt(0)
	global_store_dword v[4:5], v13, off
	s_andn2_b64 exec, exec, s[0:1]
	s_cbranch_execnz .LBB852_311
.LBB852_312:
	s_or_b64 exec, exec, s[2:3]
.LBB852_313:
	s_movk_i32 s0, 0xff
	v_cmp_eq_u32_e32 vcc, s0, v0
	s_and_b64 s[0:1], vcc, s[36:37]
	s_and_saveexec_b64 s[2:3], s[0:1]
	s_cbranch_execz .LBB852_316
; %bb.314:
	v_add_co_u32_e32 v0, vcc, v6, v8
	v_addc_co_u32_e64 v1, s[0:1], 0, 0, vcc
	v_add_co_u32_e32 v0, vcc, v0, v16
	v_mov_b32_e32 v7, 0
	v_addc_co_u32_e32 v1, vcc, v1, v17, vcc
	s_cmpk_lg_i32 s33, 0xf00
	global_store_dwordx2 v7, v[0:1], s[54:55]
	s_cbranch_scc1 .LBB852_316
; %bb.315:
	v_lshlrev_b64 v[0:1], 2, v[6:7]
	v_add_co_u32_e32 v0, vcc, v9, v0
	v_addc_co_u32_e32 v1, vcc, v10, v1, vcc
	global_store_dword v[0:1], v67, off offset:-4
.LBB852_316:
	s_endpgm
	.section	.rodata,"a",@progbits
	.p2align	6, 0x0
	.amdhsa_kernel _ZN7rocprim17ROCPRIM_400000_NS6detail17trampoline_kernelINS0_14default_configENS1_29reduce_by_key_config_selectorIsjN6thrust23THRUST_200600_302600_NS4plusIjEEEEZZNS1_33reduce_by_key_impl_wrapped_configILNS1_25lookback_scan_determinismE0ES3_S9_NS6_6detail15normal_iteratorINS6_10device_ptrIsEEEENSD_INSE_IjEEEESG_SI_PmS8_NS6_8equal_toIsEEEE10hipError_tPvRmT2_T3_mT4_T5_T6_T7_T8_P12ihipStream_tbENKUlT_T0_E_clISt17integral_constantIbLb1EES13_EEDaSY_SZ_EUlSY_E_NS1_11comp_targetILNS1_3genE4ELNS1_11target_archE910ELNS1_3gpuE8ELNS1_3repE0EEENS1_30default_config_static_selectorELNS0_4arch9wavefront6targetE1EEEvT1_
		.amdhsa_group_segment_fixed_size 15360
		.amdhsa_private_segment_fixed_size 0
		.amdhsa_kernarg_size 120
		.amdhsa_user_sgpr_count 6
		.amdhsa_user_sgpr_private_segment_buffer 1
		.amdhsa_user_sgpr_dispatch_ptr 0
		.amdhsa_user_sgpr_queue_ptr 0
		.amdhsa_user_sgpr_kernarg_segment_ptr 1
		.amdhsa_user_sgpr_dispatch_id 0
		.amdhsa_user_sgpr_flat_scratch_init 0
		.amdhsa_user_sgpr_kernarg_preload_length 0
		.amdhsa_user_sgpr_kernarg_preload_offset 0
		.amdhsa_user_sgpr_private_segment_size 0
		.amdhsa_uses_dynamic_stack 0
		.amdhsa_system_sgpr_private_segment_wavefront_offset 0
		.amdhsa_system_sgpr_workgroup_id_x 1
		.amdhsa_system_sgpr_workgroup_id_y 0
		.amdhsa_system_sgpr_workgroup_id_z 0
		.amdhsa_system_sgpr_workgroup_info 0
		.amdhsa_system_vgpr_workitem_id 0
		.amdhsa_next_free_vgpr 108
		.amdhsa_next_free_sgpr 66
		.amdhsa_accum_offset 108
		.amdhsa_reserve_vcc 1
		.amdhsa_reserve_flat_scratch 0
		.amdhsa_float_round_mode_32 0
		.amdhsa_float_round_mode_16_64 0
		.amdhsa_float_denorm_mode_32 3
		.amdhsa_float_denorm_mode_16_64 3
		.amdhsa_dx10_clamp 1
		.amdhsa_ieee_mode 1
		.amdhsa_fp16_overflow 0
		.amdhsa_tg_split 0
		.amdhsa_exception_fp_ieee_invalid_op 0
		.amdhsa_exception_fp_denorm_src 0
		.amdhsa_exception_fp_ieee_div_zero 0
		.amdhsa_exception_fp_ieee_overflow 0
		.amdhsa_exception_fp_ieee_underflow 0
		.amdhsa_exception_fp_ieee_inexact 0
		.amdhsa_exception_int_div_zero 0
	.end_amdhsa_kernel
	.section	.text._ZN7rocprim17ROCPRIM_400000_NS6detail17trampoline_kernelINS0_14default_configENS1_29reduce_by_key_config_selectorIsjN6thrust23THRUST_200600_302600_NS4plusIjEEEEZZNS1_33reduce_by_key_impl_wrapped_configILNS1_25lookback_scan_determinismE0ES3_S9_NS6_6detail15normal_iteratorINS6_10device_ptrIsEEEENSD_INSE_IjEEEESG_SI_PmS8_NS6_8equal_toIsEEEE10hipError_tPvRmT2_T3_mT4_T5_T6_T7_T8_P12ihipStream_tbENKUlT_T0_E_clISt17integral_constantIbLb1EES13_EEDaSY_SZ_EUlSY_E_NS1_11comp_targetILNS1_3genE4ELNS1_11target_archE910ELNS1_3gpuE8ELNS1_3repE0EEENS1_30default_config_static_selectorELNS0_4arch9wavefront6targetE1EEEvT1_,"axG",@progbits,_ZN7rocprim17ROCPRIM_400000_NS6detail17trampoline_kernelINS0_14default_configENS1_29reduce_by_key_config_selectorIsjN6thrust23THRUST_200600_302600_NS4plusIjEEEEZZNS1_33reduce_by_key_impl_wrapped_configILNS1_25lookback_scan_determinismE0ES3_S9_NS6_6detail15normal_iteratorINS6_10device_ptrIsEEEENSD_INSE_IjEEEESG_SI_PmS8_NS6_8equal_toIsEEEE10hipError_tPvRmT2_T3_mT4_T5_T6_T7_T8_P12ihipStream_tbENKUlT_T0_E_clISt17integral_constantIbLb1EES13_EEDaSY_SZ_EUlSY_E_NS1_11comp_targetILNS1_3genE4ELNS1_11target_archE910ELNS1_3gpuE8ELNS1_3repE0EEENS1_30default_config_static_selectorELNS0_4arch9wavefront6targetE1EEEvT1_,comdat
.Lfunc_end852:
	.size	_ZN7rocprim17ROCPRIM_400000_NS6detail17trampoline_kernelINS0_14default_configENS1_29reduce_by_key_config_selectorIsjN6thrust23THRUST_200600_302600_NS4plusIjEEEEZZNS1_33reduce_by_key_impl_wrapped_configILNS1_25lookback_scan_determinismE0ES3_S9_NS6_6detail15normal_iteratorINS6_10device_ptrIsEEEENSD_INSE_IjEEEESG_SI_PmS8_NS6_8equal_toIsEEEE10hipError_tPvRmT2_T3_mT4_T5_T6_T7_T8_P12ihipStream_tbENKUlT_T0_E_clISt17integral_constantIbLb1EES13_EEDaSY_SZ_EUlSY_E_NS1_11comp_targetILNS1_3genE4ELNS1_11target_archE910ELNS1_3gpuE8ELNS1_3repE0EEENS1_30default_config_static_selectorELNS0_4arch9wavefront6targetE1EEEvT1_, .Lfunc_end852-_ZN7rocprim17ROCPRIM_400000_NS6detail17trampoline_kernelINS0_14default_configENS1_29reduce_by_key_config_selectorIsjN6thrust23THRUST_200600_302600_NS4plusIjEEEEZZNS1_33reduce_by_key_impl_wrapped_configILNS1_25lookback_scan_determinismE0ES3_S9_NS6_6detail15normal_iteratorINS6_10device_ptrIsEEEENSD_INSE_IjEEEESG_SI_PmS8_NS6_8equal_toIsEEEE10hipError_tPvRmT2_T3_mT4_T5_T6_T7_T8_P12ihipStream_tbENKUlT_T0_E_clISt17integral_constantIbLb1EES13_EEDaSY_SZ_EUlSY_E_NS1_11comp_targetILNS1_3genE4ELNS1_11target_archE910ELNS1_3gpuE8ELNS1_3repE0EEENS1_30default_config_static_selectorELNS0_4arch9wavefront6targetE1EEEvT1_
                                        ; -- End function
	.section	.AMDGPU.csdata,"",@progbits
; Kernel info:
; codeLenInByte = 17812
; NumSgprs: 70
; NumVgprs: 108
; NumAgprs: 0
; TotalNumVgprs: 108
; ScratchSize: 0
; MemoryBound: 0
; FloatMode: 240
; IeeeMode: 1
; LDSByteSize: 15360 bytes/workgroup (compile time only)
; SGPRBlocks: 8
; VGPRBlocks: 13
; NumSGPRsForWavesPerEU: 70
; NumVGPRsForWavesPerEU: 108
; AccumOffset: 108
; Occupancy: 4
; WaveLimiterHint : 1
; COMPUTE_PGM_RSRC2:SCRATCH_EN: 0
; COMPUTE_PGM_RSRC2:USER_SGPR: 6
; COMPUTE_PGM_RSRC2:TRAP_HANDLER: 0
; COMPUTE_PGM_RSRC2:TGID_X_EN: 1
; COMPUTE_PGM_RSRC2:TGID_Y_EN: 0
; COMPUTE_PGM_RSRC2:TGID_Z_EN: 0
; COMPUTE_PGM_RSRC2:TIDIG_COMP_CNT: 0
; COMPUTE_PGM_RSRC3_GFX90A:ACCUM_OFFSET: 26
; COMPUTE_PGM_RSRC3_GFX90A:TG_SPLIT: 0
	.section	.text._ZN7rocprim17ROCPRIM_400000_NS6detail17trampoline_kernelINS0_14default_configENS1_29reduce_by_key_config_selectorIsjN6thrust23THRUST_200600_302600_NS4plusIjEEEEZZNS1_33reduce_by_key_impl_wrapped_configILNS1_25lookback_scan_determinismE0ES3_S9_NS6_6detail15normal_iteratorINS6_10device_ptrIsEEEENSD_INSE_IjEEEESG_SI_PmS8_NS6_8equal_toIsEEEE10hipError_tPvRmT2_T3_mT4_T5_T6_T7_T8_P12ihipStream_tbENKUlT_T0_E_clISt17integral_constantIbLb1EES13_EEDaSY_SZ_EUlSY_E_NS1_11comp_targetILNS1_3genE3ELNS1_11target_archE908ELNS1_3gpuE7ELNS1_3repE0EEENS1_30default_config_static_selectorELNS0_4arch9wavefront6targetE1EEEvT1_,"axG",@progbits,_ZN7rocprim17ROCPRIM_400000_NS6detail17trampoline_kernelINS0_14default_configENS1_29reduce_by_key_config_selectorIsjN6thrust23THRUST_200600_302600_NS4plusIjEEEEZZNS1_33reduce_by_key_impl_wrapped_configILNS1_25lookback_scan_determinismE0ES3_S9_NS6_6detail15normal_iteratorINS6_10device_ptrIsEEEENSD_INSE_IjEEEESG_SI_PmS8_NS6_8equal_toIsEEEE10hipError_tPvRmT2_T3_mT4_T5_T6_T7_T8_P12ihipStream_tbENKUlT_T0_E_clISt17integral_constantIbLb1EES13_EEDaSY_SZ_EUlSY_E_NS1_11comp_targetILNS1_3genE3ELNS1_11target_archE908ELNS1_3gpuE7ELNS1_3repE0EEENS1_30default_config_static_selectorELNS0_4arch9wavefront6targetE1EEEvT1_,comdat
	.protected	_ZN7rocprim17ROCPRIM_400000_NS6detail17trampoline_kernelINS0_14default_configENS1_29reduce_by_key_config_selectorIsjN6thrust23THRUST_200600_302600_NS4plusIjEEEEZZNS1_33reduce_by_key_impl_wrapped_configILNS1_25lookback_scan_determinismE0ES3_S9_NS6_6detail15normal_iteratorINS6_10device_ptrIsEEEENSD_INSE_IjEEEESG_SI_PmS8_NS6_8equal_toIsEEEE10hipError_tPvRmT2_T3_mT4_T5_T6_T7_T8_P12ihipStream_tbENKUlT_T0_E_clISt17integral_constantIbLb1EES13_EEDaSY_SZ_EUlSY_E_NS1_11comp_targetILNS1_3genE3ELNS1_11target_archE908ELNS1_3gpuE7ELNS1_3repE0EEENS1_30default_config_static_selectorELNS0_4arch9wavefront6targetE1EEEvT1_ ; -- Begin function _ZN7rocprim17ROCPRIM_400000_NS6detail17trampoline_kernelINS0_14default_configENS1_29reduce_by_key_config_selectorIsjN6thrust23THRUST_200600_302600_NS4plusIjEEEEZZNS1_33reduce_by_key_impl_wrapped_configILNS1_25lookback_scan_determinismE0ES3_S9_NS6_6detail15normal_iteratorINS6_10device_ptrIsEEEENSD_INSE_IjEEEESG_SI_PmS8_NS6_8equal_toIsEEEE10hipError_tPvRmT2_T3_mT4_T5_T6_T7_T8_P12ihipStream_tbENKUlT_T0_E_clISt17integral_constantIbLb1EES13_EEDaSY_SZ_EUlSY_E_NS1_11comp_targetILNS1_3genE3ELNS1_11target_archE908ELNS1_3gpuE7ELNS1_3repE0EEENS1_30default_config_static_selectorELNS0_4arch9wavefront6targetE1EEEvT1_
	.globl	_ZN7rocprim17ROCPRIM_400000_NS6detail17trampoline_kernelINS0_14default_configENS1_29reduce_by_key_config_selectorIsjN6thrust23THRUST_200600_302600_NS4plusIjEEEEZZNS1_33reduce_by_key_impl_wrapped_configILNS1_25lookback_scan_determinismE0ES3_S9_NS6_6detail15normal_iteratorINS6_10device_ptrIsEEEENSD_INSE_IjEEEESG_SI_PmS8_NS6_8equal_toIsEEEE10hipError_tPvRmT2_T3_mT4_T5_T6_T7_T8_P12ihipStream_tbENKUlT_T0_E_clISt17integral_constantIbLb1EES13_EEDaSY_SZ_EUlSY_E_NS1_11comp_targetILNS1_3genE3ELNS1_11target_archE908ELNS1_3gpuE7ELNS1_3repE0EEENS1_30default_config_static_selectorELNS0_4arch9wavefront6targetE1EEEvT1_
	.p2align	8
	.type	_ZN7rocprim17ROCPRIM_400000_NS6detail17trampoline_kernelINS0_14default_configENS1_29reduce_by_key_config_selectorIsjN6thrust23THRUST_200600_302600_NS4plusIjEEEEZZNS1_33reduce_by_key_impl_wrapped_configILNS1_25lookback_scan_determinismE0ES3_S9_NS6_6detail15normal_iteratorINS6_10device_ptrIsEEEENSD_INSE_IjEEEESG_SI_PmS8_NS6_8equal_toIsEEEE10hipError_tPvRmT2_T3_mT4_T5_T6_T7_T8_P12ihipStream_tbENKUlT_T0_E_clISt17integral_constantIbLb1EES13_EEDaSY_SZ_EUlSY_E_NS1_11comp_targetILNS1_3genE3ELNS1_11target_archE908ELNS1_3gpuE7ELNS1_3repE0EEENS1_30default_config_static_selectorELNS0_4arch9wavefront6targetE1EEEvT1_,@function
_ZN7rocprim17ROCPRIM_400000_NS6detail17trampoline_kernelINS0_14default_configENS1_29reduce_by_key_config_selectorIsjN6thrust23THRUST_200600_302600_NS4plusIjEEEEZZNS1_33reduce_by_key_impl_wrapped_configILNS1_25lookback_scan_determinismE0ES3_S9_NS6_6detail15normal_iteratorINS6_10device_ptrIsEEEENSD_INSE_IjEEEESG_SI_PmS8_NS6_8equal_toIsEEEE10hipError_tPvRmT2_T3_mT4_T5_T6_T7_T8_P12ihipStream_tbENKUlT_T0_E_clISt17integral_constantIbLb1EES13_EEDaSY_SZ_EUlSY_E_NS1_11comp_targetILNS1_3genE3ELNS1_11target_archE908ELNS1_3gpuE7ELNS1_3repE0EEENS1_30default_config_static_selectorELNS0_4arch9wavefront6targetE1EEEvT1_: ; @_ZN7rocprim17ROCPRIM_400000_NS6detail17trampoline_kernelINS0_14default_configENS1_29reduce_by_key_config_selectorIsjN6thrust23THRUST_200600_302600_NS4plusIjEEEEZZNS1_33reduce_by_key_impl_wrapped_configILNS1_25lookback_scan_determinismE0ES3_S9_NS6_6detail15normal_iteratorINS6_10device_ptrIsEEEENSD_INSE_IjEEEESG_SI_PmS8_NS6_8equal_toIsEEEE10hipError_tPvRmT2_T3_mT4_T5_T6_T7_T8_P12ihipStream_tbENKUlT_T0_E_clISt17integral_constantIbLb1EES13_EEDaSY_SZ_EUlSY_E_NS1_11comp_targetILNS1_3genE3ELNS1_11target_archE908ELNS1_3gpuE7ELNS1_3repE0EEENS1_30default_config_static_selectorELNS0_4arch9wavefront6targetE1EEEvT1_
; %bb.0:
	.section	.rodata,"a",@progbits
	.p2align	6, 0x0
	.amdhsa_kernel _ZN7rocprim17ROCPRIM_400000_NS6detail17trampoline_kernelINS0_14default_configENS1_29reduce_by_key_config_selectorIsjN6thrust23THRUST_200600_302600_NS4plusIjEEEEZZNS1_33reduce_by_key_impl_wrapped_configILNS1_25lookback_scan_determinismE0ES3_S9_NS6_6detail15normal_iteratorINS6_10device_ptrIsEEEENSD_INSE_IjEEEESG_SI_PmS8_NS6_8equal_toIsEEEE10hipError_tPvRmT2_T3_mT4_T5_T6_T7_T8_P12ihipStream_tbENKUlT_T0_E_clISt17integral_constantIbLb1EES13_EEDaSY_SZ_EUlSY_E_NS1_11comp_targetILNS1_3genE3ELNS1_11target_archE908ELNS1_3gpuE7ELNS1_3repE0EEENS1_30default_config_static_selectorELNS0_4arch9wavefront6targetE1EEEvT1_
		.amdhsa_group_segment_fixed_size 0
		.amdhsa_private_segment_fixed_size 0
		.amdhsa_kernarg_size 120
		.amdhsa_user_sgpr_count 6
		.amdhsa_user_sgpr_private_segment_buffer 1
		.amdhsa_user_sgpr_dispatch_ptr 0
		.amdhsa_user_sgpr_queue_ptr 0
		.amdhsa_user_sgpr_kernarg_segment_ptr 1
		.amdhsa_user_sgpr_dispatch_id 0
		.amdhsa_user_sgpr_flat_scratch_init 0
		.amdhsa_user_sgpr_kernarg_preload_length 0
		.amdhsa_user_sgpr_kernarg_preload_offset 0
		.amdhsa_user_sgpr_private_segment_size 0
		.amdhsa_uses_dynamic_stack 0
		.amdhsa_system_sgpr_private_segment_wavefront_offset 0
		.amdhsa_system_sgpr_workgroup_id_x 1
		.amdhsa_system_sgpr_workgroup_id_y 0
		.amdhsa_system_sgpr_workgroup_id_z 0
		.amdhsa_system_sgpr_workgroup_info 0
		.amdhsa_system_vgpr_workitem_id 0
		.amdhsa_next_free_vgpr 1
		.amdhsa_next_free_sgpr 0
		.amdhsa_accum_offset 4
		.amdhsa_reserve_vcc 0
		.amdhsa_reserve_flat_scratch 0
		.amdhsa_float_round_mode_32 0
		.amdhsa_float_round_mode_16_64 0
		.amdhsa_float_denorm_mode_32 3
		.amdhsa_float_denorm_mode_16_64 3
		.amdhsa_dx10_clamp 1
		.amdhsa_ieee_mode 1
		.amdhsa_fp16_overflow 0
		.amdhsa_tg_split 0
		.amdhsa_exception_fp_ieee_invalid_op 0
		.amdhsa_exception_fp_denorm_src 0
		.amdhsa_exception_fp_ieee_div_zero 0
		.amdhsa_exception_fp_ieee_overflow 0
		.amdhsa_exception_fp_ieee_underflow 0
		.amdhsa_exception_fp_ieee_inexact 0
		.amdhsa_exception_int_div_zero 0
	.end_amdhsa_kernel
	.section	.text._ZN7rocprim17ROCPRIM_400000_NS6detail17trampoline_kernelINS0_14default_configENS1_29reduce_by_key_config_selectorIsjN6thrust23THRUST_200600_302600_NS4plusIjEEEEZZNS1_33reduce_by_key_impl_wrapped_configILNS1_25lookback_scan_determinismE0ES3_S9_NS6_6detail15normal_iteratorINS6_10device_ptrIsEEEENSD_INSE_IjEEEESG_SI_PmS8_NS6_8equal_toIsEEEE10hipError_tPvRmT2_T3_mT4_T5_T6_T7_T8_P12ihipStream_tbENKUlT_T0_E_clISt17integral_constantIbLb1EES13_EEDaSY_SZ_EUlSY_E_NS1_11comp_targetILNS1_3genE3ELNS1_11target_archE908ELNS1_3gpuE7ELNS1_3repE0EEENS1_30default_config_static_selectorELNS0_4arch9wavefront6targetE1EEEvT1_,"axG",@progbits,_ZN7rocprim17ROCPRIM_400000_NS6detail17trampoline_kernelINS0_14default_configENS1_29reduce_by_key_config_selectorIsjN6thrust23THRUST_200600_302600_NS4plusIjEEEEZZNS1_33reduce_by_key_impl_wrapped_configILNS1_25lookback_scan_determinismE0ES3_S9_NS6_6detail15normal_iteratorINS6_10device_ptrIsEEEENSD_INSE_IjEEEESG_SI_PmS8_NS6_8equal_toIsEEEE10hipError_tPvRmT2_T3_mT4_T5_T6_T7_T8_P12ihipStream_tbENKUlT_T0_E_clISt17integral_constantIbLb1EES13_EEDaSY_SZ_EUlSY_E_NS1_11comp_targetILNS1_3genE3ELNS1_11target_archE908ELNS1_3gpuE7ELNS1_3repE0EEENS1_30default_config_static_selectorELNS0_4arch9wavefront6targetE1EEEvT1_,comdat
.Lfunc_end853:
	.size	_ZN7rocprim17ROCPRIM_400000_NS6detail17trampoline_kernelINS0_14default_configENS1_29reduce_by_key_config_selectorIsjN6thrust23THRUST_200600_302600_NS4plusIjEEEEZZNS1_33reduce_by_key_impl_wrapped_configILNS1_25lookback_scan_determinismE0ES3_S9_NS6_6detail15normal_iteratorINS6_10device_ptrIsEEEENSD_INSE_IjEEEESG_SI_PmS8_NS6_8equal_toIsEEEE10hipError_tPvRmT2_T3_mT4_T5_T6_T7_T8_P12ihipStream_tbENKUlT_T0_E_clISt17integral_constantIbLb1EES13_EEDaSY_SZ_EUlSY_E_NS1_11comp_targetILNS1_3genE3ELNS1_11target_archE908ELNS1_3gpuE7ELNS1_3repE0EEENS1_30default_config_static_selectorELNS0_4arch9wavefront6targetE1EEEvT1_, .Lfunc_end853-_ZN7rocprim17ROCPRIM_400000_NS6detail17trampoline_kernelINS0_14default_configENS1_29reduce_by_key_config_selectorIsjN6thrust23THRUST_200600_302600_NS4plusIjEEEEZZNS1_33reduce_by_key_impl_wrapped_configILNS1_25lookback_scan_determinismE0ES3_S9_NS6_6detail15normal_iteratorINS6_10device_ptrIsEEEENSD_INSE_IjEEEESG_SI_PmS8_NS6_8equal_toIsEEEE10hipError_tPvRmT2_T3_mT4_T5_T6_T7_T8_P12ihipStream_tbENKUlT_T0_E_clISt17integral_constantIbLb1EES13_EEDaSY_SZ_EUlSY_E_NS1_11comp_targetILNS1_3genE3ELNS1_11target_archE908ELNS1_3gpuE7ELNS1_3repE0EEENS1_30default_config_static_selectorELNS0_4arch9wavefront6targetE1EEEvT1_
                                        ; -- End function
	.section	.AMDGPU.csdata,"",@progbits
; Kernel info:
; codeLenInByte = 0
; NumSgprs: 4
; NumVgprs: 0
; NumAgprs: 0
; TotalNumVgprs: 0
; ScratchSize: 0
; MemoryBound: 0
; FloatMode: 240
; IeeeMode: 1
; LDSByteSize: 0 bytes/workgroup (compile time only)
; SGPRBlocks: 0
; VGPRBlocks: 0
; NumSGPRsForWavesPerEU: 4
; NumVGPRsForWavesPerEU: 1
; AccumOffset: 4
; Occupancy: 8
; WaveLimiterHint : 0
; COMPUTE_PGM_RSRC2:SCRATCH_EN: 0
; COMPUTE_PGM_RSRC2:USER_SGPR: 6
; COMPUTE_PGM_RSRC2:TRAP_HANDLER: 0
; COMPUTE_PGM_RSRC2:TGID_X_EN: 1
; COMPUTE_PGM_RSRC2:TGID_Y_EN: 0
; COMPUTE_PGM_RSRC2:TGID_Z_EN: 0
; COMPUTE_PGM_RSRC2:TIDIG_COMP_CNT: 0
; COMPUTE_PGM_RSRC3_GFX90A:ACCUM_OFFSET: 0
; COMPUTE_PGM_RSRC3_GFX90A:TG_SPLIT: 0
	.section	.text._ZN7rocprim17ROCPRIM_400000_NS6detail17trampoline_kernelINS0_14default_configENS1_29reduce_by_key_config_selectorIsjN6thrust23THRUST_200600_302600_NS4plusIjEEEEZZNS1_33reduce_by_key_impl_wrapped_configILNS1_25lookback_scan_determinismE0ES3_S9_NS6_6detail15normal_iteratorINS6_10device_ptrIsEEEENSD_INSE_IjEEEESG_SI_PmS8_NS6_8equal_toIsEEEE10hipError_tPvRmT2_T3_mT4_T5_T6_T7_T8_P12ihipStream_tbENKUlT_T0_E_clISt17integral_constantIbLb1EES13_EEDaSY_SZ_EUlSY_E_NS1_11comp_targetILNS1_3genE2ELNS1_11target_archE906ELNS1_3gpuE6ELNS1_3repE0EEENS1_30default_config_static_selectorELNS0_4arch9wavefront6targetE1EEEvT1_,"axG",@progbits,_ZN7rocprim17ROCPRIM_400000_NS6detail17trampoline_kernelINS0_14default_configENS1_29reduce_by_key_config_selectorIsjN6thrust23THRUST_200600_302600_NS4plusIjEEEEZZNS1_33reduce_by_key_impl_wrapped_configILNS1_25lookback_scan_determinismE0ES3_S9_NS6_6detail15normal_iteratorINS6_10device_ptrIsEEEENSD_INSE_IjEEEESG_SI_PmS8_NS6_8equal_toIsEEEE10hipError_tPvRmT2_T3_mT4_T5_T6_T7_T8_P12ihipStream_tbENKUlT_T0_E_clISt17integral_constantIbLb1EES13_EEDaSY_SZ_EUlSY_E_NS1_11comp_targetILNS1_3genE2ELNS1_11target_archE906ELNS1_3gpuE6ELNS1_3repE0EEENS1_30default_config_static_selectorELNS0_4arch9wavefront6targetE1EEEvT1_,comdat
	.protected	_ZN7rocprim17ROCPRIM_400000_NS6detail17trampoline_kernelINS0_14default_configENS1_29reduce_by_key_config_selectorIsjN6thrust23THRUST_200600_302600_NS4plusIjEEEEZZNS1_33reduce_by_key_impl_wrapped_configILNS1_25lookback_scan_determinismE0ES3_S9_NS6_6detail15normal_iteratorINS6_10device_ptrIsEEEENSD_INSE_IjEEEESG_SI_PmS8_NS6_8equal_toIsEEEE10hipError_tPvRmT2_T3_mT4_T5_T6_T7_T8_P12ihipStream_tbENKUlT_T0_E_clISt17integral_constantIbLb1EES13_EEDaSY_SZ_EUlSY_E_NS1_11comp_targetILNS1_3genE2ELNS1_11target_archE906ELNS1_3gpuE6ELNS1_3repE0EEENS1_30default_config_static_selectorELNS0_4arch9wavefront6targetE1EEEvT1_ ; -- Begin function _ZN7rocprim17ROCPRIM_400000_NS6detail17trampoline_kernelINS0_14default_configENS1_29reduce_by_key_config_selectorIsjN6thrust23THRUST_200600_302600_NS4plusIjEEEEZZNS1_33reduce_by_key_impl_wrapped_configILNS1_25lookback_scan_determinismE0ES3_S9_NS6_6detail15normal_iteratorINS6_10device_ptrIsEEEENSD_INSE_IjEEEESG_SI_PmS8_NS6_8equal_toIsEEEE10hipError_tPvRmT2_T3_mT4_T5_T6_T7_T8_P12ihipStream_tbENKUlT_T0_E_clISt17integral_constantIbLb1EES13_EEDaSY_SZ_EUlSY_E_NS1_11comp_targetILNS1_3genE2ELNS1_11target_archE906ELNS1_3gpuE6ELNS1_3repE0EEENS1_30default_config_static_selectorELNS0_4arch9wavefront6targetE1EEEvT1_
	.globl	_ZN7rocprim17ROCPRIM_400000_NS6detail17trampoline_kernelINS0_14default_configENS1_29reduce_by_key_config_selectorIsjN6thrust23THRUST_200600_302600_NS4plusIjEEEEZZNS1_33reduce_by_key_impl_wrapped_configILNS1_25lookback_scan_determinismE0ES3_S9_NS6_6detail15normal_iteratorINS6_10device_ptrIsEEEENSD_INSE_IjEEEESG_SI_PmS8_NS6_8equal_toIsEEEE10hipError_tPvRmT2_T3_mT4_T5_T6_T7_T8_P12ihipStream_tbENKUlT_T0_E_clISt17integral_constantIbLb1EES13_EEDaSY_SZ_EUlSY_E_NS1_11comp_targetILNS1_3genE2ELNS1_11target_archE906ELNS1_3gpuE6ELNS1_3repE0EEENS1_30default_config_static_selectorELNS0_4arch9wavefront6targetE1EEEvT1_
	.p2align	8
	.type	_ZN7rocprim17ROCPRIM_400000_NS6detail17trampoline_kernelINS0_14default_configENS1_29reduce_by_key_config_selectorIsjN6thrust23THRUST_200600_302600_NS4plusIjEEEEZZNS1_33reduce_by_key_impl_wrapped_configILNS1_25lookback_scan_determinismE0ES3_S9_NS6_6detail15normal_iteratorINS6_10device_ptrIsEEEENSD_INSE_IjEEEESG_SI_PmS8_NS6_8equal_toIsEEEE10hipError_tPvRmT2_T3_mT4_T5_T6_T7_T8_P12ihipStream_tbENKUlT_T0_E_clISt17integral_constantIbLb1EES13_EEDaSY_SZ_EUlSY_E_NS1_11comp_targetILNS1_3genE2ELNS1_11target_archE906ELNS1_3gpuE6ELNS1_3repE0EEENS1_30default_config_static_selectorELNS0_4arch9wavefront6targetE1EEEvT1_,@function
_ZN7rocprim17ROCPRIM_400000_NS6detail17trampoline_kernelINS0_14default_configENS1_29reduce_by_key_config_selectorIsjN6thrust23THRUST_200600_302600_NS4plusIjEEEEZZNS1_33reduce_by_key_impl_wrapped_configILNS1_25lookback_scan_determinismE0ES3_S9_NS6_6detail15normal_iteratorINS6_10device_ptrIsEEEENSD_INSE_IjEEEESG_SI_PmS8_NS6_8equal_toIsEEEE10hipError_tPvRmT2_T3_mT4_T5_T6_T7_T8_P12ihipStream_tbENKUlT_T0_E_clISt17integral_constantIbLb1EES13_EEDaSY_SZ_EUlSY_E_NS1_11comp_targetILNS1_3genE2ELNS1_11target_archE906ELNS1_3gpuE6ELNS1_3repE0EEENS1_30default_config_static_selectorELNS0_4arch9wavefront6targetE1EEEvT1_: ; @_ZN7rocprim17ROCPRIM_400000_NS6detail17trampoline_kernelINS0_14default_configENS1_29reduce_by_key_config_selectorIsjN6thrust23THRUST_200600_302600_NS4plusIjEEEEZZNS1_33reduce_by_key_impl_wrapped_configILNS1_25lookback_scan_determinismE0ES3_S9_NS6_6detail15normal_iteratorINS6_10device_ptrIsEEEENSD_INSE_IjEEEESG_SI_PmS8_NS6_8equal_toIsEEEE10hipError_tPvRmT2_T3_mT4_T5_T6_T7_T8_P12ihipStream_tbENKUlT_T0_E_clISt17integral_constantIbLb1EES13_EEDaSY_SZ_EUlSY_E_NS1_11comp_targetILNS1_3genE2ELNS1_11target_archE906ELNS1_3gpuE6ELNS1_3repE0EEENS1_30default_config_static_selectorELNS0_4arch9wavefront6targetE1EEEvT1_
; %bb.0:
	.section	.rodata,"a",@progbits
	.p2align	6, 0x0
	.amdhsa_kernel _ZN7rocprim17ROCPRIM_400000_NS6detail17trampoline_kernelINS0_14default_configENS1_29reduce_by_key_config_selectorIsjN6thrust23THRUST_200600_302600_NS4plusIjEEEEZZNS1_33reduce_by_key_impl_wrapped_configILNS1_25lookback_scan_determinismE0ES3_S9_NS6_6detail15normal_iteratorINS6_10device_ptrIsEEEENSD_INSE_IjEEEESG_SI_PmS8_NS6_8equal_toIsEEEE10hipError_tPvRmT2_T3_mT4_T5_T6_T7_T8_P12ihipStream_tbENKUlT_T0_E_clISt17integral_constantIbLb1EES13_EEDaSY_SZ_EUlSY_E_NS1_11comp_targetILNS1_3genE2ELNS1_11target_archE906ELNS1_3gpuE6ELNS1_3repE0EEENS1_30default_config_static_selectorELNS0_4arch9wavefront6targetE1EEEvT1_
		.amdhsa_group_segment_fixed_size 0
		.amdhsa_private_segment_fixed_size 0
		.amdhsa_kernarg_size 120
		.amdhsa_user_sgpr_count 6
		.amdhsa_user_sgpr_private_segment_buffer 1
		.amdhsa_user_sgpr_dispatch_ptr 0
		.amdhsa_user_sgpr_queue_ptr 0
		.amdhsa_user_sgpr_kernarg_segment_ptr 1
		.amdhsa_user_sgpr_dispatch_id 0
		.amdhsa_user_sgpr_flat_scratch_init 0
		.amdhsa_user_sgpr_kernarg_preload_length 0
		.amdhsa_user_sgpr_kernarg_preload_offset 0
		.amdhsa_user_sgpr_private_segment_size 0
		.amdhsa_uses_dynamic_stack 0
		.amdhsa_system_sgpr_private_segment_wavefront_offset 0
		.amdhsa_system_sgpr_workgroup_id_x 1
		.amdhsa_system_sgpr_workgroup_id_y 0
		.amdhsa_system_sgpr_workgroup_id_z 0
		.amdhsa_system_sgpr_workgroup_info 0
		.amdhsa_system_vgpr_workitem_id 0
		.amdhsa_next_free_vgpr 1
		.amdhsa_next_free_sgpr 0
		.amdhsa_accum_offset 4
		.amdhsa_reserve_vcc 0
		.amdhsa_reserve_flat_scratch 0
		.amdhsa_float_round_mode_32 0
		.amdhsa_float_round_mode_16_64 0
		.amdhsa_float_denorm_mode_32 3
		.amdhsa_float_denorm_mode_16_64 3
		.amdhsa_dx10_clamp 1
		.amdhsa_ieee_mode 1
		.amdhsa_fp16_overflow 0
		.amdhsa_tg_split 0
		.amdhsa_exception_fp_ieee_invalid_op 0
		.amdhsa_exception_fp_denorm_src 0
		.amdhsa_exception_fp_ieee_div_zero 0
		.amdhsa_exception_fp_ieee_overflow 0
		.amdhsa_exception_fp_ieee_underflow 0
		.amdhsa_exception_fp_ieee_inexact 0
		.amdhsa_exception_int_div_zero 0
	.end_amdhsa_kernel
	.section	.text._ZN7rocprim17ROCPRIM_400000_NS6detail17trampoline_kernelINS0_14default_configENS1_29reduce_by_key_config_selectorIsjN6thrust23THRUST_200600_302600_NS4plusIjEEEEZZNS1_33reduce_by_key_impl_wrapped_configILNS1_25lookback_scan_determinismE0ES3_S9_NS6_6detail15normal_iteratorINS6_10device_ptrIsEEEENSD_INSE_IjEEEESG_SI_PmS8_NS6_8equal_toIsEEEE10hipError_tPvRmT2_T3_mT4_T5_T6_T7_T8_P12ihipStream_tbENKUlT_T0_E_clISt17integral_constantIbLb1EES13_EEDaSY_SZ_EUlSY_E_NS1_11comp_targetILNS1_3genE2ELNS1_11target_archE906ELNS1_3gpuE6ELNS1_3repE0EEENS1_30default_config_static_selectorELNS0_4arch9wavefront6targetE1EEEvT1_,"axG",@progbits,_ZN7rocprim17ROCPRIM_400000_NS6detail17trampoline_kernelINS0_14default_configENS1_29reduce_by_key_config_selectorIsjN6thrust23THRUST_200600_302600_NS4plusIjEEEEZZNS1_33reduce_by_key_impl_wrapped_configILNS1_25lookback_scan_determinismE0ES3_S9_NS6_6detail15normal_iteratorINS6_10device_ptrIsEEEENSD_INSE_IjEEEESG_SI_PmS8_NS6_8equal_toIsEEEE10hipError_tPvRmT2_T3_mT4_T5_T6_T7_T8_P12ihipStream_tbENKUlT_T0_E_clISt17integral_constantIbLb1EES13_EEDaSY_SZ_EUlSY_E_NS1_11comp_targetILNS1_3genE2ELNS1_11target_archE906ELNS1_3gpuE6ELNS1_3repE0EEENS1_30default_config_static_selectorELNS0_4arch9wavefront6targetE1EEEvT1_,comdat
.Lfunc_end854:
	.size	_ZN7rocprim17ROCPRIM_400000_NS6detail17trampoline_kernelINS0_14default_configENS1_29reduce_by_key_config_selectorIsjN6thrust23THRUST_200600_302600_NS4plusIjEEEEZZNS1_33reduce_by_key_impl_wrapped_configILNS1_25lookback_scan_determinismE0ES3_S9_NS6_6detail15normal_iteratorINS6_10device_ptrIsEEEENSD_INSE_IjEEEESG_SI_PmS8_NS6_8equal_toIsEEEE10hipError_tPvRmT2_T3_mT4_T5_T6_T7_T8_P12ihipStream_tbENKUlT_T0_E_clISt17integral_constantIbLb1EES13_EEDaSY_SZ_EUlSY_E_NS1_11comp_targetILNS1_3genE2ELNS1_11target_archE906ELNS1_3gpuE6ELNS1_3repE0EEENS1_30default_config_static_selectorELNS0_4arch9wavefront6targetE1EEEvT1_, .Lfunc_end854-_ZN7rocprim17ROCPRIM_400000_NS6detail17trampoline_kernelINS0_14default_configENS1_29reduce_by_key_config_selectorIsjN6thrust23THRUST_200600_302600_NS4plusIjEEEEZZNS1_33reduce_by_key_impl_wrapped_configILNS1_25lookback_scan_determinismE0ES3_S9_NS6_6detail15normal_iteratorINS6_10device_ptrIsEEEENSD_INSE_IjEEEESG_SI_PmS8_NS6_8equal_toIsEEEE10hipError_tPvRmT2_T3_mT4_T5_T6_T7_T8_P12ihipStream_tbENKUlT_T0_E_clISt17integral_constantIbLb1EES13_EEDaSY_SZ_EUlSY_E_NS1_11comp_targetILNS1_3genE2ELNS1_11target_archE906ELNS1_3gpuE6ELNS1_3repE0EEENS1_30default_config_static_selectorELNS0_4arch9wavefront6targetE1EEEvT1_
                                        ; -- End function
	.section	.AMDGPU.csdata,"",@progbits
; Kernel info:
; codeLenInByte = 0
; NumSgprs: 4
; NumVgprs: 0
; NumAgprs: 0
; TotalNumVgprs: 0
; ScratchSize: 0
; MemoryBound: 0
; FloatMode: 240
; IeeeMode: 1
; LDSByteSize: 0 bytes/workgroup (compile time only)
; SGPRBlocks: 0
; VGPRBlocks: 0
; NumSGPRsForWavesPerEU: 4
; NumVGPRsForWavesPerEU: 1
; AccumOffset: 4
; Occupancy: 8
; WaveLimiterHint : 0
; COMPUTE_PGM_RSRC2:SCRATCH_EN: 0
; COMPUTE_PGM_RSRC2:USER_SGPR: 6
; COMPUTE_PGM_RSRC2:TRAP_HANDLER: 0
; COMPUTE_PGM_RSRC2:TGID_X_EN: 1
; COMPUTE_PGM_RSRC2:TGID_Y_EN: 0
; COMPUTE_PGM_RSRC2:TGID_Z_EN: 0
; COMPUTE_PGM_RSRC2:TIDIG_COMP_CNT: 0
; COMPUTE_PGM_RSRC3_GFX90A:ACCUM_OFFSET: 0
; COMPUTE_PGM_RSRC3_GFX90A:TG_SPLIT: 0
	.section	.text._ZN7rocprim17ROCPRIM_400000_NS6detail17trampoline_kernelINS0_14default_configENS1_29reduce_by_key_config_selectorIsjN6thrust23THRUST_200600_302600_NS4plusIjEEEEZZNS1_33reduce_by_key_impl_wrapped_configILNS1_25lookback_scan_determinismE0ES3_S9_NS6_6detail15normal_iteratorINS6_10device_ptrIsEEEENSD_INSE_IjEEEESG_SI_PmS8_NS6_8equal_toIsEEEE10hipError_tPvRmT2_T3_mT4_T5_T6_T7_T8_P12ihipStream_tbENKUlT_T0_E_clISt17integral_constantIbLb1EES13_EEDaSY_SZ_EUlSY_E_NS1_11comp_targetILNS1_3genE10ELNS1_11target_archE1201ELNS1_3gpuE5ELNS1_3repE0EEENS1_30default_config_static_selectorELNS0_4arch9wavefront6targetE1EEEvT1_,"axG",@progbits,_ZN7rocprim17ROCPRIM_400000_NS6detail17trampoline_kernelINS0_14default_configENS1_29reduce_by_key_config_selectorIsjN6thrust23THRUST_200600_302600_NS4plusIjEEEEZZNS1_33reduce_by_key_impl_wrapped_configILNS1_25lookback_scan_determinismE0ES3_S9_NS6_6detail15normal_iteratorINS6_10device_ptrIsEEEENSD_INSE_IjEEEESG_SI_PmS8_NS6_8equal_toIsEEEE10hipError_tPvRmT2_T3_mT4_T5_T6_T7_T8_P12ihipStream_tbENKUlT_T0_E_clISt17integral_constantIbLb1EES13_EEDaSY_SZ_EUlSY_E_NS1_11comp_targetILNS1_3genE10ELNS1_11target_archE1201ELNS1_3gpuE5ELNS1_3repE0EEENS1_30default_config_static_selectorELNS0_4arch9wavefront6targetE1EEEvT1_,comdat
	.protected	_ZN7rocprim17ROCPRIM_400000_NS6detail17trampoline_kernelINS0_14default_configENS1_29reduce_by_key_config_selectorIsjN6thrust23THRUST_200600_302600_NS4plusIjEEEEZZNS1_33reduce_by_key_impl_wrapped_configILNS1_25lookback_scan_determinismE0ES3_S9_NS6_6detail15normal_iteratorINS6_10device_ptrIsEEEENSD_INSE_IjEEEESG_SI_PmS8_NS6_8equal_toIsEEEE10hipError_tPvRmT2_T3_mT4_T5_T6_T7_T8_P12ihipStream_tbENKUlT_T0_E_clISt17integral_constantIbLb1EES13_EEDaSY_SZ_EUlSY_E_NS1_11comp_targetILNS1_3genE10ELNS1_11target_archE1201ELNS1_3gpuE5ELNS1_3repE0EEENS1_30default_config_static_selectorELNS0_4arch9wavefront6targetE1EEEvT1_ ; -- Begin function _ZN7rocprim17ROCPRIM_400000_NS6detail17trampoline_kernelINS0_14default_configENS1_29reduce_by_key_config_selectorIsjN6thrust23THRUST_200600_302600_NS4plusIjEEEEZZNS1_33reduce_by_key_impl_wrapped_configILNS1_25lookback_scan_determinismE0ES3_S9_NS6_6detail15normal_iteratorINS6_10device_ptrIsEEEENSD_INSE_IjEEEESG_SI_PmS8_NS6_8equal_toIsEEEE10hipError_tPvRmT2_T3_mT4_T5_T6_T7_T8_P12ihipStream_tbENKUlT_T0_E_clISt17integral_constantIbLb1EES13_EEDaSY_SZ_EUlSY_E_NS1_11comp_targetILNS1_3genE10ELNS1_11target_archE1201ELNS1_3gpuE5ELNS1_3repE0EEENS1_30default_config_static_selectorELNS0_4arch9wavefront6targetE1EEEvT1_
	.globl	_ZN7rocprim17ROCPRIM_400000_NS6detail17trampoline_kernelINS0_14default_configENS1_29reduce_by_key_config_selectorIsjN6thrust23THRUST_200600_302600_NS4plusIjEEEEZZNS1_33reduce_by_key_impl_wrapped_configILNS1_25lookback_scan_determinismE0ES3_S9_NS6_6detail15normal_iteratorINS6_10device_ptrIsEEEENSD_INSE_IjEEEESG_SI_PmS8_NS6_8equal_toIsEEEE10hipError_tPvRmT2_T3_mT4_T5_T6_T7_T8_P12ihipStream_tbENKUlT_T0_E_clISt17integral_constantIbLb1EES13_EEDaSY_SZ_EUlSY_E_NS1_11comp_targetILNS1_3genE10ELNS1_11target_archE1201ELNS1_3gpuE5ELNS1_3repE0EEENS1_30default_config_static_selectorELNS0_4arch9wavefront6targetE1EEEvT1_
	.p2align	8
	.type	_ZN7rocprim17ROCPRIM_400000_NS6detail17trampoline_kernelINS0_14default_configENS1_29reduce_by_key_config_selectorIsjN6thrust23THRUST_200600_302600_NS4plusIjEEEEZZNS1_33reduce_by_key_impl_wrapped_configILNS1_25lookback_scan_determinismE0ES3_S9_NS6_6detail15normal_iteratorINS6_10device_ptrIsEEEENSD_INSE_IjEEEESG_SI_PmS8_NS6_8equal_toIsEEEE10hipError_tPvRmT2_T3_mT4_T5_T6_T7_T8_P12ihipStream_tbENKUlT_T0_E_clISt17integral_constantIbLb1EES13_EEDaSY_SZ_EUlSY_E_NS1_11comp_targetILNS1_3genE10ELNS1_11target_archE1201ELNS1_3gpuE5ELNS1_3repE0EEENS1_30default_config_static_selectorELNS0_4arch9wavefront6targetE1EEEvT1_,@function
_ZN7rocprim17ROCPRIM_400000_NS6detail17trampoline_kernelINS0_14default_configENS1_29reduce_by_key_config_selectorIsjN6thrust23THRUST_200600_302600_NS4plusIjEEEEZZNS1_33reduce_by_key_impl_wrapped_configILNS1_25lookback_scan_determinismE0ES3_S9_NS6_6detail15normal_iteratorINS6_10device_ptrIsEEEENSD_INSE_IjEEEESG_SI_PmS8_NS6_8equal_toIsEEEE10hipError_tPvRmT2_T3_mT4_T5_T6_T7_T8_P12ihipStream_tbENKUlT_T0_E_clISt17integral_constantIbLb1EES13_EEDaSY_SZ_EUlSY_E_NS1_11comp_targetILNS1_3genE10ELNS1_11target_archE1201ELNS1_3gpuE5ELNS1_3repE0EEENS1_30default_config_static_selectorELNS0_4arch9wavefront6targetE1EEEvT1_: ; @_ZN7rocprim17ROCPRIM_400000_NS6detail17trampoline_kernelINS0_14default_configENS1_29reduce_by_key_config_selectorIsjN6thrust23THRUST_200600_302600_NS4plusIjEEEEZZNS1_33reduce_by_key_impl_wrapped_configILNS1_25lookback_scan_determinismE0ES3_S9_NS6_6detail15normal_iteratorINS6_10device_ptrIsEEEENSD_INSE_IjEEEESG_SI_PmS8_NS6_8equal_toIsEEEE10hipError_tPvRmT2_T3_mT4_T5_T6_T7_T8_P12ihipStream_tbENKUlT_T0_E_clISt17integral_constantIbLb1EES13_EEDaSY_SZ_EUlSY_E_NS1_11comp_targetILNS1_3genE10ELNS1_11target_archE1201ELNS1_3gpuE5ELNS1_3repE0EEENS1_30default_config_static_selectorELNS0_4arch9wavefront6targetE1EEEvT1_
; %bb.0:
	.section	.rodata,"a",@progbits
	.p2align	6, 0x0
	.amdhsa_kernel _ZN7rocprim17ROCPRIM_400000_NS6detail17trampoline_kernelINS0_14default_configENS1_29reduce_by_key_config_selectorIsjN6thrust23THRUST_200600_302600_NS4plusIjEEEEZZNS1_33reduce_by_key_impl_wrapped_configILNS1_25lookback_scan_determinismE0ES3_S9_NS6_6detail15normal_iteratorINS6_10device_ptrIsEEEENSD_INSE_IjEEEESG_SI_PmS8_NS6_8equal_toIsEEEE10hipError_tPvRmT2_T3_mT4_T5_T6_T7_T8_P12ihipStream_tbENKUlT_T0_E_clISt17integral_constantIbLb1EES13_EEDaSY_SZ_EUlSY_E_NS1_11comp_targetILNS1_3genE10ELNS1_11target_archE1201ELNS1_3gpuE5ELNS1_3repE0EEENS1_30default_config_static_selectorELNS0_4arch9wavefront6targetE1EEEvT1_
		.amdhsa_group_segment_fixed_size 0
		.amdhsa_private_segment_fixed_size 0
		.amdhsa_kernarg_size 120
		.amdhsa_user_sgpr_count 6
		.amdhsa_user_sgpr_private_segment_buffer 1
		.amdhsa_user_sgpr_dispatch_ptr 0
		.amdhsa_user_sgpr_queue_ptr 0
		.amdhsa_user_sgpr_kernarg_segment_ptr 1
		.amdhsa_user_sgpr_dispatch_id 0
		.amdhsa_user_sgpr_flat_scratch_init 0
		.amdhsa_user_sgpr_kernarg_preload_length 0
		.amdhsa_user_sgpr_kernarg_preload_offset 0
		.amdhsa_user_sgpr_private_segment_size 0
		.amdhsa_uses_dynamic_stack 0
		.amdhsa_system_sgpr_private_segment_wavefront_offset 0
		.amdhsa_system_sgpr_workgroup_id_x 1
		.amdhsa_system_sgpr_workgroup_id_y 0
		.amdhsa_system_sgpr_workgroup_id_z 0
		.amdhsa_system_sgpr_workgroup_info 0
		.amdhsa_system_vgpr_workitem_id 0
		.amdhsa_next_free_vgpr 1
		.amdhsa_next_free_sgpr 0
		.amdhsa_accum_offset 4
		.amdhsa_reserve_vcc 0
		.amdhsa_reserve_flat_scratch 0
		.amdhsa_float_round_mode_32 0
		.amdhsa_float_round_mode_16_64 0
		.amdhsa_float_denorm_mode_32 3
		.amdhsa_float_denorm_mode_16_64 3
		.amdhsa_dx10_clamp 1
		.amdhsa_ieee_mode 1
		.amdhsa_fp16_overflow 0
		.amdhsa_tg_split 0
		.amdhsa_exception_fp_ieee_invalid_op 0
		.amdhsa_exception_fp_denorm_src 0
		.amdhsa_exception_fp_ieee_div_zero 0
		.amdhsa_exception_fp_ieee_overflow 0
		.amdhsa_exception_fp_ieee_underflow 0
		.amdhsa_exception_fp_ieee_inexact 0
		.amdhsa_exception_int_div_zero 0
	.end_amdhsa_kernel
	.section	.text._ZN7rocprim17ROCPRIM_400000_NS6detail17trampoline_kernelINS0_14default_configENS1_29reduce_by_key_config_selectorIsjN6thrust23THRUST_200600_302600_NS4plusIjEEEEZZNS1_33reduce_by_key_impl_wrapped_configILNS1_25lookback_scan_determinismE0ES3_S9_NS6_6detail15normal_iteratorINS6_10device_ptrIsEEEENSD_INSE_IjEEEESG_SI_PmS8_NS6_8equal_toIsEEEE10hipError_tPvRmT2_T3_mT4_T5_T6_T7_T8_P12ihipStream_tbENKUlT_T0_E_clISt17integral_constantIbLb1EES13_EEDaSY_SZ_EUlSY_E_NS1_11comp_targetILNS1_3genE10ELNS1_11target_archE1201ELNS1_3gpuE5ELNS1_3repE0EEENS1_30default_config_static_selectorELNS0_4arch9wavefront6targetE1EEEvT1_,"axG",@progbits,_ZN7rocprim17ROCPRIM_400000_NS6detail17trampoline_kernelINS0_14default_configENS1_29reduce_by_key_config_selectorIsjN6thrust23THRUST_200600_302600_NS4plusIjEEEEZZNS1_33reduce_by_key_impl_wrapped_configILNS1_25lookback_scan_determinismE0ES3_S9_NS6_6detail15normal_iteratorINS6_10device_ptrIsEEEENSD_INSE_IjEEEESG_SI_PmS8_NS6_8equal_toIsEEEE10hipError_tPvRmT2_T3_mT4_T5_T6_T7_T8_P12ihipStream_tbENKUlT_T0_E_clISt17integral_constantIbLb1EES13_EEDaSY_SZ_EUlSY_E_NS1_11comp_targetILNS1_3genE10ELNS1_11target_archE1201ELNS1_3gpuE5ELNS1_3repE0EEENS1_30default_config_static_selectorELNS0_4arch9wavefront6targetE1EEEvT1_,comdat
.Lfunc_end855:
	.size	_ZN7rocprim17ROCPRIM_400000_NS6detail17trampoline_kernelINS0_14default_configENS1_29reduce_by_key_config_selectorIsjN6thrust23THRUST_200600_302600_NS4plusIjEEEEZZNS1_33reduce_by_key_impl_wrapped_configILNS1_25lookback_scan_determinismE0ES3_S9_NS6_6detail15normal_iteratorINS6_10device_ptrIsEEEENSD_INSE_IjEEEESG_SI_PmS8_NS6_8equal_toIsEEEE10hipError_tPvRmT2_T3_mT4_T5_T6_T7_T8_P12ihipStream_tbENKUlT_T0_E_clISt17integral_constantIbLb1EES13_EEDaSY_SZ_EUlSY_E_NS1_11comp_targetILNS1_3genE10ELNS1_11target_archE1201ELNS1_3gpuE5ELNS1_3repE0EEENS1_30default_config_static_selectorELNS0_4arch9wavefront6targetE1EEEvT1_, .Lfunc_end855-_ZN7rocprim17ROCPRIM_400000_NS6detail17trampoline_kernelINS0_14default_configENS1_29reduce_by_key_config_selectorIsjN6thrust23THRUST_200600_302600_NS4plusIjEEEEZZNS1_33reduce_by_key_impl_wrapped_configILNS1_25lookback_scan_determinismE0ES3_S9_NS6_6detail15normal_iteratorINS6_10device_ptrIsEEEENSD_INSE_IjEEEESG_SI_PmS8_NS6_8equal_toIsEEEE10hipError_tPvRmT2_T3_mT4_T5_T6_T7_T8_P12ihipStream_tbENKUlT_T0_E_clISt17integral_constantIbLb1EES13_EEDaSY_SZ_EUlSY_E_NS1_11comp_targetILNS1_3genE10ELNS1_11target_archE1201ELNS1_3gpuE5ELNS1_3repE0EEENS1_30default_config_static_selectorELNS0_4arch9wavefront6targetE1EEEvT1_
                                        ; -- End function
	.section	.AMDGPU.csdata,"",@progbits
; Kernel info:
; codeLenInByte = 0
; NumSgprs: 4
; NumVgprs: 0
; NumAgprs: 0
; TotalNumVgprs: 0
; ScratchSize: 0
; MemoryBound: 0
; FloatMode: 240
; IeeeMode: 1
; LDSByteSize: 0 bytes/workgroup (compile time only)
; SGPRBlocks: 0
; VGPRBlocks: 0
; NumSGPRsForWavesPerEU: 4
; NumVGPRsForWavesPerEU: 1
; AccumOffset: 4
; Occupancy: 8
; WaveLimiterHint : 0
; COMPUTE_PGM_RSRC2:SCRATCH_EN: 0
; COMPUTE_PGM_RSRC2:USER_SGPR: 6
; COMPUTE_PGM_RSRC2:TRAP_HANDLER: 0
; COMPUTE_PGM_RSRC2:TGID_X_EN: 1
; COMPUTE_PGM_RSRC2:TGID_Y_EN: 0
; COMPUTE_PGM_RSRC2:TGID_Z_EN: 0
; COMPUTE_PGM_RSRC2:TIDIG_COMP_CNT: 0
; COMPUTE_PGM_RSRC3_GFX90A:ACCUM_OFFSET: 0
; COMPUTE_PGM_RSRC3_GFX90A:TG_SPLIT: 0
	.section	.text._ZN7rocprim17ROCPRIM_400000_NS6detail17trampoline_kernelINS0_14default_configENS1_29reduce_by_key_config_selectorIsjN6thrust23THRUST_200600_302600_NS4plusIjEEEEZZNS1_33reduce_by_key_impl_wrapped_configILNS1_25lookback_scan_determinismE0ES3_S9_NS6_6detail15normal_iteratorINS6_10device_ptrIsEEEENSD_INSE_IjEEEESG_SI_PmS8_NS6_8equal_toIsEEEE10hipError_tPvRmT2_T3_mT4_T5_T6_T7_T8_P12ihipStream_tbENKUlT_T0_E_clISt17integral_constantIbLb1EES13_EEDaSY_SZ_EUlSY_E_NS1_11comp_targetILNS1_3genE10ELNS1_11target_archE1200ELNS1_3gpuE4ELNS1_3repE0EEENS1_30default_config_static_selectorELNS0_4arch9wavefront6targetE1EEEvT1_,"axG",@progbits,_ZN7rocprim17ROCPRIM_400000_NS6detail17trampoline_kernelINS0_14default_configENS1_29reduce_by_key_config_selectorIsjN6thrust23THRUST_200600_302600_NS4plusIjEEEEZZNS1_33reduce_by_key_impl_wrapped_configILNS1_25lookback_scan_determinismE0ES3_S9_NS6_6detail15normal_iteratorINS6_10device_ptrIsEEEENSD_INSE_IjEEEESG_SI_PmS8_NS6_8equal_toIsEEEE10hipError_tPvRmT2_T3_mT4_T5_T6_T7_T8_P12ihipStream_tbENKUlT_T0_E_clISt17integral_constantIbLb1EES13_EEDaSY_SZ_EUlSY_E_NS1_11comp_targetILNS1_3genE10ELNS1_11target_archE1200ELNS1_3gpuE4ELNS1_3repE0EEENS1_30default_config_static_selectorELNS0_4arch9wavefront6targetE1EEEvT1_,comdat
	.protected	_ZN7rocprim17ROCPRIM_400000_NS6detail17trampoline_kernelINS0_14default_configENS1_29reduce_by_key_config_selectorIsjN6thrust23THRUST_200600_302600_NS4plusIjEEEEZZNS1_33reduce_by_key_impl_wrapped_configILNS1_25lookback_scan_determinismE0ES3_S9_NS6_6detail15normal_iteratorINS6_10device_ptrIsEEEENSD_INSE_IjEEEESG_SI_PmS8_NS6_8equal_toIsEEEE10hipError_tPvRmT2_T3_mT4_T5_T6_T7_T8_P12ihipStream_tbENKUlT_T0_E_clISt17integral_constantIbLb1EES13_EEDaSY_SZ_EUlSY_E_NS1_11comp_targetILNS1_3genE10ELNS1_11target_archE1200ELNS1_3gpuE4ELNS1_3repE0EEENS1_30default_config_static_selectorELNS0_4arch9wavefront6targetE1EEEvT1_ ; -- Begin function _ZN7rocprim17ROCPRIM_400000_NS6detail17trampoline_kernelINS0_14default_configENS1_29reduce_by_key_config_selectorIsjN6thrust23THRUST_200600_302600_NS4plusIjEEEEZZNS1_33reduce_by_key_impl_wrapped_configILNS1_25lookback_scan_determinismE0ES3_S9_NS6_6detail15normal_iteratorINS6_10device_ptrIsEEEENSD_INSE_IjEEEESG_SI_PmS8_NS6_8equal_toIsEEEE10hipError_tPvRmT2_T3_mT4_T5_T6_T7_T8_P12ihipStream_tbENKUlT_T0_E_clISt17integral_constantIbLb1EES13_EEDaSY_SZ_EUlSY_E_NS1_11comp_targetILNS1_3genE10ELNS1_11target_archE1200ELNS1_3gpuE4ELNS1_3repE0EEENS1_30default_config_static_selectorELNS0_4arch9wavefront6targetE1EEEvT1_
	.globl	_ZN7rocprim17ROCPRIM_400000_NS6detail17trampoline_kernelINS0_14default_configENS1_29reduce_by_key_config_selectorIsjN6thrust23THRUST_200600_302600_NS4plusIjEEEEZZNS1_33reduce_by_key_impl_wrapped_configILNS1_25lookback_scan_determinismE0ES3_S9_NS6_6detail15normal_iteratorINS6_10device_ptrIsEEEENSD_INSE_IjEEEESG_SI_PmS8_NS6_8equal_toIsEEEE10hipError_tPvRmT2_T3_mT4_T5_T6_T7_T8_P12ihipStream_tbENKUlT_T0_E_clISt17integral_constantIbLb1EES13_EEDaSY_SZ_EUlSY_E_NS1_11comp_targetILNS1_3genE10ELNS1_11target_archE1200ELNS1_3gpuE4ELNS1_3repE0EEENS1_30default_config_static_selectorELNS0_4arch9wavefront6targetE1EEEvT1_
	.p2align	8
	.type	_ZN7rocprim17ROCPRIM_400000_NS6detail17trampoline_kernelINS0_14default_configENS1_29reduce_by_key_config_selectorIsjN6thrust23THRUST_200600_302600_NS4plusIjEEEEZZNS1_33reduce_by_key_impl_wrapped_configILNS1_25lookback_scan_determinismE0ES3_S9_NS6_6detail15normal_iteratorINS6_10device_ptrIsEEEENSD_INSE_IjEEEESG_SI_PmS8_NS6_8equal_toIsEEEE10hipError_tPvRmT2_T3_mT4_T5_T6_T7_T8_P12ihipStream_tbENKUlT_T0_E_clISt17integral_constantIbLb1EES13_EEDaSY_SZ_EUlSY_E_NS1_11comp_targetILNS1_3genE10ELNS1_11target_archE1200ELNS1_3gpuE4ELNS1_3repE0EEENS1_30default_config_static_selectorELNS0_4arch9wavefront6targetE1EEEvT1_,@function
_ZN7rocprim17ROCPRIM_400000_NS6detail17trampoline_kernelINS0_14default_configENS1_29reduce_by_key_config_selectorIsjN6thrust23THRUST_200600_302600_NS4plusIjEEEEZZNS1_33reduce_by_key_impl_wrapped_configILNS1_25lookback_scan_determinismE0ES3_S9_NS6_6detail15normal_iteratorINS6_10device_ptrIsEEEENSD_INSE_IjEEEESG_SI_PmS8_NS6_8equal_toIsEEEE10hipError_tPvRmT2_T3_mT4_T5_T6_T7_T8_P12ihipStream_tbENKUlT_T0_E_clISt17integral_constantIbLb1EES13_EEDaSY_SZ_EUlSY_E_NS1_11comp_targetILNS1_3genE10ELNS1_11target_archE1200ELNS1_3gpuE4ELNS1_3repE0EEENS1_30default_config_static_selectorELNS0_4arch9wavefront6targetE1EEEvT1_: ; @_ZN7rocprim17ROCPRIM_400000_NS6detail17trampoline_kernelINS0_14default_configENS1_29reduce_by_key_config_selectorIsjN6thrust23THRUST_200600_302600_NS4plusIjEEEEZZNS1_33reduce_by_key_impl_wrapped_configILNS1_25lookback_scan_determinismE0ES3_S9_NS6_6detail15normal_iteratorINS6_10device_ptrIsEEEENSD_INSE_IjEEEESG_SI_PmS8_NS6_8equal_toIsEEEE10hipError_tPvRmT2_T3_mT4_T5_T6_T7_T8_P12ihipStream_tbENKUlT_T0_E_clISt17integral_constantIbLb1EES13_EEDaSY_SZ_EUlSY_E_NS1_11comp_targetILNS1_3genE10ELNS1_11target_archE1200ELNS1_3gpuE4ELNS1_3repE0EEENS1_30default_config_static_selectorELNS0_4arch9wavefront6targetE1EEEvT1_
; %bb.0:
	.section	.rodata,"a",@progbits
	.p2align	6, 0x0
	.amdhsa_kernel _ZN7rocprim17ROCPRIM_400000_NS6detail17trampoline_kernelINS0_14default_configENS1_29reduce_by_key_config_selectorIsjN6thrust23THRUST_200600_302600_NS4plusIjEEEEZZNS1_33reduce_by_key_impl_wrapped_configILNS1_25lookback_scan_determinismE0ES3_S9_NS6_6detail15normal_iteratorINS6_10device_ptrIsEEEENSD_INSE_IjEEEESG_SI_PmS8_NS6_8equal_toIsEEEE10hipError_tPvRmT2_T3_mT4_T5_T6_T7_T8_P12ihipStream_tbENKUlT_T0_E_clISt17integral_constantIbLb1EES13_EEDaSY_SZ_EUlSY_E_NS1_11comp_targetILNS1_3genE10ELNS1_11target_archE1200ELNS1_3gpuE4ELNS1_3repE0EEENS1_30default_config_static_selectorELNS0_4arch9wavefront6targetE1EEEvT1_
		.amdhsa_group_segment_fixed_size 0
		.amdhsa_private_segment_fixed_size 0
		.amdhsa_kernarg_size 120
		.amdhsa_user_sgpr_count 6
		.amdhsa_user_sgpr_private_segment_buffer 1
		.amdhsa_user_sgpr_dispatch_ptr 0
		.amdhsa_user_sgpr_queue_ptr 0
		.amdhsa_user_sgpr_kernarg_segment_ptr 1
		.amdhsa_user_sgpr_dispatch_id 0
		.amdhsa_user_sgpr_flat_scratch_init 0
		.amdhsa_user_sgpr_kernarg_preload_length 0
		.amdhsa_user_sgpr_kernarg_preload_offset 0
		.amdhsa_user_sgpr_private_segment_size 0
		.amdhsa_uses_dynamic_stack 0
		.amdhsa_system_sgpr_private_segment_wavefront_offset 0
		.amdhsa_system_sgpr_workgroup_id_x 1
		.amdhsa_system_sgpr_workgroup_id_y 0
		.amdhsa_system_sgpr_workgroup_id_z 0
		.amdhsa_system_sgpr_workgroup_info 0
		.amdhsa_system_vgpr_workitem_id 0
		.amdhsa_next_free_vgpr 1
		.amdhsa_next_free_sgpr 0
		.amdhsa_accum_offset 4
		.amdhsa_reserve_vcc 0
		.amdhsa_reserve_flat_scratch 0
		.amdhsa_float_round_mode_32 0
		.amdhsa_float_round_mode_16_64 0
		.amdhsa_float_denorm_mode_32 3
		.amdhsa_float_denorm_mode_16_64 3
		.amdhsa_dx10_clamp 1
		.amdhsa_ieee_mode 1
		.amdhsa_fp16_overflow 0
		.amdhsa_tg_split 0
		.amdhsa_exception_fp_ieee_invalid_op 0
		.amdhsa_exception_fp_denorm_src 0
		.amdhsa_exception_fp_ieee_div_zero 0
		.amdhsa_exception_fp_ieee_overflow 0
		.amdhsa_exception_fp_ieee_underflow 0
		.amdhsa_exception_fp_ieee_inexact 0
		.amdhsa_exception_int_div_zero 0
	.end_amdhsa_kernel
	.section	.text._ZN7rocprim17ROCPRIM_400000_NS6detail17trampoline_kernelINS0_14default_configENS1_29reduce_by_key_config_selectorIsjN6thrust23THRUST_200600_302600_NS4plusIjEEEEZZNS1_33reduce_by_key_impl_wrapped_configILNS1_25lookback_scan_determinismE0ES3_S9_NS6_6detail15normal_iteratorINS6_10device_ptrIsEEEENSD_INSE_IjEEEESG_SI_PmS8_NS6_8equal_toIsEEEE10hipError_tPvRmT2_T3_mT4_T5_T6_T7_T8_P12ihipStream_tbENKUlT_T0_E_clISt17integral_constantIbLb1EES13_EEDaSY_SZ_EUlSY_E_NS1_11comp_targetILNS1_3genE10ELNS1_11target_archE1200ELNS1_3gpuE4ELNS1_3repE0EEENS1_30default_config_static_selectorELNS0_4arch9wavefront6targetE1EEEvT1_,"axG",@progbits,_ZN7rocprim17ROCPRIM_400000_NS6detail17trampoline_kernelINS0_14default_configENS1_29reduce_by_key_config_selectorIsjN6thrust23THRUST_200600_302600_NS4plusIjEEEEZZNS1_33reduce_by_key_impl_wrapped_configILNS1_25lookback_scan_determinismE0ES3_S9_NS6_6detail15normal_iteratorINS6_10device_ptrIsEEEENSD_INSE_IjEEEESG_SI_PmS8_NS6_8equal_toIsEEEE10hipError_tPvRmT2_T3_mT4_T5_T6_T7_T8_P12ihipStream_tbENKUlT_T0_E_clISt17integral_constantIbLb1EES13_EEDaSY_SZ_EUlSY_E_NS1_11comp_targetILNS1_3genE10ELNS1_11target_archE1200ELNS1_3gpuE4ELNS1_3repE0EEENS1_30default_config_static_selectorELNS0_4arch9wavefront6targetE1EEEvT1_,comdat
.Lfunc_end856:
	.size	_ZN7rocprim17ROCPRIM_400000_NS6detail17trampoline_kernelINS0_14default_configENS1_29reduce_by_key_config_selectorIsjN6thrust23THRUST_200600_302600_NS4plusIjEEEEZZNS1_33reduce_by_key_impl_wrapped_configILNS1_25lookback_scan_determinismE0ES3_S9_NS6_6detail15normal_iteratorINS6_10device_ptrIsEEEENSD_INSE_IjEEEESG_SI_PmS8_NS6_8equal_toIsEEEE10hipError_tPvRmT2_T3_mT4_T5_T6_T7_T8_P12ihipStream_tbENKUlT_T0_E_clISt17integral_constantIbLb1EES13_EEDaSY_SZ_EUlSY_E_NS1_11comp_targetILNS1_3genE10ELNS1_11target_archE1200ELNS1_3gpuE4ELNS1_3repE0EEENS1_30default_config_static_selectorELNS0_4arch9wavefront6targetE1EEEvT1_, .Lfunc_end856-_ZN7rocprim17ROCPRIM_400000_NS6detail17trampoline_kernelINS0_14default_configENS1_29reduce_by_key_config_selectorIsjN6thrust23THRUST_200600_302600_NS4plusIjEEEEZZNS1_33reduce_by_key_impl_wrapped_configILNS1_25lookback_scan_determinismE0ES3_S9_NS6_6detail15normal_iteratorINS6_10device_ptrIsEEEENSD_INSE_IjEEEESG_SI_PmS8_NS6_8equal_toIsEEEE10hipError_tPvRmT2_T3_mT4_T5_T6_T7_T8_P12ihipStream_tbENKUlT_T0_E_clISt17integral_constantIbLb1EES13_EEDaSY_SZ_EUlSY_E_NS1_11comp_targetILNS1_3genE10ELNS1_11target_archE1200ELNS1_3gpuE4ELNS1_3repE0EEENS1_30default_config_static_selectorELNS0_4arch9wavefront6targetE1EEEvT1_
                                        ; -- End function
	.section	.AMDGPU.csdata,"",@progbits
; Kernel info:
; codeLenInByte = 0
; NumSgprs: 4
; NumVgprs: 0
; NumAgprs: 0
; TotalNumVgprs: 0
; ScratchSize: 0
; MemoryBound: 0
; FloatMode: 240
; IeeeMode: 1
; LDSByteSize: 0 bytes/workgroup (compile time only)
; SGPRBlocks: 0
; VGPRBlocks: 0
; NumSGPRsForWavesPerEU: 4
; NumVGPRsForWavesPerEU: 1
; AccumOffset: 4
; Occupancy: 8
; WaveLimiterHint : 0
; COMPUTE_PGM_RSRC2:SCRATCH_EN: 0
; COMPUTE_PGM_RSRC2:USER_SGPR: 6
; COMPUTE_PGM_RSRC2:TRAP_HANDLER: 0
; COMPUTE_PGM_RSRC2:TGID_X_EN: 1
; COMPUTE_PGM_RSRC2:TGID_Y_EN: 0
; COMPUTE_PGM_RSRC2:TGID_Z_EN: 0
; COMPUTE_PGM_RSRC2:TIDIG_COMP_CNT: 0
; COMPUTE_PGM_RSRC3_GFX90A:ACCUM_OFFSET: 0
; COMPUTE_PGM_RSRC3_GFX90A:TG_SPLIT: 0
	.section	.text._ZN7rocprim17ROCPRIM_400000_NS6detail17trampoline_kernelINS0_14default_configENS1_29reduce_by_key_config_selectorIsjN6thrust23THRUST_200600_302600_NS4plusIjEEEEZZNS1_33reduce_by_key_impl_wrapped_configILNS1_25lookback_scan_determinismE0ES3_S9_NS6_6detail15normal_iteratorINS6_10device_ptrIsEEEENSD_INSE_IjEEEESG_SI_PmS8_NS6_8equal_toIsEEEE10hipError_tPvRmT2_T3_mT4_T5_T6_T7_T8_P12ihipStream_tbENKUlT_T0_E_clISt17integral_constantIbLb1EES13_EEDaSY_SZ_EUlSY_E_NS1_11comp_targetILNS1_3genE9ELNS1_11target_archE1100ELNS1_3gpuE3ELNS1_3repE0EEENS1_30default_config_static_selectorELNS0_4arch9wavefront6targetE1EEEvT1_,"axG",@progbits,_ZN7rocprim17ROCPRIM_400000_NS6detail17trampoline_kernelINS0_14default_configENS1_29reduce_by_key_config_selectorIsjN6thrust23THRUST_200600_302600_NS4plusIjEEEEZZNS1_33reduce_by_key_impl_wrapped_configILNS1_25lookback_scan_determinismE0ES3_S9_NS6_6detail15normal_iteratorINS6_10device_ptrIsEEEENSD_INSE_IjEEEESG_SI_PmS8_NS6_8equal_toIsEEEE10hipError_tPvRmT2_T3_mT4_T5_T6_T7_T8_P12ihipStream_tbENKUlT_T0_E_clISt17integral_constantIbLb1EES13_EEDaSY_SZ_EUlSY_E_NS1_11comp_targetILNS1_3genE9ELNS1_11target_archE1100ELNS1_3gpuE3ELNS1_3repE0EEENS1_30default_config_static_selectorELNS0_4arch9wavefront6targetE1EEEvT1_,comdat
	.protected	_ZN7rocprim17ROCPRIM_400000_NS6detail17trampoline_kernelINS0_14default_configENS1_29reduce_by_key_config_selectorIsjN6thrust23THRUST_200600_302600_NS4plusIjEEEEZZNS1_33reduce_by_key_impl_wrapped_configILNS1_25lookback_scan_determinismE0ES3_S9_NS6_6detail15normal_iteratorINS6_10device_ptrIsEEEENSD_INSE_IjEEEESG_SI_PmS8_NS6_8equal_toIsEEEE10hipError_tPvRmT2_T3_mT4_T5_T6_T7_T8_P12ihipStream_tbENKUlT_T0_E_clISt17integral_constantIbLb1EES13_EEDaSY_SZ_EUlSY_E_NS1_11comp_targetILNS1_3genE9ELNS1_11target_archE1100ELNS1_3gpuE3ELNS1_3repE0EEENS1_30default_config_static_selectorELNS0_4arch9wavefront6targetE1EEEvT1_ ; -- Begin function _ZN7rocprim17ROCPRIM_400000_NS6detail17trampoline_kernelINS0_14default_configENS1_29reduce_by_key_config_selectorIsjN6thrust23THRUST_200600_302600_NS4plusIjEEEEZZNS1_33reduce_by_key_impl_wrapped_configILNS1_25lookback_scan_determinismE0ES3_S9_NS6_6detail15normal_iteratorINS6_10device_ptrIsEEEENSD_INSE_IjEEEESG_SI_PmS8_NS6_8equal_toIsEEEE10hipError_tPvRmT2_T3_mT4_T5_T6_T7_T8_P12ihipStream_tbENKUlT_T0_E_clISt17integral_constantIbLb1EES13_EEDaSY_SZ_EUlSY_E_NS1_11comp_targetILNS1_3genE9ELNS1_11target_archE1100ELNS1_3gpuE3ELNS1_3repE0EEENS1_30default_config_static_selectorELNS0_4arch9wavefront6targetE1EEEvT1_
	.globl	_ZN7rocprim17ROCPRIM_400000_NS6detail17trampoline_kernelINS0_14default_configENS1_29reduce_by_key_config_selectorIsjN6thrust23THRUST_200600_302600_NS4plusIjEEEEZZNS1_33reduce_by_key_impl_wrapped_configILNS1_25lookback_scan_determinismE0ES3_S9_NS6_6detail15normal_iteratorINS6_10device_ptrIsEEEENSD_INSE_IjEEEESG_SI_PmS8_NS6_8equal_toIsEEEE10hipError_tPvRmT2_T3_mT4_T5_T6_T7_T8_P12ihipStream_tbENKUlT_T0_E_clISt17integral_constantIbLb1EES13_EEDaSY_SZ_EUlSY_E_NS1_11comp_targetILNS1_3genE9ELNS1_11target_archE1100ELNS1_3gpuE3ELNS1_3repE0EEENS1_30default_config_static_selectorELNS0_4arch9wavefront6targetE1EEEvT1_
	.p2align	8
	.type	_ZN7rocprim17ROCPRIM_400000_NS6detail17trampoline_kernelINS0_14default_configENS1_29reduce_by_key_config_selectorIsjN6thrust23THRUST_200600_302600_NS4plusIjEEEEZZNS1_33reduce_by_key_impl_wrapped_configILNS1_25lookback_scan_determinismE0ES3_S9_NS6_6detail15normal_iteratorINS6_10device_ptrIsEEEENSD_INSE_IjEEEESG_SI_PmS8_NS6_8equal_toIsEEEE10hipError_tPvRmT2_T3_mT4_T5_T6_T7_T8_P12ihipStream_tbENKUlT_T0_E_clISt17integral_constantIbLb1EES13_EEDaSY_SZ_EUlSY_E_NS1_11comp_targetILNS1_3genE9ELNS1_11target_archE1100ELNS1_3gpuE3ELNS1_3repE0EEENS1_30default_config_static_selectorELNS0_4arch9wavefront6targetE1EEEvT1_,@function
_ZN7rocprim17ROCPRIM_400000_NS6detail17trampoline_kernelINS0_14default_configENS1_29reduce_by_key_config_selectorIsjN6thrust23THRUST_200600_302600_NS4plusIjEEEEZZNS1_33reduce_by_key_impl_wrapped_configILNS1_25lookback_scan_determinismE0ES3_S9_NS6_6detail15normal_iteratorINS6_10device_ptrIsEEEENSD_INSE_IjEEEESG_SI_PmS8_NS6_8equal_toIsEEEE10hipError_tPvRmT2_T3_mT4_T5_T6_T7_T8_P12ihipStream_tbENKUlT_T0_E_clISt17integral_constantIbLb1EES13_EEDaSY_SZ_EUlSY_E_NS1_11comp_targetILNS1_3genE9ELNS1_11target_archE1100ELNS1_3gpuE3ELNS1_3repE0EEENS1_30default_config_static_selectorELNS0_4arch9wavefront6targetE1EEEvT1_: ; @_ZN7rocprim17ROCPRIM_400000_NS6detail17trampoline_kernelINS0_14default_configENS1_29reduce_by_key_config_selectorIsjN6thrust23THRUST_200600_302600_NS4plusIjEEEEZZNS1_33reduce_by_key_impl_wrapped_configILNS1_25lookback_scan_determinismE0ES3_S9_NS6_6detail15normal_iteratorINS6_10device_ptrIsEEEENSD_INSE_IjEEEESG_SI_PmS8_NS6_8equal_toIsEEEE10hipError_tPvRmT2_T3_mT4_T5_T6_T7_T8_P12ihipStream_tbENKUlT_T0_E_clISt17integral_constantIbLb1EES13_EEDaSY_SZ_EUlSY_E_NS1_11comp_targetILNS1_3genE9ELNS1_11target_archE1100ELNS1_3gpuE3ELNS1_3repE0EEENS1_30default_config_static_selectorELNS0_4arch9wavefront6targetE1EEEvT1_
; %bb.0:
	.section	.rodata,"a",@progbits
	.p2align	6, 0x0
	.amdhsa_kernel _ZN7rocprim17ROCPRIM_400000_NS6detail17trampoline_kernelINS0_14default_configENS1_29reduce_by_key_config_selectorIsjN6thrust23THRUST_200600_302600_NS4plusIjEEEEZZNS1_33reduce_by_key_impl_wrapped_configILNS1_25lookback_scan_determinismE0ES3_S9_NS6_6detail15normal_iteratorINS6_10device_ptrIsEEEENSD_INSE_IjEEEESG_SI_PmS8_NS6_8equal_toIsEEEE10hipError_tPvRmT2_T3_mT4_T5_T6_T7_T8_P12ihipStream_tbENKUlT_T0_E_clISt17integral_constantIbLb1EES13_EEDaSY_SZ_EUlSY_E_NS1_11comp_targetILNS1_3genE9ELNS1_11target_archE1100ELNS1_3gpuE3ELNS1_3repE0EEENS1_30default_config_static_selectorELNS0_4arch9wavefront6targetE1EEEvT1_
		.amdhsa_group_segment_fixed_size 0
		.amdhsa_private_segment_fixed_size 0
		.amdhsa_kernarg_size 120
		.amdhsa_user_sgpr_count 6
		.amdhsa_user_sgpr_private_segment_buffer 1
		.amdhsa_user_sgpr_dispatch_ptr 0
		.amdhsa_user_sgpr_queue_ptr 0
		.amdhsa_user_sgpr_kernarg_segment_ptr 1
		.amdhsa_user_sgpr_dispatch_id 0
		.amdhsa_user_sgpr_flat_scratch_init 0
		.amdhsa_user_sgpr_kernarg_preload_length 0
		.amdhsa_user_sgpr_kernarg_preload_offset 0
		.amdhsa_user_sgpr_private_segment_size 0
		.amdhsa_uses_dynamic_stack 0
		.amdhsa_system_sgpr_private_segment_wavefront_offset 0
		.amdhsa_system_sgpr_workgroup_id_x 1
		.amdhsa_system_sgpr_workgroup_id_y 0
		.amdhsa_system_sgpr_workgroup_id_z 0
		.amdhsa_system_sgpr_workgroup_info 0
		.amdhsa_system_vgpr_workitem_id 0
		.amdhsa_next_free_vgpr 1
		.amdhsa_next_free_sgpr 0
		.amdhsa_accum_offset 4
		.amdhsa_reserve_vcc 0
		.amdhsa_reserve_flat_scratch 0
		.amdhsa_float_round_mode_32 0
		.amdhsa_float_round_mode_16_64 0
		.amdhsa_float_denorm_mode_32 3
		.amdhsa_float_denorm_mode_16_64 3
		.amdhsa_dx10_clamp 1
		.amdhsa_ieee_mode 1
		.amdhsa_fp16_overflow 0
		.amdhsa_tg_split 0
		.amdhsa_exception_fp_ieee_invalid_op 0
		.amdhsa_exception_fp_denorm_src 0
		.amdhsa_exception_fp_ieee_div_zero 0
		.amdhsa_exception_fp_ieee_overflow 0
		.amdhsa_exception_fp_ieee_underflow 0
		.amdhsa_exception_fp_ieee_inexact 0
		.amdhsa_exception_int_div_zero 0
	.end_amdhsa_kernel
	.section	.text._ZN7rocprim17ROCPRIM_400000_NS6detail17trampoline_kernelINS0_14default_configENS1_29reduce_by_key_config_selectorIsjN6thrust23THRUST_200600_302600_NS4plusIjEEEEZZNS1_33reduce_by_key_impl_wrapped_configILNS1_25lookback_scan_determinismE0ES3_S9_NS6_6detail15normal_iteratorINS6_10device_ptrIsEEEENSD_INSE_IjEEEESG_SI_PmS8_NS6_8equal_toIsEEEE10hipError_tPvRmT2_T3_mT4_T5_T6_T7_T8_P12ihipStream_tbENKUlT_T0_E_clISt17integral_constantIbLb1EES13_EEDaSY_SZ_EUlSY_E_NS1_11comp_targetILNS1_3genE9ELNS1_11target_archE1100ELNS1_3gpuE3ELNS1_3repE0EEENS1_30default_config_static_selectorELNS0_4arch9wavefront6targetE1EEEvT1_,"axG",@progbits,_ZN7rocprim17ROCPRIM_400000_NS6detail17trampoline_kernelINS0_14default_configENS1_29reduce_by_key_config_selectorIsjN6thrust23THRUST_200600_302600_NS4plusIjEEEEZZNS1_33reduce_by_key_impl_wrapped_configILNS1_25lookback_scan_determinismE0ES3_S9_NS6_6detail15normal_iteratorINS6_10device_ptrIsEEEENSD_INSE_IjEEEESG_SI_PmS8_NS6_8equal_toIsEEEE10hipError_tPvRmT2_T3_mT4_T5_T6_T7_T8_P12ihipStream_tbENKUlT_T0_E_clISt17integral_constantIbLb1EES13_EEDaSY_SZ_EUlSY_E_NS1_11comp_targetILNS1_3genE9ELNS1_11target_archE1100ELNS1_3gpuE3ELNS1_3repE0EEENS1_30default_config_static_selectorELNS0_4arch9wavefront6targetE1EEEvT1_,comdat
.Lfunc_end857:
	.size	_ZN7rocprim17ROCPRIM_400000_NS6detail17trampoline_kernelINS0_14default_configENS1_29reduce_by_key_config_selectorIsjN6thrust23THRUST_200600_302600_NS4plusIjEEEEZZNS1_33reduce_by_key_impl_wrapped_configILNS1_25lookback_scan_determinismE0ES3_S9_NS6_6detail15normal_iteratorINS6_10device_ptrIsEEEENSD_INSE_IjEEEESG_SI_PmS8_NS6_8equal_toIsEEEE10hipError_tPvRmT2_T3_mT4_T5_T6_T7_T8_P12ihipStream_tbENKUlT_T0_E_clISt17integral_constantIbLb1EES13_EEDaSY_SZ_EUlSY_E_NS1_11comp_targetILNS1_3genE9ELNS1_11target_archE1100ELNS1_3gpuE3ELNS1_3repE0EEENS1_30default_config_static_selectorELNS0_4arch9wavefront6targetE1EEEvT1_, .Lfunc_end857-_ZN7rocprim17ROCPRIM_400000_NS6detail17trampoline_kernelINS0_14default_configENS1_29reduce_by_key_config_selectorIsjN6thrust23THRUST_200600_302600_NS4plusIjEEEEZZNS1_33reduce_by_key_impl_wrapped_configILNS1_25lookback_scan_determinismE0ES3_S9_NS6_6detail15normal_iteratorINS6_10device_ptrIsEEEENSD_INSE_IjEEEESG_SI_PmS8_NS6_8equal_toIsEEEE10hipError_tPvRmT2_T3_mT4_T5_T6_T7_T8_P12ihipStream_tbENKUlT_T0_E_clISt17integral_constantIbLb1EES13_EEDaSY_SZ_EUlSY_E_NS1_11comp_targetILNS1_3genE9ELNS1_11target_archE1100ELNS1_3gpuE3ELNS1_3repE0EEENS1_30default_config_static_selectorELNS0_4arch9wavefront6targetE1EEEvT1_
                                        ; -- End function
	.section	.AMDGPU.csdata,"",@progbits
; Kernel info:
; codeLenInByte = 0
; NumSgprs: 4
; NumVgprs: 0
; NumAgprs: 0
; TotalNumVgprs: 0
; ScratchSize: 0
; MemoryBound: 0
; FloatMode: 240
; IeeeMode: 1
; LDSByteSize: 0 bytes/workgroup (compile time only)
; SGPRBlocks: 0
; VGPRBlocks: 0
; NumSGPRsForWavesPerEU: 4
; NumVGPRsForWavesPerEU: 1
; AccumOffset: 4
; Occupancy: 8
; WaveLimiterHint : 0
; COMPUTE_PGM_RSRC2:SCRATCH_EN: 0
; COMPUTE_PGM_RSRC2:USER_SGPR: 6
; COMPUTE_PGM_RSRC2:TRAP_HANDLER: 0
; COMPUTE_PGM_RSRC2:TGID_X_EN: 1
; COMPUTE_PGM_RSRC2:TGID_Y_EN: 0
; COMPUTE_PGM_RSRC2:TGID_Z_EN: 0
; COMPUTE_PGM_RSRC2:TIDIG_COMP_CNT: 0
; COMPUTE_PGM_RSRC3_GFX90A:ACCUM_OFFSET: 0
; COMPUTE_PGM_RSRC3_GFX90A:TG_SPLIT: 0
	.section	.text._ZN7rocprim17ROCPRIM_400000_NS6detail17trampoline_kernelINS0_14default_configENS1_29reduce_by_key_config_selectorIsjN6thrust23THRUST_200600_302600_NS4plusIjEEEEZZNS1_33reduce_by_key_impl_wrapped_configILNS1_25lookback_scan_determinismE0ES3_S9_NS6_6detail15normal_iteratorINS6_10device_ptrIsEEEENSD_INSE_IjEEEESG_SI_PmS8_NS6_8equal_toIsEEEE10hipError_tPvRmT2_T3_mT4_T5_T6_T7_T8_P12ihipStream_tbENKUlT_T0_E_clISt17integral_constantIbLb1EES13_EEDaSY_SZ_EUlSY_E_NS1_11comp_targetILNS1_3genE8ELNS1_11target_archE1030ELNS1_3gpuE2ELNS1_3repE0EEENS1_30default_config_static_selectorELNS0_4arch9wavefront6targetE1EEEvT1_,"axG",@progbits,_ZN7rocprim17ROCPRIM_400000_NS6detail17trampoline_kernelINS0_14default_configENS1_29reduce_by_key_config_selectorIsjN6thrust23THRUST_200600_302600_NS4plusIjEEEEZZNS1_33reduce_by_key_impl_wrapped_configILNS1_25lookback_scan_determinismE0ES3_S9_NS6_6detail15normal_iteratorINS6_10device_ptrIsEEEENSD_INSE_IjEEEESG_SI_PmS8_NS6_8equal_toIsEEEE10hipError_tPvRmT2_T3_mT4_T5_T6_T7_T8_P12ihipStream_tbENKUlT_T0_E_clISt17integral_constantIbLb1EES13_EEDaSY_SZ_EUlSY_E_NS1_11comp_targetILNS1_3genE8ELNS1_11target_archE1030ELNS1_3gpuE2ELNS1_3repE0EEENS1_30default_config_static_selectorELNS0_4arch9wavefront6targetE1EEEvT1_,comdat
	.protected	_ZN7rocprim17ROCPRIM_400000_NS6detail17trampoline_kernelINS0_14default_configENS1_29reduce_by_key_config_selectorIsjN6thrust23THRUST_200600_302600_NS4plusIjEEEEZZNS1_33reduce_by_key_impl_wrapped_configILNS1_25lookback_scan_determinismE0ES3_S9_NS6_6detail15normal_iteratorINS6_10device_ptrIsEEEENSD_INSE_IjEEEESG_SI_PmS8_NS6_8equal_toIsEEEE10hipError_tPvRmT2_T3_mT4_T5_T6_T7_T8_P12ihipStream_tbENKUlT_T0_E_clISt17integral_constantIbLb1EES13_EEDaSY_SZ_EUlSY_E_NS1_11comp_targetILNS1_3genE8ELNS1_11target_archE1030ELNS1_3gpuE2ELNS1_3repE0EEENS1_30default_config_static_selectorELNS0_4arch9wavefront6targetE1EEEvT1_ ; -- Begin function _ZN7rocprim17ROCPRIM_400000_NS6detail17trampoline_kernelINS0_14default_configENS1_29reduce_by_key_config_selectorIsjN6thrust23THRUST_200600_302600_NS4plusIjEEEEZZNS1_33reduce_by_key_impl_wrapped_configILNS1_25lookback_scan_determinismE0ES3_S9_NS6_6detail15normal_iteratorINS6_10device_ptrIsEEEENSD_INSE_IjEEEESG_SI_PmS8_NS6_8equal_toIsEEEE10hipError_tPvRmT2_T3_mT4_T5_T6_T7_T8_P12ihipStream_tbENKUlT_T0_E_clISt17integral_constantIbLb1EES13_EEDaSY_SZ_EUlSY_E_NS1_11comp_targetILNS1_3genE8ELNS1_11target_archE1030ELNS1_3gpuE2ELNS1_3repE0EEENS1_30default_config_static_selectorELNS0_4arch9wavefront6targetE1EEEvT1_
	.globl	_ZN7rocprim17ROCPRIM_400000_NS6detail17trampoline_kernelINS0_14default_configENS1_29reduce_by_key_config_selectorIsjN6thrust23THRUST_200600_302600_NS4plusIjEEEEZZNS1_33reduce_by_key_impl_wrapped_configILNS1_25lookback_scan_determinismE0ES3_S9_NS6_6detail15normal_iteratorINS6_10device_ptrIsEEEENSD_INSE_IjEEEESG_SI_PmS8_NS6_8equal_toIsEEEE10hipError_tPvRmT2_T3_mT4_T5_T6_T7_T8_P12ihipStream_tbENKUlT_T0_E_clISt17integral_constantIbLb1EES13_EEDaSY_SZ_EUlSY_E_NS1_11comp_targetILNS1_3genE8ELNS1_11target_archE1030ELNS1_3gpuE2ELNS1_3repE0EEENS1_30default_config_static_selectorELNS0_4arch9wavefront6targetE1EEEvT1_
	.p2align	8
	.type	_ZN7rocprim17ROCPRIM_400000_NS6detail17trampoline_kernelINS0_14default_configENS1_29reduce_by_key_config_selectorIsjN6thrust23THRUST_200600_302600_NS4plusIjEEEEZZNS1_33reduce_by_key_impl_wrapped_configILNS1_25lookback_scan_determinismE0ES3_S9_NS6_6detail15normal_iteratorINS6_10device_ptrIsEEEENSD_INSE_IjEEEESG_SI_PmS8_NS6_8equal_toIsEEEE10hipError_tPvRmT2_T3_mT4_T5_T6_T7_T8_P12ihipStream_tbENKUlT_T0_E_clISt17integral_constantIbLb1EES13_EEDaSY_SZ_EUlSY_E_NS1_11comp_targetILNS1_3genE8ELNS1_11target_archE1030ELNS1_3gpuE2ELNS1_3repE0EEENS1_30default_config_static_selectorELNS0_4arch9wavefront6targetE1EEEvT1_,@function
_ZN7rocprim17ROCPRIM_400000_NS6detail17trampoline_kernelINS0_14default_configENS1_29reduce_by_key_config_selectorIsjN6thrust23THRUST_200600_302600_NS4plusIjEEEEZZNS1_33reduce_by_key_impl_wrapped_configILNS1_25lookback_scan_determinismE0ES3_S9_NS6_6detail15normal_iteratorINS6_10device_ptrIsEEEENSD_INSE_IjEEEESG_SI_PmS8_NS6_8equal_toIsEEEE10hipError_tPvRmT2_T3_mT4_T5_T6_T7_T8_P12ihipStream_tbENKUlT_T0_E_clISt17integral_constantIbLb1EES13_EEDaSY_SZ_EUlSY_E_NS1_11comp_targetILNS1_3genE8ELNS1_11target_archE1030ELNS1_3gpuE2ELNS1_3repE0EEENS1_30default_config_static_selectorELNS0_4arch9wavefront6targetE1EEEvT1_: ; @_ZN7rocprim17ROCPRIM_400000_NS6detail17trampoline_kernelINS0_14default_configENS1_29reduce_by_key_config_selectorIsjN6thrust23THRUST_200600_302600_NS4plusIjEEEEZZNS1_33reduce_by_key_impl_wrapped_configILNS1_25lookback_scan_determinismE0ES3_S9_NS6_6detail15normal_iteratorINS6_10device_ptrIsEEEENSD_INSE_IjEEEESG_SI_PmS8_NS6_8equal_toIsEEEE10hipError_tPvRmT2_T3_mT4_T5_T6_T7_T8_P12ihipStream_tbENKUlT_T0_E_clISt17integral_constantIbLb1EES13_EEDaSY_SZ_EUlSY_E_NS1_11comp_targetILNS1_3genE8ELNS1_11target_archE1030ELNS1_3gpuE2ELNS1_3repE0EEENS1_30default_config_static_selectorELNS0_4arch9wavefront6targetE1EEEvT1_
; %bb.0:
	.section	.rodata,"a",@progbits
	.p2align	6, 0x0
	.amdhsa_kernel _ZN7rocprim17ROCPRIM_400000_NS6detail17trampoline_kernelINS0_14default_configENS1_29reduce_by_key_config_selectorIsjN6thrust23THRUST_200600_302600_NS4plusIjEEEEZZNS1_33reduce_by_key_impl_wrapped_configILNS1_25lookback_scan_determinismE0ES3_S9_NS6_6detail15normal_iteratorINS6_10device_ptrIsEEEENSD_INSE_IjEEEESG_SI_PmS8_NS6_8equal_toIsEEEE10hipError_tPvRmT2_T3_mT4_T5_T6_T7_T8_P12ihipStream_tbENKUlT_T0_E_clISt17integral_constantIbLb1EES13_EEDaSY_SZ_EUlSY_E_NS1_11comp_targetILNS1_3genE8ELNS1_11target_archE1030ELNS1_3gpuE2ELNS1_3repE0EEENS1_30default_config_static_selectorELNS0_4arch9wavefront6targetE1EEEvT1_
		.amdhsa_group_segment_fixed_size 0
		.amdhsa_private_segment_fixed_size 0
		.amdhsa_kernarg_size 120
		.amdhsa_user_sgpr_count 6
		.amdhsa_user_sgpr_private_segment_buffer 1
		.amdhsa_user_sgpr_dispatch_ptr 0
		.amdhsa_user_sgpr_queue_ptr 0
		.amdhsa_user_sgpr_kernarg_segment_ptr 1
		.amdhsa_user_sgpr_dispatch_id 0
		.amdhsa_user_sgpr_flat_scratch_init 0
		.amdhsa_user_sgpr_kernarg_preload_length 0
		.amdhsa_user_sgpr_kernarg_preload_offset 0
		.amdhsa_user_sgpr_private_segment_size 0
		.amdhsa_uses_dynamic_stack 0
		.amdhsa_system_sgpr_private_segment_wavefront_offset 0
		.amdhsa_system_sgpr_workgroup_id_x 1
		.amdhsa_system_sgpr_workgroup_id_y 0
		.amdhsa_system_sgpr_workgroup_id_z 0
		.amdhsa_system_sgpr_workgroup_info 0
		.amdhsa_system_vgpr_workitem_id 0
		.amdhsa_next_free_vgpr 1
		.amdhsa_next_free_sgpr 0
		.amdhsa_accum_offset 4
		.amdhsa_reserve_vcc 0
		.amdhsa_reserve_flat_scratch 0
		.amdhsa_float_round_mode_32 0
		.amdhsa_float_round_mode_16_64 0
		.amdhsa_float_denorm_mode_32 3
		.amdhsa_float_denorm_mode_16_64 3
		.amdhsa_dx10_clamp 1
		.amdhsa_ieee_mode 1
		.amdhsa_fp16_overflow 0
		.amdhsa_tg_split 0
		.amdhsa_exception_fp_ieee_invalid_op 0
		.amdhsa_exception_fp_denorm_src 0
		.amdhsa_exception_fp_ieee_div_zero 0
		.amdhsa_exception_fp_ieee_overflow 0
		.amdhsa_exception_fp_ieee_underflow 0
		.amdhsa_exception_fp_ieee_inexact 0
		.amdhsa_exception_int_div_zero 0
	.end_amdhsa_kernel
	.section	.text._ZN7rocprim17ROCPRIM_400000_NS6detail17trampoline_kernelINS0_14default_configENS1_29reduce_by_key_config_selectorIsjN6thrust23THRUST_200600_302600_NS4plusIjEEEEZZNS1_33reduce_by_key_impl_wrapped_configILNS1_25lookback_scan_determinismE0ES3_S9_NS6_6detail15normal_iteratorINS6_10device_ptrIsEEEENSD_INSE_IjEEEESG_SI_PmS8_NS6_8equal_toIsEEEE10hipError_tPvRmT2_T3_mT4_T5_T6_T7_T8_P12ihipStream_tbENKUlT_T0_E_clISt17integral_constantIbLb1EES13_EEDaSY_SZ_EUlSY_E_NS1_11comp_targetILNS1_3genE8ELNS1_11target_archE1030ELNS1_3gpuE2ELNS1_3repE0EEENS1_30default_config_static_selectorELNS0_4arch9wavefront6targetE1EEEvT1_,"axG",@progbits,_ZN7rocprim17ROCPRIM_400000_NS6detail17trampoline_kernelINS0_14default_configENS1_29reduce_by_key_config_selectorIsjN6thrust23THRUST_200600_302600_NS4plusIjEEEEZZNS1_33reduce_by_key_impl_wrapped_configILNS1_25lookback_scan_determinismE0ES3_S9_NS6_6detail15normal_iteratorINS6_10device_ptrIsEEEENSD_INSE_IjEEEESG_SI_PmS8_NS6_8equal_toIsEEEE10hipError_tPvRmT2_T3_mT4_T5_T6_T7_T8_P12ihipStream_tbENKUlT_T0_E_clISt17integral_constantIbLb1EES13_EEDaSY_SZ_EUlSY_E_NS1_11comp_targetILNS1_3genE8ELNS1_11target_archE1030ELNS1_3gpuE2ELNS1_3repE0EEENS1_30default_config_static_selectorELNS0_4arch9wavefront6targetE1EEEvT1_,comdat
.Lfunc_end858:
	.size	_ZN7rocprim17ROCPRIM_400000_NS6detail17trampoline_kernelINS0_14default_configENS1_29reduce_by_key_config_selectorIsjN6thrust23THRUST_200600_302600_NS4plusIjEEEEZZNS1_33reduce_by_key_impl_wrapped_configILNS1_25lookback_scan_determinismE0ES3_S9_NS6_6detail15normal_iteratorINS6_10device_ptrIsEEEENSD_INSE_IjEEEESG_SI_PmS8_NS6_8equal_toIsEEEE10hipError_tPvRmT2_T3_mT4_T5_T6_T7_T8_P12ihipStream_tbENKUlT_T0_E_clISt17integral_constantIbLb1EES13_EEDaSY_SZ_EUlSY_E_NS1_11comp_targetILNS1_3genE8ELNS1_11target_archE1030ELNS1_3gpuE2ELNS1_3repE0EEENS1_30default_config_static_selectorELNS0_4arch9wavefront6targetE1EEEvT1_, .Lfunc_end858-_ZN7rocprim17ROCPRIM_400000_NS6detail17trampoline_kernelINS0_14default_configENS1_29reduce_by_key_config_selectorIsjN6thrust23THRUST_200600_302600_NS4plusIjEEEEZZNS1_33reduce_by_key_impl_wrapped_configILNS1_25lookback_scan_determinismE0ES3_S9_NS6_6detail15normal_iteratorINS6_10device_ptrIsEEEENSD_INSE_IjEEEESG_SI_PmS8_NS6_8equal_toIsEEEE10hipError_tPvRmT2_T3_mT4_T5_T6_T7_T8_P12ihipStream_tbENKUlT_T0_E_clISt17integral_constantIbLb1EES13_EEDaSY_SZ_EUlSY_E_NS1_11comp_targetILNS1_3genE8ELNS1_11target_archE1030ELNS1_3gpuE2ELNS1_3repE0EEENS1_30default_config_static_selectorELNS0_4arch9wavefront6targetE1EEEvT1_
                                        ; -- End function
	.section	.AMDGPU.csdata,"",@progbits
; Kernel info:
; codeLenInByte = 0
; NumSgprs: 4
; NumVgprs: 0
; NumAgprs: 0
; TotalNumVgprs: 0
; ScratchSize: 0
; MemoryBound: 0
; FloatMode: 240
; IeeeMode: 1
; LDSByteSize: 0 bytes/workgroup (compile time only)
; SGPRBlocks: 0
; VGPRBlocks: 0
; NumSGPRsForWavesPerEU: 4
; NumVGPRsForWavesPerEU: 1
; AccumOffset: 4
; Occupancy: 8
; WaveLimiterHint : 0
; COMPUTE_PGM_RSRC2:SCRATCH_EN: 0
; COMPUTE_PGM_RSRC2:USER_SGPR: 6
; COMPUTE_PGM_RSRC2:TRAP_HANDLER: 0
; COMPUTE_PGM_RSRC2:TGID_X_EN: 1
; COMPUTE_PGM_RSRC2:TGID_Y_EN: 0
; COMPUTE_PGM_RSRC2:TGID_Z_EN: 0
; COMPUTE_PGM_RSRC2:TIDIG_COMP_CNT: 0
; COMPUTE_PGM_RSRC3_GFX90A:ACCUM_OFFSET: 0
; COMPUTE_PGM_RSRC3_GFX90A:TG_SPLIT: 0
	.section	.text._ZN7rocprim17ROCPRIM_400000_NS6detail17trampoline_kernelINS0_14default_configENS1_29reduce_by_key_config_selectorIsjN6thrust23THRUST_200600_302600_NS4plusIjEEEEZZNS1_33reduce_by_key_impl_wrapped_configILNS1_25lookback_scan_determinismE0ES3_S9_NS6_6detail15normal_iteratorINS6_10device_ptrIsEEEENSD_INSE_IjEEEESG_SI_PmS8_NS6_8equal_toIsEEEE10hipError_tPvRmT2_T3_mT4_T5_T6_T7_T8_P12ihipStream_tbENKUlT_T0_E_clISt17integral_constantIbLb1EES12_IbLb0EEEEDaSY_SZ_EUlSY_E_NS1_11comp_targetILNS1_3genE0ELNS1_11target_archE4294967295ELNS1_3gpuE0ELNS1_3repE0EEENS1_30default_config_static_selectorELNS0_4arch9wavefront6targetE1EEEvT1_,"axG",@progbits,_ZN7rocprim17ROCPRIM_400000_NS6detail17trampoline_kernelINS0_14default_configENS1_29reduce_by_key_config_selectorIsjN6thrust23THRUST_200600_302600_NS4plusIjEEEEZZNS1_33reduce_by_key_impl_wrapped_configILNS1_25lookback_scan_determinismE0ES3_S9_NS6_6detail15normal_iteratorINS6_10device_ptrIsEEEENSD_INSE_IjEEEESG_SI_PmS8_NS6_8equal_toIsEEEE10hipError_tPvRmT2_T3_mT4_T5_T6_T7_T8_P12ihipStream_tbENKUlT_T0_E_clISt17integral_constantIbLb1EES12_IbLb0EEEEDaSY_SZ_EUlSY_E_NS1_11comp_targetILNS1_3genE0ELNS1_11target_archE4294967295ELNS1_3gpuE0ELNS1_3repE0EEENS1_30default_config_static_selectorELNS0_4arch9wavefront6targetE1EEEvT1_,comdat
	.protected	_ZN7rocprim17ROCPRIM_400000_NS6detail17trampoline_kernelINS0_14default_configENS1_29reduce_by_key_config_selectorIsjN6thrust23THRUST_200600_302600_NS4plusIjEEEEZZNS1_33reduce_by_key_impl_wrapped_configILNS1_25lookback_scan_determinismE0ES3_S9_NS6_6detail15normal_iteratorINS6_10device_ptrIsEEEENSD_INSE_IjEEEESG_SI_PmS8_NS6_8equal_toIsEEEE10hipError_tPvRmT2_T3_mT4_T5_T6_T7_T8_P12ihipStream_tbENKUlT_T0_E_clISt17integral_constantIbLb1EES12_IbLb0EEEEDaSY_SZ_EUlSY_E_NS1_11comp_targetILNS1_3genE0ELNS1_11target_archE4294967295ELNS1_3gpuE0ELNS1_3repE0EEENS1_30default_config_static_selectorELNS0_4arch9wavefront6targetE1EEEvT1_ ; -- Begin function _ZN7rocprim17ROCPRIM_400000_NS6detail17trampoline_kernelINS0_14default_configENS1_29reduce_by_key_config_selectorIsjN6thrust23THRUST_200600_302600_NS4plusIjEEEEZZNS1_33reduce_by_key_impl_wrapped_configILNS1_25lookback_scan_determinismE0ES3_S9_NS6_6detail15normal_iteratorINS6_10device_ptrIsEEEENSD_INSE_IjEEEESG_SI_PmS8_NS6_8equal_toIsEEEE10hipError_tPvRmT2_T3_mT4_T5_T6_T7_T8_P12ihipStream_tbENKUlT_T0_E_clISt17integral_constantIbLb1EES12_IbLb0EEEEDaSY_SZ_EUlSY_E_NS1_11comp_targetILNS1_3genE0ELNS1_11target_archE4294967295ELNS1_3gpuE0ELNS1_3repE0EEENS1_30default_config_static_selectorELNS0_4arch9wavefront6targetE1EEEvT1_
	.globl	_ZN7rocprim17ROCPRIM_400000_NS6detail17trampoline_kernelINS0_14default_configENS1_29reduce_by_key_config_selectorIsjN6thrust23THRUST_200600_302600_NS4plusIjEEEEZZNS1_33reduce_by_key_impl_wrapped_configILNS1_25lookback_scan_determinismE0ES3_S9_NS6_6detail15normal_iteratorINS6_10device_ptrIsEEEENSD_INSE_IjEEEESG_SI_PmS8_NS6_8equal_toIsEEEE10hipError_tPvRmT2_T3_mT4_T5_T6_T7_T8_P12ihipStream_tbENKUlT_T0_E_clISt17integral_constantIbLb1EES12_IbLb0EEEEDaSY_SZ_EUlSY_E_NS1_11comp_targetILNS1_3genE0ELNS1_11target_archE4294967295ELNS1_3gpuE0ELNS1_3repE0EEENS1_30default_config_static_selectorELNS0_4arch9wavefront6targetE1EEEvT1_
	.p2align	8
	.type	_ZN7rocprim17ROCPRIM_400000_NS6detail17trampoline_kernelINS0_14default_configENS1_29reduce_by_key_config_selectorIsjN6thrust23THRUST_200600_302600_NS4plusIjEEEEZZNS1_33reduce_by_key_impl_wrapped_configILNS1_25lookback_scan_determinismE0ES3_S9_NS6_6detail15normal_iteratorINS6_10device_ptrIsEEEENSD_INSE_IjEEEESG_SI_PmS8_NS6_8equal_toIsEEEE10hipError_tPvRmT2_T3_mT4_T5_T6_T7_T8_P12ihipStream_tbENKUlT_T0_E_clISt17integral_constantIbLb1EES12_IbLb0EEEEDaSY_SZ_EUlSY_E_NS1_11comp_targetILNS1_3genE0ELNS1_11target_archE4294967295ELNS1_3gpuE0ELNS1_3repE0EEENS1_30default_config_static_selectorELNS0_4arch9wavefront6targetE1EEEvT1_,@function
_ZN7rocprim17ROCPRIM_400000_NS6detail17trampoline_kernelINS0_14default_configENS1_29reduce_by_key_config_selectorIsjN6thrust23THRUST_200600_302600_NS4plusIjEEEEZZNS1_33reduce_by_key_impl_wrapped_configILNS1_25lookback_scan_determinismE0ES3_S9_NS6_6detail15normal_iteratorINS6_10device_ptrIsEEEENSD_INSE_IjEEEESG_SI_PmS8_NS6_8equal_toIsEEEE10hipError_tPvRmT2_T3_mT4_T5_T6_T7_T8_P12ihipStream_tbENKUlT_T0_E_clISt17integral_constantIbLb1EES12_IbLb0EEEEDaSY_SZ_EUlSY_E_NS1_11comp_targetILNS1_3genE0ELNS1_11target_archE4294967295ELNS1_3gpuE0ELNS1_3repE0EEENS1_30default_config_static_selectorELNS0_4arch9wavefront6targetE1EEEvT1_: ; @_ZN7rocprim17ROCPRIM_400000_NS6detail17trampoline_kernelINS0_14default_configENS1_29reduce_by_key_config_selectorIsjN6thrust23THRUST_200600_302600_NS4plusIjEEEEZZNS1_33reduce_by_key_impl_wrapped_configILNS1_25lookback_scan_determinismE0ES3_S9_NS6_6detail15normal_iteratorINS6_10device_ptrIsEEEENSD_INSE_IjEEEESG_SI_PmS8_NS6_8equal_toIsEEEE10hipError_tPvRmT2_T3_mT4_T5_T6_T7_T8_P12ihipStream_tbENKUlT_T0_E_clISt17integral_constantIbLb1EES12_IbLb0EEEEDaSY_SZ_EUlSY_E_NS1_11comp_targetILNS1_3genE0ELNS1_11target_archE4294967295ELNS1_3gpuE0ELNS1_3repE0EEENS1_30default_config_static_selectorELNS0_4arch9wavefront6targetE1EEEvT1_
; %bb.0:
	.section	.rodata,"a",@progbits
	.p2align	6, 0x0
	.amdhsa_kernel _ZN7rocprim17ROCPRIM_400000_NS6detail17trampoline_kernelINS0_14default_configENS1_29reduce_by_key_config_selectorIsjN6thrust23THRUST_200600_302600_NS4plusIjEEEEZZNS1_33reduce_by_key_impl_wrapped_configILNS1_25lookback_scan_determinismE0ES3_S9_NS6_6detail15normal_iteratorINS6_10device_ptrIsEEEENSD_INSE_IjEEEESG_SI_PmS8_NS6_8equal_toIsEEEE10hipError_tPvRmT2_T3_mT4_T5_T6_T7_T8_P12ihipStream_tbENKUlT_T0_E_clISt17integral_constantIbLb1EES12_IbLb0EEEEDaSY_SZ_EUlSY_E_NS1_11comp_targetILNS1_3genE0ELNS1_11target_archE4294967295ELNS1_3gpuE0ELNS1_3repE0EEENS1_30default_config_static_selectorELNS0_4arch9wavefront6targetE1EEEvT1_
		.amdhsa_group_segment_fixed_size 0
		.amdhsa_private_segment_fixed_size 0
		.amdhsa_kernarg_size 120
		.amdhsa_user_sgpr_count 6
		.amdhsa_user_sgpr_private_segment_buffer 1
		.amdhsa_user_sgpr_dispatch_ptr 0
		.amdhsa_user_sgpr_queue_ptr 0
		.amdhsa_user_sgpr_kernarg_segment_ptr 1
		.amdhsa_user_sgpr_dispatch_id 0
		.amdhsa_user_sgpr_flat_scratch_init 0
		.amdhsa_user_sgpr_kernarg_preload_length 0
		.amdhsa_user_sgpr_kernarg_preload_offset 0
		.amdhsa_user_sgpr_private_segment_size 0
		.amdhsa_uses_dynamic_stack 0
		.amdhsa_system_sgpr_private_segment_wavefront_offset 0
		.amdhsa_system_sgpr_workgroup_id_x 1
		.amdhsa_system_sgpr_workgroup_id_y 0
		.amdhsa_system_sgpr_workgroup_id_z 0
		.amdhsa_system_sgpr_workgroup_info 0
		.amdhsa_system_vgpr_workitem_id 0
		.amdhsa_next_free_vgpr 1
		.amdhsa_next_free_sgpr 0
		.amdhsa_accum_offset 4
		.amdhsa_reserve_vcc 0
		.amdhsa_reserve_flat_scratch 0
		.amdhsa_float_round_mode_32 0
		.amdhsa_float_round_mode_16_64 0
		.amdhsa_float_denorm_mode_32 3
		.amdhsa_float_denorm_mode_16_64 3
		.amdhsa_dx10_clamp 1
		.amdhsa_ieee_mode 1
		.amdhsa_fp16_overflow 0
		.amdhsa_tg_split 0
		.amdhsa_exception_fp_ieee_invalid_op 0
		.amdhsa_exception_fp_denorm_src 0
		.amdhsa_exception_fp_ieee_div_zero 0
		.amdhsa_exception_fp_ieee_overflow 0
		.amdhsa_exception_fp_ieee_underflow 0
		.amdhsa_exception_fp_ieee_inexact 0
		.amdhsa_exception_int_div_zero 0
	.end_amdhsa_kernel
	.section	.text._ZN7rocprim17ROCPRIM_400000_NS6detail17trampoline_kernelINS0_14default_configENS1_29reduce_by_key_config_selectorIsjN6thrust23THRUST_200600_302600_NS4plusIjEEEEZZNS1_33reduce_by_key_impl_wrapped_configILNS1_25lookback_scan_determinismE0ES3_S9_NS6_6detail15normal_iteratorINS6_10device_ptrIsEEEENSD_INSE_IjEEEESG_SI_PmS8_NS6_8equal_toIsEEEE10hipError_tPvRmT2_T3_mT4_T5_T6_T7_T8_P12ihipStream_tbENKUlT_T0_E_clISt17integral_constantIbLb1EES12_IbLb0EEEEDaSY_SZ_EUlSY_E_NS1_11comp_targetILNS1_3genE0ELNS1_11target_archE4294967295ELNS1_3gpuE0ELNS1_3repE0EEENS1_30default_config_static_selectorELNS0_4arch9wavefront6targetE1EEEvT1_,"axG",@progbits,_ZN7rocprim17ROCPRIM_400000_NS6detail17trampoline_kernelINS0_14default_configENS1_29reduce_by_key_config_selectorIsjN6thrust23THRUST_200600_302600_NS4plusIjEEEEZZNS1_33reduce_by_key_impl_wrapped_configILNS1_25lookback_scan_determinismE0ES3_S9_NS6_6detail15normal_iteratorINS6_10device_ptrIsEEEENSD_INSE_IjEEEESG_SI_PmS8_NS6_8equal_toIsEEEE10hipError_tPvRmT2_T3_mT4_T5_T6_T7_T8_P12ihipStream_tbENKUlT_T0_E_clISt17integral_constantIbLb1EES12_IbLb0EEEEDaSY_SZ_EUlSY_E_NS1_11comp_targetILNS1_3genE0ELNS1_11target_archE4294967295ELNS1_3gpuE0ELNS1_3repE0EEENS1_30default_config_static_selectorELNS0_4arch9wavefront6targetE1EEEvT1_,comdat
.Lfunc_end859:
	.size	_ZN7rocprim17ROCPRIM_400000_NS6detail17trampoline_kernelINS0_14default_configENS1_29reduce_by_key_config_selectorIsjN6thrust23THRUST_200600_302600_NS4plusIjEEEEZZNS1_33reduce_by_key_impl_wrapped_configILNS1_25lookback_scan_determinismE0ES3_S9_NS6_6detail15normal_iteratorINS6_10device_ptrIsEEEENSD_INSE_IjEEEESG_SI_PmS8_NS6_8equal_toIsEEEE10hipError_tPvRmT2_T3_mT4_T5_T6_T7_T8_P12ihipStream_tbENKUlT_T0_E_clISt17integral_constantIbLb1EES12_IbLb0EEEEDaSY_SZ_EUlSY_E_NS1_11comp_targetILNS1_3genE0ELNS1_11target_archE4294967295ELNS1_3gpuE0ELNS1_3repE0EEENS1_30default_config_static_selectorELNS0_4arch9wavefront6targetE1EEEvT1_, .Lfunc_end859-_ZN7rocprim17ROCPRIM_400000_NS6detail17trampoline_kernelINS0_14default_configENS1_29reduce_by_key_config_selectorIsjN6thrust23THRUST_200600_302600_NS4plusIjEEEEZZNS1_33reduce_by_key_impl_wrapped_configILNS1_25lookback_scan_determinismE0ES3_S9_NS6_6detail15normal_iteratorINS6_10device_ptrIsEEEENSD_INSE_IjEEEESG_SI_PmS8_NS6_8equal_toIsEEEE10hipError_tPvRmT2_T3_mT4_T5_T6_T7_T8_P12ihipStream_tbENKUlT_T0_E_clISt17integral_constantIbLb1EES12_IbLb0EEEEDaSY_SZ_EUlSY_E_NS1_11comp_targetILNS1_3genE0ELNS1_11target_archE4294967295ELNS1_3gpuE0ELNS1_3repE0EEENS1_30default_config_static_selectorELNS0_4arch9wavefront6targetE1EEEvT1_
                                        ; -- End function
	.section	.AMDGPU.csdata,"",@progbits
; Kernel info:
; codeLenInByte = 0
; NumSgprs: 4
; NumVgprs: 0
; NumAgprs: 0
; TotalNumVgprs: 0
; ScratchSize: 0
; MemoryBound: 0
; FloatMode: 240
; IeeeMode: 1
; LDSByteSize: 0 bytes/workgroup (compile time only)
; SGPRBlocks: 0
; VGPRBlocks: 0
; NumSGPRsForWavesPerEU: 4
; NumVGPRsForWavesPerEU: 1
; AccumOffset: 4
; Occupancy: 8
; WaveLimiterHint : 0
; COMPUTE_PGM_RSRC2:SCRATCH_EN: 0
; COMPUTE_PGM_RSRC2:USER_SGPR: 6
; COMPUTE_PGM_RSRC2:TRAP_HANDLER: 0
; COMPUTE_PGM_RSRC2:TGID_X_EN: 1
; COMPUTE_PGM_RSRC2:TGID_Y_EN: 0
; COMPUTE_PGM_RSRC2:TGID_Z_EN: 0
; COMPUTE_PGM_RSRC2:TIDIG_COMP_CNT: 0
; COMPUTE_PGM_RSRC3_GFX90A:ACCUM_OFFSET: 0
; COMPUTE_PGM_RSRC3_GFX90A:TG_SPLIT: 0
	.section	.text._ZN7rocprim17ROCPRIM_400000_NS6detail17trampoline_kernelINS0_14default_configENS1_29reduce_by_key_config_selectorIsjN6thrust23THRUST_200600_302600_NS4plusIjEEEEZZNS1_33reduce_by_key_impl_wrapped_configILNS1_25lookback_scan_determinismE0ES3_S9_NS6_6detail15normal_iteratorINS6_10device_ptrIsEEEENSD_INSE_IjEEEESG_SI_PmS8_NS6_8equal_toIsEEEE10hipError_tPvRmT2_T3_mT4_T5_T6_T7_T8_P12ihipStream_tbENKUlT_T0_E_clISt17integral_constantIbLb1EES12_IbLb0EEEEDaSY_SZ_EUlSY_E_NS1_11comp_targetILNS1_3genE5ELNS1_11target_archE942ELNS1_3gpuE9ELNS1_3repE0EEENS1_30default_config_static_selectorELNS0_4arch9wavefront6targetE1EEEvT1_,"axG",@progbits,_ZN7rocprim17ROCPRIM_400000_NS6detail17trampoline_kernelINS0_14default_configENS1_29reduce_by_key_config_selectorIsjN6thrust23THRUST_200600_302600_NS4plusIjEEEEZZNS1_33reduce_by_key_impl_wrapped_configILNS1_25lookback_scan_determinismE0ES3_S9_NS6_6detail15normal_iteratorINS6_10device_ptrIsEEEENSD_INSE_IjEEEESG_SI_PmS8_NS6_8equal_toIsEEEE10hipError_tPvRmT2_T3_mT4_T5_T6_T7_T8_P12ihipStream_tbENKUlT_T0_E_clISt17integral_constantIbLb1EES12_IbLb0EEEEDaSY_SZ_EUlSY_E_NS1_11comp_targetILNS1_3genE5ELNS1_11target_archE942ELNS1_3gpuE9ELNS1_3repE0EEENS1_30default_config_static_selectorELNS0_4arch9wavefront6targetE1EEEvT1_,comdat
	.protected	_ZN7rocprim17ROCPRIM_400000_NS6detail17trampoline_kernelINS0_14default_configENS1_29reduce_by_key_config_selectorIsjN6thrust23THRUST_200600_302600_NS4plusIjEEEEZZNS1_33reduce_by_key_impl_wrapped_configILNS1_25lookback_scan_determinismE0ES3_S9_NS6_6detail15normal_iteratorINS6_10device_ptrIsEEEENSD_INSE_IjEEEESG_SI_PmS8_NS6_8equal_toIsEEEE10hipError_tPvRmT2_T3_mT4_T5_T6_T7_T8_P12ihipStream_tbENKUlT_T0_E_clISt17integral_constantIbLb1EES12_IbLb0EEEEDaSY_SZ_EUlSY_E_NS1_11comp_targetILNS1_3genE5ELNS1_11target_archE942ELNS1_3gpuE9ELNS1_3repE0EEENS1_30default_config_static_selectorELNS0_4arch9wavefront6targetE1EEEvT1_ ; -- Begin function _ZN7rocprim17ROCPRIM_400000_NS6detail17trampoline_kernelINS0_14default_configENS1_29reduce_by_key_config_selectorIsjN6thrust23THRUST_200600_302600_NS4plusIjEEEEZZNS1_33reduce_by_key_impl_wrapped_configILNS1_25lookback_scan_determinismE0ES3_S9_NS6_6detail15normal_iteratorINS6_10device_ptrIsEEEENSD_INSE_IjEEEESG_SI_PmS8_NS6_8equal_toIsEEEE10hipError_tPvRmT2_T3_mT4_T5_T6_T7_T8_P12ihipStream_tbENKUlT_T0_E_clISt17integral_constantIbLb1EES12_IbLb0EEEEDaSY_SZ_EUlSY_E_NS1_11comp_targetILNS1_3genE5ELNS1_11target_archE942ELNS1_3gpuE9ELNS1_3repE0EEENS1_30default_config_static_selectorELNS0_4arch9wavefront6targetE1EEEvT1_
	.globl	_ZN7rocprim17ROCPRIM_400000_NS6detail17trampoline_kernelINS0_14default_configENS1_29reduce_by_key_config_selectorIsjN6thrust23THRUST_200600_302600_NS4plusIjEEEEZZNS1_33reduce_by_key_impl_wrapped_configILNS1_25lookback_scan_determinismE0ES3_S9_NS6_6detail15normal_iteratorINS6_10device_ptrIsEEEENSD_INSE_IjEEEESG_SI_PmS8_NS6_8equal_toIsEEEE10hipError_tPvRmT2_T3_mT4_T5_T6_T7_T8_P12ihipStream_tbENKUlT_T0_E_clISt17integral_constantIbLb1EES12_IbLb0EEEEDaSY_SZ_EUlSY_E_NS1_11comp_targetILNS1_3genE5ELNS1_11target_archE942ELNS1_3gpuE9ELNS1_3repE0EEENS1_30default_config_static_selectorELNS0_4arch9wavefront6targetE1EEEvT1_
	.p2align	8
	.type	_ZN7rocprim17ROCPRIM_400000_NS6detail17trampoline_kernelINS0_14default_configENS1_29reduce_by_key_config_selectorIsjN6thrust23THRUST_200600_302600_NS4plusIjEEEEZZNS1_33reduce_by_key_impl_wrapped_configILNS1_25lookback_scan_determinismE0ES3_S9_NS6_6detail15normal_iteratorINS6_10device_ptrIsEEEENSD_INSE_IjEEEESG_SI_PmS8_NS6_8equal_toIsEEEE10hipError_tPvRmT2_T3_mT4_T5_T6_T7_T8_P12ihipStream_tbENKUlT_T0_E_clISt17integral_constantIbLb1EES12_IbLb0EEEEDaSY_SZ_EUlSY_E_NS1_11comp_targetILNS1_3genE5ELNS1_11target_archE942ELNS1_3gpuE9ELNS1_3repE0EEENS1_30default_config_static_selectorELNS0_4arch9wavefront6targetE1EEEvT1_,@function
_ZN7rocprim17ROCPRIM_400000_NS6detail17trampoline_kernelINS0_14default_configENS1_29reduce_by_key_config_selectorIsjN6thrust23THRUST_200600_302600_NS4plusIjEEEEZZNS1_33reduce_by_key_impl_wrapped_configILNS1_25lookback_scan_determinismE0ES3_S9_NS6_6detail15normal_iteratorINS6_10device_ptrIsEEEENSD_INSE_IjEEEESG_SI_PmS8_NS6_8equal_toIsEEEE10hipError_tPvRmT2_T3_mT4_T5_T6_T7_T8_P12ihipStream_tbENKUlT_T0_E_clISt17integral_constantIbLb1EES12_IbLb0EEEEDaSY_SZ_EUlSY_E_NS1_11comp_targetILNS1_3genE5ELNS1_11target_archE942ELNS1_3gpuE9ELNS1_3repE0EEENS1_30default_config_static_selectorELNS0_4arch9wavefront6targetE1EEEvT1_: ; @_ZN7rocprim17ROCPRIM_400000_NS6detail17trampoline_kernelINS0_14default_configENS1_29reduce_by_key_config_selectorIsjN6thrust23THRUST_200600_302600_NS4plusIjEEEEZZNS1_33reduce_by_key_impl_wrapped_configILNS1_25lookback_scan_determinismE0ES3_S9_NS6_6detail15normal_iteratorINS6_10device_ptrIsEEEENSD_INSE_IjEEEESG_SI_PmS8_NS6_8equal_toIsEEEE10hipError_tPvRmT2_T3_mT4_T5_T6_T7_T8_P12ihipStream_tbENKUlT_T0_E_clISt17integral_constantIbLb1EES12_IbLb0EEEEDaSY_SZ_EUlSY_E_NS1_11comp_targetILNS1_3genE5ELNS1_11target_archE942ELNS1_3gpuE9ELNS1_3repE0EEENS1_30default_config_static_selectorELNS0_4arch9wavefront6targetE1EEEvT1_
; %bb.0:
	.section	.rodata,"a",@progbits
	.p2align	6, 0x0
	.amdhsa_kernel _ZN7rocprim17ROCPRIM_400000_NS6detail17trampoline_kernelINS0_14default_configENS1_29reduce_by_key_config_selectorIsjN6thrust23THRUST_200600_302600_NS4plusIjEEEEZZNS1_33reduce_by_key_impl_wrapped_configILNS1_25lookback_scan_determinismE0ES3_S9_NS6_6detail15normal_iteratorINS6_10device_ptrIsEEEENSD_INSE_IjEEEESG_SI_PmS8_NS6_8equal_toIsEEEE10hipError_tPvRmT2_T3_mT4_T5_T6_T7_T8_P12ihipStream_tbENKUlT_T0_E_clISt17integral_constantIbLb1EES12_IbLb0EEEEDaSY_SZ_EUlSY_E_NS1_11comp_targetILNS1_3genE5ELNS1_11target_archE942ELNS1_3gpuE9ELNS1_3repE0EEENS1_30default_config_static_selectorELNS0_4arch9wavefront6targetE1EEEvT1_
		.amdhsa_group_segment_fixed_size 0
		.amdhsa_private_segment_fixed_size 0
		.amdhsa_kernarg_size 120
		.amdhsa_user_sgpr_count 6
		.amdhsa_user_sgpr_private_segment_buffer 1
		.amdhsa_user_sgpr_dispatch_ptr 0
		.amdhsa_user_sgpr_queue_ptr 0
		.amdhsa_user_sgpr_kernarg_segment_ptr 1
		.amdhsa_user_sgpr_dispatch_id 0
		.amdhsa_user_sgpr_flat_scratch_init 0
		.amdhsa_user_sgpr_kernarg_preload_length 0
		.amdhsa_user_sgpr_kernarg_preload_offset 0
		.amdhsa_user_sgpr_private_segment_size 0
		.amdhsa_uses_dynamic_stack 0
		.amdhsa_system_sgpr_private_segment_wavefront_offset 0
		.amdhsa_system_sgpr_workgroup_id_x 1
		.amdhsa_system_sgpr_workgroup_id_y 0
		.amdhsa_system_sgpr_workgroup_id_z 0
		.amdhsa_system_sgpr_workgroup_info 0
		.amdhsa_system_vgpr_workitem_id 0
		.amdhsa_next_free_vgpr 1
		.amdhsa_next_free_sgpr 0
		.amdhsa_accum_offset 4
		.amdhsa_reserve_vcc 0
		.amdhsa_reserve_flat_scratch 0
		.amdhsa_float_round_mode_32 0
		.amdhsa_float_round_mode_16_64 0
		.amdhsa_float_denorm_mode_32 3
		.amdhsa_float_denorm_mode_16_64 3
		.amdhsa_dx10_clamp 1
		.amdhsa_ieee_mode 1
		.amdhsa_fp16_overflow 0
		.amdhsa_tg_split 0
		.amdhsa_exception_fp_ieee_invalid_op 0
		.amdhsa_exception_fp_denorm_src 0
		.amdhsa_exception_fp_ieee_div_zero 0
		.amdhsa_exception_fp_ieee_overflow 0
		.amdhsa_exception_fp_ieee_underflow 0
		.amdhsa_exception_fp_ieee_inexact 0
		.amdhsa_exception_int_div_zero 0
	.end_amdhsa_kernel
	.section	.text._ZN7rocprim17ROCPRIM_400000_NS6detail17trampoline_kernelINS0_14default_configENS1_29reduce_by_key_config_selectorIsjN6thrust23THRUST_200600_302600_NS4plusIjEEEEZZNS1_33reduce_by_key_impl_wrapped_configILNS1_25lookback_scan_determinismE0ES3_S9_NS6_6detail15normal_iteratorINS6_10device_ptrIsEEEENSD_INSE_IjEEEESG_SI_PmS8_NS6_8equal_toIsEEEE10hipError_tPvRmT2_T3_mT4_T5_T6_T7_T8_P12ihipStream_tbENKUlT_T0_E_clISt17integral_constantIbLb1EES12_IbLb0EEEEDaSY_SZ_EUlSY_E_NS1_11comp_targetILNS1_3genE5ELNS1_11target_archE942ELNS1_3gpuE9ELNS1_3repE0EEENS1_30default_config_static_selectorELNS0_4arch9wavefront6targetE1EEEvT1_,"axG",@progbits,_ZN7rocprim17ROCPRIM_400000_NS6detail17trampoline_kernelINS0_14default_configENS1_29reduce_by_key_config_selectorIsjN6thrust23THRUST_200600_302600_NS4plusIjEEEEZZNS1_33reduce_by_key_impl_wrapped_configILNS1_25lookback_scan_determinismE0ES3_S9_NS6_6detail15normal_iteratorINS6_10device_ptrIsEEEENSD_INSE_IjEEEESG_SI_PmS8_NS6_8equal_toIsEEEE10hipError_tPvRmT2_T3_mT4_T5_T6_T7_T8_P12ihipStream_tbENKUlT_T0_E_clISt17integral_constantIbLb1EES12_IbLb0EEEEDaSY_SZ_EUlSY_E_NS1_11comp_targetILNS1_3genE5ELNS1_11target_archE942ELNS1_3gpuE9ELNS1_3repE0EEENS1_30default_config_static_selectorELNS0_4arch9wavefront6targetE1EEEvT1_,comdat
.Lfunc_end860:
	.size	_ZN7rocprim17ROCPRIM_400000_NS6detail17trampoline_kernelINS0_14default_configENS1_29reduce_by_key_config_selectorIsjN6thrust23THRUST_200600_302600_NS4plusIjEEEEZZNS1_33reduce_by_key_impl_wrapped_configILNS1_25lookback_scan_determinismE0ES3_S9_NS6_6detail15normal_iteratorINS6_10device_ptrIsEEEENSD_INSE_IjEEEESG_SI_PmS8_NS6_8equal_toIsEEEE10hipError_tPvRmT2_T3_mT4_T5_T6_T7_T8_P12ihipStream_tbENKUlT_T0_E_clISt17integral_constantIbLb1EES12_IbLb0EEEEDaSY_SZ_EUlSY_E_NS1_11comp_targetILNS1_3genE5ELNS1_11target_archE942ELNS1_3gpuE9ELNS1_3repE0EEENS1_30default_config_static_selectorELNS0_4arch9wavefront6targetE1EEEvT1_, .Lfunc_end860-_ZN7rocprim17ROCPRIM_400000_NS6detail17trampoline_kernelINS0_14default_configENS1_29reduce_by_key_config_selectorIsjN6thrust23THRUST_200600_302600_NS4plusIjEEEEZZNS1_33reduce_by_key_impl_wrapped_configILNS1_25lookback_scan_determinismE0ES3_S9_NS6_6detail15normal_iteratorINS6_10device_ptrIsEEEENSD_INSE_IjEEEESG_SI_PmS8_NS6_8equal_toIsEEEE10hipError_tPvRmT2_T3_mT4_T5_T6_T7_T8_P12ihipStream_tbENKUlT_T0_E_clISt17integral_constantIbLb1EES12_IbLb0EEEEDaSY_SZ_EUlSY_E_NS1_11comp_targetILNS1_3genE5ELNS1_11target_archE942ELNS1_3gpuE9ELNS1_3repE0EEENS1_30default_config_static_selectorELNS0_4arch9wavefront6targetE1EEEvT1_
                                        ; -- End function
	.section	.AMDGPU.csdata,"",@progbits
; Kernel info:
; codeLenInByte = 0
; NumSgprs: 4
; NumVgprs: 0
; NumAgprs: 0
; TotalNumVgprs: 0
; ScratchSize: 0
; MemoryBound: 0
; FloatMode: 240
; IeeeMode: 1
; LDSByteSize: 0 bytes/workgroup (compile time only)
; SGPRBlocks: 0
; VGPRBlocks: 0
; NumSGPRsForWavesPerEU: 4
; NumVGPRsForWavesPerEU: 1
; AccumOffset: 4
; Occupancy: 8
; WaveLimiterHint : 0
; COMPUTE_PGM_RSRC2:SCRATCH_EN: 0
; COMPUTE_PGM_RSRC2:USER_SGPR: 6
; COMPUTE_PGM_RSRC2:TRAP_HANDLER: 0
; COMPUTE_PGM_RSRC2:TGID_X_EN: 1
; COMPUTE_PGM_RSRC2:TGID_Y_EN: 0
; COMPUTE_PGM_RSRC2:TGID_Z_EN: 0
; COMPUTE_PGM_RSRC2:TIDIG_COMP_CNT: 0
; COMPUTE_PGM_RSRC3_GFX90A:ACCUM_OFFSET: 0
; COMPUTE_PGM_RSRC3_GFX90A:TG_SPLIT: 0
	.section	.text._ZN7rocprim17ROCPRIM_400000_NS6detail17trampoline_kernelINS0_14default_configENS1_29reduce_by_key_config_selectorIsjN6thrust23THRUST_200600_302600_NS4plusIjEEEEZZNS1_33reduce_by_key_impl_wrapped_configILNS1_25lookback_scan_determinismE0ES3_S9_NS6_6detail15normal_iteratorINS6_10device_ptrIsEEEENSD_INSE_IjEEEESG_SI_PmS8_NS6_8equal_toIsEEEE10hipError_tPvRmT2_T3_mT4_T5_T6_T7_T8_P12ihipStream_tbENKUlT_T0_E_clISt17integral_constantIbLb1EES12_IbLb0EEEEDaSY_SZ_EUlSY_E_NS1_11comp_targetILNS1_3genE4ELNS1_11target_archE910ELNS1_3gpuE8ELNS1_3repE0EEENS1_30default_config_static_selectorELNS0_4arch9wavefront6targetE1EEEvT1_,"axG",@progbits,_ZN7rocprim17ROCPRIM_400000_NS6detail17trampoline_kernelINS0_14default_configENS1_29reduce_by_key_config_selectorIsjN6thrust23THRUST_200600_302600_NS4plusIjEEEEZZNS1_33reduce_by_key_impl_wrapped_configILNS1_25lookback_scan_determinismE0ES3_S9_NS6_6detail15normal_iteratorINS6_10device_ptrIsEEEENSD_INSE_IjEEEESG_SI_PmS8_NS6_8equal_toIsEEEE10hipError_tPvRmT2_T3_mT4_T5_T6_T7_T8_P12ihipStream_tbENKUlT_T0_E_clISt17integral_constantIbLb1EES12_IbLb0EEEEDaSY_SZ_EUlSY_E_NS1_11comp_targetILNS1_3genE4ELNS1_11target_archE910ELNS1_3gpuE8ELNS1_3repE0EEENS1_30default_config_static_selectorELNS0_4arch9wavefront6targetE1EEEvT1_,comdat
	.protected	_ZN7rocprim17ROCPRIM_400000_NS6detail17trampoline_kernelINS0_14default_configENS1_29reduce_by_key_config_selectorIsjN6thrust23THRUST_200600_302600_NS4plusIjEEEEZZNS1_33reduce_by_key_impl_wrapped_configILNS1_25lookback_scan_determinismE0ES3_S9_NS6_6detail15normal_iteratorINS6_10device_ptrIsEEEENSD_INSE_IjEEEESG_SI_PmS8_NS6_8equal_toIsEEEE10hipError_tPvRmT2_T3_mT4_T5_T6_T7_T8_P12ihipStream_tbENKUlT_T0_E_clISt17integral_constantIbLb1EES12_IbLb0EEEEDaSY_SZ_EUlSY_E_NS1_11comp_targetILNS1_3genE4ELNS1_11target_archE910ELNS1_3gpuE8ELNS1_3repE0EEENS1_30default_config_static_selectorELNS0_4arch9wavefront6targetE1EEEvT1_ ; -- Begin function _ZN7rocprim17ROCPRIM_400000_NS6detail17trampoline_kernelINS0_14default_configENS1_29reduce_by_key_config_selectorIsjN6thrust23THRUST_200600_302600_NS4plusIjEEEEZZNS1_33reduce_by_key_impl_wrapped_configILNS1_25lookback_scan_determinismE0ES3_S9_NS6_6detail15normal_iteratorINS6_10device_ptrIsEEEENSD_INSE_IjEEEESG_SI_PmS8_NS6_8equal_toIsEEEE10hipError_tPvRmT2_T3_mT4_T5_T6_T7_T8_P12ihipStream_tbENKUlT_T0_E_clISt17integral_constantIbLb1EES12_IbLb0EEEEDaSY_SZ_EUlSY_E_NS1_11comp_targetILNS1_3genE4ELNS1_11target_archE910ELNS1_3gpuE8ELNS1_3repE0EEENS1_30default_config_static_selectorELNS0_4arch9wavefront6targetE1EEEvT1_
	.globl	_ZN7rocprim17ROCPRIM_400000_NS6detail17trampoline_kernelINS0_14default_configENS1_29reduce_by_key_config_selectorIsjN6thrust23THRUST_200600_302600_NS4plusIjEEEEZZNS1_33reduce_by_key_impl_wrapped_configILNS1_25lookback_scan_determinismE0ES3_S9_NS6_6detail15normal_iteratorINS6_10device_ptrIsEEEENSD_INSE_IjEEEESG_SI_PmS8_NS6_8equal_toIsEEEE10hipError_tPvRmT2_T3_mT4_T5_T6_T7_T8_P12ihipStream_tbENKUlT_T0_E_clISt17integral_constantIbLb1EES12_IbLb0EEEEDaSY_SZ_EUlSY_E_NS1_11comp_targetILNS1_3genE4ELNS1_11target_archE910ELNS1_3gpuE8ELNS1_3repE0EEENS1_30default_config_static_selectorELNS0_4arch9wavefront6targetE1EEEvT1_
	.p2align	8
	.type	_ZN7rocprim17ROCPRIM_400000_NS6detail17trampoline_kernelINS0_14default_configENS1_29reduce_by_key_config_selectorIsjN6thrust23THRUST_200600_302600_NS4plusIjEEEEZZNS1_33reduce_by_key_impl_wrapped_configILNS1_25lookback_scan_determinismE0ES3_S9_NS6_6detail15normal_iteratorINS6_10device_ptrIsEEEENSD_INSE_IjEEEESG_SI_PmS8_NS6_8equal_toIsEEEE10hipError_tPvRmT2_T3_mT4_T5_T6_T7_T8_P12ihipStream_tbENKUlT_T0_E_clISt17integral_constantIbLb1EES12_IbLb0EEEEDaSY_SZ_EUlSY_E_NS1_11comp_targetILNS1_3genE4ELNS1_11target_archE910ELNS1_3gpuE8ELNS1_3repE0EEENS1_30default_config_static_selectorELNS0_4arch9wavefront6targetE1EEEvT1_,@function
_ZN7rocprim17ROCPRIM_400000_NS6detail17trampoline_kernelINS0_14default_configENS1_29reduce_by_key_config_selectorIsjN6thrust23THRUST_200600_302600_NS4plusIjEEEEZZNS1_33reduce_by_key_impl_wrapped_configILNS1_25lookback_scan_determinismE0ES3_S9_NS6_6detail15normal_iteratorINS6_10device_ptrIsEEEENSD_INSE_IjEEEESG_SI_PmS8_NS6_8equal_toIsEEEE10hipError_tPvRmT2_T3_mT4_T5_T6_T7_T8_P12ihipStream_tbENKUlT_T0_E_clISt17integral_constantIbLb1EES12_IbLb0EEEEDaSY_SZ_EUlSY_E_NS1_11comp_targetILNS1_3genE4ELNS1_11target_archE910ELNS1_3gpuE8ELNS1_3repE0EEENS1_30default_config_static_selectorELNS0_4arch9wavefront6targetE1EEEvT1_: ; @_ZN7rocprim17ROCPRIM_400000_NS6detail17trampoline_kernelINS0_14default_configENS1_29reduce_by_key_config_selectorIsjN6thrust23THRUST_200600_302600_NS4plusIjEEEEZZNS1_33reduce_by_key_impl_wrapped_configILNS1_25lookback_scan_determinismE0ES3_S9_NS6_6detail15normal_iteratorINS6_10device_ptrIsEEEENSD_INSE_IjEEEESG_SI_PmS8_NS6_8equal_toIsEEEE10hipError_tPvRmT2_T3_mT4_T5_T6_T7_T8_P12ihipStream_tbENKUlT_T0_E_clISt17integral_constantIbLb1EES12_IbLb0EEEEDaSY_SZ_EUlSY_E_NS1_11comp_targetILNS1_3genE4ELNS1_11target_archE910ELNS1_3gpuE8ELNS1_3repE0EEENS1_30default_config_static_selectorELNS0_4arch9wavefront6targetE1EEEvT1_
; %bb.0:
	s_load_dwordx8 s[36:43], s[4:5], 0x0
	s_load_dwordx4 s[52:55], s[4:5], 0x20
	s_load_dwordx8 s[44:51], s[4:5], 0x38
	s_load_dwordx2 s[60:61], s[4:5], 0x68
	s_load_dwordx4 s[56:59], s[4:5], 0x58
	s_waitcnt lgkmcnt(0)
	s_lshl_b64 s[0:1], s[38:39], 1
	s_add_u32 s4, s36, s0
	s_addc_u32 s5, s37, s1
	s_lshl_b64 s[0:1], s[38:39], 2
	s_add_u32 s8, s40, s0
	s_addc_u32 s9, s41, s1
	s_mul_i32 s0, s48, s47
	s_mul_hi_u32 s1, s48, s46
	s_add_i32 s0, s1, s0
	s_mul_i32 s1, s49, s46
	s_add_i32 s10, s0, s1
	s_mul_i32 s0, s6, 0xf00
	s_mov_b32 s1, 0
	s_lshl_b64 s[2:3], s[0:1], 1
	s_add_u32 s7, s4, s2
	s_mul_i32 s11, s48, s46
	s_addc_u32 s48, s5, s3
	s_lshl_b64 s[0:1], s[0:1], 2
	s_add_u32 s49, s8, s0
	s_addc_u32 s62, s9, s1
	s_add_u32 s38, s11, s6
	s_addc_u32 s39, s10, 0
	s_add_u32 s2, s50, -1
	s_addc_u32 s3, s51, -1
	s_cmp_eq_u64 s[38:39], s[2:3]
	s_cselect_b64 s[34:35], -1, 0
	s_cmp_lg_u64 s[38:39], s[2:3]
	s_mov_b64 s[0:1], -1
	s_cselect_b64 s[40:41], -1, 0
	s_mul_i32 s33, s2, 0xfffff100
	s_and_b64 vcc, exec, s[34:35]
	s_cbranch_vccnz .LBB861_2
; %bb.1:
	v_lshlrev_b32_e32 v1, 1, v0
	v_mov_b32_e32 v3, s48
	v_add_co_u32_e32 v2, vcc, s7, v1
	v_addc_co_u32_e32 v3, vcc, 0, v3, vcc
	flat_load_ushort v4, v[2:3]
	flat_load_ushort v5, v[2:3] offset:512
	flat_load_ushort v12, v[2:3] offset:1024
	;; [unrolled: 1-line block ×7, first 2 shown]
	v_add_co_u32_e32 v2, vcc, 0x1000, v2
	v_addc_co_u32_e32 v3, vcc, 0, v3, vcc
	flat_load_ushort v20, v[2:3]
	flat_load_ushort v21, v[2:3] offset:512
	flat_load_ushort v22, v[2:3] offset:1024
	;; [unrolled: 1-line block ×6, first 2 shown]
	v_lshlrev_b32_e32 v2, 2, v0
	v_mov_b32_e32 v3, s62
	v_add_co_u32_e32 v6, vcc, s49, v2
	s_movk_i32 s0, 0x1000
	v_addc_co_u32_e32 v7, vcc, 0, v3, vcc
	v_add_co_u32_e32 v8, vcc, s0, v6
	s_movk_i32 s1, 0x2000
	v_addc_co_u32_e32 v9, vcc, 0, v7, vcc
	;; [unrolled: 3-line block ×3, first 2 shown]
	v_mad_u32_u24 v30, v0, 28, v1
	v_add_co_u32_e32 v16, vcc, s2, v6
	v_addc_co_u32_e32 v17, vcc, 0, v7, vcc
	s_movk_i32 s0, 0xffe6
	v_mad_u32_u24 v29, v0, 15, 3
	v_mad_u32_u24 v28, v0, 15, 5
	;; [unrolled: 1-line block ×3, first 2 shown]
	s_waitcnt vmcnt(0) lgkmcnt(0)
	ds_write_b16 v1, v4
	ds_write_b16 v1, v5 offset:512
	ds_write_b16 v1, v12 offset:1024
	;; [unrolled: 1-line block ×14, first 2 shown]
	s_waitcnt lgkmcnt(0)
	s_barrier
	ds_read_u16 v1, v30
	ds_read_b128 v[2:5], v30 offset:2
	ds_read_b96 v[12:14], v30 offset:18
	s_waitcnt lgkmcnt(0)
	s_barrier
	flat_load_dword v18, v[6:7]
	flat_load_dword v19, v[6:7] offset:1024
	flat_load_dword v20, v[6:7] offset:2048
	flat_load_dword v21, v[6:7] offset:3072
	flat_load_dword v22, v[8:9]
	flat_load_dword v23, v[8:9] offset:1024
	flat_load_dword v24, v[8:9] offset:2048
	flat_load_dword v25, v[8:9] offset:3072
	;; [unrolled: 4-line block ×3, first 2 shown]
	flat_load_dword v34, v[16:17]
	flat_load_dword v35, v[16:17] offset:1024
	flat_load_dword v36, v[16:17] offset:2048
	v_mul_u32_u24_e32 v8, 15, v0
	v_mad_u32_u24 v10, v0, 15, 1
	v_mad_u32_u24 v15, v0, 15, 7
	;; [unrolled: 1-line block ×4, first 2 shown]
	v_mad_i32_i24 v6, v0, s0, v30
	s_waitcnt vmcnt(0) lgkmcnt(0)
	ds_write2st64_b32 v6, v18, v19 offset1:4
	ds_write2st64_b32 v6, v20, v21 offset0:8 offset1:12
	ds_write2st64_b32 v6, v22, v23 offset0:16 offset1:20
	;; [unrolled: 1-line block ×6, first 2 shown]
	ds_write_b32 v6, v36 offset:14336
	s_waitcnt lgkmcnt(0)
	s_barrier
	s_add_i32 s33, s33, s56
	s_cbranch_execz .LBB861_3
	s_branch .LBB861_64
.LBB861_2:
                                        ; implicit-def: $vgpr2
                                        ; implicit-def: $vgpr12
                                        ; implicit-def: $vgpr11
                                        ; implicit-def: $vgpr27
                                        ; implicit-def: $vgpr9
                                        ; implicit-def: $vgpr15
                                        ; implicit-def: $vgpr28
                                        ; implicit-def: $vgpr29
                                        ; implicit-def: $vgpr10
                                        ; implicit-def: $vgpr8
                                        ; implicit-def: $vgpr1
	s_andn2_b64 vcc, exec, s[0:1]
	s_add_i32 s33, s33, s56
	s_cbranch_vccnz .LBB861_64
.LBB861_3:
	v_cmp_gt_u32_e32 vcc, s33, v0
                                        ; implicit-def: $vgpr1
	s_and_saveexec_b64 s[2:3], vcc
	s_cbranch_execz .LBB861_5
; %bb.4:
	v_lshlrev_b32_e32 v1, 1, v0
	v_mov_b32_e32 v3, s48
	v_add_co_u32_e64 v2, s[0:1], s7, v1
	v_addc_co_u32_e64 v3, s[0:1], 0, v3, s[0:1]
	flat_load_ushort v1, v[2:3]
.LBB861_5:
	s_or_b64 exec, exec, s[2:3]
	v_or_b32_e32 v2, 0x100, v0
	v_cmp_gt_u32_e64 s[0:1], s33, v2
                                        ; implicit-def: $vgpr2
	s_and_saveexec_b64 s[4:5], s[0:1]
	s_cbranch_execz .LBB861_7
; %bb.6:
	v_lshlrev_b32_e32 v2, 1, v0
	v_mov_b32_e32 v3, s48
	v_add_co_u32_e64 v2, s[2:3], s7, v2
	v_addc_co_u32_e64 v3, s[2:3], 0, v3, s[2:3]
	flat_load_ushort v2, v[2:3] offset:512
.LBB861_7:
	s_or_b64 exec, exec, s[4:5]
	v_or_b32_e32 v3, 0x200, v0
	v_cmp_gt_u32_e64 s[2:3], s33, v3
                                        ; implicit-def: $vgpr3
	s_and_saveexec_b64 s[8:9], s[2:3]
	s_cbranch_execz .LBB861_9
; %bb.8:
	v_lshlrev_b32_e32 v3, 1, v0
	v_mov_b32_e32 v5, s48
	v_add_co_u32_e64 v4, s[4:5], s7, v3
	v_addc_co_u32_e64 v5, s[4:5], 0, v5, s[4:5]
	flat_load_ushort v3, v[4:5] offset:1024
.LBB861_9:
	s_or_b64 exec, exec, s[8:9]
	v_or_b32_e32 v4, 0x300, v0
	v_cmp_gt_u32_e64 s[4:5], s33, v4
                                        ; implicit-def: $vgpr4
	s_and_saveexec_b64 s[10:11], s[4:5]
	s_cbranch_execz .LBB861_11
; %bb.10:
	v_lshlrev_b32_e32 v4, 1, v0
	v_mov_b32_e32 v5, s48
	v_add_co_u32_e64 v4, s[8:9], s7, v4
	v_addc_co_u32_e64 v5, s[8:9], 0, v5, s[8:9]
	flat_load_ushort v4, v[4:5] offset:1536
.LBB861_11:
	s_or_b64 exec, exec, s[10:11]
	v_or_b32_e32 v6, 0x400, v0
	v_cmp_gt_u32_e64 s[28:29], s33, v6
                                        ; implicit-def: $vgpr5
	s_and_saveexec_b64 s[10:11], s[28:29]
	s_cbranch_execz .LBB861_13
; %bb.12:
	v_lshlrev_b32_e32 v5, 1, v0
	v_mov_b32_e32 v7, s48
	v_add_co_u32_e64 v8, s[8:9], s7, v5
	v_addc_co_u32_e64 v9, s[8:9], 0, v7, s[8:9]
	flat_load_ushort v5, v[8:9] offset:2048
.LBB861_13:
	s_or_b64 exec, exec, s[10:11]
	v_or_b32_e32 v7, 0x500, v0
	v_cmp_gt_u32_e64 s[8:9], s33, v7
                                        ; implicit-def: $vgpr12
	s_and_saveexec_b64 s[12:13], s[8:9]
	s_cbranch_execz .LBB861_15
; %bb.14:
	v_lshlrev_b32_e32 v8, 1, v0
	v_mov_b32_e32 v9, s48
	v_add_co_u32_e64 v8, s[10:11], s7, v8
	v_addc_co_u32_e64 v9, s[10:11], 0, v9, s[10:11]
	flat_load_ushort v12, v[8:9] offset:2560
.LBB861_15:
	s_or_b64 exec, exec, s[12:13]
	v_or_b32_e32 v8, 0x600, v0
	v_cmp_gt_u32_e64 s[10:11], s33, v8
                                        ; implicit-def: $vgpr13
	s_and_saveexec_b64 s[14:15], s[10:11]
	s_cbranch_execz .LBB861_17
; %bb.16:
	v_lshlrev_b32_e32 v9, 1, v0
	v_mov_b32_e32 v11, s48
	v_add_co_u32_e64 v10, s[12:13], s7, v9
	v_addc_co_u32_e64 v11, s[12:13], 0, v11, s[12:13]
	flat_load_ushort v13, v[10:11] offset:3072
.LBB861_17:
	s_or_b64 exec, exec, s[14:15]
	v_or_b32_e32 v9, 0x700, v0
	v_cmp_gt_u32_e64 s[12:13], s33, v9
                                        ; implicit-def: $vgpr14
	s_and_saveexec_b64 s[16:17], s[12:13]
	s_cbranch_execz .LBB861_19
; %bb.18:
	v_lshlrev_b32_e32 v10, 1, v0
	v_mov_b32_e32 v11, s48
	v_add_co_u32_e64 v10, s[14:15], s7, v10
	v_addc_co_u32_e64 v11, s[14:15], 0, v11, s[14:15]
	flat_load_ushort v14, v[10:11] offset:3584
.LBB861_19:
	s_or_b64 exec, exec, s[16:17]
	v_or_b32_e32 v10, 0x800, v0
	v_cmp_gt_u32_e64 s[14:15], s33, v10
                                        ; implicit-def: $vgpr20
	s_and_saveexec_b64 s[18:19], s[14:15]
	s_cbranch_execz .LBB861_21
; %bb.20:
	v_lshlrev_b32_e32 v11, 1, v10
	v_mov_b32_e32 v15, s48
	v_add_co_u32_e64 v16, s[16:17], s7, v11
	v_addc_co_u32_e64 v17, s[16:17], 0, v15, s[16:17]
	flat_load_ushort v20, v[16:17]
.LBB861_21:
	s_or_b64 exec, exec, s[18:19]
	v_or_b32_e32 v11, 0x900, v0
	v_cmp_gt_u32_e64 s[16:17], s33, v11
                                        ; implicit-def: $vgpr21
	s_and_saveexec_b64 s[20:21], s[16:17]
	s_cbranch_execz .LBB861_23
; %bb.22:
	v_lshlrev_b32_e32 v15, 1, v11
	v_mov_b32_e32 v17, s48
	v_add_co_u32_e64 v16, s[18:19], s7, v15
	v_addc_co_u32_e64 v17, s[18:19], 0, v17, s[18:19]
	flat_load_ushort v21, v[16:17]
.LBB861_23:
	s_or_b64 exec, exec, s[20:21]
	v_or_b32_e32 v15, 0xa00, v0
	v_cmp_gt_u32_e64 s[18:19], s33, v15
                                        ; implicit-def: $vgpr22
	s_and_saveexec_b64 s[22:23], s[18:19]
	s_cbranch_execz .LBB861_25
; %bb.24:
	v_lshlrev_b32_e32 v16, 1, v15
	v_mov_b32_e32 v17, s48
	v_add_co_u32_e64 v16, s[20:21], s7, v16
	v_addc_co_u32_e64 v17, s[20:21], 0, v17, s[20:21]
	flat_load_ushort v22, v[16:17]
.LBB861_25:
	s_or_b64 exec, exec, s[22:23]
	v_or_b32_e32 v16, 0xb00, v0
	v_cmp_gt_u32_e64 s[20:21], s33, v16
                                        ; implicit-def: $vgpr23
	s_and_saveexec_b64 s[24:25], s[20:21]
	s_cbranch_execz .LBB861_27
; %bb.26:
	v_lshlrev_b32_e32 v17, 1, v16
	v_mov_b32_e32 v19, s48
	v_add_co_u32_e64 v18, s[22:23], s7, v17
	v_addc_co_u32_e64 v19, s[22:23], 0, v19, s[22:23]
	flat_load_ushort v23, v[18:19]
.LBB861_27:
	s_or_b64 exec, exec, s[24:25]
	v_or_b32_e32 v17, 0xc00, v0
	v_cmp_gt_u32_e64 s[22:23], s33, v17
                                        ; implicit-def: $vgpr24
	s_and_saveexec_b64 s[26:27], s[22:23]
	s_cbranch_execz .LBB861_29
; %bb.28:
	v_lshlrev_b32_e32 v18, 1, v17
	v_mov_b32_e32 v19, s48
	v_add_co_u32_e64 v18, s[24:25], s7, v18
	v_addc_co_u32_e64 v19, s[24:25], 0, v19, s[24:25]
	flat_load_ushort v24, v[18:19]
.LBB861_29:
	s_or_b64 exec, exec, s[26:27]
	v_or_b32_e32 v18, 0xd00, v0
	v_cmp_gt_u32_e64 s[24:25], s33, v18
                                        ; implicit-def: $vgpr25
	s_and_saveexec_b64 s[30:31], s[24:25]
	s_cbranch_execz .LBB861_31
; %bb.30:
	v_lshlrev_b32_e32 v19, 1, v18
	v_mov_b32_e32 v25, s48
	v_add_co_u32_e64 v26, s[26:27], s7, v19
	v_addc_co_u32_e64 v27, s[26:27], 0, v25, s[26:27]
	flat_load_ushort v25, v[26:27]
.LBB861_31:
	s_or_b64 exec, exec, s[30:31]
	v_or_b32_e32 v19, 0xe00, v0
	v_cmp_gt_u32_e64 s[26:27], s33, v19
                                        ; implicit-def: $vgpr26
	s_and_saveexec_b64 s[36:37], s[26:27]
	s_cbranch_execz .LBB861_33
; %bb.32:
	v_lshlrev_b32_e32 v26, 1, v19
	v_mov_b32_e32 v27, s48
	v_add_co_u32_e64 v26, s[30:31], s7, v26
	v_addc_co_u32_e64 v27, s[30:31], 0, v27, s[30:31]
	flat_load_ushort v26, v[26:27]
.LBB861_33:
	s_or_b64 exec, exec, s[36:37]
	v_lshlrev_b32_e32 v27, 1, v0
	s_waitcnt vmcnt(0) lgkmcnt(0)
	ds_write_b16 v27, v1
	ds_write_b16 v27, v2 offset:512
	ds_write_b16 v27, v3 offset:1024
	ds_write_b16 v27, v4 offset:1536
	ds_write_b16 v27, v5 offset:2048
	ds_write_b16 v27, v12 offset:2560
	ds_write_b16 v27, v13 offset:3072
	ds_write_b16 v27, v14 offset:3584
	ds_write_b16 v27, v20 offset:4096
	ds_write_b16 v27, v21 offset:4608
	ds_write_b16 v27, v22 offset:5120
	ds_write_b16 v27, v23 offset:5632
	ds_write_b16 v27, v24 offset:6144
	ds_write_b16 v27, v25 offset:6656
	ds_write_b16 v27, v26 offset:7168
	v_mad_u32_u24 v20, v0, 28, v27
	s_waitcnt lgkmcnt(0)
	s_barrier
	ds_read_u16 v1, v20
	ds_read_b128 v[2:5], v20 offset:2
	ds_read_b96 v[12:14], v20 offset:18
	s_waitcnt lgkmcnt(0)
	s_barrier
	s_waitcnt lgkmcnt(0)
                                        ; implicit-def: $vgpr21
	s_and_saveexec_b64 s[30:31], vcc
	s_cbranch_execz .LBB861_47
; %bb.34:
	v_lshlrev_b32_e32 v21, 2, v0
	v_mov_b32_e32 v23, s62
	v_add_co_u32_e32 v22, vcc, s49, v21
	v_addc_co_u32_e32 v23, vcc, 0, v23, vcc
	flat_load_dword v21, v[22:23]
	s_or_b64 exec, exec, s[30:31]
                                        ; implicit-def: $vgpr22
	s_and_saveexec_b64 s[30:31], s[0:1]
	s_cbranch_execnz .LBB861_48
.LBB861_35:
	s_or_b64 exec, exec, s[30:31]
                                        ; implicit-def: $vgpr23
	s_and_saveexec_b64 s[0:1], s[2:3]
	s_cbranch_execz .LBB861_49
.LBB861_36:
	v_lshlrev_b32_e32 v23, 2, v0
	v_mov_b32_e32 v25, s62
	v_add_co_u32_e32 v24, vcc, s49, v23
	v_addc_co_u32_e32 v25, vcc, 0, v25, vcc
	flat_load_dword v23, v[24:25] offset:2048
	s_or_b64 exec, exec, s[0:1]
                                        ; implicit-def: $vgpr24
	s_and_saveexec_b64 s[0:1], s[4:5]
	s_cbranch_execnz .LBB861_50
.LBB861_37:
	s_or_b64 exec, exec, s[0:1]
                                        ; implicit-def: $vgpr25
	s_and_saveexec_b64 s[0:1], s[28:29]
	s_cbranch_execz .LBB861_51
.LBB861_38:
	v_lshlrev_b32_e32 v6, 2, v6
	v_mov_b32_e32 v25, s62
	v_add_co_u32_e32 v26, vcc, s49, v6
	v_addc_co_u32_e32 v27, vcc, 0, v25, vcc
	flat_load_dword v25, v[26:27]
	s_or_b64 exec, exec, s[0:1]
                                        ; implicit-def: $vgpr6
	s_and_saveexec_b64 s[0:1], s[8:9]
	s_cbranch_execnz .LBB861_52
.LBB861_39:
	s_or_b64 exec, exec, s[0:1]
                                        ; implicit-def: $vgpr7
	s_and_saveexec_b64 s[0:1], s[10:11]
	s_cbranch_execz .LBB861_53
.LBB861_40:
	v_lshlrev_b32_e32 v7, 2, v8
	v_mov_b32_e32 v8, s62
	v_add_co_u32_e32 v26, vcc, s49, v7
	v_addc_co_u32_e32 v27, vcc, 0, v8, vcc
	flat_load_dword v7, v[26:27]
	s_or_b64 exec, exec, s[0:1]
                                        ; implicit-def: $vgpr26
	s_and_saveexec_b64 s[0:1], s[12:13]
	s_cbranch_execnz .LBB861_54
.LBB861_41:
	s_or_b64 exec, exec, s[0:1]
                                        ; implicit-def: $vgpr30
	s_and_saveexec_b64 s[0:1], s[14:15]
	s_cbranch_execz .LBB861_55
.LBB861_42:
	v_lshlrev_b32_e32 v8, 2, v10
	v_mov_b32_e32 v9, s62
	v_add_co_u32_e32 v8, vcc, s49, v8
	v_addc_co_u32_e32 v9, vcc, 0, v9, vcc
	flat_load_dword v30, v[8:9]
	s_or_b64 exec, exec, s[0:1]
                                        ; implicit-def: $vgpr31
	s_and_saveexec_b64 s[0:1], s[16:17]
	s_cbranch_execnz .LBB861_56
.LBB861_43:
	s_or_b64 exec, exec, s[0:1]
                                        ; implicit-def: $vgpr32
	s_and_saveexec_b64 s[0:1], s[18:19]
	s_cbranch_execz .LBB861_57
.LBB861_44:
	v_lshlrev_b32_e32 v8, 2, v15
	v_mov_b32_e32 v9, s62
	v_add_co_u32_e32 v8, vcc, s49, v8
	v_addc_co_u32_e32 v9, vcc, 0, v9, vcc
	flat_load_dword v32, v[8:9]
	s_or_b64 exec, exec, s[0:1]
                                        ; implicit-def: $vgpr33
	s_and_saveexec_b64 s[0:1], s[20:21]
	s_cbranch_execnz .LBB861_58
.LBB861_45:
	s_or_b64 exec, exec, s[0:1]
                                        ; implicit-def: $vgpr16
	s_and_saveexec_b64 s[0:1], s[22:23]
	s_cbranch_execz .LBB861_59
.LBB861_46:
	v_lshlrev_b32_e32 v8, 2, v17
	v_mov_b32_e32 v9, s62
	v_add_co_u32_e32 v8, vcc, s49, v8
	v_addc_co_u32_e32 v9, vcc, 0, v9, vcc
	flat_load_dword v16, v[8:9]
	s_or_b64 exec, exec, s[0:1]
                                        ; implicit-def: $vgpr17
	s_and_saveexec_b64 s[0:1], s[24:25]
	s_cbranch_execz .LBB861_61
	s_branch .LBB861_60
.LBB861_47:
	s_or_b64 exec, exec, s[30:31]
                                        ; implicit-def: $vgpr22
	s_and_saveexec_b64 s[30:31], s[0:1]
	s_cbranch_execz .LBB861_35
.LBB861_48:
	v_lshlrev_b32_e32 v22, 2, v0
	v_mov_b32_e32 v23, s62
	v_add_co_u32_e32 v22, vcc, s49, v22
	v_addc_co_u32_e32 v23, vcc, 0, v23, vcc
	flat_load_dword v22, v[22:23] offset:1024
	s_or_b64 exec, exec, s[30:31]
                                        ; implicit-def: $vgpr23
	s_and_saveexec_b64 s[0:1], s[2:3]
	s_cbranch_execnz .LBB861_36
.LBB861_49:
	s_or_b64 exec, exec, s[0:1]
                                        ; implicit-def: $vgpr24
	s_and_saveexec_b64 s[0:1], s[4:5]
	s_cbranch_execz .LBB861_37
.LBB861_50:
	v_lshlrev_b32_e32 v24, 2, v0
	v_mov_b32_e32 v25, s62
	v_add_co_u32_e32 v24, vcc, s49, v24
	v_addc_co_u32_e32 v25, vcc, 0, v25, vcc
	flat_load_dword v24, v[24:25] offset:3072
	s_or_b64 exec, exec, s[0:1]
                                        ; implicit-def: $vgpr25
	s_and_saveexec_b64 s[0:1], s[28:29]
	s_cbranch_execnz .LBB861_38
.LBB861_51:
	s_or_b64 exec, exec, s[0:1]
                                        ; implicit-def: $vgpr6
	s_and_saveexec_b64 s[0:1], s[8:9]
	s_cbranch_execz .LBB861_39
.LBB861_52:
	v_lshlrev_b32_e32 v6, 2, v7
	v_mov_b32_e32 v7, s62
	v_add_co_u32_e32 v6, vcc, s49, v6
	v_addc_co_u32_e32 v7, vcc, 0, v7, vcc
	flat_load_dword v6, v[6:7]
	s_or_b64 exec, exec, s[0:1]
                                        ; implicit-def: $vgpr7
	s_and_saveexec_b64 s[0:1], s[10:11]
	s_cbranch_execnz .LBB861_40
.LBB861_53:
	s_or_b64 exec, exec, s[0:1]
                                        ; implicit-def: $vgpr26
	s_and_saveexec_b64 s[0:1], s[12:13]
	s_cbranch_execz .LBB861_41
.LBB861_54:
	v_lshlrev_b32_e32 v8, 2, v9
	v_mov_b32_e32 v9, s62
	v_add_co_u32_e32 v8, vcc, s49, v8
	v_addc_co_u32_e32 v9, vcc, 0, v9, vcc
	flat_load_dword v26, v[8:9]
	s_or_b64 exec, exec, s[0:1]
                                        ; implicit-def: $vgpr30
	s_and_saveexec_b64 s[0:1], s[14:15]
	s_cbranch_execnz .LBB861_42
.LBB861_55:
	s_or_b64 exec, exec, s[0:1]
                                        ; implicit-def: $vgpr31
	s_and_saveexec_b64 s[0:1], s[16:17]
	s_cbranch_execz .LBB861_43
.LBB861_56:
	v_lshlrev_b32_e32 v8, 2, v11
	v_mov_b32_e32 v9, s62
	v_add_co_u32_e32 v8, vcc, s49, v8
	v_addc_co_u32_e32 v9, vcc, 0, v9, vcc
	flat_load_dword v31, v[8:9]
	s_or_b64 exec, exec, s[0:1]
                                        ; implicit-def: $vgpr32
	s_and_saveexec_b64 s[0:1], s[18:19]
	s_cbranch_execnz .LBB861_44
.LBB861_57:
	s_or_b64 exec, exec, s[0:1]
                                        ; implicit-def: $vgpr33
	s_and_saveexec_b64 s[0:1], s[20:21]
	s_cbranch_execz .LBB861_45
.LBB861_58:
	v_lshlrev_b32_e32 v8, 2, v16
	v_mov_b32_e32 v9, s62
	v_add_co_u32_e32 v8, vcc, s49, v8
	v_addc_co_u32_e32 v9, vcc, 0, v9, vcc
	flat_load_dword v33, v[8:9]
	s_or_b64 exec, exec, s[0:1]
                                        ; implicit-def: $vgpr16
	s_and_saveexec_b64 s[0:1], s[22:23]
	s_cbranch_execnz .LBB861_46
.LBB861_59:
	s_or_b64 exec, exec, s[0:1]
                                        ; implicit-def: $vgpr17
	s_and_saveexec_b64 s[0:1], s[24:25]
	s_cbranch_execz .LBB861_61
.LBB861_60:
	v_lshlrev_b32_e32 v8, 2, v18
	v_mov_b32_e32 v9, s62
	v_add_co_u32_e32 v8, vcc, s49, v8
	v_addc_co_u32_e32 v9, vcc, 0, v9, vcc
	flat_load_dword v17, v[8:9]
.LBB861_61:
	s_or_b64 exec, exec, s[0:1]
	v_mul_u32_u24_e32 v8, 15, v0
                                        ; implicit-def: $vgpr18
	s_and_saveexec_b64 s[0:1], s[26:27]
	s_cbranch_execz .LBB861_63
; %bb.62:
	v_lshlrev_b32_e32 v9, 2, v19
	v_mov_b32_e32 v11, s62
	v_add_co_u32_e32 v10, vcc, s49, v9
	v_addc_co_u32_e32 v11, vcc, 0, v11, vcc
	flat_load_dword v18, v[10:11]
.LBB861_63:
	s_or_b64 exec, exec, s[0:1]
	s_movk_i32 s0, 0xffe6
	v_add_u32_e32 v10, 1, v8
	v_add_u32_e32 v29, 3, v8
	;; [unrolled: 1-line block ×7, first 2 shown]
	v_mad_i32_i24 v19, v0, s0, v20
	s_waitcnt vmcnt(0) lgkmcnt(0)
	ds_write2st64_b32 v19, v21, v22 offset1:4
	ds_write2st64_b32 v19, v23, v24 offset0:8 offset1:12
	ds_write2st64_b32 v19, v25, v6 offset0:16 offset1:20
	;; [unrolled: 1-line block ×6, first 2 shown]
	ds_write_b32 v19, v18 offset:14336
	s_waitcnt lgkmcnt(0)
	s_barrier
.LBB861_64:
	v_lshlrev_b32_e32 v6, 2, v8
	ds_read2_b32 v[24:25], v6 offset1:2
	ds_read2_b32 v[20:21], v6 offset0:4 offset1:6
	ds_read2_b32 v[18:19], v6 offset0:8 offset1:10
	;; [unrolled: 1-line block ×3, first 2 shown]
	v_lshlrev_b32_e32 v6, 2, v10
	v_lshlrev_b32_e32 v7, 2, v29
	;; [unrolled: 1-line block ×7, first 2 shown]
	ds_read_b32 v75, v6
	ds_read_b32 v74, v7
	;; [unrolled: 1-line block ×7, first 2 shown]
	s_cmp_eq_u64 s[38:39], 0
	s_cselect_b64 s[36:37], -1, 0
	s_cmp_lg_u64 s[38:39], 0
	s_mov_b64 s[2:3], 0
	s_cselect_b64 s[4:5], -1, 0
	s_and_b64 vcc, exec, s[40:41]
	s_waitcnt lgkmcnt(0)
	s_barrier
	s_cbranch_vccz .LBB861_70
; %bb.65:
	s_and_b64 vcc, exec, s[4:5]
	s_cbranch_vccz .LBB861_135
; %bb.66:
	v_mov_b32_e32 v7, s48
	v_add_co_u32_e64 v6, vcc, -2, s7
	v_addc_co_u32_e32 v7, vcc, -1, v7, vcc
	flat_load_ushort v6, v[6:7]
	v_lshrrev_b32_e32 v8, 16, v14
	v_lshlrev_b32_e32 v7, 1, v0
	v_cmp_ne_u16_e32 vcc, v14, v8
	v_cmp_ne_u16_sdwa s[8:9], v13, v14 src0_sel:WORD_1 src1_sel:DWORD
	v_cmp_ne_u16_sdwa s[10:11], v13, v13 src0_sel:DWORD src1_sel:WORD_1
	v_cmp_ne_u16_sdwa s[12:13], v12, v13 src0_sel:WORD_1 src1_sel:DWORD
	v_cmp_ne_u16_sdwa s[14:15], v12, v12 src0_sel:DWORD src1_sel:WORD_1
	v_cmp_ne_u16_sdwa s[16:17], v5, v12 src0_sel:WORD_1 src1_sel:DWORD
	v_cmp_ne_u16_sdwa s[18:19], v5, v5 src0_sel:DWORD src1_sel:WORD_1
	v_cmp_ne_u16_sdwa s[20:21], v4, v5 src0_sel:WORD_1 src1_sel:DWORD
	v_cmp_ne_u16_sdwa s[22:23], v4, v4 src0_sel:DWORD src1_sel:WORD_1
	v_cmp_ne_u16_sdwa s[24:25], v3, v4 src0_sel:WORD_1 src1_sel:DWORD
	v_cmp_ne_u16_sdwa s[26:27], v3, v3 src0_sel:DWORD src1_sel:WORD_1
	v_cmp_ne_u16_sdwa s[28:29], v2, v3 src0_sel:WORD_1 src1_sel:DWORD
	v_cmp_ne_u16_sdwa s[30:31], v2, v2 src0_sel:DWORD src1_sel:WORD_1
	v_cmp_ne_u16_e64 s[0:1], v1, v2
	v_cmp_ne_u32_e64 s[2:3], 0, v0
	ds_write_b16 v7, v8
	s_waitcnt lgkmcnt(0)
	s_barrier
	s_and_saveexec_b64 s[40:41], s[2:3]
	s_cbranch_execz .LBB861_68
; %bb.67:
	s_waitcnt vmcnt(0)
	v_add_u32_e32 v6, -2, v7
	ds_read_u16 v6, v6
.LBB861_68:
	s_or_b64 exec, exec, s[40:41]
	v_cndmask_b32_e64 v15, 0, 1, vcc
	v_cndmask_b32_e64 v54, 0, 1, s[8:9]
	v_cndmask_b32_e64 v55, 0, 1, s[10:11]
	;; [unrolled: 1-line block ×13, first 2 shown]
	s_waitcnt vmcnt(0) lgkmcnt(0)
	v_cmp_ne_u16_e64 s[0:1], v6, v1
	s_mov_b64 s[2:3], -1
.LBB861_69:
                                        ; implicit-def: $sgpr10
	s_branch .LBB861_71
.LBB861_70:
                                        ; implicit-def: $sgpr0_sgpr1
                                        ; implicit-def: $vgpr15
                                        ; implicit-def: $vgpr54
                                        ; implicit-def: $vgpr55
                                        ; implicit-def: $vgpr56
                                        ; implicit-def: $vgpr57
                                        ; implicit-def: $vgpr58
                                        ; implicit-def: $vgpr59
                                        ; implicit-def: $vgpr60
                                        ; implicit-def: $vgpr61
                                        ; implicit-def: $vgpr62
                                        ; implicit-def: $vgpr63
                                        ; implicit-def: $vgpr64
                                        ; implicit-def: $vgpr65
                                        ; implicit-def: $vgpr66
                                        ; implicit-def: $sgpr10
	s_cbranch_execnz .LBB861_139
.LBB861_71:
	v_mov_b32_e32 v68, s10
	s_and_saveexec_b64 s[4:5], s[2:3]
.LBB861_72:
	v_cndmask_b32_e64 v68, 0, 1, s[0:1]
.LBB861_73:
	s_or_b64 exec, exec, s[4:5]
	s_cmp_eq_u64 s[46:47], 0
	v_add3_u32 v6, v66, v68, v65
	s_cselect_b64 s[38:39], -1, 0
	s_cmp_lg_u32 s6, 0
	v_cmp_eq_u32_e64 s[24:25], 0, v66
	v_cmp_eq_u32_e64 s[22:23], 0, v65
	;; [unrolled: 1-line block ×3, first 2 shown]
	v_add3_u32 v79, v6, v64, v63
	v_cmp_eq_u32_e64 s[18:19], 0, v63
	v_cmp_eq_u32_e64 s[16:17], 0, v62
	;; [unrolled: 1-line block ×10, first 2 shown]
	v_cmp_eq_u32_e32 vcc, 0, v15
	v_mbcnt_lo_u32_b32 v78, -1, 0
	v_lshrrev_b32_e32 v76, 6, v0
	v_or_b32_e32 v77, 63, v0
	s_cbranch_scc0 .LBB861_104
; %bb.74:
	v_cndmask_b32_e64 v6, 0, v24, s[24:25]
	v_add_u32_e32 v6, v6, v75
	v_cndmask_b32_e64 v6, 0, v6, s[22:23]
	v_add_u32_e32 v6, v6, v25
	;; [unrolled: 2-line block ×11, first 2 shown]
	v_cndmask_b32_e64 v6, 0, v6, s[2:3]
	v_add3_u32 v7, v79, v62, v61
	v_add_u32_e32 v6, v6, v16
	v_add3_u32 v7, v7, v60, v59
	v_cndmask_b32_e64 v6, 0, v6, s[0:1]
	v_add3_u32 v7, v7, v58, v57
	v_add_u32_e32 v6, v6, v69
	v_add3_u32 v7, v7, v56, v55
	v_cndmask_b32_e32 v6, 0, v6, vcc
	v_add3_u32 v7, v7, v54, v15
	v_add_u32_e32 v6, v6, v17
	v_mbcnt_hi_u32_b32 v27, -1, v78
	v_and_b32_e32 v8, 15, v27
	v_mov_b32_dpp v10, v6 row_shr:1 row_mask:0xf bank_mask:0xf
	v_cmp_eq_u32_e32 vcc, 0, v7
	v_mov_b32_dpp v9, v7 row_shr:1 row_mask:0xf bank_mask:0xf
	v_cndmask_b32_e32 v10, 0, v10, vcc
	v_cmp_eq_u32_e32 vcc, 0, v8
	v_cndmask_b32_e64 v9, v9, 0, vcc
	v_add_u32_e32 v7, v9, v7
	v_cndmask_b32_e64 v9, v10, 0, vcc
	v_add_u32_e32 v6, v9, v6
	v_cmp_eq_u32_e32 vcc, 0, v7
	v_mov_b32_dpp v9, v7 row_shr:2 row_mask:0xf bank_mask:0xf
	v_cmp_lt_u32_e64 s[26:27], 1, v8
	v_mov_b32_dpp v10, v6 row_shr:2 row_mask:0xf bank_mask:0xf
	v_cndmask_b32_e64 v9, 0, v9, s[26:27]
	s_and_b64 vcc, s[26:27], vcc
	v_cndmask_b32_e32 v10, 0, v10, vcc
	v_add_u32_e32 v7, v7, v9
	v_add_u32_e32 v6, v10, v6
	v_cmp_eq_u32_e32 vcc, 0, v7
	v_mov_b32_dpp v9, v7 row_shr:4 row_mask:0xf bank_mask:0xf
	v_cmp_lt_u32_e64 s[26:27], 3, v8
	v_mov_b32_dpp v10, v6 row_shr:4 row_mask:0xf bank_mask:0xf
	v_cndmask_b32_e64 v9, 0, v9, s[26:27]
	s_and_b64 vcc, s[26:27], vcc
	v_cndmask_b32_e32 v10, 0, v10, vcc
	v_add_u32_e32 v7, v9, v7
	v_add_u32_e32 v6, v6, v10
	v_cmp_eq_u32_e32 vcc, 0, v7
	v_cmp_lt_u32_e64 s[26:27], 7, v8
	v_mov_b32_dpp v9, v7 row_shr:8 row_mask:0xf bank_mask:0xf
	v_mov_b32_dpp v10, v6 row_shr:8 row_mask:0xf bank_mask:0xf
	s_and_b64 vcc, s[26:27], vcc
	v_cndmask_b32_e64 v8, 0, v9, s[26:27]
	v_cndmask_b32_e32 v9, 0, v10, vcc
	v_add_u32_e32 v6, v9, v6
	v_add_u32_e32 v7, v8, v7
	v_bfe_i32 v10, v27, 4, 1
	v_mov_b32_dpp v9, v6 row_bcast:15 row_mask:0xf bank_mask:0xf
	v_mov_b32_dpp v8, v7 row_bcast:15 row_mask:0xf bank_mask:0xf
	v_cmp_eq_u32_e32 vcc, 0, v7
	v_cndmask_b32_e32 v9, 0, v9, vcc
	v_and_b32_e32 v8, v10, v8
	v_add_u32_e32 v7, v8, v7
	v_and_b32_e32 v8, v10, v9
	v_add_u32_e32 v8, v8, v6
	v_mov_b32_dpp v6, v7 row_bcast:31 row_mask:0xf bank_mask:0xf
	v_cmp_eq_u32_e32 vcc, 0, v7
	v_cmp_lt_u32_e64 s[26:27], 31, v27
	v_mov_b32_dpp v9, v8 row_bcast:31 row_mask:0xf bank_mask:0xf
	v_cndmask_b32_e64 v6, 0, v6, s[26:27]
	s_and_b64 vcc, s[26:27], vcc
	v_add_u32_e32 v6, v6, v7
	v_cndmask_b32_e32 v7, 0, v9, vcc
	v_add_u32_e32 v7, v7, v8
	v_cmp_eq_u32_e32 vcc, v77, v0
	v_lshlrev_b32_e32 v8, 3, v76
	s_and_saveexec_b64 s[26:27], vcc
	s_cbranch_execz .LBB861_76
; %bb.75:
	ds_write_b64 v8, v[6:7] offset:1040
.LBB861_76:
	s_or_b64 exec, exec, s[26:27]
	v_cmp_gt_u32_e32 vcc, 4, v0
	s_waitcnt lgkmcnt(0)
	s_barrier
	s_and_saveexec_b64 s[30:31], vcc
	s_cbranch_execz .LBB861_78
; %bb.77:
	v_lshlrev_b32_e32 v9, 3, v0
	ds_read_b64 v[10:11], v9 offset:1040
	v_and_b32_e32 v22, 3, v27
	v_cmp_lt_u32_e64 s[26:27], 1, v22
	s_waitcnt lgkmcnt(0)
	v_mov_b32_dpp v26, v11 row_shr:1 row_mask:0xf bank_mask:0xf
	v_cmp_eq_u32_e32 vcc, 0, v10
	v_mov_b32_dpp v23, v10 row_shr:1 row_mask:0xf bank_mask:0xf
	v_cndmask_b32_e32 v26, 0, v26, vcc
	v_cmp_eq_u32_e32 vcc, 0, v22
	v_cndmask_b32_e64 v23, v23, 0, vcc
	v_add_u32_e32 v10, v23, v10
	v_cndmask_b32_e64 v23, v26, 0, vcc
	v_add_u32_e32 v11, v23, v11
	v_cmp_eq_u32_e32 vcc, 0, v10
	v_mov_b32_dpp v23, v10 row_shr:2 row_mask:0xf bank_mask:0xf
	v_mov_b32_dpp v26, v11 row_shr:2 row_mask:0xf bank_mask:0xf
	v_cndmask_b32_e64 v22, 0, v23, s[26:27]
	s_and_b64 vcc, s[26:27], vcc
	v_add_u32_e32 v10, v22, v10
	v_cndmask_b32_e32 v22, 0, v26, vcc
	v_add_u32_e32 v11, v22, v11
	ds_write_b64 v9, v[10:11] offset:1040
.LBB861_78:
	s_or_b64 exec, exec, s[30:31]
	v_cmp_gt_u32_e32 vcc, 64, v0
	v_cmp_lt_u32_e64 s[26:27], 63, v0
	v_mov_b32_e32 v22, 0
	v_mov_b32_e32 v23, 0
	s_waitcnt lgkmcnt(0)
	s_barrier
	s_and_saveexec_b64 s[30:31], s[26:27]
	s_cbranch_execz .LBB861_80
; %bb.79:
	ds_read_b64 v[22:23], v8 offset:1032
	v_cmp_eq_u32_e64 s[26:27], 0, v6
	s_waitcnt lgkmcnt(0)
	v_add_u32_e32 v8, v22, v6
	v_cndmask_b32_e64 v6, 0, v23, s[26:27]
	v_add_u32_e32 v7, v6, v7
	v_mov_b32_e32 v6, v8
.LBB861_80:
	s_or_b64 exec, exec, s[30:31]
	v_add_u32_e32 v8, -1, v27
	v_and_b32_e32 v9, 64, v27
	v_cmp_lt_i32_e64 s[26:27], v8, v9
	v_cndmask_b32_e64 v8, v8, v27, s[26:27]
	v_lshlrev_b32_e32 v8, 2, v8
	ds_bpermute_b32 v32, v8, v6
	ds_bpermute_b32 v33, v8, v7
	v_cmp_eq_u32_e64 s[26:27], 0, v27
	s_and_saveexec_b64 s[40:41], vcc
	s_cbranch_execz .LBB861_103
; %bb.81:
	v_mov_b32_e32 v11, 0
	ds_read_b64 v[6:7], v11 offset:1064
	s_waitcnt lgkmcnt(0)
	v_readfirstlane_b32 s7, v6
	v_readfirstlane_b32 s48, v7
	s_and_saveexec_b64 s[30:31], s[26:27]
	s_cbranch_execz .LBB861_83
; %bb.82:
	s_add_i32 s46, s6, 64
	s_mov_b32 s47, 0
	s_lshl_b64 s[50:51], s[46:47], 4
	s_add_u32 s50, s44, s50
	s_addc_u32 s51, s45, s51
	s_and_b32 s57, s48, 0xff000000
	s_mov_b32 s56, s47
	s_and_b32 s63, s48, 0xff0000
	s_mov_b32 s62, s47
	s_or_b64 s[56:57], s[62:63], s[56:57]
	s_and_b32 s63, s48, 0xff00
	s_or_b64 s[56:57], s[56:57], s[62:63]
	s_and_b32 s63, s48, 0xff
	s_or_b64 s[46:47], s[56:57], s[62:63]
	v_mov_b32_e32 v8, s7
	v_mov_b32_e32 v9, s47
	;; [unrolled: 1-line block ×3, first 2 shown]
	v_pk_mov_b32 v[6:7], s[50:51], s[50:51] op_sel:[0,1]
	;;#ASMSTART
	global_store_dwordx4 v[6:7], v[8:11] off	
s_waitcnt vmcnt(0)
	;;#ASMEND
.LBB861_83:
	s_or_b64 exec, exec, s[30:31]
	v_xad_u32 v26, v27, -1, s6
	v_add_u32_e32 v10, 64, v26
	v_lshlrev_b64 v[6:7], 4, v[10:11]
	v_mov_b32_e32 v8, s45
	v_add_co_u32_e32 v28, vcc, s44, v6
	v_addc_co_u32_e32 v29, vcc, v8, v7, vcc
	;;#ASMSTART
	global_load_dwordx4 v[6:9], v[28:29] off glc	
s_waitcnt vmcnt(0)
	;;#ASMEND
	v_and_b32_e32 v9, 0xff, v7
	v_and_b32_e32 v10, 0xff00, v7
	;; [unrolled: 1-line block ×3, first 2 shown]
	v_or3_b32 v9, 0, v9, v10
	v_or3_b32 v6, v6, 0, 0
	v_and_b32_e32 v7, 0xff000000, v7
	v_or3_b32 v7, v9, v30, v7
	v_or3_b32 v6, v6, 0, 0
	v_cmp_eq_u16_sdwa s[46:47], v8, v11 src0_sel:BYTE_0 src1_sel:DWORD
	s_and_saveexec_b64 s[30:31], s[46:47]
	s_cbranch_execz .LBB861_89
; %bb.84:
	s_mov_b32 s49, 1
	s_mov_b64 s[46:47], 0
	v_mov_b32_e32 v10, 0
.LBB861_85:                             ; =>This Loop Header: Depth=1
                                        ;     Child Loop BB861_86 Depth 2
	s_max_u32 s50, s49, 1
.LBB861_86:                             ;   Parent Loop BB861_85 Depth=1
                                        ; =>  This Inner Loop Header: Depth=2
	s_add_i32 s50, s50, -1
	s_cmp_eq_u32 s50, 0
	s_sleep 1
	s_cbranch_scc0 .LBB861_86
; %bb.87:                               ;   in Loop: Header=BB861_85 Depth=1
	s_cmp_lt_u32 s49, 32
	s_cselect_b64 s[50:51], -1, 0
	s_cmp_lg_u64 s[50:51], 0
	s_addc_u32 s49, s49, 0
	;;#ASMSTART
	global_load_dwordx4 v[6:9], v[28:29] off glc	
s_waitcnt vmcnt(0)
	;;#ASMEND
	v_cmp_ne_u16_sdwa s[50:51], v8, v10 src0_sel:BYTE_0 src1_sel:DWORD
	s_or_b64 s[46:47], s[50:51], s[46:47]
	s_andn2_b64 exec, exec, s[46:47]
	s_cbranch_execnz .LBB861_85
; %bb.88:
	s_or_b64 exec, exec, s[46:47]
.LBB861_89:
	s_or_b64 exec, exec, s[30:31]
	v_mov_b32_e32 v34, 2
	v_cmp_eq_u16_sdwa s[30:31], v8, v34 src0_sel:BYTE_0 src1_sel:DWORD
	v_lshlrev_b64 v[28:29], v27, -1
	v_and_b32_e32 v9, s31, v29
	v_and_b32_e32 v35, 63, v27
	v_or_b32_e32 v9, 0x80000000, v9
	v_cmp_ne_u32_e32 vcc, 63, v35
	v_and_b32_e32 v10, s30, v28
	v_ffbl_b32_e32 v9, v9
	v_addc_co_u32_e32 v11, vcc, 0, v27, vcc
	v_add_u32_e32 v9, 32, v9
	v_ffbl_b32_e32 v10, v10
	v_lshlrev_b32_e32 v36, 2, v11
	v_min_u32_e32 v9, v10, v9
	ds_bpermute_b32 v10, v36, v7
	v_cmp_eq_u32_e32 vcc, 0, v6
	v_cmp_lt_u32_e64 s[30:31], v35, v9
	ds_bpermute_b32 v11, v36, v6
	s_and_b64 vcc, s[30:31], vcc
	s_waitcnt lgkmcnt(1)
	v_cndmask_b32_e32 v10, 0, v10, vcc
	v_cmp_gt_u32_e32 vcc, 62, v35
	v_add_u32_e32 v7, v10, v7
	v_cndmask_b32_e64 v10, 0, 1, vcc
	v_lshlrev_b32_e32 v10, 1, v10
	v_add_lshl_u32 v37, v10, v27, 2
	s_waitcnt lgkmcnt(0)
	v_cndmask_b32_e64 v11, 0, v11, s[30:31]
	ds_bpermute_b32 v10, v37, v7
	v_add_u32_e32 v6, v11, v6
	ds_bpermute_b32 v11, v37, v6
	v_add_u32_e32 v38, 2, v35
	v_cmp_eq_u32_e32 vcc, 0, v6
	s_waitcnt lgkmcnt(1)
	v_cndmask_b32_e32 v10, 0, v10, vcc
	v_cmp_gt_u32_e32 vcc, v38, v9
	v_cndmask_b32_e64 v10, v10, 0, vcc
	v_add_u32_e32 v7, v10, v7
	s_waitcnt lgkmcnt(0)
	v_cndmask_b32_e64 v10, v11, 0, vcc
	v_cmp_gt_u32_e32 vcc, 60, v35
	v_cndmask_b32_e64 v11, 0, 1, vcc
	v_lshlrev_b32_e32 v11, 2, v11
	v_add_lshl_u32 v39, v11, v27, 2
	ds_bpermute_b32 v11, v39, v7
	v_add_u32_e32 v6, v6, v10
	ds_bpermute_b32 v10, v39, v6
	v_add_u32_e32 v40, 4, v35
	v_cmp_eq_u32_e32 vcc, 0, v6
	s_waitcnt lgkmcnt(1)
	v_cndmask_b32_e32 v11, 0, v11, vcc
	v_cmp_gt_u32_e32 vcc, v40, v9
	v_cndmask_b32_e64 v11, v11, 0, vcc
	s_waitcnt lgkmcnt(0)
	v_cndmask_b32_e64 v10, v10, 0, vcc
	v_cmp_gt_u32_e32 vcc, 56, v35
	v_add_u32_e32 v7, v7, v11
	v_cndmask_b32_e64 v11, 0, 1, vcc
	v_lshlrev_b32_e32 v11, 3, v11
	v_add_lshl_u32 v41, v11, v27, 2
	ds_bpermute_b32 v11, v41, v7
	v_add_u32_e32 v6, v6, v10
	ds_bpermute_b32 v10, v41, v6
	v_add_u32_e32 v42, 8, v35
	v_cmp_eq_u32_e32 vcc, 0, v6
	s_waitcnt lgkmcnt(1)
	v_cndmask_b32_e32 v11, 0, v11, vcc
	v_cmp_gt_u32_e32 vcc, v42, v9
	v_cndmask_b32_e64 v11, v11, 0, vcc
	s_waitcnt lgkmcnt(0)
	v_cndmask_b32_e64 v10, v10, 0, vcc
	v_cmp_gt_u32_e32 vcc, 48, v35
	v_add_u32_e32 v7, v7, v11
	;; [unrolled: 16-line block ×3, first 2 shown]
	v_cndmask_b32_e64 v11, 0, 1, vcc
	v_lshlrev_b32_e32 v11, 5, v11
	v_add_lshl_u32 v45, v11, v27, 2
	ds_bpermute_b32 v11, v45, v7
	v_add_u32_e32 v6, v6, v10
	ds_bpermute_b32 v10, v45, v6
	v_add_u32_e32 v46, 32, v35
	v_cmp_eq_u32_e32 vcc, 0, v6
	s_waitcnt lgkmcnt(1)
	v_cndmask_b32_e32 v11, 0, v11, vcc
	v_cmp_gt_u32_e32 vcc, v46, v9
	v_cndmask_b32_e64 v9, v11, 0, vcc
	v_add_u32_e32 v7, v9, v7
	s_waitcnt lgkmcnt(0)
	v_cndmask_b32_e64 v9, v10, 0, vcc
	v_add_u32_e32 v6, v9, v6
	v_mov_b32_e32 v27, 0
	s_branch .LBB861_91
.LBB861_90:                             ;   in Loop: Header=BB861_91 Depth=1
	s_or_b64 exec, exec, s[30:31]
	v_cmp_eq_u16_sdwa s[30:31], v8, v34 src0_sel:BYTE_0 src1_sel:DWORD
	v_and_b32_e32 v9, s31, v29
	v_or_b32_e32 v9, 0x80000000, v9
	v_and_b32_e32 v30, s30, v28
	v_ffbl_b32_e32 v9, v9
	v_add_u32_e32 v9, 32, v9
	v_ffbl_b32_e32 v30, v30
	v_min_u32_e32 v9, v30, v9
	ds_bpermute_b32 v30, v36, v7
	v_cmp_eq_u32_e32 vcc, 0, v6
	v_cmp_lt_u32_e64 s[30:31], v35, v9
	ds_bpermute_b32 v31, v36, v6
	s_and_b64 vcc, s[30:31], vcc
	s_waitcnt lgkmcnt(1)
	v_cndmask_b32_e32 v30, 0, v30, vcc
	v_add_u32_e32 v7, v30, v7
	ds_bpermute_b32 v30, v37, v7
	s_waitcnt lgkmcnt(1)
	v_cndmask_b32_e64 v31, 0, v31, s[30:31]
	v_add_u32_e32 v6, v31, v6
	v_cmp_eq_u32_e32 vcc, 0, v6
	ds_bpermute_b32 v31, v37, v6
	s_waitcnt lgkmcnt(1)
	v_cndmask_b32_e32 v30, 0, v30, vcc
	v_cmp_gt_u32_e32 vcc, v38, v9
	v_cndmask_b32_e64 v30, v30, 0, vcc
	v_add_u32_e32 v7, v30, v7
	ds_bpermute_b32 v30, v39, v7
	s_waitcnt lgkmcnt(1)
	v_cndmask_b32_e64 v31, v31, 0, vcc
	v_add_u32_e32 v6, v6, v31
	v_cmp_eq_u32_e32 vcc, 0, v6
	ds_bpermute_b32 v31, v39, v6
	s_waitcnt lgkmcnt(1)
	v_cndmask_b32_e32 v30, 0, v30, vcc
	v_cmp_gt_u32_e32 vcc, v40, v9
	v_cndmask_b32_e64 v30, v30, 0, vcc
	v_add_u32_e32 v7, v7, v30
	ds_bpermute_b32 v30, v41, v7
	s_waitcnt lgkmcnt(1)
	v_cndmask_b32_e64 v31, v31, 0, vcc
	v_add_u32_e32 v6, v6, v31
	ds_bpermute_b32 v31, v41, v6
	v_cmp_eq_u32_e32 vcc, 0, v6
	s_waitcnt lgkmcnt(1)
	v_cndmask_b32_e32 v30, 0, v30, vcc
	v_cmp_gt_u32_e32 vcc, v42, v9
	v_cndmask_b32_e64 v30, v30, 0, vcc
	v_add_u32_e32 v7, v7, v30
	ds_bpermute_b32 v30, v43, v7
	s_waitcnt lgkmcnt(1)
	v_cndmask_b32_e64 v31, v31, 0, vcc
	v_add_u32_e32 v6, v6, v31
	ds_bpermute_b32 v31, v43, v6
	v_cmp_eq_u32_e32 vcc, 0, v6
	s_waitcnt lgkmcnt(1)
	v_cndmask_b32_e32 v30, 0, v30, vcc
	v_cmp_gt_u32_e32 vcc, v44, v9
	v_cndmask_b32_e64 v30, v30, 0, vcc
	v_add_u32_e32 v7, v7, v30
	ds_bpermute_b32 v30, v45, v7
	s_waitcnt lgkmcnt(1)
	v_cndmask_b32_e64 v31, v31, 0, vcc
	v_add_u32_e32 v6, v6, v31
	ds_bpermute_b32 v31, v45, v6
	v_cmp_eq_u32_e32 vcc, 0, v6
	s_waitcnt lgkmcnt(1)
	v_cndmask_b32_e32 v30, 0, v30, vcc
	v_cmp_gt_u32_e32 vcc, v46, v9
	v_cndmask_b32_e64 v9, v30, 0, vcc
	v_add_u32_e32 v7, v9, v7
	s_waitcnt lgkmcnt(0)
	v_cndmask_b32_e64 v9, v31, 0, vcc
	v_cmp_eq_u32_e32 vcc, 0, v10
	v_cndmask_b32_e32 v7, 0, v7, vcc
	v_subrev_u32_e32 v26, 64, v26
	v_add3_u32 v6, v6, v10, v9
	v_add_u32_e32 v7, v7, v11
.LBB861_91:                             ; =>This Loop Header: Depth=1
                                        ;     Child Loop BB861_94 Depth 2
                                        ;       Child Loop BB861_95 Depth 3
	v_cmp_ne_u16_sdwa s[30:31], v8, v34 src0_sel:BYTE_0 src1_sel:DWORD
	v_mov_b32_e32 v11, v7
	v_cndmask_b32_e64 v7, 0, 1, s[30:31]
	;;#ASMSTART
	;;#ASMEND
	v_cmp_ne_u32_e32 vcc, 0, v7
	s_cmp_lg_u64 vcc, exec
	v_mov_b32_e32 v10, v6
	s_cbranch_scc1 .LBB861_98
; %bb.92:                               ;   in Loop: Header=BB861_91 Depth=1
	v_lshlrev_b64 v[6:7], 4, v[26:27]
	v_mov_b32_e32 v8, s45
	v_add_co_u32_e32 v30, vcc, s44, v6
	v_addc_co_u32_e32 v31, vcc, v8, v7, vcc
	;;#ASMSTART
	global_load_dwordx4 v[6:9], v[30:31] off glc	
s_waitcnt vmcnt(0)
	;;#ASMEND
	v_and_b32_e32 v9, 0xff, v7
	v_and_b32_e32 v47, 0xff00, v7
	;; [unrolled: 1-line block ×3, first 2 shown]
	v_or3_b32 v9, 0, v9, v47
	v_or3_b32 v6, v6, 0, 0
	v_and_b32_e32 v7, 0xff000000, v7
	v_or3_b32 v7, v9, v48, v7
	v_or3_b32 v6, v6, 0, 0
	v_cmp_eq_u16_sdwa s[46:47], v8, v27 src0_sel:BYTE_0 src1_sel:DWORD
	s_and_saveexec_b64 s[30:31], s[46:47]
	s_cbranch_execz .LBB861_90
; %bb.93:                               ;   in Loop: Header=BB861_91 Depth=1
	s_mov_b32 s49, 1
	s_mov_b64 s[46:47], 0
.LBB861_94:                             ;   Parent Loop BB861_91 Depth=1
                                        ; =>  This Loop Header: Depth=2
                                        ;       Child Loop BB861_95 Depth 3
	s_max_u32 s50, s49, 1
.LBB861_95:                             ;   Parent Loop BB861_91 Depth=1
                                        ;     Parent Loop BB861_94 Depth=2
                                        ; =>    This Inner Loop Header: Depth=3
	s_add_i32 s50, s50, -1
	s_cmp_eq_u32 s50, 0
	s_sleep 1
	s_cbranch_scc0 .LBB861_95
; %bb.96:                               ;   in Loop: Header=BB861_94 Depth=2
	s_cmp_lt_u32 s49, 32
	s_cselect_b64 s[50:51], -1, 0
	s_cmp_lg_u64 s[50:51], 0
	s_addc_u32 s49, s49, 0
	;;#ASMSTART
	global_load_dwordx4 v[6:9], v[30:31] off glc	
s_waitcnt vmcnt(0)
	;;#ASMEND
	v_cmp_ne_u16_sdwa s[50:51], v8, v27 src0_sel:BYTE_0 src1_sel:DWORD
	s_or_b64 s[46:47], s[50:51], s[46:47]
	s_andn2_b64 exec, exec, s[46:47]
	s_cbranch_execnz .LBB861_94
; %bb.97:                               ;   in Loop: Header=BB861_91 Depth=1
	s_or_b64 exec, exec, s[46:47]
	s_branch .LBB861_90
.LBB861_98:                             ;   in Loop: Header=BB861_91 Depth=1
                                        ; implicit-def: $vgpr7
                                        ; implicit-def: $vgpr6
                                        ; implicit-def: $vgpr8
	s_cbranch_execz .LBB861_91
; %bb.99:
	s_and_saveexec_b64 s[30:31], s[26:27]
	s_cbranch_execz .LBB861_101
; %bb.100:
	s_cmp_eq_u32 s7, 0
	s_cselect_b64 vcc, -1, 0
	s_mov_b32 s47, 0
	v_cndmask_b32_e32 v6, 0, v11, vcc
	s_add_i32 s46, s6, 64
	v_add_u32_e32 v6, s48, v6
	s_lshl_b64 s[46:47], s[46:47], 4
	s_add_u32 s46, s44, s46
	v_and_b32_e32 v7, 0xff000000, v6
	v_and_b32_e32 v8, 0xff0000, v6
	s_addc_u32 s47, s45, s47
	v_or_b32_e32 v7, v8, v7
	v_and_b32_e32 v8, 0xff00, v6
	v_and_b32_e32 v6, 0xff, v6
	v_add_u32_e32 v26, s7, v10
	v_mov_b32_e32 v29, 0
	v_or3_b32 v27, v7, v8, v6
	v_mov_b32_e32 v28, 2
	v_pk_mov_b32 v[6:7], s[46:47], s[46:47] op_sel:[0,1]
	;;#ASMSTART
	global_store_dwordx4 v[6:7], v[26:29] off	
s_waitcnt vmcnt(0)
	;;#ASMEND
	v_mov_b32_e32 v8, s7
	v_mov_b32_e32 v9, s48
	ds_write_b128 v29, v[8:11] offset:1024
.LBB861_101:
	s_or_b64 exec, exec, s[30:31]
	v_cmp_eq_u32_e32 vcc, 0, v0
	s_and_b64 exec, exec, vcc
	s_cbranch_execz .LBB861_103
; %bb.102:
	v_mov_b32_e32 v6, 0
	ds_write_b64 v6, v[10:11] offset:1064
.LBB861_103:
	s_or_b64 exec, exec, s[40:41]
	v_mov_b32_e32 v8, 0
	s_waitcnt lgkmcnt(0)
	s_barrier
	ds_read_b64 v[6:7], v8 offset:1064
	v_cndmask_b32_e64 v10, v32, v22, s[26:27]
	v_cmp_eq_u32_e32 vcc, 0, v10
	v_cndmask_b32_e64 v9, v33, v23, s[26:27]
	s_waitcnt lgkmcnt(0)
	v_cndmask_b32_e32 v11, 0, v7, vcc
	v_add_u32_e32 v9, v11, v9
	v_cmp_eq_u32_e32 vcc, 0, v0
	v_cndmask_b32_e32 v53, v9, v7, vcc
	v_cndmask_b32_e64 v7, v10, 0, vcc
	v_cmp_eq_u32_e32 vcc, 0, v68
	v_add_u32_e32 v52, v6, v7
	v_cndmask_b32_e32 v6, 0, v53, vcc
	v_add_u32_e32 v51, v6, v24
	v_cndmask_b32_e64 v6, 0, v51, s[24:25]
	v_add_u32_e32 v49, v6, v75
	v_cndmask_b32_e64 v6, 0, v49, s[22:23]
	v_add_u32_e32 v47, v6, v25
	v_cndmask_b32_e64 v6, 0, v47, s[20:21]
	v_add_u32_e32 v45, v6, v74
	v_cndmask_b32_e64 v6, 0, v45, s[18:19]
	v_add_u32_e32 v43, v6, v20
	v_cndmask_b32_e64 v6, 0, v43, s[16:17]
	v_add_u32_e32 v41, v6, v73
	v_cndmask_b32_e64 v6, 0, v41, s[14:15]
	v_add_u32_e32 v39, v6, v21
	v_cndmask_b32_e64 v6, 0, v39, s[12:13]
	v_add_u32_e32 v37, v6, v72
	v_cndmask_b32_e64 v6, 0, v37, s[10:11]
	v_add_u32_e32 v50, v52, v68
	v_add_u32_e32 v35, v6, v18
	v_add_u32_e32 v48, v50, v66
	v_cndmask_b32_e64 v6, 0, v35, s[8:9]
	v_add_u32_e32 v46, v48, v65
	v_add_u32_e32 v33, v6, v71
	v_add_u32_e32 v44, v46, v64
	v_cndmask_b32_e64 v6, 0, v33, s[28:29]
	;; [unrolled: 4-line block ×3, first 2 shown]
	v_add_u32_e32 v38, v40, v61
	v_add_u32_e32 v29, v6, v70
	s_barrier
	ds_read_b128 v[6:9], v8 offset:1024
	v_add_u32_e32 v36, v38, v60
	v_add_u32_e32 v34, v36, v59
	;; [unrolled: 1-line block ×4, first 2 shown]
	v_cndmask_b32_e64 v10, 0, v29, s[2:3]
	v_add_u32_e32 v28, v30, v56
	v_add_u32_e32 v27, v10, v16
	s_waitcnt lgkmcnt(0)
	v_cmp_eq_u32_e32 vcc, 0, v6
	v_add_u32_e32 v26, v28, v55
	v_cndmask_b32_e64 v10, 0, v27, s[0:1]
	v_cndmask_b32_e32 v9, 0, v9, vcc
	v_add_u32_e32 v22, v26, v54
	v_add_u32_e32 v23, v10, v69
	v_add_u32_e32 v67, v9, v7
	s_branch .LBB861_116
.LBB861_104:
                                        ; implicit-def: $vgpr6
                                        ; implicit-def: $vgpr67
                                        ; implicit-def: $vgpr52_vgpr53
                                        ; implicit-def: $vgpr50_vgpr51
                                        ; implicit-def: $vgpr48_vgpr49
                                        ; implicit-def: $vgpr46_vgpr47
                                        ; implicit-def: $vgpr44_vgpr45
                                        ; implicit-def: $vgpr42_vgpr43
                                        ; implicit-def: $vgpr40_vgpr41
                                        ; implicit-def: $vgpr38_vgpr39
                                        ; implicit-def: $vgpr36_vgpr37
                                        ; implicit-def: $vgpr34_vgpr35
                                        ; implicit-def: $vgpr32_vgpr33
                                        ; implicit-def: $vgpr30_vgpr31
                                        ; implicit-def: $vgpr28_vgpr29
                                        ; implicit-def: $vgpr26_vgpr27
                                        ; implicit-def: $vgpr22_vgpr23
	s_cbranch_execz .LBB861_116
; %bb.105:
	s_and_b64 s[0:1], s[38:39], exec
	s_cselect_b32 s1, 0, s61
	s_cselect_b32 s0, 0, s60
	s_cmp_eq_u64 s[0:1], 0
	v_mov_b32_e32 v10, v24
	s_cbranch_scc1 .LBB861_107
; %bb.106:
	v_mov_b32_e32 v6, 0
	global_load_dword v10, v6, s[0:1]
.LBB861_107:
	v_cmp_eq_u32_e64 s[0:1], 0, v66
	v_cndmask_b32_e64 v6, 0, v24, s[0:1]
	v_add_u32_e32 v6, v6, v75
	v_cmp_eq_u32_e64 s[2:3], 0, v65
	v_cndmask_b32_e64 v6, 0, v6, s[2:3]
	v_add_u32_e32 v6, v6, v25
	;; [unrolled: 3-line block ×11, first 2 shown]
	v_cmp_eq_u32_e64 s[22:23], 0, v55
	v_cndmask_b32_e64 v6, 0, v6, s[22:23]
	v_add3_u32 v7, v79, v62, v61
	v_add_u32_e32 v6, v6, v16
	v_cmp_eq_u32_e32 vcc, 0, v54
	v_add3_u32 v7, v7, v60, v59
	v_cndmask_b32_e32 v6, 0, v6, vcc
	v_add3_u32 v7, v7, v58, v57
	v_add_u32_e32 v6, v6, v69
	v_cmp_eq_u32_e64 s[24:25], 0, v15
	v_add3_u32 v7, v7, v56, v55
	v_cndmask_b32_e64 v6, 0, v6, s[24:25]
	v_add3_u32 v7, v7, v54, v15
	v_add_u32_e32 v6, v6, v17
	v_mbcnt_hi_u32_b32 v11, -1, v78
	v_and_b32_e32 v8, 15, v11
	v_mov_b32_dpp v17, v6 row_shr:1 row_mask:0xf bank_mask:0xf
	v_cmp_eq_u32_e64 s[24:25], 0, v7
	v_mov_b32_dpp v9, v7 row_shr:1 row_mask:0xf bank_mask:0xf
	v_cndmask_b32_e64 v17, 0, v17, s[24:25]
	v_cmp_eq_u32_e64 s[24:25], 0, v8
	v_cndmask_b32_e64 v9, v9, 0, s[24:25]
	v_add_u32_e32 v7, v9, v7
	v_cndmask_b32_e64 v9, v17, 0, s[24:25]
	v_add_u32_e32 v6, v9, v6
	v_cmp_eq_u32_e64 s[24:25], 0, v7
	v_mov_b32_dpp v9, v7 row_shr:2 row_mask:0xf bank_mask:0xf
	v_cmp_lt_u32_e64 s[26:27], 1, v8
	v_mov_b32_dpp v17, v6 row_shr:2 row_mask:0xf bank_mask:0xf
	v_cndmask_b32_e64 v9, 0, v9, s[26:27]
	s_and_b64 s[24:25], s[26:27], s[24:25]
	v_cndmask_b32_e64 v17, 0, v17, s[24:25]
	v_add_u32_e32 v7, v7, v9
	v_add_u32_e32 v6, v17, v6
	v_cmp_eq_u32_e64 s[24:25], 0, v7
	v_mov_b32_dpp v9, v7 row_shr:4 row_mask:0xf bank_mask:0xf
	v_cmp_lt_u32_e64 s[26:27], 3, v8
	v_mov_b32_dpp v17, v6 row_shr:4 row_mask:0xf bank_mask:0xf
	v_cndmask_b32_e64 v9, 0, v9, s[26:27]
	s_and_b64 s[24:25], s[26:27], s[24:25]
	v_cndmask_b32_e64 v17, 0, v17, s[24:25]
	v_add_u32_e32 v7, v9, v7
	v_add_u32_e32 v6, v6, v17
	v_cmp_eq_u32_e64 s[24:25], 0, v7
	v_cmp_lt_u32_e64 s[26:27], 7, v8
	v_mov_b32_dpp v9, v7 row_shr:8 row_mask:0xf bank_mask:0xf
	v_mov_b32_dpp v17, v6 row_shr:8 row_mask:0xf bank_mask:0xf
	s_and_b64 s[24:25], s[26:27], s[24:25]
	v_cndmask_b32_e64 v8, 0, v9, s[26:27]
	v_cndmask_b32_e64 v9, 0, v17, s[24:25]
	v_add_u32_e32 v6, v9, v6
	v_add_u32_e32 v7, v8, v7
	v_bfe_i32 v17, v11, 4, 1
	v_mov_b32_dpp v9, v6 row_bcast:15 row_mask:0xf bank_mask:0xf
	v_mov_b32_dpp v8, v7 row_bcast:15 row_mask:0xf bank_mask:0xf
	v_cmp_eq_u32_e64 s[24:25], 0, v7
	v_cndmask_b32_e64 v9, 0, v9, s[24:25]
	v_and_b32_e32 v8, v17, v8
	v_add_u32_e32 v7, v8, v7
	v_and_b32_e32 v8, v17, v9
	v_add_u32_e32 v8, v8, v6
	v_mov_b32_dpp v6, v7 row_bcast:31 row_mask:0xf bank_mask:0xf
	v_cmp_eq_u32_e64 s[24:25], 0, v7
	v_cmp_lt_u32_e64 s[26:27], 31, v11
	v_mov_b32_dpp v9, v8 row_bcast:31 row_mask:0xf bank_mask:0xf
	v_cndmask_b32_e64 v6, 0, v6, s[26:27]
	s_and_b64 s[24:25], s[26:27], s[24:25]
	v_add_u32_e32 v6, v6, v7
	v_cndmask_b32_e64 v7, 0, v9, s[24:25]
	v_add_u32_e32 v7, v7, v8
	v_cmp_eq_u32_e64 s[24:25], v77, v0
	s_and_saveexec_b64 s[26:27], s[24:25]
	s_cbranch_execz .LBB861_109
; %bb.108:
	v_lshlrev_b32_e32 v8, 3, v76
	ds_write_b64 v8, v[6:7] offset:1040
.LBB861_109:
	s_or_b64 exec, exec, s[26:27]
	v_cmp_gt_u32_e64 s[24:25], 4, v0
	s_waitcnt lgkmcnt(0)
	s_barrier
	s_and_saveexec_b64 s[28:29], s[24:25]
	s_cbranch_execz .LBB861_111
; %bb.110:
	v_lshlrev_b32_e32 v17, 3, v0
	ds_read_b64 v[8:9], v17 offset:1040
	v_and_b32_e32 v22, 3, v11
	v_cmp_lt_u32_e64 s[26:27], 1, v22
	s_waitcnt lgkmcnt(0)
	v_mov_b32_dpp v26, v9 row_shr:1 row_mask:0xf bank_mask:0xf
	v_cmp_eq_u32_e64 s[24:25], 0, v8
	v_mov_b32_dpp v23, v8 row_shr:1 row_mask:0xf bank_mask:0xf
	v_cndmask_b32_e64 v26, 0, v26, s[24:25]
	v_cmp_eq_u32_e64 s[24:25], 0, v22
	v_cndmask_b32_e64 v23, v23, 0, s[24:25]
	v_add_u32_e32 v8, v23, v8
	v_cndmask_b32_e64 v23, v26, 0, s[24:25]
	v_add_u32_e32 v9, v23, v9
	v_cmp_eq_u32_e64 s[24:25], 0, v8
	v_mov_b32_dpp v23, v8 row_shr:2 row_mask:0xf bank_mask:0xf
	v_mov_b32_dpp v26, v9 row_shr:2 row_mask:0xf bank_mask:0xf
	v_cndmask_b32_e64 v22, 0, v23, s[26:27]
	s_and_b64 s[24:25], s[26:27], s[24:25]
	v_add_u32_e32 v8, v22, v8
	v_cndmask_b32_e64 v22, 0, v26, s[24:25]
	v_add_u32_e32 v9, v22, v9
	ds_write_b64 v17, v[8:9] offset:1040
.LBB861_111:
	s_or_b64 exec, exec, s[28:29]
	v_cmp_lt_u32_e64 s[24:25], 63, v0
	v_mov_b32_e32 v17, 0
	v_mov_b32_e32 v8, 0
	s_waitcnt vmcnt(0)
	v_mov_b32_e32 v9, v10
	s_waitcnt lgkmcnt(0)
	s_barrier
	s_and_saveexec_b64 s[26:27], s[24:25]
	s_cbranch_execz .LBB861_113
; %bb.112:
	v_lshlrev_b32_e32 v8, 3, v76
	ds_read_b64 v[8:9], v8 offset:1032
	s_waitcnt lgkmcnt(0)
	v_cmp_eq_u32_e64 s[24:25], 0, v8
	v_cndmask_b32_e64 v22, 0, v10, s[24:25]
	v_add_u32_e32 v9, v22, v9
.LBB861_113:
	s_or_b64 exec, exec, s[26:27]
	v_cmp_eq_u32_e64 s[24:25], 0, v6
	v_add_u32_e32 v22, v8, v6
	v_cndmask_b32_e64 v6, 0, v9, s[24:25]
	v_add_u32_e32 v6, v6, v7
	v_add_u32_e32 v7, -1, v11
	v_and_b32_e32 v23, 64, v11
	v_cmp_lt_i32_e64 s[24:25], v7, v23
	v_cndmask_b32_e64 v7, v7, v11, s[24:25]
	v_lshlrev_b32_e32 v7, 2, v7
	ds_bpermute_b32 v22, v7, v22
	ds_bpermute_b32 v6, v7, v6
	v_cmp_eq_u32_e64 s[24:25], 0, v11
	v_cmp_eq_u32_e64 s[26:27], 0, v68
	s_waitcnt lgkmcnt(1)
	v_cndmask_b32_e64 v7, v22, v8, s[24:25]
	s_waitcnt lgkmcnt(0)
	v_cndmask_b32_e64 v6, v6, v9, s[24:25]
	v_cmp_eq_u32_e64 s[24:25], 0, v0
	v_cndmask_b32_e64 v53, v6, v10, s[24:25]
	v_cndmask_b32_e64 v6, 0, v53, s[26:27]
	v_add_u32_e32 v51, v6, v24
	v_cndmask_b32_e64 v6, 0, v51, s[0:1]
	v_add_u32_e32 v49, v6, v75
	;; [unrolled: 2-line block ×8, first 2 shown]
	v_cndmask_b32_e64 v52, v7, 0, s[24:25]
	v_cndmask_b32_e64 v6, 0, v37, s[14:15]
	v_add_u32_e32 v50, v52, v68
	v_add_u32_e32 v35, v6, v18
	v_add_u32_e32 v48, v50, v66
	v_cndmask_b32_e64 v6, 0, v35, s[16:17]
	v_add_u32_e32 v46, v48, v65
	v_add_u32_e32 v33, v6, v71
	v_add_u32_e32 v44, v46, v64
	;; [unrolled: 4-line block ×3, first 2 shown]
	v_cndmask_b32_e64 v6, 0, v31, s[20:21]
	v_add_u32_e32 v38, v40, v61
	v_add_u32_e32 v29, v6, v70
	ds_read_b64 v[6:7], v17 offset:1064
	v_add_u32_e32 v36, v38, v60
	v_add_u32_e32 v34, v36, v59
	;; [unrolled: 1-line block ×3, first 2 shown]
	v_cndmask_b32_e64 v8, 0, v29, s[22:23]
	v_add_u32_e32 v30, v32, v57
	v_add_u32_e32 v27, v8, v16
	;; [unrolled: 1-line block ×3, first 2 shown]
	v_cndmask_b32_e32 v8, 0, v27, vcc
	s_waitcnt lgkmcnt(0)
	v_cmp_eq_u32_e32 vcc, 0, v6
	v_add_u32_e32 v26, v28, v55
	v_add_u32_e32 v23, v8, v69
	v_cndmask_b32_e32 v8, 0, v10, vcc
	v_add_u32_e32 v22, v26, v54
	v_add_u32_e32 v67, v8, v7
	s_and_saveexec_b64 s[0:1], s[24:25]
	s_cbranch_execz .LBB861_115
; %bb.114:
	s_add_u32 s2, s44, 0x400
	v_and_b32_e32 v7, 0xff000000, v67
	v_and_b32_e32 v8, 0xff0000, v67
	s_addc_u32 s3, s45, 0
	v_or_b32_e32 v7, v8, v7
	v_and_b32_e32 v8, 0xff00, v67
	v_and_b32_e32 v10, 0xff, v67
	v_mov_b32_e32 v9, 0
	v_or3_b32 v7, v7, v8, v10
	v_mov_b32_e32 v8, 2
	v_pk_mov_b32 v[10:11], s[2:3], s[2:3] op_sel:[0,1]
	;;#ASMSTART
	global_store_dwordx4 v[10:11], v[6:9] off	
s_waitcnt vmcnt(0)
	;;#ASMEND
.LBB861_115:
	s_or_b64 exec, exec, s[0:1]
	v_mov_b32_e32 v8, 0
.LBB861_116:
	s_and_b64 s[0:1], s[38:39], exec
	s_cselect_b32 s1, 0, s59
	s_cselect_b32 s0, 0, s58
	s_cmp_eq_u64 s[0:1], 0
	v_pk_mov_b32 v[16:17], 0, 0
	s_barrier
	s_cbranch_scc1 .LBB861_118
; %bb.117:
	v_mov_b32_e32 v7, 0
	global_load_dwordx2 v[16:17], v7, s[0:1]
.LBB861_118:
	s_waitcnt vmcnt(0)
	v_lshlrev_b64 v[10:11], 1, v[16:17]
	v_mov_b32_e32 v7, s43
	v_add_co_u32_e32 v18, vcc, s42, v10
	v_mov_b32_e32 v9, 0
	v_addc_co_u32_e32 v19, vcc, v7, v11, vcc
	v_lshlrev_b64 v[10:11], 1, v[8:9]
	v_add_co_u32_e32 v7, vcc, v18, v10
	v_addc_co_u32_e32 v18, vcc, v19, v11, vcc
	v_cmp_eq_u32_e32 vcc, 0, v68
	v_cndmask_b32_e64 v10, 1, 2, vcc
	v_cmp_eq_u32_e32 vcc, 0, v66
	v_cndmask_b32_e64 v11, 1, 2, vcc
	v_cmp_eq_u32_e32 vcc, 0, v65
	v_and_b32_e32 v10, v11, v10
	v_cndmask_b32_e64 v11, 1, 2, vcc
	v_cmp_eq_u32_e32 vcc, 0, v64
	v_and_b32_e32 v10, v10, v11
	;; [unrolled: 3-line block ×13, first 2 shown]
	v_cndmask_b32_e64 v11, 1, 2, vcc
	s_movk_i32 s30, 0x100
	v_and_b32_e32 v10, v10, v11
	v_cmp_gt_u32_e32 vcc, s30, v6
	v_cmp_ne_u32_e64 s[28:29], 0, v68
	v_cmp_ne_u32_e64 s[26:27], 0, v66
	;; [unrolled: 1-line block ×15, first 2 shown]
	s_mov_b64 s[38:39], -1
	v_cmp_gt_i16_e64 s[30:31], 2, v10
	s_cbranch_vccz .LBB861_167
; %bb.119:
	s_and_saveexec_b64 s[38:39], s[30:31]
	s_cbranch_execz .LBB861_166
; %bb.120:
	v_cmp_ne_u16_e32 vcc, 1, v10
	s_mov_b64 s[40:41], 0
	s_and_saveexec_b64 s[30:31], vcc
	s_xor_b64 s[30:31], exec, s[30:31]
	s_cbranch_execz .LBB861_144
; %bb.121:
	s_and_saveexec_b64 s[40:41], s[28:29]
	s_cbranch_execz .LBB861_149
; %bb.122:
	v_sub_u32_e32 v20, v52, v8
	v_mov_b32_e32 v21, 0
	v_lshlrev_b64 v[20:21], 1, v[20:21]
	v_add_co_u32_e32 v20, vcc, v7, v20
	v_addc_co_u32_e32 v21, vcc, v18, v21, vcc
	global_store_short v[20:21], v1, off
	s_or_b64 exec, exec, s[40:41]
	s_and_saveexec_b64 s[40:41], s[26:27]
	s_cbranch_execnz .LBB861_150
.LBB861_123:
	s_or_b64 exec, exec, s[40:41]
	s_and_saveexec_b64 s[40:41], s[24:25]
	s_cbranch_execz .LBB861_151
.LBB861_124:
	v_sub_u32_e32 v20, v48, v8
	v_mov_b32_e32 v21, 0
	v_lshlrev_b64 v[20:21], 1, v[20:21]
	v_add_co_u32_e32 v20, vcc, v7, v20
	v_addc_co_u32_e32 v21, vcc, v18, v21, vcc
	global_store_short_d16_hi v[20:21], v2, off
	s_or_b64 exec, exec, s[40:41]
	s_and_saveexec_b64 s[40:41], s[22:23]
	s_cbranch_execnz .LBB861_152
.LBB861_125:
	s_or_b64 exec, exec, s[40:41]
	s_and_saveexec_b64 s[40:41], s[20:21]
	s_cbranch_execz .LBB861_153
.LBB861_126:
	v_sub_u32_e32 v20, v44, v8
	v_mov_b32_e32 v21, 0
	v_lshlrev_b64 v[20:21], 1, v[20:21]
	v_add_co_u32_e32 v20, vcc, v7, v20
	v_addc_co_u32_e32 v21, vcc, v18, v21, vcc
	global_store_short_d16_hi v[20:21], v3, off
	s_or_b64 exec, exec, s[40:41]
	s_and_saveexec_b64 s[40:41], s[18:19]
	s_cbranch_execnz .LBB861_154
.LBB861_127:
	s_or_b64 exec, exec, s[40:41]
	s_and_saveexec_b64 s[40:41], s[16:17]
	s_cbranch_execz .LBB861_155
.LBB861_128:
	v_sub_u32_e32 v20, v40, v8
	v_mov_b32_e32 v21, 0
	v_lshlrev_b64 v[20:21], 1, v[20:21]
	v_add_co_u32_e32 v20, vcc, v7, v20
	v_addc_co_u32_e32 v21, vcc, v18, v21, vcc
	global_store_short_d16_hi v[20:21], v4, off
	s_or_b64 exec, exec, s[40:41]
	s_and_saveexec_b64 s[40:41], s[14:15]
	s_cbranch_execnz .LBB861_156
.LBB861_129:
	s_or_b64 exec, exec, s[40:41]
	s_and_saveexec_b64 s[40:41], s[12:13]
	s_cbranch_execz .LBB861_157
.LBB861_130:
	v_sub_u32_e32 v20, v36, v8
	v_mov_b32_e32 v21, 0
	v_lshlrev_b64 v[20:21], 1, v[20:21]
	v_add_co_u32_e32 v20, vcc, v7, v20
	v_addc_co_u32_e32 v21, vcc, v18, v21, vcc
	global_store_short_d16_hi v[20:21], v5, off
	s_or_b64 exec, exec, s[40:41]
	s_and_saveexec_b64 s[40:41], s[10:11]
	s_cbranch_execnz .LBB861_158
.LBB861_131:
	s_or_b64 exec, exec, s[40:41]
	s_and_saveexec_b64 s[40:41], s[8:9]
	s_cbranch_execz .LBB861_159
.LBB861_132:
	v_sub_u32_e32 v20, v32, v8
	v_mov_b32_e32 v21, 0
	v_lshlrev_b64 v[20:21], 1, v[20:21]
	v_add_co_u32_e32 v20, vcc, v7, v20
	v_addc_co_u32_e32 v21, vcc, v18, v21, vcc
	global_store_short_d16_hi v[20:21], v12, off
	s_or_b64 exec, exec, s[40:41]
	s_and_saveexec_b64 s[40:41], s[6:7]
	s_cbranch_execnz .LBB861_160
.LBB861_133:
	s_or_b64 exec, exec, s[40:41]
	s_and_saveexec_b64 s[40:41], s[4:5]
	s_cbranch_execz .LBB861_161
.LBB861_134:
	v_sub_u32_e32 v20, v28, v8
	v_mov_b32_e32 v21, 0
	v_lshlrev_b64 v[20:21], 1, v[20:21]
	v_add_co_u32_e32 v20, vcc, v7, v20
	v_addc_co_u32_e32 v21, vcc, v18, v21, vcc
	global_store_short_d16_hi v[20:21], v13, off
	s_or_b64 exec, exec, s[40:41]
	s_and_saveexec_b64 s[40:41], s[2:3]
	s_cbranch_execnz .LBB861_162
	s_branch .LBB861_163
.LBB861_135:
                                        ; implicit-def: $sgpr0_sgpr1
                                        ; implicit-def: $vgpr15
                                        ; implicit-def: $vgpr54
                                        ; implicit-def: $vgpr55
                                        ; implicit-def: $vgpr56
                                        ; implicit-def: $vgpr57
                                        ; implicit-def: $vgpr58
                                        ; implicit-def: $vgpr59
                                        ; implicit-def: $vgpr60
                                        ; implicit-def: $vgpr61
                                        ; implicit-def: $vgpr62
                                        ; implicit-def: $vgpr63
                                        ; implicit-def: $vgpr64
                                        ; implicit-def: $vgpr65
                                        ; implicit-def: $vgpr66
	s_cbranch_execz .LBB861_69
; %bb.136:
	v_cmp_ne_u16_sdwa s[0:1], v13, v14 src0_sel:WORD_1 src1_sel:DWORD
	v_cndmask_b32_e64 v54, 0, 1, s[0:1]
	v_cmp_ne_u16_sdwa s[0:1], v13, v13 src0_sel:DWORD src1_sel:WORD_1
	v_cndmask_b32_e64 v55, 0, 1, s[0:1]
	v_cmp_ne_u16_sdwa s[0:1], v12, v13 src0_sel:WORD_1 src1_sel:DWORD
	v_cndmask_b32_e64 v56, 0, 1, s[0:1]
	v_cmp_ne_u16_sdwa s[0:1], v12, v12 src0_sel:DWORD src1_sel:WORD_1
	v_cndmask_b32_e64 v57, 0, 1, s[0:1]
	;; [unrolled: 4-line block ×4, first 2 shown]
	v_cmp_ne_u16_sdwa s[0:1], v3, v4 src0_sel:WORD_1 src1_sel:DWORD
	v_lshrrev_b32_e32 v7, 16, v14
	v_cndmask_b32_e64 v62, 0, 1, s[0:1]
	v_cmp_ne_u16_sdwa s[0:1], v3, v3 src0_sel:DWORD src1_sel:WORD_1
	v_cmp_ne_u16_e32 vcc, v14, v7
	v_cndmask_b32_e64 v63, 0, 1, s[0:1]
	v_cmp_ne_u16_sdwa s[0:1], v2, v3 src0_sel:WORD_1 src1_sel:DWORD
	v_cndmask_b32_e64 v15, 0, 1, vcc
	v_cndmask_b32_e64 v64, 0, 1, s[0:1]
	v_cmp_ne_u16_sdwa s[0:1], v2, v2 src0_sel:DWORD src1_sel:WORD_1
	v_cmp_ne_u16_e32 vcc, v1, v2
	s_mov_b32 s10, 1
	v_lshlrev_b32_e32 v6, 1, v0
	v_cndmask_b32_e64 v65, 0, 1, s[0:1]
	v_cndmask_b32_e64 v66, 0, 1, vcc
	v_cmp_ne_u32_e32 vcc, 0, v0
	ds_write_b16 v6, v7
	s_waitcnt lgkmcnt(0)
	s_barrier
	s_waitcnt lgkmcnt(0)
                                        ; implicit-def: $sgpr0_sgpr1
	s_and_saveexec_b64 s[8:9], vcc
	s_xor_b64 s[8:9], exec, s[8:9]
	s_cbranch_execz .LBB861_138
; %bb.137:
	v_add_u32_e32 v6, -2, v6
	ds_read_u16 v6, v6
	s_or_b64 s[2:3], s[2:3], exec
	s_waitcnt lgkmcnt(0)
	v_cmp_ne_u16_e32 vcc, v6, v1
	s_and_b64 s[0:1], vcc, exec
.LBB861_138:
	s_or_b64 exec, exec, s[8:9]
	s_branch .LBB861_71
.LBB861_139:
	s_mul_hi_u32 s1, s38, 0xfffff100
	s_mul_i32 s0, s39, 0xfffff100
	s_sub_i32 s1, s1, s38
	s_add_i32 s1, s1, s0
	s_mul_i32 s0, s38, 0xfffff100
	s_add_u32 s8, s0, s56
	s_addc_u32 s9, s1, s57
	s_and_b64 vcc, exec, s[4:5]
	s_cbranch_vccz .LBB861_146
; %bb.140:
	v_mov_b32_e32 v7, s48
	v_add_co_u32_e64 v6, vcc, -2, s7
	v_addc_co_u32_e32 v7, vcc, -1, v7, vcc
	flat_load_ushort v10, v[6:7]
	v_lshrrev_b32_e32 v11, 16, v14
	v_mad_u32_u24 v8, v0, 15, 14
	v_mov_b32_e32 v9, 0
	v_cmp_gt_u64_e32 vcc, s[8:9], v[8:9]
	v_cmp_ne_u16_e64 s[0:1], v14, v11
	v_mad_u32_u24 v8, v0, 15, 13
	s_and_b64 s[2:3], vcc, s[0:1]
	v_cmp_gt_u64_e32 vcc, s[8:9], v[8:9]
	v_cmp_ne_u16_sdwa s[0:1], v13, v14 src0_sel:WORD_1 src1_sel:DWORD
	v_mad_u32_u24 v8, v0, 15, 12
	s_and_b64 s[4:5], vcc, s[0:1]
	v_cmp_gt_u64_e32 vcc, s[8:9], v[8:9]
	v_cmp_ne_u16_sdwa s[0:1], v13, v13 src0_sel:DWORD src1_sel:WORD_1
	v_mad_u32_u24 v8, v0, 15, 11
	s_and_b64 s[10:11], vcc, s[0:1]
	v_cmp_gt_u64_e32 vcc, s[8:9], v[8:9]
	v_cmp_ne_u16_sdwa s[0:1], v12, v13 src0_sel:WORD_1 src1_sel:DWORD
	v_mad_u32_u24 v8, v0, 15, 10
	s_and_b64 s[12:13], vcc, s[0:1]
	v_cmp_gt_u64_e32 vcc, s[8:9], v[8:9]
	v_cmp_ne_u16_sdwa s[0:1], v12, v12 src0_sel:DWORD src1_sel:WORD_1
	;; [unrolled: 8-line block ×6, first 2 shown]
	v_mad_u32_u24 v8, v0, 15, 1
	s_and_b64 s[30:31], vcc, s[0:1]
	v_cmp_gt_u64_e32 vcc, s[8:9], v[8:9]
	v_cmp_ne_u16_e64 s[0:1], v1, v2
	v_lshlrev_b32_e32 v7, 1, v0
	v_mul_u32_u24_e32 v6, 15, v0
	s_and_b64 s[0:1], vcc, s[0:1]
	v_cmp_ne_u32_e32 vcc, 0, v0
	ds_write_b16 v7, v11
	s_waitcnt lgkmcnt(0)
	s_barrier
	s_and_saveexec_b64 s[38:39], vcc
	s_cbranch_execz .LBB861_142
; %bb.141:
	v_add_u32_e32 v7, -2, v7
	s_waitcnt vmcnt(0)
	ds_read_u16 v10, v7
.LBB861_142:
	s_or_b64 exec, exec, s[38:39]
	v_mov_b32_e32 v7, v9
	v_cndmask_b32_e64 v66, 0, 1, s[0:1]
	v_cmp_gt_u64_e32 vcc, s[8:9], v[6:7]
	s_waitcnt vmcnt(0) lgkmcnt(0)
	v_cmp_ne_u16_e64 s[0:1], v10, v1
	v_cndmask_b32_e64 v15, 0, 1, s[2:3]
	v_cndmask_b32_e64 v54, 0, 1, s[4:5]
	;; [unrolled: 1-line block ×13, first 2 shown]
	s_and_b64 s[0:1], vcc, s[0:1]
	s_mov_b64 s[2:3], -1
.LBB861_143:
                                        ; implicit-def: $sgpr10
	v_mov_b32_e32 v68, s10
	s_and_saveexec_b64 s[4:5], s[2:3]
	s_cbranch_execnz .LBB861_72
	s_branch .LBB861_73
.LBB861_144:
	s_andn2_saveexec_b64 s[30:31], s[30:31]
	s_cbranch_execz .LBB861_164
.LBB861_145:
	v_sub_u32_e32 v20, v52, v8
	v_mov_b32_e32 v21, 0
	v_lshlrev_b64 v[24:25], 1, v[20:21]
	v_add_co_u32_e32 v24, vcc, v7, v24
	v_addc_co_u32_e32 v25, vcc, v18, v25, vcc
	v_sub_u32_e32 v20, v50, v8
	global_store_short v[24:25], v1, off
	v_lshlrev_b64 v[24:25], 1, v[20:21]
	v_add_co_u32_e32 v24, vcc, v7, v24
	v_addc_co_u32_e32 v25, vcc, v18, v25, vcc
	v_sub_u32_e32 v20, v48, v8
	global_store_short v[24:25], v2, off
	v_lshlrev_b64 v[24:25], 1, v[20:21]
	v_add_co_u32_e32 v24, vcc, v7, v24
	v_addc_co_u32_e32 v25, vcc, v18, v25, vcc
	v_sub_u32_e32 v20, v46, v8
	global_store_short_d16_hi v[24:25], v2, off
	v_lshlrev_b64 v[24:25], 1, v[20:21]
	v_add_co_u32_e32 v24, vcc, v7, v24
	v_addc_co_u32_e32 v25, vcc, v18, v25, vcc
	v_sub_u32_e32 v20, v44, v8
	global_store_short v[24:25], v3, off
	v_lshlrev_b64 v[24:25], 1, v[20:21]
	v_add_co_u32_e32 v24, vcc, v7, v24
	v_addc_co_u32_e32 v25, vcc, v18, v25, vcc
	v_sub_u32_e32 v20, v42, v8
	global_store_short_d16_hi v[24:25], v3, off
	;; [unrolled: 10-line block ×5, first 2 shown]
	v_lshlrev_b64 v[24:25], 1, v[20:21]
	v_add_co_u32_e32 v24, vcc, v7, v24
	v_addc_co_u32_e32 v25, vcc, v18, v25, vcc
	v_sub_u32_e32 v20, v28, v8
	global_store_short v[24:25], v13, off
	v_lshlrev_b64 v[24:25], 1, v[20:21]
	v_add_co_u32_e32 v24, vcc, v7, v24
	v_sub_u32_e32 v20, v26, v8
	v_addc_co_u32_e32 v25, vcc, v18, v25, vcc
	v_lshlrev_b64 v[20:21], 1, v[20:21]
	v_add_co_u32_e32 v20, vcc, v7, v20
	v_addc_co_u32_e32 v21, vcc, v18, v21, vcc
	s_or_b64 s[40:41], s[40:41], exec
	global_store_short_d16_hi v[24:25], v13, off
	global_store_short v[20:21], v14, off
	s_or_b64 exec, exec, s[30:31]
	s_and_b64 exec, exec, s[40:41]
	s_cbranch_execnz .LBB861_165
	s_branch .LBB861_166
.LBB861_146:
                                        ; implicit-def: $sgpr0_sgpr1
                                        ; implicit-def: $vgpr15
                                        ; implicit-def: $vgpr54
                                        ; implicit-def: $vgpr55
                                        ; implicit-def: $vgpr56
                                        ; implicit-def: $vgpr57
                                        ; implicit-def: $vgpr58
                                        ; implicit-def: $vgpr59
                                        ; implicit-def: $vgpr60
                                        ; implicit-def: $vgpr61
                                        ; implicit-def: $vgpr62
                                        ; implicit-def: $vgpr63
                                        ; implicit-def: $vgpr64
                                        ; implicit-def: $vgpr65
                                        ; implicit-def: $vgpr66
	s_cbranch_execz .LBB861_143
; %bb.147:
	v_lshrrev_b32_e32 v9, 16, v14
	v_mad_u32_u24 v6, v0, 15, 14
	v_mov_b32_e32 v7, 0
	v_cmp_gt_u64_e32 vcc, s[8:9], v[6:7]
	v_cmp_ne_u16_e64 s[0:1], v14, v9
	s_and_b64 s[0:1], vcc, s[0:1]
	v_mad_u32_u24 v6, v0, 15, 13
	v_cndmask_b32_e64 v15, 0, 1, s[0:1]
	v_cmp_gt_u64_e32 vcc, s[8:9], v[6:7]
	v_cmp_ne_u16_sdwa s[0:1], v13, v14 src0_sel:WORD_1 src1_sel:DWORD
	s_and_b64 s[0:1], vcc, s[0:1]
	v_mad_u32_u24 v6, v0, 15, 12
	v_cndmask_b32_e64 v54, 0, 1, s[0:1]
	v_cmp_gt_u64_e32 vcc, s[8:9], v[6:7]
	v_cmp_ne_u16_sdwa s[0:1], v13, v13 src0_sel:DWORD src1_sel:WORD_1
	s_and_b64 s[0:1], vcc, s[0:1]
	v_mad_u32_u24 v6, v0, 15, 11
	v_cndmask_b32_e64 v55, 0, 1, s[0:1]
	v_cmp_gt_u64_e32 vcc, s[8:9], v[6:7]
	v_cmp_ne_u16_sdwa s[0:1], v12, v13 src0_sel:WORD_1 src1_sel:DWORD
	s_and_b64 s[0:1], vcc, s[0:1]
	v_mad_u32_u24 v6, v0, 15, 10
	v_cndmask_b32_e64 v56, 0, 1, s[0:1]
	v_cmp_gt_u64_e32 vcc, s[8:9], v[6:7]
	v_cmp_ne_u16_sdwa s[0:1], v12, v12 src0_sel:DWORD src1_sel:WORD_1
	;; [unrolled: 10-line block ×6, first 2 shown]
	s_and_b64 s[0:1], vcc, s[0:1]
	v_mad_u32_u24 v6, v0, 15, 1
	v_cndmask_b32_e64 v65, 0, 1, s[0:1]
	v_cmp_gt_u64_e32 vcc, s[8:9], v[6:7]
	v_cmp_ne_u16_e64 s[0:1], v1, v2
	s_and_b64 s[0:1], vcc, s[0:1]
	s_mov_b32 s10, 1
	v_lshlrev_b32_e32 v8, 1, v0
	v_cndmask_b32_e64 v66, 0, 1, s[0:1]
	v_cmp_ne_u32_e32 vcc, 0, v0
	ds_write_b16 v8, v9
	s_waitcnt lgkmcnt(0)
	s_barrier
	s_waitcnt lgkmcnt(0)
                                        ; implicit-def: $sgpr0_sgpr1
	s_and_saveexec_b64 s[4:5], vcc
	s_cbranch_execz .LBB861_186
; %bb.148:
	v_add_u32_e32 v6, -2, v8
	ds_read_u16 v8, v6
	v_mul_u32_u24_e32 v6, 15, v0
	v_cmp_gt_u64_e32 vcc, s[8:9], v[6:7]
	s_or_b64 s[2:3], s[2:3], exec
	s_waitcnt lgkmcnt(0)
	v_cmp_ne_u16_e64 s[0:1], v8, v1
	s_and_b64 s[0:1], vcc, s[0:1]
	s_and_b64 s[0:1], s[0:1], exec
	s_or_b64 exec, exec, s[4:5]
	v_mov_b32_e32 v68, s10
	s_and_saveexec_b64 s[4:5], s[2:3]
	s_cbranch_execz .LBB861_73
	s_branch .LBB861_72
.LBB861_149:
	s_or_b64 exec, exec, s[40:41]
	s_and_saveexec_b64 s[40:41], s[26:27]
	s_cbranch_execz .LBB861_123
.LBB861_150:
	v_sub_u32_e32 v20, v50, v8
	v_mov_b32_e32 v21, 0
	v_lshlrev_b64 v[20:21], 1, v[20:21]
	v_add_co_u32_e32 v20, vcc, v7, v20
	v_addc_co_u32_e32 v21, vcc, v18, v21, vcc
	global_store_short v[20:21], v2, off
	s_or_b64 exec, exec, s[40:41]
	s_and_saveexec_b64 s[40:41], s[24:25]
	s_cbranch_execnz .LBB861_124
.LBB861_151:
	s_or_b64 exec, exec, s[40:41]
	s_and_saveexec_b64 s[40:41], s[22:23]
	s_cbranch_execz .LBB861_125
.LBB861_152:
	v_sub_u32_e32 v20, v46, v8
	v_mov_b32_e32 v21, 0
	v_lshlrev_b64 v[20:21], 1, v[20:21]
	v_add_co_u32_e32 v20, vcc, v7, v20
	v_addc_co_u32_e32 v21, vcc, v18, v21, vcc
	global_store_short v[20:21], v3, off
	s_or_b64 exec, exec, s[40:41]
	s_and_saveexec_b64 s[40:41], s[20:21]
	s_cbranch_execnz .LBB861_126
.LBB861_153:
	s_or_b64 exec, exec, s[40:41]
	s_and_saveexec_b64 s[40:41], s[18:19]
	s_cbranch_execz .LBB861_127
.LBB861_154:
	v_sub_u32_e32 v20, v42, v8
	v_mov_b32_e32 v21, 0
	v_lshlrev_b64 v[20:21], 1, v[20:21]
	v_add_co_u32_e32 v20, vcc, v7, v20
	v_addc_co_u32_e32 v21, vcc, v18, v21, vcc
	global_store_short v[20:21], v4, off
	s_or_b64 exec, exec, s[40:41]
	s_and_saveexec_b64 s[40:41], s[16:17]
	s_cbranch_execnz .LBB861_128
.LBB861_155:
	s_or_b64 exec, exec, s[40:41]
	s_and_saveexec_b64 s[40:41], s[14:15]
	s_cbranch_execz .LBB861_129
.LBB861_156:
	v_sub_u32_e32 v20, v38, v8
	v_mov_b32_e32 v21, 0
	v_lshlrev_b64 v[20:21], 1, v[20:21]
	v_add_co_u32_e32 v20, vcc, v7, v20
	v_addc_co_u32_e32 v21, vcc, v18, v21, vcc
	global_store_short v[20:21], v5, off
	s_or_b64 exec, exec, s[40:41]
	s_and_saveexec_b64 s[40:41], s[12:13]
	s_cbranch_execnz .LBB861_130
.LBB861_157:
	s_or_b64 exec, exec, s[40:41]
	s_and_saveexec_b64 s[40:41], s[10:11]
	s_cbranch_execz .LBB861_131
.LBB861_158:
	v_sub_u32_e32 v20, v34, v8
	v_mov_b32_e32 v21, 0
	v_lshlrev_b64 v[20:21], 1, v[20:21]
	v_add_co_u32_e32 v20, vcc, v7, v20
	v_addc_co_u32_e32 v21, vcc, v18, v21, vcc
	global_store_short v[20:21], v12, off
	s_or_b64 exec, exec, s[40:41]
	s_and_saveexec_b64 s[40:41], s[8:9]
	s_cbranch_execnz .LBB861_132
.LBB861_159:
	s_or_b64 exec, exec, s[40:41]
	s_and_saveexec_b64 s[40:41], s[6:7]
	s_cbranch_execz .LBB861_133
.LBB861_160:
	v_sub_u32_e32 v20, v30, v8
	v_mov_b32_e32 v21, 0
	v_lshlrev_b64 v[20:21], 1, v[20:21]
	v_add_co_u32_e32 v20, vcc, v7, v20
	v_addc_co_u32_e32 v21, vcc, v18, v21, vcc
	global_store_short v[20:21], v13, off
	s_or_b64 exec, exec, s[40:41]
	s_and_saveexec_b64 s[40:41], s[4:5]
	s_cbranch_execnz .LBB861_134
.LBB861_161:
	s_or_b64 exec, exec, s[40:41]
	s_and_saveexec_b64 s[40:41], s[2:3]
	s_cbranch_execz .LBB861_163
.LBB861_162:
	v_sub_u32_e32 v20, v26, v8
	v_mov_b32_e32 v21, 0
	v_lshlrev_b64 v[20:21], 1, v[20:21]
	v_add_co_u32_e32 v20, vcc, v7, v20
	v_addc_co_u32_e32 v21, vcc, v18, v21, vcc
	global_store_short v[20:21], v14, off
.LBB861_163:
	s_or_b64 exec, exec, s[40:41]
	s_and_b64 s[40:41], s[0:1], exec
	s_andn2_saveexec_b64 s[30:31], s[30:31]
	s_cbranch_execnz .LBB861_145
.LBB861_164:
	s_or_b64 exec, exec, s[30:31]
	s_and_b64 exec, exec, s[40:41]
	s_cbranch_execz .LBB861_166
.LBB861_165:
	v_sub_u32_e32 v20, v22, v8
	v_mov_b32_e32 v21, 0
	v_lshlrev_b64 v[20:21], 1, v[20:21]
	v_add_co_u32_e32 v20, vcc, v7, v20
	v_addc_co_u32_e32 v21, vcc, v18, v21, vcc
	global_store_short_d16_hi v[20:21], v14, off
.LBB861_166:
	s_or_b64 exec, exec, s[38:39]
	s_mov_b64 s[38:39], 0
.LBB861_167:
	s_and_b64 vcc, exec, s[38:39]
	s_cbranch_vccz .LBB861_220
; %bb.168:
	v_cmp_gt_i16_e32 vcc, 2, v10
	s_and_saveexec_b64 s[30:31], vcc
	s_cbranch_execz .LBB861_204
; %bb.169:
	v_cmp_ne_u16_e32 vcc, 1, v10
	s_mov_b64 s[40:41], 0
	s_and_saveexec_b64 s[38:39], vcc
	s_xor_b64 s[38:39], exec, s[38:39]
	s_cbranch_execz .LBB861_184
; %bb.170:
	s_and_saveexec_b64 s[40:41], s[28:29]
	s_cbranch_execz .LBB861_187
; %bb.171:
	v_sub_u32_e32 v10, v52, v8
	v_lshlrev_b32_e32 v10, 1, v10
	ds_write_b16 v10, v1
	s_or_b64 exec, exec, s[40:41]
	s_and_saveexec_b64 s[28:29], s[26:27]
	s_cbranch_execnz .LBB861_188
.LBB861_172:
	s_or_b64 exec, exec, s[28:29]
	s_and_saveexec_b64 s[26:27], s[24:25]
	s_cbranch_execz .LBB861_189
.LBB861_173:
	v_sub_u32_e32 v1, v48, v8
	v_lshlrev_b32_e32 v1, 1, v1
	ds_write_b16_d16_hi v1, v2
	s_or_b64 exec, exec, s[26:27]
	s_and_saveexec_b64 s[24:25], s[22:23]
	s_cbranch_execnz .LBB861_190
.LBB861_174:
	s_or_b64 exec, exec, s[24:25]
	s_and_saveexec_b64 s[22:23], s[20:21]
	s_cbranch_execz .LBB861_191
.LBB861_175:
	v_sub_u32_e32 v1, v44, v8
	v_lshlrev_b32_e32 v1, 1, v1
	ds_write_b16_d16_hi v1, v3
	s_or_b64 exec, exec, s[22:23]
	s_and_saveexec_b64 s[20:21], s[18:19]
	s_cbranch_execnz .LBB861_192
.LBB861_176:
	s_or_b64 exec, exec, s[20:21]
	s_and_saveexec_b64 s[18:19], s[16:17]
	s_cbranch_execz .LBB861_193
.LBB861_177:
	v_sub_u32_e32 v1, v40, v8
	v_lshlrev_b32_e32 v1, 1, v1
	ds_write_b16_d16_hi v1, v4
	s_or_b64 exec, exec, s[18:19]
	s_and_saveexec_b64 s[16:17], s[14:15]
	s_cbranch_execnz .LBB861_194
.LBB861_178:
	s_or_b64 exec, exec, s[16:17]
	s_and_saveexec_b64 s[14:15], s[12:13]
	s_cbranch_execz .LBB861_195
.LBB861_179:
	v_sub_u32_e32 v1, v36, v8
	v_lshlrev_b32_e32 v1, 1, v1
	ds_write_b16_d16_hi v1, v5
	s_or_b64 exec, exec, s[14:15]
	s_and_saveexec_b64 s[12:13], s[10:11]
	s_cbranch_execnz .LBB861_196
.LBB861_180:
	s_or_b64 exec, exec, s[12:13]
	s_and_saveexec_b64 s[10:11], s[8:9]
	s_cbranch_execz .LBB861_197
.LBB861_181:
	v_sub_u32_e32 v1, v32, v8
	v_lshlrev_b32_e32 v1, 1, v1
	ds_write_b16_d16_hi v1, v12
	s_or_b64 exec, exec, s[10:11]
	s_and_saveexec_b64 s[8:9], s[6:7]
	s_cbranch_execnz .LBB861_198
.LBB861_182:
	s_or_b64 exec, exec, s[8:9]
	s_and_saveexec_b64 s[6:7], s[4:5]
	s_cbranch_execz .LBB861_199
.LBB861_183:
	v_sub_u32_e32 v1, v28, v8
	v_lshlrev_b32_e32 v1, 1, v1
	ds_write_b16_d16_hi v1, v13
	s_or_b64 exec, exec, s[6:7]
	s_and_saveexec_b64 s[4:5], s[2:3]
	s_cbranch_execnz .LBB861_200
	s_branch .LBB861_201
.LBB861_184:
	s_andn2_saveexec_b64 s[0:1], s[38:39]
	s_cbranch_execz .LBB861_202
.LBB861_185:
	v_sub_u32_e32 v10, v52, v8
	v_lshlrev_b32_e32 v10, 1, v10
	ds_write_b16 v10, v1
	v_sub_u32_e32 v1, v50, v8
	v_lshlrev_b32_e32 v1, 1, v1
	ds_write_b16 v1, v2
	v_sub_u32_e32 v1, v48, v8
	v_lshlrev_b32_e32 v1, 1, v1
	ds_write_b16_d16_hi v1, v2
	v_sub_u32_e32 v1, v46, v8
	v_lshlrev_b32_e32 v1, 1, v1
	ds_write_b16 v1, v3
	v_sub_u32_e32 v1, v44, v8
	v_lshlrev_b32_e32 v1, 1, v1
	ds_write_b16_d16_hi v1, v3
	;; [unrolled: 6-line block ×6, first 2 shown]
	v_sub_u32_e32 v1, v26, v8
	v_lshlrev_b32_e32 v1, 1, v1
	s_or_b64 s[40:41], s[40:41], exec
	ds_write_b16 v1, v14
	s_or_b64 exec, exec, s[0:1]
	s_and_b64 exec, exec, s[40:41]
	s_cbranch_execnz .LBB861_203
	s_branch .LBB861_204
.LBB861_186:
	s_or_b64 exec, exec, s[4:5]
	v_mov_b32_e32 v68, s10
	s_and_saveexec_b64 s[4:5], s[2:3]
	s_cbranch_execnz .LBB861_72
	s_branch .LBB861_73
.LBB861_187:
	s_or_b64 exec, exec, s[40:41]
	s_and_saveexec_b64 s[28:29], s[26:27]
	s_cbranch_execz .LBB861_172
.LBB861_188:
	v_sub_u32_e32 v1, v50, v8
	v_lshlrev_b32_e32 v1, 1, v1
	ds_write_b16 v1, v2
	s_or_b64 exec, exec, s[28:29]
	s_and_saveexec_b64 s[26:27], s[24:25]
	s_cbranch_execnz .LBB861_173
.LBB861_189:
	s_or_b64 exec, exec, s[26:27]
	s_and_saveexec_b64 s[24:25], s[22:23]
	s_cbranch_execz .LBB861_174
.LBB861_190:
	v_sub_u32_e32 v1, v46, v8
	v_lshlrev_b32_e32 v1, 1, v1
	ds_write_b16 v1, v3
	s_or_b64 exec, exec, s[24:25]
	s_and_saveexec_b64 s[22:23], s[20:21]
	s_cbranch_execnz .LBB861_175
.LBB861_191:
	s_or_b64 exec, exec, s[22:23]
	s_and_saveexec_b64 s[20:21], s[18:19]
	s_cbranch_execz .LBB861_176
.LBB861_192:
	v_sub_u32_e32 v1, v42, v8
	v_lshlrev_b32_e32 v1, 1, v1
	ds_write_b16 v1, v4
	s_or_b64 exec, exec, s[20:21]
	s_and_saveexec_b64 s[18:19], s[16:17]
	s_cbranch_execnz .LBB861_177
.LBB861_193:
	s_or_b64 exec, exec, s[18:19]
	s_and_saveexec_b64 s[16:17], s[14:15]
	s_cbranch_execz .LBB861_178
.LBB861_194:
	v_sub_u32_e32 v1, v38, v8
	v_lshlrev_b32_e32 v1, 1, v1
	ds_write_b16 v1, v5
	s_or_b64 exec, exec, s[16:17]
	s_and_saveexec_b64 s[14:15], s[12:13]
	s_cbranch_execnz .LBB861_179
.LBB861_195:
	s_or_b64 exec, exec, s[14:15]
	s_and_saveexec_b64 s[12:13], s[10:11]
	s_cbranch_execz .LBB861_180
.LBB861_196:
	v_sub_u32_e32 v1, v34, v8
	v_lshlrev_b32_e32 v1, 1, v1
	ds_write_b16 v1, v12
	s_or_b64 exec, exec, s[12:13]
	s_and_saveexec_b64 s[10:11], s[8:9]
	s_cbranch_execnz .LBB861_181
.LBB861_197:
	s_or_b64 exec, exec, s[10:11]
	s_and_saveexec_b64 s[8:9], s[6:7]
	s_cbranch_execz .LBB861_182
.LBB861_198:
	v_sub_u32_e32 v1, v30, v8
	v_lshlrev_b32_e32 v1, 1, v1
	ds_write_b16 v1, v13
	s_or_b64 exec, exec, s[8:9]
	s_and_saveexec_b64 s[6:7], s[4:5]
	s_cbranch_execnz .LBB861_183
.LBB861_199:
	s_or_b64 exec, exec, s[6:7]
	s_and_saveexec_b64 s[4:5], s[2:3]
	s_cbranch_execz .LBB861_201
.LBB861_200:
	v_sub_u32_e32 v1, v26, v8
	v_lshlrev_b32_e32 v1, 1, v1
	ds_write_b16 v1, v14
.LBB861_201:
	s_or_b64 exec, exec, s[4:5]
	s_and_b64 s[40:41], s[0:1], exec
                                        ; implicit-def: $vgpr1
                                        ; implicit-def: $vgpr2
	s_andn2_saveexec_b64 s[0:1], s[38:39]
	s_cbranch_execnz .LBB861_185
.LBB861_202:
	s_or_b64 exec, exec, s[0:1]
	s_and_b64 exec, exec, s[40:41]
	s_cbranch_execz .LBB861_204
.LBB861_203:
	v_sub_u32_e32 v1, v22, v8
	v_lshlrev_b32_e32 v1, 1, v1
	ds_write_b16_d16_hi v1, v14
.LBB861_204:
	s_or_b64 exec, exec, s[30:31]
	v_cmp_lt_u32_e32 vcc, v0, v6
	s_waitcnt lgkmcnt(0)
	s_barrier
	s_and_saveexec_b64 s[2:3], vcc
	s_cbranch_execz .LBB861_219
; %bb.205:
	v_xad_u32 v1, v0, -1, v6
	s_movk_i32 s0, 0x1700
	v_cmp_gt_u32_e64 s[4:5], s0, v1
	s_movk_i32 s0, 0x16ff
	v_cmp_lt_u32_e32 vcc, s0, v1
	v_mov_b32_e32 v2, v0
	s_and_saveexec_b64 s[6:7], vcc
	s_cbranch_execz .LBB861_216
; %bb.206:
	v_sub_u32_e32 v2, v0, v6
	v_or_b32_e32 v2, 0xff, v2
	v_cmp_ge_u32_e32 vcc, v2, v0
	s_mov_b64 s[0:1], -1
	v_mov_b32_e32 v2, v0
	s_and_saveexec_b64 s[8:9], vcc
	s_cbranch_execz .LBB861_215
; %bb.207:
	v_lshrrev_b32_e32 v14, 8, v1
	v_or_b32_e32 v3, 0x300, v0
	v_or_b32_e32 v2, 0x200, v0
	v_add_u32_e32 v4, -3, v14
	v_or_b32_e32 v1, 0x100, v0
	v_lshrrev_b32_e32 v5, 2, v4
	v_pk_mov_b32 v[12:13], v[2:3], v[2:3] op_sel:[0,1]
	v_add_u32_e32 v20, 1, v5
	v_cmp_lt_u32_e32 vcc, 11, v4
	v_mov_b32_e32 v25, 0
	v_lshlrev_b32_e32 v19, 1, v0
	v_pk_mov_b32 v[10:11], v[0:1], v[0:1] op_sel:[0,1]
	s_and_saveexec_b64 s[10:11], vcc
	s_cbranch_execz .LBB861_211
; %bb.208:
	v_pk_mov_b32 v[12:13], v[2:3], v[2:3] op_sel:[0,1]
	v_and_b32_e32 v21, 0x7ffffffc, v20
	s_mov_b32 s14, 0
	s_mov_b64 s[12:13], 0
	v_mov_b32_e32 v5, 0
	v_mov_b32_e32 v24, v19
	v_pk_mov_b32 v[10:11], v[0:1], v[0:1] op_sel:[0,1]
.LBB861_209:                            ; =>This Inner Loop Header: Depth=1
	v_mov_b32_e32 v4, v10
	v_lshlrev_b64 v[86:87], 1, v[4:5]
	v_add_u32_e32 v72, 0x400, v11
	v_mov_b32_e32 v73, v5
	v_add_co_u32_e64 v86, s[0:1], v7, v86
	v_lshlrev_b64 v[72:73], 1, v[72:73]
	v_addc_co_u32_e64 v87, s[0:1], v18, v87, s[0:1]
	v_add_u32_e32 v70, 0x400, v12
	v_mov_b32_e32 v71, v5
	v_add_co_u32_e64 v72, s[0:1], v7, v72
	v_lshlrev_b64 v[70:71], 1, v[70:71]
	v_addc_co_u32_e64 v73, s[0:1], v18, v73, s[0:1]
	v_add_u32_e32 v2, 0x400, v13
	v_mov_b32_e32 v3, v5
	v_add_co_u32_e64 v70, s[0:1], v7, v70
	v_add_u32_e32 v21, -4, v21
	v_mov_b32_e32 v4, v11
	v_lshlrev_b64 v[2:3], 1, v[2:3]
	v_addc_co_u32_e64 v71, s[0:1], v18, v71, s[0:1]
	v_add_u32_e32 v78, 0x800, v11
	v_mov_b32_e32 v79, v5
	s_add_i32 s14, s14, 16
	v_cmp_eq_u32_e32 vcc, 0, v21
	v_lshlrev_b64 v[88:89], 1, v[4:5]
	v_add_co_u32_e64 v2, s[0:1], v7, v2
	v_lshlrev_b64 v[78:79], 1, v[78:79]
	v_mov_b32_e32 v4, v12
	v_addc_co_u32_e64 v3, s[0:1], v18, v3, s[0:1]
	s_or_b64 s[12:13], vcc, s[12:13]
	v_add_co_u32_e32 v88, vcc, v7, v88
	v_add_u32_e32 v76, 0x800, v12
	v_mov_b32_e32 v77, v5
	v_add_co_u32_e64 v78, s[0:1], v7, v78
	v_addc_co_u32_e32 v89, vcc, v18, v89, vcc
	v_lshlrev_b64 v[90:91], 1, v[4:5]
	v_lshlrev_b64 v[76:77], 1, v[76:77]
	v_addc_co_u32_e64 v79, s[0:1], v18, v79, s[0:1]
	v_mov_b32_e32 v4, v13
	v_add_co_u32_e32 v90, vcc, v7, v90
	ds_read_u16 v1, v24
	ds_read_u16 v69, v24 offset:512
	ds_read_u16 v94, v24 offset:1024
	;; [unrolled: 1-line block ×7, first 2 shown]
	v_add_u32_e32 v74, 0x800, v13
	v_mov_b32_e32 v75, v5
	v_add_co_u32_e64 v76, s[0:1], v7, v76
	v_addc_co_u32_e32 v91, vcc, v18, v91, vcc
	v_lshlrev_b64 v[92:93], 1, v[4:5]
	v_lshlrev_b64 v[74:75], 1, v[74:75]
	v_addc_co_u32_e64 v77, s[0:1], v18, v77, s[0:1]
	v_add_u32_e32 v4, 0x400, v10
	v_add_co_u32_e32 v92, vcc, v7, v92
	v_add_u32_e32 v84, 0xc00, v11
	v_mov_b32_e32 v85, v5
	ds_read_u16 v100, v24 offset:4096
	ds_read_u16 v101, v24 offset:4608
	;; [unrolled: 1-line block ×8, first 2 shown]
	v_add_co_u32_e64 v74, s[0:1], v7, v74
	v_addc_co_u32_e32 v93, vcc, v18, v93, vcc
	s_waitcnt lgkmcnt(14)
	global_store_short v[86:87], v1, off
	global_store_short v[88:89], v69, off
	s_waitcnt lgkmcnt(13)
	global_store_short v[90:91], v94, off
	v_lshlrev_b64 v[86:87], 1, v[4:5]
	v_lshlrev_b64 v[84:85], 1, v[84:85]
	v_addc_co_u32_e64 v75, s[0:1], v18, v75, s[0:1]
	v_add_u32_e32 v4, 0x800, v10
	v_add_co_u32_e32 v86, vcc, v7, v86
	v_add_u32_e32 v82, 0xc00, v12
	v_mov_b32_e32 v83, v5
	v_add_co_u32_e64 v84, s[0:1], v7, v84
	v_addc_co_u32_e32 v87, vcc, v18, v87, vcc
	v_lshlrev_b64 v[88:89], 1, v[4:5]
	v_lshlrev_b64 v[82:83], 1, v[82:83]
	v_addc_co_u32_e64 v85, s[0:1], v18, v85, s[0:1]
	s_waitcnt lgkmcnt(12)
	global_store_short v[92:93], v95, off
	v_add_u32_e32 v4, 0xc00, v10
	s_waitcnt lgkmcnt(11)
	global_store_short v[86:87], v96, off
	s_waitcnt lgkmcnt(10)
	global_store_short v[72:73], v97, off
	;; [unrolled: 2-line block ×4, first 2 shown]
	v_add_co_u32_e32 v2, vcc, v7, v88
	v_add_u32_e32 v80, 0xc00, v13
	v_mov_b32_e32 v81, v5
	v_add_co_u32_e64 v82, s[0:1], v7, v82
	v_addc_co_u32_e32 v3, vcc, v18, v89, vcc
	v_lshlrev_b64 v[70:71], 1, v[4:5]
	v_lshlrev_b64 v[80:81], 1, v[80:81]
	v_addc_co_u32_e64 v83, s[0:1], v18, v83, s[0:1]
	s_waitcnt lgkmcnt(7)
	global_store_short v[2:3], v100, off
	s_waitcnt lgkmcnt(6)
	global_store_short v[78:79], v101, off
	s_waitcnt lgkmcnt(5)
	global_store_short v[76:77], v102, off
	s_waitcnt lgkmcnt(4)
	global_store_short v[74:75], v103, off
	v_add_co_u32_e32 v2, vcc, v7, v70
	v_add_u32_e32 v24, 0x2000, v24
	v_add_u32_e32 v11, 0x1000, v11
	v_mov_b32_e32 v25, s14
	v_add_co_u32_e64 v80, s[0:1], v7, v80
	v_add_u32_e32 v12, 0x1000, v12
	v_add_u32_e32 v13, 0x1000, v13
	;; [unrolled: 1-line block ×3, first 2 shown]
	v_addc_co_u32_e32 v3, vcc, v18, v71, vcc
	v_addc_co_u32_e64 v81, s[0:1], v18, v81, s[0:1]
	s_waitcnt lgkmcnt(3)
	global_store_short v[2:3], v104, off
	s_waitcnt lgkmcnt(2)
	global_store_short v[84:85], v105, off
	;; [unrolled: 2-line block ×4, first 2 shown]
	s_andn2_b64 exec, exec, s[12:13]
	s_cbranch_execnz .LBB861_209
; %bb.210:
	s_or_b64 exec, exec, s[12:13]
.LBB861_211:
	s_or_b64 exec, exec, s[10:11]
	v_and_b32_e32 v1, 3, v20
	v_cmp_ne_u32_e32 vcc, 0, v1
	s_and_saveexec_b64 s[10:11], vcc
	s_cbranch_execz .LBB861_214
; %bb.212:
	v_lshl_or_b32 v4, v25, 9, v19
	s_mov_b64 s[12:13], 0
	v_mov_b32_e32 v3, 0
.LBB861_213:                            ; =>This Inner Loop Header: Depth=1
	v_mov_b32_e32 v2, v10
	v_add_u32_e32 v1, -1, v1
	v_lshlrev_b64 v[20:21], 1, v[2:3]
	v_mov_b32_e32 v2, v11
	v_cmp_eq_u32_e32 vcc, 0, v1
	v_lshlrev_b64 v[24:25], 1, v[2:3]
	ds_read_u16 v5, v4
	ds_read_u16 v19, v4 offset:512
	ds_read_u16 v69, v4 offset:1024
	;; [unrolled: 1-line block ×3, first 2 shown]
	v_mov_b32_e32 v2, v12
	s_or_b64 s[12:13], vcc, s[12:13]
	v_add_co_u32_e32 v24, vcc, v7, v24
	v_addc_co_u32_e32 v25, vcc, v18, v25, vcc
	v_lshlrev_b64 v[70:71], 1, v[2:3]
	v_mov_b32_e32 v2, v13
	v_add_co_u32_e32 v70, vcc, v7, v70
	v_add_co_u32_e64 v20, s[0:1], v7, v20
	v_addc_co_u32_e32 v71, vcc, v18, v71, vcc
	v_lshlrev_b64 v[72:73], 1, v[2:3]
	v_add_u32_e32 v10, 0x400, v10
	v_add_u32_e32 v4, 0x800, v4
	;; [unrolled: 1-line block ×3, first 2 shown]
	v_addc_co_u32_e64 v21, s[0:1], v18, v21, s[0:1]
	v_add_u32_e32 v12, 0x400, v12
	v_add_u32_e32 v13, 0x400, v13
	v_add_co_u32_e32 v72, vcc, v7, v72
	v_addc_co_u32_e32 v73, vcc, v18, v73, vcc
	s_waitcnt lgkmcnt(3)
	global_store_short v[20:21], v5, off
	s_waitcnt lgkmcnt(2)
	global_store_short v[24:25], v19, off
	s_waitcnt lgkmcnt(1)
	global_store_short v[70:71], v69, off
	s_waitcnt lgkmcnt(0)
	global_store_short v[72:73], v74, off
	s_andn2_b64 exec, exec, s[12:13]
	s_cbranch_execnz .LBB861_213
.LBB861_214:
	s_or_b64 exec, exec, s[10:11]
	v_add_u32_e32 v1, 1, v14
	v_and_b32_e32 v3, 0x1fffffc, v1
	v_cmp_ne_u32_e32 vcc, v1, v3
	v_lshl_or_b32 v2, v3, 8, v0
	s_orn2_b64 s[0:1], vcc, exec
.LBB861_215:
	s_or_b64 exec, exec, s[8:9]
	s_andn2_b64 s[4:5], s[4:5], exec
	s_and_b64 s[0:1], s[0:1], exec
	s_or_b64 s[4:5], s[4:5], s[0:1]
.LBB861_216:
	s_or_b64 exec, exec, s[6:7]
	s_and_b64 exec, exec, s[4:5]
	s_cbranch_execz .LBB861_219
; %bb.217:
	v_lshlrev_b32_e32 v1, 1, v2
	s_mov_b64 s[0:1], 0
	v_mov_b32_e32 v3, 0
.LBB861_218:                            ; =>This Inner Loop Header: Depth=1
	v_lshlrev_b64 v[4:5], 1, v[2:3]
	ds_read_u16 v10, v1
	v_add_co_u32_e32 v4, vcc, v7, v4
	v_add_u32_e32 v2, 0x100, v2
	v_addc_co_u32_e32 v5, vcc, v18, v5, vcc
	v_cmp_ge_u32_e32 vcc, v2, v6
	v_add_u32_e32 v1, 0x200, v1
	s_or_b64 s[0:1], vcc, s[0:1]
	s_waitcnt lgkmcnt(0)
	global_store_short v[4:5], v10, off
	s_andn2_b64 exec, exec, s[0:1]
	s_cbranch_execnz .LBB861_218
.LBB861_219:
	s_or_b64 exec, exec, s[2:3]
.LBB861_220:
	s_cmpk_lg_i32 s33, 0xf00
	s_cselect_b64 s[0:1], -1, 0
	v_cndmask_b32_e64 v1, 0, 1, s[36:37]
	s_and_b64 s[0:1], s[34:35], s[0:1]
	v_cmp_eq_u32_e32 vcc, 0, v0
	v_sub_u32_e32 v3, v6, v1
	v_cndmask_b32_e64 v2, 0, 1, s[0:1]
	s_and_b64 s[0:1], vcc, s[36:37]
	v_add_u32_e32 v7, v3, v2
	v_cndmask_b32_e64 v3, v68, 0, s[0:1]
	s_mul_hi_u32 s0, s33, 0x88888889
	s_lshr_b32 s0, s0, 3
	v_mad_i32_i24 v4, v0, -15, s33
	v_cmp_eq_u32_e32 vcc, s0, v0
	v_cmp_ne_u32_e64 s[0:1], 0, v4
	v_cndmask_b32_e64 v5, 1, v3, s[0:1]
	v_cmp_ne_u32_e64 s[0:1], 1, v4
	v_cndmask_b32_e64 v10, 1, v66, s[0:1]
	;; [unrolled: 2-line block ×15, first 2 shown]
	s_and_b64 vcc, s[34:35], vcc
	v_cndmask_b32_e32 v15, v15, v4, vcc
	v_cndmask_b32_e32 v20, v59, v20, vcc
	;; [unrolled: 1-line block ×3, first 2 shown]
	v_lshlrev_b64 v[4:5], 2, v[16:17]
	v_cndmask_b32_e32 v54, v54, v69, vcc
	v_cndmask_b32_e32 v55, v55, v68, vcc
	;; [unrolled: 1-line block ×12, first 2 shown]
	v_mov_b32_e32 v3, s53
	v_add_co_u32_e32 v10, vcc, s52, v4
	v_addc_co_u32_e32 v3, vcc, v3, v5, vcc
	v_lshlrev_b64 v[4:5], 2, v[8:9]
	v_add_co_u32_e32 v9, vcc, v10, v4
	v_addc_co_u32_e32 v10, vcc, v3, v5, vcc
	v_lshlrev_b32_e32 v3, 2, v1
	v_add_co_u32_e32 v3, vcc, v3, v9
	v_addc_co_u32_e32 v4, vcc, 0, v10, vcc
	v_add_co_u32_e32 v11, vcc, -4, v3
	v_addc_co_u32_e32 v12, vcc, -1, v4, vcc
	v_cmp_eq_u32_e32 vcc, 0, v59
	v_cndmask_b32_e64 v4, 1, 2, vcc
	v_cmp_eq_u32_e32 vcc, 0, v58
	v_cndmask_b32_e64 v5, 1, 2, vcc
	v_cmp_eq_u32_e32 vcc, 0, v57
	v_and_b32_e32 v4, v5, v4
	v_cndmask_b32_e64 v5, 1, 2, vcc
	v_cmp_eq_u32_e32 vcc, 0, v56
	v_and_b32_e32 v4, v4, v5
	;; [unrolled: 3-line block ×13, first 2 shown]
	v_cndmask_b32_e64 v5, 1, 2, vcc
	s_movk_i32 s30, 0x100
	v_and_b32_e32 v4, v4, v5
	v_cmp_gt_u32_e32 vcc, s30, v7
	v_add_u32_e32 v3, v8, v1
	v_cmp_ne_u32_e64 s[28:29], 0, v59
	v_cmp_ne_u32_e64 s[26:27], 0, v58
	;; [unrolled: 1-line block ×15, first 2 shown]
	s_mov_b64 s[36:37], -1
	v_cmp_gt_i16_e64 s[30:31], 2, v4
	s_barrier
	s_cbranch_vccz .LBB861_257
; %bb.221:
	s_and_saveexec_b64 s[36:37], s[30:31]
	s_cbranch_execz .LBB861_256
; %bb.222:
	v_cmp_ne_u16_e32 vcc, 1, v4
	s_mov_b64 s[38:39], 0
	s_and_saveexec_b64 s[30:31], vcc
	s_xor_b64 s[30:31], exec, s[30:31]
	s_cbranch_execz .LBB861_237
; %bb.223:
	s_and_saveexec_b64 s[38:39], s[28:29]
	s_cbranch_execz .LBB861_239
; %bb.224:
	v_sub_u32_e32 v14, v52, v3
	v_mov_b32_e32 v15, 0
	v_lshlrev_b64 v[14:15], 2, v[14:15]
	v_add_co_u32_e32 v14, vcc, v11, v14
	v_addc_co_u32_e32 v15, vcc, v12, v15, vcc
	global_store_dword v[14:15], v53, off
	s_or_b64 exec, exec, s[38:39]
	s_and_saveexec_b64 s[38:39], s[26:27]
	s_cbranch_execnz .LBB861_240
.LBB861_225:
	s_or_b64 exec, exec, s[38:39]
	s_and_saveexec_b64 s[38:39], s[24:25]
	s_cbranch_execz .LBB861_241
.LBB861_226:
	v_sub_u32_e32 v14, v48, v3
	v_mov_b32_e32 v15, 0
	v_lshlrev_b64 v[14:15], 2, v[14:15]
	v_add_co_u32_e32 v14, vcc, v11, v14
	v_addc_co_u32_e32 v15, vcc, v12, v15, vcc
	global_store_dword v[14:15], v49, off
	s_or_b64 exec, exec, s[38:39]
	s_and_saveexec_b64 s[38:39], s[22:23]
	s_cbranch_execnz .LBB861_242
.LBB861_227:
	s_or_b64 exec, exec, s[38:39]
	s_and_saveexec_b64 s[38:39], s[20:21]
	s_cbranch_execz .LBB861_243
.LBB861_228:
	v_sub_u32_e32 v14, v44, v3
	v_mov_b32_e32 v15, 0
	v_lshlrev_b64 v[14:15], 2, v[14:15]
	v_add_co_u32_e32 v14, vcc, v11, v14
	v_addc_co_u32_e32 v15, vcc, v12, v15, vcc
	global_store_dword v[14:15], v45, off
	s_or_b64 exec, exec, s[38:39]
	s_and_saveexec_b64 s[38:39], s[18:19]
	s_cbranch_execnz .LBB861_244
.LBB861_229:
	s_or_b64 exec, exec, s[38:39]
	s_and_saveexec_b64 s[38:39], s[16:17]
	s_cbranch_execz .LBB861_245
.LBB861_230:
	v_sub_u32_e32 v14, v40, v3
	v_mov_b32_e32 v15, 0
	v_lshlrev_b64 v[14:15], 2, v[14:15]
	v_add_co_u32_e32 v14, vcc, v11, v14
	v_addc_co_u32_e32 v15, vcc, v12, v15, vcc
	global_store_dword v[14:15], v41, off
	s_or_b64 exec, exec, s[38:39]
	s_and_saveexec_b64 s[38:39], s[14:15]
	s_cbranch_execnz .LBB861_246
.LBB861_231:
	s_or_b64 exec, exec, s[38:39]
	s_and_saveexec_b64 s[38:39], s[12:13]
	s_cbranch_execz .LBB861_247
.LBB861_232:
	v_sub_u32_e32 v14, v36, v3
	v_mov_b32_e32 v15, 0
	v_lshlrev_b64 v[14:15], 2, v[14:15]
	v_add_co_u32_e32 v14, vcc, v11, v14
	v_addc_co_u32_e32 v15, vcc, v12, v15, vcc
	global_store_dword v[14:15], v37, off
	s_or_b64 exec, exec, s[38:39]
	s_and_saveexec_b64 s[38:39], s[10:11]
	s_cbranch_execnz .LBB861_248
.LBB861_233:
	s_or_b64 exec, exec, s[38:39]
	s_and_saveexec_b64 s[38:39], s[8:9]
	s_cbranch_execz .LBB861_249
.LBB861_234:
	v_sub_u32_e32 v14, v32, v3
	v_mov_b32_e32 v15, 0
	v_lshlrev_b64 v[14:15], 2, v[14:15]
	v_add_co_u32_e32 v14, vcc, v11, v14
	v_addc_co_u32_e32 v15, vcc, v12, v15, vcc
	global_store_dword v[14:15], v33, off
	s_or_b64 exec, exec, s[38:39]
	s_and_saveexec_b64 s[38:39], s[6:7]
	s_cbranch_execnz .LBB861_250
.LBB861_235:
	s_or_b64 exec, exec, s[38:39]
	s_and_saveexec_b64 s[38:39], s[4:5]
	s_cbranch_execz .LBB861_251
.LBB861_236:
	v_sub_u32_e32 v14, v28, v3
	v_mov_b32_e32 v15, 0
	v_lshlrev_b64 v[14:15], 2, v[14:15]
	v_add_co_u32_e32 v14, vcc, v11, v14
	v_addc_co_u32_e32 v15, vcc, v12, v15, vcc
	global_store_dword v[14:15], v29, off
	s_or_b64 exec, exec, s[38:39]
	s_and_saveexec_b64 s[38:39], s[2:3]
	s_cbranch_execnz .LBB861_252
	s_branch .LBB861_253
.LBB861_237:
	s_andn2_saveexec_b64 s[30:31], s[30:31]
	s_cbranch_execz .LBB861_254
.LBB861_238:
	v_sub_u32_e32 v14, v52, v3
	v_mov_b32_e32 v15, 0
	v_lshlrev_b64 v[18:19], 2, v[14:15]
	v_add_co_u32_e32 v18, vcc, v11, v18
	v_addc_co_u32_e32 v19, vcc, v12, v19, vcc
	v_sub_u32_e32 v14, v50, v3
	global_store_dword v[18:19], v53, off
	v_lshlrev_b64 v[18:19], 2, v[14:15]
	v_add_co_u32_e32 v18, vcc, v11, v18
	v_addc_co_u32_e32 v19, vcc, v12, v19, vcc
	v_sub_u32_e32 v14, v48, v3
	global_store_dword v[18:19], v51, off
	;; [unrolled: 5-line block ×12, first 2 shown]
	v_lshlrev_b64 v[18:19], 2, v[14:15]
	v_add_co_u32_e32 v18, vcc, v11, v18
	v_sub_u32_e32 v14, v26, v3
	v_addc_co_u32_e32 v19, vcc, v12, v19, vcc
	v_lshlrev_b64 v[14:15], 2, v[14:15]
	v_add_co_u32_e32 v14, vcc, v11, v14
	v_addc_co_u32_e32 v15, vcc, v12, v15, vcc
	s_or_b64 s[38:39], s[38:39], exec
	global_store_dword v[18:19], v29, off
	global_store_dword v[14:15], v27, off
	s_or_b64 exec, exec, s[30:31]
	s_and_b64 exec, exec, s[38:39]
	s_cbranch_execnz .LBB861_255
	s_branch .LBB861_256
.LBB861_239:
	s_or_b64 exec, exec, s[38:39]
	s_and_saveexec_b64 s[38:39], s[26:27]
	s_cbranch_execz .LBB861_225
.LBB861_240:
	v_sub_u32_e32 v14, v50, v3
	v_mov_b32_e32 v15, 0
	v_lshlrev_b64 v[14:15], 2, v[14:15]
	v_add_co_u32_e32 v14, vcc, v11, v14
	v_addc_co_u32_e32 v15, vcc, v12, v15, vcc
	global_store_dword v[14:15], v51, off
	s_or_b64 exec, exec, s[38:39]
	s_and_saveexec_b64 s[38:39], s[24:25]
	s_cbranch_execnz .LBB861_226
.LBB861_241:
	s_or_b64 exec, exec, s[38:39]
	s_and_saveexec_b64 s[38:39], s[22:23]
	s_cbranch_execz .LBB861_227
.LBB861_242:
	v_sub_u32_e32 v14, v46, v3
	v_mov_b32_e32 v15, 0
	v_lshlrev_b64 v[14:15], 2, v[14:15]
	v_add_co_u32_e32 v14, vcc, v11, v14
	v_addc_co_u32_e32 v15, vcc, v12, v15, vcc
	global_store_dword v[14:15], v47, off
	s_or_b64 exec, exec, s[38:39]
	s_and_saveexec_b64 s[38:39], s[20:21]
	s_cbranch_execnz .LBB861_228
.LBB861_243:
	s_or_b64 exec, exec, s[38:39]
	s_and_saveexec_b64 s[38:39], s[18:19]
	s_cbranch_execz .LBB861_229
.LBB861_244:
	v_sub_u32_e32 v14, v42, v3
	v_mov_b32_e32 v15, 0
	v_lshlrev_b64 v[14:15], 2, v[14:15]
	v_add_co_u32_e32 v14, vcc, v11, v14
	v_addc_co_u32_e32 v15, vcc, v12, v15, vcc
	global_store_dword v[14:15], v43, off
	s_or_b64 exec, exec, s[38:39]
	s_and_saveexec_b64 s[38:39], s[16:17]
	s_cbranch_execnz .LBB861_230
.LBB861_245:
	s_or_b64 exec, exec, s[38:39]
	s_and_saveexec_b64 s[38:39], s[14:15]
	s_cbranch_execz .LBB861_231
.LBB861_246:
	v_sub_u32_e32 v14, v38, v3
	v_mov_b32_e32 v15, 0
	v_lshlrev_b64 v[14:15], 2, v[14:15]
	v_add_co_u32_e32 v14, vcc, v11, v14
	v_addc_co_u32_e32 v15, vcc, v12, v15, vcc
	global_store_dword v[14:15], v39, off
	s_or_b64 exec, exec, s[38:39]
	s_and_saveexec_b64 s[38:39], s[12:13]
	s_cbranch_execnz .LBB861_232
.LBB861_247:
	s_or_b64 exec, exec, s[38:39]
	s_and_saveexec_b64 s[38:39], s[10:11]
	s_cbranch_execz .LBB861_233
.LBB861_248:
	v_sub_u32_e32 v14, v34, v3
	v_mov_b32_e32 v15, 0
	v_lshlrev_b64 v[14:15], 2, v[14:15]
	v_add_co_u32_e32 v14, vcc, v11, v14
	v_addc_co_u32_e32 v15, vcc, v12, v15, vcc
	global_store_dword v[14:15], v35, off
	s_or_b64 exec, exec, s[38:39]
	s_and_saveexec_b64 s[38:39], s[8:9]
	s_cbranch_execnz .LBB861_234
.LBB861_249:
	s_or_b64 exec, exec, s[38:39]
	s_and_saveexec_b64 s[38:39], s[6:7]
	s_cbranch_execz .LBB861_235
.LBB861_250:
	v_sub_u32_e32 v14, v30, v3
	v_mov_b32_e32 v15, 0
	v_lshlrev_b64 v[14:15], 2, v[14:15]
	v_add_co_u32_e32 v14, vcc, v11, v14
	v_addc_co_u32_e32 v15, vcc, v12, v15, vcc
	global_store_dword v[14:15], v31, off
	s_or_b64 exec, exec, s[38:39]
	s_and_saveexec_b64 s[38:39], s[4:5]
	s_cbranch_execnz .LBB861_236
.LBB861_251:
	s_or_b64 exec, exec, s[38:39]
	s_and_saveexec_b64 s[38:39], s[2:3]
	s_cbranch_execz .LBB861_253
.LBB861_252:
	v_sub_u32_e32 v14, v26, v3
	v_mov_b32_e32 v15, 0
	v_lshlrev_b64 v[14:15], 2, v[14:15]
	v_add_co_u32_e32 v14, vcc, v11, v14
	v_addc_co_u32_e32 v15, vcc, v12, v15, vcc
	global_store_dword v[14:15], v27, off
.LBB861_253:
	s_or_b64 exec, exec, s[38:39]
	s_and_b64 s[38:39], s[0:1], exec
	s_andn2_saveexec_b64 s[30:31], s[30:31]
	s_cbranch_execnz .LBB861_238
.LBB861_254:
	s_or_b64 exec, exec, s[30:31]
	s_and_b64 exec, exec, s[38:39]
	s_cbranch_execz .LBB861_256
.LBB861_255:
	v_sub_u32_e32 v14, v22, v3
	v_mov_b32_e32 v15, 0
	v_lshlrev_b64 v[14:15], 2, v[14:15]
	v_add_co_u32_e32 v14, vcc, v11, v14
	v_addc_co_u32_e32 v15, vcc, v12, v15, vcc
	global_store_dword v[14:15], v23, off
.LBB861_256:
	s_or_b64 exec, exec, s[36:37]
	s_mov_b64 s[36:37], 0
.LBB861_257:
	s_and_b64 vcc, exec, s[36:37]
	s_cbranch_vccz .LBB861_309
; %bb.258:
	v_cmp_gt_i16_e32 vcc, 2, v4
	s_and_saveexec_b64 s[30:31], vcc
	s_cbranch_execz .LBB861_293
; %bb.259:
	v_cmp_ne_u16_e32 vcc, 1, v4
	s_mov_b64 s[38:39], 0
	s_and_saveexec_b64 s[36:37], vcc
	s_xor_b64 s[36:37], exec, s[36:37]
	s_cbranch_execz .LBB861_274
; %bb.260:
	s_and_saveexec_b64 s[38:39], s[28:29]
	s_cbranch_execz .LBB861_276
; %bb.261:
	v_sub_u32_e32 v4, v52, v3
	v_lshlrev_b32_e32 v4, 2, v4
	ds_write_b32 v4, v53
	s_or_b64 exec, exec, s[38:39]
	s_and_saveexec_b64 s[28:29], s[26:27]
	s_cbranch_execnz .LBB861_277
.LBB861_262:
	s_or_b64 exec, exec, s[28:29]
	s_and_saveexec_b64 s[26:27], s[24:25]
	s_cbranch_execz .LBB861_278
.LBB861_263:
	v_sub_u32_e32 v4, v48, v3
	v_lshlrev_b32_e32 v4, 2, v4
	ds_write_b32 v4, v49
	s_or_b64 exec, exec, s[26:27]
	s_and_saveexec_b64 s[24:25], s[22:23]
	s_cbranch_execnz .LBB861_279
.LBB861_264:
	s_or_b64 exec, exec, s[24:25]
	s_and_saveexec_b64 s[22:23], s[20:21]
	s_cbranch_execz .LBB861_280
.LBB861_265:
	v_sub_u32_e32 v4, v44, v3
	v_lshlrev_b32_e32 v4, 2, v4
	ds_write_b32 v4, v45
	s_or_b64 exec, exec, s[22:23]
	s_and_saveexec_b64 s[20:21], s[18:19]
	s_cbranch_execnz .LBB861_281
.LBB861_266:
	s_or_b64 exec, exec, s[20:21]
	s_and_saveexec_b64 s[18:19], s[16:17]
	s_cbranch_execz .LBB861_282
.LBB861_267:
	v_sub_u32_e32 v4, v40, v3
	v_lshlrev_b32_e32 v4, 2, v4
	ds_write_b32 v4, v41
	s_or_b64 exec, exec, s[18:19]
	s_and_saveexec_b64 s[16:17], s[14:15]
	s_cbranch_execnz .LBB861_283
.LBB861_268:
	s_or_b64 exec, exec, s[16:17]
	s_and_saveexec_b64 s[14:15], s[12:13]
	s_cbranch_execz .LBB861_284
.LBB861_269:
	v_sub_u32_e32 v4, v36, v3
	v_lshlrev_b32_e32 v4, 2, v4
	ds_write_b32 v4, v37
	s_or_b64 exec, exec, s[14:15]
	s_and_saveexec_b64 s[12:13], s[10:11]
	s_cbranch_execnz .LBB861_285
.LBB861_270:
	s_or_b64 exec, exec, s[12:13]
	s_and_saveexec_b64 s[10:11], s[8:9]
	s_cbranch_execz .LBB861_286
.LBB861_271:
	v_sub_u32_e32 v4, v32, v3
	v_lshlrev_b32_e32 v4, 2, v4
	ds_write_b32 v4, v33
	s_or_b64 exec, exec, s[10:11]
	s_and_saveexec_b64 s[8:9], s[6:7]
	s_cbranch_execnz .LBB861_287
.LBB861_272:
	s_or_b64 exec, exec, s[8:9]
	s_and_saveexec_b64 s[6:7], s[4:5]
	s_cbranch_execz .LBB861_288
.LBB861_273:
	v_sub_u32_e32 v4, v28, v3
	v_lshlrev_b32_e32 v4, 2, v4
	ds_write_b32 v4, v29
	s_or_b64 exec, exec, s[6:7]
	s_and_saveexec_b64 s[4:5], s[2:3]
	s_cbranch_execnz .LBB861_289
	s_branch .LBB861_290
.LBB861_274:
	s_andn2_saveexec_b64 s[0:1], s[36:37]
	s_cbranch_execz .LBB861_291
.LBB861_275:
	v_sub_u32_e32 v4, v52, v3
	v_lshlrev_b32_e32 v4, 2, v4
	ds_write_b32 v4, v53
	v_sub_u32_e32 v4, v50, v3
	v_lshlrev_b32_e32 v4, 2, v4
	ds_write_b32 v4, v51
	;; [unrolled: 3-line block ×13, first 2 shown]
	v_sub_u32_e32 v4, v26, v3
	v_lshlrev_b32_e32 v4, 2, v4
	s_or_b64 s[38:39], s[38:39], exec
	ds_write_b32 v4, v27
	s_or_b64 exec, exec, s[0:1]
	s_and_b64 exec, exec, s[38:39]
	s_cbranch_execnz .LBB861_292
	s_branch .LBB861_293
.LBB861_276:
	s_or_b64 exec, exec, s[38:39]
	s_and_saveexec_b64 s[28:29], s[26:27]
	s_cbranch_execz .LBB861_262
.LBB861_277:
	v_sub_u32_e32 v4, v50, v3
	v_lshlrev_b32_e32 v4, 2, v4
	ds_write_b32 v4, v51
	s_or_b64 exec, exec, s[28:29]
	s_and_saveexec_b64 s[26:27], s[24:25]
	s_cbranch_execnz .LBB861_263
.LBB861_278:
	s_or_b64 exec, exec, s[26:27]
	s_and_saveexec_b64 s[24:25], s[22:23]
	s_cbranch_execz .LBB861_264
.LBB861_279:
	v_sub_u32_e32 v4, v46, v3
	v_lshlrev_b32_e32 v4, 2, v4
	ds_write_b32 v4, v47
	s_or_b64 exec, exec, s[24:25]
	s_and_saveexec_b64 s[22:23], s[20:21]
	s_cbranch_execnz .LBB861_265
.LBB861_280:
	s_or_b64 exec, exec, s[22:23]
	s_and_saveexec_b64 s[20:21], s[18:19]
	s_cbranch_execz .LBB861_266
.LBB861_281:
	v_sub_u32_e32 v4, v42, v3
	v_lshlrev_b32_e32 v4, 2, v4
	ds_write_b32 v4, v43
	s_or_b64 exec, exec, s[20:21]
	s_and_saveexec_b64 s[18:19], s[16:17]
	s_cbranch_execnz .LBB861_267
.LBB861_282:
	s_or_b64 exec, exec, s[18:19]
	s_and_saveexec_b64 s[16:17], s[14:15]
	s_cbranch_execz .LBB861_268
.LBB861_283:
	v_sub_u32_e32 v4, v38, v3
	v_lshlrev_b32_e32 v4, 2, v4
	ds_write_b32 v4, v39
	s_or_b64 exec, exec, s[16:17]
	s_and_saveexec_b64 s[14:15], s[12:13]
	s_cbranch_execnz .LBB861_269
.LBB861_284:
	s_or_b64 exec, exec, s[14:15]
	s_and_saveexec_b64 s[12:13], s[10:11]
	s_cbranch_execz .LBB861_270
.LBB861_285:
	v_sub_u32_e32 v4, v34, v3
	v_lshlrev_b32_e32 v4, 2, v4
	ds_write_b32 v4, v35
	s_or_b64 exec, exec, s[12:13]
	s_and_saveexec_b64 s[10:11], s[8:9]
	s_cbranch_execnz .LBB861_271
.LBB861_286:
	s_or_b64 exec, exec, s[10:11]
	s_and_saveexec_b64 s[8:9], s[6:7]
	s_cbranch_execz .LBB861_272
.LBB861_287:
	v_sub_u32_e32 v4, v30, v3
	v_lshlrev_b32_e32 v4, 2, v4
	ds_write_b32 v4, v31
	s_or_b64 exec, exec, s[8:9]
	s_and_saveexec_b64 s[6:7], s[4:5]
	s_cbranch_execnz .LBB861_273
.LBB861_288:
	s_or_b64 exec, exec, s[6:7]
	s_and_saveexec_b64 s[4:5], s[2:3]
	s_cbranch_execz .LBB861_290
.LBB861_289:
	v_sub_u32_e32 v4, v26, v3
	v_lshlrev_b32_e32 v4, 2, v4
	ds_write_b32 v4, v27
.LBB861_290:
	s_or_b64 exec, exec, s[4:5]
	s_and_b64 s[38:39], s[0:1], exec
                                        ; implicit-def: $vgpr52_vgpr53
                                        ; implicit-def: $vgpr50_vgpr51
                                        ; implicit-def: $vgpr48_vgpr49
                                        ; implicit-def: $vgpr46_vgpr47
                                        ; implicit-def: $vgpr44_vgpr45
                                        ; implicit-def: $vgpr42_vgpr43
                                        ; implicit-def: $vgpr40_vgpr41
                                        ; implicit-def: $vgpr38_vgpr39
                                        ; implicit-def: $vgpr36_vgpr37
                                        ; implicit-def: $vgpr34_vgpr35
                                        ; implicit-def: $vgpr32_vgpr33
                                        ; implicit-def: $vgpr30_vgpr31
                                        ; implicit-def: $vgpr28_vgpr29
                                        ; implicit-def: $vgpr26_vgpr27
	s_andn2_saveexec_b64 s[0:1], s[36:37]
	s_cbranch_execnz .LBB861_275
.LBB861_291:
	s_or_b64 exec, exec, s[0:1]
	s_and_b64 exec, exec, s[38:39]
	s_cbranch_execz .LBB861_293
.LBB861_292:
	v_sub_u32_e32 v3, v22, v3
	v_lshlrev_b32_e32 v3, 2, v3
	ds_write_b32 v3, v23
.LBB861_293:
	s_or_b64 exec, exec, s[30:31]
	v_cmp_lt_u32_e32 vcc, v0, v7
	s_waitcnt lgkmcnt(0)
	s_barrier
	s_and_saveexec_b64 s[2:3], vcc
	s_cbranch_execz .LBB861_308
; %bb.294:
	v_add_u32_e32 v4, v6, v2
	v_xad_u32 v2, v0, -1, v4
	v_sub_u32_e32 v3, v2, v1
	s_movk_i32 s0, 0x1900
	v_cmp_gt_u32_e64 s[4:5], s0, v3
	s_movk_i32 s0, 0x18ff
	v_cmp_lt_u32_e32 vcc, s0, v3
	v_mov_b32_e32 v2, v0
	s_and_saveexec_b64 s[6:7], vcc
	s_cbranch_execz .LBB861_305
; %bb.295:
	v_sub_u32_e32 v2, v0, v4
	v_add_u32_e32 v1, v2, v1
	v_or_b32_e32 v1, 0xff, v1
	v_cmp_ge_u32_e32 vcc, v1, v0
	s_mov_b64 s[0:1], -1
	v_mov_b32_e32 v2, v0
	s_and_saveexec_b64 s[8:9], vcc
	s_cbranch_execz .LBB861_304
; %bb.296:
	v_lshrrev_b32_e32 v13, 8, v3
	v_add_u32_e32 v2, -1, v13
	v_or_b32_e32 v1, 0x100, v0
	v_lshrrev_b32_e32 v3, 1, v2
	v_add_u32_e32 v15, 1, v3
	v_cmp_lt_u32_e32 vcc, 13, v2
	v_mov_b32_e32 v20, 0
	v_lshlrev_b32_e32 v14, 2, v0
	v_pk_mov_b32 v[2:3], v[0:1], v[0:1] op_sel:[0,1]
	s_and_saveexec_b64 s[10:11], vcc
	s_cbranch_execz .LBB861_300
; %bb.297:
	v_and_b32_e32 v18, -8, v15
	s_mov_b32 s14, 0
	s_mov_b64 s[12:13], 0
	v_mov_b32_e32 v5, 0
	v_mov_b32_e32 v19, v14
	v_pk_mov_b32 v[2:3], v[0:1], v[0:1] op_sel:[0,1]
.LBB861_298:                            ; =>This Inner Loop Header: Depth=1
	v_mov_b32_e32 v4, v2
	v_add_u32_e32 v18, -8, v18
	v_lshlrev_b64 v[50:51], 2, v[4:5]
	v_mov_b32_e32 v4, v3
	ds_read2st64_b32 v[22:23], v19 offset1:4
	s_add_i32 s14, s14, 16
	v_cmp_eq_u32_e32 vcc, 0, v18
	v_lshlrev_b64 v[54:55], 2, v[4:5]
	v_add_u32_e32 v4, 0x200, v2
	s_or_b64 s[12:13], vcc, s[12:13]
	v_add_co_u32_e32 v54, vcc, v11, v54
	v_add_u32_e32 v20, 0x200, v3
	v_mov_b32_e32 v21, v5
	ds_read2st64_b32 v[24:25], v19 offset0:8 offset1:12
	ds_read2st64_b32 v[28:29], v19 offset0:16 offset1:20
	v_add_co_u32_e64 v50, s[0:1], v11, v50
	v_addc_co_u32_e32 v55, vcc, v12, v55, vcc
	v_lshlrev_b64 v[56:57], 2, v[4:5]
	v_lshlrev_b64 v[52:53], 2, v[20:21]
	v_addc_co_u32_e64 v51, s[0:1], v12, v51, s[0:1]
	v_add_u32_e32 v4, 0x400, v2
	v_add_co_u32_e32 v56, vcc, v11, v56
	v_add_u32_e32 v26, 0x400, v3
	v_mov_b32_e32 v27, v5
	ds_read2st64_b32 v[32:33], v19 offset0:24 offset1:28
	v_add_co_u32_e64 v52, s[0:1], v11, v52
	v_addc_co_u32_e32 v57, vcc, v12, v57, vcc
	v_lshlrev_b64 v[58:59], 2, v[4:5]
	ds_read2st64_b32 v[36:37], v19 offset0:32 offset1:36
	ds_read2st64_b32 v[40:41], v19 offset0:40 offset1:44
	ds_read2st64_b32 v[44:45], v19 offset0:48 offset1:52
	ds_read2st64_b32 v[48:49], v19 offset0:56 offset1:60
	v_lshlrev_b64 v[26:27], 2, v[26:27]
	v_addc_co_u32_e64 v53, s[0:1], v12, v53, s[0:1]
	v_add_u32_e32 v4, 0x600, v2
	s_waitcnt lgkmcnt(7)
	global_store_dword v[50:51], v22, off
	global_store_dword v[54:55], v23, off
	s_waitcnt lgkmcnt(6)
	global_store_dword v[56:57], v24, off
	global_store_dword v[52:53], v25, off
	v_add_co_u32_e32 v22, vcc, v11, v58
	v_add_u32_e32 v30, 0x600, v3
	v_mov_b32_e32 v31, v5
	v_add_co_u32_e64 v26, s[0:1], v11, v26
	v_addc_co_u32_e32 v23, vcc, v12, v59, vcc
	v_lshlrev_b64 v[24:25], 2, v[4:5]
	v_lshlrev_b64 v[30:31], 2, v[30:31]
	v_addc_co_u32_e64 v27, s[0:1], v12, v27, s[0:1]
	v_add_u32_e32 v4, 0x800, v2
	s_waitcnt lgkmcnt(5)
	global_store_dword v[22:23], v28, off
	global_store_dword v[26:27], v29, off
	v_add_co_u32_e32 v22, vcc, v11, v24
	v_add_u32_e32 v34, 0x800, v3
	v_mov_b32_e32 v35, v5
	v_add_co_u32_e64 v30, s[0:1], v11, v30
	v_addc_co_u32_e32 v23, vcc, v12, v25, vcc
	v_lshlrev_b64 v[24:25], 2, v[4:5]
	v_lshlrev_b64 v[34:35], 2, v[34:35]
	v_addc_co_u32_e64 v31, s[0:1], v12, v31, s[0:1]
	v_add_u32_e32 v4, 0xa00, v2
	;; [unrolled: 12-line block ×4, first 2 shown]
	s_waitcnt lgkmcnt(2)
	global_store_dword v[22:23], v40, off
	global_store_dword v[38:39], v41, off
	v_add_co_u32_e32 v22, vcc, v11, v24
	v_add_u32_e32 v46, 0xe00, v3
	v_mov_b32_e32 v47, v5
	v_add_co_u32_e64 v42, s[0:1], v11, v42
	v_addc_co_u32_e32 v23, vcc, v12, v25, vcc
	v_lshlrev_b64 v[24:25], 2, v[4:5]
	v_lshlrev_b64 v[46:47], 2, v[46:47]
	v_addc_co_u32_e64 v43, s[0:1], v12, v43, s[0:1]
	s_waitcnt lgkmcnt(1)
	global_store_dword v[22:23], v44, off
	global_store_dword v[42:43], v45, off
	v_add_co_u32_e32 v22, vcc, v11, v24
	v_add_u32_e32 v19, 0x4000, v19
	v_add_u32_e32 v3, 0x1000, v3
	v_mov_b32_e32 v20, s14
	v_add_co_u32_e64 v46, s[0:1], v11, v46
	v_add_u32_e32 v2, 0x1000, v2
	v_addc_co_u32_e32 v23, vcc, v12, v25, vcc
	v_addc_co_u32_e64 v47, s[0:1], v12, v47, s[0:1]
	s_waitcnt lgkmcnt(0)
	global_store_dword v[22:23], v48, off
	global_store_dword v[46:47], v49, off
	s_andn2_b64 exec, exec, s[12:13]
	s_cbranch_execnz .LBB861_298
; %bb.299:
	s_or_b64 exec, exec, s[12:13]
.LBB861_300:
	s_or_b64 exec, exec, s[10:11]
	v_and_b32_e32 v1, 7, v15
	v_cmp_ne_u32_e32 vcc, 0, v1
	s_and_saveexec_b64 s[10:11], vcc
	s_cbranch_execz .LBB861_303
; %bb.301:
	v_lshl_or_b32 v14, v20, 10, v14
	s_mov_b64 s[12:13], 0
	v_mov_b32_e32 v5, 0
.LBB861_302:                            ; =>This Inner Loop Header: Depth=1
	ds_read2st64_b32 v[18:19], v14 offset1:4
	v_mov_b32_e32 v4, v2
	v_add_u32_e32 v1, -1, v1
	v_lshlrev_b64 v[20:21], 2, v[4:5]
	v_mov_b32_e32 v4, v3
	v_cmp_eq_u32_e32 vcc, 0, v1
	v_add_co_u32_e64 v20, s[0:1], v11, v20
	v_lshlrev_b64 v[22:23], 2, v[4:5]
	v_add_u32_e32 v2, 0x200, v2
	v_add_u32_e32 v14, 0x800, v14
	;; [unrolled: 1-line block ×3, first 2 shown]
	v_addc_co_u32_e64 v21, s[0:1], v12, v21, s[0:1]
	s_or_b64 s[12:13], vcc, s[12:13]
	v_add_co_u32_e32 v22, vcc, v11, v22
	v_addc_co_u32_e32 v23, vcc, v12, v23, vcc
	s_waitcnt lgkmcnt(0)
	global_store_dword v[20:21], v18, off
	global_store_dword v[22:23], v19, off
	s_andn2_b64 exec, exec, s[12:13]
	s_cbranch_execnz .LBB861_302
.LBB861_303:
	s_or_b64 exec, exec, s[10:11]
	v_add_u32_e32 v1, 1, v13
	v_and_b32_e32 v3, 0x1fffffe, v1
	v_cmp_ne_u32_e32 vcc, v1, v3
	v_lshl_or_b32 v2, v3, 8, v0
	s_orn2_b64 s[0:1], vcc, exec
.LBB861_304:
	s_or_b64 exec, exec, s[8:9]
	s_andn2_b64 s[4:5], s[4:5], exec
	s_and_b64 s[0:1], s[0:1], exec
	s_or_b64 s[4:5], s[4:5], s[0:1]
.LBB861_305:
	s_or_b64 exec, exec, s[6:7]
	s_and_b64 exec, exec, s[4:5]
	s_cbranch_execz .LBB861_308
; %bb.306:
	v_lshlrev_b32_e32 v1, 2, v2
	s_mov_b64 s[0:1], 0
	v_mov_b32_e32 v3, 0
.LBB861_307:                            ; =>This Inner Loop Header: Depth=1
	v_lshlrev_b64 v[4:5], 2, v[2:3]
	ds_read_b32 v13, v1
	v_add_co_u32_e32 v4, vcc, v11, v4
	v_add_u32_e32 v2, 0x100, v2
	v_addc_co_u32_e32 v5, vcc, v12, v5, vcc
	v_cmp_ge_u32_e32 vcc, v2, v7
	v_add_u32_e32 v1, 0x400, v1
	s_or_b64 s[0:1], vcc, s[0:1]
	s_waitcnt lgkmcnt(0)
	global_store_dword v[4:5], v13, off
	s_andn2_b64 exec, exec, s[0:1]
	s_cbranch_execnz .LBB861_307
.LBB861_308:
	s_or_b64 exec, exec, s[2:3]
.LBB861_309:
	s_movk_i32 s0, 0xff
	v_cmp_eq_u32_e32 vcc, s0, v0
	s_and_b64 s[0:1], vcc, s[34:35]
	s_and_saveexec_b64 s[2:3], s[0:1]
	s_cbranch_execz .LBB861_312
; %bb.310:
	v_add_co_u32_e32 v0, vcc, v6, v8
	v_addc_co_u32_e64 v1, s[0:1], 0, 0, vcc
	v_add_co_u32_e32 v0, vcc, v0, v16
	v_mov_b32_e32 v7, 0
	v_addc_co_u32_e32 v1, vcc, v1, v17, vcc
	s_cmpk_lg_i32 s33, 0xf00
	global_store_dwordx2 v7, v[0:1], s[54:55]
	s_cbranch_scc1 .LBB861_312
; %bb.311:
	v_lshlrev_b64 v[0:1], 2, v[6:7]
	v_add_co_u32_e32 v0, vcc, v9, v0
	v_addc_co_u32_e32 v1, vcc, v10, v1, vcc
	global_store_dword v[0:1], v67, off offset:-4
.LBB861_312:
	s_endpgm
	.section	.rodata,"a",@progbits
	.p2align	6, 0x0
	.amdhsa_kernel _ZN7rocprim17ROCPRIM_400000_NS6detail17trampoline_kernelINS0_14default_configENS1_29reduce_by_key_config_selectorIsjN6thrust23THRUST_200600_302600_NS4plusIjEEEEZZNS1_33reduce_by_key_impl_wrapped_configILNS1_25lookback_scan_determinismE0ES3_S9_NS6_6detail15normal_iteratorINS6_10device_ptrIsEEEENSD_INSE_IjEEEESG_SI_PmS8_NS6_8equal_toIsEEEE10hipError_tPvRmT2_T3_mT4_T5_T6_T7_T8_P12ihipStream_tbENKUlT_T0_E_clISt17integral_constantIbLb1EES12_IbLb0EEEEDaSY_SZ_EUlSY_E_NS1_11comp_targetILNS1_3genE4ELNS1_11target_archE910ELNS1_3gpuE8ELNS1_3repE0EEENS1_30default_config_static_selectorELNS0_4arch9wavefront6targetE1EEEvT1_
		.amdhsa_group_segment_fixed_size 15360
		.amdhsa_private_segment_fixed_size 0
		.amdhsa_kernarg_size 120
		.amdhsa_user_sgpr_count 6
		.amdhsa_user_sgpr_private_segment_buffer 1
		.amdhsa_user_sgpr_dispatch_ptr 0
		.amdhsa_user_sgpr_queue_ptr 0
		.amdhsa_user_sgpr_kernarg_segment_ptr 1
		.amdhsa_user_sgpr_dispatch_id 0
		.amdhsa_user_sgpr_flat_scratch_init 0
		.amdhsa_user_sgpr_kernarg_preload_length 0
		.amdhsa_user_sgpr_kernarg_preload_offset 0
		.amdhsa_user_sgpr_private_segment_size 0
		.amdhsa_uses_dynamic_stack 0
		.amdhsa_system_sgpr_private_segment_wavefront_offset 0
		.amdhsa_system_sgpr_workgroup_id_x 1
		.amdhsa_system_sgpr_workgroup_id_y 0
		.amdhsa_system_sgpr_workgroup_id_z 0
		.amdhsa_system_sgpr_workgroup_info 0
		.amdhsa_system_vgpr_workitem_id 0
		.amdhsa_next_free_vgpr 108
		.amdhsa_next_free_sgpr 64
		.amdhsa_accum_offset 108
		.amdhsa_reserve_vcc 1
		.amdhsa_reserve_flat_scratch 0
		.amdhsa_float_round_mode_32 0
		.amdhsa_float_round_mode_16_64 0
		.amdhsa_float_denorm_mode_32 3
		.amdhsa_float_denorm_mode_16_64 3
		.amdhsa_dx10_clamp 1
		.amdhsa_ieee_mode 1
		.amdhsa_fp16_overflow 0
		.amdhsa_tg_split 0
		.amdhsa_exception_fp_ieee_invalid_op 0
		.amdhsa_exception_fp_denorm_src 0
		.amdhsa_exception_fp_ieee_div_zero 0
		.amdhsa_exception_fp_ieee_overflow 0
		.amdhsa_exception_fp_ieee_underflow 0
		.amdhsa_exception_fp_ieee_inexact 0
		.amdhsa_exception_int_div_zero 0
	.end_amdhsa_kernel
	.section	.text._ZN7rocprim17ROCPRIM_400000_NS6detail17trampoline_kernelINS0_14default_configENS1_29reduce_by_key_config_selectorIsjN6thrust23THRUST_200600_302600_NS4plusIjEEEEZZNS1_33reduce_by_key_impl_wrapped_configILNS1_25lookback_scan_determinismE0ES3_S9_NS6_6detail15normal_iteratorINS6_10device_ptrIsEEEENSD_INSE_IjEEEESG_SI_PmS8_NS6_8equal_toIsEEEE10hipError_tPvRmT2_T3_mT4_T5_T6_T7_T8_P12ihipStream_tbENKUlT_T0_E_clISt17integral_constantIbLb1EES12_IbLb0EEEEDaSY_SZ_EUlSY_E_NS1_11comp_targetILNS1_3genE4ELNS1_11target_archE910ELNS1_3gpuE8ELNS1_3repE0EEENS1_30default_config_static_selectorELNS0_4arch9wavefront6targetE1EEEvT1_,"axG",@progbits,_ZN7rocprim17ROCPRIM_400000_NS6detail17trampoline_kernelINS0_14default_configENS1_29reduce_by_key_config_selectorIsjN6thrust23THRUST_200600_302600_NS4plusIjEEEEZZNS1_33reduce_by_key_impl_wrapped_configILNS1_25lookback_scan_determinismE0ES3_S9_NS6_6detail15normal_iteratorINS6_10device_ptrIsEEEENSD_INSE_IjEEEESG_SI_PmS8_NS6_8equal_toIsEEEE10hipError_tPvRmT2_T3_mT4_T5_T6_T7_T8_P12ihipStream_tbENKUlT_T0_E_clISt17integral_constantIbLb1EES12_IbLb0EEEEDaSY_SZ_EUlSY_E_NS1_11comp_targetILNS1_3genE4ELNS1_11target_archE910ELNS1_3gpuE8ELNS1_3repE0EEENS1_30default_config_static_selectorELNS0_4arch9wavefront6targetE1EEEvT1_,comdat
.Lfunc_end861:
	.size	_ZN7rocprim17ROCPRIM_400000_NS6detail17trampoline_kernelINS0_14default_configENS1_29reduce_by_key_config_selectorIsjN6thrust23THRUST_200600_302600_NS4plusIjEEEEZZNS1_33reduce_by_key_impl_wrapped_configILNS1_25lookback_scan_determinismE0ES3_S9_NS6_6detail15normal_iteratorINS6_10device_ptrIsEEEENSD_INSE_IjEEEESG_SI_PmS8_NS6_8equal_toIsEEEE10hipError_tPvRmT2_T3_mT4_T5_T6_T7_T8_P12ihipStream_tbENKUlT_T0_E_clISt17integral_constantIbLb1EES12_IbLb0EEEEDaSY_SZ_EUlSY_E_NS1_11comp_targetILNS1_3genE4ELNS1_11target_archE910ELNS1_3gpuE8ELNS1_3repE0EEENS1_30default_config_static_selectorELNS0_4arch9wavefront6targetE1EEEvT1_, .Lfunc_end861-_ZN7rocprim17ROCPRIM_400000_NS6detail17trampoline_kernelINS0_14default_configENS1_29reduce_by_key_config_selectorIsjN6thrust23THRUST_200600_302600_NS4plusIjEEEEZZNS1_33reduce_by_key_impl_wrapped_configILNS1_25lookback_scan_determinismE0ES3_S9_NS6_6detail15normal_iteratorINS6_10device_ptrIsEEEENSD_INSE_IjEEEESG_SI_PmS8_NS6_8equal_toIsEEEE10hipError_tPvRmT2_T3_mT4_T5_T6_T7_T8_P12ihipStream_tbENKUlT_T0_E_clISt17integral_constantIbLb1EES12_IbLb0EEEEDaSY_SZ_EUlSY_E_NS1_11comp_targetILNS1_3genE4ELNS1_11target_archE910ELNS1_3gpuE8ELNS1_3repE0EEENS1_30default_config_static_selectorELNS0_4arch9wavefront6targetE1EEEvT1_
                                        ; -- End function
	.section	.AMDGPU.csdata,"",@progbits
; Kernel info:
; codeLenInByte = 17828
; NumSgprs: 68
; NumVgprs: 108
; NumAgprs: 0
; TotalNumVgprs: 108
; ScratchSize: 0
; MemoryBound: 0
; FloatMode: 240
; IeeeMode: 1
; LDSByteSize: 15360 bytes/workgroup (compile time only)
; SGPRBlocks: 8
; VGPRBlocks: 13
; NumSGPRsForWavesPerEU: 68
; NumVGPRsForWavesPerEU: 108
; AccumOffset: 108
; Occupancy: 4
; WaveLimiterHint : 1
; COMPUTE_PGM_RSRC2:SCRATCH_EN: 0
; COMPUTE_PGM_RSRC2:USER_SGPR: 6
; COMPUTE_PGM_RSRC2:TRAP_HANDLER: 0
; COMPUTE_PGM_RSRC2:TGID_X_EN: 1
; COMPUTE_PGM_RSRC2:TGID_Y_EN: 0
; COMPUTE_PGM_RSRC2:TGID_Z_EN: 0
; COMPUTE_PGM_RSRC2:TIDIG_COMP_CNT: 0
; COMPUTE_PGM_RSRC3_GFX90A:ACCUM_OFFSET: 26
; COMPUTE_PGM_RSRC3_GFX90A:TG_SPLIT: 0
	.section	.text._ZN7rocprim17ROCPRIM_400000_NS6detail17trampoline_kernelINS0_14default_configENS1_29reduce_by_key_config_selectorIsjN6thrust23THRUST_200600_302600_NS4plusIjEEEEZZNS1_33reduce_by_key_impl_wrapped_configILNS1_25lookback_scan_determinismE0ES3_S9_NS6_6detail15normal_iteratorINS6_10device_ptrIsEEEENSD_INSE_IjEEEESG_SI_PmS8_NS6_8equal_toIsEEEE10hipError_tPvRmT2_T3_mT4_T5_T6_T7_T8_P12ihipStream_tbENKUlT_T0_E_clISt17integral_constantIbLb1EES12_IbLb0EEEEDaSY_SZ_EUlSY_E_NS1_11comp_targetILNS1_3genE3ELNS1_11target_archE908ELNS1_3gpuE7ELNS1_3repE0EEENS1_30default_config_static_selectorELNS0_4arch9wavefront6targetE1EEEvT1_,"axG",@progbits,_ZN7rocprim17ROCPRIM_400000_NS6detail17trampoline_kernelINS0_14default_configENS1_29reduce_by_key_config_selectorIsjN6thrust23THRUST_200600_302600_NS4plusIjEEEEZZNS1_33reduce_by_key_impl_wrapped_configILNS1_25lookback_scan_determinismE0ES3_S9_NS6_6detail15normal_iteratorINS6_10device_ptrIsEEEENSD_INSE_IjEEEESG_SI_PmS8_NS6_8equal_toIsEEEE10hipError_tPvRmT2_T3_mT4_T5_T6_T7_T8_P12ihipStream_tbENKUlT_T0_E_clISt17integral_constantIbLb1EES12_IbLb0EEEEDaSY_SZ_EUlSY_E_NS1_11comp_targetILNS1_3genE3ELNS1_11target_archE908ELNS1_3gpuE7ELNS1_3repE0EEENS1_30default_config_static_selectorELNS0_4arch9wavefront6targetE1EEEvT1_,comdat
	.protected	_ZN7rocprim17ROCPRIM_400000_NS6detail17trampoline_kernelINS0_14default_configENS1_29reduce_by_key_config_selectorIsjN6thrust23THRUST_200600_302600_NS4plusIjEEEEZZNS1_33reduce_by_key_impl_wrapped_configILNS1_25lookback_scan_determinismE0ES3_S9_NS6_6detail15normal_iteratorINS6_10device_ptrIsEEEENSD_INSE_IjEEEESG_SI_PmS8_NS6_8equal_toIsEEEE10hipError_tPvRmT2_T3_mT4_T5_T6_T7_T8_P12ihipStream_tbENKUlT_T0_E_clISt17integral_constantIbLb1EES12_IbLb0EEEEDaSY_SZ_EUlSY_E_NS1_11comp_targetILNS1_3genE3ELNS1_11target_archE908ELNS1_3gpuE7ELNS1_3repE0EEENS1_30default_config_static_selectorELNS0_4arch9wavefront6targetE1EEEvT1_ ; -- Begin function _ZN7rocprim17ROCPRIM_400000_NS6detail17trampoline_kernelINS0_14default_configENS1_29reduce_by_key_config_selectorIsjN6thrust23THRUST_200600_302600_NS4plusIjEEEEZZNS1_33reduce_by_key_impl_wrapped_configILNS1_25lookback_scan_determinismE0ES3_S9_NS6_6detail15normal_iteratorINS6_10device_ptrIsEEEENSD_INSE_IjEEEESG_SI_PmS8_NS6_8equal_toIsEEEE10hipError_tPvRmT2_T3_mT4_T5_T6_T7_T8_P12ihipStream_tbENKUlT_T0_E_clISt17integral_constantIbLb1EES12_IbLb0EEEEDaSY_SZ_EUlSY_E_NS1_11comp_targetILNS1_3genE3ELNS1_11target_archE908ELNS1_3gpuE7ELNS1_3repE0EEENS1_30default_config_static_selectorELNS0_4arch9wavefront6targetE1EEEvT1_
	.globl	_ZN7rocprim17ROCPRIM_400000_NS6detail17trampoline_kernelINS0_14default_configENS1_29reduce_by_key_config_selectorIsjN6thrust23THRUST_200600_302600_NS4plusIjEEEEZZNS1_33reduce_by_key_impl_wrapped_configILNS1_25lookback_scan_determinismE0ES3_S9_NS6_6detail15normal_iteratorINS6_10device_ptrIsEEEENSD_INSE_IjEEEESG_SI_PmS8_NS6_8equal_toIsEEEE10hipError_tPvRmT2_T3_mT4_T5_T6_T7_T8_P12ihipStream_tbENKUlT_T0_E_clISt17integral_constantIbLb1EES12_IbLb0EEEEDaSY_SZ_EUlSY_E_NS1_11comp_targetILNS1_3genE3ELNS1_11target_archE908ELNS1_3gpuE7ELNS1_3repE0EEENS1_30default_config_static_selectorELNS0_4arch9wavefront6targetE1EEEvT1_
	.p2align	8
	.type	_ZN7rocprim17ROCPRIM_400000_NS6detail17trampoline_kernelINS0_14default_configENS1_29reduce_by_key_config_selectorIsjN6thrust23THRUST_200600_302600_NS4plusIjEEEEZZNS1_33reduce_by_key_impl_wrapped_configILNS1_25lookback_scan_determinismE0ES3_S9_NS6_6detail15normal_iteratorINS6_10device_ptrIsEEEENSD_INSE_IjEEEESG_SI_PmS8_NS6_8equal_toIsEEEE10hipError_tPvRmT2_T3_mT4_T5_T6_T7_T8_P12ihipStream_tbENKUlT_T0_E_clISt17integral_constantIbLb1EES12_IbLb0EEEEDaSY_SZ_EUlSY_E_NS1_11comp_targetILNS1_3genE3ELNS1_11target_archE908ELNS1_3gpuE7ELNS1_3repE0EEENS1_30default_config_static_selectorELNS0_4arch9wavefront6targetE1EEEvT1_,@function
_ZN7rocprim17ROCPRIM_400000_NS6detail17trampoline_kernelINS0_14default_configENS1_29reduce_by_key_config_selectorIsjN6thrust23THRUST_200600_302600_NS4plusIjEEEEZZNS1_33reduce_by_key_impl_wrapped_configILNS1_25lookback_scan_determinismE0ES3_S9_NS6_6detail15normal_iteratorINS6_10device_ptrIsEEEENSD_INSE_IjEEEESG_SI_PmS8_NS6_8equal_toIsEEEE10hipError_tPvRmT2_T3_mT4_T5_T6_T7_T8_P12ihipStream_tbENKUlT_T0_E_clISt17integral_constantIbLb1EES12_IbLb0EEEEDaSY_SZ_EUlSY_E_NS1_11comp_targetILNS1_3genE3ELNS1_11target_archE908ELNS1_3gpuE7ELNS1_3repE0EEENS1_30default_config_static_selectorELNS0_4arch9wavefront6targetE1EEEvT1_: ; @_ZN7rocprim17ROCPRIM_400000_NS6detail17trampoline_kernelINS0_14default_configENS1_29reduce_by_key_config_selectorIsjN6thrust23THRUST_200600_302600_NS4plusIjEEEEZZNS1_33reduce_by_key_impl_wrapped_configILNS1_25lookback_scan_determinismE0ES3_S9_NS6_6detail15normal_iteratorINS6_10device_ptrIsEEEENSD_INSE_IjEEEESG_SI_PmS8_NS6_8equal_toIsEEEE10hipError_tPvRmT2_T3_mT4_T5_T6_T7_T8_P12ihipStream_tbENKUlT_T0_E_clISt17integral_constantIbLb1EES12_IbLb0EEEEDaSY_SZ_EUlSY_E_NS1_11comp_targetILNS1_3genE3ELNS1_11target_archE908ELNS1_3gpuE7ELNS1_3repE0EEENS1_30default_config_static_selectorELNS0_4arch9wavefront6targetE1EEEvT1_
; %bb.0:
	.section	.rodata,"a",@progbits
	.p2align	6, 0x0
	.amdhsa_kernel _ZN7rocprim17ROCPRIM_400000_NS6detail17trampoline_kernelINS0_14default_configENS1_29reduce_by_key_config_selectorIsjN6thrust23THRUST_200600_302600_NS4plusIjEEEEZZNS1_33reduce_by_key_impl_wrapped_configILNS1_25lookback_scan_determinismE0ES3_S9_NS6_6detail15normal_iteratorINS6_10device_ptrIsEEEENSD_INSE_IjEEEESG_SI_PmS8_NS6_8equal_toIsEEEE10hipError_tPvRmT2_T3_mT4_T5_T6_T7_T8_P12ihipStream_tbENKUlT_T0_E_clISt17integral_constantIbLb1EES12_IbLb0EEEEDaSY_SZ_EUlSY_E_NS1_11comp_targetILNS1_3genE3ELNS1_11target_archE908ELNS1_3gpuE7ELNS1_3repE0EEENS1_30default_config_static_selectorELNS0_4arch9wavefront6targetE1EEEvT1_
		.amdhsa_group_segment_fixed_size 0
		.amdhsa_private_segment_fixed_size 0
		.amdhsa_kernarg_size 120
		.amdhsa_user_sgpr_count 6
		.amdhsa_user_sgpr_private_segment_buffer 1
		.amdhsa_user_sgpr_dispatch_ptr 0
		.amdhsa_user_sgpr_queue_ptr 0
		.amdhsa_user_sgpr_kernarg_segment_ptr 1
		.amdhsa_user_sgpr_dispatch_id 0
		.amdhsa_user_sgpr_flat_scratch_init 0
		.amdhsa_user_sgpr_kernarg_preload_length 0
		.amdhsa_user_sgpr_kernarg_preload_offset 0
		.amdhsa_user_sgpr_private_segment_size 0
		.amdhsa_uses_dynamic_stack 0
		.amdhsa_system_sgpr_private_segment_wavefront_offset 0
		.amdhsa_system_sgpr_workgroup_id_x 1
		.amdhsa_system_sgpr_workgroup_id_y 0
		.amdhsa_system_sgpr_workgroup_id_z 0
		.amdhsa_system_sgpr_workgroup_info 0
		.amdhsa_system_vgpr_workitem_id 0
		.amdhsa_next_free_vgpr 1
		.amdhsa_next_free_sgpr 0
		.amdhsa_accum_offset 4
		.amdhsa_reserve_vcc 0
		.amdhsa_reserve_flat_scratch 0
		.amdhsa_float_round_mode_32 0
		.amdhsa_float_round_mode_16_64 0
		.amdhsa_float_denorm_mode_32 3
		.amdhsa_float_denorm_mode_16_64 3
		.amdhsa_dx10_clamp 1
		.amdhsa_ieee_mode 1
		.amdhsa_fp16_overflow 0
		.amdhsa_tg_split 0
		.amdhsa_exception_fp_ieee_invalid_op 0
		.amdhsa_exception_fp_denorm_src 0
		.amdhsa_exception_fp_ieee_div_zero 0
		.amdhsa_exception_fp_ieee_overflow 0
		.amdhsa_exception_fp_ieee_underflow 0
		.amdhsa_exception_fp_ieee_inexact 0
		.amdhsa_exception_int_div_zero 0
	.end_amdhsa_kernel
	.section	.text._ZN7rocprim17ROCPRIM_400000_NS6detail17trampoline_kernelINS0_14default_configENS1_29reduce_by_key_config_selectorIsjN6thrust23THRUST_200600_302600_NS4plusIjEEEEZZNS1_33reduce_by_key_impl_wrapped_configILNS1_25lookback_scan_determinismE0ES3_S9_NS6_6detail15normal_iteratorINS6_10device_ptrIsEEEENSD_INSE_IjEEEESG_SI_PmS8_NS6_8equal_toIsEEEE10hipError_tPvRmT2_T3_mT4_T5_T6_T7_T8_P12ihipStream_tbENKUlT_T0_E_clISt17integral_constantIbLb1EES12_IbLb0EEEEDaSY_SZ_EUlSY_E_NS1_11comp_targetILNS1_3genE3ELNS1_11target_archE908ELNS1_3gpuE7ELNS1_3repE0EEENS1_30default_config_static_selectorELNS0_4arch9wavefront6targetE1EEEvT1_,"axG",@progbits,_ZN7rocprim17ROCPRIM_400000_NS6detail17trampoline_kernelINS0_14default_configENS1_29reduce_by_key_config_selectorIsjN6thrust23THRUST_200600_302600_NS4plusIjEEEEZZNS1_33reduce_by_key_impl_wrapped_configILNS1_25lookback_scan_determinismE0ES3_S9_NS6_6detail15normal_iteratorINS6_10device_ptrIsEEEENSD_INSE_IjEEEESG_SI_PmS8_NS6_8equal_toIsEEEE10hipError_tPvRmT2_T3_mT4_T5_T6_T7_T8_P12ihipStream_tbENKUlT_T0_E_clISt17integral_constantIbLb1EES12_IbLb0EEEEDaSY_SZ_EUlSY_E_NS1_11comp_targetILNS1_3genE3ELNS1_11target_archE908ELNS1_3gpuE7ELNS1_3repE0EEENS1_30default_config_static_selectorELNS0_4arch9wavefront6targetE1EEEvT1_,comdat
.Lfunc_end862:
	.size	_ZN7rocprim17ROCPRIM_400000_NS6detail17trampoline_kernelINS0_14default_configENS1_29reduce_by_key_config_selectorIsjN6thrust23THRUST_200600_302600_NS4plusIjEEEEZZNS1_33reduce_by_key_impl_wrapped_configILNS1_25lookback_scan_determinismE0ES3_S9_NS6_6detail15normal_iteratorINS6_10device_ptrIsEEEENSD_INSE_IjEEEESG_SI_PmS8_NS6_8equal_toIsEEEE10hipError_tPvRmT2_T3_mT4_T5_T6_T7_T8_P12ihipStream_tbENKUlT_T0_E_clISt17integral_constantIbLb1EES12_IbLb0EEEEDaSY_SZ_EUlSY_E_NS1_11comp_targetILNS1_3genE3ELNS1_11target_archE908ELNS1_3gpuE7ELNS1_3repE0EEENS1_30default_config_static_selectorELNS0_4arch9wavefront6targetE1EEEvT1_, .Lfunc_end862-_ZN7rocprim17ROCPRIM_400000_NS6detail17trampoline_kernelINS0_14default_configENS1_29reduce_by_key_config_selectorIsjN6thrust23THRUST_200600_302600_NS4plusIjEEEEZZNS1_33reduce_by_key_impl_wrapped_configILNS1_25lookback_scan_determinismE0ES3_S9_NS6_6detail15normal_iteratorINS6_10device_ptrIsEEEENSD_INSE_IjEEEESG_SI_PmS8_NS6_8equal_toIsEEEE10hipError_tPvRmT2_T3_mT4_T5_T6_T7_T8_P12ihipStream_tbENKUlT_T0_E_clISt17integral_constantIbLb1EES12_IbLb0EEEEDaSY_SZ_EUlSY_E_NS1_11comp_targetILNS1_3genE3ELNS1_11target_archE908ELNS1_3gpuE7ELNS1_3repE0EEENS1_30default_config_static_selectorELNS0_4arch9wavefront6targetE1EEEvT1_
                                        ; -- End function
	.section	.AMDGPU.csdata,"",@progbits
; Kernel info:
; codeLenInByte = 0
; NumSgprs: 4
; NumVgprs: 0
; NumAgprs: 0
; TotalNumVgprs: 0
; ScratchSize: 0
; MemoryBound: 0
; FloatMode: 240
; IeeeMode: 1
; LDSByteSize: 0 bytes/workgroup (compile time only)
; SGPRBlocks: 0
; VGPRBlocks: 0
; NumSGPRsForWavesPerEU: 4
; NumVGPRsForWavesPerEU: 1
; AccumOffset: 4
; Occupancy: 8
; WaveLimiterHint : 0
; COMPUTE_PGM_RSRC2:SCRATCH_EN: 0
; COMPUTE_PGM_RSRC2:USER_SGPR: 6
; COMPUTE_PGM_RSRC2:TRAP_HANDLER: 0
; COMPUTE_PGM_RSRC2:TGID_X_EN: 1
; COMPUTE_PGM_RSRC2:TGID_Y_EN: 0
; COMPUTE_PGM_RSRC2:TGID_Z_EN: 0
; COMPUTE_PGM_RSRC2:TIDIG_COMP_CNT: 0
; COMPUTE_PGM_RSRC3_GFX90A:ACCUM_OFFSET: 0
; COMPUTE_PGM_RSRC3_GFX90A:TG_SPLIT: 0
	.section	.text._ZN7rocprim17ROCPRIM_400000_NS6detail17trampoline_kernelINS0_14default_configENS1_29reduce_by_key_config_selectorIsjN6thrust23THRUST_200600_302600_NS4plusIjEEEEZZNS1_33reduce_by_key_impl_wrapped_configILNS1_25lookback_scan_determinismE0ES3_S9_NS6_6detail15normal_iteratorINS6_10device_ptrIsEEEENSD_INSE_IjEEEESG_SI_PmS8_NS6_8equal_toIsEEEE10hipError_tPvRmT2_T3_mT4_T5_T6_T7_T8_P12ihipStream_tbENKUlT_T0_E_clISt17integral_constantIbLb1EES12_IbLb0EEEEDaSY_SZ_EUlSY_E_NS1_11comp_targetILNS1_3genE2ELNS1_11target_archE906ELNS1_3gpuE6ELNS1_3repE0EEENS1_30default_config_static_selectorELNS0_4arch9wavefront6targetE1EEEvT1_,"axG",@progbits,_ZN7rocprim17ROCPRIM_400000_NS6detail17trampoline_kernelINS0_14default_configENS1_29reduce_by_key_config_selectorIsjN6thrust23THRUST_200600_302600_NS4plusIjEEEEZZNS1_33reduce_by_key_impl_wrapped_configILNS1_25lookback_scan_determinismE0ES3_S9_NS6_6detail15normal_iteratorINS6_10device_ptrIsEEEENSD_INSE_IjEEEESG_SI_PmS8_NS6_8equal_toIsEEEE10hipError_tPvRmT2_T3_mT4_T5_T6_T7_T8_P12ihipStream_tbENKUlT_T0_E_clISt17integral_constantIbLb1EES12_IbLb0EEEEDaSY_SZ_EUlSY_E_NS1_11comp_targetILNS1_3genE2ELNS1_11target_archE906ELNS1_3gpuE6ELNS1_3repE0EEENS1_30default_config_static_selectorELNS0_4arch9wavefront6targetE1EEEvT1_,comdat
	.protected	_ZN7rocprim17ROCPRIM_400000_NS6detail17trampoline_kernelINS0_14default_configENS1_29reduce_by_key_config_selectorIsjN6thrust23THRUST_200600_302600_NS4plusIjEEEEZZNS1_33reduce_by_key_impl_wrapped_configILNS1_25lookback_scan_determinismE0ES3_S9_NS6_6detail15normal_iteratorINS6_10device_ptrIsEEEENSD_INSE_IjEEEESG_SI_PmS8_NS6_8equal_toIsEEEE10hipError_tPvRmT2_T3_mT4_T5_T6_T7_T8_P12ihipStream_tbENKUlT_T0_E_clISt17integral_constantIbLb1EES12_IbLb0EEEEDaSY_SZ_EUlSY_E_NS1_11comp_targetILNS1_3genE2ELNS1_11target_archE906ELNS1_3gpuE6ELNS1_3repE0EEENS1_30default_config_static_selectorELNS0_4arch9wavefront6targetE1EEEvT1_ ; -- Begin function _ZN7rocprim17ROCPRIM_400000_NS6detail17trampoline_kernelINS0_14default_configENS1_29reduce_by_key_config_selectorIsjN6thrust23THRUST_200600_302600_NS4plusIjEEEEZZNS1_33reduce_by_key_impl_wrapped_configILNS1_25lookback_scan_determinismE0ES3_S9_NS6_6detail15normal_iteratorINS6_10device_ptrIsEEEENSD_INSE_IjEEEESG_SI_PmS8_NS6_8equal_toIsEEEE10hipError_tPvRmT2_T3_mT4_T5_T6_T7_T8_P12ihipStream_tbENKUlT_T0_E_clISt17integral_constantIbLb1EES12_IbLb0EEEEDaSY_SZ_EUlSY_E_NS1_11comp_targetILNS1_3genE2ELNS1_11target_archE906ELNS1_3gpuE6ELNS1_3repE0EEENS1_30default_config_static_selectorELNS0_4arch9wavefront6targetE1EEEvT1_
	.globl	_ZN7rocprim17ROCPRIM_400000_NS6detail17trampoline_kernelINS0_14default_configENS1_29reduce_by_key_config_selectorIsjN6thrust23THRUST_200600_302600_NS4plusIjEEEEZZNS1_33reduce_by_key_impl_wrapped_configILNS1_25lookback_scan_determinismE0ES3_S9_NS6_6detail15normal_iteratorINS6_10device_ptrIsEEEENSD_INSE_IjEEEESG_SI_PmS8_NS6_8equal_toIsEEEE10hipError_tPvRmT2_T3_mT4_T5_T6_T7_T8_P12ihipStream_tbENKUlT_T0_E_clISt17integral_constantIbLb1EES12_IbLb0EEEEDaSY_SZ_EUlSY_E_NS1_11comp_targetILNS1_3genE2ELNS1_11target_archE906ELNS1_3gpuE6ELNS1_3repE0EEENS1_30default_config_static_selectorELNS0_4arch9wavefront6targetE1EEEvT1_
	.p2align	8
	.type	_ZN7rocprim17ROCPRIM_400000_NS6detail17trampoline_kernelINS0_14default_configENS1_29reduce_by_key_config_selectorIsjN6thrust23THRUST_200600_302600_NS4plusIjEEEEZZNS1_33reduce_by_key_impl_wrapped_configILNS1_25lookback_scan_determinismE0ES3_S9_NS6_6detail15normal_iteratorINS6_10device_ptrIsEEEENSD_INSE_IjEEEESG_SI_PmS8_NS6_8equal_toIsEEEE10hipError_tPvRmT2_T3_mT4_T5_T6_T7_T8_P12ihipStream_tbENKUlT_T0_E_clISt17integral_constantIbLb1EES12_IbLb0EEEEDaSY_SZ_EUlSY_E_NS1_11comp_targetILNS1_3genE2ELNS1_11target_archE906ELNS1_3gpuE6ELNS1_3repE0EEENS1_30default_config_static_selectorELNS0_4arch9wavefront6targetE1EEEvT1_,@function
_ZN7rocprim17ROCPRIM_400000_NS6detail17trampoline_kernelINS0_14default_configENS1_29reduce_by_key_config_selectorIsjN6thrust23THRUST_200600_302600_NS4plusIjEEEEZZNS1_33reduce_by_key_impl_wrapped_configILNS1_25lookback_scan_determinismE0ES3_S9_NS6_6detail15normal_iteratorINS6_10device_ptrIsEEEENSD_INSE_IjEEEESG_SI_PmS8_NS6_8equal_toIsEEEE10hipError_tPvRmT2_T3_mT4_T5_T6_T7_T8_P12ihipStream_tbENKUlT_T0_E_clISt17integral_constantIbLb1EES12_IbLb0EEEEDaSY_SZ_EUlSY_E_NS1_11comp_targetILNS1_3genE2ELNS1_11target_archE906ELNS1_3gpuE6ELNS1_3repE0EEENS1_30default_config_static_selectorELNS0_4arch9wavefront6targetE1EEEvT1_: ; @_ZN7rocprim17ROCPRIM_400000_NS6detail17trampoline_kernelINS0_14default_configENS1_29reduce_by_key_config_selectorIsjN6thrust23THRUST_200600_302600_NS4plusIjEEEEZZNS1_33reduce_by_key_impl_wrapped_configILNS1_25lookback_scan_determinismE0ES3_S9_NS6_6detail15normal_iteratorINS6_10device_ptrIsEEEENSD_INSE_IjEEEESG_SI_PmS8_NS6_8equal_toIsEEEE10hipError_tPvRmT2_T3_mT4_T5_T6_T7_T8_P12ihipStream_tbENKUlT_T0_E_clISt17integral_constantIbLb1EES12_IbLb0EEEEDaSY_SZ_EUlSY_E_NS1_11comp_targetILNS1_3genE2ELNS1_11target_archE906ELNS1_3gpuE6ELNS1_3repE0EEENS1_30default_config_static_selectorELNS0_4arch9wavefront6targetE1EEEvT1_
; %bb.0:
	.section	.rodata,"a",@progbits
	.p2align	6, 0x0
	.amdhsa_kernel _ZN7rocprim17ROCPRIM_400000_NS6detail17trampoline_kernelINS0_14default_configENS1_29reduce_by_key_config_selectorIsjN6thrust23THRUST_200600_302600_NS4plusIjEEEEZZNS1_33reduce_by_key_impl_wrapped_configILNS1_25lookback_scan_determinismE0ES3_S9_NS6_6detail15normal_iteratorINS6_10device_ptrIsEEEENSD_INSE_IjEEEESG_SI_PmS8_NS6_8equal_toIsEEEE10hipError_tPvRmT2_T3_mT4_T5_T6_T7_T8_P12ihipStream_tbENKUlT_T0_E_clISt17integral_constantIbLb1EES12_IbLb0EEEEDaSY_SZ_EUlSY_E_NS1_11comp_targetILNS1_3genE2ELNS1_11target_archE906ELNS1_3gpuE6ELNS1_3repE0EEENS1_30default_config_static_selectorELNS0_4arch9wavefront6targetE1EEEvT1_
		.amdhsa_group_segment_fixed_size 0
		.amdhsa_private_segment_fixed_size 0
		.amdhsa_kernarg_size 120
		.amdhsa_user_sgpr_count 6
		.amdhsa_user_sgpr_private_segment_buffer 1
		.amdhsa_user_sgpr_dispatch_ptr 0
		.amdhsa_user_sgpr_queue_ptr 0
		.amdhsa_user_sgpr_kernarg_segment_ptr 1
		.amdhsa_user_sgpr_dispatch_id 0
		.amdhsa_user_sgpr_flat_scratch_init 0
		.amdhsa_user_sgpr_kernarg_preload_length 0
		.amdhsa_user_sgpr_kernarg_preload_offset 0
		.amdhsa_user_sgpr_private_segment_size 0
		.amdhsa_uses_dynamic_stack 0
		.amdhsa_system_sgpr_private_segment_wavefront_offset 0
		.amdhsa_system_sgpr_workgroup_id_x 1
		.amdhsa_system_sgpr_workgroup_id_y 0
		.amdhsa_system_sgpr_workgroup_id_z 0
		.amdhsa_system_sgpr_workgroup_info 0
		.amdhsa_system_vgpr_workitem_id 0
		.amdhsa_next_free_vgpr 1
		.amdhsa_next_free_sgpr 0
		.amdhsa_accum_offset 4
		.amdhsa_reserve_vcc 0
		.amdhsa_reserve_flat_scratch 0
		.amdhsa_float_round_mode_32 0
		.amdhsa_float_round_mode_16_64 0
		.amdhsa_float_denorm_mode_32 3
		.amdhsa_float_denorm_mode_16_64 3
		.amdhsa_dx10_clamp 1
		.amdhsa_ieee_mode 1
		.amdhsa_fp16_overflow 0
		.amdhsa_tg_split 0
		.amdhsa_exception_fp_ieee_invalid_op 0
		.amdhsa_exception_fp_denorm_src 0
		.amdhsa_exception_fp_ieee_div_zero 0
		.amdhsa_exception_fp_ieee_overflow 0
		.amdhsa_exception_fp_ieee_underflow 0
		.amdhsa_exception_fp_ieee_inexact 0
		.amdhsa_exception_int_div_zero 0
	.end_amdhsa_kernel
	.section	.text._ZN7rocprim17ROCPRIM_400000_NS6detail17trampoline_kernelINS0_14default_configENS1_29reduce_by_key_config_selectorIsjN6thrust23THRUST_200600_302600_NS4plusIjEEEEZZNS1_33reduce_by_key_impl_wrapped_configILNS1_25lookback_scan_determinismE0ES3_S9_NS6_6detail15normal_iteratorINS6_10device_ptrIsEEEENSD_INSE_IjEEEESG_SI_PmS8_NS6_8equal_toIsEEEE10hipError_tPvRmT2_T3_mT4_T5_T6_T7_T8_P12ihipStream_tbENKUlT_T0_E_clISt17integral_constantIbLb1EES12_IbLb0EEEEDaSY_SZ_EUlSY_E_NS1_11comp_targetILNS1_3genE2ELNS1_11target_archE906ELNS1_3gpuE6ELNS1_3repE0EEENS1_30default_config_static_selectorELNS0_4arch9wavefront6targetE1EEEvT1_,"axG",@progbits,_ZN7rocprim17ROCPRIM_400000_NS6detail17trampoline_kernelINS0_14default_configENS1_29reduce_by_key_config_selectorIsjN6thrust23THRUST_200600_302600_NS4plusIjEEEEZZNS1_33reduce_by_key_impl_wrapped_configILNS1_25lookback_scan_determinismE0ES3_S9_NS6_6detail15normal_iteratorINS6_10device_ptrIsEEEENSD_INSE_IjEEEESG_SI_PmS8_NS6_8equal_toIsEEEE10hipError_tPvRmT2_T3_mT4_T5_T6_T7_T8_P12ihipStream_tbENKUlT_T0_E_clISt17integral_constantIbLb1EES12_IbLb0EEEEDaSY_SZ_EUlSY_E_NS1_11comp_targetILNS1_3genE2ELNS1_11target_archE906ELNS1_3gpuE6ELNS1_3repE0EEENS1_30default_config_static_selectorELNS0_4arch9wavefront6targetE1EEEvT1_,comdat
.Lfunc_end863:
	.size	_ZN7rocprim17ROCPRIM_400000_NS6detail17trampoline_kernelINS0_14default_configENS1_29reduce_by_key_config_selectorIsjN6thrust23THRUST_200600_302600_NS4plusIjEEEEZZNS1_33reduce_by_key_impl_wrapped_configILNS1_25lookback_scan_determinismE0ES3_S9_NS6_6detail15normal_iteratorINS6_10device_ptrIsEEEENSD_INSE_IjEEEESG_SI_PmS8_NS6_8equal_toIsEEEE10hipError_tPvRmT2_T3_mT4_T5_T6_T7_T8_P12ihipStream_tbENKUlT_T0_E_clISt17integral_constantIbLb1EES12_IbLb0EEEEDaSY_SZ_EUlSY_E_NS1_11comp_targetILNS1_3genE2ELNS1_11target_archE906ELNS1_3gpuE6ELNS1_3repE0EEENS1_30default_config_static_selectorELNS0_4arch9wavefront6targetE1EEEvT1_, .Lfunc_end863-_ZN7rocprim17ROCPRIM_400000_NS6detail17trampoline_kernelINS0_14default_configENS1_29reduce_by_key_config_selectorIsjN6thrust23THRUST_200600_302600_NS4plusIjEEEEZZNS1_33reduce_by_key_impl_wrapped_configILNS1_25lookback_scan_determinismE0ES3_S9_NS6_6detail15normal_iteratorINS6_10device_ptrIsEEEENSD_INSE_IjEEEESG_SI_PmS8_NS6_8equal_toIsEEEE10hipError_tPvRmT2_T3_mT4_T5_T6_T7_T8_P12ihipStream_tbENKUlT_T0_E_clISt17integral_constantIbLb1EES12_IbLb0EEEEDaSY_SZ_EUlSY_E_NS1_11comp_targetILNS1_3genE2ELNS1_11target_archE906ELNS1_3gpuE6ELNS1_3repE0EEENS1_30default_config_static_selectorELNS0_4arch9wavefront6targetE1EEEvT1_
                                        ; -- End function
	.section	.AMDGPU.csdata,"",@progbits
; Kernel info:
; codeLenInByte = 0
; NumSgprs: 4
; NumVgprs: 0
; NumAgprs: 0
; TotalNumVgprs: 0
; ScratchSize: 0
; MemoryBound: 0
; FloatMode: 240
; IeeeMode: 1
; LDSByteSize: 0 bytes/workgroup (compile time only)
; SGPRBlocks: 0
; VGPRBlocks: 0
; NumSGPRsForWavesPerEU: 4
; NumVGPRsForWavesPerEU: 1
; AccumOffset: 4
; Occupancy: 8
; WaveLimiterHint : 0
; COMPUTE_PGM_RSRC2:SCRATCH_EN: 0
; COMPUTE_PGM_RSRC2:USER_SGPR: 6
; COMPUTE_PGM_RSRC2:TRAP_HANDLER: 0
; COMPUTE_PGM_RSRC2:TGID_X_EN: 1
; COMPUTE_PGM_RSRC2:TGID_Y_EN: 0
; COMPUTE_PGM_RSRC2:TGID_Z_EN: 0
; COMPUTE_PGM_RSRC2:TIDIG_COMP_CNT: 0
; COMPUTE_PGM_RSRC3_GFX90A:ACCUM_OFFSET: 0
; COMPUTE_PGM_RSRC3_GFX90A:TG_SPLIT: 0
	.section	.text._ZN7rocprim17ROCPRIM_400000_NS6detail17trampoline_kernelINS0_14default_configENS1_29reduce_by_key_config_selectorIsjN6thrust23THRUST_200600_302600_NS4plusIjEEEEZZNS1_33reduce_by_key_impl_wrapped_configILNS1_25lookback_scan_determinismE0ES3_S9_NS6_6detail15normal_iteratorINS6_10device_ptrIsEEEENSD_INSE_IjEEEESG_SI_PmS8_NS6_8equal_toIsEEEE10hipError_tPvRmT2_T3_mT4_T5_T6_T7_T8_P12ihipStream_tbENKUlT_T0_E_clISt17integral_constantIbLb1EES12_IbLb0EEEEDaSY_SZ_EUlSY_E_NS1_11comp_targetILNS1_3genE10ELNS1_11target_archE1201ELNS1_3gpuE5ELNS1_3repE0EEENS1_30default_config_static_selectorELNS0_4arch9wavefront6targetE1EEEvT1_,"axG",@progbits,_ZN7rocprim17ROCPRIM_400000_NS6detail17trampoline_kernelINS0_14default_configENS1_29reduce_by_key_config_selectorIsjN6thrust23THRUST_200600_302600_NS4plusIjEEEEZZNS1_33reduce_by_key_impl_wrapped_configILNS1_25lookback_scan_determinismE0ES3_S9_NS6_6detail15normal_iteratorINS6_10device_ptrIsEEEENSD_INSE_IjEEEESG_SI_PmS8_NS6_8equal_toIsEEEE10hipError_tPvRmT2_T3_mT4_T5_T6_T7_T8_P12ihipStream_tbENKUlT_T0_E_clISt17integral_constantIbLb1EES12_IbLb0EEEEDaSY_SZ_EUlSY_E_NS1_11comp_targetILNS1_3genE10ELNS1_11target_archE1201ELNS1_3gpuE5ELNS1_3repE0EEENS1_30default_config_static_selectorELNS0_4arch9wavefront6targetE1EEEvT1_,comdat
	.protected	_ZN7rocprim17ROCPRIM_400000_NS6detail17trampoline_kernelINS0_14default_configENS1_29reduce_by_key_config_selectorIsjN6thrust23THRUST_200600_302600_NS4plusIjEEEEZZNS1_33reduce_by_key_impl_wrapped_configILNS1_25lookback_scan_determinismE0ES3_S9_NS6_6detail15normal_iteratorINS6_10device_ptrIsEEEENSD_INSE_IjEEEESG_SI_PmS8_NS6_8equal_toIsEEEE10hipError_tPvRmT2_T3_mT4_T5_T6_T7_T8_P12ihipStream_tbENKUlT_T0_E_clISt17integral_constantIbLb1EES12_IbLb0EEEEDaSY_SZ_EUlSY_E_NS1_11comp_targetILNS1_3genE10ELNS1_11target_archE1201ELNS1_3gpuE5ELNS1_3repE0EEENS1_30default_config_static_selectorELNS0_4arch9wavefront6targetE1EEEvT1_ ; -- Begin function _ZN7rocprim17ROCPRIM_400000_NS6detail17trampoline_kernelINS0_14default_configENS1_29reduce_by_key_config_selectorIsjN6thrust23THRUST_200600_302600_NS4plusIjEEEEZZNS1_33reduce_by_key_impl_wrapped_configILNS1_25lookback_scan_determinismE0ES3_S9_NS6_6detail15normal_iteratorINS6_10device_ptrIsEEEENSD_INSE_IjEEEESG_SI_PmS8_NS6_8equal_toIsEEEE10hipError_tPvRmT2_T3_mT4_T5_T6_T7_T8_P12ihipStream_tbENKUlT_T0_E_clISt17integral_constantIbLb1EES12_IbLb0EEEEDaSY_SZ_EUlSY_E_NS1_11comp_targetILNS1_3genE10ELNS1_11target_archE1201ELNS1_3gpuE5ELNS1_3repE0EEENS1_30default_config_static_selectorELNS0_4arch9wavefront6targetE1EEEvT1_
	.globl	_ZN7rocprim17ROCPRIM_400000_NS6detail17trampoline_kernelINS0_14default_configENS1_29reduce_by_key_config_selectorIsjN6thrust23THRUST_200600_302600_NS4plusIjEEEEZZNS1_33reduce_by_key_impl_wrapped_configILNS1_25lookback_scan_determinismE0ES3_S9_NS6_6detail15normal_iteratorINS6_10device_ptrIsEEEENSD_INSE_IjEEEESG_SI_PmS8_NS6_8equal_toIsEEEE10hipError_tPvRmT2_T3_mT4_T5_T6_T7_T8_P12ihipStream_tbENKUlT_T0_E_clISt17integral_constantIbLb1EES12_IbLb0EEEEDaSY_SZ_EUlSY_E_NS1_11comp_targetILNS1_3genE10ELNS1_11target_archE1201ELNS1_3gpuE5ELNS1_3repE0EEENS1_30default_config_static_selectorELNS0_4arch9wavefront6targetE1EEEvT1_
	.p2align	8
	.type	_ZN7rocprim17ROCPRIM_400000_NS6detail17trampoline_kernelINS0_14default_configENS1_29reduce_by_key_config_selectorIsjN6thrust23THRUST_200600_302600_NS4plusIjEEEEZZNS1_33reduce_by_key_impl_wrapped_configILNS1_25lookback_scan_determinismE0ES3_S9_NS6_6detail15normal_iteratorINS6_10device_ptrIsEEEENSD_INSE_IjEEEESG_SI_PmS8_NS6_8equal_toIsEEEE10hipError_tPvRmT2_T3_mT4_T5_T6_T7_T8_P12ihipStream_tbENKUlT_T0_E_clISt17integral_constantIbLb1EES12_IbLb0EEEEDaSY_SZ_EUlSY_E_NS1_11comp_targetILNS1_3genE10ELNS1_11target_archE1201ELNS1_3gpuE5ELNS1_3repE0EEENS1_30default_config_static_selectorELNS0_4arch9wavefront6targetE1EEEvT1_,@function
_ZN7rocprim17ROCPRIM_400000_NS6detail17trampoline_kernelINS0_14default_configENS1_29reduce_by_key_config_selectorIsjN6thrust23THRUST_200600_302600_NS4plusIjEEEEZZNS1_33reduce_by_key_impl_wrapped_configILNS1_25lookback_scan_determinismE0ES3_S9_NS6_6detail15normal_iteratorINS6_10device_ptrIsEEEENSD_INSE_IjEEEESG_SI_PmS8_NS6_8equal_toIsEEEE10hipError_tPvRmT2_T3_mT4_T5_T6_T7_T8_P12ihipStream_tbENKUlT_T0_E_clISt17integral_constantIbLb1EES12_IbLb0EEEEDaSY_SZ_EUlSY_E_NS1_11comp_targetILNS1_3genE10ELNS1_11target_archE1201ELNS1_3gpuE5ELNS1_3repE0EEENS1_30default_config_static_selectorELNS0_4arch9wavefront6targetE1EEEvT1_: ; @_ZN7rocprim17ROCPRIM_400000_NS6detail17trampoline_kernelINS0_14default_configENS1_29reduce_by_key_config_selectorIsjN6thrust23THRUST_200600_302600_NS4plusIjEEEEZZNS1_33reduce_by_key_impl_wrapped_configILNS1_25lookback_scan_determinismE0ES3_S9_NS6_6detail15normal_iteratorINS6_10device_ptrIsEEEENSD_INSE_IjEEEESG_SI_PmS8_NS6_8equal_toIsEEEE10hipError_tPvRmT2_T3_mT4_T5_T6_T7_T8_P12ihipStream_tbENKUlT_T0_E_clISt17integral_constantIbLb1EES12_IbLb0EEEEDaSY_SZ_EUlSY_E_NS1_11comp_targetILNS1_3genE10ELNS1_11target_archE1201ELNS1_3gpuE5ELNS1_3repE0EEENS1_30default_config_static_selectorELNS0_4arch9wavefront6targetE1EEEvT1_
; %bb.0:
	.section	.rodata,"a",@progbits
	.p2align	6, 0x0
	.amdhsa_kernel _ZN7rocprim17ROCPRIM_400000_NS6detail17trampoline_kernelINS0_14default_configENS1_29reduce_by_key_config_selectorIsjN6thrust23THRUST_200600_302600_NS4plusIjEEEEZZNS1_33reduce_by_key_impl_wrapped_configILNS1_25lookback_scan_determinismE0ES3_S9_NS6_6detail15normal_iteratorINS6_10device_ptrIsEEEENSD_INSE_IjEEEESG_SI_PmS8_NS6_8equal_toIsEEEE10hipError_tPvRmT2_T3_mT4_T5_T6_T7_T8_P12ihipStream_tbENKUlT_T0_E_clISt17integral_constantIbLb1EES12_IbLb0EEEEDaSY_SZ_EUlSY_E_NS1_11comp_targetILNS1_3genE10ELNS1_11target_archE1201ELNS1_3gpuE5ELNS1_3repE0EEENS1_30default_config_static_selectorELNS0_4arch9wavefront6targetE1EEEvT1_
		.amdhsa_group_segment_fixed_size 0
		.amdhsa_private_segment_fixed_size 0
		.amdhsa_kernarg_size 120
		.amdhsa_user_sgpr_count 6
		.amdhsa_user_sgpr_private_segment_buffer 1
		.amdhsa_user_sgpr_dispatch_ptr 0
		.amdhsa_user_sgpr_queue_ptr 0
		.amdhsa_user_sgpr_kernarg_segment_ptr 1
		.amdhsa_user_sgpr_dispatch_id 0
		.amdhsa_user_sgpr_flat_scratch_init 0
		.amdhsa_user_sgpr_kernarg_preload_length 0
		.amdhsa_user_sgpr_kernarg_preload_offset 0
		.amdhsa_user_sgpr_private_segment_size 0
		.amdhsa_uses_dynamic_stack 0
		.amdhsa_system_sgpr_private_segment_wavefront_offset 0
		.amdhsa_system_sgpr_workgroup_id_x 1
		.amdhsa_system_sgpr_workgroup_id_y 0
		.amdhsa_system_sgpr_workgroup_id_z 0
		.amdhsa_system_sgpr_workgroup_info 0
		.amdhsa_system_vgpr_workitem_id 0
		.amdhsa_next_free_vgpr 1
		.amdhsa_next_free_sgpr 0
		.amdhsa_accum_offset 4
		.amdhsa_reserve_vcc 0
		.amdhsa_reserve_flat_scratch 0
		.amdhsa_float_round_mode_32 0
		.amdhsa_float_round_mode_16_64 0
		.amdhsa_float_denorm_mode_32 3
		.amdhsa_float_denorm_mode_16_64 3
		.amdhsa_dx10_clamp 1
		.amdhsa_ieee_mode 1
		.amdhsa_fp16_overflow 0
		.amdhsa_tg_split 0
		.amdhsa_exception_fp_ieee_invalid_op 0
		.amdhsa_exception_fp_denorm_src 0
		.amdhsa_exception_fp_ieee_div_zero 0
		.amdhsa_exception_fp_ieee_overflow 0
		.amdhsa_exception_fp_ieee_underflow 0
		.amdhsa_exception_fp_ieee_inexact 0
		.amdhsa_exception_int_div_zero 0
	.end_amdhsa_kernel
	.section	.text._ZN7rocprim17ROCPRIM_400000_NS6detail17trampoline_kernelINS0_14default_configENS1_29reduce_by_key_config_selectorIsjN6thrust23THRUST_200600_302600_NS4plusIjEEEEZZNS1_33reduce_by_key_impl_wrapped_configILNS1_25lookback_scan_determinismE0ES3_S9_NS6_6detail15normal_iteratorINS6_10device_ptrIsEEEENSD_INSE_IjEEEESG_SI_PmS8_NS6_8equal_toIsEEEE10hipError_tPvRmT2_T3_mT4_T5_T6_T7_T8_P12ihipStream_tbENKUlT_T0_E_clISt17integral_constantIbLb1EES12_IbLb0EEEEDaSY_SZ_EUlSY_E_NS1_11comp_targetILNS1_3genE10ELNS1_11target_archE1201ELNS1_3gpuE5ELNS1_3repE0EEENS1_30default_config_static_selectorELNS0_4arch9wavefront6targetE1EEEvT1_,"axG",@progbits,_ZN7rocprim17ROCPRIM_400000_NS6detail17trampoline_kernelINS0_14default_configENS1_29reduce_by_key_config_selectorIsjN6thrust23THRUST_200600_302600_NS4plusIjEEEEZZNS1_33reduce_by_key_impl_wrapped_configILNS1_25lookback_scan_determinismE0ES3_S9_NS6_6detail15normal_iteratorINS6_10device_ptrIsEEEENSD_INSE_IjEEEESG_SI_PmS8_NS6_8equal_toIsEEEE10hipError_tPvRmT2_T3_mT4_T5_T6_T7_T8_P12ihipStream_tbENKUlT_T0_E_clISt17integral_constantIbLb1EES12_IbLb0EEEEDaSY_SZ_EUlSY_E_NS1_11comp_targetILNS1_3genE10ELNS1_11target_archE1201ELNS1_3gpuE5ELNS1_3repE0EEENS1_30default_config_static_selectorELNS0_4arch9wavefront6targetE1EEEvT1_,comdat
.Lfunc_end864:
	.size	_ZN7rocprim17ROCPRIM_400000_NS6detail17trampoline_kernelINS0_14default_configENS1_29reduce_by_key_config_selectorIsjN6thrust23THRUST_200600_302600_NS4plusIjEEEEZZNS1_33reduce_by_key_impl_wrapped_configILNS1_25lookback_scan_determinismE0ES3_S9_NS6_6detail15normal_iteratorINS6_10device_ptrIsEEEENSD_INSE_IjEEEESG_SI_PmS8_NS6_8equal_toIsEEEE10hipError_tPvRmT2_T3_mT4_T5_T6_T7_T8_P12ihipStream_tbENKUlT_T0_E_clISt17integral_constantIbLb1EES12_IbLb0EEEEDaSY_SZ_EUlSY_E_NS1_11comp_targetILNS1_3genE10ELNS1_11target_archE1201ELNS1_3gpuE5ELNS1_3repE0EEENS1_30default_config_static_selectorELNS0_4arch9wavefront6targetE1EEEvT1_, .Lfunc_end864-_ZN7rocprim17ROCPRIM_400000_NS6detail17trampoline_kernelINS0_14default_configENS1_29reduce_by_key_config_selectorIsjN6thrust23THRUST_200600_302600_NS4plusIjEEEEZZNS1_33reduce_by_key_impl_wrapped_configILNS1_25lookback_scan_determinismE0ES3_S9_NS6_6detail15normal_iteratorINS6_10device_ptrIsEEEENSD_INSE_IjEEEESG_SI_PmS8_NS6_8equal_toIsEEEE10hipError_tPvRmT2_T3_mT4_T5_T6_T7_T8_P12ihipStream_tbENKUlT_T0_E_clISt17integral_constantIbLb1EES12_IbLb0EEEEDaSY_SZ_EUlSY_E_NS1_11comp_targetILNS1_3genE10ELNS1_11target_archE1201ELNS1_3gpuE5ELNS1_3repE0EEENS1_30default_config_static_selectorELNS0_4arch9wavefront6targetE1EEEvT1_
                                        ; -- End function
	.section	.AMDGPU.csdata,"",@progbits
; Kernel info:
; codeLenInByte = 0
; NumSgprs: 4
; NumVgprs: 0
; NumAgprs: 0
; TotalNumVgprs: 0
; ScratchSize: 0
; MemoryBound: 0
; FloatMode: 240
; IeeeMode: 1
; LDSByteSize: 0 bytes/workgroup (compile time only)
; SGPRBlocks: 0
; VGPRBlocks: 0
; NumSGPRsForWavesPerEU: 4
; NumVGPRsForWavesPerEU: 1
; AccumOffset: 4
; Occupancy: 8
; WaveLimiterHint : 0
; COMPUTE_PGM_RSRC2:SCRATCH_EN: 0
; COMPUTE_PGM_RSRC2:USER_SGPR: 6
; COMPUTE_PGM_RSRC2:TRAP_HANDLER: 0
; COMPUTE_PGM_RSRC2:TGID_X_EN: 1
; COMPUTE_PGM_RSRC2:TGID_Y_EN: 0
; COMPUTE_PGM_RSRC2:TGID_Z_EN: 0
; COMPUTE_PGM_RSRC2:TIDIG_COMP_CNT: 0
; COMPUTE_PGM_RSRC3_GFX90A:ACCUM_OFFSET: 0
; COMPUTE_PGM_RSRC3_GFX90A:TG_SPLIT: 0
	.section	.text._ZN7rocprim17ROCPRIM_400000_NS6detail17trampoline_kernelINS0_14default_configENS1_29reduce_by_key_config_selectorIsjN6thrust23THRUST_200600_302600_NS4plusIjEEEEZZNS1_33reduce_by_key_impl_wrapped_configILNS1_25lookback_scan_determinismE0ES3_S9_NS6_6detail15normal_iteratorINS6_10device_ptrIsEEEENSD_INSE_IjEEEESG_SI_PmS8_NS6_8equal_toIsEEEE10hipError_tPvRmT2_T3_mT4_T5_T6_T7_T8_P12ihipStream_tbENKUlT_T0_E_clISt17integral_constantIbLb1EES12_IbLb0EEEEDaSY_SZ_EUlSY_E_NS1_11comp_targetILNS1_3genE10ELNS1_11target_archE1200ELNS1_3gpuE4ELNS1_3repE0EEENS1_30default_config_static_selectorELNS0_4arch9wavefront6targetE1EEEvT1_,"axG",@progbits,_ZN7rocprim17ROCPRIM_400000_NS6detail17trampoline_kernelINS0_14default_configENS1_29reduce_by_key_config_selectorIsjN6thrust23THRUST_200600_302600_NS4plusIjEEEEZZNS1_33reduce_by_key_impl_wrapped_configILNS1_25lookback_scan_determinismE0ES3_S9_NS6_6detail15normal_iteratorINS6_10device_ptrIsEEEENSD_INSE_IjEEEESG_SI_PmS8_NS6_8equal_toIsEEEE10hipError_tPvRmT2_T3_mT4_T5_T6_T7_T8_P12ihipStream_tbENKUlT_T0_E_clISt17integral_constantIbLb1EES12_IbLb0EEEEDaSY_SZ_EUlSY_E_NS1_11comp_targetILNS1_3genE10ELNS1_11target_archE1200ELNS1_3gpuE4ELNS1_3repE0EEENS1_30default_config_static_selectorELNS0_4arch9wavefront6targetE1EEEvT1_,comdat
	.protected	_ZN7rocprim17ROCPRIM_400000_NS6detail17trampoline_kernelINS0_14default_configENS1_29reduce_by_key_config_selectorIsjN6thrust23THRUST_200600_302600_NS4plusIjEEEEZZNS1_33reduce_by_key_impl_wrapped_configILNS1_25lookback_scan_determinismE0ES3_S9_NS6_6detail15normal_iteratorINS6_10device_ptrIsEEEENSD_INSE_IjEEEESG_SI_PmS8_NS6_8equal_toIsEEEE10hipError_tPvRmT2_T3_mT4_T5_T6_T7_T8_P12ihipStream_tbENKUlT_T0_E_clISt17integral_constantIbLb1EES12_IbLb0EEEEDaSY_SZ_EUlSY_E_NS1_11comp_targetILNS1_3genE10ELNS1_11target_archE1200ELNS1_3gpuE4ELNS1_3repE0EEENS1_30default_config_static_selectorELNS0_4arch9wavefront6targetE1EEEvT1_ ; -- Begin function _ZN7rocprim17ROCPRIM_400000_NS6detail17trampoline_kernelINS0_14default_configENS1_29reduce_by_key_config_selectorIsjN6thrust23THRUST_200600_302600_NS4plusIjEEEEZZNS1_33reduce_by_key_impl_wrapped_configILNS1_25lookback_scan_determinismE0ES3_S9_NS6_6detail15normal_iteratorINS6_10device_ptrIsEEEENSD_INSE_IjEEEESG_SI_PmS8_NS6_8equal_toIsEEEE10hipError_tPvRmT2_T3_mT4_T5_T6_T7_T8_P12ihipStream_tbENKUlT_T0_E_clISt17integral_constantIbLb1EES12_IbLb0EEEEDaSY_SZ_EUlSY_E_NS1_11comp_targetILNS1_3genE10ELNS1_11target_archE1200ELNS1_3gpuE4ELNS1_3repE0EEENS1_30default_config_static_selectorELNS0_4arch9wavefront6targetE1EEEvT1_
	.globl	_ZN7rocprim17ROCPRIM_400000_NS6detail17trampoline_kernelINS0_14default_configENS1_29reduce_by_key_config_selectorIsjN6thrust23THRUST_200600_302600_NS4plusIjEEEEZZNS1_33reduce_by_key_impl_wrapped_configILNS1_25lookback_scan_determinismE0ES3_S9_NS6_6detail15normal_iteratorINS6_10device_ptrIsEEEENSD_INSE_IjEEEESG_SI_PmS8_NS6_8equal_toIsEEEE10hipError_tPvRmT2_T3_mT4_T5_T6_T7_T8_P12ihipStream_tbENKUlT_T0_E_clISt17integral_constantIbLb1EES12_IbLb0EEEEDaSY_SZ_EUlSY_E_NS1_11comp_targetILNS1_3genE10ELNS1_11target_archE1200ELNS1_3gpuE4ELNS1_3repE0EEENS1_30default_config_static_selectorELNS0_4arch9wavefront6targetE1EEEvT1_
	.p2align	8
	.type	_ZN7rocprim17ROCPRIM_400000_NS6detail17trampoline_kernelINS0_14default_configENS1_29reduce_by_key_config_selectorIsjN6thrust23THRUST_200600_302600_NS4plusIjEEEEZZNS1_33reduce_by_key_impl_wrapped_configILNS1_25lookback_scan_determinismE0ES3_S9_NS6_6detail15normal_iteratorINS6_10device_ptrIsEEEENSD_INSE_IjEEEESG_SI_PmS8_NS6_8equal_toIsEEEE10hipError_tPvRmT2_T3_mT4_T5_T6_T7_T8_P12ihipStream_tbENKUlT_T0_E_clISt17integral_constantIbLb1EES12_IbLb0EEEEDaSY_SZ_EUlSY_E_NS1_11comp_targetILNS1_3genE10ELNS1_11target_archE1200ELNS1_3gpuE4ELNS1_3repE0EEENS1_30default_config_static_selectorELNS0_4arch9wavefront6targetE1EEEvT1_,@function
_ZN7rocprim17ROCPRIM_400000_NS6detail17trampoline_kernelINS0_14default_configENS1_29reduce_by_key_config_selectorIsjN6thrust23THRUST_200600_302600_NS4plusIjEEEEZZNS1_33reduce_by_key_impl_wrapped_configILNS1_25lookback_scan_determinismE0ES3_S9_NS6_6detail15normal_iteratorINS6_10device_ptrIsEEEENSD_INSE_IjEEEESG_SI_PmS8_NS6_8equal_toIsEEEE10hipError_tPvRmT2_T3_mT4_T5_T6_T7_T8_P12ihipStream_tbENKUlT_T0_E_clISt17integral_constantIbLb1EES12_IbLb0EEEEDaSY_SZ_EUlSY_E_NS1_11comp_targetILNS1_3genE10ELNS1_11target_archE1200ELNS1_3gpuE4ELNS1_3repE0EEENS1_30default_config_static_selectorELNS0_4arch9wavefront6targetE1EEEvT1_: ; @_ZN7rocprim17ROCPRIM_400000_NS6detail17trampoline_kernelINS0_14default_configENS1_29reduce_by_key_config_selectorIsjN6thrust23THRUST_200600_302600_NS4plusIjEEEEZZNS1_33reduce_by_key_impl_wrapped_configILNS1_25lookback_scan_determinismE0ES3_S9_NS6_6detail15normal_iteratorINS6_10device_ptrIsEEEENSD_INSE_IjEEEESG_SI_PmS8_NS6_8equal_toIsEEEE10hipError_tPvRmT2_T3_mT4_T5_T6_T7_T8_P12ihipStream_tbENKUlT_T0_E_clISt17integral_constantIbLb1EES12_IbLb0EEEEDaSY_SZ_EUlSY_E_NS1_11comp_targetILNS1_3genE10ELNS1_11target_archE1200ELNS1_3gpuE4ELNS1_3repE0EEENS1_30default_config_static_selectorELNS0_4arch9wavefront6targetE1EEEvT1_
; %bb.0:
	.section	.rodata,"a",@progbits
	.p2align	6, 0x0
	.amdhsa_kernel _ZN7rocprim17ROCPRIM_400000_NS6detail17trampoline_kernelINS0_14default_configENS1_29reduce_by_key_config_selectorIsjN6thrust23THRUST_200600_302600_NS4plusIjEEEEZZNS1_33reduce_by_key_impl_wrapped_configILNS1_25lookback_scan_determinismE0ES3_S9_NS6_6detail15normal_iteratorINS6_10device_ptrIsEEEENSD_INSE_IjEEEESG_SI_PmS8_NS6_8equal_toIsEEEE10hipError_tPvRmT2_T3_mT4_T5_T6_T7_T8_P12ihipStream_tbENKUlT_T0_E_clISt17integral_constantIbLb1EES12_IbLb0EEEEDaSY_SZ_EUlSY_E_NS1_11comp_targetILNS1_3genE10ELNS1_11target_archE1200ELNS1_3gpuE4ELNS1_3repE0EEENS1_30default_config_static_selectorELNS0_4arch9wavefront6targetE1EEEvT1_
		.amdhsa_group_segment_fixed_size 0
		.amdhsa_private_segment_fixed_size 0
		.amdhsa_kernarg_size 120
		.amdhsa_user_sgpr_count 6
		.amdhsa_user_sgpr_private_segment_buffer 1
		.amdhsa_user_sgpr_dispatch_ptr 0
		.amdhsa_user_sgpr_queue_ptr 0
		.amdhsa_user_sgpr_kernarg_segment_ptr 1
		.amdhsa_user_sgpr_dispatch_id 0
		.amdhsa_user_sgpr_flat_scratch_init 0
		.amdhsa_user_sgpr_kernarg_preload_length 0
		.amdhsa_user_sgpr_kernarg_preload_offset 0
		.amdhsa_user_sgpr_private_segment_size 0
		.amdhsa_uses_dynamic_stack 0
		.amdhsa_system_sgpr_private_segment_wavefront_offset 0
		.amdhsa_system_sgpr_workgroup_id_x 1
		.amdhsa_system_sgpr_workgroup_id_y 0
		.amdhsa_system_sgpr_workgroup_id_z 0
		.amdhsa_system_sgpr_workgroup_info 0
		.amdhsa_system_vgpr_workitem_id 0
		.amdhsa_next_free_vgpr 1
		.amdhsa_next_free_sgpr 0
		.amdhsa_accum_offset 4
		.amdhsa_reserve_vcc 0
		.amdhsa_reserve_flat_scratch 0
		.amdhsa_float_round_mode_32 0
		.amdhsa_float_round_mode_16_64 0
		.amdhsa_float_denorm_mode_32 3
		.amdhsa_float_denorm_mode_16_64 3
		.amdhsa_dx10_clamp 1
		.amdhsa_ieee_mode 1
		.amdhsa_fp16_overflow 0
		.amdhsa_tg_split 0
		.amdhsa_exception_fp_ieee_invalid_op 0
		.amdhsa_exception_fp_denorm_src 0
		.amdhsa_exception_fp_ieee_div_zero 0
		.amdhsa_exception_fp_ieee_overflow 0
		.amdhsa_exception_fp_ieee_underflow 0
		.amdhsa_exception_fp_ieee_inexact 0
		.amdhsa_exception_int_div_zero 0
	.end_amdhsa_kernel
	.section	.text._ZN7rocprim17ROCPRIM_400000_NS6detail17trampoline_kernelINS0_14default_configENS1_29reduce_by_key_config_selectorIsjN6thrust23THRUST_200600_302600_NS4plusIjEEEEZZNS1_33reduce_by_key_impl_wrapped_configILNS1_25lookback_scan_determinismE0ES3_S9_NS6_6detail15normal_iteratorINS6_10device_ptrIsEEEENSD_INSE_IjEEEESG_SI_PmS8_NS6_8equal_toIsEEEE10hipError_tPvRmT2_T3_mT4_T5_T6_T7_T8_P12ihipStream_tbENKUlT_T0_E_clISt17integral_constantIbLb1EES12_IbLb0EEEEDaSY_SZ_EUlSY_E_NS1_11comp_targetILNS1_3genE10ELNS1_11target_archE1200ELNS1_3gpuE4ELNS1_3repE0EEENS1_30default_config_static_selectorELNS0_4arch9wavefront6targetE1EEEvT1_,"axG",@progbits,_ZN7rocprim17ROCPRIM_400000_NS6detail17trampoline_kernelINS0_14default_configENS1_29reduce_by_key_config_selectorIsjN6thrust23THRUST_200600_302600_NS4plusIjEEEEZZNS1_33reduce_by_key_impl_wrapped_configILNS1_25lookback_scan_determinismE0ES3_S9_NS6_6detail15normal_iteratorINS6_10device_ptrIsEEEENSD_INSE_IjEEEESG_SI_PmS8_NS6_8equal_toIsEEEE10hipError_tPvRmT2_T3_mT4_T5_T6_T7_T8_P12ihipStream_tbENKUlT_T0_E_clISt17integral_constantIbLb1EES12_IbLb0EEEEDaSY_SZ_EUlSY_E_NS1_11comp_targetILNS1_3genE10ELNS1_11target_archE1200ELNS1_3gpuE4ELNS1_3repE0EEENS1_30default_config_static_selectorELNS0_4arch9wavefront6targetE1EEEvT1_,comdat
.Lfunc_end865:
	.size	_ZN7rocprim17ROCPRIM_400000_NS6detail17trampoline_kernelINS0_14default_configENS1_29reduce_by_key_config_selectorIsjN6thrust23THRUST_200600_302600_NS4plusIjEEEEZZNS1_33reduce_by_key_impl_wrapped_configILNS1_25lookback_scan_determinismE0ES3_S9_NS6_6detail15normal_iteratorINS6_10device_ptrIsEEEENSD_INSE_IjEEEESG_SI_PmS8_NS6_8equal_toIsEEEE10hipError_tPvRmT2_T3_mT4_T5_T6_T7_T8_P12ihipStream_tbENKUlT_T0_E_clISt17integral_constantIbLb1EES12_IbLb0EEEEDaSY_SZ_EUlSY_E_NS1_11comp_targetILNS1_3genE10ELNS1_11target_archE1200ELNS1_3gpuE4ELNS1_3repE0EEENS1_30default_config_static_selectorELNS0_4arch9wavefront6targetE1EEEvT1_, .Lfunc_end865-_ZN7rocprim17ROCPRIM_400000_NS6detail17trampoline_kernelINS0_14default_configENS1_29reduce_by_key_config_selectorIsjN6thrust23THRUST_200600_302600_NS4plusIjEEEEZZNS1_33reduce_by_key_impl_wrapped_configILNS1_25lookback_scan_determinismE0ES3_S9_NS6_6detail15normal_iteratorINS6_10device_ptrIsEEEENSD_INSE_IjEEEESG_SI_PmS8_NS6_8equal_toIsEEEE10hipError_tPvRmT2_T3_mT4_T5_T6_T7_T8_P12ihipStream_tbENKUlT_T0_E_clISt17integral_constantIbLb1EES12_IbLb0EEEEDaSY_SZ_EUlSY_E_NS1_11comp_targetILNS1_3genE10ELNS1_11target_archE1200ELNS1_3gpuE4ELNS1_3repE0EEENS1_30default_config_static_selectorELNS0_4arch9wavefront6targetE1EEEvT1_
                                        ; -- End function
	.section	.AMDGPU.csdata,"",@progbits
; Kernel info:
; codeLenInByte = 0
; NumSgprs: 4
; NumVgprs: 0
; NumAgprs: 0
; TotalNumVgprs: 0
; ScratchSize: 0
; MemoryBound: 0
; FloatMode: 240
; IeeeMode: 1
; LDSByteSize: 0 bytes/workgroup (compile time only)
; SGPRBlocks: 0
; VGPRBlocks: 0
; NumSGPRsForWavesPerEU: 4
; NumVGPRsForWavesPerEU: 1
; AccumOffset: 4
; Occupancy: 8
; WaveLimiterHint : 0
; COMPUTE_PGM_RSRC2:SCRATCH_EN: 0
; COMPUTE_PGM_RSRC2:USER_SGPR: 6
; COMPUTE_PGM_RSRC2:TRAP_HANDLER: 0
; COMPUTE_PGM_RSRC2:TGID_X_EN: 1
; COMPUTE_PGM_RSRC2:TGID_Y_EN: 0
; COMPUTE_PGM_RSRC2:TGID_Z_EN: 0
; COMPUTE_PGM_RSRC2:TIDIG_COMP_CNT: 0
; COMPUTE_PGM_RSRC3_GFX90A:ACCUM_OFFSET: 0
; COMPUTE_PGM_RSRC3_GFX90A:TG_SPLIT: 0
	.section	.text._ZN7rocprim17ROCPRIM_400000_NS6detail17trampoline_kernelINS0_14default_configENS1_29reduce_by_key_config_selectorIsjN6thrust23THRUST_200600_302600_NS4plusIjEEEEZZNS1_33reduce_by_key_impl_wrapped_configILNS1_25lookback_scan_determinismE0ES3_S9_NS6_6detail15normal_iteratorINS6_10device_ptrIsEEEENSD_INSE_IjEEEESG_SI_PmS8_NS6_8equal_toIsEEEE10hipError_tPvRmT2_T3_mT4_T5_T6_T7_T8_P12ihipStream_tbENKUlT_T0_E_clISt17integral_constantIbLb1EES12_IbLb0EEEEDaSY_SZ_EUlSY_E_NS1_11comp_targetILNS1_3genE9ELNS1_11target_archE1100ELNS1_3gpuE3ELNS1_3repE0EEENS1_30default_config_static_selectorELNS0_4arch9wavefront6targetE1EEEvT1_,"axG",@progbits,_ZN7rocprim17ROCPRIM_400000_NS6detail17trampoline_kernelINS0_14default_configENS1_29reduce_by_key_config_selectorIsjN6thrust23THRUST_200600_302600_NS4plusIjEEEEZZNS1_33reduce_by_key_impl_wrapped_configILNS1_25lookback_scan_determinismE0ES3_S9_NS6_6detail15normal_iteratorINS6_10device_ptrIsEEEENSD_INSE_IjEEEESG_SI_PmS8_NS6_8equal_toIsEEEE10hipError_tPvRmT2_T3_mT4_T5_T6_T7_T8_P12ihipStream_tbENKUlT_T0_E_clISt17integral_constantIbLb1EES12_IbLb0EEEEDaSY_SZ_EUlSY_E_NS1_11comp_targetILNS1_3genE9ELNS1_11target_archE1100ELNS1_3gpuE3ELNS1_3repE0EEENS1_30default_config_static_selectorELNS0_4arch9wavefront6targetE1EEEvT1_,comdat
	.protected	_ZN7rocprim17ROCPRIM_400000_NS6detail17trampoline_kernelINS0_14default_configENS1_29reduce_by_key_config_selectorIsjN6thrust23THRUST_200600_302600_NS4plusIjEEEEZZNS1_33reduce_by_key_impl_wrapped_configILNS1_25lookback_scan_determinismE0ES3_S9_NS6_6detail15normal_iteratorINS6_10device_ptrIsEEEENSD_INSE_IjEEEESG_SI_PmS8_NS6_8equal_toIsEEEE10hipError_tPvRmT2_T3_mT4_T5_T6_T7_T8_P12ihipStream_tbENKUlT_T0_E_clISt17integral_constantIbLb1EES12_IbLb0EEEEDaSY_SZ_EUlSY_E_NS1_11comp_targetILNS1_3genE9ELNS1_11target_archE1100ELNS1_3gpuE3ELNS1_3repE0EEENS1_30default_config_static_selectorELNS0_4arch9wavefront6targetE1EEEvT1_ ; -- Begin function _ZN7rocprim17ROCPRIM_400000_NS6detail17trampoline_kernelINS0_14default_configENS1_29reduce_by_key_config_selectorIsjN6thrust23THRUST_200600_302600_NS4plusIjEEEEZZNS1_33reduce_by_key_impl_wrapped_configILNS1_25lookback_scan_determinismE0ES3_S9_NS6_6detail15normal_iteratorINS6_10device_ptrIsEEEENSD_INSE_IjEEEESG_SI_PmS8_NS6_8equal_toIsEEEE10hipError_tPvRmT2_T3_mT4_T5_T6_T7_T8_P12ihipStream_tbENKUlT_T0_E_clISt17integral_constantIbLb1EES12_IbLb0EEEEDaSY_SZ_EUlSY_E_NS1_11comp_targetILNS1_3genE9ELNS1_11target_archE1100ELNS1_3gpuE3ELNS1_3repE0EEENS1_30default_config_static_selectorELNS0_4arch9wavefront6targetE1EEEvT1_
	.globl	_ZN7rocprim17ROCPRIM_400000_NS6detail17trampoline_kernelINS0_14default_configENS1_29reduce_by_key_config_selectorIsjN6thrust23THRUST_200600_302600_NS4plusIjEEEEZZNS1_33reduce_by_key_impl_wrapped_configILNS1_25lookback_scan_determinismE0ES3_S9_NS6_6detail15normal_iteratorINS6_10device_ptrIsEEEENSD_INSE_IjEEEESG_SI_PmS8_NS6_8equal_toIsEEEE10hipError_tPvRmT2_T3_mT4_T5_T6_T7_T8_P12ihipStream_tbENKUlT_T0_E_clISt17integral_constantIbLb1EES12_IbLb0EEEEDaSY_SZ_EUlSY_E_NS1_11comp_targetILNS1_3genE9ELNS1_11target_archE1100ELNS1_3gpuE3ELNS1_3repE0EEENS1_30default_config_static_selectorELNS0_4arch9wavefront6targetE1EEEvT1_
	.p2align	8
	.type	_ZN7rocprim17ROCPRIM_400000_NS6detail17trampoline_kernelINS0_14default_configENS1_29reduce_by_key_config_selectorIsjN6thrust23THRUST_200600_302600_NS4plusIjEEEEZZNS1_33reduce_by_key_impl_wrapped_configILNS1_25lookback_scan_determinismE0ES3_S9_NS6_6detail15normal_iteratorINS6_10device_ptrIsEEEENSD_INSE_IjEEEESG_SI_PmS8_NS6_8equal_toIsEEEE10hipError_tPvRmT2_T3_mT4_T5_T6_T7_T8_P12ihipStream_tbENKUlT_T0_E_clISt17integral_constantIbLb1EES12_IbLb0EEEEDaSY_SZ_EUlSY_E_NS1_11comp_targetILNS1_3genE9ELNS1_11target_archE1100ELNS1_3gpuE3ELNS1_3repE0EEENS1_30default_config_static_selectorELNS0_4arch9wavefront6targetE1EEEvT1_,@function
_ZN7rocprim17ROCPRIM_400000_NS6detail17trampoline_kernelINS0_14default_configENS1_29reduce_by_key_config_selectorIsjN6thrust23THRUST_200600_302600_NS4plusIjEEEEZZNS1_33reduce_by_key_impl_wrapped_configILNS1_25lookback_scan_determinismE0ES3_S9_NS6_6detail15normal_iteratorINS6_10device_ptrIsEEEENSD_INSE_IjEEEESG_SI_PmS8_NS6_8equal_toIsEEEE10hipError_tPvRmT2_T3_mT4_T5_T6_T7_T8_P12ihipStream_tbENKUlT_T0_E_clISt17integral_constantIbLb1EES12_IbLb0EEEEDaSY_SZ_EUlSY_E_NS1_11comp_targetILNS1_3genE9ELNS1_11target_archE1100ELNS1_3gpuE3ELNS1_3repE0EEENS1_30default_config_static_selectorELNS0_4arch9wavefront6targetE1EEEvT1_: ; @_ZN7rocprim17ROCPRIM_400000_NS6detail17trampoline_kernelINS0_14default_configENS1_29reduce_by_key_config_selectorIsjN6thrust23THRUST_200600_302600_NS4plusIjEEEEZZNS1_33reduce_by_key_impl_wrapped_configILNS1_25lookback_scan_determinismE0ES3_S9_NS6_6detail15normal_iteratorINS6_10device_ptrIsEEEENSD_INSE_IjEEEESG_SI_PmS8_NS6_8equal_toIsEEEE10hipError_tPvRmT2_T3_mT4_T5_T6_T7_T8_P12ihipStream_tbENKUlT_T0_E_clISt17integral_constantIbLb1EES12_IbLb0EEEEDaSY_SZ_EUlSY_E_NS1_11comp_targetILNS1_3genE9ELNS1_11target_archE1100ELNS1_3gpuE3ELNS1_3repE0EEENS1_30default_config_static_selectorELNS0_4arch9wavefront6targetE1EEEvT1_
; %bb.0:
	.section	.rodata,"a",@progbits
	.p2align	6, 0x0
	.amdhsa_kernel _ZN7rocprim17ROCPRIM_400000_NS6detail17trampoline_kernelINS0_14default_configENS1_29reduce_by_key_config_selectorIsjN6thrust23THRUST_200600_302600_NS4plusIjEEEEZZNS1_33reduce_by_key_impl_wrapped_configILNS1_25lookback_scan_determinismE0ES3_S9_NS6_6detail15normal_iteratorINS6_10device_ptrIsEEEENSD_INSE_IjEEEESG_SI_PmS8_NS6_8equal_toIsEEEE10hipError_tPvRmT2_T3_mT4_T5_T6_T7_T8_P12ihipStream_tbENKUlT_T0_E_clISt17integral_constantIbLb1EES12_IbLb0EEEEDaSY_SZ_EUlSY_E_NS1_11comp_targetILNS1_3genE9ELNS1_11target_archE1100ELNS1_3gpuE3ELNS1_3repE0EEENS1_30default_config_static_selectorELNS0_4arch9wavefront6targetE1EEEvT1_
		.amdhsa_group_segment_fixed_size 0
		.amdhsa_private_segment_fixed_size 0
		.amdhsa_kernarg_size 120
		.amdhsa_user_sgpr_count 6
		.amdhsa_user_sgpr_private_segment_buffer 1
		.amdhsa_user_sgpr_dispatch_ptr 0
		.amdhsa_user_sgpr_queue_ptr 0
		.amdhsa_user_sgpr_kernarg_segment_ptr 1
		.amdhsa_user_sgpr_dispatch_id 0
		.amdhsa_user_sgpr_flat_scratch_init 0
		.amdhsa_user_sgpr_kernarg_preload_length 0
		.amdhsa_user_sgpr_kernarg_preload_offset 0
		.amdhsa_user_sgpr_private_segment_size 0
		.amdhsa_uses_dynamic_stack 0
		.amdhsa_system_sgpr_private_segment_wavefront_offset 0
		.amdhsa_system_sgpr_workgroup_id_x 1
		.amdhsa_system_sgpr_workgroup_id_y 0
		.amdhsa_system_sgpr_workgroup_id_z 0
		.amdhsa_system_sgpr_workgroup_info 0
		.amdhsa_system_vgpr_workitem_id 0
		.amdhsa_next_free_vgpr 1
		.amdhsa_next_free_sgpr 0
		.amdhsa_accum_offset 4
		.amdhsa_reserve_vcc 0
		.amdhsa_reserve_flat_scratch 0
		.amdhsa_float_round_mode_32 0
		.amdhsa_float_round_mode_16_64 0
		.amdhsa_float_denorm_mode_32 3
		.amdhsa_float_denorm_mode_16_64 3
		.amdhsa_dx10_clamp 1
		.amdhsa_ieee_mode 1
		.amdhsa_fp16_overflow 0
		.amdhsa_tg_split 0
		.amdhsa_exception_fp_ieee_invalid_op 0
		.amdhsa_exception_fp_denorm_src 0
		.amdhsa_exception_fp_ieee_div_zero 0
		.amdhsa_exception_fp_ieee_overflow 0
		.amdhsa_exception_fp_ieee_underflow 0
		.amdhsa_exception_fp_ieee_inexact 0
		.amdhsa_exception_int_div_zero 0
	.end_amdhsa_kernel
	.section	.text._ZN7rocprim17ROCPRIM_400000_NS6detail17trampoline_kernelINS0_14default_configENS1_29reduce_by_key_config_selectorIsjN6thrust23THRUST_200600_302600_NS4plusIjEEEEZZNS1_33reduce_by_key_impl_wrapped_configILNS1_25lookback_scan_determinismE0ES3_S9_NS6_6detail15normal_iteratorINS6_10device_ptrIsEEEENSD_INSE_IjEEEESG_SI_PmS8_NS6_8equal_toIsEEEE10hipError_tPvRmT2_T3_mT4_T5_T6_T7_T8_P12ihipStream_tbENKUlT_T0_E_clISt17integral_constantIbLb1EES12_IbLb0EEEEDaSY_SZ_EUlSY_E_NS1_11comp_targetILNS1_3genE9ELNS1_11target_archE1100ELNS1_3gpuE3ELNS1_3repE0EEENS1_30default_config_static_selectorELNS0_4arch9wavefront6targetE1EEEvT1_,"axG",@progbits,_ZN7rocprim17ROCPRIM_400000_NS6detail17trampoline_kernelINS0_14default_configENS1_29reduce_by_key_config_selectorIsjN6thrust23THRUST_200600_302600_NS4plusIjEEEEZZNS1_33reduce_by_key_impl_wrapped_configILNS1_25lookback_scan_determinismE0ES3_S9_NS6_6detail15normal_iteratorINS6_10device_ptrIsEEEENSD_INSE_IjEEEESG_SI_PmS8_NS6_8equal_toIsEEEE10hipError_tPvRmT2_T3_mT4_T5_T6_T7_T8_P12ihipStream_tbENKUlT_T0_E_clISt17integral_constantIbLb1EES12_IbLb0EEEEDaSY_SZ_EUlSY_E_NS1_11comp_targetILNS1_3genE9ELNS1_11target_archE1100ELNS1_3gpuE3ELNS1_3repE0EEENS1_30default_config_static_selectorELNS0_4arch9wavefront6targetE1EEEvT1_,comdat
.Lfunc_end866:
	.size	_ZN7rocprim17ROCPRIM_400000_NS6detail17trampoline_kernelINS0_14default_configENS1_29reduce_by_key_config_selectorIsjN6thrust23THRUST_200600_302600_NS4plusIjEEEEZZNS1_33reduce_by_key_impl_wrapped_configILNS1_25lookback_scan_determinismE0ES3_S9_NS6_6detail15normal_iteratorINS6_10device_ptrIsEEEENSD_INSE_IjEEEESG_SI_PmS8_NS6_8equal_toIsEEEE10hipError_tPvRmT2_T3_mT4_T5_T6_T7_T8_P12ihipStream_tbENKUlT_T0_E_clISt17integral_constantIbLb1EES12_IbLb0EEEEDaSY_SZ_EUlSY_E_NS1_11comp_targetILNS1_3genE9ELNS1_11target_archE1100ELNS1_3gpuE3ELNS1_3repE0EEENS1_30default_config_static_selectorELNS0_4arch9wavefront6targetE1EEEvT1_, .Lfunc_end866-_ZN7rocprim17ROCPRIM_400000_NS6detail17trampoline_kernelINS0_14default_configENS1_29reduce_by_key_config_selectorIsjN6thrust23THRUST_200600_302600_NS4plusIjEEEEZZNS1_33reduce_by_key_impl_wrapped_configILNS1_25lookback_scan_determinismE0ES3_S9_NS6_6detail15normal_iteratorINS6_10device_ptrIsEEEENSD_INSE_IjEEEESG_SI_PmS8_NS6_8equal_toIsEEEE10hipError_tPvRmT2_T3_mT4_T5_T6_T7_T8_P12ihipStream_tbENKUlT_T0_E_clISt17integral_constantIbLb1EES12_IbLb0EEEEDaSY_SZ_EUlSY_E_NS1_11comp_targetILNS1_3genE9ELNS1_11target_archE1100ELNS1_3gpuE3ELNS1_3repE0EEENS1_30default_config_static_selectorELNS0_4arch9wavefront6targetE1EEEvT1_
                                        ; -- End function
	.section	.AMDGPU.csdata,"",@progbits
; Kernel info:
; codeLenInByte = 0
; NumSgprs: 4
; NumVgprs: 0
; NumAgprs: 0
; TotalNumVgprs: 0
; ScratchSize: 0
; MemoryBound: 0
; FloatMode: 240
; IeeeMode: 1
; LDSByteSize: 0 bytes/workgroup (compile time only)
; SGPRBlocks: 0
; VGPRBlocks: 0
; NumSGPRsForWavesPerEU: 4
; NumVGPRsForWavesPerEU: 1
; AccumOffset: 4
; Occupancy: 8
; WaveLimiterHint : 0
; COMPUTE_PGM_RSRC2:SCRATCH_EN: 0
; COMPUTE_PGM_RSRC2:USER_SGPR: 6
; COMPUTE_PGM_RSRC2:TRAP_HANDLER: 0
; COMPUTE_PGM_RSRC2:TGID_X_EN: 1
; COMPUTE_PGM_RSRC2:TGID_Y_EN: 0
; COMPUTE_PGM_RSRC2:TGID_Z_EN: 0
; COMPUTE_PGM_RSRC2:TIDIG_COMP_CNT: 0
; COMPUTE_PGM_RSRC3_GFX90A:ACCUM_OFFSET: 0
; COMPUTE_PGM_RSRC3_GFX90A:TG_SPLIT: 0
	.section	.text._ZN7rocprim17ROCPRIM_400000_NS6detail17trampoline_kernelINS0_14default_configENS1_29reduce_by_key_config_selectorIsjN6thrust23THRUST_200600_302600_NS4plusIjEEEEZZNS1_33reduce_by_key_impl_wrapped_configILNS1_25lookback_scan_determinismE0ES3_S9_NS6_6detail15normal_iteratorINS6_10device_ptrIsEEEENSD_INSE_IjEEEESG_SI_PmS8_NS6_8equal_toIsEEEE10hipError_tPvRmT2_T3_mT4_T5_T6_T7_T8_P12ihipStream_tbENKUlT_T0_E_clISt17integral_constantIbLb1EES12_IbLb0EEEEDaSY_SZ_EUlSY_E_NS1_11comp_targetILNS1_3genE8ELNS1_11target_archE1030ELNS1_3gpuE2ELNS1_3repE0EEENS1_30default_config_static_selectorELNS0_4arch9wavefront6targetE1EEEvT1_,"axG",@progbits,_ZN7rocprim17ROCPRIM_400000_NS6detail17trampoline_kernelINS0_14default_configENS1_29reduce_by_key_config_selectorIsjN6thrust23THRUST_200600_302600_NS4plusIjEEEEZZNS1_33reduce_by_key_impl_wrapped_configILNS1_25lookback_scan_determinismE0ES3_S9_NS6_6detail15normal_iteratorINS6_10device_ptrIsEEEENSD_INSE_IjEEEESG_SI_PmS8_NS6_8equal_toIsEEEE10hipError_tPvRmT2_T3_mT4_T5_T6_T7_T8_P12ihipStream_tbENKUlT_T0_E_clISt17integral_constantIbLb1EES12_IbLb0EEEEDaSY_SZ_EUlSY_E_NS1_11comp_targetILNS1_3genE8ELNS1_11target_archE1030ELNS1_3gpuE2ELNS1_3repE0EEENS1_30default_config_static_selectorELNS0_4arch9wavefront6targetE1EEEvT1_,comdat
	.protected	_ZN7rocprim17ROCPRIM_400000_NS6detail17trampoline_kernelINS0_14default_configENS1_29reduce_by_key_config_selectorIsjN6thrust23THRUST_200600_302600_NS4plusIjEEEEZZNS1_33reduce_by_key_impl_wrapped_configILNS1_25lookback_scan_determinismE0ES3_S9_NS6_6detail15normal_iteratorINS6_10device_ptrIsEEEENSD_INSE_IjEEEESG_SI_PmS8_NS6_8equal_toIsEEEE10hipError_tPvRmT2_T3_mT4_T5_T6_T7_T8_P12ihipStream_tbENKUlT_T0_E_clISt17integral_constantIbLb1EES12_IbLb0EEEEDaSY_SZ_EUlSY_E_NS1_11comp_targetILNS1_3genE8ELNS1_11target_archE1030ELNS1_3gpuE2ELNS1_3repE0EEENS1_30default_config_static_selectorELNS0_4arch9wavefront6targetE1EEEvT1_ ; -- Begin function _ZN7rocprim17ROCPRIM_400000_NS6detail17trampoline_kernelINS0_14default_configENS1_29reduce_by_key_config_selectorIsjN6thrust23THRUST_200600_302600_NS4plusIjEEEEZZNS1_33reduce_by_key_impl_wrapped_configILNS1_25lookback_scan_determinismE0ES3_S9_NS6_6detail15normal_iteratorINS6_10device_ptrIsEEEENSD_INSE_IjEEEESG_SI_PmS8_NS6_8equal_toIsEEEE10hipError_tPvRmT2_T3_mT4_T5_T6_T7_T8_P12ihipStream_tbENKUlT_T0_E_clISt17integral_constantIbLb1EES12_IbLb0EEEEDaSY_SZ_EUlSY_E_NS1_11comp_targetILNS1_3genE8ELNS1_11target_archE1030ELNS1_3gpuE2ELNS1_3repE0EEENS1_30default_config_static_selectorELNS0_4arch9wavefront6targetE1EEEvT1_
	.globl	_ZN7rocprim17ROCPRIM_400000_NS6detail17trampoline_kernelINS0_14default_configENS1_29reduce_by_key_config_selectorIsjN6thrust23THRUST_200600_302600_NS4plusIjEEEEZZNS1_33reduce_by_key_impl_wrapped_configILNS1_25lookback_scan_determinismE0ES3_S9_NS6_6detail15normal_iteratorINS6_10device_ptrIsEEEENSD_INSE_IjEEEESG_SI_PmS8_NS6_8equal_toIsEEEE10hipError_tPvRmT2_T3_mT4_T5_T6_T7_T8_P12ihipStream_tbENKUlT_T0_E_clISt17integral_constantIbLb1EES12_IbLb0EEEEDaSY_SZ_EUlSY_E_NS1_11comp_targetILNS1_3genE8ELNS1_11target_archE1030ELNS1_3gpuE2ELNS1_3repE0EEENS1_30default_config_static_selectorELNS0_4arch9wavefront6targetE1EEEvT1_
	.p2align	8
	.type	_ZN7rocprim17ROCPRIM_400000_NS6detail17trampoline_kernelINS0_14default_configENS1_29reduce_by_key_config_selectorIsjN6thrust23THRUST_200600_302600_NS4plusIjEEEEZZNS1_33reduce_by_key_impl_wrapped_configILNS1_25lookback_scan_determinismE0ES3_S9_NS6_6detail15normal_iteratorINS6_10device_ptrIsEEEENSD_INSE_IjEEEESG_SI_PmS8_NS6_8equal_toIsEEEE10hipError_tPvRmT2_T3_mT4_T5_T6_T7_T8_P12ihipStream_tbENKUlT_T0_E_clISt17integral_constantIbLb1EES12_IbLb0EEEEDaSY_SZ_EUlSY_E_NS1_11comp_targetILNS1_3genE8ELNS1_11target_archE1030ELNS1_3gpuE2ELNS1_3repE0EEENS1_30default_config_static_selectorELNS0_4arch9wavefront6targetE1EEEvT1_,@function
_ZN7rocprim17ROCPRIM_400000_NS6detail17trampoline_kernelINS0_14default_configENS1_29reduce_by_key_config_selectorIsjN6thrust23THRUST_200600_302600_NS4plusIjEEEEZZNS1_33reduce_by_key_impl_wrapped_configILNS1_25lookback_scan_determinismE0ES3_S9_NS6_6detail15normal_iteratorINS6_10device_ptrIsEEEENSD_INSE_IjEEEESG_SI_PmS8_NS6_8equal_toIsEEEE10hipError_tPvRmT2_T3_mT4_T5_T6_T7_T8_P12ihipStream_tbENKUlT_T0_E_clISt17integral_constantIbLb1EES12_IbLb0EEEEDaSY_SZ_EUlSY_E_NS1_11comp_targetILNS1_3genE8ELNS1_11target_archE1030ELNS1_3gpuE2ELNS1_3repE0EEENS1_30default_config_static_selectorELNS0_4arch9wavefront6targetE1EEEvT1_: ; @_ZN7rocprim17ROCPRIM_400000_NS6detail17trampoline_kernelINS0_14default_configENS1_29reduce_by_key_config_selectorIsjN6thrust23THRUST_200600_302600_NS4plusIjEEEEZZNS1_33reduce_by_key_impl_wrapped_configILNS1_25lookback_scan_determinismE0ES3_S9_NS6_6detail15normal_iteratorINS6_10device_ptrIsEEEENSD_INSE_IjEEEESG_SI_PmS8_NS6_8equal_toIsEEEE10hipError_tPvRmT2_T3_mT4_T5_T6_T7_T8_P12ihipStream_tbENKUlT_T0_E_clISt17integral_constantIbLb1EES12_IbLb0EEEEDaSY_SZ_EUlSY_E_NS1_11comp_targetILNS1_3genE8ELNS1_11target_archE1030ELNS1_3gpuE2ELNS1_3repE0EEENS1_30default_config_static_selectorELNS0_4arch9wavefront6targetE1EEEvT1_
; %bb.0:
	.section	.rodata,"a",@progbits
	.p2align	6, 0x0
	.amdhsa_kernel _ZN7rocprim17ROCPRIM_400000_NS6detail17trampoline_kernelINS0_14default_configENS1_29reduce_by_key_config_selectorIsjN6thrust23THRUST_200600_302600_NS4plusIjEEEEZZNS1_33reduce_by_key_impl_wrapped_configILNS1_25lookback_scan_determinismE0ES3_S9_NS6_6detail15normal_iteratorINS6_10device_ptrIsEEEENSD_INSE_IjEEEESG_SI_PmS8_NS6_8equal_toIsEEEE10hipError_tPvRmT2_T3_mT4_T5_T6_T7_T8_P12ihipStream_tbENKUlT_T0_E_clISt17integral_constantIbLb1EES12_IbLb0EEEEDaSY_SZ_EUlSY_E_NS1_11comp_targetILNS1_3genE8ELNS1_11target_archE1030ELNS1_3gpuE2ELNS1_3repE0EEENS1_30default_config_static_selectorELNS0_4arch9wavefront6targetE1EEEvT1_
		.amdhsa_group_segment_fixed_size 0
		.amdhsa_private_segment_fixed_size 0
		.amdhsa_kernarg_size 120
		.amdhsa_user_sgpr_count 6
		.amdhsa_user_sgpr_private_segment_buffer 1
		.amdhsa_user_sgpr_dispatch_ptr 0
		.amdhsa_user_sgpr_queue_ptr 0
		.amdhsa_user_sgpr_kernarg_segment_ptr 1
		.amdhsa_user_sgpr_dispatch_id 0
		.amdhsa_user_sgpr_flat_scratch_init 0
		.amdhsa_user_sgpr_kernarg_preload_length 0
		.amdhsa_user_sgpr_kernarg_preload_offset 0
		.amdhsa_user_sgpr_private_segment_size 0
		.amdhsa_uses_dynamic_stack 0
		.amdhsa_system_sgpr_private_segment_wavefront_offset 0
		.amdhsa_system_sgpr_workgroup_id_x 1
		.amdhsa_system_sgpr_workgroup_id_y 0
		.amdhsa_system_sgpr_workgroup_id_z 0
		.amdhsa_system_sgpr_workgroup_info 0
		.amdhsa_system_vgpr_workitem_id 0
		.amdhsa_next_free_vgpr 1
		.amdhsa_next_free_sgpr 0
		.amdhsa_accum_offset 4
		.amdhsa_reserve_vcc 0
		.amdhsa_reserve_flat_scratch 0
		.amdhsa_float_round_mode_32 0
		.amdhsa_float_round_mode_16_64 0
		.amdhsa_float_denorm_mode_32 3
		.amdhsa_float_denorm_mode_16_64 3
		.amdhsa_dx10_clamp 1
		.amdhsa_ieee_mode 1
		.amdhsa_fp16_overflow 0
		.amdhsa_tg_split 0
		.amdhsa_exception_fp_ieee_invalid_op 0
		.amdhsa_exception_fp_denorm_src 0
		.amdhsa_exception_fp_ieee_div_zero 0
		.amdhsa_exception_fp_ieee_overflow 0
		.amdhsa_exception_fp_ieee_underflow 0
		.amdhsa_exception_fp_ieee_inexact 0
		.amdhsa_exception_int_div_zero 0
	.end_amdhsa_kernel
	.section	.text._ZN7rocprim17ROCPRIM_400000_NS6detail17trampoline_kernelINS0_14default_configENS1_29reduce_by_key_config_selectorIsjN6thrust23THRUST_200600_302600_NS4plusIjEEEEZZNS1_33reduce_by_key_impl_wrapped_configILNS1_25lookback_scan_determinismE0ES3_S9_NS6_6detail15normal_iteratorINS6_10device_ptrIsEEEENSD_INSE_IjEEEESG_SI_PmS8_NS6_8equal_toIsEEEE10hipError_tPvRmT2_T3_mT4_T5_T6_T7_T8_P12ihipStream_tbENKUlT_T0_E_clISt17integral_constantIbLb1EES12_IbLb0EEEEDaSY_SZ_EUlSY_E_NS1_11comp_targetILNS1_3genE8ELNS1_11target_archE1030ELNS1_3gpuE2ELNS1_3repE0EEENS1_30default_config_static_selectorELNS0_4arch9wavefront6targetE1EEEvT1_,"axG",@progbits,_ZN7rocprim17ROCPRIM_400000_NS6detail17trampoline_kernelINS0_14default_configENS1_29reduce_by_key_config_selectorIsjN6thrust23THRUST_200600_302600_NS4plusIjEEEEZZNS1_33reduce_by_key_impl_wrapped_configILNS1_25lookback_scan_determinismE0ES3_S9_NS6_6detail15normal_iteratorINS6_10device_ptrIsEEEENSD_INSE_IjEEEESG_SI_PmS8_NS6_8equal_toIsEEEE10hipError_tPvRmT2_T3_mT4_T5_T6_T7_T8_P12ihipStream_tbENKUlT_T0_E_clISt17integral_constantIbLb1EES12_IbLb0EEEEDaSY_SZ_EUlSY_E_NS1_11comp_targetILNS1_3genE8ELNS1_11target_archE1030ELNS1_3gpuE2ELNS1_3repE0EEENS1_30default_config_static_selectorELNS0_4arch9wavefront6targetE1EEEvT1_,comdat
.Lfunc_end867:
	.size	_ZN7rocprim17ROCPRIM_400000_NS6detail17trampoline_kernelINS0_14default_configENS1_29reduce_by_key_config_selectorIsjN6thrust23THRUST_200600_302600_NS4plusIjEEEEZZNS1_33reduce_by_key_impl_wrapped_configILNS1_25lookback_scan_determinismE0ES3_S9_NS6_6detail15normal_iteratorINS6_10device_ptrIsEEEENSD_INSE_IjEEEESG_SI_PmS8_NS6_8equal_toIsEEEE10hipError_tPvRmT2_T3_mT4_T5_T6_T7_T8_P12ihipStream_tbENKUlT_T0_E_clISt17integral_constantIbLb1EES12_IbLb0EEEEDaSY_SZ_EUlSY_E_NS1_11comp_targetILNS1_3genE8ELNS1_11target_archE1030ELNS1_3gpuE2ELNS1_3repE0EEENS1_30default_config_static_selectorELNS0_4arch9wavefront6targetE1EEEvT1_, .Lfunc_end867-_ZN7rocprim17ROCPRIM_400000_NS6detail17trampoline_kernelINS0_14default_configENS1_29reduce_by_key_config_selectorIsjN6thrust23THRUST_200600_302600_NS4plusIjEEEEZZNS1_33reduce_by_key_impl_wrapped_configILNS1_25lookback_scan_determinismE0ES3_S9_NS6_6detail15normal_iteratorINS6_10device_ptrIsEEEENSD_INSE_IjEEEESG_SI_PmS8_NS6_8equal_toIsEEEE10hipError_tPvRmT2_T3_mT4_T5_T6_T7_T8_P12ihipStream_tbENKUlT_T0_E_clISt17integral_constantIbLb1EES12_IbLb0EEEEDaSY_SZ_EUlSY_E_NS1_11comp_targetILNS1_3genE8ELNS1_11target_archE1030ELNS1_3gpuE2ELNS1_3repE0EEENS1_30default_config_static_selectorELNS0_4arch9wavefront6targetE1EEEvT1_
                                        ; -- End function
	.section	.AMDGPU.csdata,"",@progbits
; Kernel info:
; codeLenInByte = 0
; NumSgprs: 4
; NumVgprs: 0
; NumAgprs: 0
; TotalNumVgprs: 0
; ScratchSize: 0
; MemoryBound: 0
; FloatMode: 240
; IeeeMode: 1
; LDSByteSize: 0 bytes/workgroup (compile time only)
; SGPRBlocks: 0
; VGPRBlocks: 0
; NumSGPRsForWavesPerEU: 4
; NumVGPRsForWavesPerEU: 1
; AccumOffset: 4
; Occupancy: 8
; WaveLimiterHint : 0
; COMPUTE_PGM_RSRC2:SCRATCH_EN: 0
; COMPUTE_PGM_RSRC2:USER_SGPR: 6
; COMPUTE_PGM_RSRC2:TRAP_HANDLER: 0
; COMPUTE_PGM_RSRC2:TGID_X_EN: 1
; COMPUTE_PGM_RSRC2:TGID_Y_EN: 0
; COMPUTE_PGM_RSRC2:TGID_Z_EN: 0
; COMPUTE_PGM_RSRC2:TIDIG_COMP_CNT: 0
; COMPUTE_PGM_RSRC3_GFX90A:ACCUM_OFFSET: 0
; COMPUTE_PGM_RSRC3_GFX90A:TG_SPLIT: 0
	.section	.text._ZN7rocprim17ROCPRIM_400000_NS6detail17trampoline_kernelINS0_14default_configENS1_29reduce_by_key_config_selectorIsjN6thrust23THRUST_200600_302600_NS4plusIjEEEEZZNS1_33reduce_by_key_impl_wrapped_configILNS1_25lookback_scan_determinismE0ES3_S9_NS6_6detail15normal_iteratorINS6_10device_ptrIsEEEENSD_INSE_IjEEEESG_SI_PmS8_NS6_8equal_toIsEEEE10hipError_tPvRmT2_T3_mT4_T5_T6_T7_T8_P12ihipStream_tbENKUlT_T0_E_clISt17integral_constantIbLb0EES12_IbLb1EEEEDaSY_SZ_EUlSY_E_NS1_11comp_targetILNS1_3genE0ELNS1_11target_archE4294967295ELNS1_3gpuE0ELNS1_3repE0EEENS1_30default_config_static_selectorELNS0_4arch9wavefront6targetE1EEEvT1_,"axG",@progbits,_ZN7rocprim17ROCPRIM_400000_NS6detail17trampoline_kernelINS0_14default_configENS1_29reduce_by_key_config_selectorIsjN6thrust23THRUST_200600_302600_NS4plusIjEEEEZZNS1_33reduce_by_key_impl_wrapped_configILNS1_25lookback_scan_determinismE0ES3_S9_NS6_6detail15normal_iteratorINS6_10device_ptrIsEEEENSD_INSE_IjEEEESG_SI_PmS8_NS6_8equal_toIsEEEE10hipError_tPvRmT2_T3_mT4_T5_T6_T7_T8_P12ihipStream_tbENKUlT_T0_E_clISt17integral_constantIbLb0EES12_IbLb1EEEEDaSY_SZ_EUlSY_E_NS1_11comp_targetILNS1_3genE0ELNS1_11target_archE4294967295ELNS1_3gpuE0ELNS1_3repE0EEENS1_30default_config_static_selectorELNS0_4arch9wavefront6targetE1EEEvT1_,comdat
	.protected	_ZN7rocprim17ROCPRIM_400000_NS6detail17trampoline_kernelINS0_14default_configENS1_29reduce_by_key_config_selectorIsjN6thrust23THRUST_200600_302600_NS4plusIjEEEEZZNS1_33reduce_by_key_impl_wrapped_configILNS1_25lookback_scan_determinismE0ES3_S9_NS6_6detail15normal_iteratorINS6_10device_ptrIsEEEENSD_INSE_IjEEEESG_SI_PmS8_NS6_8equal_toIsEEEE10hipError_tPvRmT2_T3_mT4_T5_T6_T7_T8_P12ihipStream_tbENKUlT_T0_E_clISt17integral_constantIbLb0EES12_IbLb1EEEEDaSY_SZ_EUlSY_E_NS1_11comp_targetILNS1_3genE0ELNS1_11target_archE4294967295ELNS1_3gpuE0ELNS1_3repE0EEENS1_30default_config_static_selectorELNS0_4arch9wavefront6targetE1EEEvT1_ ; -- Begin function _ZN7rocprim17ROCPRIM_400000_NS6detail17trampoline_kernelINS0_14default_configENS1_29reduce_by_key_config_selectorIsjN6thrust23THRUST_200600_302600_NS4plusIjEEEEZZNS1_33reduce_by_key_impl_wrapped_configILNS1_25lookback_scan_determinismE0ES3_S9_NS6_6detail15normal_iteratorINS6_10device_ptrIsEEEENSD_INSE_IjEEEESG_SI_PmS8_NS6_8equal_toIsEEEE10hipError_tPvRmT2_T3_mT4_T5_T6_T7_T8_P12ihipStream_tbENKUlT_T0_E_clISt17integral_constantIbLb0EES12_IbLb1EEEEDaSY_SZ_EUlSY_E_NS1_11comp_targetILNS1_3genE0ELNS1_11target_archE4294967295ELNS1_3gpuE0ELNS1_3repE0EEENS1_30default_config_static_selectorELNS0_4arch9wavefront6targetE1EEEvT1_
	.globl	_ZN7rocprim17ROCPRIM_400000_NS6detail17trampoline_kernelINS0_14default_configENS1_29reduce_by_key_config_selectorIsjN6thrust23THRUST_200600_302600_NS4plusIjEEEEZZNS1_33reduce_by_key_impl_wrapped_configILNS1_25lookback_scan_determinismE0ES3_S9_NS6_6detail15normal_iteratorINS6_10device_ptrIsEEEENSD_INSE_IjEEEESG_SI_PmS8_NS6_8equal_toIsEEEE10hipError_tPvRmT2_T3_mT4_T5_T6_T7_T8_P12ihipStream_tbENKUlT_T0_E_clISt17integral_constantIbLb0EES12_IbLb1EEEEDaSY_SZ_EUlSY_E_NS1_11comp_targetILNS1_3genE0ELNS1_11target_archE4294967295ELNS1_3gpuE0ELNS1_3repE0EEENS1_30default_config_static_selectorELNS0_4arch9wavefront6targetE1EEEvT1_
	.p2align	8
	.type	_ZN7rocprim17ROCPRIM_400000_NS6detail17trampoline_kernelINS0_14default_configENS1_29reduce_by_key_config_selectorIsjN6thrust23THRUST_200600_302600_NS4plusIjEEEEZZNS1_33reduce_by_key_impl_wrapped_configILNS1_25lookback_scan_determinismE0ES3_S9_NS6_6detail15normal_iteratorINS6_10device_ptrIsEEEENSD_INSE_IjEEEESG_SI_PmS8_NS6_8equal_toIsEEEE10hipError_tPvRmT2_T3_mT4_T5_T6_T7_T8_P12ihipStream_tbENKUlT_T0_E_clISt17integral_constantIbLb0EES12_IbLb1EEEEDaSY_SZ_EUlSY_E_NS1_11comp_targetILNS1_3genE0ELNS1_11target_archE4294967295ELNS1_3gpuE0ELNS1_3repE0EEENS1_30default_config_static_selectorELNS0_4arch9wavefront6targetE1EEEvT1_,@function
_ZN7rocprim17ROCPRIM_400000_NS6detail17trampoline_kernelINS0_14default_configENS1_29reduce_by_key_config_selectorIsjN6thrust23THRUST_200600_302600_NS4plusIjEEEEZZNS1_33reduce_by_key_impl_wrapped_configILNS1_25lookback_scan_determinismE0ES3_S9_NS6_6detail15normal_iteratorINS6_10device_ptrIsEEEENSD_INSE_IjEEEESG_SI_PmS8_NS6_8equal_toIsEEEE10hipError_tPvRmT2_T3_mT4_T5_T6_T7_T8_P12ihipStream_tbENKUlT_T0_E_clISt17integral_constantIbLb0EES12_IbLb1EEEEDaSY_SZ_EUlSY_E_NS1_11comp_targetILNS1_3genE0ELNS1_11target_archE4294967295ELNS1_3gpuE0ELNS1_3repE0EEENS1_30default_config_static_selectorELNS0_4arch9wavefront6targetE1EEEvT1_: ; @_ZN7rocprim17ROCPRIM_400000_NS6detail17trampoline_kernelINS0_14default_configENS1_29reduce_by_key_config_selectorIsjN6thrust23THRUST_200600_302600_NS4plusIjEEEEZZNS1_33reduce_by_key_impl_wrapped_configILNS1_25lookback_scan_determinismE0ES3_S9_NS6_6detail15normal_iteratorINS6_10device_ptrIsEEEENSD_INSE_IjEEEESG_SI_PmS8_NS6_8equal_toIsEEEE10hipError_tPvRmT2_T3_mT4_T5_T6_T7_T8_P12ihipStream_tbENKUlT_T0_E_clISt17integral_constantIbLb0EES12_IbLb1EEEEDaSY_SZ_EUlSY_E_NS1_11comp_targetILNS1_3genE0ELNS1_11target_archE4294967295ELNS1_3gpuE0ELNS1_3repE0EEENS1_30default_config_static_selectorELNS0_4arch9wavefront6targetE1EEEvT1_
; %bb.0:
	.section	.rodata,"a",@progbits
	.p2align	6, 0x0
	.amdhsa_kernel _ZN7rocprim17ROCPRIM_400000_NS6detail17trampoline_kernelINS0_14default_configENS1_29reduce_by_key_config_selectorIsjN6thrust23THRUST_200600_302600_NS4plusIjEEEEZZNS1_33reduce_by_key_impl_wrapped_configILNS1_25lookback_scan_determinismE0ES3_S9_NS6_6detail15normal_iteratorINS6_10device_ptrIsEEEENSD_INSE_IjEEEESG_SI_PmS8_NS6_8equal_toIsEEEE10hipError_tPvRmT2_T3_mT4_T5_T6_T7_T8_P12ihipStream_tbENKUlT_T0_E_clISt17integral_constantIbLb0EES12_IbLb1EEEEDaSY_SZ_EUlSY_E_NS1_11comp_targetILNS1_3genE0ELNS1_11target_archE4294967295ELNS1_3gpuE0ELNS1_3repE0EEENS1_30default_config_static_selectorELNS0_4arch9wavefront6targetE1EEEvT1_
		.amdhsa_group_segment_fixed_size 0
		.amdhsa_private_segment_fixed_size 0
		.amdhsa_kernarg_size 120
		.amdhsa_user_sgpr_count 6
		.amdhsa_user_sgpr_private_segment_buffer 1
		.amdhsa_user_sgpr_dispatch_ptr 0
		.amdhsa_user_sgpr_queue_ptr 0
		.amdhsa_user_sgpr_kernarg_segment_ptr 1
		.amdhsa_user_sgpr_dispatch_id 0
		.amdhsa_user_sgpr_flat_scratch_init 0
		.amdhsa_user_sgpr_kernarg_preload_length 0
		.amdhsa_user_sgpr_kernarg_preload_offset 0
		.amdhsa_user_sgpr_private_segment_size 0
		.amdhsa_uses_dynamic_stack 0
		.amdhsa_system_sgpr_private_segment_wavefront_offset 0
		.amdhsa_system_sgpr_workgroup_id_x 1
		.amdhsa_system_sgpr_workgroup_id_y 0
		.amdhsa_system_sgpr_workgroup_id_z 0
		.amdhsa_system_sgpr_workgroup_info 0
		.amdhsa_system_vgpr_workitem_id 0
		.amdhsa_next_free_vgpr 1
		.amdhsa_next_free_sgpr 0
		.amdhsa_accum_offset 4
		.amdhsa_reserve_vcc 0
		.amdhsa_reserve_flat_scratch 0
		.amdhsa_float_round_mode_32 0
		.amdhsa_float_round_mode_16_64 0
		.amdhsa_float_denorm_mode_32 3
		.amdhsa_float_denorm_mode_16_64 3
		.amdhsa_dx10_clamp 1
		.amdhsa_ieee_mode 1
		.amdhsa_fp16_overflow 0
		.amdhsa_tg_split 0
		.amdhsa_exception_fp_ieee_invalid_op 0
		.amdhsa_exception_fp_denorm_src 0
		.amdhsa_exception_fp_ieee_div_zero 0
		.amdhsa_exception_fp_ieee_overflow 0
		.amdhsa_exception_fp_ieee_underflow 0
		.amdhsa_exception_fp_ieee_inexact 0
		.amdhsa_exception_int_div_zero 0
	.end_amdhsa_kernel
	.section	.text._ZN7rocprim17ROCPRIM_400000_NS6detail17trampoline_kernelINS0_14default_configENS1_29reduce_by_key_config_selectorIsjN6thrust23THRUST_200600_302600_NS4plusIjEEEEZZNS1_33reduce_by_key_impl_wrapped_configILNS1_25lookback_scan_determinismE0ES3_S9_NS6_6detail15normal_iteratorINS6_10device_ptrIsEEEENSD_INSE_IjEEEESG_SI_PmS8_NS6_8equal_toIsEEEE10hipError_tPvRmT2_T3_mT4_T5_T6_T7_T8_P12ihipStream_tbENKUlT_T0_E_clISt17integral_constantIbLb0EES12_IbLb1EEEEDaSY_SZ_EUlSY_E_NS1_11comp_targetILNS1_3genE0ELNS1_11target_archE4294967295ELNS1_3gpuE0ELNS1_3repE0EEENS1_30default_config_static_selectorELNS0_4arch9wavefront6targetE1EEEvT1_,"axG",@progbits,_ZN7rocprim17ROCPRIM_400000_NS6detail17trampoline_kernelINS0_14default_configENS1_29reduce_by_key_config_selectorIsjN6thrust23THRUST_200600_302600_NS4plusIjEEEEZZNS1_33reduce_by_key_impl_wrapped_configILNS1_25lookback_scan_determinismE0ES3_S9_NS6_6detail15normal_iteratorINS6_10device_ptrIsEEEENSD_INSE_IjEEEESG_SI_PmS8_NS6_8equal_toIsEEEE10hipError_tPvRmT2_T3_mT4_T5_T6_T7_T8_P12ihipStream_tbENKUlT_T0_E_clISt17integral_constantIbLb0EES12_IbLb1EEEEDaSY_SZ_EUlSY_E_NS1_11comp_targetILNS1_3genE0ELNS1_11target_archE4294967295ELNS1_3gpuE0ELNS1_3repE0EEENS1_30default_config_static_selectorELNS0_4arch9wavefront6targetE1EEEvT1_,comdat
.Lfunc_end868:
	.size	_ZN7rocprim17ROCPRIM_400000_NS6detail17trampoline_kernelINS0_14default_configENS1_29reduce_by_key_config_selectorIsjN6thrust23THRUST_200600_302600_NS4plusIjEEEEZZNS1_33reduce_by_key_impl_wrapped_configILNS1_25lookback_scan_determinismE0ES3_S9_NS6_6detail15normal_iteratorINS6_10device_ptrIsEEEENSD_INSE_IjEEEESG_SI_PmS8_NS6_8equal_toIsEEEE10hipError_tPvRmT2_T3_mT4_T5_T6_T7_T8_P12ihipStream_tbENKUlT_T0_E_clISt17integral_constantIbLb0EES12_IbLb1EEEEDaSY_SZ_EUlSY_E_NS1_11comp_targetILNS1_3genE0ELNS1_11target_archE4294967295ELNS1_3gpuE0ELNS1_3repE0EEENS1_30default_config_static_selectorELNS0_4arch9wavefront6targetE1EEEvT1_, .Lfunc_end868-_ZN7rocprim17ROCPRIM_400000_NS6detail17trampoline_kernelINS0_14default_configENS1_29reduce_by_key_config_selectorIsjN6thrust23THRUST_200600_302600_NS4plusIjEEEEZZNS1_33reduce_by_key_impl_wrapped_configILNS1_25lookback_scan_determinismE0ES3_S9_NS6_6detail15normal_iteratorINS6_10device_ptrIsEEEENSD_INSE_IjEEEESG_SI_PmS8_NS6_8equal_toIsEEEE10hipError_tPvRmT2_T3_mT4_T5_T6_T7_T8_P12ihipStream_tbENKUlT_T0_E_clISt17integral_constantIbLb0EES12_IbLb1EEEEDaSY_SZ_EUlSY_E_NS1_11comp_targetILNS1_3genE0ELNS1_11target_archE4294967295ELNS1_3gpuE0ELNS1_3repE0EEENS1_30default_config_static_selectorELNS0_4arch9wavefront6targetE1EEEvT1_
                                        ; -- End function
	.section	.AMDGPU.csdata,"",@progbits
; Kernel info:
; codeLenInByte = 0
; NumSgprs: 4
; NumVgprs: 0
; NumAgprs: 0
; TotalNumVgprs: 0
; ScratchSize: 0
; MemoryBound: 0
; FloatMode: 240
; IeeeMode: 1
; LDSByteSize: 0 bytes/workgroup (compile time only)
; SGPRBlocks: 0
; VGPRBlocks: 0
; NumSGPRsForWavesPerEU: 4
; NumVGPRsForWavesPerEU: 1
; AccumOffset: 4
; Occupancy: 8
; WaveLimiterHint : 0
; COMPUTE_PGM_RSRC2:SCRATCH_EN: 0
; COMPUTE_PGM_RSRC2:USER_SGPR: 6
; COMPUTE_PGM_RSRC2:TRAP_HANDLER: 0
; COMPUTE_PGM_RSRC2:TGID_X_EN: 1
; COMPUTE_PGM_RSRC2:TGID_Y_EN: 0
; COMPUTE_PGM_RSRC2:TGID_Z_EN: 0
; COMPUTE_PGM_RSRC2:TIDIG_COMP_CNT: 0
; COMPUTE_PGM_RSRC3_GFX90A:ACCUM_OFFSET: 0
; COMPUTE_PGM_RSRC3_GFX90A:TG_SPLIT: 0
	.section	.text._ZN7rocprim17ROCPRIM_400000_NS6detail17trampoline_kernelINS0_14default_configENS1_29reduce_by_key_config_selectorIsjN6thrust23THRUST_200600_302600_NS4plusIjEEEEZZNS1_33reduce_by_key_impl_wrapped_configILNS1_25lookback_scan_determinismE0ES3_S9_NS6_6detail15normal_iteratorINS6_10device_ptrIsEEEENSD_INSE_IjEEEESG_SI_PmS8_NS6_8equal_toIsEEEE10hipError_tPvRmT2_T3_mT4_T5_T6_T7_T8_P12ihipStream_tbENKUlT_T0_E_clISt17integral_constantIbLb0EES12_IbLb1EEEEDaSY_SZ_EUlSY_E_NS1_11comp_targetILNS1_3genE5ELNS1_11target_archE942ELNS1_3gpuE9ELNS1_3repE0EEENS1_30default_config_static_selectorELNS0_4arch9wavefront6targetE1EEEvT1_,"axG",@progbits,_ZN7rocprim17ROCPRIM_400000_NS6detail17trampoline_kernelINS0_14default_configENS1_29reduce_by_key_config_selectorIsjN6thrust23THRUST_200600_302600_NS4plusIjEEEEZZNS1_33reduce_by_key_impl_wrapped_configILNS1_25lookback_scan_determinismE0ES3_S9_NS6_6detail15normal_iteratorINS6_10device_ptrIsEEEENSD_INSE_IjEEEESG_SI_PmS8_NS6_8equal_toIsEEEE10hipError_tPvRmT2_T3_mT4_T5_T6_T7_T8_P12ihipStream_tbENKUlT_T0_E_clISt17integral_constantIbLb0EES12_IbLb1EEEEDaSY_SZ_EUlSY_E_NS1_11comp_targetILNS1_3genE5ELNS1_11target_archE942ELNS1_3gpuE9ELNS1_3repE0EEENS1_30default_config_static_selectorELNS0_4arch9wavefront6targetE1EEEvT1_,comdat
	.protected	_ZN7rocprim17ROCPRIM_400000_NS6detail17trampoline_kernelINS0_14default_configENS1_29reduce_by_key_config_selectorIsjN6thrust23THRUST_200600_302600_NS4plusIjEEEEZZNS1_33reduce_by_key_impl_wrapped_configILNS1_25lookback_scan_determinismE0ES3_S9_NS6_6detail15normal_iteratorINS6_10device_ptrIsEEEENSD_INSE_IjEEEESG_SI_PmS8_NS6_8equal_toIsEEEE10hipError_tPvRmT2_T3_mT4_T5_T6_T7_T8_P12ihipStream_tbENKUlT_T0_E_clISt17integral_constantIbLb0EES12_IbLb1EEEEDaSY_SZ_EUlSY_E_NS1_11comp_targetILNS1_3genE5ELNS1_11target_archE942ELNS1_3gpuE9ELNS1_3repE0EEENS1_30default_config_static_selectorELNS0_4arch9wavefront6targetE1EEEvT1_ ; -- Begin function _ZN7rocprim17ROCPRIM_400000_NS6detail17trampoline_kernelINS0_14default_configENS1_29reduce_by_key_config_selectorIsjN6thrust23THRUST_200600_302600_NS4plusIjEEEEZZNS1_33reduce_by_key_impl_wrapped_configILNS1_25lookback_scan_determinismE0ES3_S9_NS6_6detail15normal_iteratorINS6_10device_ptrIsEEEENSD_INSE_IjEEEESG_SI_PmS8_NS6_8equal_toIsEEEE10hipError_tPvRmT2_T3_mT4_T5_T6_T7_T8_P12ihipStream_tbENKUlT_T0_E_clISt17integral_constantIbLb0EES12_IbLb1EEEEDaSY_SZ_EUlSY_E_NS1_11comp_targetILNS1_3genE5ELNS1_11target_archE942ELNS1_3gpuE9ELNS1_3repE0EEENS1_30default_config_static_selectorELNS0_4arch9wavefront6targetE1EEEvT1_
	.globl	_ZN7rocprim17ROCPRIM_400000_NS6detail17trampoline_kernelINS0_14default_configENS1_29reduce_by_key_config_selectorIsjN6thrust23THRUST_200600_302600_NS4plusIjEEEEZZNS1_33reduce_by_key_impl_wrapped_configILNS1_25lookback_scan_determinismE0ES3_S9_NS6_6detail15normal_iteratorINS6_10device_ptrIsEEEENSD_INSE_IjEEEESG_SI_PmS8_NS6_8equal_toIsEEEE10hipError_tPvRmT2_T3_mT4_T5_T6_T7_T8_P12ihipStream_tbENKUlT_T0_E_clISt17integral_constantIbLb0EES12_IbLb1EEEEDaSY_SZ_EUlSY_E_NS1_11comp_targetILNS1_3genE5ELNS1_11target_archE942ELNS1_3gpuE9ELNS1_3repE0EEENS1_30default_config_static_selectorELNS0_4arch9wavefront6targetE1EEEvT1_
	.p2align	8
	.type	_ZN7rocprim17ROCPRIM_400000_NS6detail17trampoline_kernelINS0_14default_configENS1_29reduce_by_key_config_selectorIsjN6thrust23THRUST_200600_302600_NS4plusIjEEEEZZNS1_33reduce_by_key_impl_wrapped_configILNS1_25lookback_scan_determinismE0ES3_S9_NS6_6detail15normal_iteratorINS6_10device_ptrIsEEEENSD_INSE_IjEEEESG_SI_PmS8_NS6_8equal_toIsEEEE10hipError_tPvRmT2_T3_mT4_T5_T6_T7_T8_P12ihipStream_tbENKUlT_T0_E_clISt17integral_constantIbLb0EES12_IbLb1EEEEDaSY_SZ_EUlSY_E_NS1_11comp_targetILNS1_3genE5ELNS1_11target_archE942ELNS1_3gpuE9ELNS1_3repE0EEENS1_30default_config_static_selectorELNS0_4arch9wavefront6targetE1EEEvT1_,@function
_ZN7rocprim17ROCPRIM_400000_NS6detail17trampoline_kernelINS0_14default_configENS1_29reduce_by_key_config_selectorIsjN6thrust23THRUST_200600_302600_NS4plusIjEEEEZZNS1_33reduce_by_key_impl_wrapped_configILNS1_25lookback_scan_determinismE0ES3_S9_NS6_6detail15normal_iteratorINS6_10device_ptrIsEEEENSD_INSE_IjEEEESG_SI_PmS8_NS6_8equal_toIsEEEE10hipError_tPvRmT2_T3_mT4_T5_T6_T7_T8_P12ihipStream_tbENKUlT_T0_E_clISt17integral_constantIbLb0EES12_IbLb1EEEEDaSY_SZ_EUlSY_E_NS1_11comp_targetILNS1_3genE5ELNS1_11target_archE942ELNS1_3gpuE9ELNS1_3repE0EEENS1_30default_config_static_selectorELNS0_4arch9wavefront6targetE1EEEvT1_: ; @_ZN7rocprim17ROCPRIM_400000_NS6detail17trampoline_kernelINS0_14default_configENS1_29reduce_by_key_config_selectorIsjN6thrust23THRUST_200600_302600_NS4plusIjEEEEZZNS1_33reduce_by_key_impl_wrapped_configILNS1_25lookback_scan_determinismE0ES3_S9_NS6_6detail15normal_iteratorINS6_10device_ptrIsEEEENSD_INSE_IjEEEESG_SI_PmS8_NS6_8equal_toIsEEEE10hipError_tPvRmT2_T3_mT4_T5_T6_T7_T8_P12ihipStream_tbENKUlT_T0_E_clISt17integral_constantIbLb0EES12_IbLb1EEEEDaSY_SZ_EUlSY_E_NS1_11comp_targetILNS1_3genE5ELNS1_11target_archE942ELNS1_3gpuE9ELNS1_3repE0EEENS1_30default_config_static_selectorELNS0_4arch9wavefront6targetE1EEEvT1_
; %bb.0:
	.section	.rodata,"a",@progbits
	.p2align	6, 0x0
	.amdhsa_kernel _ZN7rocprim17ROCPRIM_400000_NS6detail17trampoline_kernelINS0_14default_configENS1_29reduce_by_key_config_selectorIsjN6thrust23THRUST_200600_302600_NS4plusIjEEEEZZNS1_33reduce_by_key_impl_wrapped_configILNS1_25lookback_scan_determinismE0ES3_S9_NS6_6detail15normal_iteratorINS6_10device_ptrIsEEEENSD_INSE_IjEEEESG_SI_PmS8_NS6_8equal_toIsEEEE10hipError_tPvRmT2_T3_mT4_T5_T6_T7_T8_P12ihipStream_tbENKUlT_T0_E_clISt17integral_constantIbLb0EES12_IbLb1EEEEDaSY_SZ_EUlSY_E_NS1_11comp_targetILNS1_3genE5ELNS1_11target_archE942ELNS1_3gpuE9ELNS1_3repE0EEENS1_30default_config_static_selectorELNS0_4arch9wavefront6targetE1EEEvT1_
		.amdhsa_group_segment_fixed_size 0
		.amdhsa_private_segment_fixed_size 0
		.amdhsa_kernarg_size 120
		.amdhsa_user_sgpr_count 6
		.amdhsa_user_sgpr_private_segment_buffer 1
		.amdhsa_user_sgpr_dispatch_ptr 0
		.amdhsa_user_sgpr_queue_ptr 0
		.amdhsa_user_sgpr_kernarg_segment_ptr 1
		.amdhsa_user_sgpr_dispatch_id 0
		.amdhsa_user_sgpr_flat_scratch_init 0
		.amdhsa_user_sgpr_kernarg_preload_length 0
		.amdhsa_user_sgpr_kernarg_preload_offset 0
		.amdhsa_user_sgpr_private_segment_size 0
		.amdhsa_uses_dynamic_stack 0
		.amdhsa_system_sgpr_private_segment_wavefront_offset 0
		.amdhsa_system_sgpr_workgroup_id_x 1
		.amdhsa_system_sgpr_workgroup_id_y 0
		.amdhsa_system_sgpr_workgroup_id_z 0
		.amdhsa_system_sgpr_workgroup_info 0
		.amdhsa_system_vgpr_workitem_id 0
		.amdhsa_next_free_vgpr 1
		.amdhsa_next_free_sgpr 0
		.amdhsa_accum_offset 4
		.amdhsa_reserve_vcc 0
		.amdhsa_reserve_flat_scratch 0
		.amdhsa_float_round_mode_32 0
		.amdhsa_float_round_mode_16_64 0
		.amdhsa_float_denorm_mode_32 3
		.amdhsa_float_denorm_mode_16_64 3
		.amdhsa_dx10_clamp 1
		.amdhsa_ieee_mode 1
		.amdhsa_fp16_overflow 0
		.amdhsa_tg_split 0
		.amdhsa_exception_fp_ieee_invalid_op 0
		.amdhsa_exception_fp_denorm_src 0
		.amdhsa_exception_fp_ieee_div_zero 0
		.amdhsa_exception_fp_ieee_overflow 0
		.amdhsa_exception_fp_ieee_underflow 0
		.amdhsa_exception_fp_ieee_inexact 0
		.amdhsa_exception_int_div_zero 0
	.end_amdhsa_kernel
	.section	.text._ZN7rocprim17ROCPRIM_400000_NS6detail17trampoline_kernelINS0_14default_configENS1_29reduce_by_key_config_selectorIsjN6thrust23THRUST_200600_302600_NS4plusIjEEEEZZNS1_33reduce_by_key_impl_wrapped_configILNS1_25lookback_scan_determinismE0ES3_S9_NS6_6detail15normal_iteratorINS6_10device_ptrIsEEEENSD_INSE_IjEEEESG_SI_PmS8_NS6_8equal_toIsEEEE10hipError_tPvRmT2_T3_mT4_T5_T6_T7_T8_P12ihipStream_tbENKUlT_T0_E_clISt17integral_constantIbLb0EES12_IbLb1EEEEDaSY_SZ_EUlSY_E_NS1_11comp_targetILNS1_3genE5ELNS1_11target_archE942ELNS1_3gpuE9ELNS1_3repE0EEENS1_30default_config_static_selectorELNS0_4arch9wavefront6targetE1EEEvT1_,"axG",@progbits,_ZN7rocprim17ROCPRIM_400000_NS6detail17trampoline_kernelINS0_14default_configENS1_29reduce_by_key_config_selectorIsjN6thrust23THRUST_200600_302600_NS4plusIjEEEEZZNS1_33reduce_by_key_impl_wrapped_configILNS1_25lookback_scan_determinismE0ES3_S9_NS6_6detail15normal_iteratorINS6_10device_ptrIsEEEENSD_INSE_IjEEEESG_SI_PmS8_NS6_8equal_toIsEEEE10hipError_tPvRmT2_T3_mT4_T5_T6_T7_T8_P12ihipStream_tbENKUlT_T0_E_clISt17integral_constantIbLb0EES12_IbLb1EEEEDaSY_SZ_EUlSY_E_NS1_11comp_targetILNS1_3genE5ELNS1_11target_archE942ELNS1_3gpuE9ELNS1_3repE0EEENS1_30default_config_static_selectorELNS0_4arch9wavefront6targetE1EEEvT1_,comdat
.Lfunc_end869:
	.size	_ZN7rocprim17ROCPRIM_400000_NS6detail17trampoline_kernelINS0_14default_configENS1_29reduce_by_key_config_selectorIsjN6thrust23THRUST_200600_302600_NS4plusIjEEEEZZNS1_33reduce_by_key_impl_wrapped_configILNS1_25lookback_scan_determinismE0ES3_S9_NS6_6detail15normal_iteratorINS6_10device_ptrIsEEEENSD_INSE_IjEEEESG_SI_PmS8_NS6_8equal_toIsEEEE10hipError_tPvRmT2_T3_mT4_T5_T6_T7_T8_P12ihipStream_tbENKUlT_T0_E_clISt17integral_constantIbLb0EES12_IbLb1EEEEDaSY_SZ_EUlSY_E_NS1_11comp_targetILNS1_3genE5ELNS1_11target_archE942ELNS1_3gpuE9ELNS1_3repE0EEENS1_30default_config_static_selectorELNS0_4arch9wavefront6targetE1EEEvT1_, .Lfunc_end869-_ZN7rocprim17ROCPRIM_400000_NS6detail17trampoline_kernelINS0_14default_configENS1_29reduce_by_key_config_selectorIsjN6thrust23THRUST_200600_302600_NS4plusIjEEEEZZNS1_33reduce_by_key_impl_wrapped_configILNS1_25lookback_scan_determinismE0ES3_S9_NS6_6detail15normal_iteratorINS6_10device_ptrIsEEEENSD_INSE_IjEEEESG_SI_PmS8_NS6_8equal_toIsEEEE10hipError_tPvRmT2_T3_mT4_T5_T6_T7_T8_P12ihipStream_tbENKUlT_T0_E_clISt17integral_constantIbLb0EES12_IbLb1EEEEDaSY_SZ_EUlSY_E_NS1_11comp_targetILNS1_3genE5ELNS1_11target_archE942ELNS1_3gpuE9ELNS1_3repE0EEENS1_30default_config_static_selectorELNS0_4arch9wavefront6targetE1EEEvT1_
                                        ; -- End function
	.section	.AMDGPU.csdata,"",@progbits
; Kernel info:
; codeLenInByte = 0
; NumSgprs: 4
; NumVgprs: 0
; NumAgprs: 0
; TotalNumVgprs: 0
; ScratchSize: 0
; MemoryBound: 0
; FloatMode: 240
; IeeeMode: 1
; LDSByteSize: 0 bytes/workgroup (compile time only)
; SGPRBlocks: 0
; VGPRBlocks: 0
; NumSGPRsForWavesPerEU: 4
; NumVGPRsForWavesPerEU: 1
; AccumOffset: 4
; Occupancy: 8
; WaveLimiterHint : 0
; COMPUTE_PGM_RSRC2:SCRATCH_EN: 0
; COMPUTE_PGM_RSRC2:USER_SGPR: 6
; COMPUTE_PGM_RSRC2:TRAP_HANDLER: 0
; COMPUTE_PGM_RSRC2:TGID_X_EN: 1
; COMPUTE_PGM_RSRC2:TGID_Y_EN: 0
; COMPUTE_PGM_RSRC2:TGID_Z_EN: 0
; COMPUTE_PGM_RSRC2:TIDIG_COMP_CNT: 0
; COMPUTE_PGM_RSRC3_GFX90A:ACCUM_OFFSET: 0
; COMPUTE_PGM_RSRC3_GFX90A:TG_SPLIT: 0
	.section	.text._ZN7rocprim17ROCPRIM_400000_NS6detail17trampoline_kernelINS0_14default_configENS1_29reduce_by_key_config_selectorIsjN6thrust23THRUST_200600_302600_NS4plusIjEEEEZZNS1_33reduce_by_key_impl_wrapped_configILNS1_25lookback_scan_determinismE0ES3_S9_NS6_6detail15normal_iteratorINS6_10device_ptrIsEEEENSD_INSE_IjEEEESG_SI_PmS8_NS6_8equal_toIsEEEE10hipError_tPvRmT2_T3_mT4_T5_T6_T7_T8_P12ihipStream_tbENKUlT_T0_E_clISt17integral_constantIbLb0EES12_IbLb1EEEEDaSY_SZ_EUlSY_E_NS1_11comp_targetILNS1_3genE4ELNS1_11target_archE910ELNS1_3gpuE8ELNS1_3repE0EEENS1_30default_config_static_selectorELNS0_4arch9wavefront6targetE1EEEvT1_,"axG",@progbits,_ZN7rocprim17ROCPRIM_400000_NS6detail17trampoline_kernelINS0_14default_configENS1_29reduce_by_key_config_selectorIsjN6thrust23THRUST_200600_302600_NS4plusIjEEEEZZNS1_33reduce_by_key_impl_wrapped_configILNS1_25lookback_scan_determinismE0ES3_S9_NS6_6detail15normal_iteratorINS6_10device_ptrIsEEEENSD_INSE_IjEEEESG_SI_PmS8_NS6_8equal_toIsEEEE10hipError_tPvRmT2_T3_mT4_T5_T6_T7_T8_P12ihipStream_tbENKUlT_T0_E_clISt17integral_constantIbLb0EES12_IbLb1EEEEDaSY_SZ_EUlSY_E_NS1_11comp_targetILNS1_3genE4ELNS1_11target_archE910ELNS1_3gpuE8ELNS1_3repE0EEENS1_30default_config_static_selectorELNS0_4arch9wavefront6targetE1EEEvT1_,comdat
	.protected	_ZN7rocprim17ROCPRIM_400000_NS6detail17trampoline_kernelINS0_14default_configENS1_29reduce_by_key_config_selectorIsjN6thrust23THRUST_200600_302600_NS4plusIjEEEEZZNS1_33reduce_by_key_impl_wrapped_configILNS1_25lookback_scan_determinismE0ES3_S9_NS6_6detail15normal_iteratorINS6_10device_ptrIsEEEENSD_INSE_IjEEEESG_SI_PmS8_NS6_8equal_toIsEEEE10hipError_tPvRmT2_T3_mT4_T5_T6_T7_T8_P12ihipStream_tbENKUlT_T0_E_clISt17integral_constantIbLb0EES12_IbLb1EEEEDaSY_SZ_EUlSY_E_NS1_11comp_targetILNS1_3genE4ELNS1_11target_archE910ELNS1_3gpuE8ELNS1_3repE0EEENS1_30default_config_static_selectorELNS0_4arch9wavefront6targetE1EEEvT1_ ; -- Begin function _ZN7rocprim17ROCPRIM_400000_NS6detail17trampoline_kernelINS0_14default_configENS1_29reduce_by_key_config_selectorIsjN6thrust23THRUST_200600_302600_NS4plusIjEEEEZZNS1_33reduce_by_key_impl_wrapped_configILNS1_25lookback_scan_determinismE0ES3_S9_NS6_6detail15normal_iteratorINS6_10device_ptrIsEEEENSD_INSE_IjEEEESG_SI_PmS8_NS6_8equal_toIsEEEE10hipError_tPvRmT2_T3_mT4_T5_T6_T7_T8_P12ihipStream_tbENKUlT_T0_E_clISt17integral_constantIbLb0EES12_IbLb1EEEEDaSY_SZ_EUlSY_E_NS1_11comp_targetILNS1_3genE4ELNS1_11target_archE910ELNS1_3gpuE8ELNS1_3repE0EEENS1_30default_config_static_selectorELNS0_4arch9wavefront6targetE1EEEvT1_
	.globl	_ZN7rocprim17ROCPRIM_400000_NS6detail17trampoline_kernelINS0_14default_configENS1_29reduce_by_key_config_selectorIsjN6thrust23THRUST_200600_302600_NS4plusIjEEEEZZNS1_33reduce_by_key_impl_wrapped_configILNS1_25lookback_scan_determinismE0ES3_S9_NS6_6detail15normal_iteratorINS6_10device_ptrIsEEEENSD_INSE_IjEEEESG_SI_PmS8_NS6_8equal_toIsEEEE10hipError_tPvRmT2_T3_mT4_T5_T6_T7_T8_P12ihipStream_tbENKUlT_T0_E_clISt17integral_constantIbLb0EES12_IbLb1EEEEDaSY_SZ_EUlSY_E_NS1_11comp_targetILNS1_3genE4ELNS1_11target_archE910ELNS1_3gpuE8ELNS1_3repE0EEENS1_30default_config_static_selectorELNS0_4arch9wavefront6targetE1EEEvT1_
	.p2align	8
	.type	_ZN7rocprim17ROCPRIM_400000_NS6detail17trampoline_kernelINS0_14default_configENS1_29reduce_by_key_config_selectorIsjN6thrust23THRUST_200600_302600_NS4plusIjEEEEZZNS1_33reduce_by_key_impl_wrapped_configILNS1_25lookback_scan_determinismE0ES3_S9_NS6_6detail15normal_iteratorINS6_10device_ptrIsEEEENSD_INSE_IjEEEESG_SI_PmS8_NS6_8equal_toIsEEEE10hipError_tPvRmT2_T3_mT4_T5_T6_T7_T8_P12ihipStream_tbENKUlT_T0_E_clISt17integral_constantIbLb0EES12_IbLb1EEEEDaSY_SZ_EUlSY_E_NS1_11comp_targetILNS1_3genE4ELNS1_11target_archE910ELNS1_3gpuE8ELNS1_3repE0EEENS1_30default_config_static_selectorELNS0_4arch9wavefront6targetE1EEEvT1_,@function
_ZN7rocprim17ROCPRIM_400000_NS6detail17trampoline_kernelINS0_14default_configENS1_29reduce_by_key_config_selectorIsjN6thrust23THRUST_200600_302600_NS4plusIjEEEEZZNS1_33reduce_by_key_impl_wrapped_configILNS1_25lookback_scan_determinismE0ES3_S9_NS6_6detail15normal_iteratorINS6_10device_ptrIsEEEENSD_INSE_IjEEEESG_SI_PmS8_NS6_8equal_toIsEEEE10hipError_tPvRmT2_T3_mT4_T5_T6_T7_T8_P12ihipStream_tbENKUlT_T0_E_clISt17integral_constantIbLb0EES12_IbLb1EEEEDaSY_SZ_EUlSY_E_NS1_11comp_targetILNS1_3genE4ELNS1_11target_archE910ELNS1_3gpuE8ELNS1_3repE0EEENS1_30default_config_static_selectorELNS0_4arch9wavefront6targetE1EEEvT1_: ; @_ZN7rocprim17ROCPRIM_400000_NS6detail17trampoline_kernelINS0_14default_configENS1_29reduce_by_key_config_selectorIsjN6thrust23THRUST_200600_302600_NS4plusIjEEEEZZNS1_33reduce_by_key_impl_wrapped_configILNS1_25lookback_scan_determinismE0ES3_S9_NS6_6detail15normal_iteratorINS6_10device_ptrIsEEEENSD_INSE_IjEEEESG_SI_PmS8_NS6_8equal_toIsEEEE10hipError_tPvRmT2_T3_mT4_T5_T6_T7_T8_P12ihipStream_tbENKUlT_T0_E_clISt17integral_constantIbLb0EES12_IbLb1EEEEDaSY_SZ_EUlSY_E_NS1_11comp_targetILNS1_3genE4ELNS1_11target_archE910ELNS1_3gpuE8ELNS1_3repE0EEENS1_30default_config_static_selectorELNS0_4arch9wavefront6targetE1EEEvT1_
; %bb.0:
	s_load_dwordx8 s[36:43], s[4:5], 0x0
	s_load_dwordx4 s[52:55], s[4:5], 0x20
	s_load_dwordx8 s[44:51], s[4:5], 0x38
	s_load_dwordx2 s[60:61], s[4:5], 0x68
	s_load_dwordx4 s[56:59], s[4:5], 0x58
	v_cmp_ne_u32_e64 s[2:3], 0, v0
	v_cmp_eq_u32_e64 s[0:1], 0, v0
	s_and_saveexec_b64 s[6:7], s[0:1]
	s_cbranch_execz .LBB870_4
; %bb.1:
	s_mov_b64 s[10:11], exec
	v_mbcnt_lo_u32_b32 v1, s10, 0
	v_mbcnt_hi_u32_b32 v1, s11, v1
	v_cmp_eq_u32_e32 vcc, 0, v1
                                        ; implicit-def: $vgpr2
	s_and_saveexec_b64 s[8:9], vcc
	s_cbranch_execz .LBB870_3
; %bb.2:
	s_load_dwordx2 s[4:5], s[4:5], 0x70
	s_bcnt1_i32_b64 s10, s[10:11]
	v_mov_b32_e32 v2, 0
	v_mov_b32_e32 v3, s10
	s_waitcnt lgkmcnt(0)
	global_atomic_add v2, v2, v3, s[4:5] glc
.LBB870_3:
	s_or_b64 exec, exec, s[8:9]
	s_waitcnt vmcnt(0)
	v_readfirstlane_b32 s4, v2
	v_add_u32_e32 v1, s4, v1
	v_mov_b32_e32 v2, 0
	ds_write_b32 v2, v1
.LBB870_4:
	s_or_b64 exec, exec, s[6:7]
	v_mov_b32_e32 v3, 0
	s_waitcnt lgkmcnt(0)
	s_lshl_b64 s[4:5], s[38:39], 1
	s_barrier
	ds_read_b32 v1, v3
	s_add_u32 s6, s36, s4
	s_addc_u32 s7, s37, s5
	s_lshl_b64 s[4:5], s[38:39], 2
	s_add_u32 s4, s40, s4
	s_mul_i32 s8, s48, s47
	s_mul_hi_u32 s9, s48, s46
	s_addc_u32 s5, s41, s5
	s_add_i32 s8, s9, s8
	s_mul_i32 s9, s49, s46
	s_add_i32 s8, s8, s9
	s_mul_i32 s9, s48, s46
	s_waitcnt lgkmcnt(0)
	v_readfirstlane_b32 s62, v1
	s_movk_i32 s10, 0xf00
	v_mul_lo_u32 v2, v1, s10
	s_add_u32 s40, s9, s62
	v_lshlrev_b64 v[4:5], 1, v[2:3]
	s_addc_u32 s41, s8, 0
	v_mov_b32_e32 v1, s7
	v_add_co_u32_e32 v7, vcc, s6, v4
	s_add_u32 s6, s50, -1
	v_addc_co_u32_e32 v9, vcc, v1, v5, vcc
	v_lshlrev_b64 v[2:3], 2, v[2:3]
	s_addc_u32 s7, s51, -1
	v_mov_b32_e32 v1, s5
	v_add_co_u32_e32 v11, vcc, s4, v2
	s_cmp_eq_u64 s[40:41], s[6:7]
	v_addc_co_u32_e32 v15, vcc, v1, v3, vcc
	s_cselect_b64 s[36:37], -1, 0
	s_cmp_lg_u64 s[40:41], s[6:7]
	s_mov_b64 s[4:5], -1
	s_cselect_b64 s[48:49], -1, 0
	s_mul_i32 s33, s6, 0xfffff100
	s_and_b64 vcc, exec, s[36:37]
	v_mad_u32_u24 v6, v0, 15, 1
	v_mad_u32_u24 v8, v0, 15, 3
	;; [unrolled: 1-line block ×7, first 2 shown]
	s_barrier
	s_cbranch_vccnz .LBB870_6
; %bb.5:
	v_lshlrev_b32_e32 v1, 1, v0
	v_add_co_u32_e32 v2, vcc, v7, v1
	v_addc_co_u32_e32 v3, vcc, 0, v9, vcc
	flat_load_ushort v4, v[2:3]
	flat_load_ushort v5, v[2:3] offset:512
	flat_load_ushort v12, v[2:3] offset:1024
	;; [unrolled: 1-line block ×7, first 2 shown]
	v_add_co_u32_e32 v2, vcc, 0x1000, v2
	v_addc_co_u32_e32 v3, vcc, 0, v3, vcc
	flat_load_ushort v25, v[2:3]
	flat_load_ushort v32, v[2:3] offset:512
	flat_load_ushort v33, v[2:3] offset:1024
	;; [unrolled: 1-line block ×6, first 2 shown]
	v_lshlrev_b32_e32 v2, 2, v0
	v_add_co_u32_e32 v16, vcc, v11, v2
	s_movk_i32 s4, 0x1000
	v_addc_co_u32_e32 v17, vcc, 0, v15, vcc
	v_add_co_u32_e32 v26, vcc, s4, v16
	s_movk_i32 s5, 0x2000
	v_addc_co_u32_e32 v27, vcc, 0, v17, vcc
	;; [unrolled: 3-line block ×3, first 2 shown]
	v_mad_u32_u24 v38, v0, 28, v1
	v_add_co_u32_e32 v30, vcc, s6, v16
	v_addc_co_u32_e32 v31, vcc, 0, v17, vcc
	s_movk_i32 s4, 0xffe6
	s_waitcnt vmcnt(0) lgkmcnt(0)
	ds_write_b16 v1, v4
	ds_write_b16 v1, v5 offset:512
	ds_write_b16 v1, v12 offset:1024
	;; [unrolled: 1-line block ×14, first 2 shown]
	s_waitcnt lgkmcnt(0)
	s_barrier
	ds_read_u16 v1, v38
	ds_read_b128 v[2:5], v38 offset:2
	ds_read_b96 v[12:14], v38 offset:18
	s_waitcnt lgkmcnt(0)
	s_barrier
	flat_load_dword v21, v[16:17]
	flat_load_dword v23, v[16:17] offset:1024
	flat_load_dword v25, v[16:17] offset:2048
	flat_load_dword v32, v[16:17] offset:3072
	flat_load_dword v33, v[26:27]
	flat_load_dword v34, v[26:27] offset:1024
	flat_load_dword v35, v[26:27] offset:2048
	flat_load_dword v36, v[26:27] offset:3072
	;; [unrolled: 4-line block ×3, first 2 shown]
	flat_load_dword v42, v[30:31]
	flat_load_dword v43, v[30:31] offset:1024
	flat_load_dword v44, v[30:31] offset:2048
	v_mul_u32_u24_e32 v19, 15, v0
	v_mad_i32_i24 v16, v0, s4, v38
	s_mov_b64 s[4:5], 0
	s_waitcnt vmcnt(0) lgkmcnt(0)
	ds_write2st64_b32 v16, v21, v23 offset1:4
	ds_write2st64_b32 v16, v25, v32 offset0:8 offset1:12
	ds_write2st64_b32 v16, v33, v34 offset0:16 offset1:20
	;; [unrolled: 1-line block ×6, first 2 shown]
	ds_write_b32 v16, v44 offset:14336
	s_waitcnt lgkmcnt(0)
	s_barrier
	s_branch .LBB870_7
.LBB870_6:
                                        ; implicit-def: $vgpr2
                                        ; implicit-def: $vgpr12
                                        ; implicit-def: $vgpr19
                                        ; implicit-def: $vgpr1
.LBB870_7:
	s_add_i32 s33, s33, s56
	s_andn2_b64 vcc, exec, s[4:5]
	v_mov_b32_e32 v26, v24
	v_mov_b32_e32 v28, v22
	;; [unrolled: 1-line block ×7, first 2 shown]
	s_cbranch_vccnz .LBB870_69
; %bb.8:
	v_cmp_gt_u32_e32 vcc, s33, v0
                                        ; implicit-def: $vgpr1
	s_and_saveexec_b64 s[6:7], vcc
	s_cbranch_execz .LBB870_10
; %bb.9:
	v_lshlrev_b32_e32 v1, 1, v0
	v_add_co_u32_e64 v2, s[4:5], v7, v1
	v_addc_co_u32_e64 v3, s[4:5], 0, v9, s[4:5]
	flat_load_ushort v1, v[2:3]
.LBB870_10:
	s_or_b64 exec, exec, s[6:7]
	v_or_b32_e32 v2, 0x100, v0
	v_cmp_gt_u32_e64 s[4:5], s33, v2
                                        ; implicit-def: $vgpr2
	s_and_saveexec_b64 s[8:9], s[4:5]
	s_cbranch_execz .LBB870_12
; %bb.11:
	v_lshlrev_b32_e32 v2, 1, v0
	v_add_co_u32_e64 v2, s[6:7], v7, v2
	v_addc_co_u32_e64 v3, s[6:7], 0, v9, s[6:7]
	flat_load_ushort v2, v[2:3] offset:512
.LBB870_12:
	s_or_b64 exec, exec, s[8:9]
	v_or_b32_e32 v3, 0x200, v0
	v_cmp_gt_u32_e64 s[6:7], s33, v3
                                        ; implicit-def: $vgpr3
	s_and_saveexec_b64 s[10:11], s[6:7]
	s_cbranch_execz .LBB870_14
; %bb.13:
	v_lshlrev_b32_e32 v3, 1, v0
	v_add_co_u32_e64 v4, s[8:9], v7, v3
	v_addc_co_u32_e64 v5, s[8:9], 0, v9, s[8:9]
	flat_load_ushort v3, v[4:5] offset:1024
.LBB870_14:
	s_or_b64 exec, exec, s[10:11]
	v_or_b32_e32 v4, 0x300, v0
	v_cmp_gt_u32_e64 s[8:9], s33, v4
                                        ; implicit-def: $vgpr4
	s_and_saveexec_b64 s[12:13], s[8:9]
	s_cbranch_execz .LBB870_16
; %bb.15:
	v_lshlrev_b32_e32 v4, 1, v0
	v_add_co_u32_e64 v4, s[10:11], v7, v4
	v_addc_co_u32_e64 v5, s[10:11], 0, v9, s[10:11]
	flat_load_ushort v4, v[4:5] offset:1536
.LBB870_16:
	s_or_b64 exec, exec, s[12:13]
	v_or_b32_e32 v16, 0x400, v0
	v_cmp_gt_u32_e64 s[10:11], s33, v16
                                        ; implicit-def: $vgpr5
	s_and_saveexec_b64 s[14:15], s[10:11]
	s_cbranch_execz .LBB870_18
; %bb.17:
	v_lshlrev_b32_e32 v5, 1, v0
	v_add_co_u32_e64 v12, s[12:13], v7, v5
	v_addc_co_u32_e64 v13, s[12:13], 0, v9, s[12:13]
	flat_load_ushort v5, v[12:13] offset:2048
.LBB870_18:
	s_or_b64 exec, exec, s[14:15]
	v_or_b32_e32 v17, 0x500, v0
	v_cmp_gt_u32_e64 s[12:13], s33, v17
                                        ; implicit-def: $vgpr12
	s_and_saveexec_b64 s[16:17], s[12:13]
	s_cbranch_execz .LBB870_20
; %bb.19:
	v_lshlrev_b32_e32 v12, 1, v0
	v_add_co_u32_e64 v12, s[14:15], v7, v12
	v_addc_co_u32_e64 v13, s[14:15], 0, v9, s[14:15]
	flat_load_ushort v12, v[12:13] offset:2560
.LBB870_20:
	s_or_b64 exec, exec, s[16:17]
	v_or_b32_e32 v19, 0x600, v0
	v_cmp_gt_u32_e64 s[14:15], s33, v19
                                        ; implicit-def: $vgpr13
	s_and_saveexec_b64 s[18:19], s[14:15]
	s_cbranch_execz .LBB870_22
; %bb.21:
	v_lshlrev_b32_e32 v13, 1, v0
	v_add_co_u32_e64 v26, s[16:17], v7, v13
	v_addc_co_u32_e64 v27, s[16:17], 0, v9, s[16:17]
	flat_load_ushort v13, v[26:27] offset:3072
.LBB870_22:
	s_or_b64 exec, exec, s[18:19]
	v_or_b32_e32 v21, 0x700, v0
	v_cmp_gt_u32_e64 s[16:17], s33, v21
                                        ; implicit-def: $vgpr14
	s_and_saveexec_b64 s[20:21], s[16:17]
	s_cbranch_execz .LBB870_24
; %bb.23:
	v_lshlrev_b32_e32 v14, 1, v0
	v_add_co_u32_e64 v26, s[18:19], v7, v14
	v_addc_co_u32_e64 v27, s[18:19], 0, v9, s[18:19]
	flat_load_ushort v14, v[26:27] offset:3584
.LBB870_24:
	s_or_b64 exec, exec, s[20:21]
	v_or_b32_e32 v23, 0x800, v0
	v_cmp_gt_u32_e64 s[18:19], s33, v23
                                        ; implicit-def: $vgpr31
	s_and_saveexec_b64 s[22:23], s[18:19]
	s_cbranch_execz .LBB870_26
; %bb.25:
	v_lshlrev_b32_e32 v25, 1, v23
	v_add_co_u32_e64 v26, s[20:21], v7, v25
	v_addc_co_u32_e64 v27, s[20:21], 0, v9, s[20:21]
	flat_load_ushort v31, v[26:27]
.LBB870_26:
	s_or_b64 exec, exec, s[22:23]
	v_or_b32_e32 v25, 0x900, v0
	v_cmp_gt_u32_e64 s[20:21], s33, v25
                                        ; implicit-def: $vgpr32
	s_and_saveexec_b64 s[24:25], s[20:21]
	s_cbranch_execz .LBB870_28
; %bb.27:
	v_lshlrev_b32_e32 v26, 1, v25
	v_add_co_u32_e64 v26, s[22:23], v7, v26
	v_addc_co_u32_e64 v27, s[22:23], 0, v9, s[22:23]
	flat_load_ushort v32, v[26:27]
.LBB870_28:
	s_or_b64 exec, exec, s[24:25]
	v_or_b32_e32 v26, 0xa00, v0
	v_cmp_gt_u32_e64 s[22:23], s33, v26
                                        ; implicit-def: $vgpr33
	s_and_saveexec_b64 s[26:27], s[22:23]
	s_cbranch_execz .LBB870_30
; %bb.29:
	v_lshlrev_b32_e32 v27, 1, v26
	v_add_co_u32_e64 v28, s[24:25], v7, v27
	v_addc_co_u32_e64 v29, s[24:25], 0, v9, s[24:25]
	flat_load_ushort v33, v[28:29]
.LBB870_30:
	s_or_b64 exec, exec, s[26:27]
	v_or_b32_e32 v27, 0xb00, v0
	v_cmp_gt_u32_e64 s[24:25], s33, v27
                                        ; implicit-def: $vgpr34
	s_and_saveexec_b64 s[28:29], s[24:25]
	s_cbranch_execz .LBB870_32
; %bb.31:
	v_lshlrev_b32_e32 v28, 1, v27
	v_add_co_u32_e64 v28, s[26:27], v7, v28
	v_addc_co_u32_e64 v29, s[26:27], 0, v9, s[26:27]
	flat_load_ushort v34, v[28:29]
.LBB870_32:
	s_or_b64 exec, exec, s[28:29]
	v_or_b32_e32 v28, 0xc00, v0
	v_cmp_gt_u32_e64 s[26:27], s33, v28
                                        ; implicit-def: $vgpr35
	s_and_saveexec_b64 s[30:31], s[26:27]
	s_cbranch_execz .LBB870_34
; %bb.33:
	v_lshlrev_b32_e32 v29, 1, v28
	v_add_co_u32_e64 v36, s[28:29], v7, v29
	v_addc_co_u32_e64 v37, s[28:29], 0, v9, s[28:29]
	flat_load_ushort v35, v[36:37]
.LBB870_34:
	s_or_b64 exec, exec, s[30:31]
	v_or_b32_e32 v29, 0xd00, v0
	v_cmp_gt_u32_e64 s[28:29], s33, v29
                                        ; implicit-def: $vgpr36
	s_and_saveexec_b64 s[34:35], s[28:29]
	s_cbranch_execz .LBB870_36
; %bb.35:
	v_lshlrev_b32_e32 v30, 1, v29
	v_add_co_u32_e64 v36, s[30:31], v7, v30
	v_addc_co_u32_e64 v37, s[30:31], 0, v9, s[30:31]
	flat_load_ushort v36, v[36:37]
.LBB870_36:
	s_or_b64 exec, exec, s[34:35]
	v_or_b32_e32 v30, 0xe00, v0
	v_cmp_gt_u32_e64 s[30:31], s33, v30
                                        ; implicit-def: $vgpr37
	s_and_saveexec_b64 s[38:39], s[30:31]
	s_cbranch_execz .LBB870_38
; %bb.37:
	v_lshlrev_b32_e32 v37, 1, v30
	v_add_co_u32_e64 v38, s[34:35], v7, v37
	v_addc_co_u32_e64 v39, s[34:35], 0, v9, s[34:35]
	flat_load_ushort v37, v[38:39]
.LBB870_38:
	s_or_b64 exec, exec, s[38:39]
	v_lshlrev_b32_e32 v38, 1, v0
	s_waitcnt vmcnt(0) lgkmcnt(0)
	ds_write_b16 v38, v1
	ds_write_b16 v38, v2 offset:512
	ds_write_b16 v38, v3 offset:1024
	;; [unrolled: 1-line block ×14, first 2 shown]
	v_mad_u32_u24 v31, v0, 28, v38
	s_waitcnt lgkmcnt(0)
	s_barrier
	ds_read_u16 v1, v31
	ds_read_b128 v[2:5], v31 offset:2
	ds_read_b96 v[12:14], v31 offset:18
	s_waitcnt lgkmcnt(0)
	s_barrier
	s_waitcnt lgkmcnt(0)
                                        ; implicit-def: $vgpr32
	s_and_saveexec_b64 s[34:35], vcc
	s_cbranch_execz .LBB870_52
; %bb.39:
	v_lshlrev_b32_e32 v32, 2, v0
	v_add_co_u32_e32 v32, vcc, v11, v32
	v_addc_co_u32_e32 v33, vcc, 0, v15, vcc
	flat_load_dword v32, v[32:33]
	s_or_b64 exec, exec, s[34:35]
                                        ; implicit-def: $vgpr33
	s_and_saveexec_b64 s[34:35], s[4:5]
	s_cbranch_execnz .LBB870_53
.LBB870_40:
	s_or_b64 exec, exec, s[34:35]
                                        ; implicit-def: $vgpr34
	s_and_saveexec_b64 s[4:5], s[6:7]
	s_cbranch_execz .LBB870_54
.LBB870_41:
	v_lshlrev_b32_e32 v34, 2, v0
	v_add_co_u32_e32 v34, vcc, v11, v34
	v_addc_co_u32_e32 v35, vcc, 0, v15, vcc
	flat_load_dword v34, v[34:35] offset:2048
	s_or_b64 exec, exec, s[4:5]
                                        ; implicit-def: $vgpr35
	s_and_saveexec_b64 s[4:5], s[8:9]
	s_cbranch_execnz .LBB870_55
.LBB870_42:
	s_or_b64 exec, exec, s[4:5]
                                        ; implicit-def: $vgpr36
	s_and_saveexec_b64 s[4:5], s[10:11]
	s_cbranch_execz .LBB870_56
.LBB870_43:
	v_lshlrev_b32_e32 v16, 2, v16
	v_add_co_u32_e32 v36, vcc, v11, v16
	v_addc_co_u32_e32 v37, vcc, 0, v15, vcc
	flat_load_dword v36, v[36:37]
	s_or_b64 exec, exec, s[4:5]
                                        ; implicit-def: $vgpr16
	s_and_saveexec_b64 s[4:5], s[12:13]
	s_cbranch_execnz .LBB870_57
.LBB870_44:
	s_or_b64 exec, exec, s[4:5]
                                        ; implicit-def: $vgpr17
	s_and_saveexec_b64 s[4:5], s[14:15]
	s_cbranch_execz .LBB870_58
.LBB870_45:
	v_lshlrev_b32_e32 v17, 2, v19
	v_add_co_u32_e32 v38, vcc, v11, v17
	v_addc_co_u32_e32 v39, vcc, 0, v15, vcc
	flat_load_dword v17, v[38:39]
	s_or_b64 exec, exec, s[4:5]
                                        ; implicit-def: $vgpr37
	s_and_saveexec_b64 s[4:5], s[16:17]
	s_cbranch_execnz .LBB870_59
.LBB870_46:
	s_or_b64 exec, exec, s[4:5]
                                        ; implicit-def: $vgpr21
	s_and_saveexec_b64 s[4:5], s[18:19]
	s_cbranch_execz .LBB870_60
.LBB870_47:
	v_lshlrev_b32_e32 v19, 2, v23
	v_add_co_u32_e32 v38, vcc, v11, v19
	v_addc_co_u32_e32 v39, vcc, 0, v15, vcc
	flat_load_dword v21, v[38:39]
	s_or_b64 exec, exec, s[4:5]
                                        ; implicit-def: $vgpr23
	s_and_saveexec_b64 s[4:5], s[20:21]
	s_cbranch_execnz .LBB870_61
.LBB870_48:
	s_or_b64 exec, exec, s[4:5]
                                        ; implicit-def: $vgpr25
	s_and_saveexec_b64 s[4:5], s[22:23]
	s_cbranch_execz .LBB870_62
.LBB870_49:
	v_lshlrev_b32_e32 v19, 2, v26
	v_add_co_u32_e32 v38, vcc, v11, v19
	v_addc_co_u32_e32 v39, vcc, 0, v15, vcc
	flat_load_dword v25, v[38:39]
	s_or_b64 exec, exec, s[4:5]
                                        ; implicit-def: $vgpr38
	s_and_saveexec_b64 s[4:5], s[24:25]
	s_cbranch_execnz .LBB870_63
.LBB870_50:
	s_or_b64 exec, exec, s[4:5]
                                        ; implicit-def: $vgpr41
	s_and_saveexec_b64 s[4:5], s[26:27]
	s_cbranch_execz .LBB870_64
.LBB870_51:
	v_lshlrev_b32_e32 v19, 2, v28
	v_add_co_u32_e32 v26, vcc, v11, v19
	v_addc_co_u32_e32 v27, vcc, 0, v15, vcc
	flat_load_dword v41, v[26:27]
	s_or_b64 exec, exec, s[4:5]
                                        ; implicit-def: $vgpr42
	s_and_saveexec_b64 s[4:5], s[28:29]
	s_cbranch_execz .LBB870_66
	s_branch .LBB870_65
.LBB870_52:
	s_or_b64 exec, exec, s[34:35]
                                        ; implicit-def: $vgpr33
	s_and_saveexec_b64 s[34:35], s[4:5]
	s_cbranch_execz .LBB870_40
.LBB870_53:
	v_lshlrev_b32_e32 v33, 2, v0
	v_add_co_u32_e32 v34, vcc, v11, v33
	v_addc_co_u32_e32 v35, vcc, 0, v15, vcc
	flat_load_dword v33, v[34:35] offset:1024
	s_or_b64 exec, exec, s[34:35]
                                        ; implicit-def: $vgpr34
	s_and_saveexec_b64 s[4:5], s[6:7]
	s_cbranch_execnz .LBB870_41
.LBB870_54:
	s_or_b64 exec, exec, s[4:5]
                                        ; implicit-def: $vgpr35
	s_and_saveexec_b64 s[4:5], s[8:9]
	s_cbranch_execz .LBB870_42
.LBB870_55:
	v_lshlrev_b32_e32 v35, 2, v0
	v_add_co_u32_e32 v36, vcc, v11, v35
	v_addc_co_u32_e32 v37, vcc, 0, v15, vcc
	flat_load_dword v35, v[36:37] offset:3072
	s_or_b64 exec, exec, s[4:5]
                                        ; implicit-def: $vgpr36
	s_and_saveexec_b64 s[4:5], s[10:11]
	s_cbranch_execnz .LBB870_43
.LBB870_56:
	s_or_b64 exec, exec, s[4:5]
                                        ; implicit-def: $vgpr16
	s_and_saveexec_b64 s[4:5], s[12:13]
	s_cbranch_execz .LBB870_44
.LBB870_57:
	v_lshlrev_b32_e32 v16, 2, v17
	v_add_co_u32_e32 v16, vcc, v11, v16
	v_addc_co_u32_e32 v17, vcc, 0, v15, vcc
	flat_load_dword v16, v[16:17]
	s_or_b64 exec, exec, s[4:5]
                                        ; implicit-def: $vgpr17
	s_and_saveexec_b64 s[4:5], s[14:15]
	s_cbranch_execnz .LBB870_45
.LBB870_58:
	s_or_b64 exec, exec, s[4:5]
                                        ; implicit-def: $vgpr37
	s_and_saveexec_b64 s[4:5], s[16:17]
	s_cbranch_execz .LBB870_46
.LBB870_59:
	v_lshlrev_b32_e32 v19, 2, v21
	v_add_co_u32_e32 v38, vcc, v11, v19
	v_addc_co_u32_e32 v39, vcc, 0, v15, vcc
	flat_load_dword v37, v[38:39]
	s_or_b64 exec, exec, s[4:5]
                                        ; implicit-def: $vgpr21
	s_and_saveexec_b64 s[4:5], s[18:19]
	s_cbranch_execnz .LBB870_47
.LBB870_60:
	s_or_b64 exec, exec, s[4:5]
                                        ; implicit-def: $vgpr23
	s_and_saveexec_b64 s[4:5], s[20:21]
	s_cbranch_execz .LBB870_48
.LBB870_61:
	v_lshlrev_b32_e32 v19, 2, v25
	v_add_co_u32_e32 v38, vcc, v11, v19
	v_addc_co_u32_e32 v39, vcc, 0, v15, vcc
	flat_load_dword v23, v[38:39]
	s_or_b64 exec, exec, s[4:5]
                                        ; implicit-def: $vgpr25
	s_and_saveexec_b64 s[4:5], s[22:23]
	s_cbranch_execnz .LBB870_49
.LBB870_62:
	s_or_b64 exec, exec, s[4:5]
                                        ; implicit-def: $vgpr38
	s_and_saveexec_b64 s[4:5], s[24:25]
	s_cbranch_execz .LBB870_50
.LBB870_63:
	v_lshlrev_b32_e32 v19, 2, v27
	v_add_co_u32_e32 v26, vcc, v11, v19
	v_addc_co_u32_e32 v27, vcc, 0, v15, vcc
	flat_load_dword v38, v[26:27]
	s_or_b64 exec, exec, s[4:5]
                                        ; implicit-def: $vgpr41
	s_and_saveexec_b64 s[4:5], s[26:27]
	s_cbranch_execnz .LBB870_51
.LBB870_64:
	s_or_b64 exec, exec, s[4:5]
                                        ; implicit-def: $vgpr42
	s_and_saveexec_b64 s[4:5], s[28:29]
	s_cbranch_execz .LBB870_66
.LBB870_65:
	v_lshlrev_b32_e32 v19, 2, v29
	v_add_co_u32_e32 v26, vcc, v11, v19
	v_addc_co_u32_e32 v27, vcc, 0, v15, vcc
	flat_load_dword v42, v[26:27]
.LBB870_66:
	s_or_b64 exec, exec, s[4:5]
	v_mul_u32_u24_e32 v19, 15, v0
                                        ; implicit-def: $vgpr43
	s_and_saveexec_b64 s[4:5], s[30:31]
	s_cbranch_execz .LBB870_68
; %bb.67:
	v_lshlrev_b32_e32 v26, 2, v30
	v_add_co_u32_e32 v26, vcc, v11, v26
	v_addc_co_u32_e32 v27, vcc, 0, v15, vcc
	flat_load_dword v43, v[26:27]
.LBB870_68:
	s_or_b64 exec, exec, s[4:5]
	s_movk_i32 s4, 0xffe6
	v_add_u32_e32 v39, 1, v19
	v_add_u32_e32 v40, 3, v19
	;; [unrolled: 1-line block ×7, first 2 shown]
	v_mad_i32_i24 v11, v0, s4, v31
	s_waitcnt vmcnt(0) lgkmcnt(0)
	ds_write2st64_b32 v11, v32, v33 offset1:4
	ds_write2st64_b32 v11, v34, v35 offset0:8 offset1:12
	ds_write2st64_b32 v11, v36, v16 offset0:16 offset1:20
	;; [unrolled: 1-line block ×6, first 2 shown]
	ds_write_b32 v11, v43 offset:14336
	s_waitcnt lgkmcnt(0)
	s_barrier
.LBB870_69:
	v_lshlrev_b32_e32 v11, 2, v19
	ds_read2_b32 v[52:53], v11 offset1:2
	ds_read2_b32 v[50:51], v11 offset0:4 offset1:6
	ds_read2_b32 v[48:49], v11 offset0:8 offset1:10
	;; [unrolled: 1-line block ×3, first 2 shown]
	v_lshlrev_b32_e32 v11, 2, v39
	v_lshlrev_b32_e32 v15, 2, v40
	;; [unrolled: 1-line block ×7, first 2 shown]
	ds_read_b32 v75, v11
	ds_read_b32 v74, v15
	ds_read_b32 v73, v19
	ds_read_b32 v72, v21
	ds_read_b32 v71, v23
	ds_read_b32 v70, v25
	ds_read_b32 v69, v26
	s_cmp_eq_u64 s[40:41], 0
	s_cselect_b64 s[38:39], -1, 0
	s_cmp_lg_u64 s[40:41], 0
	s_mov_b64 s[6:7], 0
	s_cselect_b64 s[8:9], -1, 0
	s_and_b64 vcc, exec, s[48:49]
	s_waitcnt lgkmcnt(0)
	s_barrier
	s_cbranch_vccz .LBB870_75
; %bb.70:
	s_and_b64 vcc, exec, s[8:9]
	s_cbranch_vccz .LBB870_136
; %bb.71:
	v_add_co_u32_e32 v26, vcc, -2, v7
	v_addc_co_u32_e32 v27, vcc, -1, v9, vcc
	flat_load_ushort v11, v[26:27]
	v_lshrrev_b32_e32 v19, 16, v14
	v_lshlrev_b32_e32 v15, 1, v0
	v_cmp_ne_u16_e32 vcc, v14, v19
	v_cmp_ne_u16_sdwa s[6:7], v13, v14 src0_sel:WORD_1 src1_sel:DWORD
	v_cmp_ne_u16_sdwa s[10:11], v13, v13 src0_sel:DWORD src1_sel:WORD_1
	v_cmp_ne_u16_sdwa s[12:13], v12, v13 src0_sel:WORD_1 src1_sel:DWORD
	v_cmp_ne_u16_sdwa s[14:15], v12, v12 src0_sel:DWORD src1_sel:WORD_1
	;; [unrolled: 2-line block ×6, first 2 shown]
	v_cmp_ne_u16_e64 s[4:5], v1, v2
	ds_write_b16 v15, v19
	s_waitcnt lgkmcnt(0)
	s_barrier
	s_and_saveexec_b64 s[34:35], s[2:3]
	s_cbranch_execz .LBB870_73
; %bb.72:
	s_waitcnt vmcnt(0)
	v_add_u32_e32 v11, -2, v15
	ds_read_u16 v11, v11
.LBB870_73:
	s_or_b64 exec, exec, s[34:35]
	v_cndmask_b32_e64 v15, 0, 1, vcc
	v_cndmask_b32_e64 v54, 0, 1, s[6:7]
	v_cndmask_b32_e64 v55, 0, 1, s[10:11]
	;; [unrolled: 1-line block ×13, first 2 shown]
	s_waitcnt vmcnt(0) lgkmcnt(0)
	v_cmp_ne_u16_e64 s[4:5], v11, v1
	s_mov_b64 s[6:7], -1
.LBB870_74:
                                        ; implicit-def: $sgpr12
	s_branch .LBB870_76
.LBB870_75:
                                        ; implicit-def: $sgpr4_sgpr5
                                        ; implicit-def: $vgpr15
                                        ; implicit-def: $vgpr54
                                        ; implicit-def: $vgpr55
                                        ; implicit-def: $vgpr56
                                        ; implicit-def: $vgpr57
                                        ; implicit-def: $vgpr58
                                        ; implicit-def: $vgpr59
                                        ; implicit-def: $vgpr60
                                        ; implicit-def: $vgpr61
                                        ; implicit-def: $vgpr62
                                        ; implicit-def: $vgpr63
                                        ; implicit-def: $vgpr64
                                        ; implicit-def: $vgpr65
                                        ; implicit-def: $vgpr66
                                        ; implicit-def: $sgpr12
	s_cbranch_execnz .LBB870_140
.LBB870_76:
	v_mov_b32_e32 v68, s12
	s_and_saveexec_b64 s[2:3], s[6:7]
.LBB870_77:
	v_cndmask_b32_e64 v68, 0, 1, s[4:5]
.LBB870_78:
	s_or_b64 exec, exec, s[2:3]
	s_cmp_eq_u64 s[46:47], 0
	v_add3_u32 v6, v66, v68, v65
	s_cselect_b64 s[34:35], -1, 0
	s_cmp_lg_u32 s62, 0
	v_cmp_eq_u32_e64 s[26:27], 0, v66
	v_cmp_eq_u32_e64 s[24:25], 0, v65
	;; [unrolled: 1-line block ×3, first 2 shown]
	v_add3_u32 v79, v6, v64, v63
	v_cmp_eq_u32_e64 s[20:21], 0, v63
	v_cmp_eq_u32_e64 s[18:19], 0, v62
	;; [unrolled: 1-line block ×10, first 2 shown]
	v_cmp_eq_u32_e32 vcc, 0, v15
	v_mbcnt_lo_u32_b32 v78, -1, 0
	v_lshrrev_b32_e32 v76, 6, v0
	v_or_b32_e32 v77, 63, v0
	s_cbranch_scc0 .LBB870_105
; %bb.79:
	v_cndmask_b32_e64 v6, 0, v52, s[26:27]
	v_add_u32_e32 v6, v6, v75
	v_cndmask_b32_e64 v6, 0, v6, s[24:25]
	v_add_u32_e32 v6, v6, v53
	;; [unrolled: 2-line block ×11, first 2 shown]
	v_cndmask_b32_e64 v6, 0, v6, s[4:5]
	v_add3_u32 v7, v79, v62, v61
	v_add_u32_e32 v6, v6, v16
	v_add3_u32 v7, v7, v60, v59
	v_cndmask_b32_e64 v6, 0, v6, s[2:3]
	v_add3_u32 v7, v7, v58, v57
	v_add_u32_e32 v6, v6, v69
	v_add3_u32 v7, v7, v56, v55
	v_cndmask_b32_e32 v6, 0, v6, vcc
	v_add3_u32 v7, v7, v54, v15
	v_add_u32_e32 v6, v6, v17
	v_mbcnt_hi_u32_b32 v21, -1, v78
	v_and_b32_e32 v8, 15, v21
	v_mov_b32_dpp v10, v6 row_shr:1 row_mask:0xf bank_mask:0xf
	v_cmp_eq_u32_e32 vcc, 0, v7
	v_mov_b32_dpp v9, v7 row_shr:1 row_mask:0xf bank_mask:0xf
	v_cndmask_b32_e32 v10, 0, v10, vcc
	v_cmp_eq_u32_e32 vcc, 0, v8
	v_cndmask_b32_e64 v9, v9, 0, vcc
	v_add_u32_e32 v7, v9, v7
	v_cndmask_b32_e64 v9, v10, 0, vcc
	v_add_u32_e32 v6, v9, v6
	v_cmp_eq_u32_e32 vcc, 0, v7
	v_mov_b32_dpp v9, v7 row_shr:2 row_mask:0xf bank_mask:0xf
	v_cmp_lt_u32_e64 s[28:29], 1, v8
	v_mov_b32_dpp v10, v6 row_shr:2 row_mask:0xf bank_mask:0xf
	v_cndmask_b32_e64 v9, 0, v9, s[28:29]
	s_and_b64 vcc, s[28:29], vcc
	v_cndmask_b32_e32 v10, 0, v10, vcc
	v_add_u32_e32 v7, v7, v9
	v_add_u32_e32 v6, v10, v6
	v_cmp_eq_u32_e32 vcc, 0, v7
	v_mov_b32_dpp v9, v7 row_shr:4 row_mask:0xf bank_mask:0xf
	v_cmp_lt_u32_e64 s[28:29], 3, v8
	v_mov_b32_dpp v10, v6 row_shr:4 row_mask:0xf bank_mask:0xf
	v_cndmask_b32_e64 v9, 0, v9, s[28:29]
	s_and_b64 vcc, s[28:29], vcc
	v_cndmask_b32_e32 v10, 0, v10, vcc
	v_add_u32_e32 v7, v9, v7
	v_add_u32_e32 v6, v6, v10
	v_cmp_eq_u32_e32 vcc, 0, v7
	v_cmp_lt_u32_e64 s[28:29], 7, v8
	v_mov_b32_dpp v9, v7 row_shr:8 row_mask:0xf bank_mask:0xf
	v_mov_b32_dpp v10, v6 row_shr:8 row_mask:0xf bank_mask:0xf
	s_and_b64 vcc, s[28:29], vcc
	v_cndmask_b32_e64 v8, 0, v9, s[28:29]
	v_cndmask_b32_e32 v9, 0, v10, vcc
	v_add_u32_e32 v6, v9, v6
	v_add_u32_e32 v7, v8, v7
	v_bfe_i32 v10, v21, 4, 1
	v_mov_b32_dpp v9, v6 row_bcast:15 row_mask:0xf bank_mask:0xf
	v_mov_b32_dpp v8, v7 row_bcast:15 row_mask:0xf bank_mask:0xf
	v_cmp_eq_u32_e32 vcc, 0, v7
	v_cndmask_b32_e32 v9, 0, v9, vcc
	v_and_b32_e32 v8, v10, v8
	v_add_u32_e32 v7, v8, v7
	v_and_b32_e32 v8, v10, v9
	v_add_u32_e32 v8, v8, v6
	v_mov_b32_dpp v6, v7 row_bcast:31 row_mask:0xf bank_mask:0xf
	v_cmp_eq_u32_e32 vcc, 0, v7
	v_cmp_lt_u32_e64 s[28:29], 31, v21
	v_mov_b32_dpp v9, v8 row_bcast:31 row_mask:0xf bank_mask:0xf
	v_cndmask_b32_e64 v6, 0, v6, s[28:29]
	s_and_b64 vcc, s[28:29], vcc
	v_add_u32_e32 v6, v6, v7
	v_cndmask_b32_e32 v7, 0, v9, vcc
	v_add_u32_e32 v7, v7, v8
	v_cmp_eq_u32_e32 vcc, v77, v0
	v_lshlrev_b32_e32 v8, 3, v76
	s_and_saveexec_b64 s[28:29], vcc
	s_cbranch_execz .LBB870_81
; %bb.80:
	ds_write_b64 v8, v[6:7] offset:1040
.LBB870_81:
	s_or_b64 exec, exec, s[28:29]
	v_cmp_gt_u32_e32 vcc, 4, v0
	s_waitcnt lgkmcnt(0)
	s_barrier
	s_and_saveexec_b64 s[30:31], vcc
	s_cbranch_execz .LBB870_83
; %bb.82:
	v_lshlrev_b32_e32 v9, 3, v0
	ds_read_b64 v[10:11], v9 offset:1040
	v_and_b32_e32 v18, 3, v21
	v_cmp_lt_u32_e64 s[28:29], 1, v18
	s_waitcnt lgkmcnt(0)
	v_mov_b32_dpp v20, v11 row_shr:1 row_mask:0xf bank_mask:0xf
	v_cmp_eq_u32_e32 vcc, 0, v10
	v_mov_b32_dpp v19, v10 row_shr:1 row_mask:0xf bank_mask:0xf
	v_cndmask_b32_e32 v20, 0, v20, vcc
	v_cmp_eq_u32_e32 vcc, 0, v18
	v_cndmask_b32_e64 v19, v19, 0, vcc
	v_add_u32_e32 v10, v19, v10
	v_cndmask_b32_e64 v19, v20, 0, vcc
	v_add_u32_e32 v11, v19, v11
	v_cmp_eq_u32_e32 vcc, 0, v10
	v_mov_b32_dpp v19, v10 row_shr:2 row_mask:0xf bank_mask:0xf
	v_mov_b32_dpp v20, v11 row_shr:2 row_mask:0xf bank_mask:0xf
	v_cndmask_b32_e64 v18, 0, v19, s[28:29]
	s_and_b64 vcc, s[28:29], vcc
	v_add_u32_e32 v10, v18, v10
	v_cndmask_b32_e32 v18, 0, v20, vcc
	v_add_u32_e32 v11, v18, v11
	ds_write_b64 v9, v[10:11] offset:1040
.LBB870_83:
	s_or_b64 exec, exec, s[30:31]
	v_cmp_gt_u32_e32 vcc, 64, v0
	v_cmp_lt_u32_e64 s[28:29], 63, v0
	v_mov_b32_e32 v18, 0
	v_mov_b32_e32 v19, 0
	s_waitcnt lgkmcnt(0)
	s_barrier
	s_and_saveexec_b64 s[30:31], s[28:29]
	s_cbranch_execz .LBB870_85
; %bb.84:
	ds_read_b64 v[18:19], v8 offset:1032
	v_cmp_eq_u32_e64 s[28:29], 0, v6
	s_waitcnt lgkmcnt(0)
	v_add_u32_e32 v8, v18, v6
	v_cndmask_b32_e64 v6, 0, v19, s[28:29]
	v_add_u32_e32 v7, v6, v7
	v_mov_b32_e32 v6, v8
.LBB870_85:
	s_or_b64 exec, exec, s[30:31]
	v_add_u32_e32 v8, -1, v21
	v_and_b32_e32 v9, 64, v21
	v_cmp_lt_i32_e64 s[28:29], v8, v9
	v_cndmask_b32_e64 v8, v8, v21, s[28:29]
	v_lshlrev_b32_e32 v8, 2, v8
	ds_bpermute_b32 v26, v8, v6
	ds_bpermute_b32 v27, v8, v7
	v_cmp_eq_u32_e64 s[28:29], 0, v21
	s_and_saveexec_b64 s[40:41], vcc
	s_cbranch_execz .LBB870_104
; %bb.86:
	v_mov_b32_e32 v11, 0
	ds_read_b64 v[6:7], v11 offset:1064
	s_waitcnt lgkmcnt(0)
	v_readfirstlane_b32 s48, v6
	v_readfirstlane_b32 s49, v7
	s_and_saveexec_b64 s[30:31], s[28:29]
	s_cbranch_execz .LBB870_88
; %bb.87:
	s_add_i32 s46, s62, 64
	s_mov_b32 s47, 0
	s_lshl_b64 s[50:51], s[46:47], 4
	s_add_u32 s50, s44, s50
	s_addc_u32 s51, s45, s51
	s_and_b32 s57, s49, 0xff000000
	s_mov_b32 s56, s47
	s_and_b32 s65, s49, 0xff0000
	s_mov_b32 s64, s47
	s_or_b64 s[56:57], s[64:65], s[56:57]
	s_and_b32 s65, s49, 0xff00
	s_or_b64 s[56:57], s[56:57], s[64:65]
	s_and_b32 s65, s49, 0xff
	s_or_b64 s[46:47], s[56:57], s[64:65]
	v_mov_b32_e32 v8, s48
	v_mov_b32_e32 v9, s47
	;; [unrolled: 1-line block ×3, first 2 shown]
	v_pk_mov_b32 v[6:7], s[50:51], s[50:51] op_sel:[0,1]
	;;#ASMSTART
	global_store_dwordx4 v[6:7], v[8:11] off	
s_waitcnt vmcnt(0)
	;;#ASMEND
.LBB870_88:
	s_or_b64 exec, exec, s[30:31]
	v_xad_u32 v20, v21, -1, s62
	v_add_u32_e32 v10, 64, v20
	v_lshlrev_b64 v[6:7], 4, v[10:11]
	v_mov_b32_e32 v8, s45
	v_add_co_u32_e32 v22, vcc, s44, v6
	v_addc_co_u32_e32 v23, vcc, v8, v7, vcc
	;;#ASMSTART
	global_load_dwordx4 v[6:9], v[22:23] off glc	
s_waitcnt vmcnt(0)
	;;#ASMEND
	v_and_b32_e32 v9, 0xff, v7
	v_and_b32_e32 v10, 0xff00, v7
	;; [unrolled: 1-line block ×3, first 2 shown]
	v_or3_b32 v9, 0, v9, v10
	v_or3_b32 v6, v6, 0, 0
	v_and_b32_e32 v7, 0xff000000, v7
	v_or3_b32 v7, v9, v24, v7
	v_or3_b32 v6, v6, 0, 0
	v_cmp_eq_u16_sdwa s[46:47], v8, v11 src0_sel:BYTE_0 src1_sel:DWORD
	s_and_saveexec_b64 s[30:31], s[46:47]
	s_cbranch_execz .LBB870_92
; %bb.89:
	s_mov_b64 s[46:47], 0
	v_mov_b32_e32 v10, 0
.LBB870_90:                             ; =>This Inner Loop Header: Depth=1
	;;#ASMSTART
	global_load_dwordx4 v[6:9], v[22:23] off glc	
s_waitcnt vmcnt(0)
	;;#ASMEND
	v_cmp_ne_u16_sdwa s[50:51], v8, v10 src0_sel:BYTE_0 src1_sel:DWORD
	s_or_b64 s[46:47], s[50:51], s[46:47]
	s_andn2_b64 exec, exec, s[46:47]
	s_cbranch_execnz .LBB870_90
; %bb.91:
	s_or_b64 exec, exec, s[46:47]
.LBB870_92:
	s_or_b64 exec, exec, s[30:31]
	v_mov_b32_e32 v28, 2
	v_cmp_eq_u16_sdwa s[30:31], v8, v28 src0_sel:BYTE_0 src1_sel:DWORD
	v_lshlrev_b64 v[22:23], v21, -1
	v_and_b32_e32 v9, s31, v23
	v_and_b32_e32 v29, 63, v21
	v_or_b32_e32 v9, 0x80000000, v9
	v_cmp_ne_u32_e32 vcc, 63, v29
	v_and_b32_e32 v10, s30, v22
	v_ffbl_b32_e32 v9, v9
	v_addc_co_u32_e32 v11, vcc, 0, v21, vcc
	v_add_u32_e32 v9, 32, v9
	v_ffbl_b32_e32 v10, v10
	v_lshlrev_b32_e32 v30, 2, v11
	v_min_u32_e32 v9, v10, v9
	ds_bpermute_b32 v10, v30, v7
	v_cmp_eq_u32_e32 vcc, 0, v6
	v_cmp_lt_u32_e64 s[30:31], v29, v9
	ds_bpermute_b32 v11, v30, v6
	s_and_b64 vcc, s[30:31], vcc
	s_waitcnt lgkmcnt(1)
	v_cndmask_b32_e32 v10, 0, v10, vcc
	v_cmp_gt_u32_e32 vcc, 62, v29
	v_add_u32_e32 v7, v10, v7
	v_cndmask_b32_e64 v10, 0, 1, vcc
	v_lshlrev_b32_e32 v10, 1, v10
	v_add_lshl_u32 v31, v10, v21, 2
	s_waitcnt lgkmcnt(0)
	v_cndmask_b32_e64 v11, 0, v11, s[30:31]
	ds_bpermute_b32 v10, v31, v7
	v_add_u32_e32 v6, v11, v6
	ds_bpermute_b32 v11, v31, v6
	v_add_u32_e32 v32, 2, v29
	v_cmp_eq_u32_e32 vcc, 0, v6
	s_waitcnt lgkmcnt(1)
	v_cndmask_b32_e32 v10, 0, v10, vcc
	v_cmp_gt_u32_e32 vcc, v32, v9
	v_cndmask_b32_e64 v10, v10, 0, vcc
	v_add_u32_e32 v7, v10, v7
	s_waitcnt lgkmcnt(0)
	v_cndmask_b32_e64 v10, v11, 0, vcc
	v_cmp_gt_u32_e32 vcc, 60, v29
	v_cndmask_b32_e64 v11, 0, 1, vcc
	v_lshlrev_b32_e32 v11, 2, v11
	v_add_lshl_u32 v33, v11, v21, 2
	ds_bpermute_b32 v11, v33, v7
	v_add_u32_e32 v6, v6, v10
	ds_bpermute_b32 v10, v33, v6
	v_add_u32_e32 v34, 4, v29
	v_cmp_eq_u32_e32 vcc, 0, v6
	s_waitcnt lgkmcnt(1)
	v_cndmask_b32_e32 v11, 0, v11, vcc
	v_cmp_gt_u32_e32 vcc, v34, v9
	v_cndmask_b32_e64 v11, v11, 0, vcc
	s_waitcnt lgkmcnt(0)
	v_cndmask_b32_e64 v10, v10, 0, vcc
	v_cmp_gt_u32_e32 vcc, 56, v29
	v_add_u32_e32 v7, v7, v11
	v_cndmask_b32_e64 v11, 0, 1, vcc
	v_lshlrev_b32_e32 v11, 3, v11
	v_add_lshl_u32 v35, v11, v21, 2
	ds_bpermute_b32 v11, v35, v7
	v_add_u32_e32 v6, v6, v10
	ds_bpermute_b32 v10, v35, v6
	v_add_u32_e32 v36, 8, v29
	v_cmp_eq_u32_e32 vcc, 0, v6
	s_waitcnt lgkmcnt(1)
	v_cndmask_b32_e32 v11, 0, v11, vcc
	v_cmp_gt_u32_e32 vcc, v36, v9
	v_cndmask_b32_e64 v11, v11, 0, vcc
	s_waitcnt lgkmcnt(0)
	v_cndmask_b32_e64 v10, v10, 0, vcc
	v_cmp_gt_u32_e32 vcc, 48, v29
	v_add_u32_e32 v7, v7, v11
	;; [unrolled: 16-line block ×3, first 2 shown]
	v_cndmask_b32_e64 v11, 0, 1, vcc
	v_lshlrev_b32_e32 v11, 5, v11
	v_add_lshl_u32 v39, v11, v21, 2
	ds_bpermute_b32 v11, v39, v7
	v_add_u32_e32 v6, v6, v10
	ds_bpermute_b32 v10, v39, v6
	v_add_u32_e32 v40, 32, v29
	v_cmp_eq_u32_e32 vcc, 0, v6
	s_waitcnt lgkmcnt(1)
	v_cndmask_b32_e32 v11, 0, v11, vcc
	v_cmp_gt_u32_e32 vcc, v40, v9
	v_cndmask_b32_e64 v9, v11, 0, vcc
	v_add_u32_e32 v7, v9, v7
	s_waitcnt lgkmcnt(0)
	v_cndmask_b32_e64 v9, v10, 0, vcc
	v_add_u32_e32 v6, v9, v6
	v_mov_b32_e32 v21, 0
	s_branch .LBB870_94
.LBB870_93:                             ;   in Loop: Header=BB870_94 Depth=1
	s_or_b64 exec, exec, s[30:31]
	v_cmp_eq_u16_sdwa s[30:31], v8, v28 src0_sel:BYTE_0 src1_sel:DWORD
	v_and_b32_e32 v9, s31, v23
	v_or_b32_e32 v9, 0x80000000, v9
	v_and_b32_e32 v24, s30, v22
	v_ffbl_b32_e32 v9, v9
	v_add_u32_e32 v9, 32, v9
	v_ffbl_b32_e32 v24, v24
	v_min_u32_e32 v9, v24, v9
	ds_bpermute_b32 v24, v30, v7
	v_cmp_eq_u32_e32 vcc, 0, v6
	v_cmp_lt_u32_e64 s[30:31], v29, v9
	ds_bpermute_b32 v25, v30, v6
	s_and_b64 vcc, s[30:31], vcc
	s_waitcnt lgkmcnt(1)
	v_cndmask_b32_e32 v24, 0, v24, vcc
	v_add_u32_e32 v7, v24, v7
	ds_bpermute_b32 v24, v31, v7
	s_waitcnt lgkmcnt(1)
	v_cndmask_b32_e64 v25, 0, v25, s[30:31]
	v_add_u32_e32 v6, v25, v6
	v_cmp_eq_u32_e32 vcc, 0, v6
	ds_bpermute_b32 v25, v31, v6
	s_waitcnt lgkmcnt(1)
	v_cndmask_b32_e32 v24, 0, v24, vcc
	v_cmp_gt_u32_e32 vcc, v32, v9
	v_cndmask_b32_e64 v24, v24, 0, vcc
	v_add_u32_e32 v7, v24, v7
	ds_bpermute_b32 v24, v33, v7
	s_waitcnt lgkmcnt(1)
	v_cndmask_b32_e64 v25, v25, 0, vcc
	v_add_u32_e32 v6, v6, v25
	v_cmp_eq_u32_e32 vcc, 0, v6
	ds_bpermute_b32 v25, v33, v6
	s_waitcnt lgkmcnt(1)
	v_cndmask_b32_e32 v24, 0, v24, vcc
	v_cmp_gt_u32_e32 vcc, v34, v9
	v_cndmask_b32_e64 v24, v24, 0, vcc
	v_add_u32_e32 v7, v7, v24
	ds_bpermute_b32 v24, v35, v7
	s_waitcnt lgkmcnt(1)
	v_cndmask_b32_e64 v25, v25, 0, vcc
	v_add_u32_e32 v6, v6, v25
	ds_bpermute_b32 v25, v35, v6
	v_cmp_eq_u32_e32 vcc, 0, v6
	s_waitcnt lgkmcnt(1)
	v_cndmask_b32_e32 v24, 0, v24, vcc
	v_cmp_gt_u32_e32 vcc, v36, v9
	v_cndmask_b32_e64 v24, v24, 0, vcc
	v_add_u32_e32 v7, v7, v24
	ds_bpermute_b32 v24, v37, v7
	s_waitcnt lgkmcnt(1)
	v_cndmask_b32_e64 v25, v25, 0, vcc
	v_add_u32_e32 v6, v6, v25
	ds_bpermute_b32 v25, v37, v6
	v_cmp_eq_u32_e32 vcc, 0, v6
	s_waitcnt lgkmcnt(1)
	v_cndmask_b32_e32 v24, 0, v24, vcc
	v_cmp_gt_u32_e32 vcc, v38, v9
	v_cndmask_b32_e64 v24, v24, 0, vcc
	v_add_u32_e32 v7, v7, v24
	ds_bpermute_b32 v24, v39, v7
	s_waitcnt lgkmcnt(1)
	v_cndmask_b32_e64 v25, v25, 0, vcc
	v_add_u32_e32 v6, v6, v25
	ds_bpermute_b32 v25, v39, v6
	v_cmp_eq_u32_e32 vcc, 0, v6
	s_waitcnt lgkmcnt(1)
	v_cndmask_b32_e32 v24, 0, v24, vcc
	v_cmp_gt_u32_e32 vcc, v40, v9
	v_cndmask_b32_e64 v9, v24, 0, vcc
	v_add_u32_e32 v7, v9, v7
	s_waitcnt lgkmcnt(0)
	v_cndmask_b32_e64 v9, v25, 0, vcc
	v_cmp_eq_u32_e32 vcc, 0, v10
	v_cndmask_b32_e32 v7, 0, v7, vcc
	v_subrev_u32_e32 v20, 64, v20
	v_add3_u32 v6, v6, v10, v9
	v_add_u32_e32 v7, v7, v11
.LBB870_94:                             ; =>This Loop Header: Depth=1
                                        ;     Child Loop BB870_97 Depth 2
	v_cmp_ne_u16_sdwa s[30:31], v8, v28 src0_sel:BYTE_0 src1_sel:DWORD
	v_mov_b32_e32 v11, v7
	v_cndmask_b32_e64 v7, 0, 1, s[30:31]
	;;#ASMSTART
	;;#ASMEND
	v_cmp_ne_u32_e32 vcc, 0, v7
	s_cmp_lg_u64 vcc, exec
	v_mov_b32_e32 v10, v6
	s_cbranch_scc1 .LBB870_99
; %bb.95:                               ;   in Loop: Header=BB870_94 Depth=1
	v_lshlrev_b64 v[6:7], 4, v[20:21]
	v_mov_b32_e32 v8, s45
	v_add_co_u32_e32 v24, vcc, s44, v6
	v_addc_co_u32_e32 v25, vcc, v8, v7, vcc
	;;#ASMSTART
	global_load_dwordx4 v[6:9], v[24:25] off glc	
s_waitcnt vmcnt(0)
	;;#ASMEND
	v_and_b32_e32 v9, 0xff, v7
	v_and_b32_e32 v41, 0xff00, v7
	v_and_b32_e32 v42, 0xff0000, v7
	v_or3_b32 v9, 0, v9, v41
	v_or3_b32 v6, v6, 0, 0
	v_and_b32_e32 v7, 0xff000000, v7
	v_or3_b32 v7, v9, v42, v7
	v_or3_b32 v6, v6, 0, 0
	v_cmp_eq_u16_sdwa s[46:47], v8, v21 src0_sel:BYTE_0 src1_sel:DWORD
	s_and_saveexec_b64 s[30:31], s[46:47]
	s_cbranch_execz .LBB870_93
; %bb.96:                               ;   in Loop: Header=BB870_94 Depth=1
	s_mov_b64 s[46:47], 0
.LBB870_97:                             ;   Parent Loop BB870_94 Depth=1
                                        ; =>  This Inner Loop Header: Depth=2
	;;#ASMSTART
	global_load_dwordx4 v[6:9], v[24:25] off glc	
s_waitcnt vmcnt(0)
	;;#ASMEND
	v_cmp_ne_u16_sdwa s[50:51], v8, v21 src0_sel:BYTE_0 src1_sel:DWORD
	s_or_b64 s[46:47], s[50:51], s[46:47]
	s_andn2_b64 exec, exec, s[46:47]
	s_cbranch_execnz .LBB870_97
; %bb.98:                               ;   in Loop: Header=BB870_94 Depth=1
	s_or_b64 exec, exec, s[46:47]
	s_branch .LBB870_93
.LBB870_99:                             ;   in Loop: Header=BB870_94 Depth=1
                                        ; implicit-def: $vgpr7
                                        ; implicit-def: $vgpr6
                                        ; implicit-def: $vgpr8
	s_cbranch_execz .LBB870_94
; %bb.100:
	s_and_saveexec_b64 s[30:31], s[28:29]
	s_cbranch_execz .LBB870_102
; %bb.101:
	s_cmp_eq_u32 s48, 0
	s_cselect_b64 vcc, -1, 0
	s_mov_b32 s47, 0
	v_cndmask_b32_e32 v6, 0, v11, vcc
	s_add_i32 s46, s62, 64
	v_add_u32_e32 v6, s49, v6
	s_lshl_b64 s[46:47], s[46:47], 4
	s_add_u32 s46, s44, s46
	v_and_b32_e32 v7, 0xff000000, v6
	v_and_b32_e32 v8, 0xff0000, v6
	s_addc_u32 s47, s45, s47
	v_or_b32_e32 v7, v8, v7
	v_and_b32_e32 v8, 0xff00, v6
	v_and_b32_e32 v6, 0xff, v6
	v_add_u32_e32 v20, s48, v10
	v_mov_b32_e32 v23, 0
	v_or3_b32 v21, v7, v8, v6
	v_mov_b32_e32 v22, 2
	v_pk_mov_b32 v[6:7], s[46:47], s[46:47] op_sel:[0,1]
	;;#ASMSTART
	global_store_dwordx4 v[6:7], v[20:23] off	
s_waitcnt vmcnt(0)
	;;#ASMEND
	v_mov_b32_e32 v8, s48
	v_mov_b32_e32 v9, s49
	ds_write_b128 v23, v[8:11] offset:1024
.LBB870_102:
	s_or_b64 exec, exec, s[30:31]
	s_and_b64 exec, exec, s[0:1]
	s_cbranch_execz .LBB870_104
; %bb.103:
	v_mov_b32_e32 v6, 0
	ds_write_b64 v6, v[10:11] offset:1064
.LBB870_104:
	s_or_b64 exec, exec, s[40:41]
	v_mov_b32_e32 v8, 0
	s_waitcnt lgkmcnt(0)
	s_barrier
	ds_read_b64 v[6:7], v8 offset:1064
	v_cndmask_b32_e64 v10, v26, v18, s[28:29]
	v_cmp_eq_u32_e32 vcc, 0, v10
	v_cndmask_b32_e64 v9, v27, v19, s[28:29]
	s_waitcnt lgkmcnt(0)
	v_cndmask_b32_e32 v11, 0, v7, vcc
	v_add_u32_e32 v9, v11, v9
	v_cndmask_b32_e64 v47, v9, v7, s[0:1]
	v_cndmask_b32_e64 v7, v10, 0, s[0:1]
	v_cmp_eq_u32_e32 vcc, 0, v68
	v_add_u32_e32 v46, v6, v7
	v_cndmask_b32_e32 v6, 0, v47, vcc
	v_add_u32_e32 v45, v6, v52
	v_cndmask_b32_e64 v6, 0, v45, s[26:27]
	v_add_u32_e32 v43, v6, v75
	v_cndmask_b32_e64 v6, 0, v43, s[24:25]
	;; [unrolled: 2-line block ×8, first 2 shown]
	v_add_u32_e32 v44, v46, v68
	v_add_u32_e32 v29, v6, v48
	v_add_u32_e32 v42, v44, v66
	v_cndmask_b32_e64 v6, 0, v29, s[10:11]
	v_add_u32_e32 v40, v42, v65
	v_add_u32_e32 v27, v6, v71
	v_add_u32_e32 v38, v40, v64
	v_cndmask_b32_e64 v6, 0, v27, s[8:9]
	;; [unrolled: 4-line block ×3, first 2 shown]
	v_add_u32_e32 v32, v34, v61
	v_add_u32_e32 v23, v6, v70
	s_barrier
	ds_read_b128 v[6:9], v8 offset:1024
	v_add_u32_e32 v30, v32, v60
	v_add_u32_e32 v28, v30, v59
	;; [unrolled: 1-line block ×4, first 2 shown]
	v_cndmask_b32_e64 v10, 0, v23, s[4:5]
	v_add_u32_e32 v22, v24, v56
	v_add_u32_e32 v21, v10, v16
	s_waitcnt lgkmcnt(0)
	v_cmp_eq_u32_e32 vcc, 0, v6
	v_add_u32_e32 v20, v22, v55
	v_cndmask_b32_e64 v10, 0, v21, s[2:3]
	v_cndmask_b32_e32 v9, 0, v9, vcc
	v_add_u32_e32 v18, v20, v54
	v_add_u32_e32 v19, v10, v69
	v_add_u32_e32 v67, v9, v7
	s_branch .LBB870_117
.LBB870_105:
                                        ; implicit-def: $vgpr6
                                        ; implicit-def: $vgpr67
                                        ; implicit-def: $vgpr46_vgpr47
                                        ; implicit-def: $vgpr44_vgpr45
                                        ; implicit-def: $vgpr42_vgpr43
                                        ; implicit-def: $vgpr40_vgpr41
                                        ; implicit-def: $vgpr38_vgpr39
                                        ; implicit-def: $vgpr36_vgpr37
                                        ; implicit-def: $vgpr34_vgpr35
                                        ; implicit-def: $vgpr32_vgpr33
                                        ; implicit-def: $vgpr30_vgpr31
                                        ; implicit-def: $vgpr28_vgpr29
                                        ; implicit-def: $vgpr26_vgpr27
                                        ; implicit-def: $vgpr24_vgpr25
                                        ; implicit-def: $vgpr22_vgpr23
                                        ; implicit-def: $vgpr20_vgpr21
                                        ; implicit-def: $vgpr18_vgpr19
	s_cbranch_execz .LBB870_117
; %bb.106:
	s_and_b64 s[2:3], s[34:35], exec
	s_cselect_b32 s3, 0, s61
	s_cselect_b32 s2, 0, s60
	s_cmp_eq_u64 s[2:3], 0
	v_mov_b32_e32 v10, v52
	s_cbranch_scc1 .LBB870_108
; %bb.107:
	v_mov_b32_e32 v6, 0
	global_load_dword v10, v6, s[2:3]
.LBB870_108:
	v_cmp_eq_u32_e64 s[2:3], 0, v66
	v_cndmask_b32_e64 v6, 0, v52, s[2:3]
	v_add_u32_e32 v6, v6, v75
	v_cmp_eq_u32_e64 s[4:5], 0, v65
	v_cndmask_b32_e64 v6, 0, v6, s[4:5]
	v_add_u32_e32 v6, v6, v53
	;; [unrolled: 3-line block ×11, first 2 shown]
	v_cmp_eq_u32_e64 s[24:25], 0, v55
	v_cndmask_b32_e64 v6, 0, v6, s[24:25]
	v_add3_u32 v7, v79, v62, v61
	v_add_u32_e32 v6, v6, v16
	v_cmp_eq_u32_e32 vcc, 0, v54
	v_add3_u32 v7, v7, v60, v59
	v_cndmask_b32_e32 v6, 0, v6, vcc
	v_add3_u32 v7, v7, v58, v57
	v_add_u32_e32 v6, v6, v69
	v_cmp_eq_u32_e64 s[26:27], 0, v15
	v_add3_u32 v7, v7, v56, v55
	v_cndmask_b32_e64 v6, 0, v6, s[26:27]
	v_add3_u32 v7, v7, v54, v15
	v_add_u32_e32 v6, v6, v17
	v_mbcnt_hi_u32_b32 v11, -1, v78
	v_and_b32_e32 v8, 15, v11
	v_mov_b32_dpp v17, v6 row_shr:1 row_mask:0xf bank_mask:0xf
	v_cmp_eq_u32_e64 s[26:27], 0, v7
	v_mov_b32_dpp v9, v7 row_shr:1 row_mask:0xf bank_mask:0xf
	v_cndmask_b32_e64 v17, 0, v17, s[26:27]
	v_cmp_eq_u32_e64 s[26:27], 0, v8
	v_cndmask_b32_e64 v9, v9, 0, s[26:27]
	v_add_u32_e32 v7, v9, v7
	v_cndmask_b32_e64 v9, v17, 0, s[26:27]
	v_add_u32_e32 v6, v9, v6
	v_cmp_eq_u32_e64 s[26:27], 0, v7
	v_mov_b32_dpp v9, v7 row_shr:2 row_mask:0xf bank_mask:0xf
	v_cmp_lt_u32_e64 s[28:29], 1, v8
	v_mov_b32_dpp v17, v6 row_shr:2 row_mask:0xf bank_mask:0xf
	v_cndmask_b32_e64 v9, 0, v9, s[28:29]
	s_and_b64 s[26:27], s[28:29], s[26:27]
	v_cndmask_b32_e64 v17, 0, v17, s[26:27]
	v_add_u32_e32 v7, v7, v9
	v_add_u32_e32 v6, v17, v6
	v_cmp_eq_u32_e64 s[26:27], 0, v7
	v_mov_b32_dpp v9, v7 row_shr:4 row_mask:0xf bank_mask:0xf
	v_cmp_lt_u32_e64 s[28:29], 3, v8
	v_mov_b32_dpp v17, v6 row_shr:4 row_mask:0xf bank_mask:0xf
	v_cndmask_b32_e64 v9, 0, v9, s[28:29]
	s_and_b64 s[26:27], s[28:29], s[26:27]
	v_cndmask_b32_e64 v17, 0, v17, s[26:27]
	v_add_u32_e32 v7, v9, v7
	v_add_u32_e32 v6, v6, v17
	v_cmp_eq_u32_e64 s[26:27], 0, v7
	v_cmp_lt_u32_e64 s[28:29], 7, v8
	v_mov_b32_dpp v9, v7 row_shr:8 row_mask:0xf bank_mask:0xf
	v_mov_b32_dpp v17, v6 row_shr:8 row_mask:0xf bank_mask:0xf
	s_and_b64 s[26:27], s[28:29], s[26:27]
	v_cndmask_b32_e64 v8, 0, v9, s[28:29]
	v_cndmask_b32_e64 v9, 0, v17, s[26:27]
	v_add_u32_e32 v6, v9, v6
	v_add_u32_e32 v7, v8, v7
	v_bfe_i32 v17, v11, 4, 1
	v_mov_b32_dpp v9, v6 row_bcast:15 row_mask:0xf bank_mask:0xf
	v_mov_b32_dpp v8, v7 row_bcast:15 row_mask:0xf bank_mask:0xf
	v_cmp_eq_u32_e64 s[26:27], 0, v7
	v_cndmask_b32_e64 v9, 0, v9, s[26:27]
	v_and_b32_e32 v8, v17, v8
	v_add_u32_e32 v7, v8, v7
	v_and_b32_e32 v8, v17, v9
	v_add_u32_e32 v8, v8, v6
	v_mov_b32_dpp v6, v7 row_bcast:31 row_mask:0xf bank_mask:0xf
	v_cmp_eq_u32_e64 s[26:27], 0, v7
	v_cmp_lt_u32_e64 s[28:29], 31, v11
	v_mov_b32_dpp v9, v8 row_bcast:31 row_mask:0xf bank_mask:0xf
	v_cndmask_b32_e64 v6, 0, v6, s[28:29]
	s_and_b64 s[26:27], s[28:29], s[26:27]
	v_add_u32_e32 v6, v6, v7
	v_cndmask_b32_e64 v7, 0, v9, s[26:27]
	v_add_u32_e32 v7, v7, v8
	v_cmp_eq_u32_e64 s[26:27], v77, v0
	v_lshlrev_b32_e32 v9, 3, v76
	s_and_saveexec_b64 s[28:29], s[26:27]
	s_cbranch_execz .LBB870_110
; %bb.109:
	ds_write_b64 v9, v[6:7] offset:1040
.LBB870_110:
	s_or_b64 exec, exec, s[28:29]
	v_cmp_gt_u32_e64 s[26:27], 4, v0
	s_waitcnt lgkmcnt(0)
	s_barrier
	s_and_saveexec_b64 s[30:31], s[26:27]
	s_cbranch_execz .LBB870_112
; %bb.111:
	v_lshlrev_b32_e32 v8, 3, v0
	ds_read_b64 v[18:19], v8 offset:1040
	v_and_b32_e32 v17, 3, v11
	v_cmp_lt_u32_e64 s[28:29], 1, v17
	s_waitcnt lgkmcnt(0)
	v_mov_b32_dpp v21, v19 row_shr:1 row_mask:0xf bank_mask:0xf
	v_cmp_eq_u32_e64 s[26:27], 0, v18
	v_mov_b32_dpp v20, v18 row_shr:1 row_mask:0xf bank_mask:0xf
	v_cndmask_b32_e64 v21, 0, v21, s[26:27]
	v_cmp_eq_u32_e64 s[26:27], 0, v17
	v_cndmask_b32_e64 v20, v20, 0, s[26:27]
	v_add_u32_e32 v18, v20, v18
	v_cndmask_b32_e64 v20, v21, 0, s[26:27]
	v_add_u32_e32 v19, v20, v19
	v_cmp_eq_u32_e64 s[26:27], 0, v18
	v_mov_b32_dpp v20, v18 row_shr:2 row_mask:0xf bank_mask:0xf
	v_mov_b32_dpp v21, v19 row_shr:2 row_mask:0xf bank_mask:0xf
	v_cndmask_b32_e64 v17, 0, v20, s[28:29]
	s_and_b64 s[26:27], s[28:29], s[26:27]
	v_add_u32_e32 v18, v17, v18
	v_cndmask_b32_e64 v17, 0, v21, s[26:27]
	v_add_u32_e32 v19, v17, v19
	ds_write_b64 v8, v[18:19] offset:1040
.LBB870_112:
	s_or_b64 exec, exec, s[30:31]
	v_cmp_lt_u32_e64 s[26:27], 63, v0
	v_mov_b32_e32 v17, 0
	v_mov_b32_e32 v8, 0
	s_waitcnt vmcnt(0)
	v_mov_b32_e32 v18, v10
	s_waitcnt lgkmcnt(0)
	s_barrier
	s_and_saveexec_b64 s[28:29], s[26:27]
	s_cbranch_execz .LBB870_114
; %bb.113:
	ds_read_b64 v[8:9], v9 offset:1032
	s_waitcnt lgkmcnt(0)
	v_cmp_eq_u32_e64 s[26:27], 0, v8
	v_cndmask_b32_e64 v18, 0, v10, s[26:27]
	v_add_u32_e32 v18, v18, v9
.LBB870_114:
	s_or_b64 exec, exec, s[28:29]
	v_cmp_eq_u32_e64 s[26:27], 0, v6
	v_add_u32_e32 v9, v8, v6
	v_cndmask_b32_e64 v6, 0, v18, s[26:27]
	v_add_u32_e32 v6, v6, v7
	v_add_u32_e32 v7, -1, v11
	v_and_b32_e32 v19, 64, v11
	v_cmp_lt_i32_e64 s[26:27], v7, v19
	v_cndmask_b32_e64 v7, v7, v11, s[26:27]
	v_lshlrev_b32_e32 v7, 2, v7
	ds_bpermute_b32 v6, v7, v6
	ds_bpermute_b32 v9, v7, v9
	v_cmp_eq_u32_e64 s[26:27], 0, v11
	s_waitcnt lgkmcnt(1)
	v_cndmask_b32_e64 v6, v6, v18, s[26:27]
	s_waitcnt lgkmcnt(0)
	v_cndmask_b32_e64 v7, v9, v8, s[26:27]
	v_cndmask_b32_e64 v47, v6, v10, s[0:1]
	v_cmp_eq_u32_e64 s[26:27], 0, v68
	v_cndmask_b32_e64 v6, 0, v47, s[26:27]
	v_add_u32_e32 v45, v6, v52
	v_cndmask_b32_e64 v6, 0, v45, s[2:3]
	v_add_u32_e32 v43, v6, v75
	;; [unrolled: 2-line block ×8, first 2 shown]
	v_cndmask_b32_e64 v46, v7, 0, s[0:1]
	v_cndmask_b32_e64 v6, 0, v31, s[16:17]
	v_add_u32_e32 v44, v46, v68
	v_add_u32_e32 v29, v6, v48
	v_add_u32_e32 v42, v44, v66
	v_cndmask_b32_e64 v6, 0, v29, s[18:19]
	v_add_u32_e32 v40, v42, v65
	v_add_u32_e32 v27, v6, v71
	v_add_u32_e32 v38, v40, v64
	;; [unrolled: 4-line block ×3, first 2 shown]
	v_cndmask_b32_e64 v6, 0, v25, s[22:23]
	v_add_u32_e32 v32, v34, v61
	v_add_u32_e32 v23, v6, v70
	ds_read_b64 v[6:7], v17 offset:1064
	v_add_u32_e32 v30, v32, v60
	v_add_u32_e32 v28, v30, v59
	;; [unrolled: 1-line block ×3, first 2 shown]
	v_cndmask_b32_e64 v8, 0, v23, s[24:25]
	v_add_u32_e32 v24, v26, v57
	v_add_u32_e32 v21, v8, v16
	;; [unrolled: 1-line block ×3, first 2 shown]
	v_cndmask_b32_e32 v8, 0, v21, vcc
	s_waitcnt lgkmcnt(0)
	v_cmp_eq_u32_e32 vcc, 0, v6
	v_add_u32_e32 v20, v22, v55
	v_add_u32_e32 v19, v8, v69
	v_cndmask_b32_e32 v8, 0, v10, vcc
	v_add_u32_e32 v18, v20, v54
	v_add_u32_e32 v67, v8, v7
	s_and_saveexec_b64 s[2:3], s[0:1]
	s_cbranch_execz .LBB870_116
; %bb.115:
	s_add_u32 s4, s44, 0x400
	v_and_b32_e32 v7, 0xff000000, v67
	v_and_b32_e32 v8, 0xff0000, v67
	s_addc_u32 s5, s45, 0
	v_or_b32_e32 v7, v8, v7
	v_and_b32_e32 v8, 0xff00, v67
	v_and_b32_e32 v10, 0xff, v67
	v_mov_b32_e32 v9, 0
	v_or3_b32 v7, v7, v8, v10
	v_mov_b32_e32 v8, 2
	v_pk_mov_b32 v[10:11], s[4:5], s[4:5] op_sel:[0,1]
	;;#ASMSTART
	global_store_dwordx4 v[10:11], v[6:9] off	
s_waitcnt vmcnt(0)
	;;#ASMEND
.LBB870_116:
	s_or_b64 exec, exec, s[2:3]
	v_mov_b32_e32 v8, 0
.LBB870_117:
	s_and_b64 s[2:3], s[34:35], exec
	s_cselect_b32 s3, 0, s59
	s_cselect_b32 s2, 0, s58
	s_cmp_eq_u64 s[2:3], 0
	v_pk_mov_b32 v[16:17], 0, 0
	s_barrier
	s_cbranch_scc1 .LBB870_119
; %bb.118:
	v_mov_b32_e32 v7, 0
	global_load_dwordx2 v[16:17], v7, s[2:3]
.LBB870_119:
	s_waitcnt vmcnt(0)
	v_lshlrev_b64 v[10:11], 1, v[16:17]
	v_mov_b32_e32 v7, s43
	v_add_co_u32_e32 v48, vcc, s42, v10
	v_mov_b32_e32 v9, 0
	v_addc_co_u32_e32 v49, vcc, v7, v11, vcc
	v_lshlrev_b64 v[10:11], 1, v[8:9]
	v_add_co_u32_e32 v7, vcc, v48, v10
	v_addc_co_u32_e32 v48, vcc, v49, v11, vcc
	v_cmp_eq_u32_e32 vcc, 0, v68
	v_cndmask_b32_e64 v10, 1, 2, vcc
	v_cmp_eq_u32_e32 vcc, 0, v66
	v_cndmask_b32_e64 v11, 1, 2, vcc
	v_cmp_eq_u32_e32 vcc, 0, v65
	v_and_b32_e32 v10, v11, v10
	v_cndmask_b32_e64 v11, 1, 2, vcc
	v_cmp_eq_u32_e32 vcc, 0, v64
	v_and_b32_e32 v10, v10, v11
	;; [unrolled: 3-line block ×13, first 2 shown]
	v_cndmask_b32_e64 v11, 1, 2, vcc
	s_movk_i32 s34, 0x100
	v_and_b32_e32 v10, v10, v11
	v_cmp_gt_u32_e32 vcc, s34, v6
	v_cmp_ne_u32_e64 s[30:31], 0, v68
	v_cmp_ne_u32_e64 s[28:29], 0, v66
	;; [unrolled: 1-line block ×15, first 2 shown]
	s_mov_b64 s[40:41], -1
	v_cmp_gt_i16_e64 s[34:35], 2, v10
	s_cbranch_vccz .LBB870_168
; %bb.120:
	s_and_saveexec_b64 s[40:41], s[34:35]
	s_cbranch_execz .LBB870_167
; %bb.121:
	v_cmp_ne_u16_e32 vcc, 1, v10
	s_mov_b64 s[42:43], 0
	s_and_saveexec_b64 s[34:35], vcc
	s_xor_b64 s[34:35], exec, s[34:35]
	s_cbranch_execz .LBB870_145
; %bb.122:
	s_and_saveexec_b64 s[42:43], s[30:31]
	s_cbranch_execz .LBB870_150
; %bb.123:
	v_sub_u32_e32 v50, v46, v8
	v_mov_b32_e32 v51, 0
	v_lshlrev_b64 v[50:51], 1, v[50:51]
	v_add_co_u32_e32 v50, vcc, v7, v50
	v_addc_co_u32_e32 v51, vcc, v48, v51, vcc
	global_store_short v[50:51], v1, off
	s_or_b64 exec, exec, s[42:43]
	s_and_saveexec_b64 s[42:43], s[28:29]
	s_cbranch_execnz .LBB870_151
.LBB870_124:
	s_or_b64 exec, exec, s[42:43]
	s_and_saveexec_b64 s[42:43], s[26:27]
	s_cbranch_execz .LBB870_152
.LBB870_125:
	v_sub_u32_e32 v50, v42, v8
	v_mov_b32_e32 v51, 0
	v_lshlrev_b64 v[50:51], 1, v[50:51]
	v_add_co_u32_e32 v50, vcc, v7, v50
	v_addc_co_u32_e32 v51, vcc, v48, v51, vcc
	global_store_short_d16_hi v[50:51], v2, off
	s_or_b64 exec, exec, s[42:43]
	s_and_saveexec_b64 s[42:43], s[24:25]
	s_cbranch_execnz .LBB870_153
.LBB870_126:
	s_or_b64 exec, exec, s[42:43]
	s_and_saveexec_b64 s[42:43], s[22:23]
	s_cbranch_execz .LBB870_154
.LBB870_127:
	v_sub_u32_e32 v50, v38, v8
	v_mov_b32_e32 v51, 0
	v_lshlrev_b64 v[50:51], 1, v[50:51]
	v_add_co_u32_e32 v50, vcc, v7, v50
	v_addc_co_u32_e32 v51, vcc, v48, v51, vcc
	global_store_short_d16_hi v[50:51], v3, off
	s_or_b64 exec, exec, s[42:43]
	s_and_saveexec_b64 s[42:43], s[20:21]
	s_cbranch_execnz .LBB870_155
.LBB870_128:
	s_or_b64 exec, exec, s[42:43]
	s_and_saveexec_b64 s[42:43], s[18:19]
	s_cbranch_execz .LBB870_156
.LBB870_129:
	v_sub_u32_e32 v50, v34, v8
	v_mov_b32_e32 v51, 0
	v_lshlrev_b64 v[50:51], 1, v[50:51]
	v_add_co_u32_e32 v50, vcc, v7, v50
	v_addc_co_u32_e32 v51, vcc, v48, v51, vcc
	global_store_short_d16_hi v[50:51], v4, off
	s_or_b64 exec, exec, s[42:43]
	s_and_saveexec_b64 s[42:43], s[16:17]
	s_cbranch_execnz .LBB870_157
.LBB870_130:
	s_or_b64 exec, exec, s[42:43]
	s_and_saveexec_b64 s[42:43], s[14:15]
	s_cbranch_execz .LBB870_158
.LBB870_131:
	v_sub_u32_e32 v50, v30, v8
	v_mov_b32_e32 v51, 0
	v_lshlrev_b64 v[50:51], 1, v[50:51]
	v_add_co_u32_e32 v50, vcc, v7, v50
	v_addc_co_u32_e32 v51, vcc, v48, v51, vcc
	global_store_short_d16_hi v[50:51], v5, off
	s_or_b64 exec, exec, s[42:43]
	s_and_saveexec_b64 s[42:43], s[12:13]
	s_cbranch_execnz .LBB870_159
.LBB870_132:
	s_or_b64 exec, exec, s[42:43]
	s_and_saveexec_b64 s[42:43], s[10:11]
	s_cbranch_execz .LBB870_160
.LBB870_133:
	v_sub_u32_e32 v50, v26, v8
	v_mov_b32_e32 v51, 0
	v_lshlrev_b64 v[50:51], 1, v[50:51]
	v_add_co_u32_e32 v50, vcc, v7, v50
	v_addc_co_u32_e32 v51, vcc, v48, v51, vcc
	global_store_short_d16_hi v[50:51], v12, off
	s_or_b64 exec, exec, s[42:43]
	s_and_saveexec_b64 s[42:43], s[8:9]
	s_cbranch_execnz .LBB870_161
.LBB870_134:
	s_or_b64 exec, exec, s[42:43]
	s_and_saveexec_b64 s[42:43], s[6:7]
	s_cbranch_execz .LBB870_162
.LBB870_135:
	v_sub_u32_e32 v50, v22, v8
	v_mov_b32_e32 v51, 0
	v_lshlrev_b64 v[50:51], 1, v[50:51]
	v_add_co_u32_e32 v50, vcc, v7, v50
	v_addc_co_u32_e32 v51, vcc, v48, v51, vcc
	global_store_short_d16_hi v[50:51], v13, off
	s_or_b64 exec, exec, s[42:43]
	s_and_saveexec_b64 s[42:43], s[4:5]
	s_cbranch_execnz .LBB870_163
	s_branch .LBB870_164
.LBB870_136:
                                        ; implicit-def: $sgpr4_sgpr5
                                        ; implicit-def: $vgpr15
                                        ; implicit-def: $vgpr54
                                        ; implicit-def: $vgpr55
                                        ; implicit-def: $vgpr56
                                        ; implicit-def: $vgpr57
                                        ; implicit-def: $vgpr58
                                        ; implicit-def: $vgpr59
                                        ; implicit-def: $vgpr60
                                        ; implicit-def: $vgpr61
                                        ; implicit-def: $vgpr62
                                        ; implicit-def: $vgpr63
                                        ; implicit-def: $vgpr64
                                        ; implicit-def: $vgpr65
                                        ; implicit-def: $vgpr66
	s_cbranch_execz .LBB870_74
; %bb.137:
	v_cmp_ne_u16_sdwa s[4:5], v13, v14 src0_sel:WORD_1 src1_sel:DWORD
	v_cndmask_b32_e64 v54, 0, 1, s[4:5]
	v_cmp_ne_u16_sdwa s[4:5], v13, v13 src0_sel:DWORD src1_sel:WORD_1
	v_cndmask_b32_e64 v55, 0, 1, s[4:5]
	v_cmp_ne_u16_sdwa s[4:5], v12, v13 src0_sel:WORD_1 src1_sel:DWORD
	v_cndmask_b32_e64 v56, 0, 1, s[4:5]
	v_cmp_ne_u16_sdwa s[4:5], v12, v12 src0_sel:DWORD src1_sel:WORD_1
	v_cndmask_b32_e64 v57, 0, 1, s[4:5]
	;; [unrolled: 4-line block ×4, first 2 shown]
	v_cmp_ne_u16_sdwa s[4:5], v3, v4 src0_sel:WORD_1 src1_sel:DWORD
	v_lshrrev_b32_e32 v15, 16, v14
	v_cndmask_b32_e64 v62, 0, 1, s[4:5]
	v_cmp_ne_u16_sdwa s[4:5], v3, v3 src0_sel:DWORD src1_sel:WORD_1
	v_lshlrev_b32_e32 v11, 1, v0
	v_cmp_ne_u16_e32 vcc, v14, v15
	v_cndmask_b32_e64 v63, 0, 1, s[4:5]
	v_cmp_ne_u16_sdwa s[4:5], v2, v3 src0_sel:WORD_1 src1_sel:DWORD
	ds_write_b16 v11, v15
	v_cndmask_b32_e64 v15, 0, 1, vcc
	v_cndmask_b32_e64 v64, 0, 1, s[4:5]
	v_cmp_ne_u16_sdwa s[4:5], v2, v2 src0_sel:DWORD src1_sel:WORD_1
	v_cmp_ne_u16_e32 vcc, v1, v2
	s_mov_b32 s12, 1
	v_cndmask_b32_e64 v65, 0, 1, s[4:5]
	v_cndmask_b32_e64 v66, 0, 1, vcc
	s_waitcnt lgkmcnt(0)
	s_barrier
	s_waitcnt lgkmcnt(0)
                                        ; implicit-def: $sgpr4_sgpr5
	s_and_saveexec_b64 s[10:11], s[2:3]
	s_xor_b64 s[10:11], exec, s[10:11]
	s_cbranch_execz .LBB870_139
; %bb.138:
	v_add_u32_e32 v11, -2, v11
	ds_read_u16 v11, v11
	s_or_b64 s[6:7], s[6:7], exec
	s_waitcnt lgkmcnt(0)
	v_cmp_ne_u16_e32 vcc, v11, v1
	s_and_b64 s[4:5], vcc, exec
.LBB870_139:
	s_or_b64 exec, exec, s[10:11]
	s_branch .LBB870_76
.LBB870_140:
	s_mul_hi_u32 s5, s40, 0xfffff100
	s_mul_i32 s4, s41, 0xfffff100
	s_sub_i32 s5, s5, s40
	s_add_i32 s5, s5, s4
	s_mul_i32 s4, s40, 0xfffff100
	s_add_u32 s10, s4, s56
	s_addc_u32 s11, s5, s57
	s_and_b64 vcc, exec, s[8:9]
	v_lshrrev_b32_e32 v42, 16, v14
	v_mad_u32_u24 v26, v0, 15, 14
	v_cmp_ne_u16_sdwa s[8:9], v13, v14 src0_sel:WORD_1 src1_sel:DWORD
	v_mad_u32_u24 v38, v0, 15, 12
	v_cmp_ne_u16_sdwa s[14:15], v13, v13 src0_sel:DWORD src1_sel:WORD_1
	v_cmp_ne_u16_sdwa s[18:19], v12, v13 src0_sel:WORD_1 src1_sel:DWORD
	v_mad_u32_u24 v36, v0, 15, 10
	v_cmp_ne_u16_sdwa s[24:25], v12, v12 src0_sel:DWORD src1_sel:WORD_1
	;; [unrolled: 3-line block ×6, first 2 shown]
	v_cmp_ne_u16_e64 s[4:5], v1, v2
	s_cbranch_vccz .LBB870_147
; %bb.141:
	v_add_co_u32_e32 v40, vcc, -2, v7
	v_addc_co_u32_e32 v41, vcc, -1, v9, vcc
	flat_load_ushort v43, v[40:41]
	v_mov_b32_e32 v27, 0
	v_cmp_gt_u64_e32 vcc, s[10:11], v[26:27]
	v_cmp_ne_u16_e64 s[6:7], v14, v42
	v_mov_b32_e32 v25, v27
	s_and_b64 s[6:7], vcc, s[6:7]
	v_cmp_gt_u64_e32 vcc, s[10:11], v[24:25]
	v_mov_b32_e32 v39, v27
	s_and_b64 s[8:9], vcc, s[8:9]
	v_cmp_gt_u64_e32 vcc, s[10:11], v[38:39]
	;; [unrolled: 3-line block ×13, first 2 shown]
	v_lshlrev_b32_e32 v15, 1, v0
	v_mul_u32_u24_e32 v40, 15, v0
	s_and_b64 s[4:5], vcc, s[4:5]
	ds_write_b16 v15, v42
	s_waitcnt lgkmcnt(0)
	s_barrier
	s_and_saveexec_b64 s[40:41], s[2:3]
	s_cbranch_execz .LBB870_143
; %bb.142:
	v_add_u32_e32 v7, -2, v15
	s_waitcnt vmcnt(0)
	ds_read_u16 v43, v7
.LBB870_143:
	s_or_b64 exec, exec, s[40:41]
	v_mov_b32_e32 v41, v27
	v_cndmask_b32_e64 v66, 0, 1, s[4:5]
	v_cmp_gt_u64_e32 vcc, s[10:11], v[40:41]
	s_waitcnt vmcnt(0) lgkmcnt(0)
	v_cmp_ne_u16_e64 s[4:5], v43, v1
	v_cndmask_b32_e64 v15, 0, 1, s[6:7]
	v_cndmask_b32_e64 v54, 0, 1, s[8:9]
	;; [unrolled: 1-line block ×13, first 2 shown]
	s_and_b64 s[4:5], vcc, s[4:5]
	s_mov_b64 s[6:7], -1
.LBB870_144:
                                        ; implicit-def: $sgpr12
	v_mov_b32_e32 v68, s12
	s_and_saveexec_b64 s[2:3], s[6:7]
	s_cbranch_execnz .LBB870_77
	s_branch .LBB870_78
.LBB870_145:
	s_andn2_saveexec_b64 s[34:35], s[34:35]
	s_cbranch_execz .LBB870_165
.LBB870_146:
	v_sub_u32_e32 v50, v46, v8
	v_mov_b32_e32 v51, 0
	v_lshlrev_b64 v[52:53], 1, v[50:51]
	v_add_co_u32_e32 v52, vcc, v7, v52
	v_addc_co_u32_e32 v53, vcc, v48, v53, vcc
	v_sub_u32_e32 v50, v44, v8
	global_store_short v[52:53], v1, off
	v_lshlrev_b64 v[52:53], 1, v[50:51]
	v_add_co_u32_e32 v52, vcc, v7, v52
	v_addc_co_u32_e32 v53, vcc, v48, v53, vcc
	v_sub_u32_e32 v50, v42, v8
	global_store_short v[52:53], v2, off
	v_lshlrev_b64 v[52:53], 1, v[50:51]
	v_add_co_u32_e32 v52, vcc, v7, v52
	v_addc_co_u32_e32 v53, vcc, v48, v53, vcc
	v_sub_u32_e32 v50, v40, v8
	global_store_short_d16_hi v[52:53], v2, off
	v_lshlrev_b64 v[52:53], 1, v[50:51]
	v_add_co_u32_e32 v52, vcc, v7, v52
	v_addc_co_u32_e32 v53, vcc, v48, v53, vcc
	v_sub_u32_e32 v50, v38, v8
	global_store_short v[52:53], v3, off
	v_lshlrev_b64 v[52:53], 1, v[50:51]
	v_add_co_u32_e32 v52, vcc, v7, v52
	v_addc_co_u32_e32 v53, vcc, v48, v53, vcc
	v_sub_u32_e32 v50, v36, v8
	global_store_short_d16_hi v[52:53], v3, off
	;; [unrolled: 10-line block ×5, first 2 shown]
	v_lshlrev_b64 v[52:53], 1, v[50:51]
	v_add_co_u32_e32 v52, vcc, v7, v52
	v_addc_co_u32_e32 v53, vcc, v48, v53, vcc
	v_sub_u32_e32 v50, v22, v8
	global_store_short v[52:53], v13, off
	v_lshlrev_b64 v[52:53], 1, v[50:51]
	v_add_co_u32_e32 v52, vcc, v7, v52
	v_sub_u32_e32 v50, v20, v8
	v_addc_co_u32_e32 v53, vcc, v48, v53, vcc
	v_lshlrev_b64 v[50:51], 1, v[50:51]
	v_add_co_u32_e32 v50, vcc, v7, v50
	v_addc_co_u32_e32 v51, vcc, v48, v51, vcc
	s_or_b64 s[42:43], s[42:43], exec
	global_store_short_d16_hi v[52:53], v13, off
	global_store_short v[50:51], v14, off
	s_or_b64 exec, exec, s[34:35]
	s_and_b64 exec, exec, s[42:43]
	s_cbranch_execnz .LBB870_166
	s_branch .LBB870_167
.LBB870_147:
                                        ; implicit-def: $sgpr4_sgpr5
                                        ; implicit-def: $vgpr15
                                        ; implicit-def: $vgpr54
                                        ; implicit-def: $vgpr55
                                        ; implicit-def: $vgpr56
                                        ; implicit-def: $vgpr57
                                        ; implicit-def: $vgpr58
                                        ; implicit-def: $vgpr59
                                        ; implicit-def: $vgpr60
                                        ; implicit-def: $vgpr61
                                        ; implicit-def: $vgpr62
                                        ; implicit-def: $vgpr63
                                        ; implicit-def: $vgpr64
                                        ; implicit-def: $vgpr65
                                        ; implicit-def: $vgpr66
	s_cbranch_execz .LBB870_144
; %bb.148:
	v_mov_b32_e32 v27, 0
	v_cmp_gt_u64_e32 vcc, s[10:11], v[26:27]
	v_cmp_ne_u16_e64 s[4:5], v14, v42
	s_and_b64 s[4:5], vcc, s[4:5]
	v_mov_b32_e32 v25, v27
	v_cndmask_b32_e64 v15, 0, 1, s[4:5]
	v_cmp_gt_u64_e32 vcc, s[10:11], v[24:25]
	v_cmp_ne_u16_sdwa s[4:5], v13, v14 src0_sel:WORD_1 src1_sel:DWORD
	s_and_b64 s[4:5], vcc, s[4:5]
	v_mov_b32_e32 v39, v27
	v_cndmask_b32_e64 v54, 0, 1, s[4:5]
	v_cmp_gt_u64_e32 vcc, s[10:11], v[38:39]
	v_cmp_ne_u16_sdwa s[4:5], v13, v13 src0_sel:DWORD src1_sel:WORD_1
	s_and_b64 s[4:5], vcc, s[4:5]
	v_mov_b32_e32 v23, v27
	v_cndmask_b32_e64 v55, 0, 1, s[4:5]
	v_cmp_gt_u64_e32 vcc, s[10:11], v[22:23]
	v_cmp_ne_u16_sdwa s[4:5], v12, v13 src0_sel:WORD_1 src1_sel:DWORD
	s_and_b64 s[4:5], vcc, s[4:5]
	v_mov_b32_e32 v37, v27
	v_cndmask_b32_e64 v56, 0, 1, s[4:5]
	v_cmp_gt_u64_e32 vcc, s[10:11], v[36:37]
	v_cmp_ne_u16_sdwa s[4:5], v12, v12 src0_sel:DWORD src1_sel:WORD_1
	;; [unrolled: 10-line block ×6, first 2 shown]
	s_and_b64 s[4:5], vcc, s[4:5]
	v_mov_b32_e32 v7, v27
	v_cndmask_b32_e64 v65, 0, 1, s[4:5]
	v_cmp_gt_u64_e32 vcc, s[10:11], v[6:7]
	v_cmp_ne_u16_e64 s[4:5], v1, v2
	s_and_b64 s[4:5], vcc, s[4:5]
	s_mov_b32 s12, 1
	v_lshlrev_b32_e32 v40, 1, v0
	v_cndmask_b32_e64 v66, 0, 1, s[4:5]
	ds_write_b16 v40, v42
	s_waitcnt lgkmcnt(0)
	s_barrier
	s_waitcnt lgkmcnt(0)
                                        ; implicit-def: $sgpr4_sgpr5
	s_and_saveexec_b64 s[8:9], s[2:3]
	s_cbranch_execz .LBB870_187
; %bb.149:
	v_add_u32_e32 v6, -2, v40
	ds_read_u16 v6, v6
	v_mul_u32_u24_e32 v26, 15, v0
	v_cmp_gt_u64_e32 vcc, s[10:11], v[26:27]
	s_or_b64 s[6:7], s[6:7], exec
	s_waitcnt lgkmcnt(0)
	v_cmp_ne_u16_e64 s[2:3], v6, v1
	s_and_b64 s[2:3], vcc, s[2:3]
	s_and_b64 s[4:5], s[2:3], exec
	s_or_b64 exec, exec, s[8:9]
	v_mov_b32_e32 v68, s12
	s_and_saveexec_b64 s[2:3], s[6:7]
	s_cbranch_execz .LBB870_78
	s_branch .LBB870_77
.LBB870_150:
	s_or_b64 exec, exec, s[42:43]
	s_and_saveexec_b64 s[42:43], s[28:29]
	s_cbranch_execz .LBB870_124
.LBB870_151:
	v_sub_u32_e32 v50, v44, v8
	v_mov_b32_e32 v51, 0
	v_lshlrev_b64 v[50:51], 1, v[50:51]
	v_add_co_u32_e32 v50, vcc, v7, v50
	v_addc_co_u32_e32 v51, vcc, v48, v51, vcc
	global_store_short v[50:51], v2, off
	s_or_b64 exec, exec, s[42:43]
	s_and_saveexec_b64 s[42:43], s[26:27]
	s_cbranch_execnz .LBB870_125
.LBB870_152:
	s_or_b64 exec, exec, s[42:43]
	s_and_saveexec_b64 s[42:43], s[24:25]
	s_cbranch_execz .LBB870_126
.LBB870_153:
	v_sub_u32_e32 v50, v40, v8
	v_mov_b32_e32 v51, 0
	v_lshlrev_b64 v[50:51], 1, v[50:51]
	v_add_co_u32_e32 v50, vcc, v7, v50
	v_addc_co_u32_e32 v51, vcc, v48, v51, vcc
	global_store_short v[50:51], v3, off
	s_or_b64 exec, exec, s[42:43]
	s_and_saveexec_b64 s[42:43], s[22:23]
	s_cbranch_execnz .LBB870_127
.LBB870_154:
	s_or_b64 exec, exec, s[42:43]
	s_and_saveexec_b64 s[42:43], s[20:21]
	s_cbranch_execz .LBB870_128
.LBB870_155:
	v_sub_u32_e32 v50, v36, v8
	v_mov_b32_e32 v51, 0
	v_lshlrev_b64 v[50:51], 1, v[50:51]
	v_add_co_u32_e32 v50, vcc, v7, v50
	v_addc_co_u32_e32 v51, vcc, v48, v51, vcc
	global_store_short v[50:51], v4, off
	s_or_b64 exec, exec, s[42:43]
	s_and_saveexec_b64 s[42:43], s[18:19]
	s_cbranch_execnz .LBB870_129
.LBB870_156:
	s_or_b64 exec, exec, s[42:43]
	s_and_saveexec_b64 s[42:43], s[16:17]
	s_cbranch_execz .LBB870_130
.LBB870_157:
	v_sub_u32_e32 v50, v32, v8
	v_mov_b32_e32 v51, 0
	v_lshlrev_b64 v[50:51], 1, v[50:51]
	v_add_co_u32_e32 v50, vcc, v7, v50
	v_addc_co_u32_e32 v51, vcc, v48, v51, vcc
	global_store_short v[50:51], v5, off
	s_or_b64 exec, exec, s[42:43]
	s_and_saveexec_b64 s[42:43], s[14:15]
	s_cbranch_execnz .LBB870_131
.LBB870_158:
	s_or_b64 exec, exec, s[42:43]
	s_and_saveexec_b64 s[42:43], s[12:13]
	s_cbranch_execz .LBB870_132
.LBB870_159:
	v_sub_u32_e32 v50, v28, v8
	v_mov_b32_e32 v51, 0
	v_lshlrev_b64 v[50:51], 1, v[50:51]
	v_add_co_u32_e32 v50, vcc, v7, v50
	v_addc_co_u32_e32 v51, vcc, v48, v51, vcc
	global_store_short v[50:51], v12, off
	s_or_b64 exec, exec, s[42:43]
	s_and_saveexec_b64 s[42:43], s[10:11]
	s_cbranch_execnz .LBB870_133
.LBB870_160:
	s_or_b64 exec, exec, s[42:43]
	s_and_saveexec_b64 s[42:43], s[8:9]
	s_cbranch_execz .LBB870_134
.LBB870_161:
	v_sub_u32_e32 v50, v24, v8
	v_mov_b32_e32 v51, 0
	v_lshlrev_b64 v[50:51], 1, v[50:51]
	v_add_co_u32_e32 v50, vcc, v7, v50
	v_addc_co_u32_e32 v51, vcc, v48, v51, vcc
	global_store_short v[50:51], v13, off
	s_or_b64 exec, exec, s[42:43]
	s_and_saveexec_b64 s[42:43], s[6:7]
	s_cbranch_execnz .LBB870_135
.LBB870_162:
	s_or_b64 exec, exec, s[42:43]
	s_and_saveexec_b64 s[42:43], s[4:5]
	s_cbranch_execz .LBB870_164
.LBB870_163:
	v_sub_u32_e32 v50, v20, v8
	v_mov_b32_e32 v51, 0
	v_lshlrev_b64 v[50:51], 1, v[50:51]
	v_add_co_u32_e32 v50, vcc, v7, v50
	v_addc_co_u32_e32 v51, vcc, v48, v51, vcc
	global_store_short v[50:51], v14, off
.LBB870_164:
	s_or_b64 exec, exec, s[42:43]
	s_and_b64 s[42:43], s[2:3], exec
	s_andn2_saveexec_b64 s[34:35], s[34:35]
	s_cbranch_execnz .LBB870_146
.LBB870_165:
	s_or_b64 exec, exec, s[34:35]
	s_and_b64 exec, exec, s[42:43]
	s_cbranch_execz .LBB870_167
.LBB870_166:
	v_sub_u32_e32 v50, v18, v8
	v_mov_b32_e32 v51, 0
	v_lshlrev_b64 v[50:51], 1, v[50:51]
	v_add_co_u32_e32 v50, vcc, v7, v50
	v_addc_co_u32_e32 v51, vcc, v48, v51, vcc
	global_store_short_d16_hi v[50:51], v14, off
.LBB870_167:
	s_or_b64 exec, exec, s[40:41]
	s_mov_b64 s[40:41], 0
.LBB870_168:
	s_and_b64 vcc, exec, s[40:41]
	s_cbranch_vccz .LBB870_221
; %bb.169:
	v_cmp_gt_i16_e32 vcc, 2, v10
	s_and_saveexec_b64 s[34:35], vcc
	s_cbranch_execz .LBB870_205
; %bb.170:
	v_cmp_ne_u16_e32 vcc, 1, v10
	s_mov_b64 s[42:43], 0
	s_and_saveexec_b64 s[40:41], vcc
	s_xor_b64 s[40:41], exec, s[40:41]
	s_cbranch_execz .LBB870_185
; %bb.171:
	s_and_saveexec_b64 s[42:43], s[30:31]
	s_cbranch_execz .LBB870_188
; %bb.172:
	v_sub_u32_e32 v10, v46, v8
	v_lshlrev_b32_e32 v10, 1, v10
	ds_write_b16 v10, v1
	s_or_b64 exec, exec, s[42:43]
	s_and_saveexec_b64 s[30:31], s[28:29]
	s_cbranch_execnz .LBB870_189
.LBB870_173:
	s_or_b64 exec, exec, s[30:31]
	s_and_saveexec_b64 s[28:29], s[26:27]
	s_cbranch_execz .LBB870_190
.LBB870_174:
	v_sub_u32_e32 v1, v42, v8
	v_lshlrev_b32_e32 v1, 1, v1
	ds_write_b16_d16_hi v1, v2
	s_or_b64 exec, exec, s[28:29]
	s_and_saveexec_b64 s[26:27], s[24:25]
	s_cbranch_execnz .LBB870_191
.LBB870_175:
	s_or_b64 exec, exec, s[26:27]
	s_and_saveexec_b64 s[24:25], s[22:23]
	s_cbranch_execz .LBB870_192
.LBB870_176:
	v_sub_u32_e32 v1, v38, v8
	v_lshlrev_b32_e32 v1, 1, v1
	ds_write_b16_d16_hi v1, v3
	s_or_b64 exec, exec, s[24:25]
	s_and_saveexec_b64 s[22:23], s[20:21]
	s_cbranch_execnz .LBB870_193
.LBB870_177:
	s_or_b64 exec, exec, s[22:23]
	s_and_saveexec_b64 s[20:21], s[18:19]
	s_cbranch_execz .LBB870_194
.LBB870_178:
	v_sub_u32_e32 v1, v34, v8
	v_lshlrev_b32_e32 v1, 1, v1
	ds_write_b16_d16_hi v1, v4
	s_or_b64 exec, exec, s[20:21]
	s_and_saveexec_b64 s[18:19], s[16:17]
	s_cbranch_execnz .LBB870_195
.LBB870_179:
	s_or_b64 exec, exec, s[18:19]
	s_and_saveexec_b64 s[16:17], s[14:15]
	s_cbranch_execz .LBB870_196
.LBB870_180:
	v_sub_u32_e32 v1, v30, v8
	v_lshlrev_b32_e32 v1, 1, v1
	ds_write_b16_d16_hi v1, v5
	s_or_b64 exec, exec, s[16:17]
	s_and_saveexec_b64 s[14:15], s[12:13]
	s_cbranch_execnz .LBB870_197
.LBB870_181:
	s_or_b64 exec, exec, s[14:15]
	s_and_saveexec_b64 s[12:13], s[10:11]
	s_cbranch_execz .LBB870_198
.LBB870_182:
	v_sub_u32_e32 v1, v26, v8
	v_lshlrev_b32_e32 v1, 1, v1
	ds_write_b16_d16_hi v1, v12
	s_or_b64 exec, exec, s[12:13]
	s_and_saveexec_b64 s[10:11], s[8:9]
	s_cbranch_execnz .LBB870_199
.LBB870_183:
	s_or_b64 exec, exec, s[10:11]
	s_and_saveexec_b64 s[8:9], s[6:7]
	s_cbranch_execz .LBB870_200
.LBB870_184:
	v_sub_u32_e32 v1, v22, v8
	v_lshlrev_b32_e32 v1, 1, v1
	ds_write_b16_d16_hi v1, v13
	s_or_b64 exec, exec, s[8:9]
	s_and_saveexec_b64 s[6:7], s[4:5]
	s_cbranch_execnz .LBB870_201
	s_branch .LBB870_202
.LBB870_185:
	s_andn2_saveexec_b64 s[2:3], s[40:41]
	s_cbranch_execz .LBB870_203
.LBB870_186:
	v_sub_u32_e32 v10, v46, v8
	v_lshlrev_b32_e32 v10, 1, v10
	ds_write_b16 v10, v1
	v_sub_u32_e32 v1, v44, v8
	v_lshlrev_b32_e32 v1, 1, v1
	ds_write_b16 v1, v2
	v_sub_u32_e32 v1, v42, v8
	v_lshlrev_b32_e32 v1, 1, v1
	ds_write_b16_d16_hi v1, v2
	v_sub_u32_e32 v1, v40, v8
	v_lshlrev_b32_e32 v1, 1, v1
	ds_write_b16 v1, v3
	v_sub_u32_e32 v1, v38, v8
	v_lshlrev_b32_e32 v1, 1, v1
	ds_write_b16_d16_hi v1, v3
	;; [unrolled: 6-line block ×6, first 2 shown]
	v_sub_u32_e32 v1, v20, v8
	v_lshlrev_b32_e32 v1, 1, v1
	s_or_b64 s[42:43], s[42:43], exec
	ds_write_b16 v1, v14
	s_or_b64 exec, exec, s[2:3]
	s_and_b64 exec, exec, s[42:43]
	s_cbranch_execnz .LBB870_204
	s_branch .LBB870_205
.LBB870_187:
	s_or_b64 exec, exec, s[8:9]
	v_mov_b32_e32 v68, s12
	s_and_saveexec_b64 s[2:3], s[6:7]
	s_cbranch_execnz .LBB870_77
	s_branch .LBB870_78
.LBB870_188:
	s_or_b64 exec, exec, s[42:43]
	s_and_saveexec_b64 s[30:31], s[28:29]
	s_cbranch_execz .LBB870_173
.LBB870_189:
	v_sub_u32_e32 v1, v44, v8
	v_lshlrev_b32_e32 v1, 1, v1
	ds_write_b16 v1, v2
	s_or_b64 exec, exec, s[30:31]
	s_and_saveexec_b64 s[28:29], s[26:27]
	s_cbranch_execnz .LBB870_174
.LBB870_190:
	s_or_b64 exec, exec, s[28:29]
	s_and_saveexec_b64 s[26:27], s[24:25]
	s_cbranch_execz .LBB870_175
.LBB870_191:
	v_sub_u32_e32 v1, v40, v8
	v_lshlrev_b32_e32 v1, 1, v1
	ds_write_b16 v1, v3
	s_or_b64 exec, exec, s[26:27]
	s_and_saveexec_b64 s[24:25], s[22:23]
	s_cbranch_execnz .LBB870_176
.LBB870_192:
	s_or_b64 exec, exec, s[24:25]
	s_and_saveexec_b64 s[22:23], s[20:21]
	s_cbranch_execz .LBB870_177
.LBB870_193:
	v_sub_u32_e32 v1, v36, v8
	v_lshlrev_b32_e32 v1, 1, v1
	ds_write_b16 v1, v4
	s_or_b64 exec, exec, s[22:23]
	s_and_saveexec_b64 s[20:21], s[18:19]
	s_cbranch_execnz .LBB870_178
.LBB870_194:
	s_or_b64 exec, exec, s[20:21]
	s_and_saveexec_b64 s[18:19], s[16:17]
	s_cbranch_execz .LBB870_179
.LBB870_195:
	v_sub_u32_e32 v1, v32, v8
	v_lshlrev_b32_e32 v1, 1, v1
	ds_write_b16 v1, v5
	s_or_b64 exec, exec, s[18:19]
	s_and_saveexec_b64 s[16:17], s[14:15]
	s_cbranch_execnz .LBB870_180
.LBB870_196:
	s_or_b64 exec, exec, s[16:17]
	s_and_saveexec_b64 s[14:15], s[12:13]
	s_cbranch_execz .LBB870_181
.LBB870_197:
	v_sub_u32_e32 v1, v28, v8
	v_lshlrev_b32_e32 v1, 1, v1
	ds_write_b16 v1, v12
	s_or_b64 exec, exec, s[14:15]
	s_and_saveexec_b64 s[12:13], s[10:11]
	s_cbranch_execnz .LBB870_182
.LBB870_198:
	s_or_b64 exec, exec, s[12:13]
	s_and_saveexec_b64 s[10:11], s[8:9]
	s_cbranch_execz .LBB870_183
.LBB870_199:
	v_sub_u32_e32 v1, v24, v8
	v_lshlrev_b32_e32 v1, 1, v1
	ds_write_b16 v1, v13
	s_or_b64 exec, exec, s[10:11]
	s_and_saveexec_b64 s[8:9], s[6:7]
	s_cbranch_execnz .LBB870_184
.LBB870_200:
	s_or_b64 exec, exec, s[8:9]
	s_and_saveexec_b64 s[6:7], s[4:5]
	s_cbranch_execz .LBB870_202
.LBB870_201:
	v_sub_u32_e32 v1, v20, v8
	v_lshlrev_b32_e32 v1, 1, v1
	ds_write_b16 v1, v14
.LBB870_202:
	s_or_b64 exec, exec, s[6:7]
	s_and_b64 s[42:43], s[2:3], exec
                                        ; implicit-def: $vgpr1
                                        ; implicit-def: $vgpr2
	s_andn2_saveexec_b64 s[2:3], s[40:41]
	s_cbranch_execnz .LBB870_186
.LBB870_203:
	s_or_b64 exec, exec, s[2:3]
	s_and_b64 exec, exec, s[42:43]
	s_cbranch_execz .LBB870_205
.LBB870_204:
	v_sub_u32_e32 v1, v18, v8
	v_lshlrev_b32_e32 v1, 1, v1
	ds_write_b16_d16_hi v1, v14
.LBB870_205:
	s_or_b64 exec, exec, s[34:35]
	v_cmp_lt_u32_e32 vcc, v0, v6
	s_waitcnt lgkmcnt(0)
	s_barrier
	s_and_saveexec_b64 s[4:5], vcc
	s_cbranch_execz .LBB870_220
; %bb.206:
	v_xad_u32 v1, v0, -1, v6
	s_movk_i32 s2, 0x1700
	v_cmp_gt_u32_e64 s[6:7], s2, v1
	s_movk_i32 s2, 0x16ff
	v_cmp_lt_u32_e32 vcc, s2, v1
	v_mov_b32_e32 v2, v0
	s_and_saveexec_b64 s[8:9], vcc
	s_cbranch_execz .LBB870_217
; %bb.207:
	v_sub_u32_e32 v2, v0, v6
	v_or_b32_e32 v2, 0xff, v2
	v_cmp_ge_u32_e32 vcc, v2, v0
	s_mov_b64 s[2:3], -1
	v_mov_b32_e32 v2, v0
	s_and_saveexec_b64 s[10:11], vcc
	s_cbranch_execz .LBB870_216
; %bb.208:
	v_lshrrev_b32_e32 v14, 8, v1
	v_or_b32_e32 v3, 0x300, v0
	v_or_b32_e32 v2, 0x200, v0
	v_add_u32_e32 v4, -3, v14
	v_or_b32_e32 v1, 0x100, v0
	v_lshrrev_b32_e32 v5, 2, v4
	v_pk_mov_b32 v[12:13], v[2:3], v[2:3] op_sel:[0,1]
	v_add_u32_e32 v50, 1, v5
	v_cmp_lt_u32_e32 vcc, 11, v4
	v_mov_b32_e32 v53, 0
	v_lshlrev_b32_e32 v49, 1, v0
	v_pk_mov_b32 v[10:11], v[0:1], v[0:1] op_sel:[0,1]
	s_and_saveexec_b64 s[12:13], vcc
	s_cbranch_execz .LBB870_212
; %bb.209:
	v_pk_mov_b32 v[12:13], v[2:3], v[2:3] op_sel:[0,1]
	v_and_b32_e32 v51, 0x7ffffffc, v50
	s_mov_b32 s16, 0
	s_mov_b64 s[14:15], 0
	v_mov_b32_e32 v5, 0
	v_mov_b32_e32 v52, v49
	v_pk_mov_b32 v[10:11], v[0:1], v[0:1] op_sel:[0,1]
.LBB870_210:                            ; =>This Inner Loop Header: Depth=1
	v_mov_b32_e32 v4, v10
	v_lshlrev_b64 v[86:87], 1, v[4:5]
	v_add_u32_e32 v72, 0x400, v11
	v_mov_b32_e32 v73, v5
	v_add_co_u32_e64 v86, s[2:3], v7, v86
	v_lshlrev_b64 v[72:73], 1, v[72:73]
	v_addc_co_u32_e64 v87, s[2:3], v48, v87, s[2:3]
	v_add_u32_e32 v70, 0x400, v12
	v_mov_b32_e32 v71, v5
	v_add_co_u32_e64 v72, s[2:3], v7, v72
	v_lshlrev_b64 v[70:71], 1, v[70:71]
	v_addc_co_u32_e64 v73, s[2:3], v48, v73, s[2:3]
	v_add_u32_e32 v2, 0x400, v13
	v_mov_b32_e32 v3, v5
	v_add_co_u32_e64 v70, s[2:3], v7, v70
	v_add_u32_e32 v51, -4, v51
	v_mov_b32_e32 v4, v11
	v_lshlrev_b64 v[2:3], 1, v[2:3]
	v_addc_co_u32_e64 v71, s[2:3], v48, v71, s[2:3]
	v_add_u32_e32 v78, 0x800, v11
	v_mov_b32_e32 v79, v5
	s_add_i32 s16, s16, 16
	v_cmp_eq_u32_e32 vcc, 0, v51
	v_lshlrev_b64 v[88:89], 1, v[4:5]
	v_add_co_u32_e64 v2, s[2:3], v7, v2
	v_lshlrev_b64 v[78:79], 1, v[78:79]
	v_mov_b32_e32 v4, v12
	v_addc_co_u32_e64 v3, s[2:3], v48, v3, s[2:3]
	s_or_b64 s[14:15], vcc, s[14:15]
	v_add_co_u32_e32 v88, vcc, v7, v88
	v_add_u32_e32 v76, 0x800, v12
	v_mov_b32_e32 v77, v5
	v_add_co_u32_e64 v78, s[2:3], v7, v78
	v_addc_co_u32_e32 v89, vcc, v48, v89, vcc
	v_lshlrev_b64 v[90:91], 1, v[4:5]
	v_lshlrev_b64 v[76:77], 1, v[76:77]
	v_addc_co_u32_e64 v79, s[2:3], v48, v79, s[2:3]
	v_mov_b32_e32 v4, v13
	v_add_co_u32_e32 v90, vcc, v7, v90
	ds_read_u16 v1, v52
	ds_read_u16 v69, v52 offset:512
	ds_read_u16 v94, v52 offset:1024
	;; [unrolled: 1-line block ×7, first 2 shown]
	v_add_u32_e32 v74, 0x800, v13
	v_mov_b32_e32 v75, v5
	v_add_co_u32_e64 v76, s[2:3], v7, v76
	v_addc_co_u32_e32 v91, vcc, v48, v91, vcc
	v_lshlrev_b64 v[92:93], 1, v[4:5]
	v_lshlrev_b64 v[74:75], 1, v[74:75]
	v_addc_co_u32_e64 v77, s[2:3], v48, v77, s[2:3]
	v_add_u32_e32 v4, 0x400, v10
	v_add_co_u32_e32 v92, vcc, v7, v92
	v_add_u32_e32 v84, 0xc00, v11
	v_mov_b32_e32 v85, v5
	ds_read_u16 v100, v52 offset:4096
	ds_read_u16 v101, v52 offset:4608
	;; [unrolled: 1-line block ×8, first 2 shown]
	v_add_co_u32_e64 v74, s[2:3], v7, v74
	v_addc_co_u32_e32 v93, vcc, v48, v93, vcc
	s_waitcnt lgkmcnt(14)
	global_store_short v[86:87], v1, off
	global_store_short v[88:89], v69, off
	s_waitcnt lgkmcnt(13)
	global_store_short v[90:91], v94, off
	v_lshlrev_b64 v[86:87], 1, v[4:5]
	v_lshlrev_b64 v[84:85], 1, v[84:85]
	v_addc_co_u32_e64 v75, s[2:3], v48, v75, s[2:3]
	v_add_u32_e32 v4, 0x800, v10
	v_add_co_u32_e32 v86, vcc, v7, v86
	v_add_u32_e32 v82, 0xc00, v12
	v_mov_b32_e32 v83, v5
	v_add_co_u32_e64 v84, s[2:3], v7, v84
	v_addc_co_u32_e32 v87, vcc, v48, v87, vcc
	v_lshlrev_b64 v[88:89], 1, v[4:5]
	v_lshlrev_b64 v[82:83], 1, v[82:83]
	v_addc_co_u32_e64 v85, s[2:3], v48, v85, s[2:3]
	s_waitcnt lgkmcnt(12)
	global_store_short v[92:93], v95, off
	v_add_u32_e32 v4, 0xc00, v10
	s_waitcnt lgkmcnt(11)
	global_store_short v[86:87], v96, off
	s_waitcnt lgkmcnt(10)
	global_store_short v[72:73], v97, off
	;; [unrolled: 2-line block ×4, first 2 shown]
	v_add_co_u32_e32 v2, vcc, v7, v88
	v_add_u32_e32 v80, 0xc00, v13
	v_mov_b32_e32 v81, v5
	v_add_co_u32_e64 v82, s[2:3], v7, v82
	v_addc_co_u32_e32 v3, vcc, v48, v89, vcc
	v_lshlrev_b64 v[70:71], 1, v[4:5]
	v_lshlrev_b64 v[80:81], 1, v[80:81]
	v_addc_co_u32_e64 v83, s[2:3], v48, v83, s[2:3]
	s_waitcnt lgkmcnt(7)
	global_store_short v[2:3], v100, off
	s_waitcnt lgkmcnt(6)
	global_store_short v[78:79], v101, off
	;; [unrolled: 2-line block ×4, first 2 shown]
	v_add_co_u32_e32 v2, vcc, v7, v70
	v_add_u32_e32 v52, 0x2000, v52
	v_add_u32_e32 v11, 0x1000, v11
	v_mov_b32_e32 v53, s16
	v_add_co_u32_e64 v80, s[2:3], v7, v80
	v_add_u32_e32 v12, 0x1000, v12
	v_add_u32_e32 v13, 0x1000, v13
	;; [unrolled: 1-line block ×3, first 2 shown]
	v_addc_co_u32_e32 v3, vcc, v48, v71, vcc
	v_addc_co_u32_e64 v81, s[2:3], v48, v81, s[2:3]
	s_waitcnt lgkmcnt(3)
	global_store_short v[2:3], v104, off
	s_waitcnt lgkmcnt(2)
	global_store_short v[84:85], v105, off
	;; [unrolled: 2-line block ×4, first 2 shown]
	s_andn2_b64 exec, exec, s[14:15]
	s_cbranch_execnz .LBB870_210
; %bb.211:
	s_or_b64 exec, exec, s[14:15]
.LBB870_212:
	s_or_b64 exec, exec, s[12:13]
	v_and_b32_e32 v1, 3, v50
	v_cmp_ne_u32_e32 vcc, 0, v1
	s_and_saveexec_b64 s[12:13], vcc
	s_cbranch_execz .LBB870_215
; %bb.213:
	v_lshl_or_b32 v4, v53, 9, v49
	s_mov_b64 s[14:15], 0
	v_mov_b32_e32 v3, 0
.LBB870_214:                            ; =>This Inner Loop Header: Depth=1
	v_mov_b32_e32 v2, v10
	v_add_u32_e32 v1, -1, v1
	v_lshlrev_b64 v[50:51], 1, v[2:3]
	v_mov_b32_e32 v2, v11
	v_cmp_eq_u32_e32 vcc, 0, v1
	v_lshlrev_b64 v[52:53], 1, v[2:3]
	ds_read_u16 v5, v4
	ds_read_u16 v49, v4 offset:512
	ds_read_u16 v69, v4 offset:1024
	;; [unrolled: 1-line block ×3, first 2 shown]
	v_mov_b32_e32 v2, v12
	s_or_b64 s[14:15], vcc, s[14:15]
	v_add_co_u32_e32 v52, vcc, v7, v52
	v_addc_co_u32_e32 v53, vcc, v48, v53, vcc
	v_lshlrev_b64 v[70:71], 1, v[2:3]
	v_mov_b32_e32 v2, v13
	v_add_co_u32_e32 v70, vcc, v7, v70
	v_add_co_u32_e64 v50, s[2:3], v7, v50
	v_addc_co_u32_e32 v71, vcc, v48, v71, vcc
	v_lshlrev_b64 v[72:73], 1, v[2:3]
	v_add_u32_e32 v10, 0x400, v10
	v_add_u32_e32 v4, 0x800, v4
	v_add_u32_e32 v11, 0x400, v11
	v_addc_co_u32_e64 v51, s[2:3], v48, v51, s[2:3]
	v_add_u32_e32 v12, 0x400, v12
	v_add_u32_e32 v13, 0x400, v13
	v_add_co_u32_e32 v72, vcc, v7, v72
	v_addc_co_u32_e32 v73, vcc, v48, v73, vcc
	s_waitcnt lgkmcnt(3)
	global_store_short v[50:51], v5, off
	s_waitcnt lgkmcnt(2)
	global_store_short v[52:53], v49, off
	;; [unrolled: 2-line block ×4, first 2 shown]
	s_andn2_b64 exec, exec, s[14:15]
	s_cbranch_execnz .LBB870_214
.LBB870_215:
	s_or_b64 exec, exec, s[12:13]
	v_add_u32_e32 v1, 1, v14
	v_and_b32_e32 v3, 0x1fffffc, v1
	v_cmp_ne_u32_e32 vcc, v1, v3
	v_lshl_or_b32 v2, v3, 8, v0
	s_orn2_b64 s[2:3], vcc, exec
.LBB870_216:
	s_or_b64 exec, exec, s[10:11]
	s_andn2_b64 s[6:7], s[6:7], exec
	s_and_b64 s[2:3], s[2:3], exec
	s_or_b64 s[6:7], s[6:7], s[2:3]
.LBB870_217:
	s_or_b64 exec, exec, s[8:9]
	s_and_b64 exec, exec, s[6:7]
	s_cbranch_execz .LBB870_220
; %bb.218:
	v_lshlrev_b32_e32 v1, 1, v2
	s_mov_b64 s[2:3], 0
	v_mov_b32_e32 v3, 0
.LBB870_219:                            ; =>This Inner Loop Header: Depth=1
	v_lshlrev_b64 v[4:5], 1, v[2:3]
	ds_read_u16 v10, v1
	v_add_co_u32_e32 v4, vcc, v7, v4
	v_add_u32_e32 v2, 0x100, v2
	v_addc_co_u32_e32 v5, vcc, v48, v5, vcc
	v_cmp_ge_u32_e32 vcc, v2, v6
	v_add_u32_e32 v1, 0x200, v1
	s_or_b64 s[2:3], vcc, s[2:3]
	s_waitcnt lgkmcnt(0)
	global_store_short v[4:5], v10, off
	s_andn2_b64 exec, exec, s[2:3]
	s_cbranch_execnz .LBB870_219
.LBB870_220:
	s_or_b64 exec, exec, s[4:5]
.LBB870_221:
	s_cmpk_lg_i32 s33, 0xf00
	s_cselect_b64 s[2:3], -1, 0
	v_cndmask_b32_e64 v1, 0, 1, s[38:39]
	s_and_b64 s[2:3], s[2:3], s[36:37]
	v_sub_u32_e32 v3, v6, v1
	v_cndmask_b32_e64 v2, 0, 1, s[2:3]
	s_and_b64 s[0:1], s[0:1], s[38:39]
	v_add_u32_e32 v7, v3, v2
	v_cndmask_b32_e64 v3, v68, 0, s[0:1]
	s_mul_hi_u32 s0, s33, 0x88888889
	s_lshr_b32 s0, s0, 3
	v_mad_i32_i24 v4, v0, -15, s33
	v_cmp_eq_u32_e32 vcc, s0, v0
	v_cmp_ne_u32_e64 s[0:1], 0, v4
	v_cndmask_b32_e64 v5, 1, v3, s[0:1]
	v_cmp_ne_u32_e64 s[0:1], 1, v4
	v_cndmask_b32_e64 v10, 1, v66, s[0:1]
	;; [unrolled: 2-line block ×15, first 2 shown]
	s_and_b64 vcc, vcc, s[36:37]
	v_cndmask_b32_e32 v15, v15, v4, vcc
	v_cndmask_b32_e32 v50, v59, v50, vcc
	;; [unrolled: 1-line block ×3, first 2 shown]
	v_lshlrev_b64 v[4:5], 2, v[16:17]
	v_cndmask_b32_e32 v54, v54, v69, vcc
	v_cndmask_b32_e32 v55, v55, v68, vcc
	;; [unrolled: 1-line block ×12, first 2 shown]
	v_mov_b32_e32 v3, s53
	v_add_co_u32_e32 v10, vcc, s52, v4
	v_addc_co_u32_e32 v3, vcc, v3, v5, vcc
	v_lshlrev_b64 v[4:5], 2, v[8:9]
	v_add_co_u32_e32 v9, vcc, v10, v4
	v_addc_co_u32_e32 v10, vcc, v3, v5, vcc
	v_lshlrev_b32_e32 v3, 2, v1
	v_add_co_u32_e32 v3, vcc, v3, v9
	v_addc_co_u32_e32 v4, vcc, 0, v10, vcc
	v_add_co_u32_e32 v11, vcc, -4, v3
	v_addc_co_u32_e32 v12, vcc, -1, v4, vcc
	v_cmp_eq_u32_e32 vcc, 0, v59
	v_cndmask_b32_e64 v4, 1, 2, vcc
	v_cmp_eq_u32_e32 vcc, 0, v58
	v_cndmask_b32_e64 v5, 1, 2, vcc
	v_cmp_eq_u32_e32 vcc, 0, v57
	v_and_b32_e32 v4, v5, v4
	v_cndmask_b32_e64 v5, 1, 2, vcc
	v_cmp_eq_u32_e32 vcc, 0, v56
	v_and_b32_e32 v4, v4, v5
	v_cndmask_b32_e64 v5, 1, 2, vcc
	v_cmp_eq_u32_e32 vcc, 0, v13
	v_and_b32_e32 v4, v4, v5
	v_cndmask_b32_e64 v5, 1, 2, vcc
	v_cmp_eq_u32_e32 vcc, 0, v14
	v_and_b32_e32 v4, v4, v5
	v_cndmask_b32_e64 v5, 1, 2, vcc
	v_cmp_eq_u32_e32 vcc, 0, v48
	v_and_b32_e32 v4, v4, v5
	v_cndmask_b32_e64 v5, 1, 2, vcc
	v_cmp_eq_u32_e32 vcc, 0, v49
	v_and_b32_e32 v4, v4, v5
	v_cndmask_b32_e64 v5, 1, 2, vcc
	v_cmp_eq_u32_e32 vcc, 0, v50
	v_and_b32_e32 v4, v4, v5
	v_cndmask_b32_e64 v5, 1, 2, vcc
	v_cmp_eq_u32_e32 vcc, 0, v51
	v_and_b32_e32 v4, v4, v5
	v_cndmask_b32_e64 v5, 1, 2, vcc
	v_cmp_eq_u32_e32 vcc, 0, v52
	v_and_b32_e32 v4, v4, v5
	v_cndmask_b32_e64 v5, 1, 2, vcc
	v_cmp_eq_u32_e32 vcc, 0, v53
	v_and_b32_e32 v4, v4, v5
	v_cndmask_b32_e64 v5, 1, 2, vcc
	v_cmp_eq_u32_e32 vcc, 0, v55
	v_and_b32_e32 v4, v4, v5
	v_cndmask_b32_e64 v5, 1, 2, vcc
	v_cmp_eq_u32_e32 vcc, 0, v54
	v_and_b32_e32 v4, v4, v5
	v_cndmask_b32_e64 v5, 1, 2, vcc
	v_cmp_eq_u32_e32 vcc, 0, v15
	v_and_b32_e32 v4, v4, v5
	v_cndmask_b32_e64 v5, 1, 2, vcc
	s_movk_i32 s30, 0x100
	v_and_b32_e32 v4, v4, v5
	v_cmp_gt_u32_e32 vcc, s30, v7
	v_add_u32_e32 v3, v8, v1
	v_cmp_ne_u32_e64 s[28:29], 0, v59
	v_cmp_ne_u32_e64 s[26:27], 0, v58
	v_cmp_ne_u32_e64 s[24:25], 0, v57
	v_cmp_ne_u32_e64 s[22:23], 0, v56
	v_cmp_ne_u32_e64 s[20:21], 0, v13
	v_cmp_ne_u32_e64 s[18:19], 0, v14
	v_cmp_ne_u32_e64 s[16:17], 0, v48
	v_cmp_ne_u32_e64 s[14:15], 0, v49
	v_cmp_ne_u32_e64 s[12:13], 0, v50
	v_cmp_ne_u32_e64 s[10:11], 0, v51
	v_cmp_ne_u32_e64 s[8:9], 0, v52
	v_cmp_ne_u32_e64 s[6:7], 0, v53
	v_cmp_ne_u32_e64 s[4:5], 0, v55
	v_cmp_ne_u32_e64 s[2:3], 0, v54
	v_cmp_ne_u32_e64 s[0:1], 0, v15
	s_mov_b64 s[34:35], -1
	v_cmp_gt_i16_e64 s[30:31], 2, v4
	s_barrier
	s_cbranch_vccz .LBB870_258
; %bb.222:
	s_and_saveexec_b64 s[34:35], s[30:31]
	s_cbranch_execz .LBB870_257
; %bb.223:
	v_cmp_ne_u16_e32 vcc, 1, v4
	s_mov_b64 s[38:39], 0
	s_and_saveexec_b64 s[30:31], vcc
	s_xor_b64 s[30:31], exec, s[30:31]
	s_cbranch_execz .LBB870_238
; %bb.224:
	s_and_saveexec_b64 s[38:39], s[28:29]
	s_cbranch_execz .LBB870_240
; %bb.225:
	v_sub_u32_e32 v14, v46, v3
	v_mov_b32_e32 v15, 0
	v_lshlrev_b64 v[14:15], 2, v[14:15]
	v_add_co_u32_e32 v14, vcc, v11, v14
	v_addc_co_u32_e32 v15, vcc, v12, v15, vcc
	global_store_dword v[14:15], v47, off
	s_or_b64 exec, exec, s[38:39]
	s_and_saveexec_b64 s[38:39], s[26:27]
	s_cbranch_execnz .LBB870_241
.LBB870_226:
	s_or_b64 exec, exec, s[38:39]
	s_and_saveexec_b64 s[38:39], s[24:25]
	s_cbranch_execz .LBB870_242
.LBB870_227:
	v_sub_u32_e32 v14, v42, v3
	v_mov_b32_e32 v15, 0
	v_lshlrev_b64 v[14:15], 2, v[14:15]
	v_add_co_u32_e32 v14, vcc, v11, v14
	v_addc_co_u32_e32 v15, vcc, v12, v15, vcc
	global_store_dword v[14:15], v43, off
	s_or_b64 exec, exec, s[38:39]
	s_and_saveexec_b64 s[38:39], s[22:23]
	s_cbranch_execnz .LBB870_243
.LBB870_228:
	s_or_b64 exec, exec, s[38:39]
	s_and_saveexec_b64 s[38:39], s[20:21]
	s_cbranch_execz .LBB870_244
.LBB870_229:
	v_sub_u32_e32 v14, v38, v3
	v_mov_b32_e32 v15, 0
	v_lshlrev_b64 v[14:15], 2, v[14:15]
	v_add_co_u32_e32 v14, vcc, v11, v14
	v_addc_co_u32_e32 v15, vcc, v12, v15, vcc
	global_store_dword v[14:15], v39, off
	s_or_b64 exec, exec, s[38:39]
	s_and_saveexec_b64 s[38:39], s[18:19]
	s_cbranch_execnz .LBB870_245
.LBB870_230:
	s_or_b64 exec, exec, s[38:39]
	s_and_saveexec_b64 s[38:39], s[16:17]
	s_cbranch_execz .LBB870_246
.LBB870_231:
	v_sub_u32_e32 v14, v34, v3
	v_mov_b32_e32 v15, 0
	v_lshlrev_b64 v[14:15], 2, v[14:15]
	v_add_co_u32_e32 v14, vcc, v11, v14
	v_addc_co_u32_e32 v15, vcc, v12, v15, vcc
	global_store_dword v[14:15], v35, off
	s_or_b64 exec, exec, s[38:39]
	s_and_saveexec_b64 s[38:39], s[14:15]
	s_cbranch_execnz .LBB870_247
.LBB870_232:
	s_or_b64 exec, exec, s[38:39]
	s_and_saveexec_b64 s[38:39], s[12:13]
	s_cbranch_execz .LBB870_248
.LBB870_233:
	v_sub_u32_e32 v14, v30, v3
	v_mov_b32_e32 v15, 0
	v_lshlrev_b64 v[14:15], 2, v[14:15]
	v_add_co_u32_e32 v14, vcc, v11, v14
	v_addc_co_u32_e32 v15, vcc, v12, v15, vcc
	global_store_dword v[14:15], v31, off
	s_or_b64 exec, exec, s[38:39]
	s_and_saveexec_b64 s[38:39], s[10:11]
	s_cbranch_execnz .LBB870_249
.LBB870_234:
	s_or_b64 exec, exec, s[38:39]
	s_and_saveexec_b64 s[38:39], s[8:9]
	s_cbranch_execz .LBB870_250
.LBB870_235:
	v_sub_u32_e32 v14, v26, v3
	v_mov_b32_e32 v15, 0
	v_lshlrev_b64 v[14:15], 2, v[14:15]
	v_add_co_u32_e32 v14, vcc, v11, v14
	v_addc_co_u32_e32 v15, vcc, v12, v15, vcc
	global_store_dword v[14:15], v27, off
	s_or_b64 exec, exec, s[38:39]
	s_and_saveexec_b64 s[38:39], s[6:7]
	s_cbranch_execnz .LBB870_251
.LBB870_236:
	s_or_b64 exec, exec, s[38:39]
	s_and_saveexec_b64 s[38:39], s[4:5]
	s_cbranch_execz .LBB870_252
.LBB870_237:
	v_sub_u32_e32 v14, v22, v3
	v_mov_b32_e32 v15, 0
	v_lshlrev_b64 v[14:15], 2, v[14:15]
	v_add_co_u32_e32 v14, vcc, v11, v14
	v_addc_co_u32_e32 v15, vcc, v12, v15, vcc
	global_store_dword v[14:15], v23, off
	s_or_b64 exec, exec, s[38:39]
	s_and_saveexec_b64 s[38:39], s[2:3]
	s_cbranch_execnz .LBB870_253
	s_branch .LBB870_254
.LBB870_238:
	s_andn2_saveexec_b64 s[30:31], s[30:31]
	s_cbranch_execz .LBB870_255
.LBB870_239:
	v_sub_u32_e32 v14, v46, v3
	v_mov_b32_e32 v15, 0
	v_lshlrev_b64 v[48:49], 2, v[14:15]
	v_add_co_u32_e32 v48, vcc, v11, v48
	v_addc_co_u32_e32 v49, vcc, v12, v49, vcc
	v_sub_u32_e32 v14, v44, v3
	global_store_dword v[48:49], v47, off
	v_lshlrev_b64 v[48:49], 2, v[14:15]
	v_add_co_u32_e32 v48, vcc, v11, v48
	v_addc_co_u32_e32 v49, vcc, v12, v49, vcc
	v_sub_u32_e32 v14, v42, v3
	global_store_dword v[48:49], v45, off
	;; [unrolled: 5-line block ×12, first 2 shown]
	v_lshlrev_b64 v[48:49], 2, v[14:15]
	v_add_co_u32_e32 v48, vcc, v11, v48
	v_sub_u32_e32 v14, v20, v3
	v_addc_co_u32_e32 v49, vcc, v12, v49, vcc
	v_lshlrev_b64 v[14:15], 2, v[14:15]
	v_add_co_u32_e32 v14, vcc, v11, v14
	v_addc_co_u32_e32 v15, vcc, v12, v15, vcc
	s_or_b64 s[38:39], s[38:39], exec
	global_store_dword v[48:49], v23, off
	global_store_dword v[14:15], v21, off
	s_or_b64 exec, exec, s[30:31]
	s_and_b64 exec, exec, s[38:39]
	s_cbranch_execnz .LBB870_256
	s_branch .LBB870_257
.LBB870_240:
	s_or_b64 exec, exec, s[38:39]
	s_and_saveexec_b64 s[38:39], s[26:27]
	s_cbranch_execz .LBB870_226
.LBB870_241:
	v_sub_u32_e32 v14, v44, v3
	v_mov_b32_e32 v15, 0
	v_lshlrev_b64 v[14:15], 2, v[14:15]
	v_add_co_u32_e32 v14, vcc, v11, v14
	v_addc_co_u32_e32 v15, vcc, v12, v15, vcc
	global_store_dword v[14:15], v45, off
	s_or_b64 exec, exec, s[38:39]
	s_and_saveexec_b64 s[38:39], s[24:25]
	s_cbranch_execnz .LBB870_227
.LBB870_242:
	s_or_b64 exec, exec, s[38:39]
	s_and_saveexec_b64 s[38:39], s[22:23]
	s_cbranch_execz .LBB870_228
.LBB870_243:
	v_sub_u32_e32 v14, v40, v3
	v_mov_b32_e32 v15, 0
	v_lshlrev_b64 v[14:15], 2, v[14:15]
	v_add_co_u32_e32 v14, vcc, v11, v14
	v_addc_co_u32_e32 v15, vcc, v12, v15, vcc
	global_store_dword v[14:15], v41, off
	s_or_b64 exec, exec, s[38:39]
	s_and_saveexec_b64 s[38:39], s[20:21]
	s_cbranch_execnz .LBB870_229
.LBB870_244:
	s_or_b64 exec, exec, s[38:39]
	s_and_saveexec_b64 s[38:39], s[18:19]
	s_cbranch_execz .LBB870_230
.LBB870_245:
	v_sub_u32_e32 v14, v36, v3
	v_mov_b32_e32 v15, 0
	v_lshlrev_b64 v[14:15], 2, v[14:15]
	v_add_co_u32_e32 v14, vcc, v11, v14
	v_addc_co_u32_e32 v15, vcc, v12, v15, vcc
	global_store_dword v[14:15], v37, off
	s_or_b64 exec, exec, s[38:39]
	s_and_saveexec_b64 s[38:39], s[16:17]
	s_cbranch_execnz .LBB870_231
.LBB870_246:
	s_or_b64 exec, exec, s[38:39]
	s_and_saveexec_b64 s[38:39], s[14:15]
	s_cbranch_execz .LBB870_232
.LBB870_247:
	v_sub_u32_e32 v14, v32, v3
	v_mov_b32_e32 v15, 0
	v_lshlrev_b64 v[14:15], 2, v[14:15]
	v_add_co_u32_e32 v14, vcc, v11, v14
	v_addc_co_u32_e32 v15, vcc, v12, v15, vcc
	global_store_dword v[14:15], v33, off
	s_or_b64 exec, exec, s[38:39]
	s_and_saveexec_b64 s[38:39], s[12:13]
	s_cbranch_execnz .LBB870_233
.LBB870_248:
	s_or_b64 exec, exec, s[38:39]
	s_and_saveexec_b64 s[38:39], s[10:11]
	s_cbranch_execz .LBB870_234
.LBB870_249:
	v_sub_u32_e32 v14, v28, v3
	v_mov_b32_e32 v15, 0
	v_lshlrev_b64 v[14:15], 2, v[14:15]
	v_add_co_u32_e32 v14, vcc, v11, v14
	v_addc_co_u32_e32 v15, vcc, v12, v15, vcc
	global_store_dword v[14:15], v29, off
	s_or_b64 exec, exec, s[38:39]
	s_and_saveexec_b64 s[38:39], s[8:9]
	s_cbranch_execnz .LBB870_235
.LBB870_250:
	s_or_b64 exec, exec, s[38:39]
	s_and_saveexec_b64 s[38:39], s[6:7]
	s_cbranch_execz .LBB870_236
.LBB870_251:
	v_sub_u32_e32 v14, v24, v3
	v_mov_b32_e32 v15, 0
	v_lshlrev_b64 v[14:15], 2, v[14:15]
	v_add_co_u32_e32 v14, vcc, v11, v14
	v_addc_co_u32_e32 v15, vcc, v12, v15, vcc
	global_store_dword v[14:15], v25, off
	s_or_b64 exec, exec, s[38:39]
	s_and_saveexec_b64 s[38:39], s[4:5]
	s_cbranch_execnz .LBB870_237
.LBB870_252:
	s_or_b64 exec, exec, s[38:39]
	s_and_saveexec_b64 s[38:39], s[2:3]
	s_cbranch_execz .LBB870_254
.LBB870_253:
	v_sub_u32_e32 v14, v20, v3
	v_mov_b32_e32 v15, 0
	v_lshlrev_b64 v[14:15], 2, v[14:15]
	v_add_co_u32_e32 v14, vcc, v11, v14
	v_addc_co_u32_e32 v15, vcc, v12, v15, vcc
	global_store_dword v[14:15], v21, off
.LBB870_254:
	s_or_b64 exec, exec, s[38:39]
	s_and_b64 s[38:39], s[0:1], exec
	s_andn2_saveexec_b64 s[30:31], s[30:31]
	s_cbranch_execnz .LBB870_239
.LBB870_255:
	s_or_b64 exec, exec, s[30:31]
	s_and_b64 exec, exec, s[38:39]
	s_cbranch_execz .LBB870_257
.LBB870_256:
	v_sub_u32_e32 v14, v18, v3
	v_mov_b32_e32 v15, 0
	v_lshlrev_b64 v[14:15], 2, v[14:15]
	v_add_co_u32_e32 v14, vcc, v11, v14
	v_addc_co_u32_e32 v15, vcc, v12, v15, vcc
	global_store_dword v[14:15], v19, off
.LBB870_257:
	s_or_b64 exec, exec, s[34:35]
	s_mov_b64 s[34:35], 0
.LBB870_258:
	s_and_b64 vcc, exec, s[34:35]
	s_cbranch_vccz .LBB870_310
; %bb.259:
	v_cmp_gt_i16_e32 vcc, 2, v4
	s_and_saveexec_b64 s[30:31], vcc
	s_cbranch_execz .LBB870_294
; %bb.260:
	v_cmp_ne_u16_e32 vcc, 1, v4
	s_mov_b64 s[38:39], 0
	s_and_saveexec_b64 s[34:35], vcc
	s_xor_b64 s[34:35], exec, s[34:35]
	s_cbranch_execz .LBB870_275
; %bb.261:
	s_and_saveexec_b64 s[38:39], s[28:29]
	s_cbranch_execz .LBB870_277
; %bb.262:
	v_sub_u32_e32 v4, v46, v3
	v_lshlrev_b32_e32 v4, 2, v4
	ds_write_b32 v4, v47
	s_or_b64 exec, exec, s[38:39]
	s_and_saveexec_b64 s[28:29], s[26:27]
	s_cbranch_execnz .LBB870_278
.LBB870_263:
	s_or_b64 exec, exec, s[28:29]
	s_and_saveexec_b64 s[26:27], s[24:25]
	s_cbranch_execz .LBB870_279
.LBB870_264:
	v_sub_u32_e32 v4, v42, v3
	v_lshlrev_b32_e32 v4, 2, v4
	ds_write_b32 v4, v43
	s_or_b64 exec, exec, s[26:27]
	s_and_saveexec_b64 s[24:25], s[22:23]
	s_cbranch_execnz .LBB870_280
.LBB870_265:
	s_or_b64 exec, exec, s[24:25]
	s_and_saveexec_b64 s[22:23], s[20:21]
	s_cbranch_execz .LBB870_281
.LBB870_266:
	v_sub_u32_e32 v4, v38, v3
	v_lshlrev_b32_e32 v4, 2, v4
	ds_write_b32 v4, v39
	s_or_b64 exec, exec, s[22:23]
	s_and_saveexec_b64 s[20:21], s[18:19]
	s_cbranch_execnz .LBB870_282
.LBB870_267:
	s_or_b64 exec, exec, s[20:21]
	s_and_saveexec_b64 s[18:19], s[16:17]
	s_cbranch_execz .LBB870_283
.LBB870_268:
	v_sub_u32_e32 v4, v34, v3
	v_lshlrev_b32_e32 v4, 2, v4
	ds_write_b32 v4, v35
	s_or_b64 exec, exec, s[18:19]
	s_and_saveexec_b64 s[16:17], s[14:15]
	s_cbranch_execnz .LBB870_284
.LBB870_269:
	s_or_b64 exec, exec, s[16:17]
	s_and_saveexec_b64 s[14:15], s[12:13]
	s_cbranch_execz .LBB870_285
.LBB870_270:
	v_sub_u32_e32 v4, v30, v3
	v_lshlrev_b32_e32 v4, 2, v4
	ds_write_b32 v4, v31
	s_or_b64 exec, exec, s[14:15]
	s_and_saveexec_b64 s[12:13], s[10:11]
	s_cbranch_execnz .LBB870_286
.LBB870_271:
	s_or_b64 exec, exec, s[12:13]
	s_and_saveexec_b64 s[10:11], s[8:9]
	s_cbranch_execz .LBB870_287
.LBB870_272:
	v_sub_u32_e32 v4, v26, v3
	v_lshlrev_b32_e32 v4, 2, v4
	ds_write_b32 v4, v27
	s_or_b64 exec, exec, s[10:11]
	s_and_saveexec_b64 s[8:9], s[6:7]
	s_cbranch_execnz .LBB870_288
.LBB870_273:
	s_or_b64 exec, exec, s[8:9]
	s_and_saveexec_b64 s[6:7], s[4:5]
	s_cbranch_execz .LBB870_289
.LBB870_274:
	v_sub_u32_e32 v4, v22, v3
	v_lshlrev_b32_e32 v4, 2, v4
	ds_write_b32 v4, v23
	s_or_b64 exec, exec, s[6:7]
	s_and_saveexec_b64 s[4:5], s[2:3]
	s_cbranch_execnz .LBB870_290
	s_branch .LBB870_291
.LBB870_275:
	s_andn2_saveexec_b64 s[0:1], s[34:35]
	s_cbranch_execz .LBB870_292
.LBB870_276:
	v_sub_u32_e32 v4, v46, v3
	v_lshlrev_b32_e32 v4, 2, v4
	ds_write_b32 v4, v47
	v_sub_u32_e32 v4, v44, v3
	v_lshlrev_b32_e32 v4, 2, v4
	ds_write_b32 v4, v45
	;; [unrolled: 3-line block ×13, first 2 shown]
	v_sub_u32_e32 v4, v20, v3
	v_lshlrev_b32_e32 v4, 2, v4
	s_or_b64 s[38:39], s[38:39], exec
	ds_write_b32 v4, v21
	s_or_b64 exec, exec, s[0:1]
	s_and_b64 exec, exec, s[38:39]
	s_cbranch_execnz .LBB870_293
	s_branch .LBB870_294
.LBB870_277:
	s_or_b64 exec, exec, s[38:39]
	s_and_saveexec_b64 s[28:29], s[26:27]
	s_cbranch_execz .LBB870_263
.LBB870_278:
	v_sub_u32_e32 v4, v44, v3
	v_lshlrev_b32_e32 v4, 2, v4
	ds_write_b32 v4, v45
	s_or_b64 exec, exec, s[28:29]
	s_and_saveexec_b64 s[26:27], s[24:25]
	s_cbranch_execnz .LBB870_264
.LBB870_279:
	s_or_b64 exec, exec, s[26:27]
	s_and_saveexec_b64 s[24:25], s[22:23]
	s_cbranch_execz .LBB870_265
.LBB870_280:
	v_sub_u32_e32 v4, v40, v3
	v_lshlrev_b32_e32 v4, 2, v4
	ds_write_b32 v4, v41
	s_or_b64 exec, exec, s[24:25]
	s_and_saveexec_b64 s[22:23], s[20:21]
	s_cbranch_execnz .LBB870_266
.LBB870_281:
	s_or_b64 exec, exec, s[22:23]
	s_and_saveexec_b64 s[20:21], s[18:19]
	s_cbranch_execz .LBB870_267
.LBB870_282:
	v_sub_u32_e32 v4, v36, v3
	v_lshlrev_b32_e32 v4, 2, v4
	ds_write_b32 v4, v37
	s_or_b64 exec, exec, s[20:21]
	s_and_saveexec_b64 s[18:19], s[16:17]
	s_cbranch_execnz .LBB870_268
.LBB870_283:
	s_or_b64 exec, exec, s[18:19]
	s_and_saveexec_b64 s[16:17], s[14:15]
	s_cbranch_execz .LBB870_269
.LBB870_284:
	v_sub_u32_e32 v4, v32, v3
	v_lshlrev_b32_e32 v4, 2, v4
	ds_write_b32 v4, v33
	s_or_b64 exec, exec, s[16:17]
	s_and_saveexec_b64 s[14:15], s[12:13]
	s_cbranch_execnz .LBB870_270
.LBB870_285:
	s_or_b64 exec, exec, s[14:15]
	s_and_saveexec_b64 s[12:13], s[10:11]
	s_cbranch_execz .LBB870_271
.LBB870_286:
	v_sub_u32_e32 v4, v28, v3
	v_lshlrev_b32_e32 v4, 2, v4
	ds_write_b32 v4, v29
	s_or_b64 exec, exec, s[12:13]
	s_and_saveexec_b64 s[10:11], s[8:9]
	s_cbranch_execnz .LBB870_272
.LBB870_287:
	s_or_b64 exec, exec, s[10:11]
	s_and_saveexec_b64 s[8:9], s[6:7]
	s_cbranch_execz .LBB870_273
.LBB870_288:
	v_sub_u32_e32 v4, v24, v3
	v_lshlrev_b32_e32 v4, 2, v4
	ds_write_b32 v4, v25
	s_or_b64 exec, exec, s[8:9]
	s_and_saveexec_b64 s[6:7], s[4:5]
	s_cbranch_execnz .LBB870_274
.LBB870_289:
	s_or_b64 exec, exec, s[6:7]
	s_and_saveexec_b64 s[4:5], s[2:3]
	s_cbranch_execz .LBB870_291
.LBB870_290:
	v_sub_u32_e32 v4, v20, v3
	v_lshlrev_b32_e32 v4, 2, v4
	ds_write_b32 v4, v21
.LBB870_291:
	s_or_b64 exec, exec, s[4:5]
	s_and_b64 s[38:39], s[0:1], exec
                                        ; implicit-def: $vgpr46_vgpr47
                                        ; implicit-def: $vgpr44_vgpr45
                                        ; implicit-def: $vgpr42_vgpr43
                                        ; implicit-def: $vgpr40_vgpr41
                                        ; implicit-def: $vgpr38_vgpr39
                                        ; implicit-def: $vgpr36_vgpr37
                                        ; implicit-def: $vgpr34_vgpr35
                                        ; implicit-def: $vgpr32_vgpr33
                                        ; implicit-def: $vgpr30_vgpr31
                                        ; implicit-def: $vgpr28_vgpr29
                                        ; implicit-def: $vgpr26_vgpr27
                                        ; implicit-def: $vgpr24_vgpr25
                                        ; implicit-def: $vgpr22_vgpr23
                                        ; implicit-def: $vgpr20_vgpr21
	s_andn2_saveexec_b64 s[0:1], s[34:35]
	s_cbranch_execnz .LBB870_276
.LBB870_292:
	s_or_b64 exec, exec, s[0:1]
	s_and_b64 exec, exec, s[38:39]
	s_cbranch_execz .LBB870_294
.LBB870_293:
	v_sub_u32_e32 v3, v18, v3
	v_lshlrev_b32_e32 v3, 2, v3
	ds_write_b32 v3, v19
.LBB870_294:
	s_or_b64 exec, exec, s[30:31]
	v_cmp_lt_u32_e32 vcc, v0, v7
	s_waitcnt lgkmcnt(0)
	s_barrier
	s_and_saveexec_b64 s[2:3], vcc
	s_cbranch_execz .LBB870_309
; %bb.295:
	v_add_u32_e32 v4, v6, v2
	v_xad_u32 v2, v0, -1, v4
	v_sub_u32_e32 v3, v2, v1
	s_movk_i32 s0, 0x1900
	v_cmp_gt_u32_e64 s[4:5], s0, v3
	s_movk_i32 s0, 0x18ff
	v_cmp_lt_u32_e32 vcc, s0, v3
	v_mov_b32_e32 v2, v0
	s_and_saveexec_b64 s[6:7], vcc
	s_cbranch_execz .LBB870_306
; %bb.296:
	v_sub_u32_e32 v2, v0, v4
	v_add_u32_e32 v1, v2, v1
	v_or_b32_e32 v1, 0xff, v1
	v_cmp_ge_u32_e32 vcc, v1, v0
	s_mov_b64 s[0:1], -1
	v_mov_b32_e32 v2, v0
	s_and_saveexec_b64 s[8:9], vcc
	s_cbranch_execz .LBB870_305
; %bb.297:
	v_lshrrev_b32_e32 v13, 8, v3
	v_add_u32_e32 v2, -1, v13
	v_or_b32_e32 v1, 0x100, v0
	v_lshrrev_b32_e32 v3, 1, v2
	v_add_u32_e32 v15, 1, v3
	v_cmp_lt_u32_e32 vcc, 13, v2
	v_mov_b32_e32 v20, 0
	v_lshlrev_b32_e32 v14, 2, v0
	v_pk_mov_b32 v[2:3], v[0:1], v[0:1] op_sel:[0,1]
	s_and_saveexec_b64 s[10:11], vcc
	s_cbranch_execz .LBB870_301
; %bb.298:
	v_and_b32_e32 v18, -8, v15
	s_mov_b32 s14, 0
	s_mov_b64 s[12:13], 0
	v_mov_b32_e32 v5, 0
	v_mov_b32_e32 v19, v14
	v_pk_mov_b32 v[2:3], v[0:1], v[0:1] op_sel:[0,1]
.LBB870_299:                            ; =>This Inner Loop Header: Depth=1
	v_mov_b32_e32 v4, v2
	v_add_u32_e32 v18, -8, v18
	v_lshlrev_b64 v[50:51], 2, v[4:5]
	v_mov_b32_e32 v4, v3
	ds_read2st64_b32 v[22:23], v19 offset1:4
	s_add_i32 s14, s14, 16
	v_cmp_eq_u32_e32 vcc, 0, v18
	v_lshlrev_b64 v[54:55], 2, v[4:5]
	v_add_u32_e32 v4, 0x200, v2
	s_or_b64 s[12:13], vcc, s[12:13]
	v_add_co_u32_e32 v54, vcc, v11, v54
	v_add_u32_e32 v20, 0x200, v3
	v_mov_b32_e32 v21, v5
	ds_read2st64_b32 v[24:25], v19 offset0:8 offset1:12
	ds_read2st64_b32 v[28:29], v19 offset0:16 offset1:20
	v_add_co_u32_e64 v50, s[0:1], v11, v50
	v_addc_co_u32_e32 v55, vcc, v12, v55, vcc
	v_lshlrev_b64 v[56:57], 2, v[4:5]
	v_lshlrev_b64 v[52:53], 2, v[20:21]
	v_addc_co_u32_e64 v51, s[0:1], v12, v51, s[0:1]
	v_add_u32_e32 v4, 0x400, v2
	v_add_co_u32_e32 v56, vcc, v11, v56
	v_add_u32_e32 v26, 0x400, v3
	v_mov_b32_e32 v27, v5
	ds_read2st64_b32 v[32:33], v19 offset0:24 offset1:28
	v_add_co_u32_e64 v52, s[0:1], v11, v52
	v_addc_co_u32_e32 v57, vcc, v12, v57, vcc
	v_lshlrev_b64 v[58:59], 2, v[4:5]
	ds_read2st64_b32 v[36:37], v19 offset0:32 offset1:36
	ds_read2st64_b32 v[40:41], v19 offset0:40 offset1:44
	;; [unrolled: 1-line block ×4, first 2 shown]
	v_lshlrev_b64 v[26:27], 2, v[26:27]
	v_addc_co_u32_e64 v53, s[0:1], v12, v53, s[0:1]
	v_add_u32_e32 v4, 0x600, v2
	s_waitcnt lgkmcnt(7)
	global_store_dword v[50:51], v22, off
	global_store_dword v[54:55], v23, off
	s_waitcnt lgkmcnt(6)
	global_store_dword v[56:57], v24, off
	global_store_dword v[52:53], v25, off
	v_add_co_u32_e32 v22, vcc, v11, v58
	v_add_u32_e32 v30, 0x600, v3
	v_mov_b32_e32 v31, v5
	v_add_co_u32_e64 v26, s[0:1], v11, v26
	v_addc_co_u32_e32 v23, vcc, v12, v59, vcc
	v_lshlrev_b64 v[24:25], 2, v[4:5]
	v_lshlrev_b64 v[30:31], 2, v[30:31]
	v_addc_co_u32_e64 v27, s[0:1], v12, v27, s[0:1]
	v_add_u32_e32 v4, 0x800, v2
	s_waitcnt lgkmcnt(5)
	global_store_dword v[22:23], v28, off
	global_store_dword v[26:27], v29, off
	v_add_co_u32_e32 v22, vcc, v11, v24
	v_add_u32_e32 v34, 0x800, v3
	v_mov_b32_e32 v35, v5
	v_add_co_u32_e64 v30, s[0:1], v11, v30
	v_addc_co_u32_e32 v23, vcc, v12, v25, vcc
	v_lshlrev_b64 v[24:25], 2, v[4:5]
	v_lshlrev_b64 v[34:35], 2, v[34:35]
	v_addc_co_u32_e64 v31, s[0:1], v12, v31, s[0:1]
	v_add_u32_e32 v4, 0xa00, v2
	s_waitcnt lgkmcnt(4)
	global_store_dword v[22:23], v32, off
	global_store_dword v[30:31], v33, off
	v_add_co_u32_e32 v22, vcc, v11, v24
	v_add_u32_e32 v38, 0xa00, v3
	v_mov_b32_e32 v39, v5
	v_add_co_u32_e64 v34, s[0:1], v11, v34
	v_addc_co_u32_e32 v23, vcc, v12, v25, vcc
	v_lshlrev_b64 v[24:25], 2, v[4:5]
	v_lshlrev_b64 v[38:39], 2, v[38:39]
	v_addc_co_u32_e64 v35, s[0:1], v12, v35, s[0:1]
	v_add_u32_e32 v4, 0xc00, v2
	s_waitcnt lgkmcnt(3)
	global_store_dword v[22:23], v36, off
	global_store_dword v[34:35], v37, off
	v_add_co_u32_e32 v22, vcc, v11, v24
	v_add_u32_e32 v42, 0xc00, v3
	v_mov_b32_e32 v43, v5
	v_add_co_u32_e64 v38, s[0:1], v11, v38
	v_addc_co_u32_e32 v23, vcc, v12, v25, vcc
	v_lshlrev_b64 v[24:25], 2, v[4:5]
	v_lshlrev_b64 v[42:43], 2, v[42:43]
	v_addc_co_u32_e64 v39, s[0:1], v12, v39, s[0:1]
	v_add_u32_e32 v4, 0xe00, v2
	s_waitcnt lgkmcnt(2)
	global_store_dword v[22:23], v40, off
	global_store_dword v[38:39], v41, off
	v_add_co_u32_e32 v22, vcc, v11, v24
	v_add_u32_e32 v46, 0xe00, v3
	v_mov_b32_e32 v47, v5
	v_add_co_u32_e64 v42, s[0:1], v11, v42
	v_addc_co_u32_e32 v23, vcc, v12, v25, vcc
	v_lshlrev_b64 v[24:25], 2, v[4:5]
	v_lshlrev_b64 v[46:47], 2, v[46:47]
	v_addc_co_u32_e64 v43, s[0:1], v12, v43, s[0:1]
	s_waitcnt lgkmcnt(1)
	global_store_dword v[22:23], v44, off
	global_store_dword v[42:43], v45, off
	v_add_co_u32_e32 v22, vcc, v11, v24
	v_add_u32_e32 v19, 0x4000, v19
	v_add_u32_e32 v3, 0x1000, v3
	v_mov_b32_e32 v20, s14
	v_add_co_u32_e64 v46, s[0:1], v11, v46
	v_add_u32_e32 v2, 0x1000, v2
	v_addc_co_u32_e32 v23, vcc, v12, v25, vcc
	v_addc_co_u32_e64 v47, s[0:1], v12, v47, s[0:1]
	s_waitcnt lgkmcnt(0)
	global_store_dword v[22:23], v48, off
	global_store_dword v[46:47], v49, off
	s_andn2_b64 exec, exec, s[12:13]
	s_cbranch_execnz .LBB870_299
; %bb.300:
	s_or_b64 exec, exec, s[12:13]
.LBB870_301:
	s_or_b64 exec, exec, s[10:11]
	v_and_b32_e32 v1, 7, v15
	v_cmp_ne_u32_e32 vcc, 0, v1
	s_and_saveexec_b64 s[10:11], vcc
	s_cbranch_execz .LBB870_304
; %bb.302:
	v_lshl_or_b32 v14, v20, 10, v14
	s_mov_b64 s[12:13], 0
	v_mov_b32_e32 v5, 0
.LBB870_303:                            ; =>This Inner Loop Header: Depth=1
	ds_read2st64_b32 v[18:19], v14 offset1:4
	v_mov_b32_e32 v4, v2
	v_add_u32_e32 v1, -1, v1
	v_lshlrev_b64 v[20:21], 2, v[4:5]
	v_mov_b32_e32 v4, v3
	v_cmp_eq_u32_e32 vcc, 0, v1
	v_add_co_u32_e64 v20, s[0:1], v11, v20
	v_lshlrev_b64 v[22:23], 2, v[4:5]
	v_add_u32_e32 v2, 0x200, v2
	v_add_u32_e32 v14, 0x800, v14
	;; [unrolled: 1-line block ×3, first 2 shown]
	v_addc_co_u32_e64 v21, s[0:1], v12, v21, s[0:1]
	s_or_b64 s[12:13], vcc, s[12:13]
	v_add_co_u32_e32 v22, vcc, v11, v22
	v_addc_co_u32_e32 v23, vcc, v12, v23, vcc
	s_waitcnt lgkmcnt(0)
	global_store_dword v[20:21], v18, off
	global_store_dword v[22:23], v19, off
	s_andn2_b64 exec, exec, s[12:13]
	s_cbranch_execnz .LBB870_303
.LBB870_304:
	s_or_b64 exec, exec, s[10:11]
	v_add_u32_e32 v1, 1, v13
	v_and_b32_e32 v3, 0x1fffffe, v1
	v_cmp_ne_u32_e32 vcc, v1, v3
	v_lshl_or_b32 v2, v3, 8, v0
	s_orn2_b64 s[0:1], vcc, exec
.LBB870_305:
	s_or_b64 exec, exec, s[8:9]
	s_andn2_b64 s[4:5], s[4:5], exec
	s_and_b64 s[0:1], s[0:1], exec
	s_or_b64 s[4:5], s[4:5], s[0:1]
.LBB870_306:
	s_or_b64 exec, exec, s[6:7]
	s_and_b64 exec, exec, s[4:5]
	s_cbranch_execz .LBB870_309
; %bb.307:
	v_lshlrev_b32_e32 v1, 2, v2
	s_mov_b64 s[0:1], 0
	v_mov_b32_e32 v3, 0
.LBB870_308:                            ; =>This Inner Loop Header: Depth=1
	v_lshlrev_b64 v[4:5], 2, v[2:3]
	ds_read_b32 v13, v1
	v_add_co_u32_e32 v4, vcc, v11, v4
	v_add_u32_e32 v2, 0x100, v2
	v_addc_co_u32_e32 v5, vcc, v12, v5, vcc
	v_cmp_ge_u32_e32 vcc, v2, v7
	v_add_u32_e32 v1, 0x400, v1
	s_or_b64 s[0:1], vcc, s[0:1]
	s_waitcnt lgkmcnt(0)
	global_store_dword v[4:5], v13, off
	s_andn2_b64 exec, exec, s[0:1]
	s_cbranch_execnz .LBB870_308
.LBB870_309:
	s_or_b64 exec, exec, s[2:3]
.LBB870_310:
	s_movk_i32 s0, 0xff
	v_cmp_eq_u32_e32 vcc, s0, v0
	s_and_b64 s[0:1], vcc, s[36:37]
	s_and_saveexec_b64 s[2:3], s[0:1]
	s_cbranch_execz .LBB870_313
; %bb.311:
	v_add_co_u32_e32 v0, vcc, v6, v8
	v_addc_co_u32_e64 v1, s[0:1], 0, 0, vcc
	v_add_co_u32_e32 v0, vcc, v0, v16
	v_mov_b32_e32 v7, 0
	v_addc_co_u32_e32 v1, vcc, v1, v17, vcc
	s_cmpk_lg_i32 s33, 0xf00
	global_store_dwordx2 v7, v[0:1], s[54:55]
	s_cbranch_scc1 .LBB870_313
; %bb.312:
	v_lshlrev_b64 v[0:1], 2, v[6:7]
	v_add_co_u32_e32 v0, vcc, v9, v0
	v_addc_co_u32_e32 v1, vcc, v10, v1, vcc
	global_store_dword v[0:1], v67, off offset:-4
.LBB870_313:
	s_endpgm
	.section	.rodata,"a",@progbits
	.p2align	6, 0x0
	.amdhsa_kernel _ZN7rocprim17ROCPRIM_400000_NS6detail17trampoline_kernelINS0_14default_configENS1_29reduce_by_key_config_selectorIsjN6thrust23THRUST_200600_302600_NS4plusIjEEEEZZNS1_33reduce_by_key_impl_wrapped_configILNS1_25lookback_scan_determinismE0ES3_S9_NS6_6detail15normal_iteratorINS6_10device_ptrIsEEEENSD_INSE_IjEEEESG_SI_PmS8_NS6_8equal_toIsEEEE10hipError_tPvRmT2_T3_mT4_T5_T6_T7_T8_P12ihipStream_tbENKUlT_T0_E_clISt17integral_constantIbLb0EES12_IbLb1EEEEDaSY_SZ_EUlSY_E_NS1_11comp_targetILNS1_3genE4ELNS1_11target_archE910ELNS1_3gpuE8ELNS1_3repE0EEENS1_30default_config_static_selectorELNS0_4arch9wavefront6targetE1EEEvT1_
		.amdhsa_group_segment_fixed_size 15360
		.amdhsa_private_segment_fixed_size 0
		.amdhsa_kernarg_size 120
		.amdhsa_user_sgpr_count 6
		.amdhsa_user_sgpr_private_segment_buffer 1
		.amdhsa_user_sgpr_dispatch_ptr 0
		.amdhsa_user_sgpr_queue_ptr 0
		.amdhsa_user_sgpr_kernarg_segment_ptr 1
		.amdhsa_user_sgpr_dispatch_id 0
		.amdhsa_user_sgpr_flat_scratch_init 0
		.amdhsa_user_sgpr_kernarg_preload_length 0
		.amdhsa_user_sgpr_kernarg_preload_offset 0
		.amdhsa_user_sgpr_private_segment_size 0
		.amdhsa_uses_dynamic_stack 0
		.amdhsa_system_sgpr_private_segment_wavefront_offset 0
		.amdhsa_system_sgpr_workgroup_id_x 1
		.amdhsa_system_sgpr_workgroup_id_y 0
		.amdhsa_system_sgpr_workgroup_id_z 0
		.amdhsa_system_sgpr_workgroup_info 0
		.amdhsa_system_vgpr_workitem_id 0
		.amdhsa_next_free_vgpr 108
		.amdhsa_next_free_sgpr 66
		.amdhsa_accum_offset 108
		.amdhsa_reserve_vcc 1
		.amdhsa_reserve_flat_scratch 0
		.amdhsa_float_round_mode_32 0
		.amdhsa_float_round_mode_16_64 0
		.amdhsa_float_denorm_mode_32 3
		.amdhsa_float_denorm_mode_16_64 3
		.amdhsa_dx10_clamp 1
		.amdhsa_ieee_mode 1
		.amdhsa_fp16_overflow 0
		.amdhsa_tg_split 0
		.amdhsa_exception_fp_ieee_invalid_op 0
		.amdhsa_exception_fp_denorm_src 0
		.amdhsa_exception_fp_ieee_div_zero 0
		.amdhsa_exception_fp_ieee_overflow 0
		.amdhsa_exception_fp_ieee_underflow 0
		.amdhsa_exception_fp_ieee_inexact 0
		.amdhsa_exception_int_div_zero 0
	.end_amdhsa_kernel
	.section	.text._ZN7rocprim17ROCPRIM_400000_NS6detail17trampoline_kernelINS0_14default_configENS1_29reduce_by_key_config_selectorIsjN6thrust23THRUST_200600_302600_NS4plusIjEEEEZZNS1_33reduce_by_key_impl_wrapped_configILNS1_25lookback_scan_determinismE0ES3_S9_NS6_6detail15normal_iteratorINS6_10device_ptrIsEEEENSD_INSE_IjEEEESG_SI_PmS8_NS6_8equal_toIsEEEE10hipError_tPvRmT2_T3_mT4_T5_T6_T7_T8_P12ihipStream_tbENKUlT_T0_E_clISt17integral_constantIbLb0EES12_IbLb1EEEEDaSY_SZ_EUlSY_E_NS1_11comp_targetILNS1_3genE4ELNS1_11target_archE910ELNS1_3gpuE8ELNS1_3repE0EEENS1_30default_config_static_selectorELNS0_4arch9wavefront6targetE1EEEvT1_,"axG",@progbits,_ZN7rocprim17ROCPRIM_400000_NS6detail17trampoline_kernelINS0_14default_configENS1_29reduce_by_key_config_selectorIsjN6thrust23THRUST_200600_302600_NS4plusIjEEEEZZNS1_33reduce_by_key_impl_wrapped_configILNS1_25lookback_scan_determinismE0ES3_S9_NS6_6detail15normal_iteratorINS6_10device_ptrIsEEEENSD_INSE_IjEEEESG_SI_PmS8_NS6_8equal_toIsEEEE10hipError_tPvRmT2_T3_mT4_T5_T6_T7_T8_P12ihipStream_tbENKUlT_T0_E_clISt17integral_constantIbLb0EES12_IbLb1EEEEDaSY_SZ_EUlSY_E_NS1_11comp_targetILNS1_3genE4ELNS1_11target_archE910ELNS1_3gpuE8ELNS1_3repE0EEENS1_30default_config_static_selectorELNS0_4arch9wavefront6targetE1EEEvT1_,comdat
.Lfunc_end870:
	.size	_ZN7rocprim17ROCPRIM_400000_NS6detail17trampoline_kernelINS0_14default_configENS1_29reduce_by_key_config_selectorIsjN6thrust23THRUST_200600_302600_NS4plusIjEEEEZZNS1_33reduce_by_key_impl_wrapped_configILNS1_25lookback_scan_determinismE0ES3_S9_NS6_6detail15normal_iteratorINS6_10device_ptrIsEEEENSD_INSE_IjEEEESG_SI_PmS8_NS6_8equal_toIsEEEE10hipError_tPvRmT2_T3_mT4_T5_T6_T7_T8_P12ihipStream_tbENKUlT_T0_E_clISt17integral_constantIbLb0EES12_IbLb1EEEEDaSY_SZ_EUlSY_E_NS1_11comp_targetILNS1_3genE4ELNS1_11target_archE910ELNS1_3gpuE8ELNS1_3repE0EEENS1_30default_config_static_selectorELNS0_4arch9wavefront6targetE1EEEvT1_, .Lfunc_end870-_ZN7rocprim17ROCPRIM_400000_NS6detail17trampoline_kernelINS0_14default_configENS1_29reduce_by_key_config_selectorIsjN6thrust23THRUST_200600_302600_NS4plusIjEEEEZZNS1_33reduce_by_key_impl_wrapped_configILNS1_25lookback_scan_determinismE0ES3_S9_NS6_6detail15normal_iteratorINS6_10device_ptrIsEEEENSD_INSE_IjEEEESG_SI_PmS8_NS6_8equal_toIsEEEE10hipError_tPvRmT2_T3_mT4_T5_T6_T7_T8_P12ihipStream_tbENKUlT_T0_E_clISt17integral_constantIbLb0EES12_IbLb1EEEEDaSY_SZ_EUlSY_E_NS1_11comp_targetILNS1_3genE4ELNS1_11target_archE910ELNS1_3gpuE8ELNS1_3repE0EEENS1_30default_config_static_selectorELNS0_4arch9wavefront6targetE1EEEvT1_
                                        ; -- End function
	.section	.AMDGPU.csdata,"",@progbits
; Kernel info:
; codeLenInByte = 17684
; NumSgprs: 70
; NumVgprs: 108
; NumAgprs: 0
; TotalNumVgprs: 108
; ScratchSize: 0
; MemoryBound: 0
; FloatMode: 240
; IeeeMode: 1
; LDSByteSize: 15360 bytes/workgroup (compile time only)
; SGPRBlocks: 8
; VGPRBlocks: 13
; NumSGPRsForWavesPerEU: 70
; NumVGPRsForWavesPerEU: 108
; AccumOffset: 108
; Occupancy: 4
; WaveLimiterHint : 1
; COMPUTE_PGM_RSRC2:SCRATCH_EN: 0
; COMPUTE_PGM_RSRC2:USER_SGPR: 6
; COMPUTE_PGM_RSRC2:TRAP_HANDLER: 0
; COMPUTE_PGM_RSRC2:TGID_X_EN: 1
; COMPUTE_PGM_RSRC2:TGID_Y_EN: 0
; COMPUTE_PGM_RSRC2:TGID_Z_EN: 0
; COMPUTE_PGM_RSRC2:TIDIG_COMP_CNT: 0
; COMPUTE_PGM_RSRC3_GFX90A:ACCUM_OFFSET: 26
; COMPUTE_PGM_RSRC3_GFX90A:TG_SPLIT: 0
	.section	.text._ZN7rocprim17ROCPRIM_400000_NS6detail17trampoline_kernelINS0_14default_configENS1_29reduce_by_key_config_selectorIsjN6thrust23THRUST_200600_302600_NS4plusIjEEEEZZNS1_33reduce_by_key_impl_wrapped_configILNS1_25lookback_scan_determinismE0ES3_S9_NS6_6detail15normal_iteratorINS6_10device_ptrIsEEEENSD_INSE_IjEEEESG_SI_PmS8_NS6_8equal_toIsEEEE10hipError_tPvRmT2_T3_mT4_T5_T6_T7_T8_P12ihipStream_tbENKUlT_T0_E_clISt17integral_constantIbLb0EES12_IbLb1EEEEDaSY_SZ_EUlSY_E_NS1_11comp_targetILNS1_3genE3ELNS1_11target_archE908ELNS1_3gpuE7ELNS1_3repE0EEENS1_30default_config_static_selectorELNS0_4arch9wavefront6targetE1EEEvT1_,"axG",@progbits,_ZN7rocprim17ROCPRIM_400000_NS6detail17trampoline_kernelINS0_14default_configENS1_29reduce_by_key_config_selectorIsjN6thrust23THRUST_200600_302600_NS4plusIjEEEEZZNS1_33reduce_by_key_impl_wrapped_configILNS1_25lookback_scan_determinismE0ES3_S9_NS6_6detail15normal_iteratorINS6_10device_ptrIsEEEENSD_INSE_IjEEEESG_SI_PmS8_NS6_8equal_toIsEEEE10hipError_tPvRmT2_T3_mT4_T5_T6_T7_T8_P12ihipStream_tbENKUlT_T0_E_clISt17integral_constantIbLb0EES12_IbLb1EEEEDaSY_SZ_EUlSY_E_NS1_11comp_targetILNS1_3genE3ELNS1_11target_archE908ELNS1_3gpuE7ELNS1_3repE0EEENS1_30default_config_static_selectorELNS0_4arch9wavefront6targetE1EEEvT1_,comdat
	.protected	_ZN7rocprim17ROCPRIM_400000_NS6detail17trampoline_kernelINS0_14default_configENS1_29reduce_by_key_config_selectorIsjN6thrust23THRUST_200600_302600_NS4plusIjEEEEZZNS1_33reduce_by_key_impl_wrapped_configILNS1_25lookback_scan_determinismE0ES3_S9_NS6_6detail15normal_iteratorINS6_10device_ptrIsEEEENSD_INSE_IjEEEESG_SI_PmS8_NS6_8equal_toIsEEEE10hipError_tPvRmT2_T3_mT4_T5_T6_T7_T8_P12ihipStream_tbENKUlT_T0_E_clISt17integral_constantIbLb0EES12_IbLb1EEEEDaSY_SZ_EUlSY_E_NS1_11comp_targetILNS1_3genE3ELNS1_11target_archE908ELNS1_3gpuE7ELNS1_3repE0EEENS1_30default_config_static_selectorELNS0_4arch9wavefront6targetE1EEEvT1_ ; -- Begin function _ZN7rocprim17ROCPRIM_400000_NS6detail17trampoline_kernelINS0_14default_configENS1_29reduce_by_key_config_selectorIsjN6thrust23THRUST_200600_302600_NS4plusIjEEEEZZNS1_33reduce_by_key_impl_wrapped_configILNS1_25lookback_scan_determinismE0ES3_S9_NS6_6detail15normal_iteratorINS6_10device_ptrIsEEEENSD_INSE_IjEEEESG_SI_PmS8_NS6_8equal_toIsEEEE10hipError_tPvRmT2_T3_mT4_T5_T6_T7_T8_P12ihipStream_tbENKUlT_T0_E_clISt17integral_constantIbLb0EES12_IbLb1EEEEDaSY_SZ_EUlSY_E_NS1_11comp_targetILNS1_3genE3ELNS1_11target_archE908ELNS1_3gpuE7ELNS1_3repE0EEENS1_30default_config_static_selectorELNS0_4arch9wavefront6targetE1EEEvT1_
	.globl	_ZN7rocprim17ROCPRIM_400000_NS6detail17trampoline_kernelINS0_14default_configENS1_29reduce_by_key_config_selectorIsjN6thrust23THRUST_200600_302600_NS4plusIjEEEEZZNS1_33reduce_by_key_impl_wrapped_configILNS1_25lookback_scan_determinismE0ES3_S9_NS6_6detail15normal_iteratorINS6_10device_ptrIsEEEENSD_INSE_IjEEEESG_SI_PmS8_NS6_8equal_toIsEEEE10hipError_tPvRmT2_T3_mT4_T5_T6_T7_T8_P12ihipStream_tbENKUlT_T0_E_clISt17integral_constantIbLb0EES12_IbLb1EEEEDaSY_SZ_EUlSY_E_NS1_11comp_targetILNS1_3genE3ELNS1_11target_archE908ELNS1_3gpuE7ELNS1_3repE0EEENS1_30default_config_static_selectorELNS0_4arch9wavefront6targetE1EEEvT1_
	.p2align	8
	.type	_ZN7rocprim17ROCPRIM_400000_NS6detail17trampoline_kernelINS0_14default_configENS1_29reduce_by_key_config_selectorIsjN6thrust23THRUST_200600_302600_NS4plusIjEEEEZZNS1_33reduce_by_key_impl_wrapped_configILNS1_25lookback_scan_determinismE0ES3_S9_NS6_6detail15normal_iteratorINS6_10device_ptrIsEEEENSD_INSE_IjEEEESG_SI_PmS8_NS6_8equal_toIsEEEE10hipError_tPvRmT2_T3_mT4_T5_T6_T7_T8_P12ihipStream_tbENKUlT_T0_E_clISt17integral_constantIbLb0EES12_IbLb1EEEEDaSY_SZ_EUlSY_E_NS1_11comp_targetILNS1_3genE3ELNS1_11target_archE908ELNS1_3gpuE7ELNS1_3repE0EEENS1_30default_config_static_selectorELNS0_4arch9wavefront6targetE1EEEvT1_,@function
_ZN7rocprim17ROCPRIM_400000_NS6detail17trampoline_kernelINS0_14default_configENS1_29reduce_by_key_config_selectorIsjN6thrust23THRUST_200600_302600_NS4plusIjEEEEZZNS1_33reduce_by_key_impl_wrapped_configILNS1_25lookback_scan_determinismE0ES3_S9_NS6_6detail15normal_iteratorINS6_10device_ptrIsEEEENSD_INSE_IjEEEESG_SI_PmS8_NS6_8equal_toIsEEEE10hipError_tPvRmT2_T3_mT4_T5_T6_T7_T8_P12ihipStream_tbENKUlT_T0_E_clISt17integral_constantIbLb0EES12_IbLb1EEEEDaSY_SZ_EUlSY_E_NS1_11comp_targetILNS1_3genE3ELNS1_11target_archE908ELNS1_3gpuE7ELNS1_3repE0EEENS1_30default_config_static_selectorELNS0_4arch9wavefront6targetE1EEEvT1_: ; @_ZN7rocprim17ROCPRIM_400000_NS6detail17trampoline_kernelINS0_14default_configENS1_29reduce_by_key_config_selectorIsjN6thrust23THRUST_200600_302600_NS4plusIjEEEEZZNS1_33reduce_by_key_impl_wrapped_configILNS1_25lookback_scan_determinismE0ES3_S9_NS6_6detail15normal_iteratorINS6_10device_ptrIsEEEENSD_INSE_IjEEEESG_SI_PmS8_NS6_8equal_toIsEEEE10hipError_tPvRmT2_T3_mT4_T5_T6_T7_T8_P12ihipStream_tbENKUlT_T0_E_clISt17integral_constantIbLb0EES12_IbLb1EEEEDaSY_SZ_EUlSY_E_NS1_11comp_targetILNS1_3genE3ELNS1_11target_archE908ELNS1_3gpuE7ELNS1_3repE0EEENS1_30default_config_static_selectorELNS0_4arch9wavefront6targetE1EEEvT1_
; %bb.0:
	.section	.rodata,"a",@progbits
	.p2align	6, 0x0
	.amdhsa_kernel _ZN7rocprim17ROCPRIM_400000_NS6detail17trampoline_kernelINS0_14default_configENS1_29reduce_by_key_config_selectorIsjN6thrust23THRUST_200600_302600_NS4plusIjEEEEZZNS1_33reduce_by_key_impl_wrapped_configILNS1_25lookback_scan_determinismE0ES3_S9_NS6_6detail15normal_iteratorINS6_10device_ptrIsEEEENSD_INSE_IjEEEESG_SI_PmS8_NS6_8equal_toIsEEEE10hipError_tPvRmT2_T3_mT4_T5_T6_T7_T8_P12ihipStream_tbENKUlT_T0_E_clISt17integral_constantIbLb0EES12_IbLb1EEEEDaSY_SZ_EUlSY_E_NS1_11comp_targetILNS1_3genE3ELNS1_11target_archE908ELNS1_3gpuE7ELNS1_3repE0EEENS1_30default_config_static_selectorELNS0_4arch9wavefront6targetE1EEEvT1_
		.amdhsa_group_segment_fixed_size 0
		.amdhsa_private_segment_fixed_size 0
		.amdhsa_kernarg_size 120
		.amdhsa_user_sgpr_count 6
		.amdhsa_user_sgpr_private_segment_buffer 1
		.amdhsa_user_sgpr_dispatch_ptr 0
		.amdhsa_user_sgpr_queue_ptr 0
		.amdhsa_user_sgpr_kernarg_segment_ptr 1
		.amdhsa_user_sgpr_dispatch_id 0
		.amdhsa_user_sgpr_flat_scratch_init 0
		.amdhsa_user_sgpr_kernarg_preload_length 0
		.amdhsa_user_sgpr_kernarg_preload_offset 0
		.amdhsa_user_sgpr_private_segment_size 0
		.amdhsa_uses_dynamic_stack 0
		.amdhsa_system_sgpr_private_segment_wavefront_offset 0
		.amdhsa_system_sgpr_workgroup_id_x 1
		.amdhsa_system_sgpr_workgroup_id_y 0
		.amdhsa_system_sgpr_workgroup_id_z 0
		.amdhsa_system_sgpr_workgroup_info 0
		.amdhsa_system_vgpr_workitem_id 0
		.amdhsa_next_free_vgpr 1
		.amdhsa_next_free_sgpr 0
		.amdhsa_accum_offset 4
		.amdhsa_reserve_vcc 0
		.amdhsa_reserve_flat_scratch 0
		.amdhsa_float_round_mode_32 0
		.amdhsa_float_round_mode_16_64 0
		.amdhsa_float_denorm_mode_32 3
		.amdhsa_float_denorm_mode_16_64 3
		.amdhsa_dx10_clamp 1
		.amdhsa_ieee_mode 1
		.amdhsa_fp16_overflow 0
		.amdhsa_tg_split 0
		.amdhsa_exception_fp_ieee_invalid_op 0
		.amdhsa_exception_fp_denorm_src 0
		.amdhsa_exception_fp_ieee_div_zero 0
		.amdhsa_exception_fp_ieee_overflow 0
		.amdhsa_exception_fp_ieee_underflow 0
		.amdhsa_exception_fp_ieee_inexact 0
		.amdhsa_exception_int_div_zero 0
	.end_amdhsa_kernel
	.section	.text._ZN7rocprim17ROCPRIM_400000_NS6detail17trampoline_kernelINS0_14default_configENS1_29reduce_by_key_config_selectorIsjN6thrust23THRUST_200600_302600_NS4plusIjEEEEZZNS1_33reduce_by_key_impl_wrapped_configILNS1_25lookback_scan_determinismE0ES3_S9_NS6_6detail15normal_iteratorINS6_10device_ptrIsEEEENSD_INSE_IjEEEESG_SI_PmS8_NS6_8equal_toIsEEEE10hipError_tPvRmT2_T3_mT4_T5_T6_T7_T8_P12ihipStream_tbENKUlT_T0_E_clISt17integral_constantIbLb0EES12_IbLb1EEEEDaSY_SZ_EUlSY_E_NS1_11comp_targetILNS1_3genE3ELNS1_11target_archE908ELNS1_3gpuE7ELNS1_3repE0EEENS1_30default_config_static_selectorELNS0_4arch9wavefront6targetE1EEEvT1_,"axG",@progbits,_ZN7rocprim17ROCPRIM_400000_NS6detail17trampoline_kernelINS0_14default_configENS1_29reduce_by_key_config_selectorIsjN6thrust23THRUST_200600_302600_NS4plusIjEEEEZZNS1_33reduce_by_key_impl_wrapped_configILNS1_25lookback_scan_determinismE0ES3_S9_NS6_6detail15normal_iteratorINS6_10device_ptrIsEEEENSD_INSE_IjEEEESG_SI_PmS8_NS6_8equal_toIsEEEE10hipError_tPvRmT2_T3_mT4_T5_T6_T7_T8_P12ihipStream_tbENKUlT_T0_E_clISt17integral_constantIbLb0EES12_IbLb1EEEEDaSY_SZ_EUlSY_E_NS1_11comp_targetILNS1_3genE3ELNS1_11target_archE908ELNS1_3gpuE7ELNS1_3repE0EEENS1_30default_config_static_selectorELNS0_4arch9wavefront6targetE1EEEvT1_,comdat
.Lfunc_end871:
	.size	_ZN7rocprim17ROCPRIM_400000_NS6detail17trampoline_kernelINS0_14default_configENS1_29reduce_by_key_config_selectorIsjN6thrust23THRUST_200600_302600_NS4plusIjEEEEZZNS1_33reduce_by_key_impl_wrapped_configILNS1_25lookback_scan_determinismE0ES3_S9_NS6_6detail15normal_iteratorINS6_10device_ptrIsEEEENSD_INSE_IjEEEESG_SI_PmS8_NS6_8equal_toIsEEEE10hipError_tPvRmT2_T3_mT4_T5_T6_T7_T8_P12ihipStream_tbENKUlT_T0_E_clISt17integral_constantIbLb0EES12_IbLb1EEEEDaSY_SZ_EUlSY_E_NS1_11comp_targetILNS1_3genE3ELNS1_11target_archE908ELNS1_3gpuE7ELNS1_3repE0EEENS1_30default_config_static_selectorELNS0_4arch9wavefront6targetE1EEEvT1_, .Lfunc_end871-_ZN7rocprim17ROCPRIM_400000_NS6detail17trampoline_kernelINS0_14default_configENS1_29reduce_by_key_config_selectorIsjN6thrust23THRUST_200600_302600_NS4plusIjEEEEZZNS1_33reduce_by_key_impl_wrapped_configILNS1_25lookback_scan_determinismE0ES3_S9_NS6_6detail15normal_iteratorINS6_10device_ptrIsEEEENSD_INSE_IjEEEESG_SI_PmS8_NS6_8equal_toIsEEEE10hipError_tPvRmT2_T3_mT4_T5_T6_T7_T8_P12ihipStream_tbENKUlT_T0_E_clISt17integral_constantIbLb0EES12_IbLb1EEEEDaSY_SZ_EUlSY_E_NS1_11comp_targetILNS1_3genE3ELNS1_11target_archE908ELNS1_3gpuE7ELNS1_3repE0EEENS1_30default_config_static_selectorELNS0_4arch9wavefront6targetE1EEEvT1_
                                        ; -- End function
	.section	.AMDGPU.csdata,"",@progbits
; Kernel info:
; codeLenInByte = 0
; NumSgprs: 4
; NumVgprs: 0
; NumAgprs: 0
; TotalNumVgprs: 0
; ScratchSize: 0
; MemoryBound: 0
; FloatMode: 240
; IeeeMode: 1
; LDSByteSize: 0 bytes/workgroup (compile time only)
; SGPRBlocks: 0
; VGPRBlocks: 0
; NumSGPRsForWavesPerEU: 4
; NumVGPRsForWavesPerEU: 1
; AccumOffset: 4
; Occupancy: 8
; WaveLimiterHint : 0
; COMPUTE_PGM_RSRC2:SCRATCH_EN: 0
; COMPUTE_PGM_RSRC2:USER_SGPR: 6
; COMPUTE_PGM_RSRC2:TRAP_HANDLER: 0
; COMPUTE_PGM_RSRC2:TGID_X_EN: 1
; COMPUTE_PGM_RSRC2:TGID_Y_EN: 0
; COMPUTE_PGM_RSRC2:TGID_Z_EN: 0
; COMPUTE_PGM_RSRC2:TIDIG_COMP_CNT: 0
; COMPUTE_PGM_RSRC3_GFX90A:ACCUM_OFFSET: 0
; COMPUTE_PGM_RSRC3_GFX90A:TG_SPLIT: 0
	.section	.text._ZN7rocprim17ROCPRIM_400000_NS6detail17trampoline_kernelINS0_14default_configENS1_29reduce_by_key_config_selectorIsjN6thrust23THRUST_200600_302600_NS4plusIjEEEEZZNS1_33reduce_by_key_impl_wrapped_configILNS1_25lookback_scan_determinismE0ES3_S9_NS6_6detail15normal_iteratorINS6_10device_ptrIsEEEENSD_INSE_IjEEEESG_SI_PmS8_NS6_8equal_toIsEEEE10hipError_tPvRmT2_T3_mT4_T5_T6_T7_T8_P12ihipStream_tbENKUlT_T0_E_clISt17integral_constantIbLb0EES12_IbLb1EEEEDaSY_SZ_EUlSY_E_NS1_11comp_targetILNS1_3genE2ELNS1_11target_archE906ELNS1_3gpuE6ELNS1_3repE0EEENS1_30default_config_static_selectorELNS0_4arch9wavefront6targetE1EEEvT1_,"axG",@progbits,_ZN7rocprim17ROCPRIM_400000_NS6detail17trampoline_kernelINS0_14default_configENS1_29reduce_by_key_config_selectorIsjN6thrust23THRUST_200600_302600_NS4plusIjEEEEZZNS1_33reduce_by_key_impl_wrapped_configILNS1_25lookback_scan_determinismE0ES3_S9_NS6_6detail15normal_iteratorINS6_10device_ptrIsEEEENSD_INSE_IjEEEESG_SI_PmS8_NS6_8equal_toIsEEEE10hipError_tPvRmT2_T3_mT4_T5_T6_T7_T8_P12ihipStream_tbENKUlT_T0_E_clISt17integral_constantIbLb0EES12_IbLb1EEEEDaSY_SZ_EUlSY_E_NS1_11comp_targetILNS1_3genE2ELNS1_11target_archE906ELNS1_3gpuE6ELNS1_3repE0EEENS1_30default_config_static_selectorELNS0_4arch9wavefront6targetE1EEEvT1_,comdat
	.protected	_ZN7rocprim17ROCPRIM_400000_NS6detail17trampoline_kernelINS0_14default_configENS1_29reduce_by_key_config_selectorIsjN6thrust23THRUST_200600_302600_NS4plusIjEEEEZZNS1_33reduce_by_key_impl_wrapped_configILNS1_25lookback_scan_determinismE0ES3_S9_NS6_6detail15normal_iteratorINS6_10device_ptrIsEEEENSD_INSE_IjEEEESG_SI_PmS8_NS6_8equal_toIsEEEE10hipError_tPvRmT2_T3_mT4_T5_T6_T7_T8_P12ihipStream_tbENKUlT_T0_E_clISt17integral_constantIbLb0EES12_IbLb1EEEEDaSY_SZ_EUlSY_E_NS1_11comp_targetILNS1_3genE2ELNS1_11target_archE906ELNS1_3gpuE6ELNS1_3repE0EEENS1_30default_config_static_selectorELNS0_4arch9wavefront6targetE1EEEvT1_ ; -- Begin function _ZN7rocprim17ROCPRIM_400000_NS6detail17trampoline_kernelINS0_14default_configENS1_29reduce_by_key_config_selectorIsjN6thrust23THRUST_200600_302600_NS4plusIjEEEEZZNS1_33reduce_by_key_impl_wrapped_configILNS1_25lookback_scan_determinismE0ES3_S9_NS6_6detail15normal_iteratorINS6_10device_ptrIsEEEENSD_INSE_IjEEEESG_SI_PmS8_NS6_8equal_toIsEEEE10hipError_tPvRmT2_T3_mT4_T5_T6_T7_T8_P12ihipStream_tbENKUlT_T0_E_clISt17integral_constantIbLb0EES12_IbLb1EEEEDaSY_SZ_EUlSY_E_NS1_11comp_targetILNS1_3genE2ELNS1_11target_archE906ELNS1_3gpuE6ELNS1_3repE0EEENS1_30default_config_static_selectorELNS0_4arch9wavefront6targetE1EEEvT1_
	.globl	_ZN7rocprim17ROCPRIM_400000_NS6detail17trampoline_kernelINS0_14default_configENS1_29reduce_by_key_config_selectorIsjN6thrust23THRUST_200600_302600_NS4plusIjEEEEZZNS1_33reduce_by_key_impl_wrapped_configILNS1_25lookback_scan_determinismE0ES3_S9_NS6_6detail15normal_iteratorINS6_10device_ptrIsEEEENSD_INSE_IjEEEESG_SI_PmS8_NS6_8equal_toIsEEEE10hipError_tPvRmT2_T3_mT4_T5_T6_T7_T8_P12ihipStream_tbENKUlT_T0_E_clISt17integral_constantIbLb0EES12_IbLb1EEEEDaSY_SZ_EUlSY_E_NS1_11comp_targetILNS1_3genE2ELNS1_11target_archE906ELNS1_3gpuE6ELNS1_3repE0EEENS1_30default_config_static_selectorELNS0_4arch9wavefront6targetE1EEEvT1_
	.p2align	8
	.type	_ZN7rocprim17ROCPRIM_400000_NS6detail17trampoline_kernelINS0_14default_configENS1_29reduce_by_key_config_selectorIsjN6thrust23THRUST_200600_302600_NS4plusIjEEEEZZNS1_33reduce_by_key_impl_wrapped_configILNS1_25lookback_scan_determinismE0ES3_S9_NS6_6detail15normal_iteratorINS6_10device_ptrIsEEEENSD_INSE_IjEEEESG_SI_PmS8_NS6_8equal_toIsEEEE10hipError_tPvRmT2_T3_mT4_T5_T6_T7_T8_P12ihipStream_tbENKUlT_T0_E_clISt17integral_constantIbLb0EES12_IbLb1EEEEDaSY_SZ_EUlSY_E_NS1_11comp_targetILNS1_3genE2ELNS1_11target_archE906ELNS1_3gpuE6ELNS1_3repE0EEENS1_30default_config_static_selectorELNS0_4arch9wavefront6targetE1EEEvT1_,@function
_ZN7rocprim17ROCPRIM_400000_NS6detail17trampoline_kernelINS0_14default_configENS1_29reduce_by_key_config_selectorIsjN6thrust23THRUST_200600_302600_NS4plusIjEEEEZZNS1_33reduce_by_key_impl_wrapped_configILNS1_25lookback_scan_determinismE0ES3_S9_NS6_6detail15normal_iteratorINS6_10device_ptrIsEEEENSD_INSE_IjEEEESG_SI_PmS8_NS6_8equal_toIsEEEE10hipError_tPvRmT2_T3_mT4_T5_T6_T7_T8_P12ihipStream_tbENKUlT_T0_E_clISt17integral_constantIbLb0EES12_IbLb1EEEEDaSY_SZ_EUlSY_E_NS1_11comp_targetILNS1_3genE2ELNS1_11target_archE906ELNS1_3gpuE6ELNS1_3repE0EEENS1_30default_config_static_selectorELNS0_4arch9wavefront6targetE1EEEvT1_: ; @_ZN7rocprim17ROCPRIM_400000_NS6detail17trampoline_kernelINS0_14default_configENS1_29reduce_by_key_config_selectorIsjN6thrust23THRUST_200600_302600_NS4plusIjEEEEZZNS1_33reduce_by_key_impl_wrapped_configILNS1_25lookback_scan_determinismE0ES3_S9_NS6_6detail15normal_iteratorINS6_10device_ptrIsEEEENSD_INSE_IjEEEESG_SI_PmS8_NS6_8equal_toIsEEEE10hipError_tPvRmT2_T3_mT4_T5_T6_T7_T8_P12ihipStream_tbENKUlT_T0_E_clISt17integral_constantIbLb0EES12_IbLb1EEEEDaSY_SZ_EUlSY_E_NS1_11comp_targetILNS1_3genE2ELNS1_11target_archE906ELNS1_3gpuE6ELNS1_3repE0EEENS1_30default_config_static_selectorELNS0_4arch9wavefront6targetE1EEEvT1_
; %bb.0:
	.section	.rodata,"a",@progbits
	.p2align	6, 0x0
	.amdhsa_kernel _ZN7rocprim17ROCPRIM_400000_NS6detail17trampoline_kernelINS0_14default_configENS1_29reduce_by_key_config_selectorIsjN6thrust23THRUST_200600_302600_NS4plusIjEEEEZZNS1_33reduce_by_key_impl_wrapped_configILNS1_25lookback_scan_determinismE0ES3_S9_NS6_6detail15normal_iteratorINS6_10device_ptrIsEEEENSD_INSE_IjEEEESG_SI_PmS8_NS6_8equal_toIsEEEE10hipError_tPvRmT2_T3_mT4_T5_T6_T7_T8_P12ihipStream_tbENKUlT_T0_E_clISt17integral_constantIbLb0EES12_IbLb1EEEEDaSY_SZ_EUlSY_E_NS1_11comp_targetILNS1_3genE2ELNS1_11target_archE906ELNS1_3gpuE6ELNS1_3repE0EEENS1_30default_config_static_selectorELNS0_4arch9wavefront6targetE1EEEvT1_
		.amdhsa_group_segment_fixed_size 0
		.amdhsa_private_segment_fixed_size 0
		.amdhsa_kernarg_size 120
		.amdhsa_user_sgpr_count 6
		.amdhsa_user_sgpr_private_segment_buffer 1
		.amdhsa_user_sgpr_dispatch_ptr 0
		.amdhsa_user_sgpr_queue_ptr 0
		.amdhsa_user_sgpr_kernarg_segment_ptr 1
		.amdhsa_user_sgpr_dispatch_id 0
		.amdhsa_user_sgpr_flat_scratch_init 0
		.amdhsa_user_sgpr_kernarg_preload_length 0
		.amdhsa_user_sgpr_kernarg_preload_offset 0
		.amdhsa_user_sgpr_private_segment_size 0
		.amdhsa_uses_dynamic_stack 0
		.amdhsa_system_sgpr_private_segment_wavefront_offset 0
		.amdhsa_system_sgpr_workgroup_id_x 1
		.amdhsa_system_sgpr_workgroup_id_y 0
		.amdhsa_system_sgpr_workgroup_id_z 0
		.amdhsa_system_sgpr_workgroup_info 0
		.amdhsa_system_vgpr_workitem_id 0
		.amdhsa_next_free_vgpr 1
		.amdhsa_next_free_sgpr 0
		.amdhsa_accum_offset 4
		.amdhsa_reserve_vcc 0
		.amdhsa_reserve_flat_scratch 0
		.amdhsa_float_round_mode_32 0
		.amdhsa_float_round_mode_16_64 0
		.amdhsa_float_denorm_mode_32 3
		.amdhsa_float_denorm_mode_16_64 3
		.amdhsa_dx10_clamp 1
		.amdhsa_ieee_mode 1
		.amdhsa_fp16_overflow 0
		.amdhsa_tg_split 0
		.amdhsa_exception_fp_ieee_invalid_op 0
		.amdhsa_exception_fp_denorm_src 0
		.amdhsa_exception_fp_ieee_div_zero 0
		.amdhsa_exception_fp_ieee_overflow 0
		.amdhsa_exception_fp_ieee_underflow 0
		.amdhsa_exception_fp_ieee_inexact 0
		.amdhsa_exception_int_div_zero 0
	.end_amdhsa_kernel
	.section	.text._ZN7rocprim17ROCPRIM_400000_NS6detail17trampoline_kernelINS0_14default_configENS1_29reduce_by_key_config_selectorIsjN6thrust23THRUST_200600_302600_NS4plusIjEEEEZZNS1_33reduce_by_key_impl_wrapped_configILNS1_25lookback_scan_determinismE0ES3_S9_NS6_6detail15normal_iteratorINS6_10device_ptrIsEEEENSD_INSE_IjEEEESG_SI_PmS8_NS6_8equal_toIsEEEE10hipError_tPvRmT2_T3_mT4_T5_T6_T7_T8_P12ihipStream_tbENKUlT_T0_E_clISt17integral_constantIbLb0EES12_IbLb1EEEEDaSY_SZ_EUlSY_E_NS1_11comp_targetILNS1_3genE2ELNS1_11target_archE906ELNS1_3gpuE6ELNS1_3repE0EEENS1_30default_config_static_selectorELNS0_4arch9wavefront6targetE1EEEvT1_,"axG",@progbits,_ZN7rocprim17ROCPRIM_400000_NS6detail17trampoline_kernelINS0_14default_configENS1_29reduce_by_key_config_selectorIsjN6thrust23THRUST_200600_302600_NS4plusIjEEEEZZNS1_33reduce_by_key_impl_wrapped_configILNS1_25lookback_scan_determinismE0ES3_S9_NS6_6detail15normal_iteratorINS6_10device_ptrIsEEEENSD_INSE_IjEEEESG_SI_PmS8_NS6_8equal_toIsEEEE10hipError_tPvRmT2_T3_mT4_T5_T6_T7_T8_P12ihipStream_tbENKUlT_T0_E_clISt17integral_constantIbLb0EES12_IbLb1EEEEDaSY_SZ_EUlSY_E_NS1_11comp_targetILNS1_3genE2ELNS1_11target_archE906ELNS1_3gpuE6ELNS1_3repE0EEENS1_30default_config_static_selectorELNS0_4arch9wavefront6targetE1EEEvT1_,comdat
.Lfunc_end872:
	.size	_ZN7rocprim17ROCPRIM_400000_NS6detail17trampoline_kernelINS0_14default_configENS1_29reduce_by_key_config_selectorIsjN6thrust23THRUST_200600_302600_NS4plusIjEEEEZZNS1_33reduce_by_key_impl_wrapped_configILNS1_25lookback_scan_determinismE0ES3_S9_NS6_6detail15normal_iteratorINS6_10device_ptrIsEEEENSD_INSE_IjEEEESG_SI_PmS8_NS6_8equal_toIsEEEE10hipError_tPvRmT2_T3_mT4_T5_T6_T7_T8_P12ihipStream_tbENKUlT_T0_E_clISt17integral_constantIbLb0EES12_IbLb1EEEEDaSY_SZ_EUlSY_E_NS1_11comp_targetILNS1_3genE2ELNS1_11target_archE906ELNS1_3gpuE6ELNS1_3repE0EEENS1_30default_config_static_selectorELNS0_4arch9wavefront6targetE1EEEvT1_, .Lfunc_end872-_ZN7rocprim17ROCPRIM_400000_NS6detail17trampoline_kernelINS0_14default_configENS1_29reduce_by_key_config_selectorIsjN6thrust23THRUST_200600_302600_NS4plusIjEEEEZZNS1_33reduce_by_key_impl_wrapped_configILNS1_25lookback_scan_determinismE0ES3_S9_NS6_6detail15normal_iteratorINS6_10device_ptrIsEEEENSD_INSE_IjEEEESG_SI_PmS8_NS6_8equal_toIsEEEE10hipError_tPvRmT2_T3_mT4_T5_T6_T7_T8_P12ihipStream_tbENKUlT_T0_E_clISt17integral_constantIbLb0EES12_IbLb1EEEEDaSY_SZ_EUlSY_E_NS1_11comp_targetILNS1_3genE2ELNS1_11target_archE906ELNS1_3gpuE6ELNS1_3repE0EEENS1_30default_config_static_selectorELNS0_4arch9wavefront6targetE1EEEvT1_
                                        ; -- End function
	.section	.AMDGPU.csdata,"",@progbits
; Kernel info:
; codeLenInByte = 0
; NumSgprs: 4
; NumVgprs: 0
; NumAgprs: 0
; TotalNumVgprs: 0
; ScratchSize: 0
; MemoryBound: 0
; FloatMode: 240
; IeeeMode: 1
; LDSByteSize: 0 bytes/workgroup (compile time only)
; SGPRBlocks: 0
; VGPRBlocks: 0
; NumSGPRsForWavesPerEU: 4
; NumVGPRsForWavesPerEU: 1
; AccumOffset: 4
; Occupancy: 8
; WaveLimiterHint : 0
; COMPUTE_PGM_RSRC2:SCRATCH_EN: 0
; COMPUTE_PGM_RSRC2:USER_SGPR: 6
; COMPUTE_PGM_RSRC2:TRAP_HANDLER: 0
; COMPUTE_PGM_RSRC2:TGID_X_EN: 1
; COMPUTE_PGM_RSRC2:TGID_Y_EN: 0
; COMPUTE_PGM_RSRC2:TGID_Z_EN: 0
; COMPUTE_PGM_RSRC2:TIDIG_COMP_CNT: 0
; COMPUTE_PGM_RSRC3_GFX90A:ACCUM_OFFSET: 0
; COMPUTE_PGM_RSRC3_GFX90A:TG_SPLIT: 0
	.section	.text._ZN7rocprim17ROCPRIM_400000_NS6detail17trampoline_kernelINS0_14default_configENS1_29reduce_by_key_config_selectorIsjN6thrust23THRUST_200600_302600_NS4plusIjEEEEZZNS1_33reduce_by_key_impl_wrapped_configILNS1_25lookback_scan_determinismE0ES3_S9_NS6_6detail15normal_iteratorINS6_10device_ptrIsEEEENSD_INSE_IjEEEESG_SI_PmS8_NS6_8equal_toIsEEEE10hipError_tPvRmT2_T3_mT4_T5_T6_T7_T8_P12ihipStream_tbENKUlT_T0_E_clISt17integral_constantIbLb0EES12_IbLb1EEEEDaSY_SZ_EUlSY_E_NS1_11comp_targetILNS1_3genE10ELNS1_11target_archE1201ELNS1_3gpuE5ELNS1_3repE0EEENS1_30default_config_static_selectorELNS0_4arch9wavefront6targetE1EEEvT1_,"axG",@progbits,_ZN7rocprim17ROCPRIM_400000_NS6detail17trampoline_kernelINS0_14default_configENS1_29reduce_by_key_config_selectorIsjN6thrust23THRUST_200600_302600_NS4plusIjEEEEZZNS1_33reduce_by_key_impl_wrapped_configILNS1_25lookback_scan_determinismE0ES3_S9_NS6_6detail15normal_iteratorINS6_10device_ptrIsEEEENSD_INSE_IjEEEESG_SI_PmS8_NS6_8equal_toIsEEEE10hipError_tPvRmT2_T3_mT4_T5_T6_T7_T8_P12ihipStream_tbENKUlT_T0_E_clISt17integral_constantIbLb0EES12_IbLb1EEEEDaSY_SZ_EUlSY_E_NS1_11comp_targetILNS1_3genE10ELNS1_11target_archE1201ELNS1_3gpuE5ELNS1_3repE0EEENS1_30default_config_static_selectorELNS0_4arch9wavefront6targetE1EEEvT1_,comdat
	.protected	_ZN7rocprim17ROCPRIM_400000_NS6detail17trampoline_kernelINS0_14default_configENS1_29reduce_by_key_config_selectorIsjN6thrust23THRUST_200600_302600_NS4plusIjEEEEZZNS1_33reduce_by_key_impl_wrapped_configILNS1_25lookback_scan_determinismE0ES3_S9_NS6_6detail15normal_iteratorINS6_10device_ptrIsEEEENSD_INSE_IjEEEESG_SI_PmS8_NS6_8equal_toIsEEEE10hipError_tPvRmT2_T3_mT4_T5_T6_T7_T8_P12ihipStream_tbENKUlT_T0_E_clISt17integral_constantIbLb0EES12_IbLb1EEEEDaSY_SZ_EUlSY_E_NS1_11comp_targetILNS1_3genE10ELNS1_11target_archE1201ELNS1_3gpuE5ELNS1_3repE0EEENS1_30default_config_static_selectorELNS0_4arch9wavefront6targetE1EEEvT1_ ; -- Begin function _ZN7rocprim17ROCPRIM_400000_NS6detail17trampoline_kernelINS0_14default_configENS1_29reduce_by_key_config_selectorIsjN6thrust23THRUST_200600_302600_NS4plusIjEEEEZZNS1_33reduce_by_key_impl_wrapped_configILNS1_25lookback_scan_determinismE0ES3_S9_NS6_6detail15normal_iteratorINS6_10device_ptrIsEEEENSD_INSE_IjEEEESG_SI_PmS8_NS6_8equal_toIsEEEE10hipError_tPvRmT2_T3_mT4_T5_T6_T7_T8_P12ihipStream_tbENKUlT_T0_E_clISt17integral_constantIbLb0EES12_IbLb1EEEEDaSY_SZ_EUlSY_E_NS1_11comp_targetILNS1_3genE10ELNS1_11target_archE1201ELNS1_3gpuE5ELNS1_3repE0EEENS1_30default_config_static_selectorELNS0_4arch9wavefront6targetE1EEEvT1_
	.globl	_ZN7rocprim17ROCPRIM_400000_NS6detail17trampoline_kernelINS0_14default_configENS1_29reduce_by_key_config_selectorIsjN6thrust23THRUST_200600_302600_NS4plusIjEEEEZZNS1_33reduce_by_key_impl_wrapped_configILNS1_25lookback_scan_determinismE0ES3_S9_NS6_6detail15normal_iteratorINS6_10device_ptrIsEEEENSD_INSE_IjEEEESG_SI_PmS8_NS6_8equal_toIsEEEE10hipError_tPvRmT2_T3_mT4_T5_T6_T7_T8_P12ihipStream_tbENKUlT_T0_E_clISt17integral_constantIbLb0EES12_IbLb1EEEEDaSY_SZ_EUlSY_E_NS1_11comp_targetILNS1_3genE10ELNS1_11target_archE1201ELNS1_3gpuE5ELNS1_3repE0EEENS1_30default_config_static_selectorELNS0_4arch9wavefront6targetE1EEEvT1_
	.p2align	8
	.type	_ZN7rocprim17ROCPRIM_400000_NS6detail17trampoline_kernelINS0_14default_configENS1_29reduce_by_key_config_selectorIsjN6thrust23THRUST_200600_302600_NS4plusIjEEEEZZNS1_33reduce_by_key_impl_wrapped_configILNS1_25lookback_scan_determinismE0ES3_S9_NS6_6detail15normal_iteratorINS6_10device_ptrIsEEEENSD_INSE_IjEEEESG_SI_PmS8_NS6_8equal_toIsEEEE10hipError_tPvRmT2_T3_mT4_T5_T6_T7_T8_P12ihipStream_tbENKUlT_T0_E_clISt17integral_constantIbLb0EES12_IbLb1EEEEDaSY_SZ_EUlSY_E_NS1_11comp_targetILNS1_3genE10ELNS1_11target_archE1201ELNS1_3gpuE5ELNS1_3repE0EEENS1_30default_config_static_selectorELNS0_4arch9wavefront6targetE1EEEvT1_,@function
_ZN7rocprim17ROCPRIM_400000_NS6detail17trampoline_kernelINS0_14default_configENS1_29reduce_by_key_config_selectorIsjN6thrust23THRUST_200600_302600_NS4plusIjEEEEZZNS1_33reduce_by_key_impl_wrapped_configILNS1_25lookback_scan_determinismE0ES3_S9_NS6_6detail15normal_iteratorINS6_10device_ptrIsEEEENSD_INSE_IjEEEESG_SI_PmS8_NS6_8equal_toIsEEEE10hipError_tPvRmT2_T3_mT4_T5_T6_T7_T8_P12ihipStream_tbENKUlT_T0_E_clISt17integral_constantIbLb0EES12_IbLb1EEEEDaSY_SZ_EUlSY_E_NS1_11comp_targetILNS1_3genE10ELNS1_11target_archE1201ELNS1_3gpuE5ELNS1_3repE0EEENS1_30default_config_static_selectorELNS0_4arch9wavefront6targetE1EEEvT1_: ; @_ZN7rocprim17ROCPRIM_400000_NS6detail17trampoline_kernelINS0_14default_configENS1_29reduce_by_key_config_selectorIsjN6thrust23THRUST_200600_302600_NS4plusIjEEEEZZNS1_33reduce_by_key_impl_wrapped_configILNS1_25lookback_scan_determinismE0ES3_S9_NS6_6detail15normal_iteratorINS6_10device_ptrIsEEEENSD_INSE_IjEEEESG_SI_PmS8_NS6_8equal_toIsEEEE10hipError_tPvRmT2_T3_mT4_T5_T6_T7_T8_P12ihipStream_tbENKUlT_T0_E_clISt17integral_constantIbLb0EES12_IbLb1EEEEDaSY_SZ_EUlSY_E_NS1_11comp_targetILNS1_3genE10ELNS1_11target_archE1201ELNS1_3gpuE5ELNS1_3repE0EEENS1_30default_config_static_selectorELNS0_4arch9wavefront6targetE1EEEvT1_
; %bb.0:
	.section	.rodata,"a",@progbits
	.p2align	6, 0x0
	.amdhsa_kernel _ZN7rocprim17ROCPRIM_400000_NS6detail17trampoline_kernelINS0_14default_configENS1_29reduce_by_key_config_selectorIsjN6thrust23THRUST_200600_302600_NS4plusIjEEEEZZNS1_33reduce_by_key_impl_wrapped_configILNS1_25lookback_scan_determinismE0ES3_S9_NS6_6detail15normal_iteratorINS6_10device_ptrIsEEEENSD_INSE_IjEEEESG_SI_PmS8_NS6_8equal_toIsEEEE10hipError_tPvRmT2_T3_mT4_T5_T6_T7_T8_P12ihipStream_tbENKUlT_T0_E_clISt17integral_constantIbLb0EES12_IbLb1EEEEDaSY_SZ_EUlSY_E_NS1_11comp_targetILNS1_3genE10ELNS1_11target_archE1201ELNS1_3gpuE5ELNS1_3repE0EEENS1_30default_config_static_selectorELNS0_4arch9wavefront6targetE1EEEvT1_
		.amdhsa_group_segment_fixed_size 0
		.amdhsa_private_segment_fixed_size 0
		.amdhsa_kernarg_size 120
		.amdhsa_user_sgpr_count 6
		.amdhsa_user_sgpr_private_segment_buffer 1
		.amdhsa_user_sgpr_dispatch_ptr 0
		.amdhsa_user_sgpr_queue_ptr 0
		.amdhsa_user_sgpr_kernarg_segment_ptr 1
		.amdhsa_user_sgpr_dispatch_id 0
		.amdhsa_user_sgpr_flat_scratch_init 0
		.amdhsa_user_sgpr_kernarg_preload_length 0
		.amdhsa_user_sgpr_kernarg_preload_offset 0
		.amdhsa_user_sgpr_private_segment_size 0
		.amdhsa_uses_dynamic_stack 0
		.amdhsa_system_sgpr_private_segment_wavefront_offset 0
		.amdhsa_system_sgpr_workgroup_id_x 1
		.amdhsa_system_sgpr_workgroup_id_y 0
		.amdhsa_system_sgpr_workgroup_id_z 0
		.amdhsa_system_sgpr_workgroup_info 0
		.amdhsa_system_vgpr_workitem_id 0
		.amdhsa_next_free_vgpr 1
		.amdhsa_next_free_sgpr 0
		.amdhsa_accum_offset 4
		.amdhsa_reserve_vcc 0
		.amdhsa_reserve_flat_scratch 0
		.amdhsa_float_round_mode_32 0
		.amdhsa_float_round_mode_16_64 0
		.amdhsa_float_denorm_mode_32 3
		.amdhsa_float_denorm_mode_16_64 3
		.amdhsa_dx10_clamp 1
		.amdhsa_ieee_mode 1
		.amdhsa_fp16_overflow 0
		.amdhsa_tg_split 0
		.amdhsa_exception_fp_ieee_invalid_op 0
		.amdhsa_exception_fp_denorm_src 0
		.amdhsa_exception_fp_ieee_div_zero 0
		.amdhsa_exception_fp_ieee_overflow 0
		.amdhsa_exception_fp_ieee_underflow 0
		.amdhsa_exception_fp_ieee_inexact 0
		.amdhsa_exception_int_div_zero 0
	.end_amdhsa_kernel
	.section	.text._ZN7rocprim17ROCPRIM_400000_NS6detail17trampoline_kernelINS0_14default_configENS1_29reduce_by_key_config_selectorIsjN6thrust23THRUST_200600_302600_NS4plusIjEEEEZZNS1_33reduce_by_key_impl_wrapped_configILNS1_25lookback_scan_determinismE0ES3_S9_NS6_6detail15normal_iteratorINS6_10device_ptrIsEEEENSD_INSE_IjEEEESG_SI_PmS8_NS6_8equal_toIsEEEE10hipError_tPvRmT2_T3_mT4_T5_T6_T7_T8_P12ihipStream_tbENKUlT_T0_E_clISt17integral_constantIbLb0EES12_IbLb1EEEEDaSY_SZ_EUlSY_E_NS1_11comp_targetILNS1_3genE10ELNS1_11target_archE1201ELNS1_3gpuE5ELNS1_3repE0EEENS1_30default_config_static_selectorELNS0_4arch9wavefront6targetE1EEEvT1_,"axG",@progbits,_ZN7rocprim17ROCPRIM_400000_NS6detail17trampoline_kernelINS0_14default_configENS1_29reduce_by_key_config_selectorIsjN6thrust23THRUST_200600_302600_NS4plusIjEEEEZZNS1_33reduce_by_key_impl_wrapped_configILNS1_25lookback_scan_determinismE0ES3_S9_NS6_6detail15normal_iteratorINS6_10device_ptrIsEEEENSD_INSE_IjEEEESG_SI_PmS8_NS6_8equal_toIsEEEE10hipError_tPvRmT2_T3_mT4_T5_T6_T7_T8_P12ihipStream_tbENKUlT_T0_E_clISt17integral_constantIbLb0EES12_IbLb1EEEEDaSY_SZ_EUlSY_E_NS1_11comp_targetILNS1_3genE10ELNS1_11target_archE1201ELNS1_3gpuE5ELNS1_3repE0EEENS1_30default_config_static_selectorELNS0_4arch9wavefront6targetE1EEEvT1_,comdat
.Lfunc_end873:
	.size	_ZN7rocprim17ROCPRIM_400000_NS6detail17trampoline_kernelINS0_14default_configENS1_29reduce_by_key_config_selectorIsjN6thrust23THRUST_200600_302600_NS4plusIjEEEEZZNS1_33reduce_by_key_impl_wrapped_configILNS1_25lookback_scan_determinismE0ES3_S9_NS6_6detail15normal_iteratorINS6_10device_ptrIsEEEENSD_INSE_IjEEEESG_SI_PmS8_NS6_8equal_toIsEEEE10hipError_tPvRmT2_T3_mT4_T5_T6_T7_T8_P12ihipStream_tbENKUlT_T0_E_clISt17integral_constantIbLb0EES12_IbLb1EEEEDaSY_SZ_EUlSY_E_NS1_11comp_targetILNS1_3genE10ELNS1_11target_archE1201ELNS1_3gpuE5ELNS1_3repE0EEENS1_30default_config_static_selectorELNS0_4arch9wavefront6targetE1EEEvT1_, .Lfunc_end873-_ZN7rocprim17ROCPRIM_400000_NS6detail17trampoline_kernelINS0_14default_configENS1_29reduce_by_key_config_selectorIsjN6thrust23THRUST_200600_302600_NS4plusIjEEEEZZNS1_33reduce_by_key_impl_wrapped_configILNS1_25lookback_scan_determinismE0ES3_S9_NS6_6detail15normal_iteratorINS6_10device_ptrIsEEEENSD_INSE_IjEEEESG_SI_PmS8_NS6_8equal_toIsEEEE10hipError_tPvRmT2_T3_mT4_T5_T6_T7_T8_P12ihipStream_tbENKUlT_T0_E_clISt17integral_constantIbLb0EES12_IbLb1EEEEDaSY_SZ_EUlSY_E_NS1_11comp_targetILNS1_3genE10ELNS1_11target_archE1201ELNS1_3gpuE5ELNS1_3repE0EEENS1_30default_config_static_selectorELNS0_4arch9wavefront6targetE1EEEvT1_
                                        ; -- End function
	.section	.AMDGPU.csdata,"",@progbits
; Kernel info:
; codeLenInByte = 0
; NumSgprs: 4
; NumVgprs: 0
; NumAgprs: 0
; TotalNumVgprs: 0
; ScratchSize: 0
; MemoryBound: 0
; FloatMode: 240
; IeeeMode: 1
; LDSByteSize: 0 bytes/workgroup (compile time only)
; SGPRBlocks: 0
; VGPRBlocks: 0
; NumSGPRsForWavesPerEU: 4
; NumVGPRsForWavesPerEU: 1
; AccumOffset: 4
; Occupancy: 8
; WaveLimiterHint : 0
; COMPUTE_PGM_RSRC2:SCRATCH_EN: 0
; COMPUTE_PGM_RSRC2:USER_SGPR: 6
; COMPUTE_PGM_RSRC2:TRAP_HANDLER: 0
; COMPUTE_PGM_RSRC2:TGID_X_EN: 1
; COMPUTE_PGM_RSRC2:TGID_Y_EN: 0
; COMPUTE_PGM_RSRC2:TGID_Z_EN: 0
; COMPUTE_PGM_RSRC2:TIDIG_COMP_CNT: 0
; COMPUTE_PGM_RSRC3_GFX90A:ACCUM_OFFSET: 0
; COMPUTE_PGM_RSRC3_GFX90A:TG_SPLIT: 0
	.section	.text._ZN7rocprim17ROCPRIM_400000_NS6detail17trampoline_kernelINS0_14default_configENS1_29reduce_by_key_config_selectorIsjN6thrust23THRUST_200600_302600_NS4plusIjEEEEZZNS1_33reduce_by_key_impl_wrapped_configILNS1_25lookback_scan_determinismE0ES3_S9_NS6_6detail15normal_iteratorINS6_10device_ptrIsEEEENSD_INSE_IjEEEESG_SI_PmS8_NS6_8equal_toIsEEEE10hipError_tPvRmT2_T3_mT4_T5_T6_T7_T8_P12ihipStream_tbENKUlT_T0_E_clISt17integral_constantIbLb0EES12_IbLb1EEEEDaSY_SZ_EUlSY_E_NS1_11comp_targetILNS1_3genE10ELNS1_11target_archE1200ELNS1_3gpuE4ELNS1_3repE0EEENS1_30default_config_static_selectorELNS0_4arch9wavefront6targetE1EEEvT1_,"axG",@progbits,_ZN7rocprim17ROCPRIM_400000_NS6detail17trampoline_kernelINS0_14default_configENS1_29reduce_by_key_config_selectorIsjN6thrust23THRUST_200600_302600_NS4plusIjEEEEZZNS1_33reduce_by_key_impl_wrapped_configILNS1_25lookback_scan_determinismE0ES3_S9_NS6_6detail15normal_iteratorINS6_10device_ptrIsEEEENSD_INSE_IjEEEESG_SI_PmS8_NS6_8equal_toIsEEEE10hipError_tPvRmT2_T3_mT4_T5_T6_T7_T8_P12ihipStream_tbENKUlT_T0_E_clISt17integral_constantIbLb0EES12_IbLb1EEEEDaSY_SZ_EUlSY_E_NS1_11comp_targetILNS1_3genE10ELNS1_11target_archE1200ELNS1_3gpuE4ELNS1_3repE0EEENS1_30default_config_static_selectorELNS0_4arch9wavefront6targetE1EEEvT1_,comdat
	.protected	_ZN7rocprim17ROCPRIM_400000_NS6detail17trampoline_kernelINS0_14default_configENS1_29reduce_by_key_config_selectorIsjN6thrust23THRUST_200600_302600_NS4plusIjEEEEZZNS1_33reduce_by_key_impl_wrapped_configILNS1_25lookback_scan_determinismE0ES3_S9_NS6_6detail15normal_iteratorINS6_10device_ptrIsEEEENSD_INSE_IjEEEESG_SI_PmS8_NS6_8equal_toIsEEEE10hipError_tPvRmT2_T3_mT4_T5_T6_T7_T8_P12ihipStream_tbENKUlT_T0_E_clISt17integral_constantIbLb0EES12_IbLb1EEEEDaSY_SZ_EUlSY_E_NS1_11comp_targetILNS1_3genE10ELNS1_11target_archE1200ELNS1_3gpuE4ELNS1_3repE0EEENS1_30default_config_static_selectorELNS0_4arch9wavefront6targetE1EEEvT1_ ; -- Begin function _ZN7rocprim17ROCPRIM_400000_NS6detail17trampoline_kernelINS0_14default_configENS1_29reduce_by_key_config_selectorIsjN6thrust23THRUST_200600_302600_NS4plusIjEEEEZZNS1_33reduce_by_key_impl_wrapped_configILNS1_25lookback_scan_determinismE0ES3_S9_NS6_6detail15normal_iteratorINS6_10device_ptrIsEEEENSD_INSE_IjEEEESG_SI_PmS8_NS6_8equal_toIsEEEE10hipError_tPvRmT2_T3_mT4_T5_T6_T7_T8_P12ihipStream_tbENKUlT_T0_E_clISt17integral_constantIbLb0EES12_IbLb1EEEEDaSY_SZ_EUlSY_E_NS1_11comp_targetILNS1_3genE10ELNS1_11target_archE1200ELNS1_3gpuE4ELNS1_3repE0EEENS1_30default_config_static_selectorELNS0_4arch9wavefront6targetE1EEEvT1_
	.globl	_ZN7rocprim17ROCPRIM_400000_NS6detail17trampoline_kernelINS0_14default_configENS1_29reduce_by_key_config_selectorIsjN6thrust23THRUST_200600_302600_NS4plusIjEEEEZZNS1_33reduce_by_key_impl_wrapped_configILNS1_25lookback_scan_determinismE0ES3_S9_NS6_6detail15normal_iteratorINS6_10device_ptrIsEEEENSD_INSE_IjEEEESG_SI_PmS8_NS6_8equal_toIsEEEE10hipError_tPvRmT2_T3_mT4_T5_T6_T7_T8_P12ihipStream_tbENKUlT_T0_E_clISt17integral_constantIbLb0EES12_IbLb1EEEEDaSY_SZ_EUlSY_E_NS1_11comp_targetILNS1_3genE10ELNS1_11target_archE1200ELNS1_3gpuE4ELNS1_3repE0EEENS1_30default_config_static_selectorELNS0_4arch9wavefront6targetE1EEEvT1_
	.p2align	8
	.type	_ZN7rocprim17ROCPRIM_400000_NS6detail17trampoline_kernelINS0_14default_configENS1_29reduce_by_key_config_selectorIsjN6thrust23THRUST_200600_302600_NS4plusIjEEEEZZNS1_33reduce_by_key_impl_wrapped_configILNS1_25lookback_scan_determinismE0ES3_S9_NS6_6detail15normal_iteratorINS6_10device_ptrIsEEEENSD_INSE_IjEEEESG_SI_PmS8_NS6_8equal_toIsEEEE10hipError_tPvRmT2_T3_mT4_T5_T6_T7_T8_P12ihipStream_tbENKUlT_T0_E_clISt17integral_constantIbLb0EES12_IbLb1EEEEDaSY_SZ_EUlSY_E_NS1_11comp_targetILNS1_3genE10ELNS1_11target_archE1200ELNS1_3gpuE4ELNS1_3repE0EEENS1_30default_config_static_selectorELNS0_4arch9wavefront6targetE1EEEvT1_,@function
_ZN7rocprim17ROCPRIM_400000_NS6detail17trampoline_kernelINS0_14default_configENS1_29reduce_by_key_config_selectorIsjN6thrust23THRUST_200600_302600_NS4plusIjEEEEZZNS1_33reduce_by_key_impl_wrapped_configILNS1_25lookback_scan_determinismE0ES3_S9_NS6_6detail15normal_iteratorINS6_10device_ptrIsEEEENSD_INSE_IjEEEESG_SI_PmS8_NS6_8equal_toIsEEEE10hipError_tPvRmT2_T3_mT4_T5_T6_T7_T8_P12ihipStream_tbENKUlT_T0_E_clISt17integral_constantIbLb0EES12_IbLb1EEEEDaSY_SZ_EUlSY_E_NS1_11comp_targetILNS1_3genE10ELNS1_11target_archE1200ELNS1_3gpuE4ELNS1_3repE0EEENS1_30default_config_static_selectorELNS0_4arch9wavefront6targetE1EEEvT1_: ; @_ZN7rocprim17ROCPRIM_400000_NS6detail17trampoline_kernelINS0_14default_configENS1_29reduce_by_key_config_selectorIsjN6thrust23THRUST_200600_302600_NS4plusIjEEEEZZNS1_33reduce_by_key_impl_wrapped_configILNS1_25lookback_scan_determinismE0ES3_S9_NS6_6detail15normal_iteratorINS6_10device_ptrIsEEEENSD_INSE_IjEEEESG_SI_PmS8_NS6_8equal_toIsEEEE10hipError_tPvRmT2_T3_mT4_T5_T6_T7_T8_P12ihipStream_tbENKUlT_T0_E_clISt17integral_constantIbLb0EES12_IbLb1EEEEDaSY_SZ_EUlSY_E_NS1_11comp_targetILNS1_3genE10ELNS1_11target_archE1200ELNS1_3gpuE4ELNS1_3repE0EEENS1_30default_config_static_selectorELNS0_4arch9wavefront6targetE1EEEvT1_
; %bb.0:
	.section	.rodata,"a",@progbits
	.p2align	6, 0x0
	.amdhsa_kernel _ZN7rocprim17ROCPRIM_400000_NS6detail17trampoline_kernelINS0_14default_configENS1_29reduce_by_key_config_selectorIsjN6thrust23THRUST_200600_302600_NS4plusIjEEEEZZNS1_33reduce_by_key_impl_wrapped_configILNS1_25lookback_scan_determinismE0ES3_S9_NS6_6detail15normal_iteratorINS6_10device_ptrIsEEEENSD_INSE_IjEEEESG_SI_PmS8_NS6_8equal_toIsEEEE10hipError_tPvRmT2_T3_mT4_T5_T6_T7_T8_P12ihipStream_tbENKUlT_T0_E_clISt17integral_constantIbLb0EES12_IbLb1EEEEDaSY_SZ_EUlSY_E_NS1_11comp_targetILNS1_3genE10ELNS1_11target_archE1200ELNS1_3gpuE4ELNS1_3repE0EEENS1_30default_config_static_selectorELNS0_4arch9wavefront6targetE1EEEvT1_
		.amdhsa_group_segment_fixed_size 0
		.amdhsa_private_segment_fixed_size 0
		.amdhsa_kernarg_size 120
		.amdhsa_user_sgpr_count 6
		.amdhsa_user_sgpr_private_segment_buffer 1
		.amdhsa_user_sgpr_dispatch_ptr 0
		.amdhsa_user_sgpr_queue_ptr 0
		.amdhsa_user_sgpr_kernarg_segment_ptr 1
		.amdhsa_user_sgpr_dispatch_id 0
		.amdhsa_user_sgpr_flat_scratch_init 0
		.amdhsa_user_sgpr_kernarg_preload_length 0
		.amdhsa_user_sgpr_kernarg_preload_offset 0
		.amdhsa_user_sgpr_private_segment_size 0
		.amdhsa_uses_dynamic_stack 0
		.amdhsa_system_sgpr_private_segment_wavefront_offset 0
		.amdhsa_system_sgpr_workgroup_id_x 1
		.amdhsa_system_sgpr_workgroup_id_y 0
		.amdhsa_system_sgpr_workgroup_id_z 0
		.amdhsa_system_sgpr_workgroup_info 0
		.amdhsa_system_vgpr_workitem_id 0
		.amdhsa_next_free_vgpr 1
		.amdhsa_next_free_sgpr 0
		.amdhsa_accum_offset 4
		.amdhsa_reserve_vcc 0
		.amdhsa_reserve_flat_scratch 0
		.amdhsa_float_round_mode_32 0
		.amdhsa_float_round_mode_16_64 0
		.amdhsa_float_denorm_mode_32 3
		.amdhsa_float_denorm_mode_16_64 3
		.amdhsa_dx10_clamp 1
		.amdhsa_ieee_mode 1
		.amdhsa_fp16_overflow 0
		.amdhsa_tg_split 0
		.amdhsa_exception_fp_ieee_invalid_op 0
		.amdhsa_exception_fp_denorm_src 0
		.amdhsa_exception_fp_ieee_div_zero 0
		.amdhsa_exception_fp_ieee_overflow 0
		.amdhsa_exception_fp_ieee_underflow 0
		.amdhsa_exception_fp_ieee_inexact 0
		.amdhsa_exception_int_div_zero 0
	.end_amdhsa_kernel
	.section	.text._ZN7rocprim17ROCPRIM_400000_NS6detail17trampoline_kernelINS0_14default_configENS1_29reduce_by_key_config_selectorIsjN6thrust23THRUST_200600_302600_NS4plusIjEEEEZZNS1_33reduce_by_key_impl_wrapped_configILNS1_25lookback_scan_determinismE0ES3_S9_NS6_6detail15normal_iteratorINS6_10device_ptrIsEEEENSD_INSE_IjEEEESG_SI_PmS8_NS6_8equal_toIsEEEE10hipError_tPvRmT2_T3_mT4_T5_T6_T7_T8_P12ihipStream_tbENKUlT_T0_E_clISt17integral_constantIbLb0EES12_IbLb1EEEEDaSY_SZ_EUlSY_E_NS1_11comp_targetILNS1_3genE10ELNS1_11target_archE1200ELNS1_3gpuE4ELNS1_3repE0EEENS1_30default_config_static_selectorELNS0_4arch9wavefront6targetE1EEEvT1_,"axG",@progbits,_ZN7rocprim17ROCPRIM_400000_NS6detail17trampoline_kernelINS0_14default_configENS1_29reduce_by_key_config_selectorIsjN6thrust23THRUST_200600_302600_NS4plusIjEEEEZZNS1_33reduce_by_key_impl_wrapped_configILNS1_25lookback_scan_determinismE0ES3_S9_NS6_6detail15normal_iteratorINS6_10device_ptrIsEEEENSD_INSE_IjEEEESG_SI_PmS8_NS6_8equal_toIsEEEE10hipError_tPvRmT2_T3_mT4_T5_T6_T7_T8_P12ihipStream_tbENKUlT_T0_E_clISt17integral_constantIbLb0EES12_IbLb1EEEEDaSY_SZ_EUlSY_E_NS1_11comp_targetILNS1_3genE10ELNS1_11target_archE1200ELNS1_3gpuE4ELNS1_3repE0EEENS1_30default_config_static_selectorELNS0_4arch9wavefront6targetE1EEEvT1_,comdat
.Lfunc_end874:
	.size	_ZN7rocprim17ROCPRIM_400000_NS6detail17trampoline_kernelINS0_14default_configENS1_29reduce_by_key_config_selectorIsjN6thrust23THRUST_200600_302600_NS4plusIjEEEEZZNS1_33reduce_by_key_impl_wrapped_configILNS1_25lookback_scan_determinismE0ES3_S9_NS6_6detail15normal_iteratorINS6_10device_ptrIsEEEENSD_INSE_IjEEEESG_SI_PmS8_NS6_8equal_toIsEEEE10hipError_tPvRmT2_T3_mT4_T5_T6_T7_T8_P12ihipStream_tbENKUlT_T0_E_clISt17integral_constantIbLb0EES12_IbLb1EEEEDaSY_SZ_EUlSY_E_NS1_11comp_targetILNS1_3genE10ELNS1_11target_archE1200ELNS1_3gpuE4ELNS1_3repE0EEENS1_30default_config_static_selectorELNS0_4arch9wavefront6targetE1EEEvT1_, .Lfunc_end874-_ZN7rocprim17ROCPRIM_400000_NS6detail17trampoline_kernelINS0_14default_configENS1_29reduce_by_key_config_selectorIsjN6thrust23THRUST_200600_302600_NS4plusIjEEEEZZNS1_33reduce_by_key_impl_wrapped_configILNS1_25lookback_scan_determinismE0ES3_S9_NS6_6detail15normal_iteratorINS6_10device_ptrIsEEEENSD_INSE_IjEEEESG_SI_PmS8_NS6_8equal_toIsEEEE10hipError_tPvRmT2_T3_mT4_T5_T6_T7_T8_P12ihipStream_tbENKUlT_T0_E_clISt17integral_constantIbLb0EES12_IbLb1EEEEDaSY_SZ_EUlSY_E_NS1_11comp_targetILNS1_3genE10ELNS1_11target_archE1200ELNS1_3gpuE4ELNS1_3repE0EEENS1_30default_config_static_selectorELNS0_4arch9wavefront6targetE1EEEvT1_
                                        ; -- End function
	.section	.AMDGPU.csdata,"",@progbits
; Kernel info:
; codeLenInByte = 0
; NumSgprs: 4
; NumVgprs: 0
; NumAgprs: 0
; TotalNumVgprs: 0
; ScratchSize: 0
; MemoryBound: 0
; FloatMode: 240
; IeeeMode: 1
; LDSByteSize: 0 bytes/workgroup (compile time only)
; SGPRBlocks: 0
; VGPRBlocks: 0
; NumSGPRsForWavesPerEU: 4
; NumVGPRsForWavesPerEU: 1
; AccumOffset: 4
; Occupancy: 8
; WaveLimiterHint : 0
; COMPUTE_PGM_RSRC2:SCRATCH_EN: 0
; COMPUTE_PGM_RSRC2:USER_SGPR: 6
; COMPUTE_PGM_RSRC2:TRAP_HANDLER: 0
; COMPUTE_PGM_RSRC2:TGID_X_EN: 1
; COMPUTE_PGM_RSRC2:TGID_Y_EN: 0
; COMPUTE_PGM_RSRC2:TGID_Z_EN: 0
; COMPUTE_PGM_RSRC2:TIDIG_COMP_CNT: 0
; COMPUTE_PGM_RSRC3_GFX90A:ACCUM_OFFSET: 0
; COMPUTE_PGM_RSRC3_GFX90A:TG_SPLIT: 0
	.section	.text._ZN7rocprim17ROCPRIM_400000_NS6detail17trampoline_kernelINS0_14default_configENS1_29reduce_by_key_config_selectorIsjN6thrust23THRUST_200600_302600_NS4plusIjEEEEZZNS1_33reduce_by_key_impl_wrapped_configILNS1_25lookback_scan_determinismE0ES3_S9_NS6_6detail15normal_iteratorINS6_10device_ptrIsEEEENSD_INSE_IjEEEESG_SI_PmS8_NS6_8equal_toIsEEEE10hipError_tPvRmT2_T3_mT4_T5_T6_T7_T8_P12ihipStream_tbENKUlT_T0_E_clISt17integral_constantIbLb0EES12_IbLb1EEEEDaSY_SZ_EUlSY_E_NS1_11comp_targetILNS1_3genE9ELNS1_11target_archE1100ELNS1_3gpuE3ELNS1_3repE0EEENS1_30default_config_static_selectorELNS0_4arch9wavefront6targetE1EEEvT1_,"axG",@progbits,_ZN7rocprim17ROCPRIM_400000_NS6detail17trampoline_kernelINS0_14default_configENS1_29reduce_by_key_config_selectorIsjN6thrust23THRUST_200600_302600_NS4plusIjEEEEZZNS1_33reduce_by_key_impl_wrapped_configILNS1_25lookback_scan_determinismE0ES3_S9_NS6_6detail15normal_iteratorINS6_10device_ptrIsEEEENSD_INSE_IjEEEESG_SI_PmS8_NS6_8equal_toIsEEEE10hipError_tPvRmT2_T3_mT4_T5_T6_T7_T8_P12ihipStream_tbENKUlT_T0_E_clISt17integral_constantIbLb0EES12_IbLb1EEEEDaSY_SZ_EUlSY_E_NS1_11comp_targetILNS1_3genE9ELNS1_11target_archE1100ELNS1_3gpuE3ELNS1_3repE0EEENS1_30default_config_static_selectorELNS0_4arch9wavefront6targetE1EEEvT1_,comdat
	.protected	_ZN7rocprim17ROCPRIM_400000_NS6detail17trampoline_kernelINS0_14default_configENS1_29reduce_by_key_config_selectorIsjN6thrust23THRUST_200600_302600_NS4plusIjEEEEZZNS1_33reduce_by_key_impl_wrapped_configILNS1_25lookback_scan_determinismE0ES3_S9_NS6_6detail15normal_iteratorINS6_10device_ptrIsEEEENSD_INSE_IjEEEESG_SI_PmS8_NS6_8equal_toIsEEEE10hipError_tPvRmT2_T3_mT4_T5_T6_T7_T8_P12ihipStream_tbENKUlT_T0_E_clISt17integral_constantIbLb0EES12_IbLb1EEEEDaSY_SZ_EUlSY_E_NS1_11comp_targetILNS1_3genE9ELNS1_11target_archE1100ELNS1_3gpuE3ELNS1_3repE0EEENS1_30default_config_static_selectorELNS0_4arch9wavefront6targetE1EEEvT1_ ; -- Begin function _ZN7rocprim17ROCPRIM_400000_NS6detail17trampoline_kernelINS0_14default_configENS1_29reduce_by_key_config_selectorIsjN6thrust23THRUST_200600_302600_NS4plusIjEEEEZZNS1_33reduce_by_key_impl_wrapped_configILNS1_25lookback_scan_determinismE0ES3_S9_NS6_6detail15normal_iteratorINS6_10device_ptrIsEEEENSD_INSE_IjEEEESG_SI_PmS8_NS6_8equal_toIsEEEE10hipError_tPvRmT2_T3_mT4_T5_T6_T7_T8_P12ihipStream_tbENKUlT_T0_E_clISt17integral_constantIbLb0EES12_IbLb1EEEEDaSY_SZ_EUlSY_E_NS1_11comp_targetILNS1_3genE9ELNS1_11target_archE1100ELNS1_3gpuE3ELNS1_3repE0EEENS1_30default_config_static_selectorELNS0_4arch9wavefront6targetE1EEEvT1_
	.globl	_ZN7rocprim17ROCPRIM_400000_NS6detail17trampoline_kernelINS0_14default_configENS1_29reduce_by_key_config_selectorIsjN6thrust23THRUST_200600_302600_NS4plusIjEEEEZZNS1_33reduce_by_key_impl_wrapped_configILNS1_25lookback_scan_determinismE0ES3_S9_NS6_6detail15normal_iteratorINS6_10device_ptrIsEEEENSD_INSE_IjEEEESG_SI_PmS8_NS6_8equal_toIsEEEE10hipError_tPvRmT2_T3_mT4_T5_T6_T7_T8_P12ihipStream_tbENKUlT_T0_E_clISt17integral_constantIbLb0EES12_IbLb1EEEEDaSY_SZ_EUlSY_E_NS1_11comp_targetILNS1_3genE9ELNS1_11target_archE1100ELNS1_3gpuE3ELNS1_3repE0EEENS1_30default_config_static_selectorELNS0_4arch9wavefront6targetE1EEEvT1_
	.p2align	8
	.type	_ZN7rocprim17ROCPRIM_400000_NS6detail17trampoline_kernelINS0_14default_configENS1_29reduce_by_key_config_selectorIsjN6thrust23THRUST_200600_302600_NS4plusIjEEEEZZNS1_33reduce_by_key_impl_wrapped_configILNS1_25lookback_scan_determinismE0ES3_S9_NS6_6detail15normal_iteratorINS6_10device_ptrIsEEEENSD_INSE_IjEEEESG_SI_PmS8_NS6_8equal_toIsEEEE10hipError_tPvRmT2_T3_mT4_T5_T6_T7_T8_P12ihipStream_tbENKUlT_T0_E_clISt17integral_constantIbLb0EES12_IbLb1EEEEDaSY_SZ_EUlSY_E_NS1_11comp_targetILNS1_3genE9ELNS1_11target_archE1100ELNS1_3gpuE3ELNS1_3repE0EEENS1_30default_config_static_selectorELNS0_4arch9wavefront6targetE1EEEvT1_,@function
_ZN7rocprim17ROCPRIM_400000_NS6detail17trampoline_kernelINS0_14default_configENS1_29reduce_by_key_config_selectorIsjN6thrust23THRUST_200600_302600_NS4plusIjEEEEZZNS1_33reduce_by_key_impl_wrapped_configILNS1_25lookback_scan_determinismE0ES3_S9_NS6_6detail15normal_iteratorINS6_10device_ptrIsEEEENSD_INSE_IjEEEESG_SI_PmS8_NS6_8equal_toIsEEEE10hipError_tPvRmT2_T3_mT4_T5_T6_T7_T8_P12ihipStream_tbENKUlT_T0_E_clISt17integral_constantIbLb0EES12_IbLb1EEEEDaSY_SZ_EUlSY_E_NS1_11comp_targetILNS1_3genE9ELNS1_11target_archE1100ELNS1_3gpuE3ELNS1_3repE0EEENS1_30default_config_static_selectorELNS0_4arch9wavefront6targetE1EEEvT1_: ; @_ZN7rocprim17ROCPRIM_400000_NS6detail17trampoline_kernelINS0_14default_configENS1_29reduce_by_key_config_selectorIsjN6thrust23THRUST_200600_302600_NS4plusIjEEEEZZNS1_33reduce_by_key_impl_wrapped_configILNS1_25lookback_scan_determinismE0ES3_S9_NS6_6detail15normal_iteratorINS6_10device_ptrIsEEEENSD_INSE_IjEEEESG_SI_PmS8_NS6_8equal_toIsEEEE10hipError_tPvRmT2_T3_mT4_T5_T6_T7_T8_P12ihipStream_tbENKUlT_T0_E_clISt17integral_constantIbLb0EES12_IbLb1EEEEDaSY_SZ_EUlSY_E_NS1_11comp_targetILNS1_3genE9ELNS1_11target_archE1100ELNS1_3gpuE3ELNS1_3repE0EEENS1_30default_config_static_selectorELNS0_4arch9wavefront6targetE1EEEvT1_
; %bb.0:
	.section	.rodata,"a",@progbits
	.p2align	6, 0x0
	.amdhsa_kernel _ZN7rocprim17ROCPRIM_400000_NS6detail17trampoline_kernelINS0_14default_configENS1_29reduce_by_key_config_selectorIsjN6thrust23THRUST_200600_302600_NS4plusIjEEEEZZNS1_33reduce_by_key_impl_wrapped_configILNS1_25lookback_scan_determinismE0ES3_S9_NS6_6detail15normal_iteratorINS6_10device_ptrIsEEEENSD_INSE_IjEEEESG_SI_PmS8_NS6_8equal_toIsEEEE10hipError_tPvRmT2_T3_mT4_T5_T6_T7_T8_P12ihipStream_tbENKUlT_T0_E_clISt17integral_constantIbLb0EES12_IbLb1EEEEDaSY_SZ_EUlSY_E_NS1_11comp_targetILNS1_3genE9ELNS1_11target_archE1100ELNS1_3gpuE3ELNS1_3repE0EEENS1_30default_config_static_selectorELNS0_4arch9wavefront6targetE1EEEvT1_
		.amdhsa_group_segment_fixed_size 0
		.amdhsa_private_segment_fixed_size 0
		.amdhsa_kernarg_size 120
		.amdhsa_user_sgpr_count 6
		.amdhsa_user_sgpr_private_segment_buffer 1
		.amdhsa_user_sgpr_dispatch_ptr 0
		.amdhsa_user_sgpr_queue_ptr 0
		.amdhsa_user_sgpr_kernarg_segment_ptr 1
		.amdhsa_user_sgpr_dispatch_id 0
		.amdhsa_user_sgpr_flat_scratch_init 0
		.amdhsa_user_sgpr_kernarg_preload_length 0
		.amdhsa_user_sgpr_kernarg_preload_offset 0
		.amdhsa_user_sgpr_private_segment_size 0
		.amdhsa_uses_dynamic_stack 0
		.amdhsa_system_sgpr_private_segment_wavefront_offset 0
		.amdhsa_system_sgpr_workgroup_id_x 1
		.amdhsa_system_sgpr_workgroup_id_y 0
		.amdhsa_system_sgpr_workgroup_id_z 0
		.amdhsa_system_sgpr_workgroup_info 0
		.amdhsa_system_vgpr_workitem_id 0
		.amdhsa_next_free_vgpr 1
		.amdhsa_next_free_sgpr 0
		.amdhsa_accum_offset 4
		.amdhsa_reserve_vcc 0
		.amdhsa_reserve_flat_scratch 0
		.amdhsa_float_round_mode_32 0
		.amdhsa_float_round_mode_16_64 0
		.amdhsa_float_denorm_mode_32 3
		.amdhsa_float_denorm_mode_16_64 3
		.amdhsa_dx10_clamp 1
		.amdhsa_ieee_mode 1
		.amdhsa_fp16_overflow 0
		.amdhsa_tg_split 0
		.amdhsa_exception_fp_ieee_invalid_op 0
		.amdhsa_exception_fp_denorm_src 0
		.amdhsa_exception_fp_ieee_div_zero 0
		.amdhsa_exception_fp_ieee_overflow 0
		.amdhsa_exception_fp_ieee_underflow 0
		.amdhsa_exception_fp_ieee_inexact 0
		.amdhsa_exception_int_div_zero 0
	.end_amdhsa_kernel
	.section	.text._ZN7rocprim17ROCPRIM_400000_NS6detail17trampoline_kernelINS0_14default_configENS1_29reduce_by_key_config_selectorIsjN6thrust23THRUST_200600_302600_NS4plusIjEEEEZZNS1_33reduce_by_key_impl_wrapped_configILNS1_25lookback_scan_determinismE0ES3_S9_NS6_6detail15normal_iteratorINS6_10device_ptrIsEEEENSD_INSE_IjEEEESG_SI_PmS8_NS6_8equal_toIsEEEE10hipError_tPvRmT2_T3_mT4_T5_T6_T7_T8_P12ihipStream_tbENKUlT_T0_E_clISt17integral_constantIbLb0EES12_IbLb1EEEEDaSY_SZ_EUlSY_E_NS1_11comp_targetILNS1_3genE9ELNS1_11target_archE1100ELNS1_3gpuE3ELNS1_3repE0EEENS1_30default_config_static_selectorELNS0_4arch9wavefront6targetE1EEEvT1_,"axG",@progbits,_ZN7rocprim17ROCPRIM_400000_NS6detail17trampoline_kernelINS0_14default_configENS1_29reduce_by_key_config_selectorIsjN6thrust23THRUST_200600_302600_NS4plusIjEEEEZZNS1_33reduce_by_key_impl_wrapped_configILNS1_25lookback_scan_determinismE0ES3_S9_NS6_6detail15normal_iteratorINS6_10device_ptrIsEEEENSD_INSE_IjEEEESG_SI_PmS8_NS6_8equal_toIsEEEE10hipError_tPvRmT2_T3_mT4_T5_T6_T7_T8_P12ihipStream_tbENKUlT_T0_E_clISt17integral_constantIbLb0EES12_IbLb1EEEEDaSY_SZ_EUlSY_E_NS1_11comp_targetILNS1_3genE9ELNS1_11target_archE1100ELNS1_3gpuE3ELNS1_3repE0EEENS1_30default_config_static_selectorELNS0_4arch9wavefront6targetE1EEEvT1_,comdat
.Lfunc_end875:
	.size	_ZN7rocprim17ROCPRIM_400000_NS6detail17trampoline_kernelINS0_14default_configENS1_29reduce_by_key_config_selectorIsjN6thrust23THRUST_200600_302600_NS4plusIjEEEEZZNS1_33reduce_by_key_impl_wrapped_configILNS1_25lookback_scan_determinismE0ES3_S9_NS6_6detail15normal_iteratorINS6_10device_ptrIsEEEENSD_INSE_IjEEEESG_SI_PmS8_NS6_8equal_toIsEEEE10hipError_tPvRmT2_T3_mT4_T5_T6_T7_T8_P12ihipStream_tbENKUlT_T0_E_clISt17integral_constantIbLb0EES12_IbLb1EEEEDaSY_SZ_EUlSY_E_NS1_11comp_targetILNS1_3genE9ELNS1_11target_archE1100ELNS1_3gpuE3ELNS1_3repE0EEENS1_30default_config_static_selectorELNS0_4arch9wavefront6targetE1EEEvT1_, .Lfunc_end875-_ZN7rocprim17ROCPRIM_400000_NS6detail17trampoline_kernelINS0_14default_configENS1_29reduce_by_key_config_selectorIsjN6thrust23THRUST_200600_302600_NS4plusIjEEEEZZNS1_33reduce_by_key_impl_wrapped_configILNS1_25lookback_scan_determinismE0ES3_S9_NS6_6detail15normal_iteratorINS6_10device_ptrIsEEEENSD_INSE_IjEEEESG_SI_PmS8_NS6_8equal_toIsEEEE10hipError_tPvRmT2_T3_mT4_T5_T6_T7_T8_P12ihipStream_tbENKUlT_T0_E_clISt17integral_constantIbLb0EES12_IbLb1EEEEDaSY_SZ_EUlSY_E_NS1_11comp_targetILNS1_3genE9ELNS1_11target_archE1100ELNS1_3gpuE3ELNS1_3repE0EEENS1_30default_config_static_selectorELNS0_4arch9wavefront6targetE1EEEvT1_
                                        ; -- End function
	.section	.AMDGPU.csdata,"",@progbits
; Kernel info:
; codeLenInByte = 0
; NumSgprs: 4
; NumVgprs: 0
; NumAgprs: 0
; TotalNumVgprs: 0
; ScratchSize: 0
; MemoryBound: 0
; FloatMode: 240
; IeeeMode: 1
; LDSByteSize: 0 bytes/workgroup (compile time only)
; SGPRBlocks: 0
; VGPRBlocks: 0
; NumSGPRsForWavesPerEU: 4
; NumVGPRsForWavesPerEU: 1
; AccumOffset: 4
; Occupancy: 8
; WaveLimiterHint : 0
; COMPUTE_PGM_RSRC2:SCRATCH_EN: 0
; COMPUTE_PGM_RSRC2:USER_SGPR: 6
; COMPUTE_PGM_RSRC2:TRAP_HANDLER: 0
; COMPUTE_PGM_RSRC2:TGID_X_EN: 1
; COMPUTE_PGM_RSRC2:TGID_Y_EN: 0
; COMPUTE_PGM_RSRC2:TGID_Z_EN: 0
; COMPUTE_PGM_RSRC2:TIDIG_COMP_CNT: 0
; COMPUTE_PGM_RSRC3_GFX90A:ACCUM_OFFSET: 0
; COMPUTE_PGM_RSRC3_GFX90A:TG_SPLIT: 0
	.section	.text._ZN7rocprim17ROCPRIM_400000_NS6detail17trampoline_kernelINS0_14default_configENS1_29reduce_by_key_config_selectorIsjN6thrust23THRUST_200600_302600_NS4plusIjEEEEZZNS1_33reduce_by_key_impl_wrapped_configILNS1_25lookback_scan_determinismE0ES3_S9_NS6_6detail15normal_iteratorINS6_10device_ptrIsEEEENSD_INSE_IjEEEESG_SI_PmS8_NS6_8equal_toIsEEEE10hipError_tPvRmT2_T3_mT4_T5_T6_T7_T8_P12ihipStream_tbENKUlT_T0_E_clISt17integral_constantIbLb0EES12_IbLb1EEEEDaSY_SZ_EUlSY_E_NS1_11comp_targetILNS1_3genE8ELNS1_11target_archE1030ELNS1_3gpuE2ELNS1_3repE0EEENS1_30default_config_static_selectorELNS0_4arch9wavefront6targetE1EEEvT1_,"axG",@progbits,_ZN7rocprim17ROCPRIM_400000_NS6detail17trampoline_kernelINS0_14default_configENS1_29reduce_by_key_config_selectorIsjN6thrust23THRUST_200600_302600_NS4plusIjEEEEZZNS1_33reduce_by_key_impl_wrapped_configILNS1_25lookback_scan_determinismE0ES3_S9_NS6_6detail15normal_iteratorINS6_10device_ptrIsEEEENSD_INSE_IjEEEESG_SI_PmS8_NS6_8equal_toIsEEEE10hipError_tPvRmT2_T3_mT4_T5_T6_T7_T8_P12ihipStream_tbENKUlT_T0_E_clISt17integral_constantIbLb0EES12_IbLb1EEEEDaSY_SZ_EUlSY_E_NS1_11comp_targetILNS1_3genE8ELNS1_11target_archE1030ELNS1_3gpuE2ELNS1_3repE0EEENS1_30default_config_static_selectorELNS0_4arch9wavefront6targetE1EEEvT1_,comdat
	.protected	_ZN7rocprim17ROCPRIM_400000_NS6detail17trampoline_kernelINS0_14default_configENS1_29reduce_by_key_config_selectorIsjN6thrust23THRUST_200600_302600_NS4plusIjEEEEZZNS1_33reduce_by_key_impl_wrapped_configILNS1_25lookback_scan_determinismE0ES3_S9_NS6_6detail15normal_iteratorINS6_10device_ptrIsEEEENSD_INSE_IjEEEESG_SI_PmS8_NS6_8equal_toIsEEEE10hipError_tPvRmT2_T3_mT4_T5_T6_T7_T8_P12ihipStream_tbENKUlT_T0_E_clISt17integral_constantIbLb0EES12_IbLb1EEEEDaSY_SZ_EUlSY_E_NS1_11comp_targetILNS1_3genE8ELNS1_11target_archE1030ELNS1_3gpuE2ELNS1_3repE0EEENS1_30default_config_static_selectorELNS0_4arch9wavefront6targetE1EEEvT1_ ; -- Begin function _ZN7rocprim17ROCPRIM_400000_NS6detail17trampoline_kernelINS0_14default_configENS1_29reduce_by_key_config_selectorIsjN6thrust23THRUST_200600_302600_NS4plusIjEEEEZZNS1_33reduce_by_key_impl_wrapped_configILNS1_25lookback_scan_determinismE0ES3_S9_NS6_6detail15normal_iteratorINS6_10device_ptrIsEEEENSD_INSE_IjEEEESG_SI_PmS8_NS6_8equal_toIsEEEE10hipError_tPvRmT2_T3_mT4_T5_T6_T7_T8_P12ihipStream_tbENKUlT_T0_E_clISt17integral_constantIbLb0EES12_IbLb1EEEEDaSY_SZ_EUlSY_E_NS1_11comp_targetILNS1_3genE8ELNS1_11target_archE1030ELNS1_3gpuE2ELNS1_3repE0EEENS1_30default_config_static_selectorELNS0_4arch9wavefront6targetE1EEEvT1_
	.globl	_ZN7rocprim17ROCPRIM_400000_NS6detail17trampoline_kernelINS0_14default_configENS1_29reduce_by_key_config_selectorIsjN6thrust23THRUST_200600_302600_NS4plusIjEEEEZZNS1_33reduce_by_key_impl_wrapped_configILNS1_25lookback_scan_determinismE0ES3_S9_NS6_6detail15normal_iteratorINS6_10device_ptrIsEEEENSD_INSE_IjEEEESG_SI_PmS8_NS6_8equal_toIsEEEE10hipError_tPvRmT2_T3_mT4_T5_T6_T7_T8_P12ihipStream_tbENKUlT_T0_E_clISt17integral_constantIbLb0EES12_IbLb1EEEEDaSY_SZ_EUlSY_E_NS1_11comp_targetILNS1_3genE8ELNS1_11target_archE1030ELNS1_3gpuE2ELNS1_3repE0EEENS1_30default_config_static_selectorELNS0_4arch9wavefront6targetE1EEEvT1_
	.p2align	8
	.type	_ZN7rocprim17ROCPRIM_400000_NS6detail17trampoline_kernelINS0_14default_configENS1_29reduce_by_key_config_selectorIsjN6thrust23THRUST_200600_302600_NS4plusIjEEEEZZNS1_33reduce_by_key_impl_wrapped_configILNS1_25lookback_scan_determinismE0ES3_S9_NS6_6detail15normal_iteratorINS6_10device_ptrIsEEEENSD_INSE_IjEEEESG_SI_PmS8_NS6_8equal_toIsEEEE10hipError_tPvRmT2_T3_mT4_T5_T6_T7_T8_P12ihipStream_tbENKUlT_T0_E_clISt17integral_constantIbLb0EES12_IbLb1EEEEDaSY_SZ_EUlSY_E_NS1_11comp_targetILNS1_3genE8ELNS1_11target_archE1030ELNS1_3gpuE2ELNS1_3repE0EEENS1_30default_config_static_selectorELNS0_4arch9wavefront6targetE1EEEvT1_,@function
_ZN7rocprim17ROCPRIM_400000_NS6detail17trampoline_kernelINS0_14default_configENS1_29reduce_by_key_config_selectorIsjN6thrust23THRUST_200600_302600_NS4plusIjEEEEZZNS1_33reduce_by_key_impl_wrapped_configILNS1_25lookback_scan_determinismE0ES3_S9_NS6_6detail15normal_iteratorINS6_10device_ptrIsEEEENSD_INSE_IjEEEESG_SI_PmS8_NS6_8equal_toIsEEEE10hipError_tPvRmT2_T3_mT4_T5_T6_T7_T8_P12ihipStream_tbENKUlT_T0_E_clISt17integral_constantIbLb0EES12_IbLb1EEEEDaSY_SZ_EUlSY_E_NS1_11comp_targetILNS1_3genE8ELNS1_11target_archE1030ELNS1_3gpuE2ELNS1_3repE0EEENS1_30default_config_static_selectorELNS0_4arch9wavefront6targetE1EEEvT1_: ; @_ZN7rocprim17ROCPRIM_400000_NS6detail17trampoline_kernelINS0_14default_configENS1_29reduce_by_key_config_selectorIsjN6thrust23THRUST_200600_302600_NS4plusIjEEEEZZNS1_33reduce_by_key_impl_wrapped_configILNS1_25lookback_scan_determinismE0ES3_S9_NS6_6detail15normal_iteratorINS6_10device_ptrIsEEEENSD_INSE_IjEEEESG_SI_PmS8_NS6_8equal_toIsEEEE10hipError_tPvRmT2_T3_mT4_T5_T6_T7_T8_P12ihipStream_tbENKUlT_T0_E_clISt17integral_constantIbLb0EES12_IbLb1EEEEDaSY_SZ_EUlSY_E_NS1_11comp_targetILNS1_3genE8ELNS1_11target_archE1030ELNS1_3gpuE2ELNS1_3repE0EEENS1_30default_config_static_selectorELNS0_4arch9wavefront6targetE1EEEvT1_
; %bb.0:
	.section	.rodata,"a",@progbits
	.p2align	6, 0x0
	.amdhsa_kernel _ZN7rocprim17ROCPRIM_400000_NS6detail17trampoline_kernelINS0_14default_configENS1_29reduce_by_key_config_selectorIsjN6thrust23THRUST_200600_302600_NS4plusIjEEEEZZNS1_33reduce_by_key_impl_wrapped_configILNS1_25lookback_scan_determinismE0ES3_S9_NS6_6detail15normal_iteratorINS6_10device_ptrIsEEEENSD_INSE_IjEEEESG_SI_PmS8_NS6_8equal_toIsEEEE10hipError_tPvRmT2_T3_mT4_T5_T6_T7_T8_P12ihipStream_tbENKUlT_T0_E_clISt17integral_constantIbLb0EES12_IbLb1EEEEDaSY_SZ_EUlSY_E_NS1_11comp_targetILNS1_3genE8ELNS1_11target_archE1030ELNS1_3gpuE2ELNS1_3repE0EEENS1_30default_config_static_selectorELNS0_4arch9wavefront6targetE1EEEvT1_
		.amdhsa_group_segment_fixed_size 0
		.amdhsa_private_segment_fixed_size 0
		.amdhsa_kernarg_size 120
		.amdhsa_user_sgpr_count 6
		.amdhsa_user_sgpr_private_segment_buffer 1
		.amdhsa_user_sgpr_dispatch_ptr 0
		.amdhsa_user_sgpr_queue_ptr 0
		.amdhsa_user_sgpr_kernarg_segment_ptr 1
		.amdhsa_user_sgpr_dispatch_id 0
		.amdhsa_user_sgpr_flat_scratch_init 0
		.amdhsa_user_sgpr_kernarg_preload_length 0
		.amdhsa_user_sgpr_kernarg_preload_offset 0
		.amdhsa_user_sgpr_private_segment_size 0
		.amdhsa_uses_dynamic_stack 0
		.amdhsa_system_sgpr_private_segment_wavefront_offset 0
		.amdhsa_system_sgpr_workgroup_id_x 1
		.amdhsa_system_sgpr_workgroup_id_y 0
		.amdhsa_system_sgpr_workgroup_id_z 0
		.amdhsa_system_sgpr_workgroup_info 0
		.amdhsa_system_vgpr_workitem_id 0
		.amdhsa_next_free_vgpr 1
		.amdhsa_next_free_sgpr 0
		.amdhsa_accum_offset 4
		.amdhsa_reserve_vcc 0
		.amdhsa_reserve_flat_scratch 0
		.amdhsa_float_round_mode_32 0
		.amdhsa_float_round_mode_16_64 0
		.amdhsa_float_denorm_mode_32 3
		.amdhsa_float_denorm_mode_16_64 3
		.amdhsa_dx10_clamp 1
		.amdhsa_ieee_mode 1
		.amdhsa_fp16_overflow 0
		.amdhsa_tg_split 0
		.amdhsa_exception_fp_ieee_invalid_op 0
		.amdhsa_exception_fp_denorm_src 0
		.amdhsa_exception_fp_ieee_div_zero 0
		.amdhsa_exception_fp_ieee_overflow 0
		.amdhsa_exception_fp_ieee_underflow 0
		.amdhsa_exception_fp_ieee_inexact 0
		.amdhsa_exception_int_div_zero 0
	.end_amdhsa_kernel
	.section	.text._ZN7rocprim17ROCPRIM_400000_NS6detail17trampoline_kernelINS0_14default_configENS1_29reduce_by_key_config_selectorIsjN6thrust23THRUST_200600_302600_NS4plusIjEEEEZZNS1_33reduce_by_key_impl_wrapped_configILNS1_25lookback_scan_determinismE0ES3_S9_NS6_6detail15normal_iteratorINS6_10device_ptrIsEEEENSD_INSE_IjEEEESG_SI_PmS8_NS6_8equal_toIsEEEE10hipError_tPvRmT2_T3_mT4_T5_T6_T7_T8_P12ihipStream_tbENKUlT_T0_E_clISt17integral_constantIbLb0EES12_IbLb1EEEEDaSY_SZ_EUlSY_E_NS1_11comp_targetILNS1_3genE8ELNS1_11target_archE1030ELNS1_3gpuE2ELNS1_3repE0EEENS1_30default_config_static_selectorELNS0_4arch9wavefront6targetE1EEEvT1_,"axG",@progbits,_ZN7rocprim17ROCPRIM_400000_NS6detail17trampoline_kernelINS0_14default_configENS1_29reduce_by_key_config_selectorIsjN6thrust23THRUST_200600_302600_NS4plusIjEEEEZZNS1_33reduce_by_key_impl_wrapped_configILNS1_25lookback_scan_determinismE0ES3_S9_NS6_6detail15normal_iteratorINS6_10device_ptrIsEEEENSD_INSE_IjEEEESG_SI_PmS8_NS6_8equal_toIsEEEE10hipError_tPvRmT2_T3_mT4_T5_T6_T7_T8_P12ihipStream_tbENKUlT_T0_E_clISt17integral_constantIbLb0EES12_IbLb1EEEEDaSY_SZ_EUlSY_E_NS1_11comp_targetILNS1_3genE8ELNS1_11target_archE1030ELNS1_3gpuE2ELNS1_3repE0EEENS1_30default_config_static_selectorELNS0_4arch9wavefront6targetE1EEEvT1_,comdat
.Lfunc_end876:
	.size	_ZN7rocprim17ROCPRIM_400000_NS6detail17trampoline_kernelINS0_14default_configENS1_29reduce_by_key_config_selectorIsjN6thrust23THRUST_200600_302600_NS4plusIjEEEEZZNS1_33reduce_by_key_impl_wrapped_configILNS1_25lookback_scan_determinismE0ES3_S9_NS6_6detail15normal_iteratorINS6_10device_ptrIsEEEENSD_INSE_IjEEEESG_SI_PmS8_NS6_8equal_toIsEEEE10hipError_tPvRmT2_T3_mT4_T5_T6_T7_T8_P12ihipStream_tbENKUlT_T0_E_clISt17integral_constantIbLb0EES12_IbLb1EEEEDaSY_SZ_EUlSY_E_NS1_11comp_targetILNS1_3genE8ELNS1_11target_archE1030ELNS1_3gpuE2ELNS1_3repE0EEENS1_30default_config_static_selectorELNS0_4arch9wavefront6targetE1EEEvT1_, .Lfunc_end876-_ZN7rocprim17ROCPRIM_400000_NS6detail17trampoline_kernelINS0_14default_configENS1_29reduce_by_key_config_selectorIsjN6thrust23THRUST_200600_302600_NS4plusIjEEEEZZNS1_33reduce_by_key_impl_wrapped_configILNS1_25lookback_scan_determinismE0ES3_S9_NS6_6detail15normal_iteratorINS6_10device_ptrIsEEEENSD_INSE_IjEEEESG_SI_PmS8_NS6_8equal_toIsEEEE10hipError_tPvRmT2_T3_mT4_T5_T6_T7_T8_P12ihipStream_tbENKUlT_T0_E_clISt17integral_constantIbLb0EES12_IbLb1EEEEDaSY_SZ_EUlSY_E_NS1_11comp_targetILNS1_3genE8ELNS1_11target_archE1030ELNS1_3gpuE2ELNS1_3repE0EEENS1_30default_config_static_selectorELNS0_4arch9wavefront6targetE1EEEvT1_
                                        ; -- End function
	.section	.AMDGPU.csdata,"",@progbits
; Kernel info:
; codeLenInByte = 0
; NumSgprs: 4
; NumVgprs: 0
; NumAgprs: 0
; TotalNumVgprs: 0
; ScratchSize: 0
; MemoryBound: 0
; FloatMode: 240
; IeeeMode: 1
; LDSByteSize: 0 bytes/workgroup (compile time only)
; SGPRBlocks: 0
; VGPRBlocks: 0
; NumSGPRsForWavesPerEU: 4
; NumVGPRsForWavesPerEU: 1
; AccumOffset: 4
; Occupancy: 8
; WaveLimiterHint : 0
; COMPUTE_PGM_RSRC2:SCRATCH_EN: 0
; COMPUTE_PGM_RSRC2:USER_SGPR: 6
; COMPUTE_PGM_RSRC2:TRAP_HANDLER: 0
; COMPUTE_PGM_RSRC2:TGID_X_EN: 1
; COMPUTE_PGM_RSRC2:TGID_Y_EN: 0
; COMPUTE_PGM_RSRC2:TGID_Z_EN: 0
; COMPUTE_PGM_RSRC2:TIDIG_COMP_CNT: 0
; COMPUTE_PGM_RSRC3_GFX90A:ACCUM_OFFSET: 0
; COMPUTE_PGM_RSRC3_GFX90A:TG_SPLIT: 0
	.section	.text._ZN7rocprim17ROCPRIM_400000_NS6detail17trampoline_kernelINS0_14default_configENS1_29reduce_by_key_config_selectorIjyN6thrust23THRUST_200600_302600_NS4plusIyEEEEZZNS1_33reduce_by_key_impl_wrapped_configILNS1_25lookback_scan_determinismE0ES3_S9_NS6_6detail15normal_iteratorINS6_10device_ptrIjEEEENSD_INSE_IyEEEENS6_16discard_iteratorINS6_11use_defaultEEESI_PmS8_NS6_8equal_toIjEEEE10hipError_tPvRmT2_T3_mT4_T5_T6_T7_T8_P12ihipStream_tbENKUlT_T0_E_clISt17integral_constantIbLb0EES16_EEDaS11_S12_EUlS11_E_NS1_11comp_targetILNS1_3genE0ELNS1_11target_archE4294967295ELNS1_3gpuE0ELNS1_3repE0EEENS1_30default_config_static_selectorELNS0_4arch9wavefront6targetE1EEEvT1_,"axG",@progbits,_ZN7rocprim17ROCPRIM_400000_NS6detail17trampoline_kernelINS0_14default_configENS1_29reduce_by_key_config_selectorIjyN6thrust23THRUST_200600_302600_NS4plusIyEEEEZZNS1_33reduce_by_key_impl_wrapped_configILNS1_25lookback_scan_determinismE0ES3_S9_NS6_6detail15normal_iteratorINS6_10device_ptrIjEEEENSD_INSE_IyEEEENS6_16discard_iteratorINS6_11use_defaultEEESI_PmS8_NS6_8equal_toIjEEEE10hipError_tPvRmT2_T3_mT4_T5_T6_T7_T8_P12ihipStream_tbENKUlT_T0_E_clISt17integral_constantIbLb0EES16_EEDaS11_S12_EUlS11_E_NS1_11comp_targetILNS1_3genE0ELNS1_11target_archE4294967295ELNS1_3gpuE0ELNS1_3repE0EEENS1_30default_config_static_selectorELNS0_4arch9wavefront6targetE1EEEvT1_,comdat
	.protected	_ZN7rocprim17ROCPRIM_400000_NS6detail17trampoline_kernelINS0_14default_configENS1_29reduce_by_key_config_selectorIjyN6thrust23THRUST_200600_302600_NS4plusIyEEEEZZNS1_33reduce_by_key_impl_wrapped_configILNS1_25lookback_scan_determinismE0ES3_S9_NS6_6detail15normal_iteratorINS6_10device_ptrIjEEEENSD_INSE_IyEEEENS6_16discard_iteratorINS6_11use_defaultEEESI_PmS8_NS6_8equal_toIjEEEE10hipError_tPvRmT2_T3_mT4_T5_T6_T7_T8_P12ihipStream_tbENKUlT_T0_E_clISt17integral_constantIbLb0EES16_EEDaS11_S12_EUlS11_E_NS1_11comp_targetILNS1_3genE0ELNS1_11target_archE4294967295ELNS1_3gpuE0ELNS1_3repE0EEENS1_30default_config_static_selectorELNS0_4arch9wavefront6targetE1EEEvT1_ ; -- Begin function _ZN7rocprim17ROCPRIM_400000_NS6detail17trampoline_kernelINS0_14default_configENS1_29reduce_by_key_config_selectorIjyN6thrust23THRUST_200600_302600_NS4plusIyEEEEZZNS1_33reduce_by_key_impl_wrapped_configILNS1_25lookback_scan_determinismE0ES3_S9_NS6_6detail15normal_iteratorINS6_10device_ptrIjEEEENSD_INSE_IyEEEENS6_16discard_iteratorINS6_11use_defaultEEESI_PmS8_NS6_8equal_toIjEEEE10hipError_tPvRmT2_T3_mT4_T5_T6_T7_T8_P12ihipStream_tbENKUlT_T0_E_clISt17integral_constantIbLb0EES16_EEDaS11_S12_EUlS11_E_NS1_11comp_targetILNS1_3genE0ELNS1_11target_archE4294967295ELNS1_3gpuE0ELNS1_3repE0EEENS1_30default_config_static_selectorELNS0_4arch9wavefront6targetE1EEEvT1_
	.globl	_ZN7rocprim17ROCPRIM_400000_NS6detail17trampoline_kernelINS0_14default_configENS1_29reduce_by_key_config_selectorIjyN6thrust23THRUST_200600_302600_NS4plusIyEEEEZZNS1_33reduce_by_key_impl_wrapped_configILNS1_25lookback_scan_determinismE0ES3_S9_NS6_6detail15normal_iteratorINS6_10device_ptrIjEEEENSD_INSE_IyEEEENS6_16discard_iteratorINS6_11use_defaultEEESI_PmS8_NS6_8equal_toIjEEEE10hipError_tPvRmT2_T3_mT4_T5_T6_T7_T8_P12ihipStream_tbENKUlT_T0_E_clISt17integral_constantIbLb0EES16_EEDaS11_S12_EUlS11_E_NS1_11comp_targetILNS1_3genE0ELNS1_11target_archE4294967295ELNS1_3gpuE0ELNS1_3repE0EEENS1_30default_config_static_selectorELNS0_4arch9wavefront6targetE1EEEvT1_
	.p2align	8
	.type	_ZN7rocprim17ROCPRIM_400000_NS6detail17trampoline_kernelINS0_14default_configENS1_29reduce_by_key_config_selectorIjyN6thrust23THRUST_200600_302600_NS4plusIyEEEEZZNS1_33reduce_by_key_impl_wrapped_configILNS1_25lookback_scan_determinismE0ES3_S9_NS6_6detail15normal_iteratorINS6_10device_ptrIjEEEENSD_INSE_IyEEEENS6_16discard_iteratorINS6_11use_defaultEEESI_PmS8_NS6_8equal_toIjEEEE10hipError_tPvRmT2_T3_mT4_T5_T6_T7_T8_P12ihipStream_tbENKUlT_T0_E_clISt17integral_constantIbLb0EES16_EEDaS11_S12_EUlS11_E_NS1_11comp_targetILNS1_3genE0ELNS1_11target_archE4294967295ELNS1_3gpuE0ELNS1_3repE0EEENS1_30default_config_static_selectorELNS0_4arch9wavefront6targetE1EEEvT1_,@function
_ZN7rocprim17ROCPRIM_400000_NS6detail17trampoline_kernelINS0_14default_configENS1_29reduce_by_key_config_selectorIjyN6thrust23THRUST_200600_302600_NS4plusIyEEEEZZNS1_33reduce_by_key_impl_wrapped_configILNS1_25lookback_scan_determinismE0ES3_S9_NS6_6detail15normal_iteratorINS6_10device_ptrIjEEEENSD_INSE_IyEEEENS6_16discard_iteratorINS6_11use_defaultEEESI_PmS8_NS6_8equal_toIjEEEE10hipError_tPvRmT2_T3_mT4_T5_T6_T7_T8_P12ihipStream_tbENKUlT_T0_E_clISt17integral_constantIbLb0EES16_EEDaS11_S12_EUlS11_E_NS1_11comp_targetILNS1_3genE0ELNS1_11target_archE4294967295ELNS1_3gpuE0ELNS1_3repE0EEENS1_30default_config_static_selectorELNS0_4arch9wavefront6targetE1EEEvT1_: ; @_ZN7rocprim17ROCPRIM_400000_NS6detail17trampoline_kernelINS0_14default_configENS1_29reduce_by_key_config_selectorIjyN6thrust23THRUST_200600_302600_NS4plusIyEEEEZZNS1_33reduce_by_key_impl_wrapped_configILNS1_25lookback_scan_determinismE0ES3_S9_NS6_6detail15normal_iteratorINS6_10device_ptrIjEEEENSD_INSE_IyEEEENS6_16discard_iteratorINS6_11use_defaultEEESI_PmS8_NS6_8equal_toIjEEEE10hipError_tPvRmT2_T3_mT4_T5_T6_T7_T8_P12ihipStream_tbENKUlT_T0_E_clISt17integral_constantIbLb0EES16_EEDaS11_S12_EUlS11_E_NS1_11comp_targetILNS1_3genE0ELNS1_11target_archE4294967295ELNS1_3gpuE0ELNS1_3repE0EEENS1_30default_config_static_selectorELNS0_4arch9wavefront6targetE1EEEvT1_
; %bb.0:
	.section	.rodata,"a",@progbits
	.p2align	6, 0x0
	.amdhsa_kernel _ZN7rocprim17ROCPRIM_400000_NS6detail17trampoline_kernelINS0_14default_configENS1_29reduce_by_key_config_selectorIjyN6thrust23THRUST_200600_302600_NS4plusIyEEEEZZNS1_33reduce_by_key_impl_wrapped_configILNS1_25lookback_scan_determinismE0ES3_S9_NS6_6detail15normal_iteratorINS6_10device_ptrIjEEEENSD_INSE_IyEEEENS6_16discard_iteratorINS6_11use_defaultEEESI_PmS8_NS6_8equal_toIjEEEE10hipError_tPvRmT2_T3_mT4_T5_T6_T7_T8_P12ihipStream_tbENKUlT_T0_E_clISt17integral_constantIbLb0EES16_EEDaS11_S12_EUlS11_E_NS1_11comp_targetILNS1_3genE0ELNS1_11target_archE4294967295ELNS1_3gpuE0ELNS1_3repE0EEENS1_30default_config_static_selectorELNS0_4arch9wavefront6targetE1EEEvT1_
		.amdhsa_group_segment_fixed_size 0
		.amdhsa_private_segment_fixed_size 0
		.amdhsa_kernarg_size 144
		.amdhsa_user_sgpr_count 6
		.amdhsa_user_sgpr_private_segment_buffer 1
		.amdhsa_user_sgpr_dispatch_ptr 0
		.amdhsa_user_sgpr_queue_ptr 0
		.amdhsa_user_sgpr_kernarg_segment_ptr 1
		.amdhsa_user_sgpr_dispatch_id 0
		.amdhsa_user_sgpr_flat_scratch_init 0
		.amdhsa_user_sgpr_kernarg_preload_length 0
		.amdhsa_user_sgpr_kernarg_preload_offset 0
		.amdhsa_user_sgpr_private_segment_size 0
		.amdhsa_uses_dynamic_stack 0
		.amdhsa_system_sgpr_private_segment_wavefront_offset 0
		.amdhsa_system_sgpr_workgroup_id_x 1
		.amdhsa_system_sgpr_workgroup_id_y 0
		.amdhsa_system_sgpr_workgroup_id_z 0
		.amdhsa_system_sgpr_workgroup_info 0
		.amdhsa_system_vgpr_workitem_id 0
		.amdhsa_next_free_vgpr 1
		.amdhsa_next_free_sgpr 0
		.amdhsa_accum_offset 4
		.amdhsa_reserve_vcc 0
		.amdhsa_reserve_flat_scratch 0
		.amdhsa_float_round_mode_32 0
		.amdhsa_float_round_mode_16_64 0
		.amdhsa_float_denorm_mode_32 3
		.amdhsa_float_denorm_mode_16_64 3
		.amdhsa_dx10_clamp 1
		.amdhsa_ieee_mode 1
		.amdhsa_fp16_overflow 0
		.amdhsa_tg_split 0
		.amdhsa_exception_fp_ieee_invalid_op 0
		.amdhsa_exception_fp_denorm_src 0
		.amdhsa_exception_fp_ieee_div_zero 0
		.amdhsa_exception_fp_ieee_overflow 0
		.amdhsa_exception_fp_ieee_underflow 0
		.amdhsa_exception_fp_ieee_inexact 0
		.amdhsa_exception_int_div_zero 0
	.end_amdhsa_kernel
	.section	.text._ZN7rocprim17ROCPRIM_400000_NS6detail17trampoline_kernelINS0_14default_configENS1_29reduce_by_key_config_selectorIjyN6thrust23THRUST_200600_302600_NS4plusIyEEEEZZNS1_33reduce_by_key_impl_wrapped_configILNS1_25lookback_scan_determinismE0ES3_S9_NS6_6detail15normal_iteratorINS6_10device_ptrIjEEEENSD_INSE_IyEEEENS6_16discard_iteratorINS6_11use_defaultEEESI_PmS8_NS6_8equal_toIjEEEE10hipError_tPvRmT2_T3_mT4_T5_T6_T7_T8_P12ihipStream_tbENKUlT_T0_E_clISt17integral_constantIbLb0EES16_EEDaS11_S12_EUlS11_E_NS1_11comp_targetILNS1_3genE0ELNS1_11target_archE4294967295ELNS1_3gpuE0ELNS1_3repE0EEENS1_30default_config_static_selectorELNS0_4arch9wavefront6targetE1EEEvT1_,"axG",@progbits,_ZN7rocprim17ROCPRIM_400000_NS6detail17trampoline_kernelINS0_14default_configENS1_29reduce_by_key_config_selectorIjyN6thrust23THRUST_200600_302600_NS4plusIyEEEEZZNS1_33reduce_by_key_impl_wrapped_configILNS1_25lookback_scan_determinismE0ES3_S9_NS6_6detail15normal_iteratorINS6_10device_ptrIjEEEENSD_INSE_IyEEEENS6_16discard_iteratorINS6_11use_defaultEEESI_PmS8_NS6_8equal_toIjEEEE10hipError_tPvRmT2_T3_mT4_T5_T6_T7_T8_P12ihipStream_tbENKUlT_T0_E_clISt17integral_constantIbLb0EES16_EEDaS11_S12_EUlS11_E_NS1_11comp_targetILNS1_3genE0ELNS1_11target_archE4294967295ELNS1_3gpuE0ELNS1_3repE0EEENS1_30default_config_static_selectorELNS0_4arch9wavefront6targetE1EEEvT1_,comdat
.Lfunc_end877:
	.size	_ZN7rocprim17ROCPRIM_400000_NS6detail17trampoline_kernelINS0_14default_configENS1_29reduce_by_key_config_selectorIjyN6thrust23THRUST_200600_302600_NS4plusIyEEEEZZNS1_33reduce_by_key_impl_wrapped_configILNS1_25lookback_scan_determinismE0ES3_S9_NS6_6detail15normal_iteratorINS6_10device_ptrIjEEEENSD_INSE_IyEEEENS6_16discard_iteratorINS6_11use_defaultEEESI_PmS8_NS6_8equal_toIjEEEE10hipError_tPvRmT2_T3_mT4_T5_T6_T7_T8_P12ihipStream_tbENKUlT_T0_E_clISt17integral_constantIbLb0EES16_EEDaS11_S12_EUlS11_E_NS1_11comp_targetILNS1_3genE0ELNS1_11target_archE4294967295ELNS1_3gpuE0ELNS1_3repE0EEENS1_30default_config_static_selectorELNS0_4arch9wavefront6targetE1EEEvT1_, .Lfunc_end877-_ZN7rocprim17ROCPRIM_400000_NS6detail17trampoline_kernelINS0_14default_configENS1_29reduce_by_key_config_selectorIjyN6thrust23THRUST_200600_302600_NS4plusIyEEEEZZNS1_33reduce_by_key_impl_wrapped_configILNS1_25lookback_scan_determinismE0ES3_S9_NS6_6detail15normal_iteratorINS6_10device_ptrIjEEEENSD_INSE_IyEEEENS6_16discard_iteratorINS6_11use_defaultEEESI_PmS8_NS6_8equal_toIjEEEE10hipError_tPvRmT2_T3_mT4_T5_T6_T7_T8_P12ihipStream_tbENKUlT_T0_E_clISt17integral_constantIbLb0EES16_EEDaS11_S12_EUlS11_E_NS1_11comp_targetILNS1_3genE0ELNS1_11target_archE4294967295ELNS1_3gpuE0ELNS1_3repE0EEENS1_30default_config_static_selectorELNS0_4arch9wavefront6targetE1EEEvT1_
                                        ; -- End function
	.section	.AMDGPU.csdata,"",@progbits
; Kernel info:
; codeLenInByte = 0
; NumSgprs: 4
; NumVgprs: 0
; NumAgprs: 0
; TotalNumVgprs: 0
; ScratchSize: 0
; MemoryBound: 0
; FloatMode: 240
; IeeeMode: 1
; LDSByteSize: 0 bytes/workgroup (compile time only)
; SGPRBlocks: 0
; VGPRBlocks: 0
; NumSGPRsForWavesPerEU: 4
; NumVGPRsForWavesPerEU: 1
; AccumOffset: 4
; Occupancy: 8
; WaveLimiterHint : 0
; COMPUTE_PGM_RSRC2:SCRATCH_EN: 0
; COMPUTE_PGM_RSRC2:USER_SGPR: 6
; COMPUTE_PGM_RSRC2:TRAP_HANDLER: 0
; COMPUTE_PGM_RSRC2:TGID_X_EN: 1
; COMPUTE_PGM_RSRC2:TGID_Y_EN: 0
; COMPUTE_PGM_RSRC2:TGID_Z_EN: 0
; COMPUTE_PGM_RSRC2:TIDIG_COMP_CNT: 0
; COMPUTE_PGM_RSRC3_GFX90A:ACCUM_OFFSET: 0
; COMPUTE_PGM_RSRC3_GFX90A:TG_SPLIT: 0
	.section	.text._ZN7rocprim17ROCPRIM_400000_NS6detail17trampoline_kernelINS0_14default_configENS1_29reduce_by_key_config_selectorIjyN6thrust23THRUST_200600_302600_NS4plusIyEEEEZZNS1_33reduce_by_key_impl_wrapped_configILNS1_25lookback_scan_determinismE0ES3_S9_NS6_6detail15normal_iteratorINS6_10device_ptrIjEEEENSD_INSE_IyEEEENS6_16discard_iteratorINS6_11use_defaultEEESI_PmS8_NS6_8equal_toIjEEEE10hipError_tPvRmT2_T3_mT4_T5_T6_T7_T8_P12ihipStream_tbENKUlT_T0_E_clISt17integral_constantIbLb0EES16_EEDaS11_S12_EUlS11_E_NS1_11comp_targetILNS1_3genE5ELNS1_11target_archE942ELNS1_3gpuE9ELNS1_3repE0EEENS1_30default_config_static_selectorELNS0_4arch9wavefront6targetE1EEEvT1_,"axG",@progbits,_ZN7rocprim17ROCPRIM_400000_NS6detail17trampoline_kernelINS0_14default_configENS1_29reduce_by_key_config_selectorIjyN6thrust23THRUST_200600_302600_NS4plusIyEEEEZZNS1_33reduce_by_key_impl_wrapped_configILNS1_25lookback_scan_determinismE0ES3_S9_NS6_6detail15normal_iteratorINS6_10device_ptrIjEEEENSD_INSE_IyEEEENS6_16discard_iteratorINS6_11use_defaultEEESI_PmS8_NS6_8equal_toIjEEEE10hipError_tPvRmT2_T3_mT4_T5_T6_T7_T8_P12ihipStream_tbENKUlT_T0_E_clISt17integral_constantIbLb0EES16_EEDaS11_S12_EUlS11_E_NS1_11comp_targetILNS1_3genE5ELNS1_11target_archE942ELNS1_3gpuE9ELNS1_3repE0EEENS1_30default_config_static_selectorELNS0_4arch9wavefront6targetE1EEEvT1_,comdat
	.protected	_ZN7rocprim17ROCPRIM_400000_NS6detail17trampoline_kernelINS0_14default_configENS1_29reduce_by_key_config_selectorIjyN6thrust23THRUST_200600_302600_NS4plusIyEEEEZZNS1_33reduce_by_key_impl_wrapped_configILNS1_25lookback_scan_determinismE0ES3_S9_NS6_6detail15normal_iteratorINS6_10device_ptrIjEEEENSD_INSE_IyEEEENS6_16discard_iteratorINS6_11use_defaultEEESI_PmS8_NS6_8equal_toIjEEEE10hipError_tPvRmT2_T3_mT4_T5_T6_T7_T8_P12ihipStream_tbENKUlT_T0_E_clISt17integral_constantIbLb0EES16_EEDaS11_S12_EUlS11_E_NS1_11comp_targetILNS1_3genE5ELNS1_11target_archE942ELNS1_3gpuE9ELNS1_3repE0EEENS1_30default_config_static_selectorELNS0_4arch9wavefront6targetE1EEEvT1_ ; -- Begin function _ZN7rocprim17ROCPRIM_400000_NS6detail17trampoline_kernelINS0_14default_configENS1_29reduce_by_key_config_selectorIjyN6thrust23THRUST_200600_302600_NS4plusIyEEEEZZNS1_33reduce_by_key_impl_wrapped_configILNS1_25lookback_scan_determinismE0ES3_S9_NS6_6detail15normal_iteratorINS6_10device_ptrIjEEEENSD_INSE_IyEEEENS6_16discard_iteratorINS6_11use_defaultEEESI_PmS8_NS6_8equal_toIjEEEE10hipError_tPvRmT2_T3_mT4_T5_T6_T7_T8_P12ihipStream_tbENKUlT_T0_E_clISt17integral_constantIbLb0EES16_EEDaS11_S12_EUlS11_E_NS1_11comp_targetILNS1_3genE5ELNS1_11target_archE942ELNS1_3gpuE9ELNS1_3repE0EEENS1_30default_config_static_selectorELNS0_4arch9wavefront6targetE1EEEvT1_
	.globl	_ZN7rocprim17ROCPRIM_400000_NS6detail17trampoline_kernelINS0_14default_configENS1_29reduce_by_key_config_selectorIjyN6thrust23THRUST_200600_302600_NS4plusIyEEEEZZNS1_33reduce_by_key_impl_wrapped_configILNS1_25lookback_scan_determinismE0ES3_S9_NS6_6detail15normal_iteratorINS6_10device_ptrIjEEEENSD_INSE_IyEEEENS6_16discard_iteratorINS6_11use_defaultEEESI_PmS8_NS6_8equal_toIjEEEE10hipError_tPvRmT2_T3_mT4_T5_T6_T7_T8_P12ihipStream_tbENKUlT_T0_E_clISt17integral_constantIbLb0EES16_EEDaS11_S12_EUlS11_E_NS1_11comp_targetILNS1_3genE5ELNS1_11target_archE942ELNS1_3gpuE9ELNS1_3repE0EEENS1_30default_config_static_selectorELNS0_4arch9wavefront6targetE1EEEvT1_
	.p2align	8
	.type	_ZN7rocprim17ROCPRIM_400000_NS6detail17trampoline_kernelINS0_14default_configENS1_29reduce_by_key_config_selectorIjyN6thrust23THRUST_200600_302600_NS4plusIyEEEEZZNS1_33reduce_by_key_impl_wrapped_configILNS1_25lookback_scan_determinismE0ES3_S9_NS6_6detail15normal_iteratorINS6_10device_ptrIjEEEENSD_INSE_IyEEEENS6_16discard_iteratorINS6_11use_defaultEEESI_PmS8_NS6_8equal_toIjEEEE10hipError_tPvRmT2_T3_mT4_T5_T6_T7_T8_P12ihipStream_tbENKUlT_T0_E_clISt17integral_constantIbLb0EES16_EEDaS11_S12_EUlS11_E_NS1_11comp_targetILNS1_3genE5ELNS1_11target_archE942ELNS1_3gpuE9ELNS1_3repE0EEENS1_30default_config_static_selectorELNS0_4arch9wavefront6targetE1EEEvT1_,@function
_ZN7rocprim17ROCPRIM_400000_NS6detail17trampoline_kernelINS0_14default_configENS1_29reduce_by_key_config_selectorIjyN6thrust23THRUST_200600_302600_NS4plusIyEEEEZZNS1_33reduce_by_key_impl_wrapped_configILNS1_25lookback_scan_determinismE0ES3_S9_NS6_6detail15normal_iteratorINS6_10device_ptrIjEEEENSD_INSE_IyEEEENS6_16discard_iteratorINS6_11use_defaultEEESI_PmS8_NS6_8equal_toIjEEEE10hipError_tPvRmT2_T3_mT4_T5_T6_T7_T8_P12ihipStream_tbENKUlT_T0_E_clISt17integral_constantIbLb0EES16_EEDaS11_S12_EUlS11_E_NS1_11comp_targetILNS1_3genE5ELNS1_11target_archE942ELNS1_3gpuE9ELNS1_3repE0EEENS1_30default_config_static_selectorELNS0_4arch9wavefront6targetE1EEEvT1_: ; @_ZN7rocprim17ROCPRIM_400000_NS6detail17trampoline_kernelINS0_14default_configENS1_29reduce_by_key_config_selectorIjyN6thrust23THRUST_200600_302600_NS4plusIyEEEEZZNS1_33reduce_by_key_impl_wrapped_configILNS1_25lookback_scan_determinismE0ES3_S9_NS6_6detail15normal_iteratorINS6_10device_ptrIjEEEENSD_INSE_IyEEEENS6_16discard_iteratorINS6_11use_defaultEEESI_PmS8_NS6_8equal_toIjEEEE10hipError_tPvRmT2_T3_mT4_T5_T6_T7_T8_P12ihipStream_tbENKUlT_T0_E_clISt17integral_constantIbLb0EES16_EEDaS11_S12_EUlS11_E_NS1_11comp_targetILNS1_3genE5ELNS1_11target_archE942ELNS1_3gpuE9ELNS1_3repE0EEENS1_30default_config_static_selectorELNS0_4arch9wavefront6targetE1EEEvT1_
; %bb.0:
	.section	.rodata,"a",@progbits
	.p2align	6, 0x0
	.amdhsa_kernel _ZN7rocprim17ROCPRIM_400000_NS6detail17trampoline_kernelINS0_14default_configENS1_29reduce_by_key_config_selectorIjyN6thrust23THRUST_200600_302600_NS4plusIyEEEEZZNS1_33reduce_by_key_impl_wrapped_configILNS1_25lookback_scan_determinismE0ES3_S9_NS6_6detail15normal_iteratorINS6_10device_ptrIjEEEENSD_INSE_IyEEEENS6_16discard_iteratorINS6_11use_defaultEEESI_PmS8_NS6_8equal_toIjEEEE10hipError_tPvRmT2_T3_mT4_T5_T6_T7_T8_P12ihipStream_tbENKUlT_T0_E_clISt17integral_constantIbLb0EES16_EEDaS11_S12_EUlS11_E_NS1_11comp_targetILNS1_3genE5ELNS1_11target_archE942ELNS1_3gpuE9ELNS1_3repE0EEENS1_30default_config_static_selectorELNS0_4arch9wavefront6targetE1EEEvT1_
		.amdhsa_group_segment_fixed_size 0
		.amdhsa_private_segment_fixed_size 0
		.amdhsa_kernarg_size 144
		.amdhsa_user_sgpr_count 6
		.amdhsa_user_sgpr_private_segment_buffer 1
		.amdhsa_user_sgpr_dispatch_ptr 0
		.amdhsa_user_sgpr_queue_ptr 0
		.amdhsa_user_sgpr_kernarg_segment_ptr 1
		.amdhsa_user_sgpr_dispatch_id 0
		.amdhsa_user_sgpr_flat_scratch_init 0
		.amdhsa_user_sgpr_kernarg_preload_length 0
		.amdhsa_user_sgpr_kernarg_preload_offset 0
		.amdhsa_user_sgpr_private_segment_size 0
		.amdhsa_uses_dynamic_stack 0
		.amdhsa_system_sgpr_private_segment_wavefront_offset 0
		.amdhsa_system_sgpr_workgroup_id_x 1
		.amdhsa_system_sgpr_workgroup_id_y 0
		.amdhsa_system_sgpr_workgroup_id_z 0
		.amdhsa_system_sgpr_workgroup_info 0
		.amdhsa_system_vgpr_workitem_id 0
		.amdhsa_next_free_vgpr 1
		.amdhsa_next_free_sgpr 0
		.amdhsa_accum_offset 4
		.amdhsa_reserve_vcc 0
		.amdhsa_reserve_flat_scratch 0
		.amdhsa_float_round_mode_32 0
		.amdhsa_float_round_mode_16_64 0
		.amdhsa_float_denorm_mode_32 3
		.amdhsa_float_denorm_mode_16_64 3
		.amdhsa_dx10_clamp 1
		.amdhsa_ieee_mode 1
		.amdhsa_fp16_overflow 0
		.amdhsa_tg_split 0
		.amdhsa_exception_fp_ieee_invalid_op 0
		.amdhsa_exception_fp_denorm_src 0
		.amdhsa_exception_fp_ieee_div_zero 0
		.amdhsa_exception_fp_ieee_overflow 0
		.amdhsa_exception_fp_ieee_underflow 0
		.amdhsa_exception_fp_ieee_inexact 0
		.amdhsa_exception_int_div_zero 0
	.end_amdhsa_kernel
	.section	.text._ZN7rocprim17ROCPRIM_400000_NS6detail17trampoline_kernelINS0_14default_configENS1_29reduce_by_key_config_selectorIjyN6thrust23THRUST_200600_302600_NS4plusIyEEEEZZNS1_33reduce_by_key_impl_wrapped_configILNS1_25lookback_scan_determinismE0ES3_S9_NS6_6detail15normal_iteratorINS6_10device_ptrIjEEEENSD_INSE_IyEEEENS6_16discard_iteratorINS6_11use_defaultEEESI_PmS8_NS6_8equal_toIjEEEE10hipError_tPvRmT2_T3_mT4_T5_T6_T7_T8_P12ihipStream_tbENKUlT_T0_E_clISt17integral_constantIbLb0EES16_EEDaS11_S12_EUlS11_E_NS1_11comp_targetILNS1_3genE5ELNS1_11target_archE942ELNS1_3gpuE9ELNS1_3repE0EEENS1_30default_config_static_selectorELNS0_4arch9wavefront6targetE1EEEvT1_,"axG",@progbits,_ZN7rocprim17ROCPRIM_400000_NS6detail17trampoline_kernelINS0_14default_configENS1_29reduce_by_key_config_selectorIjyN6thrust23THRUST_200600_302600_NS4plusIyEEEEZZNS1_33reduce_by_key_impl_wrapped_configILNS1_25lookback_scan_determinismE0ES3_S9_NS6_6detail15normal_iteratorINS6_10device_ptrIjEEEENSD_INSE_IyEEEENS6_16discard_iteratorINS6_11use_defaultEEESI_PmS8_NS6_8equal_toIjEEEE10hipError_tPvRmT2_T3_mT4_T5_T6_T7_T8_P12ihipStream_tbENKUlT_T0_E_clISt17integral_constantIbLb0EES16_EEDaS11_S12_EUlS11_E_NS1_11comp_targetILNS1_3genE5ELNS1_11target_archE942ELNS1_3gpuE9ELNS1_3repE0EEENS1_30default_config_static_selectorELNS0_4arch9wavefront6targetE1EEEvT1_,comdat
.Lfunc_end878:
	.size	_ZN7rocprim17ROCPRIM_400000_NS6detail17trampoline_kernelINS0_14default_configENS1_29reduce_by_key_config_selectorIjyN6thrust23THRUST_200600_302600_NS4plusIyEEEEZZNS1_33reduce_by_key_impl_wrapped_configILNS1_25lookback_scan_determinismE0ES3_S9_NS6_6detail15normal_iteratorINS6_10device_ptrIjEEEENSD_INSE_IyEEEENS6_16discard_iteratorINS6_11use_defaultEEESI_PmS8_NS6_8equal_toIjEEEE10hipError_tPvRmT2_T3_mT4_T5_T6_T7_T8_P12ihipStream_tbENKUlT_T0_E_clISt17integral_constantIbLb0EES16_EEDaS11_S12_EUlS11_E_NS1_11comp_targetILNS1_3genE5ELNS1_11target_archE942ELNS1_3gpuE9ELNS1_3repE0EEENS1_30default_config_static_selectorELNS0_4arch9wavefront6targetE1EEEvT1_, .Lfunc_end878-_ZN7rocprim17ROCPRIM_400000_NS6detail17trampoline_kernelINS0_14default_configENS1_29reduce_by_key_config_selectorIjyN6thrust23THRUST_200600_302600_NS4plusIyEEEEZZNS1_33reduce_by_key_impl_wrapped_configILNS1_25lookback_scan_determinismE0ES3_S9_NS6_6detail15normal_iteratorINS6_10device_ptrIjEEEENSD_INSE_IyEEEENS6_16discard_iteratorINS6_11use_defaultEEESI_PmS8_NS6_8equal_toIjEEEE10hipError_tPvRmT2_T3_mT4_T5_T6_T7_T8_P12ihipStream_tbENKUlT_T0_E_clISt17integral_constantIbLb0EES16_EEDaS11_S12_EUlS11_E_NS1_11comp_targetILNS1_3genE5ELNS1_11target_archE942ELNS1_3gpuE9ELNS1_3repE0EEENS1_30default_config_static_selectorELNS0_4arch9wavefront6targetE1EEEvT1_
                                        ; -- End function
	.section	.AMDGPU.csdata,"",@progbits
; Kernel info:
; codeLenInByte = 0
; NumSgprs: 4
; NumVgprs: 0
; NumAgprs: 0
; TotalNumVgprs: 0
; ScratchSize: 0
; MemoryBound: 0
; FloatMode: 240
; IeeeMode: 1
; LDSByteSize: 0 bytes/workgroup (compile time only)
; SGPRBlocks: 0
; VGPRBlocks: 0
; NumSGPRsForWavesPerEU: 4
; NumVGPRsForWavesPerEU: 1
; AccumOffset: 4
; Occupancy: 8
; WaveLimiterHint : 0
; COMPUTE_PGM_RSRC2:SCRATCH_EN: 0
; COMPUTE_PGM_RSRC2:USER_SGPR: 6
; COMPUTE_PGM_RSRC2:TRAP_HANDLER: 0
; COMPUTE_PGM_RSRC2:TGID_X_EN: 1
; COMPUTE_PGM_RSRC2:TGID_Y_EN: 0
; COMPUTE_PGM_RSRC2:TGID_Z_EN: 0
; COMPUTE_PGM_RSRC2:TIDIG_COMP_CNT: 0
; COMPUTE_PGM_RSRC3_GFX90A:ACCUM_OFFSET: 0
; COMPUTE_PGM_RSRC3_GFX90A:TG_SPLIT: 0
	.section	.text._ZN7rocprim17ROCPRIM_400000_NS6detail17trampoline_kernelINS0_14default_configENS1_29reduce_by_key_config_selectorIjyN6thrust23THRUST_200600_302600_NS4plusIyEEEEZZNS1_33reduce_by_key_impl_wrapped_configILNS1_25lookback_scan_determinismE0ES3_S9_NS6_6detail15normal_iteratorINS6_10device_ptrIjEEEENSD_INSE_IyEEEENS6_16discard_iteratorINS6_11use_defaultEEESI_PmS8_NS6_8equal_toIjEEEE10hipError_tPvRmT2_T3_mT4_T5_T6_T7_T8_P12ihipStream_tbENKUlT_T0_E_clISt17integral_constantIbLb0EES16_EEDaS11_S12_EUlS11_E_NS1_11comp_targetILNS1_3genE4ELNS1_11target_archE910ELNS1_3gpuE8ELNS1_3repE0EEENS1_30default_config_static_selectorELNS0_4arch9wavefront6targetE1EEEvT1_,"axG",@progbits,_ZN7rocprim17ROCPRIM_400000_NS6detail17trampoline_kernelINS0_14default_configENS1_29reduce_by_key_config_selectorIjyN6thrust23THRUST_200600_302600_NS4plusIyEEEEZZNS1_33reduce_by_key_impl_wrapped_configILNS1_25lookback_scan_determinismE0ES3_S9_NS6_6detail15normal_iteratorINS6_10device_ptrIjEEEENSD_INSE_IyEEEENS6_16discard_iteratorINS6_11use_defaultEEESI_PmS8_NS6_8equal_toIjEEEE10hipError_tPvRmT2_T3_mT4_T5_T6_T7_T8_P12ihipStream_tbENKUlT_T0_E_clISt17integral_constantIbLb0EES16_EEDaS11_S12_EUlS11_E_NS1_11comp_targetILNS1_3genE4ELNS1_11target_archE910ELNS1_3gpuE8ELNS1_3repE0EEENS1_30default_config_static_selectorELNS0_4arch9wavefront6targetE1EEEvT1_,comdat
	.protected	_ZN7rocprim17ROCPRIM_400000_NS6detail17trampoline_kernelINS0_14default_configENS1_29reduce_by_key_config_selectorIjyN6thrust23THRUST_200600_302600_NS4plusIyEEEEZZNS1_33reduce_by_key_impl_wrapped_configILNS1_25lookback_scan_determinismE0ES3_S9_NS6_6detail15normal_iteratorINS6_10device_ptrIjEEEENSD_INSE_IyEEEENS6_16discard_iteratorINS6_11use_defaultEEESI_PmS8_NS6_8equal_toIjEEEE10hipError_tPvRmT2_T3_mT4_T5_T6_T7_T8_P12ihipStream_tbENKUlT_T0_E_clISt17integral_constantIbLb0EES16_EEDaS11_S12_EUlS11_E_NS1_11comp_targetILNS1_3genE4ELNS1_11target_archE910ELNS1_3gpuE8ELNS1_3repE0EEENS1_30default_config_static_selectorELNS0_4arch9wavefront6targetE1EEEvT1_ ; -- Begin function _ZN7rocprim17ROCPRIM_400000_NS6detail17trampoline_kernelINS0_14default_configENS1_29reduce_by_key_config_selectorIjyN6thrust23THRUST_200600_302600_NS4plusIyEEEEZZNS1_33reduce_by_key_impl_wrapped_configILNS1_25lookback_scan_determinismE0ES3_S9_NS6_6detail15normal_iteratorINS6_10device_ptrIjEEEENSD_INSE_IyEEEENS6_16discard_iteratorINS6_11use_defaultEEESI_PmS8_NS6_8equal_toIjEEEE10hipError_tPvRmT2_T3_mT4_T5_T6_T7_T8_P12ihipStream_tbENKUlT_T0_E_clISt17integral_constantIbLb0EES16_EEDaS11_S12_EUlS11_E_NS1_11comp_targetILNS1_3genE4ELNS1_11target_archE910ELNS1_3gpuE8ELNS1_3repE0EEENS1_30default_config_static_selectorELNS0_4arch9wavefront6targetE1EEEvT1_
	.globl	_ZN7rocprim17ROCPRIM_400000_NS6detail17trampoline_kernelINS0_14default_configENS1_29reduce_by_key_config_selectorIjyN6thrust23THRUST_200600_302600_NS4plusIyEEEEZZNS1_33reduce_by_key_impl_wrapped_configILNS1_25lookback_scan_determinismE0ES3_S9_NS6_6detail15normal_iteratorINS6_10device_ptrIjEEEENSD_INSE_IyEEEENS6_16discard_iteratorINS6_11use_defaultEEESI_PmS8_NS6_8equal_toIjEEEE10hipError_tPvRmT2_T3_mT4_T5_T6_T7_T8_P12ihipStream_tbENKUlT_T0_E_clISt17integral_constantIbLb0EES16_EEDaS11_S12_EUlS11_E_NS1_11comp_targetILNS1_3genE4ELNS1_11target_archE910ELNS1_3gpuE8ELNS1_3repE0EEENS1_30default_config_static_selectorELNS0_4arch9wavefront6targetE1EEEvT1_
	.p2align	8
	.type	_ZN7rocprim17ROCPRIM_400000_NS6detail17trampoline_kernelINS0_14default_configENS1_29reduce_by_key_config_selectorIjyN6thrust23THRUST_200600_302600_NS4plusIyEEEEZZNS1_33reduce_by_key_impl_wrapped_configILNS1_25lookback_scan_determinismE0ES3_S9_NS6_6detail15normal_iteratorINS6_10device_ptrIjEEEENSD_INSE_IyEEEENS6_16discard_iteratorINS6_11use_defaultEEESI_PmS8_NS6_8equal_toIjEEEE10hipError_tPvRmT2_T3_mT4_T5_T6_T7_T8_P12ihipStream_tbENKUlT_T0_E_clISt17integral_constantIbLb0EES16_EEDaS11_S12_EUlS11_E_NS1_11comp_targetILNS1_3genE4ELNS1_11target_archE910ELNS1_3gpuE8ELNS1_3repE0EEENS1_30default_config_static_selectorELNS0_4arch9wavefront6targetE1EEEvT1_,@function
_ZN7rocprim17ROCPRIM_400000_NS6detail17trampoline_kernelINS0_14default_configENS1_29reduce_by_key_config_selectorIjyN6thrust23THRUST_200600_302600_NS4plusIyEEEEZZNS1_33reduce_by_key_impl_wrapped_configILNS1_25lookback_scan_determinismE0ES3_S9_NS6_6detail15normal_iteratorINS6_10device_ptrIjEEEENSD_INSE_IyEEEENS6_16discard_iteratorINS6_11use_defaultEEESI_PmS8_NS6_8equal_toIjEEEE10hipError_tPvRmT2_T3_mT4_T5_T6_T7_T8_P12ihipStream_tbENKUlT_T0_E_clISt17integral_constantIbLb0EES16_EEDaS11_S12_EUlS11_E_NS1_11comp_targetILNS1_3genE4ELNS1_11target_archE910ELNS1_3gpuE8ELNS1_3repE0EEENS1_30default_config_static_selectorELNS0_4arch9wavefront6targetE1EEEvT1_: ; @_ZN7rocprim17ROCPRIM_400000_NS6detail17trampoline_kernelINS0_14default_configENS1_29reduce_by_key_config_selectorIjyN6thrust23THRUST_200600_302600_NS4plusIyEEEEZZNS1_33reduce_by_key_impl_wrapped_configILNS1_25lookback_scan_determinismE0ES3_S9_NS6_6detail15normal_iteratorINS6_10device_ptrIjEEEENSD_INSE_IyEEEENS6_16discard_iteratorINS6_11use_defaultEEESI_PmS8_NS6_8equal_toIjEEEE10hipError_tPvRmT2_T3_mT4_T5_T6_T7_T8_P12ihipStream_tbENKUlT_T0_E_clISt17integral_constantIbLb0EES16_EEDaS11_S12_EUlS11_E_NS1_11comp_targetILNS1_3genE4ELNS1_11target_archE910ELNS1_3gpuE8ELNS1_3repE0EEENS1_30default_config_static_selectorELNS0_4arch9wavefront6targetE1EEEvT1_
; %bb.0:
	s_load_dwordx4 s[0:3], s[4:5], 0x0
	s_load_dwordx2 s[8:9], s[4:5], 0x10
	s_load_dwordx16 s[36:51], s[4:5], 0x40
	v_lshlrev_b32_e32 v96, 2, v0
	v_mad_u32_u24 v48, v0, 15, 1
	s_waitcnt lgkmcnt(0)
	s_lshl_b64 s[10:11], s[2:3], 2
	s_add_u32 s7, s0, s10
	s_addc_u32 s10, s1, s11
	s_lshl_b64 s[0:1], s[2:3], 3
	s_add_u32 s8, s8, s0
	s_addc_u32 s9, s9, s1
	s_mul_i32 s0, s44, s43
	s_mul_hi_u32 s1, s44, s42
	s_add_i32 s0, s1, s0
	s_mul_i32 s1, s45, s42
	s_add_i32 s11, s0, s1
	s_mul_i32 s0, s6, 0xf00
	s_mov_b32 s1, 0
	s_lshl_b64 s[2:3], s[0:1], 2
	s_add_u32 s7, s7, s2
	s_addc_u32 s62, s10, s3
	s_lshl_b64 s[0:1], s[0:1], 3
	s_add_u32 s60, s8, s0
	s_mul_i32 s12, s44, s42
	s_addc_u32 s61, s9, s1
	s_add_u32 s56, s12, s6
	s_addc_u32 s57, s11, 0
	s_add_u32 s2, s46, -1
	s_addc_u32 s3, s47, -1
	s_cmp_eq_u64 s[56:57], s[2:3]
	s_cselect_b64 s[52:53], -1, 0
	s_cmp_lg_u64 s[56:57], s[2:3]
	s_mov_b64 s[0:1], -1
	s_cselect_b64 s[58:59], -1, 0
	s_mul_i32 s33, s2, 0xfffff100
	s_and_b64 vcc, exec, s[52:53]
	v_mad_u32_u24 v50, v0, 15, 2
	v_mad_u32_u24 v52, v0, 15, 3
	;; [unrolled: 1-line block ×13, first 2 shown]
	s_cbranch_vccnz .LBB879_2
; %bb.1:
	v_mov_b32_e32 v1, s62
	v_add_co_u32_e32 v2, vcc, s7, v96
	v_addc_co_u32_e32 v3, vcc, 0, v1, vcc
	v_add_co_u32_e32 v4, vcc, 0x1000, v2
	v_addc_co_u32_e32 v5, vcc, 0, v3, vcc
	flat_load_dword v1, v[2:3]
	flat_load_dword v6, v[2:3] offset:1024
	flat_load_dword v7, v[2:3] offset:2048
	;; [unrolled: 1-line block ×3, first 2 shown]
	flat_load_dword v9, v[4:5]
	flat_load_dword v10, v[4:5] offset:1024
	flat_load_dword v11, v[4:5] offset:2048
	;; [unrolled: 1-line block ×3, first 2 shown]
	v_add_co_u32_e32 v4, vcc, 0x2000, v2
	v_addc_co_u32_e32 v5, vcc, 0, v3, vcc
	v_add_co_u32_e32 v2, vcc, 0x3000, v2
	v_addc_co_u32_e32 v3, vcc, 0, v3, vcc
	flat_load_dword v13, v[4:5]
	flat_load_dword v14, v[4:5] offset:1024
	flat_load_dword v15, v[4:5] offset:2048
	;; [unrolled: 1-line block ×3, first 2 shown]
	flat_load_dword v25, v[2:3]
	flat_load_dword v26, v[2:3] offset:1024
	flat_load_dword v27, v[2:3] offset:2048
	v_lshlrev_b32_e32 v2, 3, v0
	v_mov_b32_e32 v3, s61
	v_add_co_u32_e32 v16, vcc, s60, v2
	s_movk_i32 s0, 0x1000
	v_addc_co_u32_e32 v17, vcc, 0, v3, vcc
	v_add_co_u32_e32 v18, vcc, s0, v16
	s_movk_i32 s1, 0x2000
	v_addc_co_u32_e32 v19, vcc, 0, v17, vcc
	;; [unrolled: 3-line block ×3, first 2 shown]
	v_add_co_u32_e32 v22, vcc, s2, v16
	v_mad_u32_u24 v47, v0, 56, v96
	v_addc_co_u32_e32 v23, vcc, 0, v17, vcc
	s_movk_i32 s0, 0x4000
	v_mul_u32_u24_e32 v51, 15, v0
	s_waitcnt vmcnt(0) lgkmcnt(0)
	ds_write2st64_b32 v96, v1, v6 offset1:4
	ds_write2st64_b32 v96, v7, v8 offset0:8 offset1:12
	ds_write2st64_b32 v96, v9, v10 offset0:16 offset1:20
	;; [unrolled: 1-line block ×6, first 2 shown]
	ds_write_b32 v96, v27 offset:14336
	s_waitcnt lgkmcnt(0)
	s_barrier
	ds_read2_b32 v[14:15], v47 offset1:1
	ds_read2_b32 v[12:13], v47 offset0:2 offset1:3
	ds_read2_b32 v[10:11], v47 offset0:4 offset1:5
	ds_read2_b32 v[8:9], v47 offset0:6 offset1:7
	ds_read2_b32 v[6:7], v47 offset0:8 offset1:9
	ds_read2_b32 v[4:5], v47 offset0:10 offset1:11
	ds_read2_b32 v[2:3], v47 offset0:12 offset1:13
	ds_read_b32 v1, v47 offset:56
	s_waitcnt lgkmcnt(0)
	s_barrier
	flat_load_dwordx2 v[24:25], v[16:17]
	flat_load_dwordx2 v[26:27], v[16:17] offset:2048
	flat_load_dwordx2 v[28:29], v[18:19]
	flat_load_dwordx2 v[30:31], v[18:19] offset:2048
	;; [unrolled: 2-line block ×4, first 2 shown]
	v_add_co_u32_e32 v18, vcc, s0, v16
	v_addc_co_u32_e32 v19, vcc, 0, v17, vcc
	s_movk_i32 s0, 0x5000
	v_add_co_u32_e32 v20, vcc, s0, v16
	v_addc_co_u32_e32 v21, vcc, 0, v17, vcc
	s_movk_i32 s0, 0x6000
	flat_load_dwordx2 v[22:23], v[18:19]
	flat_load_dwordx2 v[40:41], v[18:19] offset:2048
	flat_load_dwordx2 v[42:43], v[20:21]
	flat_load_dwordx2 v[44:45], v[20:21] offset:2048
	v_add_co_u32_e32 v18, vcc, s0, v16
	v_addc_co_u32_e32 v19, vcc, 0, v17, vcc
	s_movk_i32 s0, 0x7000
	v_add_co_u32_e32 v16, vcc, s0, v16
	v_addc_co_u32_e32 v17, vcc, 0, v17, vcc
	flat_load_dwordx2 v[20:21], v[18:19]
	flat_load_dwordx2 v[82:83], v[18:19] offset:2048
	flat_load_dwordx2 v[84:85], v[16:17]
	s_movk_i32 s0, 0xffcc
	v_mad_i32_i24 v16, v0, s0, v47
	v_mov_b32_e32 v80, v14
	v_mov_b32_e32 v81, v12
	;; [unrolled: 1-line block ×7, first 2 shown]
	s_mov_b64 s[0:1], 0
	s_waitcnt vmcnt(0) lgkmcnt(0)
	ds_write2st64_b64 v16, v[24:25], v[26:27] offset1:4
	ds_write2st64_b64 v16, v[28:29], v[30:31] offset0:8 offset1:12
	ds_write2st64_b64 v16, v[32:33], v[34:35] offset0:16 offset1:20
	;; [unrolled: 1-line block ×6, first 2 shown]
	ds_write_b64 v16, v[84:85] offset:28672
	s_waitcnt lgkmcnt(0)
	s_barrier
	s_branch .LBB879_3
.LBB879_2:
                                        ; implicit-def: $vgpr1
                                        ; implicit-def: $vgpr2
                                        ; implicit-def: $vgpr4
                                        ; implicit-def: $vgpr6
                                        ; implicit-def: $vgpr8
                                        ; implicit-def: $vgpr10
                                        ; implicit-def: $vgpr12
                                        ; implicit-def: $vgpr14
                                        ; implicit-def: $vgpr51
                                        ; implicit-def: $vgpr74_vgpr75
                                        ; implicit-def: $vgpr76_vgpr77
                                        ; implicit-def: $vgpr80_vgpr81
                                        ; implicit-def: $vgpr78_vgpr79
.LBB879_3:
	s_load_dwordx2 s[54:55], s[4:5], 0x80
	s_add_i32 s33, s33, s48
	s_andn2_b64 vcc, exec, s[0:1]
	v_mov_b32_e32 v49, v46
	v_mov_b32_e32 v53, v72
	;; [unrolled: 1-line block ×14, first 2 shown]
	s_cbranch_vccnz .LBB879_65
; %bb.4:
	v_cmp_gt_u32_e32 vcc, s33, v0
                                        ; implicit-def: $vgpr1
	s_and_saveexec_b64 s[2:3], vcc
	s_cbranch_execz .LBB879_6
; %bb.5:
	v_mov_b32_e32 v1, s62
	v_add_co_u32_e64 v2, s[0:1], s7, v96
	v_addc_co_u32_e64 v3, s[0:1], 0, v1, s[0:1]
	flat_load_dword v1, v[2:3]
.LBB879_6:
	s_or_b64 exec, exec, s[2:3]
	v_or_b32_e32 v2, 0x100, v0
	v_cmp_gt_u32_e64 s[0:1], s33, v2
                                        ; implicit-def: $vgpr2
	s_and_saveexec_b64 s[8:9], s[0:1]
	s_cbranch_execz .LBB879_8
; %bb.7:
	v_mov_b32_e32 v3, s62
	v_add_co_u32_e64 v2, s[2:3], s7, v96
	v_addc_co_u32_e64 v3, s[2:3], 0, v3, s[2:3]
	flat_load_dword v2, v[2:3] offset:1024
.LBB879_8:
	s_or_b64 exec, exec, s[8:9]
	v_or_b32_e32 v22, 0x200, v0
	v_cmp_gt_u32_e64 s[2:3], s33, v22
                                        ; implicit-def: $vgpr3
	s_and_saveexec_b64 s[10:11], s[2:3]
	s_cbranch_execz .LBB879_10
; %bb.9:
	v_mov_b32_e32 v3, s62
	v_add_co_u32_e64 v4, s[8:9], s7, v96
	v_addc_co_u32_e64 v5, s[8:9], 0, v3, s[8:9]
	flat_load_dword v3, v[4:5] offset:2048
.LBB879_10:
	s_or_b64 exec, exec, s[10:11]
	v_or_b32_e32 v24, 0x300, v0
	v_cmp_gt_u32_e64 s[30:31], s33, v24
                                        ; implicit-def: $vgpr4
	s_and_saveexec_b64 s[10:11], s[30:31]
	s_cbranch_execz .LBB879_12
; %bb.11:
	v_mov_b32_e32 v5, s62
	v_add_co_u32_e64 v4, s[8:9], s7, v96
	v_addc_co_u32_e64 v5, s[8:9], 0, v5, s[8:9]
	flat_load_dword v4, v[4:5] offset:3072
.LBB879_12:
	s_or_b64 exec, exec, s[10:11]
	v_or_b32_e32 v26, 0x400, v0
	v_cmp_gt_u32_e64 s[8:9], s33, v26
                                        ; implicit-def: $vgpr5
	s_and_saveexec_b64 s[12:13], s[8:9]
	s_cbranch_execz .LBB879_14
; %bb.13:
	v_lshlrev_b32_e32 v5, 2, v26
	v_mov_b32_e32 v7, s62
	v_add_co_u32_e64 v6, s[10:11], s7, v5
	v_addc_co_u32_e64 v7, s[10:11], 0, v7, s[10:11]
	flat_load_dword v5, v[6:7]
.LBB879_14:
	s_or_b64 exec, exec, s[12:13]
	v_or_b32_e32 v28, 0x500, v0
	v_cmp_gt_u32_e64 s[10:11], s33, v28
                                        ; implicit-def: $vgpr6
	s_and_saveexec_b64 s[14:15], s[10:11]
	s_cbranch_execz .LBB879_16
; %bb.15:
	v_lshlrev_b32_e32 v6, 2, v28
	v_mov_b32_e32 v7, s62
	v_add_co_u32_e64 v6, s[12:13], s7, v6
	v_addc_co_u32_e64 v7, s[12:13], 0, v7, s[12:13]
	flat_load_dword v6, v[6:7]
.LBB879_16:
	s_or_b64 exec, exec, s[14:15]
	v_or_b32_e32 v30, 0x600, v0
	v_cmp_gt_u32_e64 s[12:13], s33, v30
                                        ; implicit-def: $vgpr7
	s_and_saveexec_b64 s[16:17], s[12:13]
	s_cbranch_execz .LBB879_18
; %bb.17:
	v_lshlrev_b32_e32 v7, 2, v30
	v_mov_b32_e32 v9, s62
	v_add_co_u32_e64 v8, s[14:15], s7, v7
	v_addc_co_u32_e64 v9, s[14:15], 0, v9, s[14:15]
	flat_load_dword v7, v[8:9]
.LBB879_18:
	s_or_b64 exec, exec, s[16:17]
	v_or_b32_e32 v32, 0x700, v0
	v_cmp_gt_u32_e64 s[14:15], s33, v32
                                        ; implicit-def: $vgpr8
	s_and_saveexec_b64 s[18:19], s[14:15]
	s_cbranch_execz .LBB879_20
; %bb.19:
	v_lshlrev_b32_e32 v8, 2, v32
	v_mov_b32_e32 v9, s62
	v_add_co_u32_e64 v8, s[16:17], s7, v8
	v_addc_co_u32_e64 v9, s[16:17], 0, v9, s[16:17]
	flat_load_dword v8, v[8:9]
.LBB879_20:
	s_or_b64 exec, exec, s[18:19]
	v_or_b32_e32 v34, 0x800, v0
	v_cmp_gt_u32_e64 s[16:17], s33, v34
                                        ; implicit-def: $vgpr9
	s_and_saveexec_b64 s[20:21], s[16:17]
	s_cbranch_execz .LBB879_22
; %bb.21:
	v_lshlrev_b32_e32 v9, 2, v34
	v_mov_b32_e32 v11, s62
	v_add_co_u32_e64 v10, s[18:19], s7, v9
	v_addc_co_u32_e64 v11, s[18:19], 0, v11, s[18:19]
	flat_load_dword v9, v[10:11]
.LBB879_22:
	s_or_b64 exec, exec, s[20:21]
	v_or_b32_e32 v36, 0x900, v0
	v_cmp_gt_u32_e64 s[18:19], s33, v36
                                        ; implicit-def: $vgpr10
	s_and_saveexec_b64 s[22:23], s[18:19]
	s_cbranch_execz .LBB879_24
; %bb.23:
	v_lshlrev_b32_e32 v10, 2, v36
	v_mov_b32_e32 v11, s62
	v_add_co_u32_e64 v10, s[20:21], s7, v10
	v_addc_co_u32_e64 v11, s[20:21], 0, v11, s[20:21]
	flat_load_dword v10, v[10:11]
.LBB879_24:
	s_or_b64 exec, exec, s[22:23]
	v_or_b32_e32 v38, 0xa00, v0
	v_cmp_gt_u32_e64 s[20:21], s33, v38
                                        ; implicit-def: $vgpr11
	s_and_saveexec_b64 s[24:25], s[20:21]
	s_cbranch_execz .LBB879_26
; %bb.25:
	v_lshlrev_b32_e32 v11, 2, v38
	v_mov_b32_e32 v13, s62
	v_add_co_u32_e64 v12, s[22:23], s7, v11
	v_addc_co_u32_e64 v13, s[22:23], 0, v13, s[22:23]
	flat_load_dword v11, v[12:13]
.LBB879_26:
	s_or_b64 exec, exec, s[24:25]
	v_or_b32_e32 v40, 0xb00, v0
	v_cmp_gt_u32_e64 s[22:23], s33, v40
                                        ; implicit-def: $vgpr12
	s_and_saveexec_b64 s[26:27], s[22:23]
	s_cbranch_execz .LBB879_28
; %bb.27:
	v_lshlrev_b32_e32 v12, 2, v40
	v_mov_b32_e32 v13, s62
	v_add_co_u32_e64 v12, s[24:25], s7, v12
	v_addc_co_u32_e64 v13, s[24:25], 0, v13, s[24:25]
	flat_load_dword v12, v[12:13]
.LBB879_28:
	s_or_b64 exec, exec, s[26:27]
	v_or_b32_e32 v42, 0xc00, v0
	v_cmp_gt_u32_e64 s[24:25], s33, v42
                                        ; implicit-def: $vgpr13
	s_and_saveexec_b64 s[28:29], s[24:25]
	s_cbranch_execz .LBB879_30
; %bb.29:
	v_lshlrev_b32_e32 v13, 2, v42
	v_mov_b32_e32 v15, s62
	v_add_co_u32_e64 v14, s[26:27], s7, v13
	v_addc_co_u32_e64 v15, s[26:27], 0, v15, s[26:27]
	flat_load_dword v13, v[14:15]
.LBB879_30:
	s_or_b64 exec, exec, s[28:29]
	v_or_b32_e32 v44, 0xd00, v0
	v_cmp_gt_u32_e64 s[26:27], s33, v44
                                        ; implicit-def: $vgpr14
	s_and_saveexec_b64 s[34:35], s[26:27]
	s_cbranch_execz .LBB879_32
; %bb.31:
	v_lshlrev_b32_e32 v14, 2, v44
	v_mov_b32_e32 v15, s62
	v_add_co_u32_e64 v14, s[28:29], s7, v14
	v_addc_co_u32_e64 v15, s[28:29], 0, v15, s[28:29]
	flat_load_dword v14, v[14:15]
.LBB879_32:
	s_or_b64 exec, exec, s[34:35]
	v_or_b32_e32 v49, 0xe00, v0
	v_cmp_gt_u32_e64 s[28:29], s33, v49
                                        ; implicit-def: $vgpr15
	s_and_saveexec_b64 s[44:45], s[28:29]
	s_cbranch_execz .LBB879_34
; %bb.33:
	v_lshlrev_b32_e32 v15, 2, v49
	v_mov_b32_e32 v17, s62
	v_add_co_u32_e64 v16, s[34:35], s7, v15
	v_addc_co_u32_e64 v17, s[34:35], 0, v17, s[34:35]
	flat_load_dword v15, v[16:17]
.LBB879_34:
	s_or_b64 exec, exec, s[44:45]
	v_mad_u32_u24 v47, v0, 56, v96
	s_waitcnt vmcnt(0) lgkmcnt(0)
	ds_write2st64_b32 v96, v1, v2 offset1:4
	ds_write2st64_b32 v96, v3, v4 offset0:8 offset1:12
	ds_write2st64_b32 v96, v5, v6 offset0:16 offset1:20
	;; [unrolled: 1-line block ×6, first 2 shown]
	ds_write_b32 v96, v15 offset:14336
	s_waitcnt lgkmcnt(0)
	s_barrier
	ds_read2_b32 v[14:15], v47 offset1:1
	ds_read2_b32 v[12:13], v47 offset0:2 offset1:3
	ds_read2_b32 v[10:11], v47 offset0:4 offset1:5
	ds_read2_b32 v[8:9], v47 offset0:6 offset1:7
	ds_read2_b32 v[6:7], v47 offset0:8 offset1:9
	ds_read2_b32 v[4:5], v47 offset0:10 offset1:11
	ds_read2_b32 v[2:3], v47 offset0:12 offset1:13
	ds_read_b32 v1, v47 offset:56
	s_waitcnt lgkmcnt(0)
	s_barrier
	s_waitcnt lgkmcnt(0)
                                        ; implicit-def: $vgpr16_vgpr17
	s_and_saveexec_b64 s[34:35], vcc
	s_cbranch_execz .LBB879_48
; %bb.35:
	v_lshlrev_b32_e32 v16, 3, v0
	v_mov_b32_e32 v17, s61
	v_add_co_u32_e32 v16, vcc, s60, v16
	v_addc_co_u32_e32 v17, vcc, 0, v17, vcc
	flat_load_dwordx2 v[16:17], v[16:17]
	s_or_b64 exec, exec, s[34:35]
                                        ; implicit-def: $vgpr18_vgpr19
	s_and_saveexec_b64 s[34:35], s[0:1]
	s_cbranch_execnz .LBB879_49
.LBB879_36:
	s_or_b64 exec, exec, s[34:35]
                                        ; implicit-def: $vgpr20_vgpr21
	s_and_saveexec_b64 s[0:1], s[2:3]
	s_cbranch_execz .LBB879_50
.LBB879_37:
	v_lshlrev_b32_e32 v20, 3, v22
	v_mov_b32_e32 v21, s61
	v_add_co_u32_e32 v20, vcc, s60, v20
	v_addc_co_u32_e32 v21, vcc, 0, v21, vcc
	flat_load_dwordx2 v[20:21], v[20:21]
	s_or_b64 exec, exec, s[0:1]
                                        ; implicit-def: $vgpr22_vgpr23
	s_and_saveexec_b64 s[0:1], s[30:31]
	s_cbranch_execnz .LBB879_51
.LBB879_38:
	s_or_b64 exec, exec, s[0:1]
                                        ; implicit-def: $vgpr24_vgpr25
	s_and_saveexec_b64 s[0:1], s[8:9]
	s_cbranch_execz .LBB879_52
.LBB879_39:
	v_lshlrev_b32_e32 v24, 3, v26
	v_mov_b32_e32 v25, s61
	v_add_co_u32_e32 v24, vcc, s60, v24
	v_addc_co_u32_e32 v25, vcc, 0, v25, vcc
	flat_load_dwordx2 v[24:25], v[24:25]
	s_or_b64 exec, exec, s[0:1]
                                        ; implicit-def: $vgpr26_vgpr27
	s_and_saveexec_b64 s[0:1], s[10:11]
	s_cbranch_execnz .LBB879_53
.LBB879_40:
	s_or_b64 exec, exec, s[0:1]
                                        ; implicit-def: $vgpr28_vgpr29
	s_and_saveexec_b64 s[0:1], s[12:13]
	s_cbranch_execz .LBB879_54
.LBB879_41:
	v_lshlrev_b32_e32 v28, 3, v30
	v_mov_b32_e32 v29, s61
	v_add_co_u32_e32 v28, vcc, s60, v28
	v_addc_co_u32_e32 v29, vcc, 0, v29, vcc
	flat_load_dwordx2 v[28:29], v[28:29]
	s_or_b64 exec, exec, s[0:1]
                                        ; implicit-def: $vgpr30_vgpr31
	s_and_saveexec_b64 s[0:1], s[14:15]
	s_cbranch_execnz .LBB879_55
.LBB879_42:
	s_or_b64 exec, exec, s[0:1]
                                        ; implicit-def: $vgpr32_vgpr33
	s_and_saveexec_b64 s[0:1], s[16:17]
	s_cbranch_execz .LBB879_56
.LBB879_43:
	v_lshlrev_b32_e32 v32, 3, v34
	v_mov_b32_e32 v33, s61
	v_add_co_u32_e32 v32, vcc, s60, v32
	v_addc_co_u32_e32 v33, vcc, 0, v33, vcc
	flat_load_dwordx2 v[32:33], v[32:33]
	s_or_b64 exec, exec, s[0:1]
                                        ; implicit-def: $vgpr34_vgpr35
	s_and_saveexec_b64 s[0:1], s[18:19]
	s_cbranch_execnz .LBB879_57
.LBB879_44:
	s_or_b64 exec, exec, s[0:1]
                                        ; implicit-def: $vgpr36_vgpr37
	s_and_saveexec_b64 s[0:1], s[20:21]
	s_cbranch_execz .LBB879_58
.LBB879_45:
	v_lshlrev_b32_e32 v36, 3, v38
	v_mov_b32_e32 v37, s61
	v_add_co_u32_e32 v36, vcc, s60, v36
	v_addc_co_u32_e32 v37, vcc, 0, v37, vcc
	flat_load_dwordx2 v[36:37], v[36:37]
	s_or_b64 exec, exec, s[0:1]
                                        ; implicit-def: $vgpr38_vgpr39
	s_and_saveexec_b64 s[0:1], s[22:23]
	s_cbranch_execnz .LBB879_59
.LBB879_46:
	s_or_b64 exec, exec, s[0:1]
                                        ; implicit-def: $vgpr40_vgpr41
	s_and_saveexec_b64 s[0:1], s[24:25]
	s_cbranch_execz .LBB879_60
.LBB879_47:
	v_lshlrev_b32_e32 v40, 3, v42
	v_mov_b32_e32 v41, s61
	v_add_co_u32_e32 v40, vcc, s60, v40
	v_addc_co_u32_e32 v41, vcc, 0, v41, vcc
	flat_load_dwordx2 v[40:41], v[40:41]
	s_or_b64 exec, exec, s[0:1]
                                        ; implicit-def: $vgpr42_vgpr43
	s_and_saveexec_b64 s[0:1], s[26:27]
	s_cbranch_execz .LBB879_62
	s_branch .LBB879_61
.LBB879_48:
	s_or_b64 exec, exec, s[34:35]
                                        ; implicit-def: $vgpr18_vgpr19
	s_and_saveexec_b64 s[34:35], s[0:1]
	s_cbranch_execz .LBB879_36
.LBB879_49:
	v_lshlrev_b32_e32 v18, 3, v0
	v_mov_b32_e32 v19, s61
	v_add_co_u32_e32 v18, vcc, s60, v18
	v_addc_co_u32_e32 v19, vcc, 0, v19, vcc
	flat_load_dwordx2 v[18:19], v[18:19] offset:2048
	s_or_b64 exec, exec, s[34:35]
                                        ; implicit-def: $vgpr20_vgpr21
	s_and_saveexec_b64 s[0:1], s[2:3]
	s_cbranch_execnz .LBB879_37
.LBB879_50:
	s_or_b64 exec, exec, s[0:1]
                                        ; implicit-def: $vgpr22_vgpr23
	s_and_saveexec_b64 s[0:1], s[30:31]
	s_cbranch_execz .LBB879_38
.LBB879_51:
	v_lshlrev_b32_e32 v22, 3, v24
	v_mov_b32_e32 v23, s61
	v_add_co_u32_e32 v22, vcc, s60, v22
	v_addc_co_u32_e32 v23, vcc, 0, v23, vcc
	flat_load_dwordx2 v[22:23], v[22:23]
	s_or_b64 exec, exec, s[0:1]
                                        ; implicit-def: $vgpr24_vgpr25
	s_and_saveexec_b64 s[0:1], s[8:9]
	s_cbranch_execnz .LBB879_39
.LBB879_52:
	s_or_b64 exec, exec, s[0:1]
                                        ; implicit-def: $vgpr26_vgpr27
	s_and_saveexec_b64 s[0:1], s[10:11]
	s_cbranch_execz .LBB879_40
.LBB879_53:
	v_lshlrev_b32_e32 v26, 3, v28
	v_mov_b32_e32 v27, s61
	v_add_co_u32_e32 v26, vcc, s60, v26
	v_addc_co_u32_e32 v27, vcc, 0, v27, vcc
	flat_load_dwordx2 v[26:27], v[26:27]
	s_or_b64 exec, exec, s[0:1]
                                        ; implicit-def: $vgpr28_vgpr29
	s_and_saveexec_b64 s[0:1], s[12:13]
	s_cbranch_execnz .LBB879_41
.LBB879_54:
	s_or_b64 exec, exec, s[0:1]
                                        ; implicit-def: $vgpr30_vgpr31
	s_and_saveexec_b64 s[0:1], s[14:15]
	s_cbranch_execz .LBB879_42
.LBB879_55:
	v_lshlrev_b32_e32 v30, 3, v32
	v_mov_b32_e32 v31, s61
	v_add_co_u32_e32 v30, vcc, s60, v30
	v_addc_co_u32_e32 v31, vcc, 0, v31, vcc
	flat_load_dwordx2 v[30:31], v[30:31]
	s_or_b64 exec, exec, s[0:1]
                                        ; implicit-def: $vgpr32_vgpr33
	s_and_saveexec_b64 s[0:1], s[16:17]
	s_cbranch_execnz .LBB879_43
.LBB879_56:
	s_or_b64 exec, exec, s[0:1]
                                        ; implicit-def: $vgpr34_vgpr35
	s_and_saveexec_b64 s[0:1], s[18:19]
	s_cbranch_execz .LBB879_44
.LBB879_57:
	v_lshlrev_b32_e32 v34, 3, v36
	v_mov_b32_e32 v35, s61
	v_add_co_u32_e32 v34, vcc, s60, v34
	v_addc_co_u32_e32 v35, vcc, 0, v35, vcc
	flat_load_dwordx2 v[34:35], v[34:35]
	s_or_b64 exec, exec, s[0:1]
                                        ; implicit-def: $vgpr36_vgpr37
	s_and_saveexec_b64 s[0:1], s[20:21]
	s_cbranch_execnz .LBB879_45
.LBB879_58:
	s_or_b64 exec, exec, s[0:1]
                                        ; implicit-def: $vgpr38_vgpr39
	s_and_saveexec_b64 s[0:1], s[22:23]
	s_cbranch_execz .LBB879_46
.LBB879_59:
	v_lshlrev_b32_e32 v38, 3, v40
	v_mov_b32_e32 v39, s61
	v_add_co_u32_e32 v38, vcc, s60, v38
	v_addc_co_u32_e32 v39, vcc, 0, v39, vcc
	flat_load_dwordx2 v[38:39], v[38:39]
	s_or_b64 exec, exec, s[0:1]
                                        ; implicit-def: $vgpr40_vgpr41
	s_and_saveexec_b64 s[0:1], s[24:25]
	s_cbranch_execnz .LBB879_47
.LBB879_60:
	s_or_b64 exec, exec, s[0:1]
                                        ; implicit-def: $vgpr42_vgpr43
	s_and_saveexec_b64 s[0:1], s[26:27]
	s_cbranch_execz .LBB879_62
.LBB879_61:
	v_lshlrev_b32_e32 v42, 3, v44
	v_mov_b32_e32 v43, s61
	v_add_co_u32_e32 v42, vcc, s60, v42
	v_addc_co_u32_e32 v43, vcc, 0, v43, vcc
	flat_load_dwordx2 v[42:43], v[42:43]
.LBB879_62:
	s_or_b64 exec, exec, s[0:1]
	v_mul_u32_u24_e32 v51, 15, v0
                                        ; implicit-def: $vgpr44_vgpr45
	s_and_saveexec_b64 s[0:1], s[28:29]
	s_cbranch_execz .LBB879_64
; %bb.63:
	v_lshlrev_b32_e32 v44, 3, v49
	v_mov_b32_e32 v45, s61
	v_add_co_u32_e32 v44, vcc, s60, v44
	v_addc_co_u32_e32 v45, vcc, 0, v45, vcc
	flat_load_dwordx2 v[44:45], v[44:45]
.LBB879_64:
	s_or_b64 exec, exec, s[0:1]
	s_movk_i32 s0, 0xffcc
	v_add_u32_e32 v82, 1, v51
	v_add_u32_e32 v79, 2, v51
	v_add_u32_e32 v73, 3, v51
	v_add_u32_e32 v71, 4, v51
	v_add_u32_e32 v69, 5, v51
	v_add_u32_e32 v67, 6, v51
	v_add_u32_e32 v65, 7, v51
	v_add_u32_e32 v63, 8, v51
	v_add_u32_e32 v61, 9, v51
	v_add_u32_e32 v59, 10, v51
	v_add_u32_e32 v57, 11, v51
	v_add_u32_e32 v55, 12, v51
	v_add_u32_e32 v53, 13, v51
	v_add_u32_e32 v49, 14, v51
	v_mad_i32_i24 v47, v0, s0, v47
	v_mov_b32_e32 v80, v14
	v_mov_b32_e32 v81, v12
	;; [unrolled: 1-line block ×7, first 2 shown]
	s_waitcnt vmcnt(0) lgkmcnt(0)
	ds_write2st64_b64 v47, v[16:17], v[18:19] offset1:4
	ds_write2st64_b64 v47, v[20:21], v[22:23] offset0:8 offset1:12
	ds_write2st64_b64 v47, v[24:25], v[26:27] offset0:16 offset1:20
	;; [unrolled: 1-line block ×6, first 2 shown]
	ds_write_b64 v47, v[44:45] offset:28672
	s_waitcnt lgkmcnt(0)
	s_barrier
.LBB879_65:
	v_lshlrev_b32_e32 v16, 3, v51
	v_lshlrev_b32_e32 v17, 3, v82
	s_waitcnt lgkmcnt(0)
	v_lshlrev_b32_e32 v18, 3, v79
	v_lshlrev_b32_e32 v19, 3, v73
	ds_read_b64 v[42:43], v16
	ds_read_b64 v[40:41], v17
	ds_read_b64 v[38:39], v18
	ds_read_b64 v[34:35], v19
	v_lshlrev_b32_e32 v16, 3, v71
	v_lshlrev_b32_e32 v17, 3, v69
	v_lshlrev_b32_e32 v18, 3, v67
	v_lshlrev_b32_e32 v19, 3, v65
	ds_read_b64 v[36:37], v16
	ds_read_b64 v[32:33], v17
	ds_read_b64 v[30:31], v18
	ds_read_b64 v[26:27], v19
	v_lshlrev_b32_e32 v16, 3, v63
	v_lshlrev_b32_e32 v17, 3, v61
	;; [unrolled: 8-line block ×3, first 2 shown]
	v_lshlrev_b32_e32 v44, 3, v49
	ds_read_b64 v[18:19], v16
	ds_read_b64 v[16:17], v17
	;; [unrolled: 1-line block ×3, first 2 shown]
	s_load_dwordx4 s[44:47], s[4:5], 0x28
	s_cmp_eq_u64 s[56:57], 0
	s_cselect_b64 s[34:35], -1, 0
	s_cmp_lg_u64 s[56:57], 0
	s_mov_b64 s[60:61], 0
	s_cselect_b64 s[2:3], -1, 0
	s_and_b64 vcc, exec, s[58:59]
	s_waitcnt lgkmcnt(0)
	s_barrier
	s_cbranch_vccz .LBB879_71
; %bb.66:
	s_and_b64 vcc, exec, s[2:3]
	s_cbranch_vccz .LBB879_188
; %bb.67:
	v_mov_b32_e32 v47, s62
	v_add_co_u32_e64 v82, vcc, -4, s7
	v_addc_co_u32_e32 v83, vcc, -1, v47, vcc
	flat_load_dword v47, v[82:83]
	v_cmp_ne_u32_e32 vcc, 0, v0
	ds_write_b32 v96, v1
	s_waitcnt lgkmcnt(0)
	s_barrier
	s_and_saveexec_b64 s[0:1], vcc
	s_cbranch_execz .LBB879_69
; %bb.68:
	s_waitcnt vmcnt(0)
	v_add_u32_e32 v47, -4, v96
	ds_read_b32 v47, v47
.LBB879_69:
	s_or_b64 exec, exec, s[0:1]
	v_cmp_ne_u32_e32 vcc, v80, v15
	v_cndmask_b32_e64 v95, 0, 1, vcc
	v_cmp_ne_u32_e32 vcc, v81, v15
	v_cndmask_b32_e64 v94, 0, 1, vcc
	;; [unrolled: 2-line block ×14, first 2 shown]
	s_waitcnt vmcnt(0) lgkmcnt(0)
	v_cmp_ne_u32_e64 s[0:1], v47, v14
	s_mov_b64 s[60:61], -1
.LBB879_70:
                                        ; implicit-def: $sgpr8
	s_branch .LBB879_72
.LBB879_71:
                                        ; implicit-def: $sgpr0_sgpr1
                                        ; implicit-def: $vgpr82
                                        ; implicit-def: $vgpr83
                                        ; implicit-def: $vgpr84
                                        ; implicit-def: $vgpr85
                                        ; implicit-def: $vgpr86
                                        ; implicit-def: $vgpr87
                                        ; implicit-def: $vgpr88
                                        ; implicit-def: $vgpr89
                                        ; implicit-def: $vgpr90
                                        ; implicit-def: $vgpr91
                                        ; implicit-def: $vgpr92
                                        ; implicit-def: $vgpr93
                                        ; implicit-def: $vgpr94
                                        ; implicit-def: $vgpr95
                                        ; implicit-def: $sgpr8
	s_cbranch_execnz .LBB879_192
.LBB879_72:
	v_mov_b32_e32 v96, s8
	s_and_saveexec_b64 s[2:3], s[60:61]
.LBB879_73:
	v_cndmask_b32_e64 v96, 0, 1, s[0:1]
.LBB879_74:
	s_or_b64 exec, exec, s[2:3]
	s_cmp_eq_u64 s[42:43], 0
	v_add3_u32 v46, v95, v96, v94
	s_cselect_b64 s[30:31], -1, 0
	s_cmp_lg_u32 s6, 0
	v_cmp_eq_u32_e64 s[24:25], 0, v95
	v_cmp_eq_u32_e64 s[22:23], 0, v94
	;; [unrolled: 1-line block ×3, first 2 shown]
	v_add3_u32 v99, v46, v93, v92
	v_cmp_eq_u32_e64 s[18:19], 0, v92
	v_cmp_eq_u32_e64 s[16:17], 0, v91
	v_cmp_eq_u32_e64 s[14:15], 0, v90
	v_cmp_eq_u32_e64 s[12:13], 0, v89
	v_cmp_eq_u32_e64 s[10:11], 0, v88
	v_cmp_eq_u32_e64 s[8:9], 0, v87
	v_cmp_eq_u32_e64 s[28:29], 0, v86
	v_cmp_eq_u32_e64 s[4:5], 0, v85
	v_cmp_eq_u32_e64 s[2:3], 0, v84
	v_cmp_eq_u32_e64 s[0:1], 0, v83
	v_cmp_eq_u32_e32 vcc, 0, v82
	v_mbcnt_lo_u32_b32 v97, -1, 0
	s_cbranch_scc0 .LBB879_141
; %bb.75:
	v_cndmask_b32_e64 v47, 0, v42, s[24:25]
	v_cndmask_b32_e64 v46, 0, v43, s[24:25]
	v_add_co_u32_e64 v47, s[26:27], v47, v40
	v_addc_co_u32_e64 v46, s[26:27], v46, v41, s[26:27]
	v_cndmask_b32_e64 v47, 0, v47, s[22:23]
	v_cndmask_b32_e64 v46, 0, v46, s[22:23]
	v_add_co_u32_e64 v47, s[26:27], v47, v38
	v_addc_co_u32_e64 v46, s[26:27], v46, v39, s[26:27]
	;; [unrolled: 4-line block ×11, first 2 shown]
	v_cndmask_b32_e64 v47, 0, v47, s[2:3]
	v_add3_u32 v48, v99, v91, v90
	v_cndmask_b32_e64 v46, 0, v46, s[2:3]
	v_add_co_u32_e64 v47, s[26:27], v47, v18
	v_add3_u32 v48, v48, v89, v88
	v_addc_co_u32_e64 v46, s[26:27], v46, v19, s[26:27]
	v_cndmask_b32_e64 v47, 0, v47, s[0:1]
	v_add3_u32 v48, v48, v87, v86
	v_cndmask_b32_e64 v46, 0, v46, s[0:1]
	v_add_co_u32_e64 v47, s[26:27], v47, v16
	v_add3_u32 v48, v48, v85, v84
	v_addc_co_u32_e64 v46, s[26:27], v46, v17, s[26:27]
	v_cndmask_b32_e32 v47, 0, v47, vcc
	v_add3_u32 v50, v48, v83, v82
	v_cndmask_b32_e32 v46, 0, v46, vcc
	v_add_co_u32_e32 v48, vcc, v47, v44
	v_mbcnt_hi_u32_b32 v51, -1, v97
	v_addc_co_u32_e32 v49, vcc, v46, v45, vcc
	v_and_b32_e32 v46, 15, v51
	v_mov_b32_dpp v52, v50 row_shr:1 row_mask:0xf bank_mask:0xf
	v_mov_b32_dpp v47, v48 row_shr:1 row_mask:0xf bank_mask:0xf
	v_mov_b32_dpp v53, v49 row_shr:1 row_mask:0xf bank_mask:0xf
	v_cmp_ne_u32_e32 vcc, 0, v46
	s_and_saveexec_b64 s[26:27], vcc
; %bb.76:
	v_cmp_eq_u32_e32 vcc, 0, v50
	v_cndmask_b32_e32 v47, 0, v47, vcc
	v_add_u32_e32 v52, v52, v50
	v_cndmask_b32_e32 v50, 0, v53, vcc
	v_add_co_u32_e32 v48, vcc, v47, v48
	v_addc_co_u32_e32 v49, vcc, v50, v49, vcc
	v_mov_b32_e32 v50, v52
; %bb.77:
	s_or_b64 exec, exec, s[26:27]
	s_nop 0
	v_mov_b32_dpp v52, v50 row_shr:2 row_mask:0xf bank_mask:0xf
	v_mov_b32_dpp v47, v48 row_shr:2 row_mask:0xf bank_mask:0xf
	v_mov_b32_dpp v53, v49 row_shr:2 row_mask:0xf bank_mask:0xf
	v_cmp_lt_u32_e32 vcc, 1, v46
	s_and_saveexec_b64 s[26:27], vcc
; %bb.78:
	v_cmp_eq_u32_e32 vcc, 0, v50
	v_cndmask_b32_e32 v47, 0, v47, vcc
	v_add_u32_e32 v52, v52, v50
	v_cndmask_b32_e32 v50, 0, v53, vcc
	v_add_co_u32_e32 v48, vcc, v47, v48
	v_addc_co_u32_e32 v49, vcc, v50, v49, vcc
	v_mov_b32_e32 v50, v52
; %bb.79:
	s_or_b64 exec, exec, s[26:27]
	s_nop 0
	v_mov_b32_dpp v52, v50 row_shr:4 row_mask:0xf bank_mask:0xf
	v_mov_b32_dpp v47, v48 row_shr:4 row_mask:0xf bank_mask:0xf
	v_mov_b32_dpp v53, v49 row_shr:4 row_mask:0xf bank_mask:0xf
	v_cmp_lt_u32_e32 vcc, 3, v46
	;; [unrolled: 16-line block ×3, first 2 shown]
	s_and_saveexec_b64 s[26:27], vcc
; %bb.82:
	v_cmp_eq_u32_e32 vcc, 0, v50
	v_cndmask_b32_e32 v47, 0, v47, vcc
	v_add_u32_e32 v46, v52, v50
	v_cndmask_b32_e32 v50, 0, v53, vcc
	v_add_co_u32_e32 v48, vcc, v47, v48
	v_addc_co_u32_e32 v49, vcc, v50, v49, vcc
	v_mov_b32_e32 v50, v46
; %bb.83:
	s_or_b64 exec, exec, s[26:27]
	v_and_b32_e32 v53, 16, v51
	v_mov_b32_dpp v47, v50 row_bcast:15 row_mask:0xf bank_mask:0xf
	v_mov_b32_dpp v46, v48 row_bcast:15 row_mask:0xf bank_mask:0xf
	;; [unrolled: 1-line block ×3, first 2 shown]
	v_cmp_ne_u32_e32 vcc, 0, v53
	s_and_saveexec_b64 s[26:27], vcc
; %bb.84:
	v_cmp_eq_u32_e32 vcc, 0, v50
	v_cndmask_b32_e32 v46, 0, v46, vcc
	v_add_u32_e32 v47, v47, v50
	v_cndmask_b32_e32 v50, 0, v52, vcc
	v_add_co_u32_e32 v48, vcc, v46, v48
	v_addc_co_u32_e32 v49, vcc, v50, v49, vcc
	v_mov_b32_e32 v50, v47
; %bb.85:
	s_or_b64 exec, exec, s[26:27]
	s_nop 0
	v_mov_b32_dpp v47, v50 row_bcast:31 row_mask:0xf bank_mask:0xf
	v_mov_b32_dpp v46, v48 row_bcast:31 row_mask:0xf bank_mask:0xf
	;; [unrolled: 1-line block ×3, first 2 shown]
	v_cmp_lt_u32_e32 vcc, 31, v51
	s_and_saveexec_b64 s[26:27], vcc
; %bb.86:
	v_cmp_eq_u32_e32 vcc, 0, v50
	v_cndmask_b32_e32 v46, 0, v46, vcc
	v_add_u32_e32 v47, v47, v50
	v_cndmask_b32_e32 v50, 0, v52, vcc
	v_add_co_u32_e32 v48, vcc, v46, v48
	v_addc_co_u32_e32 v49, vcc, v50, v49, vcc
	v_mov_b32_e32 v50, v47
; %bb.87:
	s_or_b64 exec, exec, s[26:27]
	v_lshrrev_b32_e32 v46, 6, v0
	v_or_b32_e32 v47, 63, v0
	v_cmp_eq_u32_e32 vcc, v47, v0
	v_lshlrev_b32_e32 v52, 4, v46
	s_and_saveexec_b64 s[26:27], vcc
	s_cbranch_execz .LBB879_89
; %bb.88:
	ds_write_b32 v52, v50 offset:2080
	ds_write_b64 v52, v[48:49] offset:2088
.LBB879_89:
	s_or_b64 exec, exec, s[26:27]
	v_cmp_gt_u32_e32 vcc, 4, v0
	s_waitcnt lgkmcnt(0)
	s_barrier
	s_and_saveexec_b64 s[26:27], vcc
	s_cbranch_execz .LBB879_95
; %bb.90:
	v_lshlrev_b32_e32 v53, 4, v0
	ds_read_b32 v54, v53 offset:2080
	ds_read_b64 v[46:47], v53 offset:2088
	v_and_b32_e32 v55, 3, v51
	v_cmp_ne_u32_e32 vcc, 0, v55
	s_waitcnt lgkmcnt(1)
	v_mov_b32_dpp v57, v54 row_shr:1 row_mask:0xf bank_mask:0xf
	s_waitcnt lgkmcnt(0)
	v_mov_b32_dpp v56, v46 row_shr:1 row_mask:0xf bank_mask:0xf
	v_mov_b32_dpp v58, v47 row_shr:1 row_mask:0xf bank_mask:0xf
	s_and_saveexec_b64 s[42:43], vcc
; %bb.91:
	v_cmp_eq_u32_e32 vcc, 0, v54
	v_cndmask_b32_e32 v56, 0, v56, vcc
	v_add_u32_e32 v57, v57, v54
	v_cndmask_b32_e32 v54, 0, v58, vcc
	v_add_co_u32_e32 v46, vcc, v56, v46
	v_addc_co_u32_e32 v47, vcc, v54, v47, vcc
	v_mov_b32_e32 v54, v57
; %bb.92:
	s_or_b64 exec, exec, s[42:43]
	s_nop 0
	v_mov_b32_dpp v57, v54 row_shr:2 row_mask:0xf bank_mask:0xf
	v_mov_b32_dpp v56, v46 row_shr:2 row_mask:0xf bank_mask:0xf
	v_mov_b32_dpp v58, v47 row_shr:2 row_mask:0xf bank_mask:0xf
	v_cmp_lt_u32_e32 vcc, 1, v55
	s_and_saveexec_b64 s[42:43], vcc
; %bb.93:
	v_cmp_eq_u32_e32 vcc, 0, v54
	v_cndmask_b32_e32 v56, 0, v56, vcc
	v_add_u32_e32 v55, v57, v54
	v_cndmask_b32_e32 v54, 0, v58, vcc
	v_add_co_u32_e32 v46, vcc, v56, v46
	v_addc_co_u32_e32 v47, vcc, v54, v47, vcc
	v_mov_b32_e32 v54, v55
; %bb.94:
	s_or_b64 exec, exec, s[42:43]
	ds_write_b32 v53, v54 offset:2080
	ds_write_b64 v53, v[46:47] offset:2088
.LBB879_95:
	s_or_b64 exec, exec, s[26:27]
	v_cmp_gt_u32_e32 vcc, 64, v0
	v_cmp_lt_u32_e64 s[26:27], 63, v0
	v_pk_mov_b32 v[46:47], 0, 0
	v_mov_b32_e32 v58, 0
	s_waitcnt lgkmcnt(0)
	s_barrier
	s_and_saveexec_b64 s[42:43], s[26:27]
	s_cbranch_execz .LBB879_97
; %bb.96:
	ds_read_b32 v58, v52 offset:2064
	ds_read_b64 v[46:47], v52 offset:2072
	v_cmp_eq_u32_e64 s[26:27], 0, v50
	s_waitcnt lgkmcnt(1)
	v_add_u32_e32 v52, v58, v50
	s_waitcnt lgkmcnt(0)
	v_cndmask_b32_e64 v53, 0, v46, s[26:27]
	v_cndmask_b32_e64 v50, 0, v47, s[26:27]
	v_add_co_u32_e64 v48, s[26:27], v53, v48
	v_addc_co_u32_e64 v49, s[26:27], v50, v49, s[26:27]
	v_mov_b32_e32 v50, v52
.LBB879_97:
	s_or_b64 exec, exec, s[42:43]
	v_add_u32_e32 v52, -1, v51
	v_and_b32_e32 v53, 64, v51
	v_cmp_lt_i32_e64 s[26:27], v52, v53
	v_cndmask_b32_e64 v52, v52, v51, s[26:27]
	v_lshlrev_b32_e32 v52, 2, v52
	ds_bpermute_b32 v59, v52, v50
	ds_bpermute_b32 v60, v52, v48
	;; [unrolled: 1-line block ×3, first 2 shown]
	v_cmp_eq_u32_e64 s[26:27], 0, v51
	s_and_saveexec_b64 s[42:43], vcc
	s_cbranch_execz .LBB879_140
; %bb.98:
	v_mov_b32_e32 v53, 0
	ds_read_b32 v62, v53 offset:2128
	ds_read_b64 v[48:49], v53 offset:2136
	s_and_saveexec_b64 s[48:49], s[26:27]
	s_cbranch_execz .LBB879_100
; %bb.99:
	s_add_i32 s56, s6, 64
	s_mov_b32 s57, 0
	s_lshl_b64 s[58:59], s[56:57], 4
	s_add_u32 s58, s36, s58
	s_addc_u32 s59, s37, s59
	v_mov_b32_e32 v50, s56
	v_mov_b32_e32 v52, 1
	s_waitcnt lgkmcnt(1)
	global_store_dword v53, v62, s[58:59]
	s_waitcnt lgkmcnt(0)
	global_store_dwordx2 v53, v[48:49], s[58:59] offset:8
	s_waitcnt vmcnt(0)
	buffer_wbinvl1_vol
	global_store_byte v50, v52, s[40:41]
.LBB879_100:
	s_or_b64 exec, exec, s[48:49]
	v_xad_u32 v50, v51, -1, s6
	v_add_u32_e32 v52, 64, v50
	global_load_ubyte v63, v52, s[40:41] glc
	s_waitcnt vmcnt(0)
	v_cmp_eq_u16_e32 vcc, 0, v63
	s_and_saveexec_b64 s[48:49], vcc
	s_cbranch_execz .LBB879_104
; %bb.101:
	v_mov_b32_e32 v55, s41
	v_add_co_u32_e32 v54, vcc, s40, v52
	v_addc_co_u32_e32 v55, vcc, 0, v55, vcc
	s_mov_b64 s[56:57], 0
.LBB879_102:                            ; =>This Inner Loop Header: Depth=1
	global_load_ubyte v63, v[54:55], off glc
	s_waitcnt vmcnt(0)
	v_cmp_ne_u16_e32 vcc, 0, v63
	s_or_b64 s[56:57], vcc, s[56:57]
	s_andn2_b64 exec, exec, s[56:57]
	s_cbranch_execnz .LBB879_102
; %bb.103:
	s_or_b64 exec, exec, s[56:57]
.LBB879_104:
	s_or_b64 exec, exec, s[48:49]
	v_mov_b32_e32 v54, s39
	v_mov_b32_e32 v55, s37
	v_cmp_eq_u16_e32 vcc, 1, v63
	v_cndmask_b32_e32 v54, v54, v55, vcc
	v_mov_b32_e32 v55, s38
	v_mov_b32_e32 v56, s36
	v_cndmask_b32_e32 v55, v55, v56, vcc
	v_lshlrev_b64 v[52:53], 4, v[52:53]
	v_add_co_u32_e32 v52, vcc, v55, v52
	v_addc_co_u32_e32 v53, vcc, v54, v53, vcc
	s_waitcnt lgkmcnt(0)
	buffer_wbinvl1_vol
	global_load_dword v78, v[52:53], off
	global_load_dwordx2 v[56:57], v[52:53], off offset:8
	v_cmp_eq_u16_e32 vcc, 2, v63
	v_lshlrev_b64 v[52:53], v51, -1
	v_and_b32_e32 v64, 63, v51
	v_and_b32_e32 v54, vcc_hi, v53
	v_and_b32_e32 v68, vcc_lo, v52
	v_cmp_ne_u32_e32 vcc, 63, v64
	v_addc_co_u32_e32 v55, vcc, 0, v51, vcc
	v_lshlrev_b32_e32 v65, 2, v55
	v_or_b32_e32 v54, 0x80000000, v54
	v_ffbl_b32_e32 v54, v54
	v_add_u32_e32 v54, 32, v54
	v_ffbl_b32_e32 v68, v68
	v_min_u32_e32 v54, v68, v54
	v_cmp_lt_u32_e32 vcc, v64, v54
	s_waitcnt vmcnt(1)
	ds_bpermute_b32 v66, v65, v78
	s_waitcnt vmcnt(0)
	ds_bpermute_b32 v55, v65, v56
	ds_bpermute_b32 v67, v65, v57
	s_and_saveexec_b64 s[48:49], vcc
	s_cbranch_execz .LBB879_106
; %bb.105:
	v_cmp_eq_u32_e32 vcc, 0, v78
	s_waitcnt lgkmcnt(1)
	v_cndmask_b32_e32 v55, 0, v55, vcc
	v_add_u32_e32 v66, v66, v78
	s_waitcnt lgkmcnt(0)
	v_cndmask_b32_e32 v67, 0, v67, vcc
	v_add_co_u32_e32 v56, vcc, v55, v56
	v_addc_co_u32_e32 v57, vcc, v67, v57, vcc
	v_mov_b32_e32 v78, v66
.LBB879_106:
	s_or_b64 exec, exec, s[48:49]
	v_cmp_gt_u32_e32 vcc, 62, v64
	s_waitcnt lgkmcnt(1)
	v_cndmask_b32_e64 v55, 0, 1, vcc
	v_lshlrev_b32_e32 v55, 1, v55
	v_add_lshl_u32 v66, v55, v51, 2
	ds_bpermute_b32 v68, v66, v78
	ds_bpermute_b32 v55, v66, v56
	ds_bpermute_b32 v69, v66, v57
	s_waitcnt lgkmcnt(3)
	v_add_u32_e32 v67, 2, v64
	v_cmp_le_u32_e32 vcc, v67, v54
	s_and_saveexec_b64 s[48:49], vcc
	s_cbranch_execz .LBB879_108
; %bb.107:
	v_cmp_eq_u32_e32 vcc, 0, v78
	s_waitcnt lgkmcnt(1)
	v_cndmask_b32_e32 v55, 0, v55, vcc
	v_add_u32_e32 v68, v68, v78
	s_waitcnt lgkmcnt(0)
	v_cndmask_b32_e32 v69, 0, v69, vcc
	v_add_co_u32_e32 v56, vcc, v55, v56
	v_addc_co_u32_e32 v57, vcc, v69, v57, vcc
	v_mov_b32_e32 v78, v68
.LBB879_108:
	s_or_b64 exec, exec, s[48:49]
	v_cmp_gt_u32_e32 vcc, 60, v64
	s_waitcnt lgkmcnt(1)
	v_cndmask_b32_e64 v55, 0, 1, vcc
	v_lshlrev_b32_e32 v55, 2, v55
	v_add_lshl_u32 v68, v55, v51, 2
	ds_bpermute_b32 v70, v68, v78
	ds_bpermute_b32 v55, v68, v56
	ds_bpermute_b32 v71, v68, v57
	s_waitcnt lgkmcnt(3)
	v_add_u32_e32 v69, 4, v64
	v_cmp_le_u32_e32 vcc, v69, v54
	;; [unrolled: 25-line block ×4, first 2 shown]
	s_and_saveexec_b64 s[48:49], vcc
	s_cbranch_execz .LBB879_114
; %bb.113:
	v_cmp_eq_u32_e32 vcc, 0, v78
	s_waitcnt lgkmcnt(1)
	v_cndmask_b32_e32 v55, 0, v55, vcc
	v_add_u32_e32 v74, v74, v78
	s_waitcnt lgkmcnt(0)
	v_cndmask_b32_e32 v75, 0, v75, vcc
	v_add_co_u32_e32 v56, vcc, v55, v56
	v_addc_co_u32_e32 v57, vcc, v75, v57, vcc
	v_mov_b32_e32 v78, v74
.LBB879_114:
	s_or_b64 exec, exec, s[48:49]
	v_cmp_gt_u32_e32 vcc, 32, v64
	s_waitcnt lgkmcnt(1)
	v_cndmask_b32_e64 v55, 0, 1, vcc
	v_lshlrev_b32_e32 v55, 5, v55
	v_add_lshl_u32 v74, v55, v51, 2
	ds_bpermute_b32 v55, v74, v78
	ds_bpermute_b32 v51, v74, v56
	s_waitcnt lgkmcnt(2)
	ds_bpermute_b32 v75, v74, v57
	v_add_u32_e32 v76, 32, v64
	v_cmp_le_u32_e32 vcc, v76, v54
	s_and_saveexec_b64 s[48:49], vcc
	s_cbranch_execz .LBB879_116
; %bb.115:
	v_cmp_eq_u32_e32 vcc, 0, v78
	s_waitcnt lgkmcnt(1)
	v_cndmask_b32_e32 v51, 0, v51, vcc
	v_add_u32_e32 v54, v55, v78
	s_waitcnt lgkmcnt(0)
	v_cndmask_b32_e32 v55, 0, v75, vcc
	v_add_co_u32_e32 v56, vcc, v51, v56
	v_addc_co_u32_e32 v57, vcc, v55, v57, vcc
	v_mov_b32_e32 v78, v54
.LBB879_116:
	s_or_b64 exec, exec, s[48:49]
	s_waitcnt lgkmcnt(1)
	v_mov_b32_e32 v51, 0
	v_mov_b32_e32 v77, 2
	s_branch .LBB879_118
.LBB879_117:                            ;   in Loop: Header=BB879_118 Depth=1
	s_or_b64 exec, exec, s[48:49]
	v_cmp_eq_u32_e32 vcc, 0, v75
	v_cndmask_b32_e32 v56, 0, v56, vcc
	v_cndmask_b32_e32 v57, 0, v57, vcc
	v_add_co_u32_e32 v56, vcc, v56, v54
	v_subrev_u32_e32 v50, 64, v50
	v_add_u32_e32 v78, v79, v75
	v_addc_co_u32_e32 v57, vcc, v57, v55, vcc
.LBB879_118:                            ; =>This Loop Header: Depth=1
                                        ;     Child Loop BB879_121 Depth 2
	v_cmp_ne_u16_sdwa s[48:49], v63, v77 src0_sel:BYTE_0 src1_sel:DWORD
	v_pk_mov_b32 v[54:55], v[56:57], v[56:57] op_sel:[0,1]
	v_cndmask_b32_e64 v56, 0, 1, s[48:49]
	;;#ASMSTART
	;;#ASMEND
	v_cmp_ne_u32_e32 vcc, 0, v56
	s_cmp_lg_u64 vcc, exec
	s_waitcnt lgkmcnt(0)
	v_mov_b32_e32 v75, v78
	s_cbranch_scc1 .LBB879_135
; %bb.119:                              ;   in Loop: Header=BB879_118 Depth=1
	global_load_ubyte v63, v50, s[40:41] glc
	s_waitcnt vmcnt(0)
	v_cmp_eq_u16_e32 vcc, 0, v63
	s_and_saveexec_b64 s[48:49], vcc
	s_cbranch_execz .LBB879_123
; %bb.120:                              ;   in Loop: Header=BB879_118 Depth=1
	v_mov_b32_e32 v57, s41
	v_add_co_u32_e32 v56, vcc, s40, v50
	v_addc_co_u32_e32 v57, vcc, 0, v57, vcc
	s_mov_b64 s[56:57], 0
.LBB879_121:                            ;   Parent Loop BB879_118 Depth=1
                                        ; =>  This Inner Loop Header: Depth=2
	global_load_ubyte v63, v[56:57], off glc
	s_waitcnt vmcnt(0)
	v_cmp_ne_u16_e32 vcc, 0, v63
	s_or_b64 s[56:57], vcc, s[56:57]
	s_andn2_b64 exec, exec, s[56:57]
	s_cbranch_execnz .LBB879_121
; %bb.122:                              ;   in Loop: Header=BB879_118 Depth=1
	s_or_b64 exec, exec, s[56:57]
.LBB879_123:                            ;   in Loop: Header=BB879_118 Depth=1
	s_or_b64 exec, exec, s[48:49]
	v_mov_b32_e32 v56, s39
	v_mov_b32_e32 v57, s37
	v_cmp_eq_u16_e32 vcc, 1, v63
	v_cndmask_b32_e32 v78, v56, v57, vcc
	v_mov_b32_e32 v56, s38
	v_mov_b32_e32 v57, s36
	v_cndmask_b32_e32 v79, v56, v57, vcc
	v_lshlrev_b64 v[56:57], 4, v[50:51]
	v_add_co_u32_e32 v56, vcc, v79, v56
	v_addc_co_u32_e32 v57, vcc, v78, v57, vcc
	buffer_wbinvl1_vol
	global_load_dword v79, v[56:57], off
	s_nop 0
	global_load_dwordx2 v[56:57], v[56:57], off offset:8
	v_cmp_eq_u16_e32 vcc, 2, v63
	v_and_b32_e32 v78, vcc_hi, v53
	v_or_b32_e32 v78, 0x80000000, v78
	v_and_b32_e32 v100, vcc_lo, v52
	v_ffbl_b32_e32 v78, v78
	v_add_u32_e32 v78, 32, v78
	v_ffbl_b32_e32 v100, v100
	v_min_u32_e32 v78, v100, v78
	v_cmp_lt_u32_e32 vcc, v64, v78
	s_waitcnt vmcnt(1)
	ds_bpermute_b32 v81, v65, v79
	s_waitcnt vmcnt(0)
	ds_bpermute_b32 v80, v65, v56
	ds_bpermute_b32 v98, v65, v57
	s_and_saveexec_b64 s[48:49], vcc
	s_cbranch_execz .LBB879_125
; %bb.124:                              ;   in Loop: Header=BB879_118 Depth=1
	v_cmp_eq_u32_e32 vcc, 0, v79
	s_waitcnt lgkmcnt(1)
	v_cndmask_b32_e32 v80, 0, v80, vcc
	v_add_u32_e32 v81, v81, v79
	s_waitcnt lgkmcnt(0)
	v_cndmask_b32_e32 v79, 0, v98, vcc
	v_add_co_u32_e32 v56, vcc, v80, v56
	v_addc_co_u32_e32 v57, vcc, v79, v57, vcc
	v_mov_b32_e32 v79, v81
.LBB879_125:                            ;   in Loop: Header=BB879_118 Depth=1
	s_or_b64 exec, exec, s[48:49]
	s_waitcnt lgkmcnt(2)
	ds_bpermute_b32 v81, v66, v79
	s_waitcnt lgkmcnt(2)
	ds_bpermute_b32 v80, v66, v56
	s_waitcnt lgkmcnt(2)
	ds_bpermute_b32 v98, v66, v57
	v_cmp_le_u32_e32 vcc, v67, v78
	s_and_saveexec_b64 s[48:49], vcc
	s_cbranch_execz .LBB879_127
; %bb.126:                              ;   in Loop: Header=BB879_118 Depth=1
	v_cmp_eq_u32_e32 vcc, 0, v79
	s_waitcnt lgkmcnt(1)
	v_cndmask_b32_e32 v80, 0, v80, vcc
	v_add_u32_e32 v81, v81, v79
	s_waitcnt lgkmcnt(0)
	v_cndmask_b32_e32 v79, 0, v98, vcc
	v_add_co_u32_e32 v56, vcc, v80, v56
	v_addc_co_u32_e32 v57, vcc, v79, v57, vcc
	v_mov_b32_e32 v79, v81
.LBB879_127:                            ;   in Loop: Header=BB879_118 Depth=1
	s_or_b64 exec, exec, s[48:49]
	s_waitcnt lgkmcnt(2)
	ds_bpermute_b32 v81, v68, v79
	s_waitcnt lgkmcnt(2)
	ds_bpermute_b32 v80, v68, v56
	s_waitcnt lgkmcnt(2)
	ds_bpermute_b32 v98, v68, v57
	v_cmp_le_u32_e32 vcc, v69, v78
	;; [unrolled: 21-line block ×5, first 2 shown]
	s_and_saveexec_b64 s[48:49], vcc
	s_cbranch_execz .LBB879_117
; %bb.134:                              ;   in Loop: Header=BB879_118 Depth=1
	v_cmp_eq_u32_e32 vcc, 0, v79
	s_waitcnt lgkmcnt(1)
	v_cndmask_b32_e32 v80, 0, v80, vcc
	v_add_u32_e32 v78, v81, v79
	s_waitcnt lgkmcnt(0)
	v_cndmask_b32_e32 v79, 0, v98, vcc
	v_add_co_u32_e32 v56, vcc, v80, v56
	v_addc_co_u32_e32 v57, vcc, v79, v57, vcc
	v_mov_b32_e32 v79, v78
	s_branch .LBB879_117
.LBB879_135:                            ;   in Loop: Header=BB879_118 Depth=1
                                        ; implicit-def: $vgpr56_vgpr57
                                        ; implicit-def: $vgpr78
                                        ; implicit-def: $vgpr63
	s_cbranch_execz .LBB879_118
; %bb.136:
	s_and_saveexec_b64 s[36:37], s[26:27]
	s_cbranch_execz .LBB879_138
; %bb.137:
	s_mov_b32 s7, 0
	v_cmp_eq_u32_e32 vcc, 0, v62
	s_add_i32 s6, s6, 64
	v_cndmask_b32_e32 v50, 0, v54, vcc
	s_lshl_b64 s[48:49], s[6:7], 4
	v_cndmask_b32_e32 v51, 0, v55, vcc
	v_add_co_u32_e32 v50, vcc, v50, v48
	s_add_u32 s48, s38, s48
	v_add_u32_e32 v52, v75, v62
	v_addc_co_u32_e32 v51, vcc, v51, v49, vcc
	s_addc_u32 s49, s39, s49
	v_mov_b32_e32 v53, 0
	global_store_dword v53, v52, s[48:49]
	global_store_dwordx2 v53, v[50:51], s[48:49] offset:8
	v_mov_b32_e32 v50, s6
	v_mov_b32_e32 v51, 2
	s_waitcnt vmcnt(0) lgkmcnt(0)
	buffer_wbinvl1_vol
	global_store_byte v50, v51, s[40:41]
	ds_write_b32 v53, v62 offset:2048
	ds_write_b64 v53, v[48:49] offset:2056
	ds_write_b32 v53, v75 offset:2064
	ds_write_b64 v53, v[54:55] offset:2072
.LBB879_138:
	s_or_b64 exec, exec, s[36:37]
	v_cmp_eq_u32_e32 vcc, 0, v0
	s_and_b64 exec, exec, vcc
	s_cbranch_execz .LBB879_140
; %bb.139:
	v_mov_b32_e32 v48, 0
	ds_write_b32 v48, v75 offset:2128
	ds_write_b64 v48, v[54:55] offset:2136
.LBB879_140:
	s_or_b64 exec, exec, s[42:43]
	v_mov_b32_e32 v51, 0
	s_waitcnt lgkmcnt(0)
	s_barrier
	ds_read_b32 v50, v51 offset:2128
	ds_read_b64 v[48:49], v51 offset:2136
	v_cndmask_b32_e64 v52, v59, v58, s[26:27]
	v_cmp_eq_u32_e32 vcc, 0, v52
	v_cndmask_b32_e64 v46, v60, v46, s[26:27]
	v_cndmask_b32_e64 v47, v61, v47, s[26:27]
	s_waitcnt lgkmcnt(0)
	v_cndmask_b32_e32 v54, 0, v48, vcc
	v_cndmask_b32_e32 v53, 0, v49, vcc
	v_add_co_u32_e32 v46, vcc, v54, v46
	v_addc_co_u32_e32 v47, vcc, v53, v47, vcc
	v_cmp_eq_u32_e32 vcc, 0, v0
	v_cndmask_b32_e64 v52, v52, 0, vcc
	v_cndmask_b32_e32 v77, v47, v49, vcc
	v_cndmask_b32_e32 v76, v46, v48, vcc
	v_cmp_eq_u32_e32 vcc, 0, v96
	v_cndmask_b32_e32 v47, 0, v76, vcc
	v_add_u32_e32 v98, v50, v52
	v_cndmask_b32_e32 v46, 0, v77, vcc
	v_add_co_u32_e32 v52, vcc, v47, v42
	v_addc_co_u32_e32 v53, vcc, v46, v43, vcc
	v_cndmask_b32_e64 v47, 0, v52, s[24:25]
	v_cndmask_b32_e64 v46, 0, v53, s[24:25]
	v_add_co_u32_e32 v54, vcc, v47, v40
	v_addc_co_u32_e32 v55, vcc, v46, v41, vcc
	v_cndmask_b32_e64 v47, 0, v54, s[22:23]
	v_cndmask_b32_e64 v46, 0, v55, s[22:23]
	;; [unrolled: 4-line block ×11, first 2 shown]
	v_add_co_u32_e32 v74, vcc, v47, v20
	v_addc_co_u32_e32 v75, vcc, v46, v21, vcc
	s_barrier
	ds_read_b32 v46, v51 offset:2048
	ds_read_b64 v[48:49], v51 offset:2056
	ds_read_b32 v50, v51 offset:2064
	ds_read_b64 v[100:101], v51 offset:2072
	v_cndmask_b32_e64 v78, 0, v74, s[2:3]
	v_cndmask_b32_e64 v47, 0, v75, s[2:3]
	v_add_co_u32_e32 v78, vcc, v78, v18
	v_addc_co_u32_e32 v79, vcc, v47, v19, vcc
	s_waitcnt lgkmcnt(3)
	v_cmp_eq_u32_e32 vcc, 0, v46
	s_waitcnt lgkmcnt(0)
	v_cndmask_b32_e32 v51, 0, v100, vcc
	v_cndmask_b32_e32 v47, 0, v101, vcc
	v_add_co_u32_e32 v48, vcc, v51, v48
	v_cndmask_b32_e64 v81, 0, v79, s[0:1]
	v_cndmask_b32_e64 v80, 0, v78, s[0:1]
	v_addc_co_u32_e32 v49, vcc, v47, v49, vcc
	s_branch .LBB879_169
.LBB879_141:
                                        ; implicit-def: $vgpr46
                                        ; implicit-def: $vgpr48_vgpr49
                                        ; implicit-def: $vgpr50
                                        ; implicit-def: $vgpr76_vgpr77
                                        ; implicit-def: $vgpr52_vgpr53
                                        ; implicit-def: $vgpr54_vgpr55
                                        ; implicit-def: $vgpr56_vgpr57
                                        ; implicit-def: $vgpr58_vgpr59
                                        ; implicit-def: $vgpr60_vgpr61
                                        ; implicit-def: $vgpr62_vgpr63
                                        ; implicit-def: $vgpr64_vgpr65
                                        ; implicit-def: $vgpr66_vgpr67
                                        ; implicit-def: $vgpr68_vgpr69
                                        ; implicit-def: $vgpr70_vgpr71
                                        ; implicit-def: $vgpr72_vgpr73
                                        ; implicit-def: $vgpr74_vgpr75
                                        ; implicit-def: $vgpr78_vgpr79
                                        ; implicit-def: $vgpr80_vgpr81
                                        ; implicit-def: $vgpr98
	s_cbranch_execz .LBB879_169
; %bb.142:
	s_and_b64 s[0:1], s[30:31], exec
	s_cselect_b32 s1, 0, s55
	s_cselect_b32 s0, 0, s54
	s_cmp_eq_u64 s[0:1], 0
	v_pk_mov_b32 v[50:51], v[42:43], v[42:43] op_sel:[0,1]
	s_cbranch_scc1 .LBB879_144
; %bb.143:
	v_mov_b32_e32 v46, 0
	global_load_dwordx2 v[50:51], v46, s[0:1]
.LBB879_144:
	v_cmp_eq_u32_e64 s[22:23], 0, v95
	v_cndmask_b32_e64 v47, 0, v42, s[22:23]
	v_cndmask_b32_e64 v46, 0, v43, s[22:23]
	v_add_co_u32_e32 v47, vcc, v47, v40
	v_cmp_eq_u32_e64 s[20:21], 0, v94
	v_addc_co_u32_e32 v46, vcc, v46, v41, vcc
	v_cndmask_b32_e64 v47, 0, v47, s[20:21]
	v_cndmask_b32_e64 v46, 0, v46, s[20:21]
	v_add_co_u32_e32 v47, vcc, v47, v38
	v_cmp_eq_u32_e64 s[18:19], 0, v93
	v_addc_co_u32_e32 v46, vcc, v46, v39, vcc
	;; [unrolled: 5-line block ×11, first 2 shown]
	v_cndmask_b32_e64 v47, 0, v47, s[2:3]
	v_cndmask_b32_e64 v46, 0, v46, s[2:3]
	v_add_co_u32_e32 v47, vcc, v47, v18
	v_addc_co_u32_e32 v46, vcc, v46, v19, vcc
	v_cmp_eq_u32_e32 vcc, 0, v83
	v_cndmask_b32_e32 v47, 0, v47, vcc
	v_add3_u32 v48, v99, v91, v90
	v_cndmask_b32_e32 v46, 0, v46, vcc
	v_add_co_u32_e64 v47, s[24:25], v47, v16
	v_add3_u32 v48, v48, v89, v88
	v_addc_co_u32_e64 v46, s[24:25], v46, v17, s[24:25]
	v_add3_u32 v48, v48, v87, v86
	v_cmp_eq_u32_e64 s[24:25], 0, v82
	v_add3_u32 v48, v48, v85, v84
	v_cndmask_b32_e64 v47, 0, v47, s[24:25]
	v_add3_u32 v49, v48, v83, v82
	v_cndmask_b32_e64 v46, 0, v46, s[24:25]
	v_add_co_u32_e64 v44, s[24:25], v47, v44
	v_mbcnt_hi_u32_b32 v48, -1, v97
	v_addc_co_u32_e64 v45, s[24:25], v46, v45, s[24:25]
	v_and_b32_e32 v46, 15, v48
	v_mov_b32_dpp v52, v49 row_shr:1 row_mask:0xf bank_mask:0xf
	v_mov_b32_dpp v47, v44 row_shr:1 row_mask:0xf bank_mask:0xf
	v_mov_b32_dpp v53, v45 row_shr:1 row_mask:0xf bank_mask:0xf
	v_cmp_ne_u32_e64 s[24:25], 0, v46
	s_and_saveexec_b64 s[26:27], s[24:25]
; %bb.145:
	v_cmp_eq_u32_e64 s[24:25], 0, v49
	v_cndmask_b32_e64 v47, 0, v47, s[24:25]
	v_add_u32_e32 v52, v52, v49
	v_cndmask_b32_e64 v49, 0, v53, s[24:25]
	v_add_co_u32_e64 v44, s[24:25], v47, v44
	v_addc_co_u32_e64 v45, s[24:25], v49, v45, s[24:25]
	v_mov_b32_e32 v49, v52
; %bb.146:
	s_or_b64 exec, exec, s[26:27]
	s_nop 0
	v_mov_b32_dpp v52, v49 row_shr:2 row_mask:0xf bank_mask:0xf
	v_mov_b32_dpp v47, v44 row_shr:2 row_mask:0xf bank_mask:0xf
	v_mov_b32_dpp v53, v45 row_shr:2 row_mask:0xf bank_mask:0xf
	v_cmp_lt_u32_e64 s[24:25], 1, v46
	s_and_saveexec_b64 s[26:27], s[24:25]
; %bb.147:
	v_cmp_eq_u32_e64 s[24:25], 0, v49
	v_cndmask_b32_e64 v47, 0, v47, s[24:25]
	v_add_u32_e32 v52, v52, v49
	v_cndmask_b32_e64 v49, 0, v53, s[24:25]
	v_add_co_u32_e64 v44, s[24:25], v47, v44
	v_addc_co_u32_e64 v45, s[24:25], v49, v45, s[24:25]
	v_mov_b32_e32 v49, v52
; %bb.148:
	s_or_b64 exec, exec, s[26:27]
	s_nop 0
	v_mov_b32_dpp v52, v49 row_shr:4 row_mask:0xf bank_mask:0xf
	v_mov_b32_dpp v47, v44 row_shr:4 row_mask:0xf bank_mask:0xf
	v_mov_b32_dpp v53, v45 row_shr:4 row_mask:0xf bank_mask:0xf
	v_cmp_lt_u32_e64 s[24:25], 3, v46
	;; [unrolled: 16-line block ×3, first 2 shown]
	s_and_saveexec_b64 s[26:27], s[24:25]
; %bb.151:
	v_cmp_eq_u32_e64 s[24:25], 0, v49
	v_cndmask_b32_e64 v47, 0, v47, s[24:25]
	v_add_u32_e32 v46, v52, v49
	v_cndmask_b32_e64 v49, 0, v53, s[24:25]
	v_add_co_u32_e64 v44, s[24:25], v47, v44
	v_addc_co_u32_e64 v45, s[24:25], v49, v45, s[24:25]
	v_mov_b32_e32 v49, v46
; %bb.152:
	s_or_b64 exec, exec, s[26:27]
	v_and_b32_e32 v53, 16, v48
	v_mov_b32_dpp v47, v49 row_bcast:15 row_mask:0xf bank_mask:0xf
	v_mov_b32_dpp v46, v44 row_bcast:15 row_mask:0xf bank_mask:0xf
	;; [unrolled: 1-line block ×3, first 2 shown]
	v_cmp_ne_u32_e64 s[24:25], 0, v53
	s_and_saveexec_b64 s[26:27], s[24:25]
; %bb.153:
	v_cmp_eq_u32_e64 s[24:25], 0, v49
	v_cndmask_b32_e64 v46, 0, v46, s[24:25]
	v_add_u32_e32 v47, v47, v49
	v_cndmask_b32_e64 v49, 0, v52, s[24:25]
	v_add_co_u32_e64 v44, s[24:25], v46, v44
	v_addc_co_u32_e64 v45, s[24:25], v49, v45, s[24:25]
	v_mov_b32_e32 v49, v47
; %bb.154:
	s_or_b64 exec, exec, s[26:27]
	s_nop 0
	v_mov_b32_dpp v47, v49 row_bcast:31 row_mask:0xf bank_mask:0xf
	v_mov_b32_dpp v46, v44 row_bcast:31 row_mask:0xf bank_mask:0xf
	v_mov_b32_dpp v52, v45 row_bcast:31 row_mask:0xf bank_mask:0xf
	v_cmp_lt_u32_e64 s[24:25], 31, v48
	s_and_saveexec_b64 s[26:27], s[24:25]
; %bb.155:
	v_cmp_eq_u32_e64 s[24:25], 0, v49
	v_cndmask_b32_e64 v46, 0, v46, s[24:25]
	v_add_u32_e32 v47, v47, v49
	v_cndmask_b32_e64 v49, 0, v52, s[24:25]
	v_add_co_u32_e64 v44, s[24:25], v46, v44
	v_addc_co_u32_e64 v45, s[24:25], v49, v45, s[24:25]
	v_mov_b32_e32 v49, v47
; %bb.156:
	s_or_b64 exec, exec, s[26:27]
	v_lshrrev_b32_e32 v46, 6, v0
	v_or_b32_e32 v47, 63, v0
	v_cmp_eq_u32_e64 s[24:25], v47, v0
	v_lshlrev_b32_e32 v52, 4, v46
	s_and_saveexec_b64 s[26:27], s[24:25]
	s_cbranch_execz .LBB879_158
; %bb.157:
	ds_write_b32 v52, v49 offset:2080
	ds_write_b64 v52, v[44:45] offset:2088
.LBB879_158:
	s_or_b64 exec, exec, s[26:27]
	v_cmp_gt_u32_e64 s[24:25], 4, v0
	s_waitcnt lgkmcnt(0)
	s_barrier
	s_and_saveexec_b64 s[26:27], s[24:25]
	s_cbranch_execz .LBB879_164
; %bb.159:
	v_lshlrev_b32_e32 v53, 4, v0
	ds_read_b32 v54, v53 offset:2080
	ds_read_b64 v[46:47], v53 offset:2088
	v_and_b32_e32 v55, 3, v48
	v_cmp_ne_u32_e64 s[24:25], 0, v55
	s_waitcnt lgkmcnt(1)
	v_mov_b32_dpp v57, v54 row_shr:1 row_mask:0xf bank_mask:0xf
	s_waitcnt lgkmcnt(0)
	v_mov_b32_dpp v56, v46 row_shr:1 row_mask:0xf bank_mask:0xf
	v_mov_b32_dpp v58, v47 row_shr:1 row_mask:0xf bank_mask:0xf
	s_and_saveexec_b64 s[28:29], s[24:25]
; %bb.160:
	v_cmp_eq_u32_e64 s[24:25], 0, v54
	v_cndmask_b32_e64 v56, 0, v56, s[24:25]
	v_add_u32_e32 v57, v57, v54
	v_cndmask_b32_e64 v54, 0, v58, s[24:25]
	v_add_co_u32_e64 v46, s[24:25], v56, v46
	v_addc_co_u32_e64 v47, s[24:25], v54, v47, s[24:25]
	v_mov_b32_e32 v54, v57
; %bb.161:
	s_or_b64 exec, exec, s[28:29]
	s_nop 0
	v_mov_b32_dpp v57, v54 row_shr:2 row_mask:0xf bank_mask:0xf
	v_mov_b32_dpp v56, v46 row_shr:2 row_mask:0xf bank_mask:0xf
	;; [unrolled: 1-line block ×3, first 2 shown]
	v_cmp_lt_u32_e64 s[24:25], 1, v55
	s_and_saveexec_b64 s[28:29], s[24:25]
; %bb.162:
	v_cmp_eq_u32_e64 s[24:25], 0, v54
	v_cndmask_b32_e64 v56, 0, v56, s[24:25]
	v_add_u32_e32 v55, v57, v54
	v_cndmask_b32_e64 v54, 0, v58, s[24:25]
	v_add_co_u32_e64 v46, s[24:25], v56, v46
	v_addc_co_u32_e64 v47, s[24:25], v54, v47, s[24:25]
	v_mov_b32_e32 v54, v55
; %bb.163:
	s_or_b64 exec, exec, s[28:29]
	ds_write_b32 v53, v54 offset:2080
	ds_write_b64 v53, v[46:47] offset:2088
.LBB879_164:
	s_or_b64 exec, exec, s[26:27]
	v_cmp_lt_u32_e64 s[24:25], 63, v0
	v_mov_b32_e32 v97, 0
	v_mov_b32_e32 v53, 0
	s_waitcnt vmcnt(0)
	v_pk_mov_b32 v[46:47], v[50:51], v[50:51] op_sel:[0,1]
	s_waitcnt lgkmcnt(0)
	s_barrier
	s_and_saveexec_b64 s[26:27], s[24:25]
	s_cbranch_execz .LBB879_166
; %bb.165:
	ds_read_b32 v53, v52 offset:2064
	ds_read_b64 v[46:47], v52 offset:2072
	s_waitcnt lgkmcnt(1)
	v_cmp_eq_u32_e64 s[24:25], 0, v53
	v_cndmask_b32_e64 v54, 0, v50, s[24:25]
	v_cndmask_b32_e64 v52, 0, v51, s[24:25]
	s_waitcnt lgkmcnt(0)
	v_add_co_u32_e64 v46, s[24:25], v54, v46
	v_addc_co_u32_e64 v47, s[24:25], v52, v47, s[24:25]
.LBB879_166:
	s_or_b64 exec, exec, s[26:27]
	v_cmp_eq_u32_e64 s[24:25], 0, v49
	v_cndmask_b32_e64 v54, 0, v46, s[24:25]
	v_add_u32_e32 v52, v53, v49
	v_cndmask_b32_e64 v49, 0, v47, s[24:25]
	v_add_co_u32_e64 v44, s[24:25], v54, v44
	v_addc_co_u32_e64 v45, s[24:25], v49, v45, s[24:25]
	v_add_u32_e32 v49, -1, v48
	v_and_b32_e32 v54, 64, v48
	v_cmp_lt_i32_e64 s[24:25], v49, v54
	v_cndmask_b32_e64 v49, v49, v48, s[24:25]
	v_lshlrev_b32_e32 v49, 2, v49
	ds_bpermute_b32 v52, v49, v52
	ds_bpermute_b32 v45, v49, v45
	;; [unrolled: 1-line block ×3, first 2 shown]
	v_cmp_eq_u32_e64 s[24:25], 0, v48
	v_cmp_eq_u32_e64 s[26:27], 0, v96
	s_waitcnt lgkmcnt(2)
	v_cndmask_b32_e64 v98, v52, v53, s[24:25]
	s_waitcnt lgkmcnt(1)
	v_cndmask_b32_e64 v77, v45, v47, s[24:25]
	;; [unrolled: 2-line block ×3, first 2 shown]
	v_cmp_eq_u32_e64 s[24:25], 0, v0
	v_cndmask_b32_e64 v44, v76, v50, s[24:25]
	v_cndmask_b32_e64 v45, v77, v51, s[24:25]
	;; [unrolled: 1-line block ×4, first 2 shown]
	v_add_co_u32_e64 v52, s[26:27], v44, v42
	v_addc_co_u32_e64 v53, s[26:27], v45, v43, s[26:27]
	v_cndmask_b32_e64 v43, 0, v52, s[22:23]
	v_cndmask_b32_e64 v42, 0, v53, s[22:23]
	v_add_co_u32_e64 v54, s[22:23], v43, v40
	v_addc_co_u32_e64 v55, s[22:23], v42, v41, s[22:23]
	v_cndmask_b32_e64 v41, 0, v54, s[20:21]
	v_cndmask_b32_e64 v40, 0, v55, s[20:21]
	;; [unrolled: 4-line block ×11, first 2 shown]
	v_add_co_u32_e64 v74, s[0:1], v23, v20
	v_addc_co_u32_e64 v75, s[0:1], v22, v21, s[0:1]
	v_cndmask_b32_e64 v21, 0, v74, s[2:3]
	ds_read_b32 v46, v97 offset:2128
	v_cndmask_b32_e64 v20, 0, v75, s[2:3]
	v_add_co_u32_e64 v78, s[0:1], v21, v18
	v_addc_co_u32_e64 v79, s[0:1], v20, v19, s[0:1]
	ds_read_b64 v[18:19], v97 offset:2136
	v_cndmask_b32_e32 v81, 0, v79, vcc
	v_cndmask_b32_e32 v80, 0, v78, vcc
	s_waitcnt lgkmcnt(1)
	v_cmp_eq_u32_e32 vcc, 0, v46
	v_cndmask_b32_e32 v21, 0, v50, vcc
	v_cndmask_b32_e32 v20, 0, v51, vcc
	s_waitcnt lgkmcnt(0)
	v_add_co_u32_e32 v48, vcc, v21, v18
	v_addc_co_u32_e32 v49, vcc, v20, v19, vcc
	s_and_saveexec_b64 s[0:1], s[24:25]
	s_cbranch_execz .LBB879_168
; %bb.167:
	v_mov_b32_e32 v98, 0
	v_mov_b32_e32 v18, 2
	v_pk_mov_b32 v[76:77], v[50:51], v[50:51] op_sel:[0,1]
	global_store_dword v98, v46, s[38:39] offset:1024
	global_store_dwordx2 v98, v[48:49], s[38:39] offset:1032
	s_waitcnt vmcnt(0)
	buffer_wbinvl1_vol
	global_store_byte v98, v18, s[40:41] offset:64
.LBB879_168:
	s_or_b64 exec, exec, s[0:1]
	v_mov_b32_e32 v50, 0
.LBB879_169:
	s_and_b64 s[0:1], s[30:31], exec
	s_cselect_b32 s1, 0, s51
	s_cselect_b32 s0, 0, s50
	s_cmp_eq_u64 s[0:1], 0
	v_pk_mov_b32 v[18:19], 0, 0
	s_barrier
	s_cbranch_scc1 .LBB879_171
; %bb.170:
	v_mov_b32_e32 v18, 0
	global_load_dwordx2 v[18:19], v18, s[0:1]
.LBB879_171:
	v_add_u32_e32 v33, v98, v96
	v_add_u32_e32 v32, v33, v95
	;; [unrolled: 1-line block ×12, first 2 shown]
	s_movk_i32 s36, 0x100
	v_add_u32_e32 v21, v22, v84
	v_cmp_gt_u32_e32 vcc, s36, v46
	v_add_u32_e32 v20, v21, v83
	s_cbranch_vccnz .LBB879_220
; %bb.172:
	v_cmp_eq_u32_e64 s[26:27], 0, v95
	v_cndmask_b32_e64 v51, 1, 2, s[26:27]
	v_cmp_eq_u32_e64 s[26:27], 0, v96
	v_cmp_eq_u32_e64 s[24:25], 0, v94
	v_cndmask_b32_e64 v97, 1, 2, s[26:27]
	v_cmp_eq_u32_e64 s[22:23], 0, v93
	v_cndmask_b32_e64 v47, 1, 2, s[24:25]
	v_and_b32_e32 v51, v51, v97
	v_cmp_eq_u32_e64 s[20:21], 0, v92
	v_cndmask_b32_e64 v45, 1, 2, s[22:23]
	v_and_b32_e32 v47, v51, v47
	;; [unrolled: 3-line block ×11, first 2 shown]
	v_cmp_eq_u32_e32 vcc, 0, v82
	v_cndmask_b32_e64 v35, 1, 2, s[0:1]
	v_and_b32_e32 v36, v37, v36
	v_cndmask_b32_e64 v34, 1, 2, vcc
	v_and_b32_e32 v35, v36, v35
	v_and_b32_e32 v34, v35, v34
	v_cmp_ne_u32_e64 s[18:19], 0, v96
	v_cmp_ne_u32_e32 vcc, 0, v83
	v_cmp_ne_u32_e64 s[0:1], 0, v84
	v_cmp_ne_u32_e64 s[2:3], 0, v85
	;; [unrolled: 1-line block ×12, first 2 shown]
	v_cmp_gt_i16_e64 s[26:27], 2, v34
	s_and_saveexec_b64 s[28:29], s[26:27]
	s_cbranch_execz .LBB879_219
; %bb.173:
	v_cmp_ne_u16_e64 s[26:27], 1, v34
	s_mov_b64 s[30:31], 0
	s_and_saveexec_b64 s[38:39], s[26:27]
	s_xor_b64 s[26:27], exec, s[38:39]
	s_cbranch_execz .LBB879_197
; %bb.174:
	s_and_saveexec_b64 s[30:31], s[18:19]
	s_cbranch_execz .LBB879_202
; %bb.175:
	v_sub_u32_e32 v34, v98, v50
	v_lshlrev_b32_e32 v34, 2, v34
	ds_write_b32 v34, v14
	s_or_b64 exec, exec, s[30:31]
	s_and_saveexec_b64 s[18:19], s[24:25]
	s_cbranch_execnz .LBB879_203
.LBB879_176:
	s_or_b64 exec, exec, s[18:19]
	s_and_saveexec_b64 s[18:19], s[22:23]
	s_cbranch_execz .LBB879_204
.LBB879_177:
	v_sub_u32_e32 v14, v32, v50
	v_lshlrev_b32_e32 v14, 2, v14
	ds_write_b32 v14, v12
	s_or_b64 exec, exec, s[18:19]
	s_and_saveexec_b64 s[18:19], s[20:21]
	s_cbranch_execnz .LBB879_205
.LBB879_178:
	s_or_b64 exec, exec, s[18:19]
	s_and_saveexec_b64 s[18:19], s[16:17]
	s_cbranch_execz .LBB879_206
.LBB879_179:
	v_sub_u32_e32 v12, v30, v50
	v_lshlrev_b32_e32 v12, 2, v12
	ds_write_b32 v12, v10
	s_or_b64 exec, exec, s[18:19]
	s_and_saveexec_b64 s[16:17], s[14:15]
	s_cbranch_execnz .LBB879_207
.LBB879_180:
	s_or_b64 exec, exec, s[16:17]
	s_and_saveexec_b64 s[14:15], s[12:13]
	s_cbranch_execz .LBB879_208
.LBB879_181:
	v_sub_u32_e32 v10, v28, v50
	v_lshlrev_b32_e32 v10, 2, v10
	ds_write_b32 v10, v8
	s_or_b64 exec, exec, s[14:15]
	s_and_saveexec_b64 s[12:13], s[10:11]
	s_cbranch_execnz .LBB879_209
.LBB879_182:
	s_or_b64 exec, exec, s[12:13]
	s_and_saveexec_b64 s[10:11], s[8:9]
	s_cbranch_execz .LBB879_210
.LBB879_183:
	v_sub_u32_e32 v8, v26, v50
	v_lshlrev_b32_e32 v8, 2, v8
	ds_write_b32 v8, v6
	s_or_b64 exec, exec, s[10:11]
	s_and_saveexec_b64 s[8:9], s[6:7]
	s_cbranch_execnz .LBB879_211
.LBB879_184:
	s_or_b64 exec, exec, s[8:9]
	s_and_saveexec_b64 s[6:7], s[4:5]
	s_cbranch_execz .LBB879_212
.LBB879_185:
	v_sub_u32_e32 v6, v24, v50
	v_lshlrev_b32_e32 v6, 2, v6
	ds_write_b32 v6, v4
	s_or_b64 exec, exec, s[6:7]
	s_and_saveexec_b64 s[4:5], s[2:3]
	s_cbranch_execnz .LBB879_213
.LBB879_186:
	s_or_b64 exec, exec, s[4:5]
	s_and_saveexec_b64 s[2:3], s[0:1]
	s_cbranch_execz .LBB879_214
.LBB879_187:
	v_sub_u32_e32 v4, v22, v50
	v_lshlrev_b32_e32 v4, 2, v4
	ds_write_b32 v4, v2
	s_or_b64 exec, exec, s[2:3]
	v_cmp_ne_u32_e64 s[0:1], 0, v82
	s_and_saveexec_b64 s[2:3], vcc
	s_cbranch_execnz .LBB879_215
	s_branch .LBB879_216
.LBB879_188:
                                        ; implicit-def: $sgpr0_sgpr1
                                        ; implicit-def: $vgpr82
                                        ; implicit-def: $vgpr83
                                        ; implicit-def: $vgpr84
                                        ; implicit-def: $vgpr85
                                        ; implicit-def: $vgpr86
                                        ; implicit-def: $vgpr87
                                        ; implicit-def: $vgpr88
                                        ; implicit-def: $vgpr89
                                        ; implicit-def: $vgpr90
                                        ; implicit-def: $vgpr91
                                        ; implicit-def: $vgpr92
                                        ; implicit-def: $vgpr93
                                        ; implicit-def: $vgpr94
                                        ; implicit-def: $vgpr95
	s_cbranch_execz .LBB879_70
; %bb.189:
	v_cmp_ne_u32_e32 vcc, v15, v80
	v_cndmask_b32_e64 v95, 0, 1, vcc
	v_cmp_ne_u32_e32 vcc, v15, v81
	v_cndmask_b32_e64 v94, 0, 1, vcc
	;; [unrolled: 2-line block ×14, first 2 shown]
	v_cmp_ne_u32_e32 vcc, 0, v0
	ds_write_b32 v96, v1
	s_waitcnt lgkmcnt(0)
	s_barrier
	s_waitcnt lgkmcnt(0)
                                        ; implicit-def: $sgpr0_sgpr1
	s_and_saveexec_b64 s[4:5], vcc
	s_xor_b64 s[4:5], exec, s[4:5]
	s_cbranch_execz .LBB879_191
; %bb.190:
	v_add_u32_e32 v47, -4, v96
	ds_read_b32 v47, v47
	s_or_b64 s[60:61], s[60:61], exec
	s_waitcnt lgkmcnt(0)
	v_cmp_ne_u32_e32 vcc, v47, v14
	s_and_b64 s[0:1], vcc, exec
.LBB879_191:
	s_or_b64 exec, exec, s[4:5]
	s_mov_b32 s8, 1
	s_branch .LBB879_72
.LBB879_192:
	s_mul_hi_u32 s1, s56, 0xfffff100
	s_mul_i32 s0, s57, 0xfffff100
	s_sub_i32 s1, s1, s56
	s_add_i32 s1, s1, s0
	s_mul_i32 s0, s56, 0xfffff100
	s_add_u32 s48, s0, s48
	s_addc_u32 s49, s1, s49
	s_and_b64 vcc, exec, s[2:3]
	v_cmp_ne_u32_e64 s[28:29], v3, v1
	v_cmp_ne_u32_e64 s[26:27], v2, v3
	v_cmp_ne_u32_e64 s[24:25], v5, v2
	v_cmp_ne_u32_e64 s[22:23], v4, v5
	v_cmp_ne_u32_e64 s[20:21], v7, v4
	v_cmp_ne_u32_e64 s[18:19], v6, v7
	v_cmp_ne_u32_e64 s[16:17], v9, v6
	v_cmp_ne_u32_e64 s[14:15], v8, v9
	v_cmp_ne_u32_e64 s[12:13], v11, v8
	v_cmp_ne_u32_e64 s[10:11], v10, v11
	v_cmp_ne_u32_e64 s[8:9], v13, v10
	v_cmp_ne_u32_e64 s[30:31], v12, v13
	v_cmp_ne_u32_e64 s[4:5], v15, v12
	v_cmp_ne_u32_e64 s[2:3], v14, v15
	v_cmp_ne_u32_e64 s[0:1], 0, v0
	s_cbranch_vccz .LBB879_199
; %bb.193:
	v_mov_b32_e32 v47, s62
	v_add_co_u32_e64 v74, vcc, -4, s7
	v_addc_co_u32_e32 v75, vcc, -1, v47, vcc
	flat_load_dword v76, v[74:75]
	v_mov_b32_e32 v47, 0
	v_cmp_gt_u64_e32 vcc, s[48:49], v[46:47]
	v_mov_b32_e32 v73, v47
	s_and_b64 s[28:29], vcc, s[28:29]
	v_cmp_gt_u64_e32 vcc, s[48:49], v[72:73]
	v_mov_b32_e32 v71, v47
	s_and_b64 s[26:27], vcc, s[26:27]
	;; [unrolled: 3-line block ×13, first 2 shown]
	v_cmp_gt_u64_e32 vcc, s[48:49], v[48:49]
	v_mul_u32_u24_e32 v74, 15, v0
	s_and_b64 s[2:3], vcc, s[2:3]
	ds_write_b32 v96, v1
	s_waitcnt lgkmcnt(0)
	s_barrier
	s_and_saveexec_b64 s[56:57], s[0:1]
	s_cbranch_execz .LBB879_195
; %bb.194:
	v_add_u32_e32 v49, -4, v96
	s_waitcnt vmcnt(0)
	ds_read_b32 v76, v49
.LBB879_195:
	s_or_b64 exec, exec, s[56:57]
	v_mov_b32_e32 v75, v47
	v_cmp_gt_u64_e32 vcc, s[48:49], v[74:75]
	s_waitcnt vmcnt(0) lgkmcnt(0)
	v_cmp_ne_u32_e64 s[0:1], v76, v14
	v_cndmask_b32_e64 v82, 0, 1, s[28:29]
	v_cndmask_b32_e64 v83, 0, 1, s[26:27]
	;; [unrolled: 1-line block ×14, first 2 shown]
	s_and_b64 s[0:1], vcc, s[0:1]
	s_mov_b64 s[60:61], -1
.LBB879_196:
                                        ; implicit-def: $sgpr8
	v_mov_b32_e32 v96, s8
	s_and_saveexec_b64 s[2:3], s[60:61]
	s_cbranch_execnz .LBB879_73
	s_branch .LBB879_74
.LBB879_197:
	s_andn2_saveexec_b64 s[0:1], s[26:27]
	s_cbranch_execz .LBB879_217
.LBB879_198:
	v_sub_u32_e32 v34, v98, v50
	v_lshlrev_b32_e32 v34, 2, v34
	ds_write_b32 v34, v14
	v_sub_u32_e32 v14, v33, v50
	v_lshlrev_b32_e32 v14, 2, v14
	ds_write_b32 v14, v15
	v_sub_u32_e32 v14, v32, v50
	v_lshlrev_b32_e32 v14, 2, v14
	ds_write_b32 v14, v12
	v_sub_u32_e32 v12, v31, v50
	v_lshlrev_b32_e32 v12, 2, v12
	ds_write_b32 v12, v13
	v_sub_u32_e32 v12, v30, v50
	v_lshlrev_b32_e32 v12, 2, v12
	ds_write_b32 v12, v10
	v_sub_u32_e32 v10, v29, v50
	v_lshlrev_b32_e32 v10, 2, v10
	ds_write_b32 v10, v11
	v_sub_u32_e32 v10, v28, v50
	v_lshlrev_b32_e32 v10, 2, v10
	ds_write_b32 v10, v8
	v_sub_u32_e32 v8, v27, v50
	v_lshlrev_b32_e32 v8, 2, v8
	ds_write_b32 v8, v9
	v_sub_u32_e32 v8, v26, v50
	v_lshlrev_b32_e32 v8, 2, v8
	ds_write_b32 v8, v6
	v_sub_u32_e32 v6, v25, v50
	v_lshlrev_b32_e32 v6, 2, v6
	ds_write_b32 v6, v7
	v_sub_u32_e32 v6, v24, v50
	v_lshlrev_b32_e32 v6, 2, v6
	ds_write_b32 v6, v4
	v_sub_u32_e32 v4, v23, v50
	v_lshlrev_b32_e32 v4, 2, v4
	ds_write_b32 v4, v5
	v_sub_u32_e32 v4, v22, v50
	v_lshlrev_b32_e32 v4, 2, v4
	ds_write_b32 v4, v2
	v_sub_u32_e32 v2, v21, v50
	v_lshlrev_b32_e32 v2, 2, v2
	s_or_b64 s[30:31], s[30:31], exec
	ds_write_b32 v2, v3
	s_or_b64 exec, exec, s[0:1]
	s_and_b64 exec, exec, s[30:31]
	s_cbranch_execnz .LBB879_218
	s_branch .LBB879_219
.LBB879_199:
                                        ; implicit-def: $sgpr0_sgpr1
                                        ; implicit-def: $vgpr82
                                        ; implicit-def: $vgpr83
                                        ; implicit-def: $vgpr84
                                        ; implicit-def: $vgpr85
                                        ; implicit-def: $vgpr86
                                        ; implicit-def: $vgpr87
                                        ; implicit-def: $vgpr88
                                        ; implicit-def: $vgpr89
                                        ; implicit-def: $vgpr90
                                        ; implicit-def: $vgpr91
                                        ; implicit-def: $vgpr92
                                        ; implicit-def: $vgpr93
                                        ; implicit-def: $vgpr94
                                        ; implicit-def: $vgpr95
	s_cbranch_execz .LBB879_196
; %bb.200:
	v_mov_b32_e32 v47, 0
	v_cmp_gt_u64_e32 vcc, s[48:49], v[46:47]
	v_cmp_ne_u32_e64 s[0:1], v3, v1
	s_and_b64 s[0:1], vcc, s[0:1]
	v_mov_b32_e32 v73, v47
	v_cndmask_b32_e64 v82, 0, 1, s[0:1]
	v_cmp_gt_u64_e32 vcc, s[48:49], v[72:73]
	v_cmp_ne_u32_e64 s[0:1], v2, v3
	s_and_b64 s[0:1], vcc, s[0:1]
	v_mov_b32_e32 v71, v47
	v_cndmask_b32_e64 v83, 0, 1, s[0:1]
	;; [unrolled: 5-line block ×13, first 2 shown]
	v_cmp_gt_u64_e32 vcc, s[48:49], v[48:49]
	v_cmp_ne_u32_e64 s[0:1], v14, v15
	s_and_b64 s[0:1], vcc, s[0:1]
	s_mov_b32 s8, 1
	v_cndmask_b32_e64 v95, 0, 1, s[0:1]
	v_cmp_ne_u32_e32 vcc, 0, v0
	ds_write_b32 v96, v1
	s_waitcnt lgkmcnt(0)
	s_barrier
	s_waitcnt lgkmcnt(0)
                                        ; implicit-def: $sgpr0_sgpr1
	s_and_saveexec_b64 s[2:3], vcc
	s_cbranch_execz .LBB879_239
; %bb.201:
	v_add_u32_e32 v46, -4, v96
	ds_read_b32 v48, v46
	v_mul_u32_u24_e32 v46, 15, v0
	v_cmp_gt_u64_e32 vcc, s[48:49], v[46:47]
	s_or_b64 s[60:61], s[60:61], exec
	s_waitcnt lgkmcnt(0)
	v_cmp_ne_u32_e64 s[0:1], v48, v14
	s_and_b64 s[0:1], vcc, s[0:1]
	s_and_b64 s[0:1], s[0:1], exec
	s_or_b64 exec, exec, s[2:3]
	v_mov_b32_e32 v96, s8
	s_and_saveexec_b64 s[2:3], s[60:61]
	s_cbranch_execz .LBB879_74
	s_branch .LBB879_73
.LBB879_202:
	s_or_b64 exec, exec, s[30:31]
	s_and_saveexec_b64 s[18:19], s[24:25]
	s_cbranch_execz .LBB879_176
.LBB879_203:
	v_sub_u32_e32 v14, v33, v50
	v_lshlrev_b32_e32 v14, 2, v14
	ds_write_b32 v14, v15
	s_or_b64 exec, exec, s[18:19]
	s_and_saveexec_b64 s[18:19], s[22:23]
	s_cbranch_execnz .LBB879_177
.LBB879_204:
	s_or_b64 exec, exec, s[18:19]
	s_and_saveexec_b64 s[18:19], s[20:21]
	s_cbranch_execz .LBB879_178
.LBB879_205:
	v_sub_u32_e32 v12, v31, v50
	v_lshlrev_b32_e32 v12, 2, v12
	ds_write_b32 v12, v13
	s_or_b64 exec, exec, s[18:19]
	s_and_saveexec_b64 s[18:19], s[16:17]
	s_cbranch_execnz .LBB879_179
.LBB879_206:
	s_or_b64 exec, exec, s[18:19]
	s_and_saveexec_b64 s[16:17], s[14:15]
	s_cbranch_execz .LBB879_180
.LBB879_207:
	v_sub_u32_e32 v10, v29, v50
	v_lshlrev_b32_e32 v10, 2, v10
	ds_write_b32 v10, v11
	s_or_b64 exec, exec, s[16:17]
	s_and_saveexec_b64 s[14:15], s[12:13]
	s_cbranch_execnz .LBB879_181
.LBB879_208:
	s_or_b64 exec, exec, s[14:15]
	s_and_saveexec_b64 s[12:13], s[10:11]
	s_cbranch_execz .LBB879_182
.LBB879_209:
	v_sub_u32_e32 v8, v27, v50
	v_lshlrev_b32_e32 v8, 2, v8
	ds_write_b32 v8, v9
	s_or_b64 exec, exec, s[12:13]
	s_and_saveexec_b64 s[10:11], s[8:9]
	s_cbranch_execnz .LBB879_183
.LBB879_210:
	s_or_b64 exec, exec, s[10:11]
	s_and_saveexec_b64 s[8:9], s[6:7]
	s_cbranch_execz .LBB879_184
.LBB879_211:
	v_sub_u32_e32 v6, v25, v50
	v_lshlrev_b32_e32 v6, 2, v6
	ds_write_b32 v6, v7
	s_or_b64 exec, exec, s[8:9]
	s_and_saveexec_b64 s[6:7], s[4:5]
	s_cbranch_execnz .LBB879_185
.LBB879_212:
	s_or_b64 exec, exec, s[6:7]
	s_and_saveexec_b64 s[4:5], s[2:3]
	s_cbranch_execz .LBB879_186
.LBB879_213:
	v_sub_u32_e32 v4, v23, v50
	v_lshlrev_b32_e32 v4, 2, v4
	ds_write_b32 v4, v5
	s_or_b64 exec, exec, s[4:5]
	s_and_saveexec_b64 s[2:3], s[0:1]
	s_cbranch_execnz .LBB879_187
.LBB879_214:
	s_or_b64 exec, exec, s[2:3]
	v_cmp_ne_u32_e64 s[0:1], 0, v82
	s_and_saveexec_b64 s[2:3], vcc
	s_cbranch_execz .LBB879_216
.LBB879_215:
	v_sub_u32_e32 v2, v21, v50
	v_lshlrev_b32_e32 v2, 2, v2
	ds_write_b32 v2, v3
.LBB879_216:
	s_or_b64 exec, exec, s[2:3]
	s_and_b64 s[30:31], s[0:1], exec
                                        ; implicit-def: $vgpr2
                                        ; implicit-def: $vgpr4
                                        ; implicit-def: $vgpr6
                                        ; implicit-def: $vgpr8
                                        ; implicit-def: $vgpr10
                                        ; implicit-def: $vgpr12
                                        ; implicit-def: $vgpr14
	s_andn2_saveexec_b64 s[0:1], s[26:27]
	s_cbranch_execnz .LBB879_198
.LBB879_217:
	s_or_b64 exec, exec, s[0:1]
	s_and_b64 exec, exec, s[30:31]
	s_cbranch_execz .LBB879_219
.LBB879_218:
	v_sub_u32_e32 v2, v20, v50
	v_lshlrev_b32_e32 v2, 2, v2
	ds_write_b32 v2, v1
.LBB879_219:
	s_or_b64 exec, exec, s[28:29]
	s_waitcnt lgkmcnt(0)
	s_barrier
.LBB879_220:
	v_add_co_u32_e32 v2, vcc, v80, v16
	s_cmpk_lg_i32 s33, 0xf00
	v_addc_co_u32_e32 v3, vcc, v81, v17, vcc
	s_cselect_b64 s[0:1], -1, 0
	v_cndmask_b32_e64 v8, 0, 1, s[34:35]
	s_and_b64 s[0:1], s[52:53], s[0:1]
	v_cmp_eq_u32_e32 vcc, 0, v0
	v_sub_u32_e32 v1, v46, v8
	v_cndmask_b32_e64 v4, 0, 1, s[0:1]
	s_and_b64 s[0:1], vcc, s[34:35]
	v_add_u32_e32 v1, v1, v4
	v_cndmask_b32_e64 v4, v96, 0, s[0:1]
	s_mul_hi_u32 s0, s33, 0x88888889
	s_lshr_b32 s0, s0, 3
	v_mad_i32_i24 v5, v0, -15, s33
	v_cmp_eq_u32_e32 vcc, s0, v0
	v_cmp_ne_u32_e64 s[0:1], 0, v5
	v_cndmask_b32_e64 v6, 1, v4, s[0:1]
	v_cmp_ne_u32_e64 s[0:1], 1, v5
	v_cndmask_b32_e64 v7, 1, v95, s[0:1]
	v_cmp_ne_u32_e64 s[0:1], 2, v5
	v_cndmask_b32_e64 v9, 1, v94, s[0:1]
	v_cmp_ne_u32_e64 s[0:1], 3, v5
	v_cndmask_b32_e64 v10, 1, v93, s[0:1]
	v_cmp_ne_u32_e64 s[0:1], 4, v5
	v_cndmask_b32_e64 v11, 1, v92, s[0:1]
	v_cmp_ne_u32_e64 s[0:1], 5, v5
	v_cndmask_b32_e64 v12, 1, v91, s[0:1]
	v_cmp_ne_u32_e64 s[0:1], 6, v5
	v_cndmask_b32_e64 v13, 1, v90, s[0:1]
	v_cmp_ne_u32_e64 s[0:1], 7, v5
	v_cndmask_b32_e64 v14, 1, v89, s[0:1]
	v_cmp_ne_u32_e64 s[0:1], 8, v5
	v_cndmask_b32_e64 v15, 1, v88, s[0:1]
	v_cmp_ne_u32_e64 s[0:1], 9, v5
	v_cndmask_b32_e64 v16, 1, v87, s[0:1]
	v_cmp_ne_u32_e64 s[0:1], 10, v5
	v_cndmask_b32_e64 v17, 1, v86, s[0:1]
	v_cmp_ne_u32_e64 s[0:1], 11, v5
	v_cndmask_b32_e64 v34, 1, v85, s[0:1]
	v_cmp_ne_u32_e64 s[0:1], 12, v5
	v_cndmask_b32_e64 v35, 1, v84, s[0:1]
	v_cmp_ne_u32_e64 s[0:1], 13, v5
	v_cndmask_b32_e64 v36, 1, v83, s[0:1]
	v_cmp_ne_u32_e64 s[0:1], 14, v5
	v_cndmask_b32_e64 v5, 1, v82, s[0:1]
	s_and_b64 vcc, s[52:53], vcc
	v_cndmask_b32_e32 v37, v82, v5, vcc
	v_cndmask_b32_e32 v39, v4, v6, vcc
	s_waitcnt vmcnt(0)
	v_lshlrev_b64 v[4:5], 3, v[18:19]
	v_mov_b32_e32 v51, 0
	v_cndmask_b32_e32 v36, v83, v36, vcc
	v_cndmask_b32_e32 v35, v84, v35, vcc
	;; [unrolled: 1-line block ×13, first 2 shown]
	v_mov_b32_e32 v6, s45
	v_add_co_u32_e32 v7, vcc, s44, v4
	v_addc_co_u32_e32 v6, vcc, v6, v5, vcc
	v_lshlrev_b64 v[4:5], 3, v[50:51]
	v_add_co_u32_e32 v4, vcc, v7, v4
	v_addc_co_u32_e32 v5, vcc, v6, v5, vcc
	v_lshlrev_b32_e32 v6, 3, v8
	v_add_co_u32_e32 v6, vcc, v6, v4
	v_addc_co_u32_e32 v7, vcc, 0, v5, vcc
	v_add_co_u32_e32 v6, vcc, -8, v6
	v_addc_co_u32_e32 v7, vcc, -1, v7, vcc
	v_cmp_eq_u32_e32 vcc, 0, v39
	v_cmp_ne_u32_e64 s[28:29], 0, v39
	v_cndmask_b32_e64 v39, 1, 2, vcc
	v_cmp_eq_u32_e32 vcc, 0, v38
	v_cmp_ne_u32_e64 s[26:27], 0, v38
	v_cndmask_b32_e64 v38, 1, 2, vcc
	v_cmp_eq_u32_e32 vcc, 0, v9
	v_and_b32_e32 v38, v38, v39
	v_cmp_ne_u32_e64 s[24:25], 0, v9
	v_cndmask_b32_e64 v9, 1, 2, vcc
	v_cmp_eq_u32_e32 vcc, 0, v10
	v_and_b32_e32 v9, v38, v9
	;; [unrolled: 4-line block ×3, first 2 shown]
	v_cndmask_b32_e64 v10, 1, 2, vcc
	v_cmp_eq_u32_e32 vcc, 0, v12
	v_and_b32_e32 v9, v9, v10
	v_cndmask_b32_e64 v10, 1, 2, vcc
	v_cmp_eq_u32_e32 vcc, 0, v13
	v_and_b32_e32 v9, v9, v10
	;; [unrolled: 3-line block ×10, first 2 shown]
	v_cndmask_b32_e64 v10, 1, 2, vcc
	v_and_b32_e32 v9, v9, v10
	v_cmp_gt_u32_e32 vcc, s36, v1
	v_add_u32_e32 v8, v50, v8
	v_cmp_ne_u32_e64 s[20:21], 0, v11
	v_cmp_ne_u32_e64 s[18:19], 0, v12
	;; [unrolled: 1-line block ×11, first 2 shown]
	s_mov_b64 s[34:35], -1
	v_cmp_gt_i16_e64 s[30:31], 2, v9
	s_barrier
	s_cbranch_vccz .LBB879_258
; %bb.221:
	s_and_saveexec_b64 s[34:35], s[30:31]
	s_cbranch_execz .LBB879_257
; %bb.222:
	v_cmp_ne_u16_e32 vcc, 1, v9
	s_mov_b64 s[36:37], 0
	s_and_saveexec_b64 s[30:31], vcc
	s_xor_b64 s[30:31], exec, s[30:31]
	s_cbranch_execz .LBB879_237
; %bb.223:
	s_and_saveexec_b64 s[36:37], s[28:29]
	s_cbranch_execz .LBB879_240
; %bb.224:
	v_sub_u32_e32 v10, v98, v8
	v_mov_b32_e32 v11, 0
	v_lshlrev_b64 v[10:11], 3, v[10:11]
	v_add_co_u32_e32 v10, vcc, v6, v10
	v_addc_co_u32_e32 v11, vcc, v7, v11, vcc
	global_store_dwordx2 v[10:11], v[76:77], off
	s_or_b64 exec, exec, s[36:37]
	s_and_saveexec_b64 s[36:37], s[26:27]
	s_cbranch_execnz .LBB879_241
.LBB879_225:
	s_or_b64 exec, exec, s[36:37]
	s_and_saveexec_b64 s[36:37], s[24:25]
	s_cbranch_execz .LBB879_242
.LBB879_226:
	v_sub_u32_e32 v10, v32, v8
	v_mov_b32_e32 v11, 0
	v_lshlrev_b64 v[10:11], 3, v[10:11]
	v_add_co_u32_e32 v10, vcc, v6, v10
	v_addc_co_u32_e32 v11, vcc, v7, v11, vcc
	global_store_dwordx2 v[10:11], v[54:55], off
	s_or_b64 exec, exec, s[36:37]
	s_and_saveexec_b64 s[36:37], s[22:23]
	s_cbranch_execnz .LBB879_243
.LBB879_227:
	s_or_b64 exec, exec, s[36:37]
	s_and_saveexec_b64 s[36:37], s[20:21]
	s_cbranch_execz .LBB879_244
.LBB879_228:
	v_sub_u32_e32 v10, v30, v8
	v_mov_b32_e32 v11, 0
	v_lshlrev_b64 v[10:11], 3, v[10:11]
	v_add_co_u32_e32 v10, vcc, v6, v10
	v_addc_co_u32_e32 v11, vcc, v7, v11, vcc
	global_store_dwordx2 v[10:11], v[58:59], off
	s_or_b64 exec, exec, s[36:37]
	s_and_saveexec_b64 s[36:37], s[18:19]
	s_cbranch_execnz .LBB879_245
.LBB879_229:
	s_or_b64 exec, exec, s[36:37]
	s_and_saveexec_b64 s[36:37], s[16:17]
	s_cbranch_execz .LBB879_246
.LBB879_230:
	v_sub_u32_e32 v10, v28, v8
	v_mov_b32_e32 v11, 0
	v_lshlrev_b64 v[10:11], 3, v[10:11]
	v_add_co_u32_e32 v10, vcc, v6, v10
	v_addc_co_u32_e32 v11, vcc, v7, v11, vcc
	global_store_dwordx2 v[10:11], v[62:63], off
	s_or_b64 exec, exec, s[36:37]
	s_and_saveexec_b64 s[36:37], s[14:15]
	s_cbranch_execnz .LBB879_247
.LBB879_231:
	s_or_b64 exec, exec, s[36:37]
	s_and_saveexec_b64 s[36:37], s[12:13]
	s_cbranch_execz .LBB879_248
.LBB879_232:
	v_sub_u32_e32 v10, v26, v8
	v_mov_b32_e32 v11, 0
	v_lshlrev_b64 v[10:11], 3, v[10:11]
	v_add_co_u32_e32 v10, vcc, v6, v10
	v_addc_co_u32_e32 v11, vcc, v7, v11, vcc
	global_store_dwordx2 v[10:11], v[66:67], off
	s_or_b64 exec, exec, s[36:37]
	s_and_saveexec_b64 s[36:37], s[10:11]
	s_cbranch_execnz .LBB879_249
.LBB879_233:
	s_or_b64 exec, exec, s[36:37]
	s_and_saveexec_b64 s[36:37], s[8:9]
	s_cbranch_execz .LBB879_250
.LBB879_234:
	v_sub_u32_e32 v10, v24, v8
	v_mov_b32_e32 v11, 0
	v_lshlrev_b64 v[10:11], 3, v[10:11]
	v_add_co_u32_e32 v10, vcc, v6, v10
	v_addc_co_u32_e32 v11, vcc, v7, v11, vcc
	global_store_dwordx2 v[10:11], v[70:71], off
	s_or_b64 exec, exec, s[36:37]
	s_and_saveexec_b64 s[36:37], s[6:7]
	s_cbranch_execnz .LBB879_251
.LBB879_235:
	s_or_b64 exec, exec, s[36:37]
	s_and_saveexec_b64 s[36:37], s[4:5]
	s_cbranch_execz .LBB879_252
.LBB879_236:
	v_sub_u32_e32 v10, v22, v8
	v_mov_b32_e32 v11, 0
	v_lshlrev_b64 v[10:11], 3, v[10:11]
	v_add_co_u32_e32 v10, vcc, v6, v10
	v_addc_co_u32_e32 v11, vcc, v7, v11, vcc
	global_store_dwordx2 v[10:11], v[74:75], off
	s_or_b64 exec, exec, s[36:37]
	s_and_saveexec_b64 s[36:37], s[2:3]
	s_cbranch_execnz .LBB879_253
	s_branch .LBB879_254
.LBB879_237:
	s_andn2_saveexec_b64 s[30:31], s[30:31]
	s_cbranch_execz .LBB879_255
.LBB879_238:
	v_sub_u32_e32 v10, v98, v8
	v_mov_b32_e32 v11, 0
	v_lshlrev_b64 v[12:13], 3, v[10:11]
	v_add_co_u32_e32 v12, vcc, v6, v12
	v_addc_co_u32_e32 v13, vcc, v7, v13, vcc
	v_sub_u32_e32 v10, v33, v8
	global_store_dwordx2 v[12:13], v[76:77], off
	v_lshlrev_b64 v[12:13], 3, v[10:11]
	v_add_co_u32_e32 v12, vcc, v6, v12
	v_addc_co_u32_e32 v13, vcc, v7, v13, vcc
	v_sub_u32_e32 v10, v32, v8
	global_store_dwordx2 v[12:13], v[52:53], off
	v_lshlrev_b64 v[12:13], 3, v[10:11]
	v_add_co_u32_e32 v12, vcc, v6, v12
	v_addc_co_u32_e32 v13, vcc, v7, v13, vcc
	v_sub_u32_e32 v10, v31, v8
	global_store_dwordx2 v[12:13], v[54:55], off
	v_lshlrev_b64 v[12:13], 3, v[10:11]
	v_add_co_u32_e32 v12, vcc, v6, v12
	v_addc_co_u32_e32 v13, vcc, v7, v13, vcc
	v_sub_u32_e32 v10, v30, v8
	global_store_dwordx2 v[12:13], v[56:57], off
	v_lshlrev_b64 v[12:13], 3, v[10:11]
	v_add_co_u32_e32 v12, vcc, v6, v12
	v_addc_co_u32_e32 v13, vcc, v7, v13, vcc
	v_sub_u32_e32 v10, v29, v8
	global_store_dwordx2 v[12:13], v[58:59], off
	v_lshlrev_b64 v[12:13], 3, v[10:11]
	v_add_co_u32_e32 v12, vcc, v6, v12
	v_addc_co_u32_e32 v13, vcc, v7, v13, vcc
	v_sub_u32_e32 v10, v28, v8
	global_store_dwordx2 v[12:13], v[60:61], off
	v_lshlrev_b64 v[12:13], 3, v[10:11]
	v_add_co_u32_e32 v12, vcc, v6, v12
	v_addc_co_u32_e32 v13, vcc, v7, v13, vcc
	v_sub_u32_e32 v10, v27, v8
	global_store_dwordx2 v[12:13], v[62:63], off
	v_lshlrev_b64 v[12:13], 3, v[10:11]
	v_add_co_u32_e32 v12, vcc, v6, v12
	v_addc_co_u32_e32 v13, vcc, v7, v13, vcc
	v_sub_u32_e32 v10, v26, v8
	global_store_dwordx2 v[12:13], v[64:65], off
	v_lshlrev_b64 v[12:13], 3, v[10:11]
	v_add_co_u32_e32 v12, vcc, v6, v12
	v_addc_co_u32_e32 v13, vcc, v7, v13, vcc
	v_sub_u32_e32 v10, v25, v8
	global_store_dwordx2 v[12:13], v[66:67], off
	v_lshlrev_b64 v[12:13], 3, v[10:11]
	v_add_co_u32_e32 v12, vcc, v6, v12
	v_addc_co_u32_e32 v13, vcc, v7, v13, vcc
	v_sub_u32_e32 v10, v24, v8
	global_store_dwordx2 v[12:13], v[68:69], off
	v_lshlrev_b64 v[12:13], 3, v[10:11]
	v_add_co_u32_e32 v12, vcc, v6, v12
	v_addc_co_u32_e32 v13, vcc, v7, v13, vcc
	v_sub_u32_e32 v10, v23, v8
	global_store_dwordx2 v[12:13], v[70:71], off
	v_lshlrev_b64 v[12:13], 3, v[10:11]
	v_add_co_u32_e32 v12, vcc, v6, v12
	v_addc_co_u32_e32 v13, vcc, v7, v13, vcc
	v_sub_u32_e32 v10, v22, v8
	global_store_dwordx2 v[12:13], v[72:73], off
	v_lshlrev_b64 v[12:13], 3, v[10:11]
	v_add_co_u32_e32 v12, vcc, v6, v12
	v_sub_u32_e32 v10, v21, v8
	v_addc_co_u32_e32 v13, vcc, v7, v13, vcc
	v_lshlrev_b64 v[10:11], 3, v[10:11]
	v_add_co_u32_e32 v10, vcc, v6, v10
	v_addc_co_u32_e32 v11, vcc, v7, v11, vcc
	s_or_b64 s[36:37], s[36:37], exec
	global_store_dwordx2 v[12:13], v[74:75], off
	global_store_dwordx2 v[10:11], v[78:79], off
	s_or_b64 exec, exec, s[30:31]
	s_and_b64 exec, exec, s[36:37]
	s_cbranch_execnz .LBB879_256
	s_branch .LBB879_257
.LBB879_239:
	s_or_b64 exec, exec, s[2:3]
	v_mov_b32_e32 v96, s8
	s_and_saveexec_b64 s[2:3], s[60:61]
	s_cbranch_execnz .LBB879_73
	s_branch .LBB879_74
.LBB879_240:
	s_or_b64 exec, exec, s[36:37]
	s_and_saveexec_b64 s[36:37], s[26:27]
	s_cbranch_execz .LBB879_225
.LBB879_241:
	v_sub_u32_e32 v10, v33, v8
	v_mov_b32_e32 v11, 0
	v_lshlrev_b64 v[10:11], 3, v[10:11]
	v_add_co_u32_e32 v10, vcc, v6, v10
	v_addc_co_u32_e32 v11, vcc, v7, v11, vcc
	global_store_dwordx2 v[10:11], v[52:53], off
	s_or_b64 exec, exec, s[36:37]
	s_and_saveexec_b64 s[36:37], s[24:25]
	s_cbranch_execnz .LBB879_226
.LBB879_242:
	s_or_b64 exec, exec, s[36:37]
	s_and_saveexec_b64 s[36:37], s[22:23]
	s_cbranch_execz .LBB879_227
.LBB879_243:
	v_sub_u32_e32 v10, v31, v8
	v_mov_b32_e32 v11, 0
	v_lshlrev_b64 v[10:11], 3, v[10:11]
	v_add_co_u32_e32 v10, vcc, v6, v10
	v_addc_co_u32_e32 v11, vcc, v7, v11, vcc
	global_store_dwordx2 v[10:11], v[56:57], off
	s_or_b64 exec, exec, s[36:37]
	s_and_saveexec_b64 s[36:37], s[20:21]
	s_cbranch_execnz .LBB879_228
.LBB879_244:
	s_or_b64 exec, exec, s[36:37]
	s_and_saveexec_b64 s[36:37], s[18:19]
	s_cbranch_execz .LBB879_229
.LBB879_245:
	v_sub_u32_e32 v10, v29, v8
	v_mov_b32_e32 v11, 0
	v_lshlrev_b64 v[10:11], 3, v[10:11]
	v_add_co_u32_e32 v10, vcc, v6, v10
	v_addc_co_u32_e32 v11, vcc, v7, v11, vcc
	global_store_dwordx2 v[10:11], v[60:61], off
	s_or_b64 exec, exec, s[36:37]
	s_and_saveexec_b64 s[36:37], s[16:17]
	s_cbranch_execnz .LBB879_230
.LBB879_246:
	s_or_b64 exec, exec, s[36:37]
	s_and_saveexec_b64 s[36:37], s[14:15]
	s_cbranch_execz .LBB879_231
.LBB879_247:
	v_sub_u32_e32 v10, v27, v8
	v_mov_b32_e32 v11, 0
	v_lshlrev_b64 v[10:11], 3, v[10:11]
	v_add_co_u32_e32 v10, vcc, v6, v10
	v_addc_co_u32_e32 v11, vcc, v7, v11, vcc
	global_store_dwordx2 v[10:11], v[64:65], off
	s_or_b64 exec, exec, s[36:37]
	s_and_saveexec_b64 s[36:37], s[12:13]
	s_cbranch_execnz .LBB879_232
.LBB879_248:
	s_or_b64 exec, exec, s[36:37]
	s_and_saveexec_b64 s[36:37], s[10:11]
	s_cbranch_execz .LBB879_233
.LBB879_249:
	v_sub_u32_e32 v10, v25, v8
	v_mov_b32_e32 v11, 0
	v_lshlrev_b64 v[10:11], 3, v[10:11]
	v_add_co_u32_e32 v10, vcc, v6, v10
	v_addc_co_u32_e32 v11, vcc, v7, v11, vcc
	global_store_dwordx2 v[10:11], v[68:69], off
	s_or_b64 exec, exec, s[36:37]
	s_and_saveexec_b64 s[36:37], s[8:9]
	s_cbranch_execnz .LBB879_234
.LBB879_250:
	s_or_b64 exec, exec, s[36:37]
	s_and_saveexec_b64 s[36:37], s[6:7]
	s_cbranch_execz .LBB879_235
.LBB879_251:
	v_sub_u32_e32 v10, v23, v8
	v_mov_b32_e32 v11, 0
	v_lshlrev_b64 v[10:11], 3, v[10:11]
	v_add_co_u32_e32 v10, vcc, v6, v10
	v_addc_co_u32_e32 v11, vcc, v7, v11, vcc
	global_store_dwordx2 v[10:11], v[72:73], off
	s_or_b64 exec, exec, s[36:37]
	s_and_saveexec_b64 s[36:37], s[4:5]
	s_cbranch_execnz .LBB879_236
.LBB879_252:
	s_or_b64 exec, exec, s[36:37]
	s_and_saveexec_b64 s[36:37], s[2:3]
	s_cbranch_execz .LBB879_254
.LBB879_253:
	v_sub_u32_e32 v10, v21, v8
	v_mov_b32_e32 v11, 0
	v_lshlrev_b64 v[10:11], 3, v[10:11]
	v_add_co_u32_e32 v10, vcc, v6, v10
	v_addc_co_u32_e32 v11, vcc, v7, v11, vcc
	global_store_dwordx2 v[10:11], v[78:79], off
.LBB879_254:
	s_or_b64 exec, exec, s[36:37]
	s_and_b64 s[36:37], s[0:1], exec
	s_andn2_saveexec_b64 s[30:31], s[30:31]
	s_cbranch_execnz .LBB879_238
.LBB879_255:
	s_or_b64 exec, exec, s[30:31]
	s_and_b64 exec, exec, s[36:37]
	s_cbranch_execz .LBB879_257
.LBB879_256:
	v_sub_u32_e32 v10, v20, v8
	v_mov_b32_e32 v11, 0
	v_lshlrev_b64 v[10:11], 3, v[10:11]
	v_add_co_u32_e32 v10, vcc, v6, v10
	v_addc_co_u32_e32 v11, vcc, v7, v11, vcc
	global_store_dwordx2 v[10:11], v[2:3], off
.LBB879_257:
	s_or_b64 exec, exec, s[34:35]
	s_mov_b64 s[34:35], 0
.LBB879_258:
	s_and_b64 vcc, exec, s[34:35]
	s_cbranch_vccz .LBB879_298
; %bb.259:
	v_cmp_gt_i16_e32 vcc, 2, v9
	s_and_saveexec_b64 s[30:31], vcc
	s_cbranch_execz .LBB879_294
; %bb.260:
	v_cmp_ne_u16_e32 vcc, 1, v9
	s_mov_b64 s[36:37], 0
	s_and_saveexec_b64 s[34:35], vcc
	s_xor_b64 s[34:35], exec, s[34:35]
	s_cbranch_execz .LBB879_275
; %bb.261:
	s_and_saveexec_b64 s[36:37], s[28:29]
	s_cbranch_execz .LBB879_277
; %bb.262:
	v_sub_u32_e32 v9, v98, v8
	v_lshlrev_b32_e32 v9, 3, v9
	ds_write_b64 v9, v[76:77]
	s_or_b64 exec, exec, s[36:37]
	s_and_saveexec_b64 s[28:29], s[26:27]
	s_cbranch_execnz .LBB879_278
.LBB879_263:
	s_or_b64 exec, exec, s[28:29]
	s_and_saveexec_b64 s[26:27], s[24:25]
	s_cbranch_execz .LBB879_279
.LBB879_264:
	v_sub_u32_e32 v9, v32, v8
	v_lshlrev_b32_e32 v9, 3, v9
	ds_write_b64 v9, v[54:55]
	s_or_b64 exec, exec, s[26:27]
	s_and_saveexec_b64 s[24:25], s[22:23]
	s_cbranch_execnz .LBB879_280
.LBB879_265:
	s_or_b64 exec, exec, s[24:25]
	s_and_saveexec_b64 s[22:23], s[20:21]
	s_cbranch_execz .LBB879_281
.LBB879_266:
	v_sub_u32_e32 v9, v30, v8
	v_lshlrev_b32_e32 v9, 3, v9
	ds_write_b64 v9, v[58:59]
	s_or_b64 exec, exec, s[22:23]
	s_and_saveexec_b64 s[20:21], s[18:19]
	s_cbranch_execnz .LBB879_282
.LBB879_267:
	s_or_b64 exec, exec, s[20:21]
	s_and_saveexec_b64 s[18:19], s[16:17]
	s_cbranch_execz .LBB879_283
.LBB879_268:
	v_sub_u32_e32 v9, v28, v8
	v_lshlrev_b32_e32 v9, 3, v9
	ds_write_b64 v9, v[62:63]
	s_or_b64 exec, exec, s[18:19]
	s_and_saveexec_b64 s[16:17], s[14:15]
	s_cbranch_execnz .LBB879_284
.LBB879_269:
	s_or_b64 exec, exec, s[16:17]
	s_and_saveexec_b64 s[14:15], s[12:13]
	s_cbranch_execz .LBB879_285
.LBB879_270:
	v_sub_u32_e32 v9, v26, v8
	v_lshlrev_b32_e32 v9, 3, v9
	ds_write_b64 v9, v[66:67]
	s_or_b64 exec, exec, s[14:15]
	s_and_saveexec_b64 s[12:13], s[10:11]
	s_cbranch_execnz .LBB879_286
.LBB879_271:
	s_or_b64 exec, exec, s[12:13]
	s_and_saveexec_b64 s[10:11], s[8:9]
	s_cbranch_execz .LBB879_287
.LBB879_272:
	v_sub_u32_e32 v9, v24, v8
	v_lshlrev_b32_e32 v9, 3, v9
	ds_write_b64 v9, v[70:71]
	s_or_b64 exec, exec, s[10:11]
	s_and_saveexec_b64 s[8:9], s[6:7]
	s_cbranch_execnz .LBB879_288
.LBB879_273:
	s_or_b64 exec, exec, s[8:9]
	s_and_saveexec_b64 s[6:7], s[4:5]
	s_cbranch_execz .LBB879_289
.LBB879_274:
	v_sub_u32_e32 v9, v22, v8
	v_lshlrev_b32_e32 v9, 3, v9
	ds_write_b64 v9, v[74:75]
	s_or_b64 exec, exec, s[6:7]
	s_and_saveexec_b64 s[4:5], s[2:3]
	s_cbranch_execnz .LBB879_290
	s_branch .LBB879_291
.LBB879_275:
	s_andn2_saveexec_b64 s[0:1], s[34:35]
	s_cbranch_execz .LBB879_292
.LBB879_276:
	v_sub_u32_e32 v9, v98, v8
	v_lshlrev_b32_e32 v9, 3, v9
	ds_write_b64 v9, v[76:77]
	v_sub_u32_e32 v9, v33, v8
	v_lshlrev_b32_e32 v9, 3, v9
	ds_write_b64 v9, v[52:53]
	;; [unrolled: 3-line block ×13, first 2 shown]
	v_sub_u32_e32 v9, v21, v8
	v_lshlrev_b32_e32 v9, 3, v9
	s_or_b64 s[36:37], s[36:37], exec
	ds_write_b64 v9, v[78:79]
	s_or_b64 exec, exec, s[0:1]
	s_and_b64 exec, exec, s[36:37]
	s_cbranch_execnz .LBB879_293
	s_branch .LBB879_294
.LBB879_277:
	s_or_b64 exec, exec, s[36:37]
	s_and_saveexec_b64 s[28:29], s[26:27]
	s_cbranch_execz .LBB879_263
.LBB879_278:
	v_sub_u32_e32 v9, v33, v8
	v_lshlrev_b32_e32 v9, 3, v9
	ds_write_b64 v9, v[52:53]
	s_or_b64 exec, exec, s[28:29]
	s_and_saveexec_b64 s[26:27], s[24:25]
	s_cbranch_execnz .LBB879_264
.LBB879_279:
	s_or_b64 exec, exec, s[26:27]
	s_and_saveexec_b64 s[24:25], s[22:23]
	s_cbranch_execz .LBB879_265
.LBB879_280:
	v_sub_u32_e32 v9, v31, v8
	v_lshlrev_b32_e32 v9, 3, v9
	ds_write_b64 v9, v[56:57]
	s_or_b64 exec, exec, s[24:25]
	s_and_saveexec_b64 s[22:23], s[20:21]
	s_cbranch_execnz .LBB879_266
.LBB879_281:
	s_or_b64 exec, exec, s[22:23]
	s_and_saveexec_b64 s[20:21], s[18:19]
	s_cbranch_execz .LBB879_267
.LBB879_282:
	v_sub_u32_e32 v9, v29, v8
	v_lshlrev_b32_e32 v9, 3, v9
	ds_write_b64 v9, v[60:61]
	s_or_b64 exec, exec, s[20:21]
	s_and_saveexec_b64 s[18:19], s[16:17]
	s_cbranch_execnz .LBB879_268
.LBB879_283:
	s_or_b64 exec, exec, s[18:19]
	s_and_saveexec_b64 s[16:17], s[14:15]
	s_cbranch_execz .LBB879_269
.LBB879_284:
	v_sub_u32_e32 v9, v27, v8
	v_lshlrev_b32_e32 v9, 3, v9
	ds_write_b64 v9, v[64:65]
	s_or_b64 exec, exec, s[16:17]
	s_and_saveexec_b64 s[14:15], s[12:13]
	s_cbranch_execnz .LBB879_270
.LBB879_285:
	s_or_b64 exec, exec, s[14:15]
	s_and_saveexec_b64 s[12:13], s[10:11]
	s_cbranch_execz .LBB879_271
.LBB879_286:
	v_sub_u32_e32 v9, v25, v8
	v_lshlrev_b32_e32 v9, 3, v9
	ds_write_b64 v9, v[68:69]
	s_or_b64 exec, exec, s[12:13]
	s_and_saveexec_b64 s[10:11], s[8:9]
	s_cbranch_execnz .LBB879_272
.LBB879_287:
	s_or_b64 exec, exec, s[10:11]
	s_and_saveexec_b64 s[8:9], s[6:7]
	s_cbranch_execz .LBB879_273
.LBB879_288:
	v_sub_u32_e32 v9, v23, v8
	v_lshlrev_b32_e32 v9, 3, v9
	ds_write_b64 v9, v[72:73]
	s_or_b64 exec, exec, s[8:9]
	s_and_saveexec_b64 s[6:7], s[4:5]
	s_cbranch_execnz .LBB879_274
.LBB879_289:
	s_or_b64 exec, exec, s[6:7]
	s_and_saveexec_b64 s[4:5], s[2:3]
	s_cbranch_execz .LBB879_291
.LBB879_290:
	v_sub_u32_e32 v9, v21, v8
	v_lshlrev_b32_e32 v9, 3, v9
	ds_write_b64 v9, v[78:79]
.LBB879_291:
	s_or_b64 exec, exec, s[4:5]
	s_and_b64 s[36:37], s[0:1], exec
                                        ; implicit-def: $vgpr76_vgpr77
                                        ; implicit-def: $vgpr52_vgpr53
                                        ; implicit-def: $vgpr54_vgpr55
                                        ; implicit-def: $vgpr56_vgpr57
                                        ; implicit-def: $vgpr58_vgpr59
                                        ; implicit-def: $vgpr60_vgpr61
                                        ; implicit-def: $vgpr62_vgpr63
                                        ; implicit-def: $vgpr64_vgpr65
                                        ; implicit-def: $vgpr66_vgpr67
                                        ; implicit-def: $vgpr68_vgpr69
                                        ; implicit-def: $vgpr70_vgpr71
                                        ; implicit-def: $vgpr72_vgpr73
                                        ; implicit-def: $vgpr74_vgpr75
                                        ; implicit-def: $vgpr78_vgpr79
                                        ; implicit-def: $vgpr98
                                        ; implicit-def: $vgpr33
                                        ; implicit-def: $vgpr32
                                        ; implicit-def: $vgpr31
                                        ; implicit-def: $vgpr30
                                        ; implicit-def: $vgpr29
                                        ; implicit-def: $vgpr28
                                        ; implicit-def: $vgpr27
                                        ; implicit-def: $vgpr26
                                        ; implicit-def: $vgpr25
                                        ; implicit-def: $vgpr24
                                        ; implicit-def: $vgpr23
                                        ; implicit-def: $vgpr22
                                        ; implicit-def: $vgpr21
	s_andn2_saveexec_b64 s[0:1], s[34:35]
	s_cbranch_execnz .LBB879_276
.LBB879_292:
	s_or_b64 exec, exec, s[0:1]
	s_and_b64 exec, exec, s[36:37]
	s_cbranch_execz .LBB879_294
.LBB879_293:
	v_sub_u32_e32 v8, v20, v8
	v_lshlrev_b32_e32 v8, 3, v8
	ds_write_b64 v8, v[2:3]
.LBB879_294:
	s_or_b64 exec, exec, s[30:31]
	v_cmp_lt_u32_e32 vcc, v0, v1
	s_waitcnt lgkmcnt(0)
	s_barrier
	s_and_saveexec_b64 s[0:1], vcc
	s_cbranch_execz .LBB879_297
; %bb.295:
	v_lshlrev_b32_e32 v8, 3, v0
	s_mov_b64 s[2:3], 0
	v_mov_b32_e32 v3, 0
	v_mov_b32_e32 v2, v0
.LBB879_296:                            ; =>This Inner Loop Header: Depth=1
	v_lshlrev_b64 v[10:11], 3, v[2:3]
	ds_read_b64 v[12:13], v8
	v_add_co_u32_e32 v10, vcc, v6, v10
	v_add_u32_e32 v2, 0x100, v2
	v_addc_co_u32_e32 v11, vcc, v7, v11, vcc
	v_cmp_ge_u32_e32 vcc, v2, v1
	v_add_u32_e32 v8, 0x800, v8
	s_or_b64 s[2:3], vcc, s[2:3]
	s_waitcnt lgkmcnt(0)
	global_store_dwordx2 v[10:11], v[12:13], off
	s_andn2_b64 exec, exec, s[2:3]
	s_cbranch_execnz .LBB879_296
.LBB879_297:
	s_or_b64 exec, exec, s[0:1]
.LBB879_298:
	s_movk_i32 s0, 0xff
	v_cmp_eq_u32_e32 vcc, s0, v0
	s_and_b64 s[0:1], vcc, s[52:53]
	s_and_saveexec_b64 s[2:3], s[0:1]
	s_cbranch_execz .LBB879_301
; %bb.299:
	v_add_co_u32_e32 v0, vcc, v46, v50
	v_addc_co_u32_e64 v1, s[0:1], 0, 0, vcc
	v_add_co_u32_e32 v0, vcc, v0, v18
	v_mov_b32_e32 v47, 0
	v_addc_co_u32_e32 v1, vcc, v1, v19, vcc
	s_cmpk_lg_i32 s33, 0xf00
	global_store_dwordx2 v47, v[0:1], s[46:47]
	s_cbranch_scc1 .LBB879_301
; %bb.300:
	v_lshlrev_b64 v[0:1], 3, v[46:47]
	v_add_co_u32_e32 v0, vcc, v4, v0
	v_addc_co_u32_e32 v1, vcc, v5, v1, vcc
	global_store_dwordx2 v[0:1], v[48:49], off offset:-8
.LBB879_301:
	s_endpgm
	.section	.rodata,"a",@progbits
	.p2align	6, 0x0
	.amdhsa_kernel _ZN7rocprim17ROCPRIM_400000_NS6detail17trampoline_kernelINS0_14default_configENS1_29reduce_by_key_config_selectorIjyN6thrust23THRUST_200600_302600_NS4plusIyEEEEZZNS1_33reduce_by_key_impl_wrapped_configILNS1_25lookback_scan_determinismE0ES3_S9_NS6_6detail15normal_iteratorINS6_10device_ptrIjEEEENSD_INSE_IyEEEENS6_16discard_iteratorINS6_11use_defaultEEESI_PmS8_NS6_8equal_toIjEEEE10hipError_tPvRmT2_T3_mT4_T5_T6_T7_T8_P12ihipStream_tbENKUlT_T0_E_clISt17integral_constantIbLb0EES16_EEDaS11_S12_EUlS11_E_NS1_11comp_targetILNS1_3genE4ELNS1_11target_archE910ELNS1_3gpuE8ELNS1_3repE0EEENS1_30default_config_static_selectorELNS0_4arch9wavefront6targetE1EEEvT1_
		.amdhsa_group_segment_fixed_size 30720
		.amdhsa_private_segment_fixed_size 0
		.amdhsa_kernarg_size 144
		.amdhsa_user_sgpr_count 6
		.amdhsa_user_sgpr_private_segment_buffer 1
		.amdhsa_user_sgpr_dispatch_ptr 0
		.amdhsa_user_sgpr_queue_ptr 0
		.amdhsa_user_sgpr_kernarg_segment_ptr 1
		.amdhsa_user_sgpr_dispatch_id 0
		.amdhsa_user_sgpr_flat_scratch_init 0
		.amdhsa_user_sgpr_kernarg_preload_length 0
		.amdhsa_user_sgpr_kernarg_preload_offset 0
		.amdhsa_user_sgpr_private_segment_size 0
		.amdhsa_uses_dynamic_stack 0
		.amdhsa_system_sgpr_private_segment_wavefront_offset 0
		.amdhsa_system_sgpr_workgroup_id_x 1
		.amdhsa_system_sgpr_workgroup_id_y 0
		.amdhsa_system_sgpr_workgroup_id_z 0
		.amdhsa_system_sgpr_workgroup_info 0
		.amdhsa_system_vgpr_workitem_id 0
		.amdhsa_next_free_vgpr 102
		.amdhsa_next_free_sgpr 63
		.amdhsa_accum_offset 104
		.amdhsa_reserve_vcc 1
		.amdhsa_reserve_flat_scratch 0
		.amdhsa_float_round_mode_32 0
		.amdhsa_float_round_mode_16_64 0
		.amdhsa_float_denorm_mode_32 3
		.amdhsa_float_denorm_mode_16_64 3
		.amdhsa_dx10_clamp 1
		.amdhsa_ieee_mode 1
		.amdhsa_fp16_overflow 0
		.amdhsa_tg_split 0
		.amdhsa_exception_fp_ieee_invalid_op 0
		.amdhsa_exception_fp_denorm_src 0
		.amdhsa_exception_fp_ieee_div_zero 0
		.amdhsa_exception_fp_ieee_overflow 0
		.amdhsa_exception_fp_ieee_underflow 0
		.amdhsa_exception_fp_ieee_inexact 0
		.amdhsa_exception_int_div_zero 0
	.end_amdhsa_kernel
	.section	.text._ZN7rocprim17ROCPRIM_400000_NS6detail17trampoline_kernelINS0_14default_configENS1_29reduce_by_key_config_selectorIjyN6thrust23THRUST_200600_302600_NS4plusIyEEEEZZNS1_33reduce_by_key_impl_wrapped_configILNS1_25lookback_scan_determinismE0ES3_S9_NS6_6detail15normal_iteratorINS6_10device_ptrIjEEEENSD_INSE_IyEEEENS6_16discard_iteratorINS6_11use_defaultEEESI_PmS8_NS6_8equal_toIjEEEE10hipError_tPvRmT2_T3_mT4_T5_T6_T7_T8_P12ihipStream_tbENKUlT_T0_E_clISt17integral_constantIbLb0EES16_EEDaS11_S12_EUlS11_E_NS1_11comp_targetILNS1_3genE4ELNS1_11target_archE910ELNS1_3gpuE8ELNS1_3repE0EEENS1_30default_config_static_selectorELNS0_4arch9wavefront6targetE1EEEvT1_,"axG",@progbits,_ZN7rocprim17ROCPRIM_400000_NS6detail17trampoline_kernelINS0_14default_configENS1_29reduce_by_key_config_selectorIjyN6thrust23THRUST_200600_302600_NS4plusIyEEEEZZNS1_33reduce_by_key_impl_wrapped_configILNS1_25lookback_scan_determinismE0ES3_S9_NS6_6detail15normal_iteratorINS6_10device_ptrIjEEEENSD_INSE_IyEEEENS6_16discard_iteratorINS6_11use_defaultEEESI_PmS8_NS6_8equal_toIjEEEE10hipError_tPvRmT2_T3_mT4_T5_T6_T7_T8_P12ihipStream_tbENKUlT_T0_E_clISt17integral_constantIbLb0EES16_EEDaS11_S12_EUlS11_E_NS1_11comp_targetILNS1_3genE4ELNS1_11target_archE910ELNS1_3gpuE8ELNS1_3repE0EEENS1_30default_config_static_selectorELNS0_4arch9wavefront6targetE1EEEvT1_,comdat
.Lfunc_end879:
	.size	_ZN7rocprim17ROCPRIM_400000_NS6detail17trampoline_kernelINS0_14default_configENS1_29reduce_by_key_config_selectorIjyN6thrust23THRUST_200600_302600_NS4plusIyEEEEZZNS1_33reduce_by_key_impl_wrapped_configILNS1_25lookback_scan_determinismE0ES3_S9_NS6_6detail15normal_iteratorINS6_10device_ptrIjEEEENSD_INSE_IyEEEENS6_16discard_iteratorINS6_11use_defaultEEESI_PmS8_NS6_8equal_toIjEEEE10hipError_tPvRmT2_T3_mT4_T5_T6_T7_T8_P12ihipStream_tbENKUlT_T0_E_clISt17integral_constantIbLb0EES16_EEDaS11_S12_EUlS11_E_NS1_11comp_targetILNS1_3genE4ELNS1_11target_archE910ELNS1_3gpuE8ELNS1_3repE0EEENS1_30default_config_static_selectorELNS0_4arch9wavefront6targetE1EEEvT1_, .Lfunc_end879-_ZN7rocprim17ROCPRIM_400000_NS6detail17trampoline_kernelINS0_14default_configENS1_29reduce_by_key_config_selectorIjyN6thrust23THRUST_200600_302600_NS4plusIyEEEEZZNS1_33reduce_by_key_impl_wrapped_configILNS1_25lookback_scan_determinismE0ES3_S9_NS6_6detail15normal_iteratorINS6_10device_ptrIjEEEENSD_INSE_IyEEEENS6_16discard_iteratorINS6_11use_defaultEEESI_PmS8_NS6_8equal_toIjEEEE10hipError_tPvRmT2_T3_mT4_T5_T6_T7_T8_P12ihipStream_tbENKUlT_T0_E_clISt17integral_constantIbLb0EES16_EEDaS11_S12_EUlS11_E_NS1_11comp_targetILNS1_3genE4ELNS1_11target_archE910ELNS1_3gpuE8ELNS1_3repE0EEENS1_30default_config_static_selectorELNS0_4arch9wavefront6targetE1EEEvT1_
                                        ; -- End function
	.section	.AMDGPU.csdata,"",@progbits
; Kernel info:
; codeLenInByte = 15544
; NumSgprs: 67
; NumVgprs: 102
; NumAgprs: 0
; TotalNumVgprs: 102
; ScratchSize: 0
; MemoryBound: 0
; FloatMode: 240
; IeeeMode: 1
; LDSByteSize: 30720 bytes/workgroup (compile time only)
; SGPRBlocks: 8
; VGPRBlocks: 12
; NumSGPRsForWavesPerEU: 67
; NumVGPRsForWavesPerEU: 102
; AccumOffset: 104
; Occupancy: 2
; WaveLimiterHint : 1
; COMPUTE_PGM_RSRC2:SCRATCH_EN: 0
; COMPUTE_PGM_RSRC2:USER_SGPR: 6
; COMPUTE_PGM_RSRC2:TRAP_HANDLER: 0
; COMPUTE_PGM_RSRC2:TGID_X_EN: 1
; COMPUTE_PGM_RSRC2:TGID_Y_EN: 0
; COMPUTE_PGM_RSRC2:TGID_Z_EN: 0
; COMPUTE_PGM_RSRC2:TIDIG_COMP_CNT: 0
; COMPUTE_PGM_RSRC3_GFX90A:ACCUM_OFFSET: 25
; COMPUTE_PGM_RSRC3_GFX90A:TG_SPLIT: 0
	.section	.text._ZN7rocprim17ROCPRIM_400000_NS6detail17trampoline_kernelINS0_14default_configENS1_29reduce_by_key_config_selectorIjyN6thrust23THRUST_200600_302600_NS4plusIyEEEEZZNS1_33reduce_by_key_impl_wrapped_configILNS1_25lookback_scan_determinismE0ES3_S9_NS6_6detail15normal_iteratorINS6_10device_ptrIjEEEENSD_INSE_IyEEEENS6_16discard_iteratorINS6_11use_defaultEEESI_PmS8_NS6_8equal_toIjEEEE10hipError_tPvRmT2_T3_mT4_T5_T6_T7_T8_P12ihipStream_tbENKUlT_T0_E_clISt17integral_constantIbLb0EES16_EEDaS11_S12_EUlS11_E_NS1_11comp_targetILNS1_3genE3ELNS1_11target_archE908ELNS1_3gpuE7ELNS1_3repE0EEENS1_30default_config_static_selectorELNS0_4arch9wavefront6targetE1EEEvT1_,"axG",@progbits,_ZN7rocprim17ROCPRIM_400000_NS6detail17trampoline_kernelINS0_14default_configENS1_29reduce_by_key_config_selectorIjyN6thrust23THRUST_200600_302600_NS4plusIyEEEEZZNS1_33reduce_by_key_impl_wrapped_configILNS1_25lookback_scan_determinismE0ES3_S9_NS6_6detail15normal_iteratorINS6_10device_ptrIjEEEENSD_INSE_IyEEEENS6_16discard_iteratorINS6_11use_defaultEEESI_PmS8_NS6_8equal_toIjEEEE10hipError_tPvRmT2_T3_mT4_T5_T6_T7_T8_P12ihipStream_tbENKUlT_T0_E_clISt17integral_constantIbLb0EES16_EEDaS11_S12_EUlS11_E_NS1_11comp_targetILNS1_3genE3ELNS1_11target_archE908ELNS1_3gpuE7ELNS1_3repE0EEENS1_30default_config_static_selectorELNS0_4arch9wavefront6targetE1EEEvT1_,comdat
	.protected	_ZN7rocprim17ROCPRIM_400000_NS6detail17trampoline_kernelINS0_14default_configENS1_29reduce_by_key_config_selectorIjyN6thrust23THRUST_200600_302600_NS4plusIyEEEEZZNS1_33reduce_by_key_impl_wrapped_configILNS1_25lookback_scan_determinismE0ES3_S9_NS6_6detail15normal_iteratorINS6_10device_ptrIjEEEENSD_INSE_IyEEEENS6_16discard_iteratorINS6_11use_defaultEEESI_PmS8_NS6_8equal_toIjEEEE10hipError_tPvRmT2_T3_mT4_T5_T6_T7_T8_P12ihipStream_tbENKUlT_T0_E_clISt17integral_constantIbLb0EES16_EEDaS11_S12_EUlS11_E_NS1_11comp_targetILNS1_3genE3ELNS1_11target_archE908ELNS1_3gpuE7ELNS1_3repE0EEENS1_30default_config_static_selectorELNS0_4arch9wavefront6targetE1EEEvT1_ ; -- Begin function _ZN7rocprim17ROCPRIM_400000_NS6detail17trampoline_kernelINS0_14default_configENS1_29reduce_by_key_config_selectorIjyN6thrust23THRUST_200600_302600_NS4plusIyEEEEZZNS1_33reduce_by_key_impl_wrapped_configILNS1_25lookback_scan_determinismE0ES3_S9_NS6_6detail15normal_iteratorINS6_10device_ptrIjEEEENSD_INSE_IyEEEENS6_16discard_iteratorINS6_11use_defaultEEESI_PmS8_NS6_8equal_toIjEEEE10hipError_tPvRmT2_T3_mT4_T5_T6_T7_T8_P12ihipStream_tbENKUlT_T0_E_clISt17integral_constantIbLb0EES16_EEDaS11_S12_EUlS11_E_NS1_11comp_targetILNS1_3genE3ELNS1_11target_archE908ELNS1_3gpuE7ELNS1_3repE0EEENS1_30default_config_static_selectorELNS0_4arch9wavefront6targetE1EEEvT1_
	.globl	_ZN7rocprim17ROCPRIM_400000_NS6detail17trampoline_kernelINS0_14default_configENS1_29reduce_by_key_config_selectorIjyN6thrust23THRUST_200600_302600_NS4plusIyEEEEZZNS1_33reduce_by_key_impl_wrapped_configILNS1_25lookback_scan_determinismE0ES3_S9_NS6_6detail15normal_iteratorINS6_10device_ptrIjEEEENSD_INSE_IyEEEENS6_16discard_iteratorINS6_11use_defaultEEESI_PmS8_NS6_8equal_toIjEEEE10hipError_tPvRmT2_T3_mT4_T5_T6_T7_T8_P12ihipStream_tbENKUlT_T0_E_clISt17integral_constantIbLb0EES16_EEDaS11_S12_EUlS11_E_NS1_11comp_targetILNS1_3genE3ELNS1_11target_archE908ELNS1_3gpuE7ELNS1_3repE0EEENS1_30default_config_static_selectorELNS0_4arch9wavefront6targetE1EEEvT1_
	.p2align	8
	.type	_ZN7rocprim17ROCPRIM_400000_NS6detail17trampoline_kernelINS0_14default_configENS1_29reduce_by_key_config_selectorIjyN6thrust23THRUST_200600_302600_NS4plusIyEEEEZZNS1_33reduce_by_key_impl_wrapped_configILNS1_25lookback_scan_determinismE0ES3_S9_NS6_6detail15normal_iteratorINS6_10device_ptrIjEEEENSD_INSE_IyEEEENS6_16discard_iteratorINS6_11use_defaultEEESI_PmS8_NS6_8equal_toIjEEEE10hipError_tPvRmT2_T3_mT4_T5_T6_T7_T8_P12ihipStream_tbENKUlT_T0_E_clISt17integral_constantIbLb0EES16_EEDaS11_S12_EUlS11_E_NS1_11comp_targetILNS1_3genE3ELNS1_11target_archE908ELNS1_3gpuE7ELNS1_3repE0EEENS1_30default_config_static_selectorELNS0_4arch9wavefront6targetE1EEEvT1_,@function
_ZN7rocprim17ROCPRIM_400000_NS6detail17trampoline_kernelINS0_14default_configENS1_29reduce_by_key_config_selectorIjyN6thrust23THRUST_200600_302600_NS4plusIyEEEEZZNS1_33reduce_by_key_impl_wrapped_configILNS1_25lookback_scan_determinismE0ES3_S9_NS6_6detail15normal_iteratorINS6_10device_ptrIjEEEENSD_INSE_IyEEEENS6_16discard_iteratorINS6_11use_defaultEEESI_PmS8_NS6_8equal_toIjEEEE10hipError_tPvRmT2_T3_mT4_T5_T6_T7_T8_P12ihipStream_tbENKUlT_T0_E_clISt17integral_constantIbLb0EES16_EEDaS11_S12_EUlS11_E_NS1_11comp_targetILNS1_3genE3ELNS1_11target_archE908ELNS1_3gpuE7ELNS1_3repE0EEENS1_30default_config_static_selectorELNS0_4arch9wavefront6targetE1EEEvT1_: ; @_ZN7rocprim17ROCPRIM_400000_NS6detail17trampoline_kernelINS0_14default_configENS1_29reduce_by_key_config_selectorIjyN6thrust23THRUST_200600_302600_NS4plusIyEEEEZZNS1_33reduce_by_key_impl_wrapped_configILNS1_25lookback_scan_determinismE0ES3_S9_NS6_6detail15normal_iteratorINS6_10device_ptrIjEEEENSD_INSE_IyEEEENS6_16discard_iteratorINS6_11use_defaultEEESI_PmS8_NS6_8equal_toIjEEEE10hipError_tPvRmT2_T3_mT4_T5_T6_T7_T8_P12ihipStream_tbENKUlT_T0_E_clISt17integral_constantIbLb0EES16_EEDaS11_S12_EUlS11_E_NS1_11comp_targetILNS1_3genE3ELNS1_11target_archE908ELNS1_3gpuE7ELNS1_3repE0EEENS1_30default_config_static_selectorELNS0_4arch9wavefront6targetE1EEEvT1_
; %bb.0:
	.section	.rodata,"a",@progbits
	.p2align	6, 0x0
	.amdhsa_kernel _ZN7rocprim17ROCPRIM_400000_NS6detail17trampoline_kernelINS0_14default_configENS1_29reduce_by_key_config_selectorIjyN6thrust23THRUST_200600_302600_NS4plusIyEEEEZZNS1_33reduce_by_key_impl_wrapped_configILNS1_25lookback_scan_determinismE0ES3_S9_NS6_6detail15normal_iteratorINS6_10device_ptrIjEEEENSD_INSE_IyEEEENS6_16discard_iteratorINS6_11use_defaultEEESI_PmS8_NS6_8equal_toIjEEEE10hipError_tPvRmT2_T3_mT4_T5_T6_T7_T8_P12ihipStream_tbENKUlT_T0_E_clISt17integral_constantIbLb0EES16_EEDaS11_S12_EUlS11_E_NS1_11comp_targetILNS1_3genE3ELNS1_11target_archE908ELNS1_3gpuE7ELNS1_3repE0EEENS1_30default_config_static_selectorELNS0_4arch9wavefront6targetE1EEEvT1_
		.amdhsa_group_segment_fixed_size 0
		.amdhsa_private_segment_fixed_size 0
		.amdhsa_kernarg_size 144
		.amdhsa_user_sgpr_count 6
		.amdhsa_user_sgpr_private_segment_buffer 1
		.amdhsa_user_sgpr_dispatch_ptr 0
		.amdhsa_user_sgpr_queue_ptr 0
		.amdhsa_user_sgpr_kernarg_segment_ptr 1
		.amdhsa_user_sgpr_dispatch_id 0
		.amdhsa_user_sgpr_flat_scratch_init 0
		.amdhsa_user_sgpr_kernarg_preload_length 0
		.amdhsa_user_sgpr_kernarg_preload_offset 0
		.amdhsa_user_sgpr_private_segment_size 0
		.amdhsa_uses_dynamic_stack 0
		.amdhsa_system_sgpr_private_segment_wavefront_offset 0
		.amdhsa_system_sgpr_workgroup_id_x 1
		.amdhsa_system_sgpr_workgroup_id_y 0
		.amdhsa_system_sgpr_workgroup_id_z 0
		.amdhsa_system_sgpr_workgroup_info 0
		.amdhsa_system_vgpr_workitem_id 0
		.amdhsa_next_free_vgpr 1
		.amdhsa_next_free_sgpr 0
		.amdhsa_accum_offset 4
		.amdhsa_reserve_vcc 0
		.amdhsa_reserve_flat_scratch 0
		.amdhsa_float_round_mode_32 0
		.amdhsa_float_round_mode_16_64 0
		.amdhsa_float_denorm_mode_32 3
		.amdhsa_float_denorm_mode_16_64 3
		.amdhsa_dx10_clamp 1
		.amdhsa_ieee_mode 1
		.amdhsa_fp16_overflow 0
		.amdhsa_tg_split 0
		.amdhsa_exception_fp_ieee_invalid_op 0
		.amdhsa_exception_fp_denorm_src 0
		.amdhsa_exception_fp_ieee_div_zero 0
		.amdhsa_exception_fp_ieee_overflow 0
		.amdhsa_exception_fp_ieee_underflow 0
		.amdhsa_exception_fp_ieee_inexact 0
		.amdhsa_exception_int_div_zero 0
	.end_amdhsa_kernel
	.section	.text._ZN7rocprim17ROCPRIM_400000_NS6detail17trampoline_kernelINS0_14default_configENS1_29reduce_by_key_config_selectorIjyN6thrust23THRUST_200600_302600_NS4plusIyEEEEZZNS1_33reduce_by_key_impl_wrapped_configILNS1_25lookback_scan_determinismE0ES3_S9_NS6_6detail15normal_iteratorINS6_10device_ptrIjEEEENSD_INSE_IyEEEENS6_16discard_iteratorINS6_11use_defaultEEESI_PmS8_NS6_8equal_toIjEEEE10hipError_tPvRmT2_T3_mT4_T5_T6_T7_T8_P12ihipStream_tbENKUlT_T0_E_clISt17integral_constantIbLb0EES16_EEDaS11_S12_EUlS11_E_NS1_11comp_targetILNS1_3genE3ELNS1_11target_archE908ELNS1_3gpuE7ELNS1_3repE0EEENS1_30default_config_static_selectorELNS0_4arch9wavefront6targetE1EEEvT1_,"axG",@progbits,_ZN7rocprim17ROCPRIM_400000_NS6detail17trampoline_kernelINS0_14default_configENS1_29reduce_by_key_config_selectorIjyN6thrust23THRUST_200600_302600_NS4plusIyEEEEZZNS1_33reduce_by_key_impl_wrapped_configILNS1_25lookback_scan_determinismE0ES3_S9_NS6_6detail15normal_iteratorINS6_10device_ptrIjEEEENSD_INSE_IyEEEENS6_16discard_iteratorINS6_11use_defaultEEESI_PmS8_NS6_8equal_toIjEEEE10hipError_tPvRmT2_T3_mT4_T5_T6_T7_T8_P12ihipStream_tbENKUlT_T0_E_clISt17integral_constantIbLb0EES16_EEDaS11_S12_EUlS11_E_NS1_11comp_targetILNS1_3genE3ELNS1_11target_archE908ELNS1_3gpuE7ELNS1_3repE0EEENS1_30default_config_static_selectorELNS0_4arch9wavefront6targetE1EEEvT1_,comdat
.Lfunc_end880:
	.size	_ZN7rocprim17ROCPRIM_400000_NS6detail17trampoline_kernelINS0_14default_configENS1_29reduce_by_key_config_selectorIjyN6thrust23THRUST_200600_302600_NS4plusIyEEEEZZNS1_33reduce_by_key_impl_wrapped_configILNS1_25lookback_scan_determinismE0ES3_S9_NS6_6detail15normal_iteratorINS6_10device_ptrIjEEEENSD_INSE_IyEEEENS6_16discard_iteratorINS6_11use_defaultEEESI_PmS8_NS6_8equal_toIjEEEE10hipError_tPvRmT2_T3_mT4_T5_T6_T7_T8_P12ihipStream_tbENKUlT_T0_E_clISt17integral_constantIbLb0EES16_EEDaS11_S12_EUlS11_E_NS1_11comp_targetILNS1_3genE3ELNS1_11target_archE908ELNS1_3gpuE7ELNS1_3repE0EEENS1_30default_config_static_selectorELNS0_4arch9wavefront6targetE1EEEvT1_, .Lfunc_end880-_ZN7rocprim17ROCPRIM_400000_NS6detail17trampoline_kernelINS0_14default_configENS1_29reduce_by_key_config_selectorIjyN6thrust23THRUST_200600_302600_NS4plusIyEEEEZZNS1_33reduce_by_key_impl_wrapped_configILNS1_25lookback_scan_determinismE0ES3_S9_NS6_6detail15normal_iteratorINS6_10device_ptrIjEEEENSD_INSE_IyEEEENS6_16discard_iteratorINS6_11use_defaultEEESI_PmS8_NS6_8equal_toIjEEEE10hipError_tPvRmT2_T3_mT4_T5_T6_T7_T8_P12ihipStream_tbENKUlT_T0_E_clISt17integral_constantIbLb0EES16_EEDaS11_S12_EUlS11_E_NS1_11comp_targetILNS1_3genE3ELNS1_11target_archE908ELNS1_3gpuE7ELNS1_3repE0EEENS1_30default_config_static_selectorELNS0_4arch9wavefront6targetE1EEEvT1_
                                        ; -- End function
	.section	.AMDGPU.csdata,"",@progbits
; Kernel info:
; codeLenInByte = 0
; NumSgprs: 4
; NumVgprs: 0
; NumAgprs: 0
; TotalNumVgprs: 0
; ScratchSize: 0
; MemoryBound: 0
; FloatMode: 240
; IeeeMode: 1
; LDSByteSize: 0 bytes/workgroup (compile time only)
; SGPRBlocks: 0
; VGPRBlocks: 0
; NumSGPRsForWavesPerEU: 4
; NumVGPRsForWavesPerEU: 1
; AccumOffset: 4
; Occupancy: 8
; WaveLimiterHint : 0
; COMPUTE_PGM_RSRC2:SCRATCH_EN: 0
; COMPUTE_PGM_RSRC2:USER_SGPR: 6
; COMPUTE_PGM_RSRC2:TRAP_HANDLER: 0
; COMPUTE_PGM_RSRC2:TGID_X_EN: 1
; COMPUTE_PGM_RSRC2:TGID_Y_EN: 0
; COMPUTE_PGM_RSRC2:TGID_Z_EN: 0
; COMPUTE_PGM_RSRC2:TIDIG_COMP_CNT: 0
; COMPUTE_PGM_RSRC3_GFX90A:ACCUM_OFFSET: 0
; COMPUTE_PGM_RSRC3_GFX90A:TG_SPLIT: 0
	.section	.text._ZN7rocprim17ROCPRIM_400000_NS6detail17trampoline_kernelINS0_14default_configENS1_29reduce_by_key_config_selectorIjyN6thrust23THRUST_200600_302600_NS4plusIyEEEEZZNS1_33reduce_by_key_impl_wrapped_configILNS1_25lookback_scan_determinismE0ES3_S9_NS6_6detail15normal_iteratorINS6_10device_ptrIjEEEENSD_INSE_IyEEEENS6_16discard_iteratorINS6_11use_defaultEEESI_PmS8_NS6_8equal_toIjEEEE10hipError_tPvRmT2_T3_mT4_T5_T6_T7_T8_P12ihipStream_tbENKUlT_T0_E_clISt17integral_constantIbLb0EES16_EEDaS11_S12_EUlS11_E_NS1_11comp_targetILNS1_3genE2ELNS1_11target_archE906ELNS1_3gpuE6ELNS1_3repE0EEENS1_30default_config_static_selectorELNS0_4arch9wavefront6targetE1EEEvT1_,"axG",@progbits,_ZN7rocprim17ROCPRIM_400000_NS6detail17trampoline_kernelINS0_14default_configENS1_29reduce_by_key_config_selectorIjyN6thrust23THRUST_200600_302600_NS4plusIyEEEEZZNS1_33reduce_by_key_impl_wrapped_configILNS1_25lookback_scan_determinismE0ES3_S9_NS6_6detail15normal_iteratorINS6_10device_ptrIjEEEENSD_INSE_IyEEEENS6_16discard_iteratorINS6_11use_defaultEEESI_PmS8_NS6_8equal_toIjEEEE10hipError_tPvRmT2_T3_mT4_T5_T6_T7_T8_P12ihipStream_tbENKUlT_T0_E_clISt17integral_constantIbLb0EES16_EEDaS11_S12_EUlS11_E_NS1_11comp_targetILNS1_3genE2ELNS1_11target_archE906ELNS1_3gpuE6ELNS1_3repE0EEENS1_30default_config_static_selectorELNS0_4arch9wavefront6targetE1EEEvT1_,comdat
	.protected	_ZN7rocprim17ROCPRIM_400000_NS6detail17trampoline_kernelINS0_14default_configENS1_29reduce_by_key_config_selectorIjyN6thrust23THRUST_200600_302600_NS4plusIyEEEEZZNS1_33reduce_by_key_impl_wrapped_configILNS1_25lookback_scan_determinismE0ES3_S9_NS6_6detail15normal_iteratorINS6_10device_ptrIjEEEENSD_INSE_IyEEEENS6_16discard_iteratorINS6_11use_defaultEEESI_PmS8_NS6_8equal_toIjEEEE10hipError_tPvRmT2_T3_mT4_T5_T6_T7_T8_P12ihipStream_tbENKUlT_T0_E_clISt17integral_constantIbLb0EES16_EEDaS11_S12_EUlS11_E_NS1_11comp_targetILNS1_3genE2ELNS1_11target_archE906ELNS1_3gpuE6ELNS1_3repE0EEENS1_30default_config_static_selectorELNS0_4arch9wavefront6targetE1EEEvT1_ ; -- Begin function _ZN7rocprim17ROCPRIM_400000_NS6detail17trampoline_kernelINS0_14default_configENS1_29reduce_by_key_config_selectorIjyN6thrust23THRUST_200600_302600_NS4plusIyEEEEZZNS1_33reduce_by_key_impl_wrapped_configILNS1_25lookback_scan_determinismE0ES3_S9_NS6_6detail15normal_iteratorINS6_10device_ptrIjEEEENSD_INSE_IyEEEENS6_16discard_iteratorINS6_11use_defaultEEESI_PmS8_NS6_8equal_toIjEEEE10hipError_tPvRmT2_T3_mT4_T5_T6_T7_T8_P12ihipStream_tbENKUlT_T0_E_clISt17integral_constantIbLb0EES16_EEDaS11_S12_EUlS11_E_NS1_11comp_targetILNS1_3genE2ELNS1_11target_archE906ELNS1_3gpuE6ELNS1_3repE0EEENS1_30default_config_static_selectorELNS0_4arch9wavefront6targetE1EEEvT1_
	.globl	_ZN7rocprim17ROCPRIM_400000_NS6detail17trampoline_kernelINS0_14default_configENS1_29reduce_by_key_config_selectorIjyN6thrust23THRUST_200600_302600_NS4plusIyEEEEZZNS1_33reduce_by_key_impl_wrapped_configILNS1_25lookback_scan_determinismE0ES3_S9_NS6_6detail15normal_iteratorINS6_10device_ptrIjEEEENSD_INSE_IyEEEENS6_16discard_iteratorINS6_11use_defaultEEESI_PmS8_NS6_8equal_toIjEEEE10hipError_tPvRmT2_T3_mT4_T5_T6_T7_T8_P12ihipStream_tbENKUlT_T0_E_clISt17integral_constantIbLb0EES16_EEDaS11_S12_EUlS11_E_NS1_11comp_targetILNS1_3genE2ELNS1_11target_archE906ELNS1_3gpuE6ELNS1_3repE0EEENS1_30default_config_static_selectorELNS0_4arch9wavefront6targetE1EEEvT1_
	.p2align	8
	.type	_ZN7rocprim17ROCPRIM_400000_NS6detail17trampoline_kernelINS0_14default_configENS1_29reduce_by_key_config_selectorIjyN6thrust23THRUST_200600_302600_NS4plusIyEEEEZZNS1_33reduce_by_key_impl_wrapped_configILNS1_25lookback_scan_determinismE0ES3_S9_NS6_6detail15normal_iteratorINS6_10device_ptrIjEEEENSD_INSE_IyEEEENS6_16discard_iteratorINS6_11use_defaultEEESI_PmS8_NS6_8equal_toIjEEEE10hipError_tPvRmT2_T3_mT4_T5_T6_T7_T8_P12ihipStream_tbENKUlT_T0_E_clISt17integral_constantIbLb0EES16_EEDaS11_S12_EUlS11_E_NS1_11comp_targetILNS1_3genE2ELNS1_11target_archE906ELNS1_3gpuE6ELNS1_3repE0EEENS1_30default_config_static_selectorELNS0_4arch9wavefront6targetE1EEEvT1_,@function
_ZN7rocprim17ROCPRIM_400000_NS6detail17trampoline_kernelINS0_14default_configENS1_29reduce_by_key_config_selectorIjyN6thrust23THRUST_200600_302600_NS4plusIyEEEEZZNS1_33reduce_by_key_impl_wrapped_configILNS1_25lookback_scan_determinismE0ES3_S9_NS6_6detail15normal_iteratorINS6_10device_ptrIjEEEENSD_INSE_IyEEEENS6_16discard_iteratorINS6_11use_defaultEEESI_PmS8_NS6_8equal_toIjEEEE10hipError_tPvRmT2_T3_mT4_T5_T6_T7_T8_P12ihipStream_tbENKUlT_T0_E_clISt17integral_constantIbLb0EES16_EEDaS11_S12_EUlS11_E_NS1_11comp_targetILNS1_3genE2ELNS1_11target_archE906ELNS1_3gpuE6ELNS1_3repE0EEENS1_30default_config_static_selectorELNS0_4arch9wavefront6targetE1EEEvT1_: ; @_ZN7rocprim17ROCPRIM_400000_NS6detail17trampoline_kernelINS0_14default_configENS1_29reduce_by_key_config_selectorIjyN6thrust23THRUST_200600_302600_NS4plusIyEEEEZZNS1_33reduce_by_key_impl_wrapped_configILNS1_25lookback_scan_determinismE0ES3_S9_NS6_6detail15normal_iteratorINS6_10device_ptrIjEEEENSD_INSE_IyEEEENS6_16discard_iteratorINS6_11use_defaultEEESI_PmS8_NS6_8equal_toIjEEEE10hipError_tPvRmT2_T3_mT4_T5_T6_T7_T8_P12ihipStream_tbENKUlT_T0_E_clISt17integral_constantIbLb0EES16_EEDaS11_S12_EUlS11_E_NS1_11comp_targetILNS1_3genE2ELNS1_11target_archE906ELNS1_3gpuE6ELNS1_3repE0EEENS1_30default_config_static_selectorELNS0_4arch9wavefront6targetE1EEEvT1_
; %bb.0:
	.section	.rodata,"a",@progbits
	.p2align	6, 0x0
	.amdhsa_kernel _ZN7rocprim17ROCPRIM_400000_NS6detail17trampoline_kernelINS0_14default_configENS1_29reduce_by_key_config_selectorIjyN6thrust23THRUST_200600_302600_NS4plusIyEEEEZZNS1_33reduce_by_key_impl_wrapped_configILNS1_25lookback_scan_determinismE0ES3_S9_NS6_6detail15normal_iteratorINS6_10device_ptrIjEEEENSD_INSE_IyEEEENS6_16discard_iteratorINS6_11use_defaultEEESI_PmS8_NS6_8equal_toIjEEEE10hipError_tPvRmT2_T3_mT4_T5_T6_T7_T8_P12ihipStream_tbENKUlT_T0_E_clISt17integral_constantIbLb0EES16_EEDaS11_S12_EUlS11_E_NS1_11comp_targetILNS1_3genE2ELNS1_11target_archE906ELNS1_3gpuE6ELNS1_3repE0EEENS1_30default_config_static_selectorELNS0_4arch9wavefront6targetE1EEEvT1_
		.amdhsa_group_segment_fixed_size 0
		.amdhsa_private_segment_fixed_size 0
		.amdhsa_kernarg_size 144
		.amdhsa_user_sgpr_count 6
		.amdhsa_user_sgpr_private_segment_buffer 1
		.amdhsa_user_sgpr_dispatch_ptr 0
		.amdhsa_user_sgpr_queue_ptr 0
		.amdhsa_user_sgpr_kernarg_segment_ptr 1
		.amdhsa_user_sgpr_dispatch_id 0
		.amdhsa_user_sgpr_flat_scratch_init 0
		.amdhsa_user_sgpr_kernarg_preload_length 0
		.amdhsa_user_sgpr_kernarg_preload_offset 0
		.amdhsa_user_sgpr_private_segment_size 0
		.amdhsa_uses_dynamic_stack 0
		.amdhsa_system_sgpr_private_segment_wavefront_offset 0
		.amdhsa_system_sgpr_workgroup_id_x 1
		.amdhsa_system_sgpr_workgroup_id_y 0
		.amdhsa_system_sgpr_workgroup_id_z 0
		.amdhsa_system_sgpr_workgroup_info 0
		.amdhsa_system_vgpr_workitem_id 0
		.amdhsa_next_free_vgpr 1
		.amdhsa_next_free_sgpr 0
		.amdhsa_accum_offset 4
		.amdhsa_reserve_vcc 0
		.amdhsa_reserve_flat_scratch 0
		.amdhsa_float_round_mode_32 0
		.amdhsa_float_round_mode_16_64 0
		.amdhsa_float_denorm_mode_32 3
		.amdhsa_float_denorm_mode_16_64 3
		.amdhsa_dx10_clamp 1
		.amdhsa_ieee_mode 1
		.amdhsa_fp16_overflow 0
		.amdhsa_tg_split 0
		.amdhsa_exception_fp_ieee_invalid_op 0
		.amdhsa_exception_fp_denorm_src 0
		.amdhsa_exception_fp_ieee_div_zero 0
		.amdhsa_exception_fp_ieee_overflow 0
		.amdhsa_exception_fp_ieee_underflow 0
		.amdhsa_exception_fp_ieee_inexact 0
		.amdhsa_exception_int_div_zero 0
	.end_amdhsa_kernel
	.section	.text._ZN7rocprim17ROCPRIM_400000_NS6detail17trampoline_kernelINS0_14default_configENS1_29reduce_by_key_config_selectorIjyN6thrust23THRUST_200600_302600_NS4plusIyEEEEZZNS1_33reduce_by_key_impl_wrapped_configILNS1_25lookback_scan_determinismE0ES3_S9_NS6_6detail15normal_iteratorINS6_10device_ptrIjEEEENSD_INSE_IyEEEENS6_16discard_iteratorINS6_11use_defaultEEESI_PmS8_NS6_8equal_toIjEEEE10hipError_tPvRmT2_T3_mT4_T5_T6_T7_T8_P12ihipStream_tbENKUlT_T0_E_clISt17integral_constantIbLb0EES16_EEDaS11_S12_EUlS11_E_NS1_11comp_targetILNS1_3genE2ELNS1_11target_archE906ELNS1_3gpuE6ELNS1_3repE0EEENS1_30default_config_static_selectorELNS0_4arch9wavefront6targetE1EEEvT1_,"axG",@progbits,_ZN7rocprim17ROCPRIM_400000_NS6detail17trampoline_kernelINS0_14default_configENS1_29reduce_by_key_config_selectorIjyN6thrust23THRUST_200600_302600_NS4plusIyEEEEZZNS1_33reduce_by_key_impl_wrapped_configILNS1_25lookback_scan_determinismE0ES3_S9_NS6_6detail15normal_iteratorINS6_10device_ptrIjEEEENSD_INSE_IyEEEENS6_16discard_iteratorINS6_11use_defaultEEESI_PmS8_NS6_8equal_toIjEEEE10hipError_tPvRmT2_T3_mT4_T5_T6_T7_T8_P12ihipStream_tbENKUlT_T0_E_clISt17integral_constantIbLb0EES16_EEDaS11_S12_EUlS11_E_NS1_11comp_targetILNS1_3genE2ELNS1_11target_archE906ELNS1_3gpuE6ELNS1_3repE0EEENS1_30default_config_static_selectorELNS0_4arch9wavefront6targetE1EEEvT1_,comdat
.Lfunc_end881:
	.size	_ZN7rocprim17ROCPRIM_400000_NS6detail17trampoline_kernelINS0_14default_configENS1_29reduce_by_key_config_selectorIjyN6thrust23THRUST_200600_302600_NS4plusIyEEEEZZNS1_33reduce_by_key_impl_wrapped_configILNS1_25lookback_scan_determinismE0ES3_S9_NS6_6detail15normal_iteratorINS6_10device_ptrIjEEEENSD_INSE_IyEEEENS6_16discard_iteratorINS6_11use_defaultEEESI_PmS8_NS6_8equal_toIjEEEE10hipError_tPvRmT2_T3_mT4_T5_T6_T7_T8_P12ihipStream_tbENKUlT_T0_E_clISt17integral_constantIbLb0EES16_EEDaS11_S12_EUlS11_E_NS1_11comp_targetILNS1_3genE2ELNS1_11target_archE906ELNS1_3gpuE6ELNS1_3repE0EEENS1_30default_config_static_selectorELNS0_4arch9wavefront6targetE1EEEvT1_, .Lfunc_end881-_ZN7rocprim17ROCPRIM_400000_NS6detail17trampoline_kernelINS0_14default_configENS1_29reduce_by_key_config_selectorIjyN6thrust23THRUST_200600_302600_NS4plusIyEEEEZZNS1_33reduce_by_key_impl_wrapped_configILNS1_25lookback_scan_determinismE0ES3_S9_NS6_6detail15normal_iteratorINS6_10device_ptrIjEEEENSD_INSE_IyEEEENS6_16discard_iteratorINS6_11use_defaultEEESI_PmS8_NS6_8equal_toIjEEEE10hipError_tPvRmT2_T3_mT4_T5_T6_T7_T8_P12ihipStream_tbENKUlT_T0_E_clISt17integral_constantIbLb0EES16_EEDaS11_S12_EUlS11_E_NS1_11comp_targetILNS1_3genE2ELNS1_11target_archE906ELNS1_3gpuE6ELNS1_3repE0EEENS1_30default_config_static_selectorELNS0_4arch9wavefront6targetE1EEEvT1_
                                        ; -- End function
	.section	.AMDGPU.csdata,"",@progbits
; Kernel info:
; codeLenInByte = 0
; NumSgprs: 4
; NumVgprs: 0
; NumAgprs: 0
; TotalNumVgprs: 0
; ScratchSize: 0
; MemoryBound: 0
; FloatMode: 240
; IeeeMode: 1
; LDSByteSize: 0 bytes/workgroup (compile time only)
; SGPRBlocks: 0
; VGPRBlocks: 0
; NumSGPRsForWavesPerEU: 4
; NumVGPRsForWavesPerEU: 1
; AccumOffset: 4
; Occupancy: 8
; WaveLimiterHint : 0
; COMPUTE_PGM_RSRC2:SCRATCH_EN: 0
; COMPUTE_PGM_RSRC2:USER_SGPR: 6
; COMPUTE_PGM_RSRC2:TRAP_HANDLER: 0
; COMPUTE_PGM_RSRC2:TGID_X_EN: 1
; COMPUTE_PGM_RSRC2:TGID_Y_EN: 0
; COMPUTE_PGM_RSRC2:TGID_Z_EN: 0
; COMPUTE_PGM_RSRC2:TIDIG_COMP_CNT: 0
; COMPUTE_PGM_RSRC3_GFX90A:ACCUM_OFFSET: 0
; COMPUTE_PGM_RSRC3_GFX90A:TG_SPLIT: 0
	.section	.text._ZN7rocprim17ROCPRIM_400000_NS6detail17trampoline_kernelINS0_14default_configENS1_29reduce_by_key_config_selectorIjyN6thrust23THRUST_200600_302600_NS4plusIyEEEEZZNS1_33reduce_by_key_impl_wrapped_configILNS1_25lookback_scan_determinismE0ES3_S9_NS6_6detail15normal_iteratorINS6_10device_ptrIjEEEENSD_INSE_IyEEEENS6_16discard_iteratorINS6_11use_defaultEEESI_PmS8_NS6_8equal_toIjEEEE10hipError_tPvRmT2_T3_mT4_T5_T6_T7_T8_P12ihipStream_tbENKUlT_T0_E_clISt17integral_constantIbLb0EES16_EEDaS11_S12_EUlS11_E_NS1_11comp_targetILNS1_3genE10ELNS1_11target_archE1201ELNS1_3gpuE5ELNS1_3repE0EEENS1_30default_config_static_selectorELNS0_4arch9wavefront6targetE1EEEvT1_,"axG",@progbits,_ZN7rocprim17ROCPRIM_400000_NS6detail17trampoline_kernelINS0_14default_configENS1_29reduce_by_key_config_selectorIjyN6thrust23THRUST_200600_302600_NS4plusIyEEEEZZNS1_33reduce_by_key_impl_wrapped_configILNS1_25lookback_scan_determinismE0ES3_S9_NS6_6detail15normal_iteratorINS6_10device_ptrIjEEEENSD_INSE_IyEEEENS6_16discard_iteratorINS6_11use_defaultEEESI_PmS8_NS6_8equal_toIjEEEE10hipError_tPvRmT2_T3_mT4_T5_T6_T7_T8_P12ihipStream_tbENKUlT_T0_E_clISt17integral_constantIbLb0EES16_EEDaS11_S12_EUlS11_E_NS1_11comp_targetILNS1_3genE10ELNS1_11target_archE1201ELNS1_3gpuE5ELNS1_3repE0EEENS1_30default_config_static_selectorELNS0_4arch9wavefront6targetE1EEEvT1_,comdat
	.protected	_ZN7rocprim17ROCPRIM_400000_NS6detail17trampoline_kernelINS0_14default_configENS1_29reduce_by_key_config_selectorIjyN6thrust23THRUST_200600_302600_NS4plusIyEEEEZZNS1_33reduce_by_key_impl_wrapped_configILNS1_25lookback_scan_determinismE0ES3_S9_NS6_6detail15normal_iteratorINS6_10device_ptrIjEEEENSD_INSE_IyEEEENS6_16discard_iteratorINS6_11use_defaultEEESI_PmS8_NS6_8equal_toIjEEEE10hipError_tPvRmT2_T3_mT4_T5_T6_T7_T8_P12ihipStream_tbENKUlT_T0_E_clISt17integral_constantIbLb0EES16_EEDaS11_S12_EUlS11_E_NS1_11comp_targetILNS1_3genE10ELNS1_11target_archE1201ELNS1_3gpuE5ELNS1_3repE0EEENS1_30default_config_static_selectorELNS0_4arch9wavefront6targetE1EEEvT1_ ; -- Begin function _ZN7rocprim17ROCPRIM_400000_NS6detail17trampoline_kernelINS0_14default_configENS1_29reduce_by_key_config_selectorIjyN6thrust23THRUST_200600_302600_NS4plusIyEEEEZZNS1_33reduce_by_key_impl_wrapped_configILNS1_25lookback_scan_determinismE0ES3_S9_NS6_6detail15normal_iteratorINS6_10device_ptrIjEEEENSD_INSE_IyEEEENS6_16discard_iteratorINS6_11use_defaultEEESI_PmS8_NS6_8equal_toIjEEEE10hipError_tPvRmT2_T3_mT4_T5_T6_T7_T8_P12ihipStream_tbENKUlT_T0_E_clISt17integral_constantIbLb0EES16_EEDaS11_S12_EUlS11_E_NS1_11comp_targetILNS1_3genE10ELNS1_11target_archE1201ELNS1_3gpuE5ELNS1_3repE0EEENS1_30default_config_static_selectorELNS0_4arch9wavefront6targetE1EEEvT1_
	.globl	_ZN7rocprim17ROCPRIM_400000_NS6detail17trampoline_kernelINS0_14default_configENS1_29reduce_by_key_config_selectorIjyN6thrust23THRUST_200600_302600_NS4plusIyEEEEZZNS1_33reduce_by_key_impl_wrapped_configILNS1_25lookback_scan_determinismE0ES3_S9_NS6_6detail15normal_iteratorINS6_10device_ptrIjEEEENSD_INSE_IyEEEENS6_16discard_iteratorINS6_11use_defaultEEESI_PmS8_NS6_8equal_toIjEEEE10hipError_tPvRmT2_T3_mT4_T5_T6_T7_T8_P12ihipStream_tbENKUlT_T0_E_clISt17integral_constantIbLb0EES16_EEDaS11_S12_EUlS11_E_NS1_11comp_targetILNS1_3genE10ELNS1_11target_archE1201ELNS1_3gpuE5ELNS1_3repE0EEENS1_30default_config_static_selectorELNS0_4arch9wavefront6targetE1EEEvT1_
	.p2align	8
	.type	_ZN7rocprim17ROCPRIM_400000_NS6detail17trampoline_kernelINS0_14default_configENS1_29reduce_by_key_config_selectorIjyN6thrust23THRUST_200600_302600_NS4plusIyEEEEZZNS1_33reduce_by_key_impl_wrapped_configILNS1_25lookback_scan_determinismE0ES3_S9_NS6_6detail15normal_iteratorINS6_10device_ptrIjEEEENSD_INSE_IyEEEENS6_16discard_iteratorINS6_11use_defaultEEESI_PmS8_NS6_8equal_toIjEEEE10hipError_tPvRmT2_T3_mT4_T5_T6_T7_T8_P12ihipStream_tbENKUlT_T0_E_clISt17integral_constantIbLb0EES16_EEDaS11_S12_EUlS11_E_NS1_11comp_targetILNS1_3genE10ELNS1_11target_archE1201ELNS1_3gpuE5ELNS1_3repE0EEENS1_30default_config_static_selectorELNS0_4arch9wavefront6targetE1EEEvT1_,@function
_ZN7rocprim17ROCPRIM_400000_NS6detail17trampoline_kernelINS0_14default_configENS1_29reduce_by_key_config_selectorIjyN6thrust23THRUST_200600_302600_NS4plusIyEEEEZZNS1_33reduce_by_key_impl_wrapped_configILNS1_25lookback_scan_determinismE0ES3_S9_NS6_6detail15normal_iteratorINS6_10device_ptrIjEEEENSD_INSE_IyEEEENS6_16discard_iteratorINS6_11use_defaultEEESI_PmS8_NS6_8equal_toIjEEEE10hipError_tPvRmT2_T3_mT4_T5_T6_T7_T8_P12ihipStream_tbENKUlT_T0_E_clISt17integral_constantIbLb0EES16_EEDaS11_S12_EUlS11_E_NS1_11comp_targetILNS1_3genE10ELNS1_11target_archE1201ELNS1_3gpuE5ELNS1_3repE0EEENS1_30default_config_static_selectorELNS0_4arch9wavefront6targetE1EEEvT1_: ; @_ZN7rocprim17ROCPRIM_400000_NS6detail17trampoline_kernelINS0_14default_configENS1_29reduce_by_key_config_selectorIjyN6thrust23THRUST_200600_302600_NS4plusIyEEEEZZNS1_33reduce_by_key_impl_wrapped_configILNS1_25lookback_scan_determinismE0ES3_S9_NS6_6detail15normal_iteratorINS6_10device_ptrIjEEEENSD_INSE_IyEEEENS6_16discard_iteratorINS6_11use_defaultEEESI_PmS8_NS6_8equal_toIjEEEE10hipError_tPvRmT2_T3_mT4_T5_T6_T7_T8_P12ihipStream_tbENKUlT_T0_E_clISt17integral_constantIbLb0EES16_EEDaS11_S12_EUlS11_E_NS1_11comp_targetILNS1_3genE10ELNS1_11target_archE1201ELNS1_3gpuE5ELNS1_3repE0EEENS1_30default_config_static_selectorELNS0_4arch9wavefront6targetE1EEEvT1_
; %bb.0:
	.section	.rodata,"a",@progbits
	.p2align	6, 0x0
	.amdhsa_kernel _ZN7rocprim17ROCPRIM_400000_NS6detail17trampoline_kernelINS0_14default_configENS1_29reduce_by_key_config_selectorIjyN6thrust23THRUST_200600_302600_NS4plusIyEEEEZZNS1_33reduce_by_key_impl_wrapped_configILNS1_25lookback_scan_determinismE0ES3_S9_NS6_6detail15normal_iteratorINS6_10device_ptrIjEEEENSD_INSE_IyEEEENS6_16discard_iteratorINS6_11use_defaultEEESI_PmS8_NS6_8equal_toIjEEEE10hipError_tPvRmT2_T3_mT4_T5_T6_T7_T8_P12ihipStream_tbENKUlT_T0_E_clISt17integral_constantIbLb0EES16_EEDaS11_S12_EUlS11_E_NS1_11comp_targetILNS1_3genE10ELNS1_11target_archE1201ELNS1_3gpuE5ELNS1_3repE0EEENS1_30default_config_static_selectorELNS0_4arch9wavefront6targetE1EEEvT1_
		.amdhsa_group_segment_fixed_size 0
		.amdhsa_private_segment_fixed_size 0
		.amdhsa_kernarg_size 144
		.amdhsa_user_sgpr_count 6
		.amdhsa_user_sgpr_private_segment_buffer 1
		.amdhsa_user_sgpr_dispatch_ptr 0
		.amdhsa_user_sgpr_queue_ptr 0
		.amdhsa_user_sgpr_kernarg_segment_ptr 1
		.amdhsa_user_sgpr_dispatch_id 0
		.amdhsa_user_sgpr_flat_scratch_init 0
		.amdhsa_user_sgpr_kernarg_preload_length 0
		.amdhsa_user_sgpr_kernarg_preload_offset 0
		.amdhsa_user_sgpr_private_segment_size 0
		.amdhsa_uses_dynamic_stack 0
		.amdhsa_system_sgpr_private_segment_wavefront_offset 0
		.amdhsa_system_sgpr_workgroup_id_x 1
		.amdhsa_system_sgpr_workgroup_id_y 0
		.amdhsa_system_sgpr_workgroup_id_z 0
		.amdhsa_system_sgpr_workgroup_info 0
		.amdhsa_system_vgpr_workitem_id 0
		.amdhsa_next_free_vgpr 1
		.amdhsa_next_free_sgpr 0
		.amdhsa_accum_offset 4
		.amdhsa_reserve_vcc 0
		.amdhsa_reserve_flat_scratch 0
		.amdhsa_float_round_mode_32 0
		.amdhsa_float_round_mode_16_64 0
		.amdhsa_float_denorm_mode_32 3
		.amdhsa_float_denorm_mode_16_64 3
		.amdhsa_dx10_clamp 1
		.amdhsa_ieee_mode 1
		.amdhsa_fp16_overflow 0
		.amdhsa_tg_split 0
		.amdhsa_exception_fp_ieee_invalid_op 0
		.amdhsa_exception_fp_denorm_src 0
		.amdhsa_exception_fp_ieee_div_zero 0
		.amdhsa_exception_fp_ieee_overflow 0
		.amdhsa_exception_fp_ieee_underflow 0
		.amdhsa_exception_fp_ieee_inexact 0
		.amdhsa_exception_int_div_zero 0
	.end_amdhsa_kernel
	.section	.text._ZN7rocprim17ROCPRIM_400000_NS6detail17trampoline_kernelINS0_14default_configENS1_29reduce_by_key_config_selectorIjyN6thrust23THRUST_200600_302600_NS4plusIyEEEEZZNS1_33reduce_by_key_impl_wrapped_configILNS1_25lookback_scan_determinismE0ES3_S9_NS6_6detail15normal_iteratorINS6_10device_ptrIjEEEENSD_INSE_IyEEEENS6_16discard_iteratorINS6_11use_defaultEEESI_PmS8_NS6_8equal_toIjEEEE10hipError_tPvRmT2_T3_mT4_T5_T6_T7_T8_P12ihipStream_tbENKUlT_T0_E_clISt17integral_constantIbLb0EES16_EEDaS11_S12_EUlS11_E_NS1_11comp_targetILNS1_3genE10ELNS1_11target_archE1201ELNS1_3gpuE5ELNS1_3repE0EEENS1_30default_config_static_selectorELNS0_4arch9wavefront6targetE1EEEvT1_,"axG",@progbits,_ZN7rocprim17ROCPRIM_400000_NS6detail17trampoline_kernelINS0_14default_configENS1_29reduce_by_key_config_selectorIjyN6thrust23THRUST_200600_302600_NS4plusIyEEEEZZNS1_33reduce_by_key_impl_wrapped_configILNS1_25lookback_scan_determinismE0ES3_S9_NS6_6detail15normal_iteratorINS6_10device_ptrIjEEEENSD_INSE_IyEEEENS6_16discard_iteratorINS6_11use_defaultEEESI_PmS8_NS6_8equal_toIjEEEE10hipError_tPvRmT2_T3_mT4_T5_T6_T7_T8_P12ihipStream_tbENKUlT_T0_E_clISt17integral_constantIbLb0EES16_EEDaS11_S12_EUlS11_E_NS1_11comp_targetILNS1_3genE10ELNS1_11target_archE1201ELNS1_3gpuE5ELNS1_3repE0EEENS1_30default_config_static_selectorELNS0_4arch9wavefront6targetE1EEEvT1_,comdat
.Lfunc_end882:
	.size	_ZN7rocprim17ROCPRIM_400000_NS6detail17trampoline_kernelINS0_14default_configENS1_29reduce_by_key_config_selectorIjyN6thrust23THRUST_200600_302600_NS4plusIyEEEEZZNS1_33reduce_by_key_impl_wrapped_configILNS1_25lookback_scan_determinismE0ES3_S9_NS6_6detail15normal_iteratorINS6_10device_ptrIjEEEENSD_INSE_IyEEEENS6_16discard_iteratorINS6_11use_defaultEEESI_PmS8_NS6_8equal_toIjEEEE10hipError_tPvRmT2_T3_mT4_T5_T6_T7_T8_P12ihipStream_tbENKUlT_T0_E_clISt17integral_constantIbLb0EES16_EEDaS11_S12_EUlS11_E_NS1_11comp_targetILNS1_3genE10ELNS1_11target_archE1201ELNS1_3gpuE5ELNS1_3repE0EEENS1_30default_config_static_selectorELNS0_4arch9wavefront6targetE1EEEvT1_, .Lfunc_end882-_ZN7rocprim17ROCPRIM_400000_NS6detail17trampoline_kernelINS0_14default_configENS1_29reduce_by_key_config_selectorIjyN6thrust23THRUST_200600_302600_NS4plusIyEEEEZZNS1_33reduce_by_key_impl_wrapped_configILNS1_25lookback_scan_determinismE0ES3_S9_NS6_6detail15normal_iteratorINS6_10device_ptrIjEEEENSD_INSE_IyEEEENS6_16discard_iteratorINS6_11use_defaultEEESI_PmS8_NS6_8equal_toIjEEEE10hipError_tPvRmT2_T3_mT4_T5_T6_T7_T8_P12ihipStream_tbENKUlT_T0_E_clISt17integral_constantIbLb0EES16_EEDaS11_S12_EUlS11_E_NS1_11comp_targetILNS1_3genE10ELNS1_11target_archE1201ELNS1_3gpuE5ELNS1_3repE0EEENS1_30default_config_static_selectorELNS0_4arch9wavefront6targetE1EEEvT1_
                                        ; -- End function
	.section	.AMDGPU.csdata,"",@progbits
; Kernel info:
; codeLenInByte = 0
; NumSgprs: 4
; NumVgprs: 0
; NumAgprs: 0
; TotalNumVgprs: 0
; ScratchSize: 0
; MemoryBound: 0
; FloatMode: 240
; IeeeMode: 1
; LDSByteSize: 0 bytes/workgroup (compile time only)
; SGPRBlocks: 0
; VGPRBlocks: 0
; NumSGPRsForWavesPerEU: 4
; NumVGPRsForWavesPerEU: 1
; AccumOffset: 4
; Occupancy: 8
; WaveLimiterHint : 0
; COMPUTE_PGM_RSRC2:SCRATCH_EN: 0
; COMPUTE_PGM_RSRC2:USER_SGPR: 6
; COMPUTE_PGM_RSRC2:TRAP_HANDLER: 0
; COMPUTE_PGM_RSRC2:TGID_X_EN: 1
; COMPUTE_PGM_RSRC2:TGID_Y_EN: 0
; COMPUTE_PGM_RSRC2:TGID_Z_EN: 0
; COMPUTE_PGM_RSRC2:TIDIG_COMP_CNT: 0
; COMPUTE_PGM_RSRC3_GFX90A:ACCUM_OFFSET: 0
; COMPUTE_PGM_RSRC3_GFX90A:TG_SPLIT: 0
	.section	.text._ZN7rocprim17ROCPRIM_400000_NS6detail17trampoline_kernelINS0_14default_configENS1_29reduce_by_key_config_selectorIjyN6thrust23THRUST_200600_302600_NS4plusIyEEEEZZNS1_33reduce_by_key_impl_wrapped_configILNS1_25lookback_scan_determinismE0ES3_S9_NS6_6detail15normal_iteratorINS6_10device_ptrIjEEEENSD_INSE_IyEEEENS6_16discard_iteratorINS6_11use_defaultEEESI_PmS8_NS6_8equal_toIjEEEE10hipError_tPvRmT2_T3_mT4_T5_T6_T7_T8_P12ihipStream_tbENKUlT_T0_E_clISt17integral_constantIbLb0EES16_EEDaS11_S12_EUlS11_E_NS1_11comp_targetILNS1_3genE10ELNS1_11target_archE1200ELNS1_3gpuE4ELNS1_3repE0EEENS1_30default_config_static_selectorELNS0_4arch9wavefront6targetE1EEEvT1_,"axG",@progbits,_ZN7rocprim17ROCPRIM_400000_NS6detail17trampoline_kernelINS0_14default_configENS1_29reduce_by_key_config_selectorIjyN6thrust23THRUST_200600_302600_NS4plusIyEEEEZZNS1_33reduce_by_key_impl_wrapped_configILNS1_25lookback_scan_determinismE0ES3_S9_NS6_6detail15normal_iteratorINS6_10device_ptrIjEEEENSD_INSE_IyEEEENS6_16discard_iteratorINS6_11use_defaultEEESI_PmS8_NS6_8equal_toIjEEEE10hipError_tPvRmT2_T3_mT4_T5_T6_T7_T8_P12ihipStream_tbENKUlT_T0_E_clISt17integral_constantIbLb0EES16_EEDaS11_S12_EUlS11_E_NS1_11comp_targetILNS1_3genE10ELNS1_11target_archE1200ELNS1_3gpuE4ELNS1_3repE0EEENS1_30default_config_static_selectorELNS0_4arch9wavefront6targetE1EEEvT1_,comdat
	.protected	_ZN7rocprim17ROCPRIM_400000_NS6detail17trampoline_kernelINS0_14default_configENS1_29reduce_by_key_config_selectorIjyN6thrust23THRUST_200600_302600_NS4plusIyEEEEZZNS1_33reduce_by_key_impl_wrapped_configILNS1_25lookback_scan_determinismE0ES3_S9_NS6_6detail15normal_iteratorINS6_10device_ptrIjEEEENSD_INSE_IyEEEENS6_16discard_iteratorINS6_11use_defaultEEESI_PmS8_NS6_8equal_toIjEEEE10hipError_tPvRmT2_T3_mT4_T5_T6_T7_T8_P12ihipStream_tbENKUlT_T0_E_clISt17integral_constantIbLb0EES16_EEDaS11_S12_EUlS11_E_NS1_11comp_targetILNS1_3genE10ELNS1_11target_archE1200ELNS1_3gpuE4ELNS1_3repE0EEENS1_30default_config_static_selectorELNS0_4arch9wavefront6targetE1EEEvT1_ ; -- Begin function _ZN7rocprim17ROCPRIM_400000_NS6detail17trampoline_kernelINS0_14default_configENS1_29reduce_by_key_config_selectorIjyN6thrust23THRUST_200600_302600_NS4plusIyEEEEZZNS1_33reduce_by_key_impl_wrapped_configILNS1_25lookback_scan_determinismE0ES3_S9_NS6_6detail15normal_iteratorINS6_10device_ptrIjEEEENSD_INSE_IyEEEENS6_16discard_iteratorINS6_11use_defaultEEESI_PmS8_NS6_8equal_toIjEEEE10hipError_tPvRmT2_T3_mT4_T5_T6_T7_T8_P12ihipStream_tbENKUlT_T0_E_clISt17integral_constantIbLb0EES16_EEDaS11_S12_EUlS11_E_NS1_11comp_targetILNS1_3genE10ELNS1_11target_archE1200ELNS1_3gpuE4ELNS1_3repE0EEENS1_30default_config_static_selectorELNS0_4arch9wavefront6targetE1EEEvT1_
	.globl	_ZN7rocprim17ROCPRIM_400000_NS6detail17trampoline_kernelINS0_14default_configENS1_29reduce_by_key_config_selectorIjyN6thrust23THRUST_200600_302600_NS4plusIyEEEEZZNS1_33reduce_by_key_impl_wrapped_configILNS1_25lookback_scan_determinismE0ES3_S9_NS6_6detail15normal_iteratorINS6_10device_ptrIjEEEENSD_INSE_IyEEEENS6_16discard_iteratorINS6_11use_defaultEEESI_PmS8_NS6_8equal_toIjEEEE10hipError_tPvRmT2_T3_mT4_T5_T6_T7_T8_P12ihipStream_tbENKUlT_T0_E_clISt17integral_constantIbLb0EES16_EEDaS11_S12_EUlS11_E_NS1_11comp_targetILNS1_3genE10ELNS1_11target_archE1200ELNS1_3gpuE4ELNS1_3repE0EEENS1_30default_config_static_selectorELNS0_4arch9wavefront6targetE1EEEvT1_
	.p2align	8
	.type	_ZN7rocprim17ROCPRIM_400000_NS6detail17trampoline_kernelINS0_14default_configENS1_29reduce_by_key_config_selectorIjyN6thrust23THRUST_200600_302600_NS4plusIyEEEEZZNS1_33reduce_by_key_impl_wrapped_configILNS1_25lookback_scan_determinismE0ES3_S9_NS6_6detail15normal_iteratorINS6_10device_ptrIjEEEENSD_INSE_IyEEEENS6_16discard_iteratorINS6_11use_defaultEEESI_PmS8_NS6_8equal_toIjEEEE10hipError_tPvRmT2_T3_mT4_T5_T6_T7_T8_P12ihipStream_tbENKUlT_T0_E_clISt17integral_constantIbLb0EES16_EEDaS11_S12_EUlS11_E_NS1_11comp_targetILNS1_3genE10ELNS1_11target_archE1200ELNS1_3gpuE4ELNS1_3repE0EEENS1_30default_config_static_selectorELNS0_4arch9wavefront6targetE1EEEvT1_,@function
_ZN7rocprim17ROCPRIM_400000_NS6detail17trampoline_kernelINS0_14default_configENS1_29reduce_by_key_config_selectorIjyN6thrust23THRUST_200600_302600_NS4plusIyEEEEZZNS1_33reduce_by_key_impl_wrapped_configILNS1_25lookback_scan_determinismE0ES3_S9_NS6_6detail15normal_iteratorINS6_10device_ptrIjEEEENSD_INSE_IyEEEENS6_16discard_iteratorINS6_11use_defaultEEESI_PmS8_NS6_8equal_toIjEEEE10hipError_tPvRmT2_T3_mT4_T5_T6_T7_T8_P12ihipStream_tbENKUlT_T0_E_clISt17integral_constantIbLb0EES16_EEDaS11_S12_EUlS11_E_NS1_11comp_targetILNS1_3genE10ELNS1_11target_archE1200ELNS1_3gpuE4ELNS1_3repE0EEENS1_30default_config_static_selectorELNS0_4arch9wavefront6targetE1EEEvT1_: ; @_ZN7rocprim17ROCPRIM_400000_NS6detail17trampoline_kernelINS0_14default_configENS1_29reduce_by_key_config_selectorIjyN6thrust23THRUST_200600_302600_NS4plusIyEEEEZZNS1_33reduce_by_key_impl_wrapped_configILNS1_25lookback_scan_determinismE0ES3_S9_NS6_6detail15normal_iteratorINS6_10device_ptrIjEEEENSD_INSE_IyEEEENS6_16discard_iteratorINS6_11use_defaultEEESI_PmS8_NS6_8equal_toIjEEEE10hipError_tPvRmT2_T3_mT4_T5_T6_T7_T8_P12ihipStream_tbENKUlT_T0_E_clISt17integral_constantIbLb0EES16_EEDaS11_S12_EUlS11_E_NS1_11comp_targetILNS1_3genE10ELNS1_11target_archE1200ELNS1_3gpuE4ELNS1_3repE0EEENS1_30default_config_static_selectorELNS0_4arch9wavefront6targetE1EEEvT1_
; %bb.0:
	.section	.rodata,"a",@progbits
	.p2align	6, 0x0
	.amdhsa_kernel _ZN7rocprim17ROCPRIM_400000_NS6detail17trampoline_kernelINS0_14default_configENS1_29reduce_by_key_config_selectorIjyN6thrust23THRUST_200600_302600_NS4plusIyEEEEZZNS1_33reduce_by_key_impl_wrapped_configILNS1_25lookback_scan_determinismE0ES3_S9_NS6_6detail15normal_iteratorINS6_10device_ptrIjEEEENSD_INSE_IyEEEENS6_16discard_iteratorINS6_11use_defaultEEESI_PmS8_NS6_8equal_toIjEEEE10hipError_tPvRmT2_T3_mT4_T5_T6_T7_T8_P12ihipStream_tbENKUlT_T0_E_clISt17integral_constantIbLb0EES16_EEDaS11_S12_EUlS11_E_NS1_11comp_targetILNS1_3genE10ELNS1_11target_archE1200ELNS1_3gpuE4ELNS1_3repE0EEENS1_30default_config_static_selectorELNS0_4arch9wavefront6targetE1EEEvT1_
		.amdhsa_group_segment_fixed_size 0
		.amdhsa_private_segment_fixed_size 0
		.amdhsa_kernarg_size 144
		.amdhsa_user_sgpr_count 6
		.amdhsa_user_sgpr_private_segment_buffer 1
		.amdhsa_user_sgpr_dispatch_ptr 0
		.amdhsa_user_sgpr_queue_ptr 0
		.amdhsa_user_sgpr_kernarg_segment_ptr 1
		.amdhsa_user_sgpr_dispatch_id 0
		.amdhsa_user_sgpr_flat_scratch_init 0
		.amdhsa_user_sgpr_kernarg_preload_length 0
		.amdhsa_user_sgpr_kernarg_preload_offset 0
		.amdhsa_user_sgpr_private_segment_size 0
		.amdhsa_uses_dynamic_stack 0
		.amdhsa_system_sgpr_private_segment_wavefront_offset 0
		.amdhsa_system_sgpr_workgroup_id_x 1
		.amdhsa_system_sgpr_workgroup_id_y 0
		.amdhsa_system_sgpr_workgroup_id_z 0
		.amdhsa_system_sgpr_workgroup_info 0
		.amdhsa_system_vgpr_workitem_id 0
		.amdhsa_next_free_vgpr 1
		.amdhsa_next_free_sgpr 0
		.amdhsa_accum_offset 4
		.amdhsa_reserve_vcc 0
		.amdhsa_reserve_flat_scratch 0
		.amdhsa_float_round_mode_32 0
		.amdhsa_float_round_mode_16_64 0
		.amdhsa_float_denorm_mode_32 3
		.amdhsa_float_denorm_mode_16_64 3
		.amdhsa_dx10_clamp 1
		.amdhsa_ieee_mode 1
		.amdhsa_fp16_overflow 0
		.amdhsa_tg_split 0
		.amdhsa_exception_fp_ieee_invalid_op 0
		.amdhsa_exception_fp_denorm_src 0
		.amdhsa_exception_fp_ieee_div_zero 0
		.amdhsa_exception_fp_ieee_overflow 0
		.amdhsa_exception_fp_ieee_underflow 0
		.amdhsa_exception_fp_ieee_inexact 0
		.amdhsa_exception_int_div_zero 0
	.end_amdhsa_kernel
	.section	.text._ZN7rocprim17ROCPRIM_400000_NS6detail17trampoline_kernelINS0_14default_configENS1_29reduce_by_key_config_selectorIjyN6thrust23THRUST_200600_302600_NS4plusIyEEEEZZNS1_33reduce_by_key_impl_wrapped_configILNS1_25lookback_scan_determinismE0ES3_S9_NS6_6detail15normal_iteratorINS6_10device_ptrIjEEEENSD_INSE_IyEEEENS6_16discard_iteratorINS6_11use_defaultEEESI_PmS8_NS6_8equal_toIjEEEE10hipError_tPvRmT2_T3_mT4_T5_T6_T7_T8_P12ihipStream_tbENKUlT_T0_E_clISt17integral_constantIbLb0EES16_EEDaS11_S12_EUlS11_E_NS1_11comp_targetILNS1_3genE10ELNS1_11target_archE1200ELNS1_3gpuE4ELNS1_3repE0EEENS1_30default_config_static_selectorELNS0_4arch9wavefront6targetE1EEEvT1_,"axG",@progbits,_ZN7rocprim17ROCPRIM_400000_NS6detail17trampoline_kernelINS0_14default_configENS1_29reduce_by_key_config_selectorIjyN6thrust23THRUST_200600_302600_NS4plusIyEEEEZZNS1_33reduce_by_key_impl_wrapped_configILNS1_25lookback_scan_determinismE0ES3_S9_NS6_6detail15normal_iteratorINS6_10device_ptrIjEEEENSD_INSE_IyEEEENS6_16discard_iteratorINS6_11use_defaultEEESI_PmS8_NS6_8equal_toIjEEEE10hipError_tPvRmT2_T3_mT4_T5_T6_T7_T8_P12ihipStream_tbENKUlT_T0_E_clISt17integral_constantIbLb0EES16_EEDaS11_S12_EUlS11_E_NS1_11comp_targetILNS1_3genE10ELNS1_11target_archE1200ELNS1_3gpuE4ELNS1_3repE0EEENS1_30default_config_static_selectorELNS0_4arch9wavefront6targetE1EEEvT1_,comdat
.Lfunc_end883:
	.size	_ZN7rocprim17ROCPRIM_400000_NS6detail17trampoline_kernelINS0_14default_configENS1_29reduce_by_key_config_selectorIjyN6thrust23THRUST_200600_302600_NS4plusIyEEEEZZNS1_33reduce_by_key_impl_wrapped_configILNS1_25lookback_scan_determinismE0ES3_S9_NS6_6detail15normal_iteratorINS6_10device_ptrIjEEEENSD_INSE_IyEEEENS6_16discard_iteratorINS6_11use_defaultEEESI_PmS8_NS6_8equal_toIjEEEE10hipError_tPvRmT2_T3_mT4_T5_T6_T7_T8_P12ihipStream_tbENKUlT_T0_E_clISt17integral_constantIbLb0EES16_EEDaS11_S12_EUlS11_E_NS1_11comp_targetILNS1_3genE10ELNS1_11target_archE1200ELNS1_3gpuE4ELNS1_3repE0EEENS1_30default_config_static_selectorELNS0_4arch9wavefront6targetE1EEEvT1_, .Lfunc_end883-_ZN7rocprim17ROCPRIM_400000_NS6detail17trampoline_kernelINS0_14default_configENS1_29reduce_by_key_config_selectorIjyN6thrust23THRUST_200600_302600_NS4plusIyEEEEZZNS1_33reduce_by_key_impl_wrapped_configILNS1_25lookback_scan_determinismE0ES3_S9_NS6_6detail15normal_iteratorINS6_10device_ptrIjEEEENSD_INSE_IyEEEENS6_16discard_iteratorINS6_11use_defaultEEESI_PmS8_NS6_8equal_toIjEEEE10hipError_tPvRmT2_T3_mT4_T5_T6_T7_T8_P12ihipStream_tbENKUlT_T0_E_clISt17integral_constantIbLb0EES16_EEDaS11_S12_EUlS11_E_NS1_11comp_targetILNS1_3genE10ELNS1_11target_archE1200ELNS1_3gpuE4ELNS1_3repE0EEENS1_30default_config_static_selectorELNS0_4arch9wavefront6targetE1EEEvT1_
                                        ; -- End function
	.section	.AMDGPU.csdata,"",@progbits
; Kernel info:
; codeLenInByte = 0
; NumSgprs: 4
; NumVgprs: 0
; NumAgprs: 0
; TotalNumVgprs: 0
; ScratchSize: 0
; MemoryBound: 0
; FloatMode: 240
; IeeeMode: 1
; LDSByteSize: 0 bytes/workgroup (compile time only)
; SGPRBlocks: 0
; VGPRBlocks: 0
; NumSGPRsForWavesPerEU: 4
; NumVGPRsForWavesPerEU: 1
; AccumOffset: 4
; Occupancy: 8
; WaveLimiterHint : 0
; COMPUTE_PGM_RSRC2:SCRATCH_EN: 0
; COMPUTE_PGM_RSRC2:USER_SGPR: 6
; COMPUTE_PGM_RSRC2:TRAP_HANDLER: 0
; COMPUTE_PGM_RSRC2:TGID_X_EN: 1
; COMPUTE_PGM_RSRC2:TGID_Y_EN: 0
; COMPUTE_PGM_RSRC2:TGID_Z_EN: 0
; COMPUTE_PGM_RSRC2:TIDIG_COMP_CNT: 0
; COMPUTE_PGM_RSRC3_GFX90A:ACCUM_OFFSET: 0
; COMPUTE_PGM_RSRC3_GFX90A:TG_SPLIT: 0
	.section	.text._ZN7rocprim17ROCPRIM_400000_NS6detail17trampoline_kernelINS0_14default_configENS1_29reduce_by_key_config_selectorIjyN6thrust23THRUST_200600_302600_NS4plusIyEEEEZZNS1_33reduce_by_key_impl_wrapped_configILNS1_25lookback_scan_determinismE0ES3_S9_NS6_6detail15normal_iteratorINS6_10device_ptrIjEEEENSD_INSE_IyEEEENS6_16discard_iteratorINS6_11use_defaultEEESI_PmS8_NS6_8equal_toIjEEEE10hipError_tPvRmT2_T3_mT4_T5_T6_T7_T8_P12ihipStream_tbENKUlT_T0_E_clISt17integral_constantIbLb0EES16_EEDaS11_S12_EUlS11_E_NS1_11comp_targetILNS1_3genE9ELNS1_11target_archE1100ELNS1_3gpuE3ELNS1_3repE0EEENS1_30default_config_static_selectorELNS0_4arch9wavefront6targetE1EEEvT1_,"axG",@progbits,_ZN7rocprim17ROCPRIM_400000_NS6detail17trampoline_kernelINS0_14default_configENS1_29reduce_by_key_config_selectorIjyN6thrust23THRUST_200600_302600_NS4plusIyEEEEZZNS1_33reduce_by_key_impl_wrapped_configILNS1_25lookback_scan_determinismE0ES3_S9_NS6_6detail15normal_iteratorINS6_10device_ptrIjEEEENSD_INSE_IyEEEENS6_16discard_iteratorINS6_11use_defaultEEESI_PmS8_NS6_8equal_toIjEEEE10hipError_tPvRmT2_T3_mT4_T5_T6_T7_T8_P12ihipStream_tbENKUlT_T0_E_clISt17integral_constantIbLb0EES16_EEDaS11_S12_EUlS11_E_NS1_11comp_targetILNS1_3genE9ELNS1_11target_archE1100ELNS1_3gpuE3ELNS1_3repE0EEENS1_30default_config_static_selectorELNS0_4arch9wavefront6targetE1EEEvT1_,comdat
	.protected	_ZN7rocprim17ROCPRIM_400000_NS6detail17trampoline_kernelINS0_14default_configENS1_29reduce_by_key_config_selectorIjyN6thrust23THRUST_200600_302600_NS4plusIyEEEEZZNS1_33reduce_by_key_impl_wrapped_configILNS1_25lookback_scan_determinismE0ES3_S9_NS6_6detail15normal_iteratorINS6_10device_ptrIjEEEENSD_INSE_IyEEEENS6_16discard_iteratorINS6_11use_defaultEEESI_PmS8_NS6_8equal_toIjEEEE10hipError_tPvRmT2_T3_mT4_T5_T6_T7_T8_P12ihipStream_tbENKUlT_T0_E_clISt17integral_constantIbLb0EES16_EEDaS11_S12_EUlS11_E_NS1_11comp_targetILNS1_3genE9ELNS1_11target_archE1100ELNS1_3gpuE3ELNS1_3repE0EEENS1_30default_config_static_selectorELNS0_4arch9wavefront6targetE1EEEvT1_ ; -- Begin function _ZN7rocprim17ROCPRIM_400000_NS6detail17trampoline_kernelINS0_14default_configENS1_29reduce_by_key_config_selectorIjyN6thrust23THRUST_200600_302600_NS4plusIyEEEEZZNS1_33reduce_by_key_impl_wrapped_configILNS1_25lookback_scan_determinismE0ES3_S9_NS6_6detail15normal_iteratorINS6_10device_ptrIjEEEENSD_INSE_IyEEEENS6_16discard_iteratorINS6_11use_defaultEEESI_PmS8_NS6_8equal_toIjEEEE10hipError_tPvRmT2_T3_mT4_T5_T6_T7_T8_P12ihipStream_tbENKUlT_T0_E_clISt17integral_constantIbLb0EES16_EEDaS11_S12_EUlS11_E_NS1_11comp_targetILNS1_3genE9ELNS1_11target_archE1100ELNS1_3gpuE3ELNS1_3repE0EEENS1_30default_config_static_selectorELNS0_4arch9wavefront6targetE1EEEvT1_
	.globl	_ZN7rocprim17ROCPRIM_400000_NS6detail17trampoline_kernelINS0_14default_configENS1_29reduce_by_key_config_selectorIjyN6thrust23THRUST_200600_302600_NS4plusIyEEEEZZNS1_33reduce_by_key_impl_wrapped_configILNS1_25lookback_scan_determinismE0ES3_S9_NS6_6detail15normal_iteratorINS6_10device_ptrIjEEEENSD_INSE_IyEEEENS6_16discard_iteratorINS6_11use_defaultEEESI_PmS8_NS6_8equal_toIjEEEE10hipError_tPvRmT2_T3_mT4_T5_T6_T7_T8_P12ihipStream_tbENKUlT_T0_E_clISt17integral_constantIbLb0EES16_EEDaS11_S12_EUlS11_E_NS1_11comp_targetILNS1_3genE9ELNS1_11target_archE1100ELNS1_3gpuE3ELNS1_3repE0EEENS1_30default_config_static_selectorELNS0_4arch9wavefront6targetE1EEEvT1_
	.p2align	8
	.type	_ZN7rocprim17ROCPRIM_400000_NS6detail17trampoline_kernelINS0_14default_configENS1_29reduce_by_key_config_selectorIjyN6thrust23THRUST_200600_302600_NS4plusIyEEEEZZNS1_33reduce_by_key_impl_wrapped_configILNS1_25lookback_scan_determinismE0ES3_S9_NS6_6detail15normal_iteratorINS6_10device_ptrIjEEEENSD_INSE_IyEEEENS6_16discard_iteratorINS6_11use_defaultEEESI_PmS8_NS6_8equal_toIjEEEE10hipError_tPvRmT2_T3_mT4_T5_T6_T7_T8_P12ihipStream_tbENKUlT_T0_E_clISt17integral_constantIbLb0EES16_EEDaS11_S12_EUlS11_E_NS1_11comp_targetILNS1_3genE9ELNS1_11target_archE1100ELNS1_3gpuE3ELNS1_3repE0EEENS1_30default_config_static_selectorELNS0_4arch9wavefront6targetE1EEEvT1_,@function
_ZN7rocprim17ROCPRIM_400000_NS6detail17trampoline_kernelINS0_14default_configENS1_29reduce_by_key_config_selectorIjyN6thrust23THRUST_200600_302600_NS4plusIyEEEEZZNS1_33reduce_by_key_impl_wrapped_configILNS1_25lookback_scan_determinismE0ES3_S9_NS6_6detail15normal_iteratorINS6_10device_ptrIjEEEENSD_INSE_IyEEEENS6_16discard_iteratorINS6_11use_defaultEEESI_PmS8_NS6_8equal_toIjEEEE10hipError_tPvRmT2_T3_mT4_T5_T6_T7_T8_P12ihipStream_tbENKUlT_T0_E_clISt17integral_constantIbLb0EES16_EEDaS11_S12_EUlS11_E_NS1_11comp_targetILNS1_3genE9ELNS1_11target_archE1100ELNS1_3gpuE3ELNS1_3repE0EEENS1_30default_config_static_selectorELNS0_4arch9wavefront6targetE1EEEvT1_: ; @_ZN7rocprim17ROCPRIM_400000_NS6detail17trampoline_kernelINS0_14default_configENS1_29reduce_by_key_config_selectorIjyN6thrust23THRUST_200600_302600_NS4plusIyEEEEZZNS1_33reduce_by_key_impl_wrapped_configILNS1_25lookback_scan_determinismE0ES3_S9_NS6_6detail15normal_iteratorINS6_10device_ptrIjEEEENSD_INSE_IyEEEENS6_16discard_iteratorINS6_11use_defaultEEESI_PmS8_NS6_8equal_toIjEEEE10hipError_tPvRmT2_T3_mT4_T5_T6_T7_T8_P12ihipStream_tbENKUlT_T0_E_clISt17integral_constantIbLb0EES16_EEDaS11_S12_EUlS11_E_NS1_11comp_targetILNS1_3genE9ELNS1_11target_archE1100ELNS1_3gpuE3ELNS1_3repE0EEENS1_30default_config_static_selectorELNS0_4arch9wavefront6targetE1EEEvT1_
; %bb.0:
	.section	.rodata,"a",@progbits
	.p2align	6, 0x0
	.amdhsa_kernel _ZN7rocprim17ROCPRIM_400000_NS6detail17trampoline_kernelINS0_14default_configENS1_29reduce_by_key_config_selectorIjyN6thrust23THRUST_200600_302600_NS4plusIyEEEEZZNS1_33reduce_by_key_impl_wrapped_configILNS1_25lookback_scan_determinismE0ES3_S9_NS6_6detail15normal_iteratorINS6_10device_ptrIjEEEENSD_INSE_IyEEEENS6_16discard_iteratorINS6_11use_defaultEEESI_PmS8_NS6_8equal_toIjEEEE10hipError_tPvRmT2_T3_mT4_T5_T6_T7_T8_P12ihipStream_tbENKUlT_T0_E_clISt17integral_constantIbLb0EES16_EEDaS11_S12_EUlS11_E_NS1_11comp_targetILNS1_3genE9ELNS1_11target_archE1100ELNS1_3gpuE3ELNS1_3repE0EEENS1_30default_config_static_selectorELNS0_4arch9wavefront6targetE1EEEvT1_
		.amdhsa_group_segment_fixed_size 0
		.amdhsa_private_segment_fixed_size 0
		.amdhsa_kernarg_size 144
		.amdhsa_user_sgpr_count 6
		.amdhsa_user_sgpr_private_segment_buffer 1
		.amdhsa_user_sgpr_dispatch_ptr 0
		.amdhsa_user_sgpr_queue_ptr 0
		.amdhsa_user_sgpr_kernarg_segment_ptr 1
		.amdhsa_user_sgpr_dispatch_id 0
		.amdhsa_user_sgpr_flat_scratch_init 0
		.amdhsa_user_sgpr_kernarg_preload_length 0
		.amdhsa_user_sgpr_kernarg_preload_offset 0
		.amdhsa_user_sgpr_private_segment_size 0
		.amdhsa_uses_dynamic_stack 0
		.amdhsa_system_sgpr_private_segment_wavefront_offset 0
		.amdhsa_system_sgpr_workgroup_id_x 1
		.amdhsa_system_sgpr_workgroup_id_y 0
		.amdhsa_system_sgpr_workgroup_id_z 0
		.amdhsa_system_sgpr_workgroup_info 0
		.amdhsa_system_vgpr_workitem_id 0
		.amdhsa_next_free_vgpr 1
		.amdhsa_next_free_sgpr 0
		.amdhsa_accum_offset 4
		.amdhsa_reserve_vcc 0
		.amdhsa_reserve_flat_scratch 0
		.amdhsa_float_round_mode_32 0
		.amdhsa_float_round_mode_16_64 0
		.amdhsa_float_denorm_mode_32 3
		.amdhsa_float_denorm_mode_16_64 3
		.amdhsa_dx10_clamp 1
		.amdhsa_ieee_mode 1
		.amdhsa_fp16_overflow 0
		.amdhsa_tg_split 0
		.amdhsa_exception_fp_ieee_invalid_op 0
		.amdhsa_exception_fp_denorm_src 0
		.amdhsa_exception_fp_ieee_div_zero 0
		.amdhsa_exception_fp_ieee_overflow 0
		.amdhsa_exception_fp_ieee_underflow 0
		.amdhsa_exception_fp_ieee_inexact 0
		.amdhsa_exception_int_div_zero 0
	.end_amdhsa_kernel
	.section	.text._ZN7rocprim17ROCPRIM_400000_NS6detail17trampoline_kernelINS0_14default_configENS1_29reduce_by_key_config_selectorIjyN6thrust23THRUST_200600_302600_NS4plusIyEEEEZZNS1_33reduce_by_key_impl_wrapped_configILNS1_25lookback_scan_determinismE0ES3_S9_NS6_6detail15normal_iteratorINS6_10device_ptrIjEEEENSD_INSE_IyEEEENS6_16discard_iteratorINS6_11use_defaultEEESI_PmS8_NS6_8equal_toIjEEEE10hipError_tPvRmT2_T3_mT4_T5_T6_T7_T8_P12ihipStream_tbENKUlT_T0_E_clISt17integral_constantIbLb0EES16_EEDaS11_S12_EUlS11_E_NS1_11comp_targetILNS1_3genE9ELNS1_11target_archE1100ELNS1_3gpuE3ELNS1_3repE0EEENS1_30default_config_static_selectorELNS0_4arch9wavefront6targetE1EEEvT1_,"axG",@progbits,_ZN7rocprim17ROCPRIM_400000_NS6detail17trampoline_kernelINS0_14default_configENS1_29reduce_by_key_config_selectorIjyN6thrust23THRUST_200600_302600_NS4plusIyEEEEZZNS1_33reduce_by_key_impl_wrapped_configILNS1_25lookback_scan_determinismE0ES3_S9_NS6_6detail15normal_iteratorINS6_10device_ptrIjEEEENSD_INSE_IyEEEENS6_16discard_iteratorINS6_11use_defaultEEESI_PmS8_NS6_8equal_toIjEEEE10hipError_tPvRmT2_T3_mT4_T5_T6_T7_T8_P12ihipStream_tbENKUlT_T0_E_clISt17integral_constantIbLb0EES16_EEDaS11_S12_EUlS11_E_NS1_11comp_targetILNS1_3genE9ELNS1_11target_archE1100ELNS1_3gpuE3ELNS1_3repE0EEENS1_30default_config_static_selectorELNS0_4arch9wavefront6targetE1EEEvT1_,comdat
.Lfunc_end884:
	.size	_ZN7rocprim17ROCPRIM_400000_NS6detail17trampoline_kernelINS0_14default_configENS1_29reduce_by_key_config_selectorIjyN6thrust23THRUST_200600_302600_NS4plusIyEEEEZZNS1_33reduce_by_key_impl_wrapped_configILNS1_25lookback_scan_determinismE0ES3_S9_NS6_6detail15normal_iteratorINS6_10device_ptrIjEEEENSD_INSE_IyEEEENS6_16discard_iteratorINS6_11use_defaultEEESI_PmS8_NS6_8equal_toIjEEEE10hipError_tPvRmT2_T3_mT4_T5_T6_T7_T8_P12ihipStream_tbENKUlT_T0_E_clISt17integral_constantIbLb0EES16_EEDaS11_S12_EUlS11_E_NS1_11comp_targetILNS1_3genE9ELNS1_11target_archE1100ELNS1_3gpuE3ELNS1_3repE0EEENS1_30default_config_static_selectorELNS0_4arch9wavefront6targetE1EEEvT1_, .Lfunc_end884-_ZN7rocprim17ROCPRIM_400000_NS6detail17trampoline_kernelINS0_14default_configENS1_29reduce_by_key_config_selectorIjyN6thrust23THRUST_200600_302600_NS4plusIyEEEEZZNS1_33reduce_by_key_impl_wrapped_configILNS1_25lookback_scan_determinismE0ES3_S9_NS6_6detail15normal_iteratorINS6_10device_ptrIjEEEENSD_INSE_IyEEEENS6_16discard_iteratorINS6_11use_defaultEEESI_PmS8_NS6_8equal_toIjEEEE10hipError_tPvRmT2_T3_mT4_T5_T6_T7_T8_P12ihipStream_tbENKUlT_T0_E_clISt17integral_constantIbLb0EES16_EEDaS11_S12_EUlS11_E_NS1_11comp_targetILNS1_3genE9ELNS1_11target_archE1100ELNS1_3gpuE3ELNS1_3repE0EEENS1_30default_config_static_selectorELNS0_4arch9wavefront6targetE1EEEvT1_
                                        ; -- End function
	.section	.AMDGPU.csdata,"",@progbits
; Kernel info:
; codeLenInByte = 0
; NumSgprs: 4
; NumVgprs: 0
; NumAgprs: 0
; TotalNumVgprs: 0
; ScratchSize: 0
; MemoryBound: 0
; FloatMode: 240
; IeeeMode: 1
; LDSByteSize: 0 bytes/workgroup (compile time only)
; SGPRBlocks: 0
; VGPRBlocks: 0
; NumSGPRsForWavesPerEU: 4
; NumVGPRsForWavesPerEU: 1
; AccumOffset: 4
; Occupancy: 8
; WaveLimiterHint : 0
; COMPUTE_PGM_RSRC2:SCRATCH_EN: 0
; COMPUTE_PGM_RSRC2:USER_SGPR: 6
; COMPUTE_PGM_RSRC2:TRAP_HANDLER: 0
; COMPUTE_PGM_RSRC2:TGID_X_EN: 1
; COMPUTE_PGM_RSRC2:TGID_Y_EN: 0
; COMPUTE_PGM_RSRC2:TGID_Z_EN: 0
; COMPUTE_PGM_RSRC2:TIDIG_COMP_CNT: 0
; COMPUTE_PGM_RSRC3_GFX90A:ACCUM_OFFSET: 0
; COMPUTE_PGM_RSRC3_GFX90A:TG_SPLIT: 0
	.section	.text._ZN7rocprim17ROCPRIM_400000_NS6detail17trampoline_kernelINS0_14default_configENS1_29reduce_by_key_config_selectorIjyN6thrust23THRUST_200600_302600_NS4plusIyEEEEZZNS1_33reduce_by_key_impl_wrapped_configILNS1_25lookback_scan_determinismE0ES3_S9_NS6_6detail15normal_iteratorINS6_10device_ptrIjEEEENSD_INSE_IyEEEENS6_16discard_iteratorINS6_11use_defaultEEESI_PmS8_NS6_8equal_toIjEEEE10hipError_tPvRmT2_T3_mT4_T5_T6_T7_T8_P12ihipStream_tbENKUlT_T0_E_clISt17integral_constantIbLb0EES16_EEDaS11_S12_EUlS11_E_NS1_11comp_targetILNS1_3genE8ELNS1_11target_archE1030ELNS1_3gpuE2ELNS1_3repE0EEENS1_30default_config_static_selectorELNS0_4arch9wavefront6targetE1EEEvT1_,"axG",@progbits,_ZN7rocprim17ROCPRIM_400000_NS6detail17trampoline_kernelINS0_14default_configENS1_29reduce_by_key_config_selectorIjyN6thrust23THRUST_200600_302600_NS4plusIyEEEEZZNS1_33reduce_by_key_impl_wrapped_configILNS1_25lookback_scan_determinismE0ES3_S9_NS6_6detail15normal_iteratorINS6_10device_ptrIjEEEENSD_INSE_IyEEEENS6_16discard_iteratorINS6_11use_defaultEEESI_PmS8_NS6_8equal_toIjEEEE10hipError_tPvRmT2_T3_mT4_T5_T6_T7_T8_P12ihipStream_tbENKUlT_T0_E_clISt17integral_constantIbLb0EES16_EEDaS11_S12_EUlS11_E_NS1_11comp_targetILNS1_3genE8ELNS1_11target_archE1030ELNS1_3gpuE2ELNS1_3repE0EEENS1_30default_config_static_selectorELNS0_4arch9wavefront6targetE1EEEvT1_,comdat
	.protected	_ZN7rocprim17ROCPRIM_400000_NS6detail17trampoline_kernelINS0_14default_configENS1_29reduce_by_key_config_selectorIjyN6thrust23THRUST_200600_302600_NS4plusIyEEEEZZNS1_33reduce_by_key_impl_wrapped_configILNS1_25lookback_scan_determinismE0ES3_S9_NS6_6detail15normal_iteratorINS6_10device_ptrIjEEEENSD_INSE_IyEEEENS6_16discard_iteratorINS6_11use_defaultEEESI_PmS8_NS6_8equal_toIjEEEE10hipError_tPvRmT2_T3_mT4_T5_T6_T7_T8_P12ihipStream_tbENKUlT_T0_E_clISt17integral_constantIbLb0EES16_EEDaS11_S12_EUlS11_E_NS1_11comp_targetILNS1_3genE8ELNS1_11target_archE1030ELNS1_3gpuE2ELNS1_3repE0EEENS1_30default_config_static_selectorELNS0_4arch9wavefront6targetE1EEEvT1_ ; -- Begin function _ZN7rocprim17ROCPRIM_400000_NS6detail17trampoline_kernelINS0_14default_configENS1_29reduce_by_key_config_selectorIjyN6thrust23THRUST_200600_302600_NS4plusIyEEEEZZNS1_33reduce_by_key_impl_wrapped_configILNS1_25lookback_scan_determinismE0ES3_S9_NS6_6detail15normal_iteratorINS6_10device_ptrIjEEEENSD_INSE_IyEEEENS6_16discard_iteratorINS6_11use_defaultEEESI_PmS8_NS6_8equal_toIjEEEE10hipError_tPvRmT2_T3_mT4_T5_T6_T7_T8_P12ihipStream_tbENKUlT_T0_E_clISt17integral_constantIbLb0EES16_EEDaS11_S12_EUlS11_E_NS1_11comp_targetILNS1_3genE8ELNS1_11target_archE1030ELNS1_3gpuE2ELNS1_3repE0EEENS1_30default_config_static_selectorELNS0_4arch9wavefront6targetE1EEEvT1_
	.globl	_ZN7rocprim17ROCPRIM_400000_NS6detail17trampoline_kernelINS0_14default_configENS1_29reduce_by_key_config_selectorIjyN6thrust23THRUST_200600_302600_NS4plusIyEEEEZZNS1_33reduce_by_key_impl_wrapped_configILNS1_25lookback_scan_determinismE0ES3_S9_NS6_6detail15normal_iteratorINS6_10device_ptrIjEEEENSD_INSE_IyEEEENS6_16discard_iteratorINS6_11use_defaultEEESI_PmS8_NS6_8equal_toIjEEEE10hipError_tPvRmT2_T3_mT4_T5_T6_T7_T8_P12ihipStream_tbENKUlT_T0_E_clISt17integral_constantIbLb0EES16_EEDaS11_S12_EUlS11_E_NS1_11comp_targetILNS1_3genE8ELNS1_11target_archE1030ELNS1_3gpuE2ELNS1_3repE0EEENS1_30default_config_static_selectorELNS0_4arch9wavefront6targetE1EEEvT1_
	.p2align	8
	.type	_ZN7rocprim17ROCPRIM_400000_NS6detail17trampoline_kernelINS0_14default_configENS1_29reduce_by_key_config_selectorIjyN6thrust23THRUST_200600_302600_NS4plusIyEEEEZZNS1_33reduce_by_key_impl_wrapped_configILNS1_25lookback_scan_determinismE0ES3_S9_NS6_6detail15normal_iteratorINS6_10device_ptrIjEEEENSD_INSE_IyEEEENS6_16discard_iteratorINS6_11use_defaultEEESI_PmS8_NS6_8equal_toIjEEEE10hipError_tPvRmT2_T3_mT4_T5_T6_T7_T8_P12ihipStream_tbENKUlT_T0_E_clISt17integral_constantIbLb0EES16_EEDaS11_S12_EUlS11_E_NS1_11comp_targetILNS1_3genE8ELNS1_11target_archE1030ELNS1_3gpuE2ELNS1_3repE0EEENS1_30default_config_static_selectorELNS0_4arch9wavefront6targetE1EEEvT1_,@function
_ZN7rocprim17ROCPRIM_400000_NS6detail17trampoline_kernelINS0_14default_configENS1_29reduce_by_key_config_selectorIjyN6thrust23THRUST_200600_302600_NS4plusIyEEEEZZNS1_33reduce_by_key_impl_wrapped_configILNS1_25lookback_scan_determinismE0ES3_S9_NS6_6detail15normal_iteratorINS6_10device_ptrIjEEEENSD_INSE_IyEEEENS6_16discard_iteratorINS6_11use_defaultEEESI_PmS8_NS6_8equal_toIjEEEE10hipError_tPvRmT2_T3_mT4_T5_T6_T7_T8_P12ihipStream_tbENKUlT_T0_E_clISt17integral_constantIbLb0EES16_EEDaS11_S12_EUlS11_E_NS1_11comp_targetILNS1_3genE8ELNS1_11target_archE1030ELNS1_3gpuE2ELNS1_3repE0EEENS1_30default_config_static_selectorELNS0_4arch9wavefront6targetE1EEEvT1_: ; @_ZN7rocprim17ROCPRIM_400000_NS6detail17trampoline_kernelINS0_14default_configENS1_29reduce_by_key_config_selectorIjyN6thrust23THRUST_200600_302600_NS4plusIyEEEEZZNS1_33reduce_by_key_impl_wrapped_configILNS1_25lookback_scan_determinismE0ES3_S9_NS6_6detail15normal_iteratorINS6_10device_ptrIjEEEENSD_INSE_IyEEEENS6_16discard_iteratorINS6_11use_defaultEEESI_PmS8_NS6_8equal_toIjEEEE10hipError_tPvRmT2_T3_mT4_T5_T6_T7_T8_P12ihipStream_tbENKUlT_T0_E_clISt17integral_constantIbLb0EES16_EEDaS11_S12_EUlS11_E_NS1_11comp_targetILNS1_3genE8ELNS1_11target_archE1030ELNS1_3gpuE2ELNS1_3repE0EEENS1_30default_config_static_selectorELNS0_4arch9wavefront6targetE1EEEvT1_
; %bb.0:
	.section	.rodata,"a",@progbits
	.p2align	6, 0x0
	.amdhsa_kernel _ZN7rocprim17ROCPRIM_400000_NS6detail17trampoline_kernelINS0_14default_configENS1_29reduce_by_key_config_selectorIjyN6thrust23THRUST_200600_302600_NS4plusIyEEEEZZNS1_33reduce_by_key_impl_wrapped_configILNS1_25lookback_scan_determinismE0ES3_S9_NS6_6detail15normal_iteratorINS6_10device_ptrIjEEEENSD_INSE_IyEEEENS6_16discard_iteratorINS6_11use_defaultEEESI_PmS8_NS6_8equal_toIjEEEE10hipError_tPvRmT2_T3_mT4_T5_T6_T7_T8_P12ihipStream_tbENKUlT_T0_E_clISt17integral_constantIbLb0EES16_EEDaS11_S12_EUlS11_E_NS1_11comp_targetILNS1_3genE8ELNS1_11target_archE1030ELNS1_3gpuE2ELNS1_3repE0EEENS1_30default_config_static_selectorELNS0_4arch9wavefront6targetE1EEEvT1_
		.amdhsa_group_segment_fixed_size 0
		.amdhsa_private_segment_fixed_size 0
		.amdhsa_kernarg_size 144
		.amdhsa_user_sgpr_count 6
		.amdhsa_user_sgpr_private_segment_buffer 1
		.amdhsa_user_sgpr_dispatch_ptr 0
		.amdhsa_user_sgpr_queue_ptr 0
		.amdhsa_user_sgpr_kernarg_segment_ptr 1
		.amdhsa_user_sgpr_dispatch_id 0
		.amdhsa_user_sgpr_flat_scratch_init 0
		.amdhsa_user_sgpr_kernarg_preload_length 0
		.amdhsa_user_sgpr_kernarg_preload_offset 0
		.amdhsa_user_sgpr_private_segment_size 0
		.amdhsa_uses_dynamic_stack 0
		.amdhsa_system_sgpr_private_segment_wavefront_offset 0
		.amdhsa_system_sgpr_workgroup_id_x 1
		.amdhsa_system_sgpr_workgroup_id_y 0
		.amdhsa_system_sgpr_workgroup_id_z 0
		.amdhsa_system_sgpr_workgroup_info 0
		.amdhsa_system_vgpr_workitem_id 0
		.amdhsa_next_free_vgpr 1
		.amdhsa_next_free_sgpr 0
		.amdhsa_accum_offset 4
		.amdhsa_reserve_vcc 0
		.amdhsa_reserve_flat_scratch 0
		.amdhsa_float_round_mode_32 0
		.amdhsa_float_round_mode_16_64 0
		.amdhsa_float_denorm_mode_32 3
		.amdhsa_float_denorm_mode_16_64 3
		.amdhsa_dx10_clamp 1
		.amdhsa_ieee_mode 1
		.amdhsa_fp16_overflow 0
		.amdhsa_tg_split 0
		.amdhsa_exception_fp_ieee_invalid_op 0
		.amdhsa_exception_fp_denorm_src 0
		.amdhsa_exception_fp_ieee_div_zero 0
		.amdhsa_exception_fp_ieee_overflow 0
		.amdhsa_exception_fp_ieee_underflow 0
		.amdhsa_exception_fp_ieee_inexact 0
		.amdhsa_exception_int_div_zero 0
	.end_amdhsa_kernel
	.section	.text._ZN7rocprim17ROCPRIM_400000_NS6detail17trampoline_kernelINS0_14default_configENS1_29reduce_by_key_config_selectorIjyN6thrust23THRUST_200600_302600_NS4plusIyEEEEZZNS1_33reduce_by_key_impl_wrapped_configILNS1_25lookback_scan_determinismE0ES3_S9_NS6_6detail15normal_iteratorINS6_10device_ptrIjEEEENSD_INSE_IyEEEENS6_16discard_iteratorINS6_11use_defaultEEESI_PmS8_NS6_8equal_toIjEEEE10hipError_tPvRmT2_T3_mT4_T5_T6_T7_T8_P12ihipStream_tbENKUlT_T0_E_clISt17integral_constantIbLb0EES16_EEDaS11_S12_EUlS11_E_NS1_11comp_targetILNS1_3genE8ELNS1_11target_archE1030ELNS1_3gpuE2ELNS1_3repE0EEENS1_30default_config_static_selectorELNS0_4arch9wavefront6targetE1EEEvT1_,"axG",@progbits,_ZN7rocprim17ROCPRIM_400000_NS6detail17trampoline_kernelINS0_14default_configENS1_29reduce_by_key_config_selectorIjyN6thrust23THRUST_200600_302600_NS4plusIyEEEEZZNS1_33reduce_by_key_impl_wrapped_configILNS1_25lookback_scan_determinismE0ES3_S9_NS6_6detail15normal_iteratorINS6_10device_ptrIjEEEENSD_INSE_IyEEEENS6_16discard_iteratorINS6_11use_defaultEEESI_PmS8_NS6_8equal_toIjEEEE10hipError_tPvRmT2_T3_mT4_T5_T6_T7_T8_P12ihipStream_tbENKUlT_T0_E_clISt17integral_constantIbLb0EES16_EEDaS11_S12_EUlS11_E_NS1_11comp_targetILNS1_3genE8ELNS1_11target_archE1030ELNS1_3gpuE2ELNS1_3repE0EEENS1_30default_config_static_selectorELNS0_4arch9wavefront6targetE1EEEvT1_,comdat
.Lfunc_end885:
	.size	_ZN7rocprim17ROCPRIM_400000_NS6detail17trampoline_kernelINS0_14default_configENS1_29reduce_by_key_config_selectorIjyN6thrust23THRUST_200600_302600_NS4plusIyEEEEZZNS1_33reduce_by_key_impl_wrapped_configILNS1_25lookback_scan_determinismE0ES3_S9_NS6_6detail15normal_iteratorINS6_10device_ptrIjEEEENSD_INSE_IyEEEENS6_16discard_iteratorINS6_11use_defaultEEESI_PmS8_NS6_8equal_toIjEEEE10hipError_tPvRmT2_T3_mT4_T5_T6_T7_T8_P12ihipStream_tbENKUlT_T0_E_clISt17integral_constantIbLb0EES16_EEDaS11_S12_EUlS11_E_NS1_11comp_targetILNS1_3genE8ELNS1_11target_archE1030ELNS1_3gpuE2ELNS1_3repE0EEENS1_30default_config_static_selectorELNS0_4arch9wavefront6targetE1EEEvT1_, .Lfunc_end885-_ZN7rocprim17ROCPRIM_400000_NS6detail17trampoline_kernelINS0_14default_configENS1_29reduce_by_key_config_selectorIjyN6thrust23THRUST_200600_302600_NS4plusIyEEEEZZNS1_33reduce_by_key_impl_wrapped_configILNS1_25lookback_scan_determinismE0ES3_S9_NS6_6detail15normal_iteratorINS6_10device_ptrIjEEEENSD_INSE_IyEEEENS6_16discard_iteratorINS6_11use_defaultEEESI_PmS8_NS6_8equal_toIjEEEE10hipError_tPvRmT2_T3_mT4_T5_T6_T7_T8_P12ihipStream_tbENKUlT_T0_E_clISt17integral_constantIbLb0EES16_EEDaS11_S12_EUlS11_E_NS1_11comp_targetILNS1_3genE8ELNS1_11target_archE1030ELNS1_3gpuE2ELNS1_3repE0EEENS1_30default_config_static_selectorELNS0_4arch9wavefront6targetE1EEEvT1_
                                        ; -- End function
	.section	.AMDGPU.csdata,"",@progbits
; Kernel info:
; codeLenInByte = 0
; NumSgprs: 4
; NumVgprs: 0
; NumAgprs: 0
; TotalNumVgprs: 0
; ScratchSize: 0
; MemoryBound: 0
; FloatMode: 240
; IeeeMode: 1
; LDSByteSize: 0 bytes/workgroup (compile time only)
; SGPRBlocks: 0
; VGPRBlocks: 0
; NumSGPRsForWavesPerEU: 4
; NumVGPRsForWavesPerEU: 1
; AccumOffset: 4
; Occupancy: 8
; WaveLimiterHint : 0
; COMPUTE_PGM_RSRC2:SCRATCH_EN: 0
; COMPUTE_PGM_RSRC2:USER_SGPR: 6
; COMPUTE_PGM_RSRC2:TRAP_HANDLER: 0
; COMPUTE_PGM_RSRC2:TGID_X_EN: 1
; COMPUTE_PGM_RSRC2:TGID_Y_EN: 0
; COMPUTE_PGM_RSRC2:TGID_Z_EN: 0
; COMPUTE_PGM_RSRC2:TIDIG_COMP_CNT: 0
; COMPUTE_PGM_RSRC3_GFX90A:ACCUM_OFFSET: 0
; COMPUTE_PGM_RSRC3_GFX90A:TG_SPLIT: 0
	.section	.text._ZN7rocprim17ROCPRIM_400000_NS6detail17trampoline_kernelINS0_14default_configENS1_29reduce_by_key_config_selectorIjyN6thrust23THRUST_200600_302600_NS4plusIyEEEEZZNS1_33reduce_by_key_impl_wrapped_configILNS1_25lookback_scan_determinismE0ES3_S9_NS6_6detail15normal_iteratorINS6_10device_ptrIjEEEENSD_INSE_IyEEEENS6_16discard_iteratorINS6_11use_defaultEEESI_PmS8_NS6_8equal_toIjEEEE10hipError_tPvRmT2_T3_mT4_T5_T6_T7_T8_P12ihipStream_tbENKUlT_T0_E_clISt17integral_constantIbLb1EES16_EEDaS11_S12_EUlS11_E_NS1_11comp_targetILNS1_3genE0ELNS1_11target_archE4294967295ELNS1_3gpuE0ELNS1_3repE0EEENS1_30default_config_static_selectorELNS0_4arch9wavefront6targetE1EEEvT1_,"axG",@progbits,_ZN7rocprim17ROCPRIM_400000_NS6detail17trampoline_kernelINS0_14default_configENS1_29reduce_by_key_config_selectorIjyN6thrust23THRUST_200600_302600_NS4plusIyEEEEZZNS1_33reduce_by_key_impl_wrapped_configILNS1_25lookback_scan_determinismE0ES3_S9_NS6_6detail15normal_iteratorINS6_10device_ptrIjEEEENSD_INSE_IyEEEENS6_16discard_iteratorINS6_11use_defaultEEESI_PmS8_NS6_8equal_toIjEEEE10hipError_tPvRmT2_T3_mT4_T5_T6_T7_T8_P12ihipStream_tbENKUlT_T0_E_clISt17integral_constantIbLb1EES16_EEDaS11_S12_EUlS11_E_NS1_11comp_targetILNS1_3genE0ELNS1_11target_archE4294967295ELNS1_3gpuE0ELNS1_3repE0EEENS1_30default_config_static_selectorELNS0_4arch9wavefront6targetE1EEEvT1_,comdat
	.protected	_ZN7rocprim17ROCPRIM_400000_NS6detail17trampoline_kernelINS0_14default_configENS1_29reduce_by_key_config_selectorIjyN6thrust23THRUST_200600_302600_NS4plusIyEEEEZZNS1_33reduce_by_key_impl_wrapped_configILNS1_25lookback_scan_determinismE0ES3_S9_NS6_6detail15normal_iteratorINS6_10device_ptrIjEEEENSD_INSE_IyEEEENS6_16discard_iteratorINS6_11use_defaultEEESI_PmS8_NS6_8equal_toIjEEEE10hipError_tPvRmT2_T3_mT4_T5_T6_T7_T8_P12ihipStream_tbENKUlT_T0_E_clISt17integral_constantIbLb1EES16_EEDaS11_S12_EUlS11_E_NS1_11comp_targetILNS1_3genE0ELNS1_11target_archE4294967295ELNS1_3gpuE0ELNS1_3repE0EEENS1_30default_config_static_selectorELNS0_4arch9wavefront6targetE1EEEvT1_ ; -- Begin function _ZN7rocprim17ROCPRIM_400000_NS6detail17trampoline_kernelINS0_14default_configENS1_29reduce_by_key_config_selectorIjyN6thrust23THRUST_200600_302600_NS4plusIyEEEEZZNS1_33reduce_by_key_impl_wrapped_configILNS1_25lookback_scan_determinismE0ES3_S9_NS6_6detail15normal_iteratorINS6_10device_ptrIjEEEENSD_INSE_IyEEEENS6_16discard_iteratorINS6_11use_defaultEEESI_PmS8_NS6_8equal_toIjEEEE10hipError_tPvRmT2_T3_mT4_T5_T6_T7_T8_P12ihipStream_tbENKUlT_T0_E_clISt17integral_constantIbLb1EES16_EEDaS11_S12_EUlS11_E_NS1_11comp_targetILNS1_3genE0ELNS1_11target_archE4294967295ELNS1_3gpuE0ELNS1_3repE0EEENS1_30default_config_static_selectorELNS0_4arch9wavefront6targetE1EEEvT1_
	.globl	_ZN7rocprim17ROCPRIM_400000_NS6detail17trampoline_kernelINS0_14default_configENS1_29reduce_by_key_config_selectorIjyN6thrust23THRUST_200600_302600_NS4plusIyEEEEZZNS1_33reduce_by_key_impl_wrapped_configILNS1_25lookback_scan_determinismE0ES3_S9_NS6_6detail15normal_iteratorINS6_10device_ptrIjEEEENSD_INSE_IyEEEENS6_16discard_iteratorINS6_11use_defaultEEESI_PmS8_NS6_8equal_toIjEEEE10hipError_tPvRmT2_T3_mT4_T5_T6_T7_T8_P12ihipStream_tbENKUlT_T0_E_clISt17integral_constantIbLb1EES16_EEDaS11_S12_EUlS11_E_NS1_11comp_targetILNS1_3genE0ELNS1_11target_archE4294967295ELNS1_3gpuE0ELNS1_3repE0EEENS1_30default_config_static_selectorELNS0_4arch9wavefront6targetE1EEEvT1_
	.p2align	8
	.type	_ZN7rocprim17ROCPRIM_400000_NS6detail17trampoline_kernelINS0_14default_configENS1_29reduce_by_key_config_selectorIjyN6thrust23THRUST_200600_302600_NS4plusIyEEEEZZNS1_33reduce_by_key_impl_wrapped_configILNS1_25lookback_scan_determinismE0ES3_S9_NS6_6detail15normal_iteratorINS6_10device_ptrIjEEEENSD_INSE_IyEEEENS6_16discard_iteratorINS6_11use_defaultEEESI_PmS8_NS6_8equal_toIjEEEE10hipError_tPvRmT2_T3_mT4_T5_T6_T7_T8_P12ihipStream_tbENKUlT_T0_E_clISt17integral_constantIbLb1EES16_EEDaS11_S12_EUlS11_E_NS1_11comp_targetILNS1_3genE0ELNS1_11target_archE4294967295ELNS1_3gpuE0ELNS1_3repE0EEENS1_30default_config_static_selectorELNS0_4arch9wavefront6targetE1EEEvT1_,@function
_ZN7rocprim17ROCPRIM_400000_NS6detail17trampoline_kernelINS0_14default_configENS1_29reduce_by_key_config_selectorIjyN6thrust23THRUST_200600_302600_NS4plusIyEEEEZZNS1_33reduce_by_key_impl_wrapped_configILNS1_25lookback_scan_determinismE0ES3_S9_NS6_6detail15normal_iteratorINS6_10device_ptrIjEEEENSD_INSE_IyEEEENS6_16discard_iteratorINS6_11use_defaultEEESI_PmS8_NS6_8equal_toIjEEEE10hipError_tPvRmT2_T3_mT4_T5_T6_T7_T8_P12ihipStream_tbENKUlT_T0_E_clISt17integral_constantIbLb1EES16_EEDaS11_S12_EUlS11_E_NS1_11comp_targetILNS1_3genE0ELNS1_11target_archE4294967295ELNS1_3gpuE0ELNS1_3repE0EEENS1_30default_config_static_selectorELNS0_4arch9wavefront6targetE1EEEvT1_: ; @_ZN7rocprim17ROCPRIM_400000_NS6detail17trampoline_kernelINS0_14default_configENS1_29reduce_by_key_config_selectorIjyN6thrust23THRUST_200600_302600_NS4plusIyEEEEZZNS1_33reduce_by_key_impl_wrapped_configILNS1_25lookback_scan_determinismE0ES3_S9_NS6_6detail15normal_iteratorINS6_10device_ptrIjEEEENSD_INSE_IyEEEENS6_16discard_iteratorINS6_11use_defaultEEESI_PmS8_NS6_8equal_toIjEEEE10hipError_tPvRmT2_T3_mT4_T5_T6_T7_T8_P12ihipStream_tbENKUlT_T0_E_clISt17integral_constantIbLb1EES16_EEDaS11_S12_EUlS11_E_NS1_11comp_targetILNS1_3genE0ELNS1_11target_archE4294967295ELNS1_3gpuE0ELNS1_3repE0EEENS1_30default_config_static_selectorELNS0_4arch9wavefront6targetE1EEEvT1_
; %bb.0:
	.section	.rodata,"a",@progbits
	.p2align	6, 0x0
	.amdhsa_kernel _ZN7rocprim17ROCPRIM_400000_NS6detail17trampoline_kernelINS0_14default_configENS1_29reduce_by_key_config_selectorIjyN6thrust23THRUST_200600_302600_NS4plusIyEEEEZZNS1_33reduce_by_key_impl_wrapped_configILNS1_25lookback_scan_determinismE0ES3_S9_NS6_6detail15normal_iteratorINS6_10device_ptrIjEEEENSD_INSE_IyEEEENS6_16discard_iteratorINS6_11use_defaultEEESI_PmS8_NS6_8equal_toIjEEEE10hipError_tPvRmT2_T3_mT4_T5_T6_T7_T8_P12ihipStream_tbENKUlT_T0_E_clISt17integral_constantIbLb1EES16_EEDaS11_S12_EUlS11_E_NS1_11comp_targetILNS1_3genE0ELNS1_11target_archE4294967295ELNS1_3gpuE0ELNS1_3repE0EEENS1_30default_config_static_selectorELNS0_4arch9wavefront6targetE1EEEvT1_
		.amdhsa_group_segment_fixed_size 0
		.amdhsa_private_segment_fixed_size 0
		.amdhsa_kernarg_size 144
		.amdhsa_user_sgpr_count 6
		.amdhsa_user_sgpr_private_segment_buffer 1
		.amdhsa_user_sgpr_dispatch_ptr 0
		.amdhsa_user_sgpr_queue_ptr 0
		.amdhsa_user_sgpr_kernarg_segment_ptr 1
		.amdhsa_user_sgpr_dispatch_id 0
		.amdhsa_user_sgpr_flat_scratch_init 0
		.amdhsa_user_sgpr_kernarg_preload_length 0
		.amdhsa_user_sgpr_kernarg_preload_offset 0
		.amdhsa_user_sgpr_private_segment_size 0
		.amdhsa_uses_dynamic_stack 0
		.amdhsa_system_sgpr_private_segment_wavefront_offset 0
		.amdhsa_system_sgpr_workgroup_id_x 1
		.amdhsa_system_sgpr_workgroup_id_y 0
		.amdhsa_system_sgpr_workgroup_id_z 0
		.amdhsa_system_sgpr_workgroup_info 0
		.amdhsa_system_vgpr_workitem_id 0
		.amdhsa_next_free_vgpr 1
		.amdhsa_next_free_sgpr 0
		.amdhsa_accum_offset 4
		.amdhsa_reserve_vcc 0
		.amdhsa_reserve_flat_scratch 0
		.amdhsa_float_round_mode_32 0
		.amdhsa_float_round_mode_16_64 0
		.amdhsa_float_denorm_mode_32 3
		.amdhsa_float_denorm_mode_16_64 3
		.amdhsa_dx10_clamp 1
		.amdhsa_ieee_mode 1
		.amdhsa_fp16_overflow 0
		.amdhsa_tg_split 0
		.amdhsa_exception_fp_ieee_invalid_op 0
		.amdhsa_exception_fp_denorm_src 0
		.amdhsa_exception_fp_ieee_div_zero 0
		.amdhsa_exception_fp_ieee_overflow 0
		.amdhsa_exception_fp_ieee_underflow 0
		.amdhsa_exception_fp_ieee_inexact 0
		.amdhsa_exception_int_div_zero 0
	.end_amdhsa_kernel
	.section	.text._ZN7rocprim17ROCPRIM_400000_NS6detail17trampoline_kernelINS0_14default_configENS1_29reduce_by_key_config_selectorIjyN6thrust23THRUST_200600_302600_NS4plusIyEEEEZZNS1_33reduce_by_key_impl_wrapped_configILNS1_25lookback_scan_determinismE0ES3_S9_NS6_6detail15normal_iteratorINS6_10device_ptrIjEEEENSD_INSE_IyEEEENS6_16discard_iteratorINS6_11use_defaultEEESI_PmS8_NS6_8equal_toIjEEEE10hipError_tPvRmT2_T3_mT4_T5_T6_T7_T8_P12ihipStream_tbENKUlT_T0_E_clISt17integral_constantIbLb1EES16_EEDaS11_S12_EUlS11_E_NS1_11comp_targetILNS1_3genE0ELNS1_11target_archE4294967295ELNS1_3gpuE0ELNS1_3repE0EEENS1_30default_config_static_selectorELNS0_4arch9wavefront6targetE1EEEvT1_,"axG",@progbits,_ZN7rocprim17ROCPRIM_400000_NS6detail17trampoline_kernelINS0_14default_configENS1_29reduce_by_key_config_selectorIjyN6thrust23THRUST_200600_302600_NS4plusIyEEEEZZNS1_33reduce_by_key_impl_wrapped_configILNS1_25lookback_scan_determinismE0ES3_S9_NS6_6detail15normal_iteratorINS6_10device_ptrIjEEEENSD_INSE_IyEEEENS6_16discard_iteratorINS6_11use_defaultEEESI_PmS8_NS6_8equal_toIjEEEE10hipError_tPvRmT2_T3_mT4_T5_T6_T7_T8_P12ihipStream_tbENKUlT_T0_E_clISt17integral_constantIbLb1EES16_EEDaS11_S12_EUlS11_E_NS1_11comp_targetILNS1_3genE0ELNS1_11target_archE4294967295ELNS1_3gpuE0ELNS1_3repE0EEENS1_30default_config_static_selectorELNS0_4arch9wavefront6targetE1EEEvT1_,comdat
.Lfunc_end886:
	.size	_ZN7rocprim17ROCPRIM_400000_NS6detail17trampoline_kernelINS0_14default_configENS1_29reduce_by_key_config_selectorIjyN6thrust23THRUST_200600_302600_NS4plusIyEEEEZZNS1_33reduce_by_key_impl_wrapped_configILNS1_25lookback_scan_determinismE0ES3_S9_NS6_6detail15normal_iteratorINS6_10device_ptrIjEEEENSD_INSE_IyEEEENS6_16discard_iteratorINS6_11use_defaultEEESI_PmS8_NS6_8equal_toIjEEEE10hipError_tPvRmT2_T3_mT4_T5_T6_T7_T8_P12ihipStream_tbENKUlT_T0_E_clISt17integral_constantIbLb1EES16_EEDaS11_S12_EUlS11_E_NS1_11comp_targetILNS1_3genE0ELNS1_11target_archE4294967295ELNS1_3gpuE0ELNS1_3repE0EEENS1_30default_config_static_selectorELNS0_4arch9wavefront6targetE1EEEvT1_, .Lfunc_end886-_ZN7rocprim17ROCPRIM_400000_NS6detail17trampoline_kernelINS0_14default_configENS1_29reduce_by_key_config_selectorIjyN6thrust23THRUST_200600_302600_NS4plusIyEEEEZZNS1_33reduce_by_key_impl_wrapped_configILNS1_25lookback_scan_determinismE0ES3_S9_NS6_6detail15normal_iteratorINS6_10device_ptrIjEEEENSD_INSE_IyEEEENS6_16discard_iteratorINS6_11use_defaultEEESI_PmS8_NS6_8equal_toIjEEEE10hipError_tPvRmT2_T3_mT4_T5_T6_T7_T8_P12ihipStream_tbENKUlT_T0_E_clISt17integral_constantIbLb1EES16_EEDaS11_S12_EUlS11_E_NS1_11comp_targetILNS1_3genE0ELNS1_11target_archE4294967295ELNS1_3gpuE0ELNS1_3repE0EEENS1_30default_config_static_selectorELNS0_4arch9wavefront6targetE1EEEvT1_
                                        ; -- End function
	.section	.AMDGPU.csdata,"",@progbits
; Kernel info:
; codeLenInByte = 0
; NumSgprs: 4
; NumVgprs: 0
; NumAgprs: 0
; TotalNumVgprs: 0
; ScratchSize: 0
; MemoryBound: 0
; FloatMode: 240
; IeeeMode: 1
; LDSByteSize: 0 bytes/workgroup (compile time only)
; SGPRBlocks: 0
; VGPRBlocks: 0
; NumSGPRsForWavesPerEU: 4
; NumVGPRsForWavesPerEU: 1
; AccumOffset: 4
; Occupancy: 8
; WaveLimiterHint : 0
; COMPUTE_PGM_RSRC2:SCRATCH_EN: 0
; COMPUTE_PGM_RSRC2:USER_SGPR: 6
; COMPUTE_PGM_RSRC2:TRAP_HANDLER: 0
; COMPUTE_PGM_RSRC2:TGID_X_EN: 1
; COMPUTE_PGM_RSRC2:TGID_Y_EN: 0
; COMPUTE_PGM_RSRC2:TGID_Z_EN: 0
; COMPUTE_PGM_RSRC2:TIDIG_COMP_CNT: 0
; COMPUTE_PGM_RSRC3_GFX90A:ACCUM_OFFSET: 0
; COMPUTE_PGM_RSRC3_GFX90A:TG_SPLIT: 0
	.section	.text._ZN7rocprim17ROCPRIM_400000_NS6detail17trampoline_kernelINS0_14default_configENS1_29reduce_by_key_config_selectorIjyN6thrust23THRUST_200600_302600_NS4plusIyEEEEZZNS1_33reduce_by_key_impl_wrapped_configILNS1_25lookback_scan_determinismE0ES3_S9_NS6_6detail15normal_iteratorINS6_10device_ptrIjEEEENSD_INSE_IyEEEENS6_16discard_iteratorINS6_11use_defaultEEESI_PmS8_NS6_8equal_toIjEEEE10hipError_tPvRmT2_T3_mT4_T5_T6_T7_T8_P12ihipStream_tbENKUlT_T0_E_clISt17integral_constantIbLb1EES16_EEDaS11_S12_EUlS11_E_NS1_11comp_targetILNS1_3genE5ELNS1_11target_archE942ELNS1_3gpuE9ELNS1_3repE0EEENS1_30default_config_static_selectorELNS0_4arch9wavefront6targetE1EEEvT1_,"axG",@progbits,_ZN7rocprim17ROCPRIM_400000_NS6detail17trampoline_kernelINS0_14default_configENS1_29reduce_by_key_config_selectorIjyN6thrust23THRUST_200600_302600_NS4plusIyEEEEZZNS1_33reduce_by_key_impl_wrapped_configILNS1_25lookback_scan_determinismE0ES3_S9_NS6_6detail15normal_iteratorINS6_10device_ptrIjEEEENSD_INSE_IyEEEENS6_16discard_iteratorINS6_11use_defaultEEESI_PmS8_NS6_8equal_toIjEEEE10hipError_tPvRmT2_T3_mT4_T5_T6_T7_T8_P12ihipStream_tbENKUlT_T0_E_clISt17integral_constantIbLb1EES16_EEDaS11_S12_EUlS11_E_NS1_11comp_targetILNS1_3genE5ELNS1_11target_archE942ELNS1_3gpuE9ELNS1_3repE0EEENS1_30default_config_static_selectorELNS0_4arch9wavefront6targetE1EEEvT1_,comdat
	.protected	_ZN7rocprim17ROCPRIM_400000_NS6detail17trampoline_kernelINS0_14default_configENS1_29reduce_by_key_config_selectorIjyN6thrust23THRUST_200600_302600_NS4plusIyEEEEZZNS1_33reduce_by_key_impl_wrapped_configILNS1_25lookback_scan_determinismE0ES3_S9_NS6_6detail15normal_iteratorINS6_10device_ptrIjEEEENSD_INSE_IyEEEENS6_16discard_iteratorINS6_11use_defaultEEESI_PmS8_NS6_8equal_toIjEEEE10hipError_tPvRmT2_T3_mT4_T5_T6_T7_T8_P12ihipStream_tbENKUlT_T0_E_clISt17integral_constantIbLb1EES16_EEDaS11_S12_EUlS11_E_NS1_11comp_targetILNS1_3genE5ELNS1_11target_archE942ELNS1_3gpuE9ELNS1_3repE0EEENS1_30default_config_static_selectorELNS0_4arch9wavefront6targetE1EEEvT1_ ; -- Begin function _ZN7rocprim17ROCPRIM_400000_NS6detail17trampoline_kernelINS0_14default_configENS1_29reduce_by_key_config_selectorIjyN6thrust23THRUST_200600_302600_NS4plusIyEEEEZZNS1_33reduce_by_key_impl_wrapped_configILNS1_25lookback_scan_determinismE0ES3_S9_NS6_6detail15normal_iteratorINS6_10device_ptrIjEEEENSD_INSE_IyEEEENS6_16discard_iteratorINS6_11use_defaultEEESI_PmS8_NS6_8equal_toIjEEEE10hipError_tPvRmT2_T3_mT4_T5_T6_T7_T8_P12ihipStream_tbENKUlT_T0_E_clISt17integral_constantIbLb1EES16_EEDaS11_S12_EUlS11_E_NS1_11comp_targetILNS1_3genE5ELNS1_11target_archE942ELNS1_3gpuE9ELNS1_3repE0EEENS1_30default_config_static_selectorELNS0_4arch9wavefront6targetE1EEEvT1_
	.globl	_ZN7rocprim17ROCPRIM_400000_NS6detail17trampoline_kernelINS0_14default_configENS1_29reduce_by_key_config_selectorIjyN6thrust23THRUST_200600_302600_NS4plusIyEEEEZZNS1_33reduce_by_key_impl_wrapped_configILNS1_25lookback_scan_determinismE0ES3_S9_NS6_6detail15normal_iteratorINS6_10device_ptrIjEEEENSD_INSE_IyEEEENS6_16discard_iteratorINS6_11use_defaultEEESI_PmS8_NS6_8equal_toIjEEEE10hipError_tPvRmT2_T3_mT4_T5_T6_T7_T8_P12ihipStream_tbENKUlT_T0_E_clISt17integral_constantIbLb1EES16_EEDaS11_S12_EUlS11_E_NS1_11comp_targetILNS1_3genE5ELNS1_11target_archE942ELNS1_3gpuE9ELNS1_3repE0EEENS1_30default_config_static_selectorELNS0_4arch9wavefront6targetE1EEEvT1_
	.p2align	8
	.type	_ZN7rocprim17ROCPRIM_400000_NS6detail17trampoline_kernelINS0_14default_configENS1_29reduce_by_key_config_selectorIjyN6thrust23THRUST_200600_302600_NS4plusIyEEEEZZNS1_33reduce_by_key_impl_wrapped_configILNS1_25lookback_scan_determinismE0ES3_S9_NS6_6detail15normal_iteratorINS6_10device_ptrIjEEEENSD_INSE_IyEEEENS6_16discard_iteratorINS6_11use_defaultEEESI_PmS8_NS6_8equal_toIjEEEE10hipError_tPvRmT2_T3_mT4_T5_T6_T7_T8_P12ihipStream_tbENKUlT_T0_E_clISt17integral_constantIbLb1EES16_EEDaS11_S12_EUlS11_E_NS1_11comp_targetILNS1_3genE5ELNS1_11target_archE942ELNS1_3gpuE9ELNS1_3repE0EEENS1_30default_config_static_selectorELNS0_4arch9wavefront6targetE1EEEvT1_,@function
_ZN7rocprim17ROCPRIM_400000_NS6detail17trampoline_kernelINS0_14default_configENS1_29reduce_by_key_config_selectorIjyN6thrust23THRUST_200600_302600_NS4plusIyEEEEZZNS1_33reduce_by_key_impl_wrapped_configILNS1_25lookback_scan_determinismE0ES3_S9_NS6_6detail15normal_iteratorINS6_10device_ptrIjEEEENSD_INSE_IyEEEENS6_16discard_iteratorINS6_11use_defaultEEESI_PmS8_NS6_8equal_toIjEEEE10hipError_tPvRmT2_T3_mT4_T5_T6_T7_T8_P12ihipStream_tbENKUlT_T0_E_clISt17integral_constantIbLb1EES16_EEDaS11_S12_EUlS11_E_NS1_11comp_targetILNS1_3genE5ELNS1_11target_archE942ELNS1_3gpuE9ELNS1_3repE0EEENS1_30default_config_static_selectorELNS0_4arch9wavefront6targetE1EEEvT1_: ; @_ZN7rocprim17ROCPRIM_400000_NS6detail17trampoline_kernelINS0_14default_configENS1_29reduce_by_key_config_selectorIjyN6thrust23THRUST_200600_302600_NS4plusIyEEEEZZNS1_33reduce_by_key_impl_wrapped_configILNS1_25lookback_scan_determinismE0ES3_S9_NS6_6detail15normal_iteratorINS6_10device_ptrIjEEEENSD_INSE_IyEEEENS6_16discard_iteratorINS6_11use_defaultEEESI_PmS8_NS6_8equal_toIjEEEE10hipError_tPvRmT2_T3_mT4_T5_T6_T7_T8_P12ihipStream_tbENKUlT_T0_E_clISt17integral_constantIbLb1EES16_EEDaS11_S12_EUlS11_E_NS1_11comp_targetILNS1_3genE5ELNS1_11target_archE942ELNS1_3gpuE9ELNS1_3repE0EEENS1_30default_config_static_selectorELNS0_4arch9wavefront6targetE1EEEvT1_
; %bb.0:
	.section	.rodata,"a",@progbits
	.p2align	6, 0x0
	.amdhsa_kernel _ZN7rocprim17ROCPRIM_400000_NS6detail17trampoline_kernelINS0_14default_configENS1_29reduce_by_key_config_selectorIjyN6thrust23THRUST_200600_302600_NS4plusIyEEEEZZNS1_33reduce_by_key_impl_wrapped_configILNS1_25lookback_scan_determinismE0ES3_S9_NS6_6detail15normal_iteratorINS6_10device_ptrIjEEEENSD_INSE_IyEEEENS6_16discard_iteratorINS6_11use_defaultEEESI_PmS8_NS6_8equal_toIjEEEE10hipError_tPvRmT2_T3_mT4_T5_T6_T7_T8_P12ihipStream_tbENKUlT_T0_E_clISt17integral_constantIbLb1EES16_EEDaS11_S12_EUlS11_E_NS1_11comp_targetILNS1_3genE5ELNS1_11target_archE942ELNS1_3gpuE9ELNS1_3repE0EEENS1_30default_config_static_selectorELNS0_4arch9wavefront6targetE1EEEvT1_
		.amdhsa_group_segment_fixed_size 0
		.amdhsa_private_segment_fixed_size 0
		.amdhsa_kernarg_size 144
		.amdhsa_user_sgpr_count 6
		.amdhsa_user_sgpr_private_segment_buffer 1
		.amdhsa_user_sgpr_dispatch_ptr 0
		.amdhsa_user_sgpr_queue_ptr 0
		.amdhsa_user_sgpr_kernarg_segment_ptr 1
		.amdhsa_user_sgpr_dispatch_id 0
		.amdhsa_user_sgpr_flat_scratch_init 0
		.amdhsa_user_sgpr_kernarg_preload_length 0
		.amdhsa_user_sgpr_kernarg_preload_offset 0
		.amdhsa_user_sgpr_private_segment_size 0
		.amdhsa_uses_dynamic_stack 0
		.amdhsa_system_sgpr_private_segment_wavefront_offset 0
		.amdhsa_system_sgpr_workgroup_id_x 1
		.amdhsa_system_sgpr_workgroup_id_y 0
		.amdhsa_system_sgpr_workgroup_id_z 0
		.amdhsa_system_sgpr_workgroup_info 0
		.amdhsa_system_vgpr_workitem_id 0
		.amdhsa_next_free_vgpr 1
		.amdhsa_next_free_sgpr 0
		.amdhsa_accum_offset 4
		.amdhsa_reserve_vcc 0
		.amdhsa_reserve_flat_scratch 0
		.amdhsa_float_round_mode_32 0
		.amdhsa_float_round_mode_16_64 0
		.amdhsa_float_denorm_mode_32 3
		.amdhsa_float_denorm_mode_16_64 3
		.amdhsa_dx10_clamp 1
		.amdhsa_ieee_mode 1
		.amdhsa_fp16_overflow 0
		.amdhsa_tg_split 0
		.amdhsa_exception_fp_ieee_invalid_op 0
		.amdhsa_exception_fp_denorm_src 0
		.amdhsa_exception_fp_ieee_div_zero 0
		.amdhsa_exception_fp_ieee_overflow 0
		.amdhsa_exception_fp_ieee_underflow 0
		.amdhsa_exception_fp_ieee_inexact 0
		.amdhsa_exception_int_div_zero 0
	.end_amdhsa_kernel
	.section	.text._ZN7rocprim17ROCPRIM_400000_NS6detail17trampoline_kernelINS0_14default_configENS1_29reduce_by_key_config_selectorIjyN6thrust23THRUST_200600_302600_NS4plusIyEEEEZZNS1_33reduce_by_key_impl_wrapped_configILNS1_25lookback_scan_determinismE0ES3_S9_NS6_6detail15normal_iteratorINS6_10device_ptrIjEEEENSD_INSE_IyEEEENS6_16discard_iteratorINS6_11use_defaultEEESI_PmS8_NS6_8equal_toIjEEEE10hipError_tPvRmT2_T3_mT4_T5_T6_T7_T8_P12ihipStream_tbENKUlT_T0_E_clISt17integral_constantIbLb1EES16_EEDaS11_S12_EUlS11_E_NS1_11comp_targetILNS1_3genE5ELNS1_11target_archE942ELNS1_3gpuE9ELNS1_3repE0EEENS1_30default_config_static_selectorELNS0_4arch9wavefront6targetE1EEEvT1_,"axG",@progbits,_ZN7rocprim17ROCPRIM_400000_NS6detail17trampoline_kernelINS0_14default_configENS1_29reduce_by_key_config_selectorIjyN6thrust23THRUST_200600_302600_NS4plusIyEEEEZZNS1_33reduce_by_key_impl_wrapped_configILNS1_25lookback_scan_determinismE0ES3_S9_NS6_6detail15normal_iteratorINS6_10device_ptrIjEEEENSD_INSE_IyEEEENS6_16discard_iteratorINS6_11use_defaultEEESI_PmS8_NS6_8equal_toIjEEEE10hipError_tPvRmT2_T3_mT4_T5_T6_T7_T8_P12ihipStream_tbENKUlT_T0_E_clISt17integral_constantIbLb1EES16_EEDaS11_S12_EUlS11_E_NS1_11comp_targetILNS1_3genE5ELNS1_11target_archE942ELNS1_3gpuE9ELNS1_3repE0EEENS1_30default_config_static_selectorELNS0_4arch9wavefront6targetE1EEEvT1_,comdat
.Lfunc_end887:
	.size	_ZN7rocprim17ROCPRIM_400000_NS6detail17trampoline_kernelINS0_14default_configENS1_29reduce_by_key_config_selectorIjyN6thrust23THRUST_200600_302600_NS4plusIyEEEEZZNS1_33reduce_by_key_impl_wrapped_configILNS1_25lookback_scan_determinismE0ES3_S9_NS6_6detail15normal_iteratorINS6_10device_ptrIjEEEENSD_INSE_IyEEEENS6_16discard_iteratorINS6_11use_defaultEEESI_PmS8_NS6_8equal_toIjEEEE10hipError_tPvRmT2_T3_mT4_T5_T6_T7_T8_P12ihipStream_tbENKUlT_T0_E_clISt17integral_constantIbLb1EES16_EEDaS11_S12_EUlS11_E_NS1_11comp_targetILNS1_3genE5ELNS1_11target_archE942ELNS1_3gpuE9ELNS1_3repE0EEENS1_30default_config_static_selectorELNS0_4arch9wavefront6targetE1EEEvT1_, .Lfunc_end887-_ZN7rocprim17ROCPRIM_400000_NS6detail17trampoline_kernelINS0_14default_configENS1_29reduce_by_key_config_selectorIjyN6thrust23THRUST_200600_302600_NS4plusIyEEEEZZNS1_33reduce_by_key_impl_wrapped_configILNS1_25lookback_scan_determinismE0ES3_S9_NS6_6detail15normal_iteratorINS6_10device_ptrIjEEEENSD_INSE_IyEEEENS6_16discard_iteratorINS6_11use_defaultEEESI_PmS8_NS6_8equal_toIjEEEE10hipError_tPvRmT2_T3_mT4_T5_T6_T7_T8_P12ihipStream_tbENKUlT_T0_E_clISt17integral_constantIbLb1EES16_EEDaS11_S12_EUlS11_E_NS1_11comp_targetILNS1_3genE5ELNS1_11target_archE942ELNS1_3gpuE9ELNS1_3repE0EEENS1_30default_config_static_selectorELNS0_4arch9wavefront6targetE1EEEvT1_
                                        ; -- End function
	.section	.AMDGPU.csdata,"",@progbits
; Kernel info:
; codeLenInByte = 0
; NumSgprs: 4
; NumVgprs: 0
; NumAgprs: 0
; TotalNumVgprs: 0
; ScratchSize: 0
; MemoryBound: 0
; FloatMode: 240
; IeeeMode: 1
; LDSByteSize: 0 bytes/workgroup (compile time only)
; SGPRBlocks: 0
; VGPRBlocks: 0
; NumSGPRsForWavesPerEU: 4
; NumVGPRsForWavesPerEU: 1
; AccumOffset: 4
; Occupancy: 8
; WaveLimiterHint : 0
; COMPUTE_PGM_RSRC2:SCRATCH_EN: 0
; COMPUTE_PGM_RSRC2:USER_SGPR: 6
; COMPUTE_PGM_RSRC2:TRAP_HANDLER: 0
; COMPUTE_PGM_RSRC2:TGID_X_EN: 1
; COMPUTE_PGM_RSRC2:TGID_Y_EN: 0
; COMPUTE_PGM_RSRC2:TGID_Z_EN: 0
; COMPUTE_PGM_RSRC2:TIDIG_COMP_CNT: 0
; COMPUTE_PGM_RSRC3_GFX90A:ACCUM_OFFSET: 0
; COMPUTE_PGM_RSRC3_GFX90A:TG_SPLIT: 0
	.section	.text._ZN7rocprim17ROCPRIM_400000_NS6detail17trampoline_kernelINS0_14default_configENS1_29reduce_by_key_config_selectorIjyN6thrust23THRUST_200600_302600_NS4plusIyEEEEZZNS1_33reduce_by_key_impl_wrapped_configILNS1_25lookback_scan_determinismE0ES3_S9_NS6_6detail15normal_iteratorINS6_10device_ptrIjEEEENSD_INSE_IyEEEENS6_16discard_iteratorINS6_11use_defaultEEESI_PmS8_NS6_8equal_toIjEEEE10hipError_tPvRmT2_T3_mT4_T5_T6_T7_T8_P12ihipStream_tbENKUlT_T0_E_clISt17integral_constantIbLb1EES16_EEDaS11_S12_EUlS11_E_NS1_11comp_targetILNS1_3genE4ELNS1_11target_archE910ELNS1_3gpuE8ELNS1_3repE0EEENS1_30default_config_static_selectorELNS0_4arch9wavefront6targetE1EEEvT1_,"axG",@progbits,_ZN7rocprim17ROCPRIM_400000_NS6detail17trampoline_kernelINS0_14default_configENS1_29reduce_by_key_config_selectorIjyN6thrust23THRUST_200600_302600_NS4plusIyEEEEZZNS1_33reduce_by_key_impl_wrapped_configILNS1_25lookback_scan_determinismE0ES3_S9_NS6_6detail15normal_iteratorINS6_10device_ptrIjEEEENSD_INSE_IyEEEENS6_16discard_iteratorINS6_11use_defaultEEESI_PmS8_NS6_8equal_toIjEEEE10hipError_tPvRmT2_T3_mT4_T5_T6_T7_T8_P12ihipStream_tbENKUlT_T0_E_clISt17integral_constantIbLb1EES16_EEDaS11_S12_EUlS11_E_NS1_11comp_targetILNS1_3genE4ELNS1_11target_archE910ELNS1_3gpuE8ELNS1_3repE0EEENS1_30default_config_static_selectorELNS0_4arch9wavefront6targetE1EEEvT1_,comdat
	.protected	_ZN7rocprim17ROCPRIM_400000_NS6detail17trampoline_kernelINS0_14default_configENS1_29reduce_by_key_config_selectorIjyN6thrust23THRUST_200600_302600_NS4plusIyEEEEZZNS1_33reduce_by_key_impl_wrapped_configILNS1_25lookback_scan_determinismE0ES3_S9_NS6_6detail15normal_iteratorINS6_10device_ptrIjEEEENSD_INSE_IyEEEENS6_16discard_iteratorINS6_11use_defaultEEESI_PmS8_NS6_8equal_toIjEEEE10hipError_tPvRmT2_T3_mT4_T5_T6_T7_T8_P12ihipStream_tbENKUlT_T0_E_clISt17integral_constantIbLb1EES16_EEDaS11_S12_EUlS11_E_NS1_11comp_targetILNS1_3genE4ELNS1_11target_archE910ELNS1_3gpuE8ELNS1_3repE0EEENS1_30default_config_static_selectorELNS0_4arch9wavefront6targetE1EEEvT1_ ; -- Begin function _ZN7rocprim17ROCPRIM_400000_NS6detail17trampoline_kernelINS0_14default_configENS1_29reduce_by_key_config_selectorIjyN6thrust23THRUST_200600_302600_NS4plusIyEEEEZZNS1_33reduce_by_key_impl_wrapped_configILNS1_25lookback_scan_determinismE0ES3_S9_NS6_6detail15normal_iteratorINS6_10device_ptrIjEEEENSD_INSE_IyEEEENS6_16discard_iteratorINS6_11use_defaultEEESI_PmS8_NS6_8equal_toIjEEEE10hipError_tPvRmT2_T3_mT4_T5_T6_T7_T8_P12ihipStream_tbENKUlT_T0_E_clISt17integral_constantIbLb1EES16_EEDaS11_S12_EUlS11_E_NS1_11comp_targetILNS1_3genE4ELNS1_11target_archE910ELNS1_3gpuE8ELNS1_3repE0EEENS1_30default_config_static_selectorELNS0_4arch9wavefront6targetE1EEEvT1_
	.globl	_ZN7rocprim17ROCPRIM_400000_NS6detail17trampoline_kernelINS0_14default_configENS1_29reduce_by_key_config_selectorIjyN6thrust23THRUST_200600_302600_NS4plusIyEEEEZZNS1_33reduce_by_key_impl_wrapped_configILNS1_25lookback_scan_determinismE0ES3_S9_NS6_6detail15normal_iteratorINS6_10device_ptrIjEEEENSD_INSE_IyEEEENS6_16discard_iteratorINS6_11use_defaultEEESI_PmS8_NS6_8equal_toIjEEEE10hipError_tPvRmT2_T3_mT4_T5_T6_T7_T8_P12ihipStream_tbENKUlT_T0_E_clISt17integral_constantIbLb1EES16_EEDaS11_S12_EUlS11_E_NS1_11comp_targetILNS1_3genE4ELNS1_11target_archE910ELNS1_3gpuE8ELNS1_3repE0EEENS1_30default_config_static_selectorELNS0_4arch9wavefront6targetE1EEEvT1_
	.p2align	8
	.type	_ZN7rocprim17ROCPRIM_400000_NS6detail17trampoline_kernelINS0_14default_configENS1_29reduce_by_key_config_selectorIjyN6thrust23THRUST_200600_302600_NS4plusIyEEEEZZNS1_33reduce_by_key_impl_wrapped_configILNS1_25lookback_scan_determinismE0ES3_S9_NS6_6detail15normal_iteratorINS6_10device_ptrIjEEEENSD_INSE_IyEEEENS6_16discard_iteratorINS6_11use_defaultEEESI_PmS8_NS6_8equal_toIjEEEE10hipError_tPvRmT2_T3_mT4_T5_T6_T7_T8_P12ihipStream_tbENKUlT_T0_E_clISt17integral_constantIbLb1EES16_EEDaS11_S12_EUlS11_E_NS1_11comp_targetILNS1_3genE4ELNS1_11target_archE910ELNS1_3gpuE8ELNS1_3repE0EEENS1_30default_config_static_selectorELNS0_4arch9wavefront6targetE1EEEvT1_,@function
_ZN7rocprim17ROCPRIM_400000_NS6detail17trampoline_kernelINS0_14default_configENS1_29reduce_by_key_config_selectorIjyN6thrust23THRUST_200600_302600_NS4plusIyEEEEZZNS1_33reduce_by_key_impl_wrapped_configILNS1_25lookback_scan_determinismE0ES3_S9_NS6_6detail15normal_iteratorINS6_10device_ptrIjEEEENSD_INSE_IyEEEENS6_16discard_iteratorINS6_11use_defaultEEESI_PmS8_NS6_8equal_toIjEEEE10hipError_tPvRmT2_T3_mT4_T5_T6_T7_T8_P12ihipStream_tbENKUlT_T0_E_clISt17integral_constantIbLb1EES16_EEDaS11_S12_EUlS11_E_NS1_11comp_targetILNS1_3genE4ELNS1_11target_archE910ELNS1_3gpuE8ELNS1_3repE0EEENS1_30default_config_static_selectorELNS0_4arch9wavefront6targetE1EEEvT1_: ; @_ZN7rocprim17ROCPRIM_400000_NS6detail17trampoline_kernelINS0_14default_configENS1_29reduce_by_key_config_selectorIjyN6thrust23THRUST_200600_302600_NS4plusIyEEEEZZNS1_33reduce_by_key_impl_wrapped_configILNS1_25lookback_scan_determinismE0ES3_S9_NS6_6detail15normal_iteratorINS6_10device_ptrIjEEEENSD_INSE_IyEEEENS6_16discard_iteratorINS6_11use_defaultEEESI_PmS8_NS6_8equal_toIjEEEE10hipError_tPvRmT2_T3_mT4_T5_T6_T7_T8_P12ihipStream_tbENKUlT_T0_E_clISt17integral_constantIbLb1EES16_EEDaS11_S12_EUlS11_E_NS1_11comp_targetILNS1_3genE4ELNS1_11target_archE910ELNS1_3gpuE8ELNS1_3repE0EEENS1_30default_config_static_selectorELNS0_4arch9wavefront6targetE1EEEvT1_
; %bb.0:
	s_load_dwordx4 s[8:11], s[4:5], 0x0
	s_load_dwordx2 s[6:7], s[4:5], 0x10
	s_load_dwordx2 s[56:57], s[4:5], 0x80
	v_cmp_ne_u32_e64 s[2:3], 0, v0
	v_cmp_eq_u32_e64 s[0:1], 0, v0
	s_and_saveexec_b64 s[12:13], s[0:1]
	s_cbranch_execz .LBB888_4
; %bb.1:
	s_mov_b64 s[16:17], exec
	v_mbcnt_lo_u32_b32 v1, s16, 0
	v_mbcnt_hi_u32_b32 v1, s17, v1
	v_cmp_eq_u32_e32 vcc, 0, v1
                                        ; implicit-def: $vgpr2
	s_and_saveexec_b64 s[14:15], vcc
	s_cbranch_execz .LBB888_3
; %bb.2:
	s_load_dwordx2 s[18:19], s[4:5], 0x88
	s_bcnt1_i32_b64 s16, s[16:17]
	v_mov_b32_e32 v2, 0
	v_mov_b32_e32 v3, s16
	s_waitcnt lgkmcnt(0)
	global_atomic_add v2, v2, v3, s[18:19] glc
.LBB888_3:
	s_or_b64 exec, exec, s[14:15]
	s_waitcnt vmcnt(0)
	v_readfirstlane_b32 s14, v2
	v_add_u32_e32 v1, s14, v1
	v_mov_b32_e32 v2, 0
	ds_write_b32 v2, v1
.LBB888_4:
	s_or_b64 exec, exec, s[12:13]
	s_load_dwordx4 s[52:55], s[4:5], 0x28
	s_load_dwordx16 s[36:51], s[4:5], 0x40
	s_waitcnt lgkmcnt(0)
	s_lshl_b64 s[4:5], s[10:11], 2
	v_mov_b32_e32 v3, 0
	s_add_u32 s8, s8, s4
	s_barrier
	ds_read_b32 v1, v3
	s_addc_u32 s9, s9, s5
	s_lshl_b64 s[4:5], s[10:11], 3
	s_add_u32 s4, s6, s4
	s_addc_u32 s5, s7, s5
	s_mul_i32 s6, s44, s43
	s_mul_hi_u32 s7, s44, s42
	s_add_i32 s6, s7, s6
	s_mul_i32 s7, s45, s42
	s_add_i32 s6, s6, s7
	s_mul_i32 s7, s44, s42
	s_waitcnt lgkmcnt(0)
	v_readfirstlane_b32 s62, v1
	s_movk_i32 s10, 0xf00
	v_mul_lo_u32 v2, v1, s10
	s_add_u32 s58, s7, s62
	v_lshlrev_b64 v[4:5], 2, v[2:3]
	s_addc_u32 s59, s6, 0
	v_mov_b32_e32 v1, s9
	v_add_co_u32_e32 v54, vcc, s8, v4
	s_add_u32 s6, s46, -1
	v_addc_co_u32_e32 v55, vcc, v1, v5, vcc
	v_lshlrev_b64 v[2:3], 3, v[2:3]
	s_addc_u32 s7, s47, -1
	v_mov_b32_e32 v1, s5
	v_add_co_u32_e32 v56, vcc, s4, v2
	s_cmp_eq_u64 s[58:59], s[6:7]
	v_addc_co_u32_e32 v57, vcc, v1, v3, vcc
	s_cselect_b64 s[44:45], -1, 0
	s_cmp_lg_u64 s[58:59], s[6:7]
	s_mov_b64 s[4:5], -1
	s_cselect_b64 s[46:47], -1, 0
	s_mul_i32 s33, s6, 0xfffff100
	s_and_b64 vcc, exec, s[44:45]
	s_barrier
	s_cbranch_vccnz .LBB888_6
; %bb.5:
	v_lshlrev_b32_e32 v1, 2, v0
	v_add_co_u32_e32 v2, vcc, v54, v1
	v_addc_co_u32_e32 v3, vcc, 0, v55, vcc
	v_add_co_u32_e32 v4, vcc, 0x1000, v2
	v_addc_co_u32_e32 v5, vcc, 0, v3, vcc
	flat_load_dword v6, v[2:3]
	flat_load_dword v7, v[2:3] offset:1024
	flat_load_dword v8, v[2:3] offset:2048
	;; [unrolled: 1-line block ×3, first 2 shown]
	flat_load_dword v10, v[4:5]
	flat_load_dword v11, v[4:5] offset:1024
	flat_load_dword v12, v[4:5] offset:2048
	;; [unrolled: 1-line block ×3, first 2 shown]
	v_add_co_u32_e32 v4, vcc, 0x2000, v2
	v_addc_co_u32_e32 v5, vcc, 0, v3, vcc
	v_add_co_u32_e32 v2, vcc, 0x3000, v2
	v_addc_co_u32_e32 v3, vcc, 0, v3, vcc
	flat_load_dword v14, v[4:5]
	flat_load_dword v15, v[4:5] offset:1024
	flat_load_dword v24, v[4:5] offset:2048
	;; [unrolled: 1-line block ×3, first 2 shown]
	flat_load_dword v26, v[2:3]
	flat_load_dword v27, v[2:3] offset:1024
	flat_load_dword v28, v[2:3] offset:2048
	v_lshlrev_b32_e32 v2, 3, v0
	v_add_co_u32_e32 v16, vcc, v56, v2
	s_movk_i32 s4, 0x1000
	v_addc_co_u32_e32 v17, vcc, 0, v57, vcc
	v_add_co_u32_e32 v18, vcc, s4, v16
	s_movk_i32 s5, 0x2000
	v_addc_co_u32_e32 v19, vcc, 0, v17, vcc
	;; [unrolled: 3-line block ×3, first 2 shown]
	v_add_co_u32_e32 v22, vcc, s6, v16
	s_movk_i32 s7, 0x4000
	v_mad_u32_u24 v46, v0, 56, v1
	v_addc_co_u32_e32 v23, vcc, 0, v17, vcc
	s_movk_i32 s4, 0x5000
	v_mul_u32_u24_e32 v58, 15, v0
	v_mad_u32_u24 v72, v0, 15, 1
	v_mad_u32_u24 v70, v0, 15, 2
	;; [unrolled: 1-line block ×14, first 2 shown]
	s_waitcnt vmcnt(0) lgkmcnt(0)
	ds_write2st64_b32 v1, v6, v7 offset1:4
	ds_write2st64_b32 v1, v8, v9 offset0:8 offset1:12
	ds_write2st64_b32 v1, v10, v11 offset0:16 offset1:20
	;; [unrolled: 1-line block ×6, first 2 shown]
	ds_write_b32 v1, v28 offset:14336
	s_waitcnt lgkmcnt(0)
	s_barrier
	ds_read2_b32 v[14:15], v46 offset1:1
	ds_read2_b32 v[12:13], v46 offset0:2 offset1:3
	ds_read2_b32 v[10:11], v46 offset0:4 offset1:5
	;; [unrolled: 1-line block ×6, first 2 shown]
	ds_read_b32 v1, v46 offset:56
	s_waitcnt lgkmcnt(0)
	s_barrier
	flat_load_dwordx2 v[24:25], v[16:17]
	flat_load_dwordx2 v[26:27], v[16:17] offset:2048
	flat_load_dwordx2 v[28:29], v[18:19]
	flat_load_dwordx2 v[30:31], v[18:19] offset:2048
	;; [unrolled: 2-line block ×4, first 2 shown]
	v_add_co_u32_e32 v18, vcc, s7, v16
	v_addc_co_u32_e32 v19, vcc, 0, v17, vcc
	v_add_co_u32_e32 v20, vcc, s4, v16
	v_addc_co_u32_e32 v21, vcc, 0, v17, vcc
	s_movk_i32 s4, 0x6000
	flat_load_dwordx2 v[22:23], v[18:19]
	flat_load_dwordx2 v[40:41], v[18:19] offset:2048
	flat_load_dwordx2 v[42:43], v[20:21]
	flat_load_dwordx2 v[44:45], v[20:21] offset:2048
	v_add_co_u32_e32 v18, vcc, s4, v16
	v_addc_co_u32_e32 v19, vcc, 0, v17, vcc
	s_movk_i32 s4, 0x7000
	v_add_co_u32_e32 v16, vcc, s4, v16
	v_addc_co_u32_e32 v17, vcc, 0, v17, vcc
	flat_load_dwordx2 v[20:21], v[18:19]
	flat_load_dwordx2 v[74:75], v[18:19] offset:2048
	flat_load_dwordx2 v[76:77], v[16:17]
	s_movk_i32 s4, 0xffcc
	v_mad_i32_i24 v16, v0, s4, v46
	v_mov_b32_e32 v52, v14
	v_mov_b32_e32 v53, v12
	;; [unrolled: 1-line block ×7, first 2 shown]
	s_waitcnt vmcnt(0) lgkmcnt(0)
	ds_write2st64_b64 v16, v[24:25], v[26:27] offset1:4
	ds_write2st64_b64 v16, v[28:29], v[30:31] offset0:8 offset1:12
	ds_write2st64_b64 v16, v[32:33], v[34:35] offset0:16 offset1:20
	;; [unrolled: 1-line block ×6, first 2 shown]
	ds_write_b64 v16, v[76:77] offset:28672
	s_waitcnt lgkmcnt(0)
	s_barrier
	s_add_i32 s33, s33, s48
	s_cbranch_execz .LBB888_7
	s_branch .LBB888_68
.LBB888_6:
                                        ; implicit-def: $vgpr1
                                        ; implicit-def: $vgpr2
                                        ; implicit-def: $vgpr4
                                        ; implicit-def: $vgpr6
                                        ; implicit-def: $vgpr8
                                        ; implicit-def: $vgpr10
                                        ; implicit-def: $vgpr12
                                        ; implicit-def: $vgpr14
                                        ; implicit-def: $vgpr59
                                        ; implicit-def: $vgpr61
                                        ; implicit-def: $vgpr60
                                        ; implicit-def: $vgpr64
                                        ; implicit-def: $vgpr62
                                        ; implicit-def: $vgpr65
                                        ; implicit-def: $vgpr63
                                        ; implicit-def: $vgpr68
                                        ; implicit-def: $vgpr66
                                        ; implicit-def: $vgpr69
                                        ; implicit-def: $vgpr67
                                        ; implicit-def: $vgpr71
                                        ; implicit-def: $vgpr70
                                        ; implicit-def: $vgpr72
                                        ; implicit-def: $vgpr58
                                        ; implicit-def: $vgpr46_vgpr47
                                        ; implicit-def: $vgpr48_vgpr49
                                        ; implicit-def: $vgpr52_vgpr53
                                        ; implicit-def: $vgpr50_vgpr51
	s_andn2_b64 vcc, exec, s[4:5]
	s_add_i32 s33, s33, s48
	s_cbranch_vccnz .LBB888_68
.LBB888_7:
	v_cmp_gt_u32_e32 vcc, s33, v0
                                        ; implicit-def: $vgpr1
	s_and_saveexec_b64 s[6:7], vcc
	s_cbranch_execz .LBB888_9
; %bb.8:
	v_lshlrev_b32_e32 v1, 2, v0
	v_add_co_u32_e64 v2, s[4:5], v54, v1
	v_addc_co_u32_e64 v3, s[4:5], 0, v55, s[4:5]
	flat_load_dword v1, v[2:3]
.LBB888_9:
	s_or_b64 exec, exec, s[6:7]
	v_or_b32_e32 v2, 0x100, v0
	v_cmp_gt_u32_e64 s[4:5], s33, v2
                                        ; implicit-def: $vgpr2
	s_and_saveexec_b64 s[8:9], s[4:5]
	s_cbranch_execz .LBB888_11
; %bb.10:
	v_lshlrev_b32_e32 v2, 2, v0
	v_add_co_u32_e64 v2, s[6:7], v54, v2
	v_addc_co_u32_e64 v3, s[6:7], 0, v55, s[6:7]
	flat_load_dword v2, v[2:3] offset:1024
.LBB888_11:
	s_or_b64 exec, exec, s[8:9]
	v_or_b32_e32 v22, 0x200, v0
	v_cmp_gt_u32_e64 s[6:7], s33, v22
                                        ; implicit-def: $vgpr3
	s_and_saveexec_b64 s[10:11], s[6:7]
	s_cbranch_execz .LBB888_13
; %bb.12:
	v_lshlrev_b32_e32 v3, 2, v0
	v_add_co_u32_e64 v4, s[8:9], v54, v3
	v_addc_co_u32_e64 v5, s[8:9], 0, v55, s[8:9]
	flat_load_dword v3, v[4:5] offset:2048
.LBB888_13:
	s_or_b64 exec, exec, s[10:11]
	v_or_b32_e32 v24, 0x300, v0
	v_cmp_gt_u32_e64 s[8:9], s33, v24
                                        ; implicit-def: $vgpr4
	s_and_saveexec_b64 s[12:13], s[8:9]
	s_cbranch_execz .LBB888_15
; %bb.14:
	v_lshlrev_b32_e32 v4, 2, v0
	v_add_co_u32_e64 v4, s[10:11], v54, v4
	v_addc_co_u32_e64 v5, s[10:11], 0, v55, s[10:11]
	flat_load_dword v4, v[4:5] offset:3072
.LBB888_15:
	s_or_b64 exec, exec, s[12:13]
	v_or_b32_e32 v26, 0x400, v0
	v_cmp_gt_u32_e64 s[10:11], s33, v26
                                        ; implicit-def: $vgpr5
	s_and_saveexec_b64 s[14:15], s[10:11]
	s_cbranch_execz .LBB888_17
; %bb.16:
	v_lshlrev_b32_e32 v5, 2, v26
	v_add_co_u32_e64 v6, s[12:13], v54, v5
	v_addc_co_u32_e64 v7, s[12:13], 0, v55, s[12:13]
	flat_load_dword v5, v[6:7]
.LBB888_17:
	s_or_b64 exec, exec, s[14:15]
	v_or_b32_e32 v28, 0x500, v0
	v_cmp_gt_u32_e64 s[12:13], s33, v28
                                        ; implicit-def: $vgpr6
	s_and_saveexec_b64 s[16:17], s[12:13]
	s_cbranch_execz .LBB888_19
; %bb.18:
	v_lshlrev_b32_e32 v6, 2, v28
	v_add_co_u32_e64 v6, s[14:15], v54, v6
	v_addc_co_u32_e64 v7, s[14:15], 0, v55, s[14:15]
	flat_load_dword v6, v[6:7]
.LBB888_19:
	s_or_b64 exec, exec, s[16:17]
	v_or_b32_e32 v30, 0x600, v0
	v_cmp_gt_u32_e64 s[14:15], s33, v30
                                        ; implicit-def: $vgpr7
	s_and_saveexec_b64 s[18:19], s[14:15]
	s_cbranch_execz .LBB888_21
; %bb.20:
	v_lshlrev_b32_e32 v7, 2, v30
	v_add_co_u32_e64 v8, s[16:17], v54, v7
	v_addc_co_u32_e64 v9, s[16:17], 0, v55, s[16:17]
	flat_load_dword v7, v[8:9]
.LBB888_21:
	s_or_b64 exec, exec, s[18:19]
	v_or_b32_e32 v32, 0x700, v0
	v_cmp_gt_u32_e64 s[16:17], s33, v32
                                        ; implicit-def: $vgpr8
	s_and_saveexec_b64 s[20:21], s[16:17]
	s_cbranch_execz .LBB888_23
; %bb.22:
	v_lshlrev_b32_e32 v8, 2, v32
	v_add_co_u32_e64 v8, s[18:19], v54, v8
	v_addc_co_u32_e64 v9, s[18:19], 0, v55, s[18:19]
	flat_load_dword v8, v[8:9]
.LBB888_23:
	s_or_b64 exec, exec, s[20:21]
	v_or_b32_e32 v34, 0x800, v0
	v_cmp_gt_u32_e64 s[18:19], s33, v34
                                        ; implicit-def: $vgpr9
	s_and_saveexec_b64 s[22:23], s[18:19]
	s_cbranch_execz .LBB888_25
; %bb.24:
	v_lshlrev_b32_e32 v9, 2, v34
	v_add_co_u32_e64 v10, s[20:21], v54, v9
	v_addc_co_u32_e64 v11, s[20:21], 0, v55, s[20:21]
	flat_load_dword v9, v[10:11]
.LBB888_25:
	s_or_b64 exec, exec, s[22:23]
	v_or_b32_e32 v36, 0x900, v0
	v_cmp_gt_u32_e64 s[20:21], s33, v36
                                        ; implicit-def: $vgpr10
	s_and_saveexec_b64 s[24:25], s[20:21]
	s_cbranch_execz .LBB888_27
; %bb.26:
	v_lshlrev_b32_e32 v10, 2, v36
	v_add_co_u32_e64 v10, s[22:23], v54, v10
	v_addc_co_u32_e64 v11, s[22:23], 0, v55, s[22:23]
	flat_load_dword v10, v[10:11]
.LBB888_27:
	s_or_b64 exec, exec, s[24:25]
	v_or_b32_e32 v38, 0xa00, v0
	v_cmp_gt_u32_e64 s[22:23], s33, v38
                                        ; implicit-def: $vgpr11
	s_and_saveexec_b64 s[26:27], s[22:23]
	s_cbranch_execz .LBB888_29
; %bb.28:
	v_lshlrev_b32_e32 v11, 2, v38
	v_add_co_u32_e64 v12, s[24:25], v54, v11
	v_addc_co_u32_e64 v13, s[24:25], 0, v55, s[24:25]
	flat_load_dword v11, v[12:13]
.LBB888_29:
	s_or_b64 exec, exec, s[26:27]
	v_or_b32_e32 v40, 0xb00, v0
	v_cmp_gt_u32_e64 s[24:25], s33, v40
                                        ; implicit-def: $vgpr12
	s_and_saveexec_b64 s[28:29], s[24:25]
	s_cbranch_execz .LBB888_31
; %bb.30:
	v_lshlrev_b32_e32 v12, 2, v40
	v_add_co_u32_e64 v12, s[26:27], v54, v12
	v_addc_co_u32_e64 v13, s[26:27], 0, v55, s[26:27]
	flat_load_dword v12, v[12:13]
.LBB888_31:
	s_or_b64 exec, exec, s[28:29]
	v_or_b32_e32 v42, 0xc00, v0
	v_cmp_gt_u32_e64 s[26:27], s33, v42
                                        ; implicit-def: $vgpr13
	s_and_saveexec_b64 s[30:31], s[26:27]
	s_cbranch_execz .LBB888_33
; %bb.32:
	v_lshlrev_b32_e32 v13, 2, v42
	v_add_co_u32_e64 v14, s[28:29], v54, v13
	v_addc_co_u32_e64 v15, s[28:29], 0, v55, s[28:29]
	flat_load_dword v13, v[14:15]
.LBB888_33:
	s_or_b64 exec, exec, s[30:31]
	v_or_b32_e32 v44, 0xd00, v0
	v_cmp_gt_u32_e64 s[28:29], s33, v44
                                        ; implicit-def: $vgpr14
	s_and_saveexec_b64 s[34:35], s[28:29]
	s_cbranch_execz .LBB888_35
; %bb.34:
	v_lshlrev_b32_e32 v14, 2, v44
	v_add_co_u32_e64 v14, s[30:31], v54, v14
	v_addc_co_u32_e64 v15, s[30:31], 0, v55, s[30:31]
	flat_load_dword v14, v[14:15]
.LBB888_35:
	s_or_b64 exec, exec, s[34:35]
	v_or_b32_e32 v47, 0xe00, v0
	v_cmp_gt_u32_e64 s[30:31], s33, v47
                                        ; implicit-def: $vgpr15
	s_and_saveexec_b64 s[60:61], s[30:31]
	s_cbranch_execz .LBB888_37
; %bb.36:
	v_lshlrev_b32_e32 v15, 2, v47
	v_add_co_u32_e64 v16, s[34:35], v54, v15
	v_addc_co_u32_e64 v17, s[34:35], 0, v55, s[34:35]
	flat_load_dword v15, v[16:17]
.LBB888_37:
	s_or_b64 exec, exec, s[60:61]
	v_lshlrev_b32_e32 v16, 2, v0
	v_mad_u32_u24 v46, v0, 56, v16
	s_waitcnt vmcnt(0) lgkmcnt(0)
	ds_write2st64_b32 v16, v1, v2 offset1:4
	ds_write2st64_b32 v16, v3, v4 offset0:8 offset1:12
	ds_write2st64_b32 v16, v5, v6 offset0:16 offset1:20
	;; [unrolled: 1-line block ×6, first 2 shown]
	ds_write_b32 v16, v15 offset:14336
	s_waitcnt lgkmcnt(0)
	s_barrier
	ds_read2_b32 v[14:15], v46 offset1:1
	ds_read2_b32 v[12:13], v46 offset0:2 offset1:3
	ds_read2_b32 v[10:11], v46 offset0:4 offset1:5
	;; [unrolled: 1-line block ×6, first 2 shown]
	ds_read_b32 v1, v46 offset:56
	s_waitcnt lgkmcnt(0)
	s_barrier
	s_waitcnt lgkmcnt(0)
                                        ; implicit-def: $vgpr16_vgpr17
	s_and_saveexec_b64 s[34:35], vcc
	s_cbranch_execz .LBB888_51
; %bb.38:
	v_lshlrev_b32_e32 v16, 3, v0
	v_add_co_u32_e32 v16, vcc, v56, v16
	v_addc_co_u32_e32 v17, vcc, 0, v57, vcc
	flat_load_dwordx2 v[16:17], v[16:17]
	s_or_b64 exec, exec, s[34:35]
                                        ; implicit-def: $vgpr18_vgpr19
	s_and_saveexec_b64 s[34:35], s[4:5]
	s_cbranch_execnz .LBB888_52
.LBB888_39:
	s_or_b64 exec, exec, s[34:35]
                                        ; implicit-def: $vgpr20_vgpr21
	s_and_saveexec_b64 s[4:5], s[6:7]
	s_cbranch_execz .LBB888_53
.LBB888_40:
	v_lshlrev_b32_e32 v20, 3, v22
	v_add_co_u32_e32 v20, vcc, v56, v20
	v_addc_co_u32_e32 v21, vcc, 0, v57, vcc
	flat_load_dwordx2 v[20:21], v[20:21]
	s_or_b64 exec, exec, s[4:5]
                                        ; implicit-def: $vgpr22_vgpr23
	s_and_saveexec_b64 s[4:5], s[8:9]
	s_cbranch_execnz .LBB888_54
.LBB888_41:
	s_or_b64 exec, exec, s[4:5]
                                        ; implicit-def: $vgpr24_vgpr25
	s_and_saveexec_b64 s[4:5], s[10:11]
	s_cbranch_execz .LBB888_55
.LBB888_42:
	v_lshlrev_b32_e32 v24, 3, v26
	v_add_co_u32_e32 v24, vcc, v56, v24
	v_addc_co_u32_e32 v25, vcc, 0, v57, vcc
	flat_load_dwordx2 v[24:25], v[24:25]
	s_or_b64 exec, exec, s[4:5]
                                        ; implicit-def: $vgpr26_vgpr27
	s_and_saveexec_b64 s[4:5], s[12:13]
	s_cbranch_execnz .LBB888_56
.LBB888_43:
	s_or_b64 exec, exec, s[4:5]
                                        ; implicit-def: $vgpr28_vgpr29
	s_and_saveexec_b64 s[4:5], s[14:15]
	s_cbranch_execz .LBB888_57
.LBB888_44:
	v_lshlrev_b32_e32 v28, 3, v30
	v_add_co_u32_e32 v28, vcc, v56, v28
	v_addc_co_u32_e32 v29, vcc, 0, v57, vcc
	flat_load_dwordx2 v[28:29], v[28:29]
	s_or_b64 exec, exec, s[4:5]
                                        ; implicit-def: $vgpr30_vgpr31
	s_and_saveexec_b64 s[4:5], s[16:17]
	s_cbranch_execnz .LBB888_58
.LBB888_45:
	s_or_b64 exec, exec, s[4:5]
                                        ; implicit-def: $vgpr32_vgpr33
	s_and_saveexec_b64 s[4:5], s[18:19]
	s_cbranch_execz .LBB888_59
.LBB888_46:
	v_lshlrev_b32_e32 v32, 3, v34
	v_add_co_u32_e32 v32, vcc, v56, v32
	v_addc_co_u32_e32 v33, vcc, 0, v57, vcc
	flat_load_dwordx2 v[32:33], v[32:33]
	s_or_b64 exec, exec, s[4:5]
                                        ; implicit-def: $vgpr34_vgpr35
	s_and_saveexec_b64 s[4:5], s[20:21]
	s_cbranch_execnz .LBB888_60
.LBB888_47:
	s_or_b64 exec, exec, s[4:5]
                                        ; implicit-def: $vgpr36_vgpr37
	s_and_saveexec_b64 s[4:5], s[22:23]
	s_cbranch_execz .LBB888_61
.LBB888_48:
	v_lshlrev_b32_e32 v36, 3, v38
	v_add_co_u32_e32 v36, vcc, v56, v36
	v_addc_co_u32_e32 v37, vcc, 0, v57, vcc
	flat_load_dwordx2 v[36:37], v[36:37]
	s_or_b64 exec, exec, s[4:5]
                                        ; implicit-def: $vgpr38_vgpr39
	s_and_saveexec_b64 s[4:5], s[24:25]
	s_cbranch_execnz .LBB888_62
.LBB888_49:
	s_or_b64 exec, exec, s[4:5]
                                        ; implicit-def: $vgpr40_vgpr41
	s_and_saveexec_b64 s[4:5], s[26:27]
	s_cbranch_execz .LBB888_63
.LBB888_50:
	v_lshlrev_b32_e32 v40, 3, v42
	v_add_co_u32_e32 v40, vcc, v56, v40
	v_addc_co_u32_e32 v41, vcc, 0, v57, vcc
	flat_load_dwordx2 v[40:41], v[40:41]
	s_or_b64 exec, exec, s[4:5]
                                        ; implicit-def: $vgpr42_vgpr43
	s_and_saveexec_b64 s[4:5], s[28:29]
	s_cbranch_execz .LBB888_65
	s_branch .LBB888_64
.LBB888_51:
	s_or_b64 exec, exec, s[34:35]
                                        ; implicit-def: $vgpr18_vgpr19
	s_and_saveexec_b64 s[34:35], s[4:5]
	s_cbranch_execz .LBB888_39
.LBB888_52:
	v_lshlrev_b32_e32 v18, 3, v0
	v_add_co_u32_e32 v18, vcc, v56, v18
	v_addc_co_u32_e32 v19, vcc, 0, v57, vcc
	flat_load_dwordx2 v[18:19], v[18:19] offset:2048
	s_or_b64 exec, exec, s[34:35]
                                        ; implicit-def: $vgpr20_vgpr21
	s_and_saveexec_b64 s[4:5], s[6:7]
	s_cbranch_execnz .LBB888_40
.LBB888_53:
	s_or_b64 exec, exec, s[4:5]
                                        ; implicit-def: $vgpr22_vgpr23
	s_and_saveexec_b64 s[4:5], s[8:9]
	s_cbranch_execz .LBB888_41
.LBB888_54:
	v_lshlrev_b32_e32 v22, 3, v24
	v_add_co_u32_e32 v22, vcc, v56, v22
	v_addc_co_u32_e32 v23, vcc, 0, v57, vcc
	flat_load_dwordx2 v[22:23], v[22:23]
	s_or_b64 exec, exec, s[4:5]
                                        ; implicit-def: $vgpr24_vgpr25
	s_and_saveexec_b64 s[4:5], s[10:11]
	s_cbranch_execnz .LBB888_42
.LBB888_55:
	s_or_b64 exec, exec, s[4:5]
                                        ; implicit-def: $vgpr26_vgpr27
	s_and_saveexec_b64 s[4:5], s[12:13]
	s_cbranch_execz .LBB888_43
.LBB888_56:
	v_lshlrev_b32_e32 v26, 3, v28
	v_add_co_u32_e32 v26, vcc, v56, v26
	v_addc_co_u32_e32 v27, vcc, 0, v57, vcc
	flat_load_dwordx2 v[26:27], v[26:27]
	s_or_b64 exec, exec, s[4:5]
                                        ; implicit-def: $vgpr28_vgpr29
	s_and_saveexec_b64 s[4:5], s[14:15]
	s_cbranch_execnz .LBB888_44
.LBB888_57:
	s_or_b64 exec, exec, s[4:5]
                                        ; implicit-def: $vgpr30_vgpr31
	s_and_saveexec_b64 s[4:5], s[16:17]
	s_cbranch_execz .LBB888_45
.LBB888_58:
	v_lshlrev_b32_e32 v30, 3, v32
	v_add_co_u32_e32 v30, vcc, v56, v30
	v_addc_co_u32_e32 v31, vcc, 0, v57, vcc
	flat_load_dwordx2 v[30:31], v[30:31]
	s_or_b64 exec, exec, s[4:5]
                                        ; implicit-def: $vgpr32_vgpr33
	s_and_saveexec_b64 s[4:5], s[18:19]
	s_cbranch_execnz .LBB888_46
.LBB888_59:
	s_or_b64 exec, exec, s[4:5]
                                        ; implicit-def: $vgpr34_vgpr35
	s_and_saveexec_b64 s[4:5], s[20:21]
	s_cbranch_execz .LBB888_47
.LBB888_60:
	v_lshlrev_b32_e32 v34, 3, v36
	v_add_co_u32_e32 v34, vcc, v56, v34
	v_addc_co_u32_e32 v35, vcc, 0, v57, vcc
	flat_load_dwordx2 v[34:35], v[34:35]
	s_or_b64 exec, exec, s[4:5]
                                        ; implicit-def: $vgpr36_vgpr37
	s_and_saveexec_b64 s[4:5], s[22:23]
	s_cbranch_execnz .LBB888_48
.LBB888_61:
	s_or_b64 exec, exec, s[4:5]
                                        ; implicit-def: $vgpr38_vgpr39
	s_and_saveexec_b64 s[4:5], s[24:25]
	s_cbranch_execz .LBB888_49
.LBB888_62:
	v_lshlrev_b32_e32 v38, 3, v40
	v_add_co_u32_e32 v38, vcc, v56, v38
	v_addc_co_u32_e32 v39, vcc, 0, v57, vcc
	flat_load_dwordx2 v[38:39], v[38:39]
	s_or_b64 exec, exec, s[4:5]
                                        ; implicit-def: $vgpr40_vgpr41
	s_and_saveexec_b64 s[4:5], s[26:27]
	s_cbranch_execnz .LBB888_50
.LBB888_63:
	s_or_b64 exec, exec, s[4:5]
                                        ; implicit-def: $vgpr42_vgpr43
	s_and_saveexec_b64 s[4:5], s[28:29]
	s_cbranch_execz .LBB888_65
.LBB888_64:
	v_lshlrev_b32_e32 v42, 3, v44
	v_add_co_u32_e32 v42, vcc, v56, v42
	v_addc_co_u32_e32 v43, vcc, 0, v57, vcc
	flat_load_dwordx2 v[42:43], v[42:43]
.LBB888_65:
	s_or_b64 exec, exec, s[4:5]
	v_mul_u32_u24_e32 v58, 15, v0
                                        ; implicit-def: $vgpr44_vgpr45
	s_and_saveexec_b64 s[4:5], s[30:31]
	s_cbranch_execz .LBB888_67
; %bb.66:
	v_lshlrev_b32_e32 v44, 3, v47
	v_add_co_u32_e32 v44, vcc, v56, v44
	v_addc_co_u32_e32 v45, vcc, 0, v57, vcc
	flat_load_dwordx2 v[44:45], v[44:45]
.LBB888_67:
	s_or_b64 exec, exec, s[4:5]
	s_movk_i32 s4, 0xffcc
	v_mad_i32_i24 v46, v0, s4, v46
	v_add_u32_e32 v72, 1, v58
	v_add_u32_e32 v70, 2, v58
	;; [unrolled: 1-line block ×14, first 2 shown]
	s_waitcnt vmcnt(0) lgkmcnt(0)
	ds_write2st64_b64 v46, v[16:17], v[18:19] offset1:4
	ds_write2st64_b64 v46, v[20:21], v[22:23] offset0:8 offset1:12
	ds_write2st64_b64 v46, v[24:25], v[26:27] offset0:16 offset1:20
	;; [unrolled: 1-line block ×6, first 2 shown]
	ds_write_b64 v46, v[44:45] offset:28672
	v_mov_b32_e32 v52, v14
	v_mov_b32_e32 v53, v12
	;; [unrolled: 1-line block ×7, first 2 shown]
	s_waitcnt lgkmcnt(0)
	s_barrier
.LBB888_68:
	v_lshlrev_b32_e32 v16, 3, v58
	v_lshlrev_b32_e32 v17, 3, v72
	v_lshlrev_b32_e32 v18, 3, v70
	v_lshlrev_b32_e32 v19, 3, v71
	ds_read_b64 v[42:43], v16
	ds_read_b64 v[40:41], v17
	ds_read_b64 v[38:39], v18
	ds_read_b64 v[34:35], v19
	v_lshlrev_b32_e32 v16, 3, v67
	v_lshlrev_b32_e32 v17, 3, v69
	v_lshlrev_b32_e32 v18, 3, v66
	v_lshlrev_b32_e32 v19, 3, v68
	ds_read_b64 v[36:37], v16
	ds_read_b64 v[32:33], v17
	ds_read_b64 v[30:31], v18
	ds_read_b64 v[26:27], v19
	v_lshlrev_b32_e32 v16, 3, v63
	v_lshlrev_b32_e32 v17, 3, v65
	v_lshlrev_b32_e32 v18, 3, v62
	v_lshlrev_b32_e32 v19, 3, v64
	ds_read_b64 v[28:29], v16
	ds_read_b64 v[24:25], v17
	ds_read_b64 v[22:23], v18
	ds_read_b64 v[20:21], v19
	v_lshlrev_b32_e32 v16, 3, v60
	v_lshlrev_b32_e32 v17, 3, v61
	;; [unrolled: 1-line block ×3, first 2 shown]
	ds_read_b64 v[18:19], v16
	ds_read_b64 v[16:17], v17
	;; [unrolled: 1-line block ×3, first 2 shown]
	s_cmp_eq_u64 s[58:59], 0
	s_cselect_b64 s[30:31], -1, 0
	s_cmp_lg_u64 s[58:59], 0
	s_mov_b64 s[6:7], 0
	s_cselect_b64 s[8:9], -1, 0
	s_and_b64 vcc, exec, s[46:47]
	s_waitcnt lgkmcnt(0)
	s_barrier
	s_cbranch_vccz .LBB888_74
; %bb.69:
	s_and_b64 vcc, exec, s[8:9]
	s_cbranch_vccz .LBB888_195
; %bb.70:
	v_add_co_u32_e32 v56, vcc, -4, v54
	v_addc_co_u32_e32 v57, vcc, -1, v55, vcc
	flat_load_dword v51, v[56:57]
	v_lshlrev_b32_e32 v56, 2, v0
	ds_write_b32 v56, v1
	s_waitcnt lgkmcnt(0)
	s_barrier
	s_and_saveexec_b64 s[4:5], s[2:3]
	s_cbranch_execz .LBB888_72
; %bb.71:
	s_waitcnt vmcnt(0)
	v_add_u32_e32 v51, -4, v56
	ds_read_b32 v51, v51
.LBB888_72:
	s_or_b64 exec, exec, s[4:5]
	v_cmp_ne_u32_e32 vcc, v52, v15
	v_cndmask_b32_e64 v95, 0, 1, vcc
	v_cmp_ne_u32_e32 vcc, v53, v15
	v_cndmask_b32_e64 v94, 0, 1, vcc
	v_cmp_ne_u32_e32 vcc, v53, v13
	v_cndmask_b32_e64 v93, 0, 1, vcc
	v_cmp_ne_u32_e32 vcc, v48, v13
	v_cndmask_b32_e64 v92, 0, 1, vcc
	v_cmp_ne_u32_e32 vcc, v48, v11
	v_cndmask_b32_e64 v91, 0, 1, vcc
	v_cmp_ne_u32_e32 vcc, v49, v11
	v_cndmask_b32_e64 v90, 0, 1, vcc
	v_cmp_ne_u32_e32 vcc, v49, v9
	v_cndmask_b32_e64 v89, 0, 1, vcc
	v_cmp_ne_u32_e32 vcc, v46, v9
	v_cndmask_b32_e64 v88, 0, 1, vcc
	v_cmp_ne_u32_e32 vcc, v46, v7
	v_cndmask_b32_e64 v87, 0, 1, vcc
	v_cmp_ne_u32_e32 vcc, v47, v7
	v_cndmask_b32_e64 v86, 0, 1, vcc
	v_cmp_ne_u32_e32 vcc, v47, v5
	v_cndmask_b32_e64 v85, 0, 1, vcc
	v_cmp_ne_u32_e32 vcc, v50, v5
	v_cndmask_b32_e64 v84, 0, 1, vcc
	v_cmp_ne_u32_e32 vcc, v50, v3
	v_cndmask_b32_e64 v83, 0, 1, vcc
	v_cmp_ne_u32_e32 vcc, v1, v3
	v_cndmask_b32_e64 v82, 0, 1, vcc
	s_waitcnt vmcnt(0) lgkmcnt(0)
	v_cmp_ne_u32_e64 s[4:5], v51, v14
	s_mov_b64 s[6:7], -1
.LBB888_73:
                                        ; implicit-def: $sgpr12
	s_branch .LBB888_75
.LBB888_74:
                                        ; implicit-def: $sgpr4_sgpr5
                                        ; implicit-def: $vgpr82
                                        ; implicit-def: $vgpr83
                                        ; implicit-def: $vgpr84
                                        ; implicit-def: $vgpr85
                                        ; implicit-def: $vgpr86
                                        ; implicit-def: $vgpr87
                                        ; implicit-def: $vgpr88
                                        ; implicit-def: $vgpr89
                                        ; implicit-def: $vgpr90
                                        ; implicit-def: $vgpr91
                                        ; implicit-def: $vgpr92
                                        ; implicit-def: $vgpr93
                                        ; implicit-def: $vgpr94
                                        ; implicit-def: $vgpr95
                                        ; implicit-def: $sgpr12
	s_cbranch_execnz .LBB888_199
.LBB888_75:
	v_mov_b32_e32 v96, s12
	s_and_saveexec_b64 s[2:3], s[6:7]
.LBB888_76:
	v_cndmask_b32_e64 v96, 0, 1, s[4:5]
.LBB888_77:
	s_or_b64 exec, exec, s[2:3]
	s_cmp_eq_u64 s[42:43], 0
	v_add3_u32 v46, v95, v96, v94
	s_cselect_b64 s[34:35], -1, 0
	s_cmp_lg_u32 s62, 0
	v_cmp_eq_u32_e64 s[26:27], 0, v95
	v_cmp_eq_u32_e64 s[24:25], 0, v94
	;; [unrolled: 1-line block ×3, first 2 shown]
	v_add3_u32 v98, v46, v93, v92
	v_cmp_eq_u32_e64 s[20:21], 0, v92
	v_cmp_eq_u32_e64 s[18:19], 0, v91
	;; [unrolled: 1-line block ×10, first 2 shown]
	v_cmp_eq_u32_e32 vcc, 0, v82
	v_mbcnt_lo_u32_b32 v97, -1, 0
	s_cbranch_scc0 .LBB888_148
; %bb.78:
	v_cndmask_b32_e64 v47, 0, v42, s[26:27]
	v_cndmask_b32_e64 v46, 0, v43, s[26:27]
	v_add_co_u32_e64 v47, s[28:29], v47, v40
	v_addc_co_u32_e64 v46, s[28:29], v46, v41, s[28:29]
	v_cndmask_b32_e64 v47, 0, v47, s[24:25]
	v_cndmask_b32_e64 v46, 0, v46, s[24:25]
	v_add_co_u32_e64 v47, s[28:29], v47, v38
	v_addc_co_u32_e64 v46, s[28:29], v46, v39, s[28:29]
	;; [unrolled: 4-line block ×11, first 2 shown]
	v_cndmask_b32_e64 v47, 0, v47, s[4:5]
	v_add3_u32 v48, v98, v91, v90
	v_cndmask_b32_e64 v46, 0, v46, s[4:5]
	v_add_co_u32_e64 v47, s[28:29], v47, v18
	v_add3_u32 v48, v48, v89, v88
	v_addc_co_u32_e64 v46, s[28:29], v46, v19, s[28:29]
	v_cndmask_b32_e64 v47, 0, v47, s[2:3]
	v_add3_u32 v48, v48, v87, v86
	v_cndmask_b32_e64 v46, 0, v46, s[2:3]
	v_add_co_u32_e64 v47, s[28:29], v47, v16
	v_add3_u32 v48, v48, v85, v84
	v_addc_co_u32_e64 v46, s[28:29], v46, v17, s[28:29]
	v_cndmask_b32_e32 v47, 0, v47, vcc
	v_add3_u32 v50, v48, v83, v82
	v_cndmask_b32_e32 v46, 0, v46, vcc
	v_add_co_u32_e32 v48, vcc, v47, v44
	v_mbcnt_hi_u32_b32 v51, -1, v97
	v_addc_co_u32_e32 v49, vcc, v46, v45, vcc
	v_and_b32_e32 v46, 15, v51
	v_mov_b32_dpp v52, v50 row_shr:1 row_mask:0xf bank_mask:0xf
	v_mov_b32_dpp v47, v48 row_shr:1 row_mask:0xf bank_mask:0xf
	;; [unrolled: 1-line block ×3, first 2 shown]
	v_cmp_ne_u32_e32 vcc, 0, v46
	s_and_saveexec_b64 s[28:29], vcc
; %bb.79:
	v_cmp_eq_u32_e32 vcc, 0, v50
	v_cndmask_b32_e32 v47, 0, v47, vcc
	v_add_u32_e32 v52, v52, v50
	v_cndmask_b32_e32 v50, 0, v53, vcc
	v_add_co_u32_e32 v48, vcc, v47, v48
	v_addc_co_u32_e32 v49, vcc, v50, v49, vcc
	v_mov_b32_e32 v50, v52
; %bb.80:
	s_or_b64 exec, exec, s[28:29]
	s_nop 0
	v_mov_b32_dpp v52, v50 row_shr:2 row_mask:0xf bank_mask:0xf
	v_mov_b32_dpp v47, v48 row_shr:2 row_mask:0xf bank_mask:0xf
	v_mov_b32_dpp v53, v49 row_shr:2 row_mask:0xf bank_mask:0xf
	v_cmp_lt_u32_e32 vcc, 1, v46
	s_and_saveexec_b64 s[28:29], vcc
; %bb.81:
	v_cmp_eq_u32_e32 vcc, 0, v50
	v_cndmask_b32_e32 v47, 0, v47, vcc
	v_add_u32_e32 v52, v52, v50
	v_cndmask_b32_e32 v50, 0, v53, vcc
	v_add_co_u32_e32 v48, vcc, v47, v48
	v_addc_co_u32_e32 v49, vcc, v50, v49, vcc
	v_mov_b32_e32 v50, v52
; %bb.82:
	s_or_b64 exec, exec, s[28:29]
	s_nop 0
	v_mov_b32_dpp v52, v50 row_shr:4 row_mask:0xf bank_mask:0xf
	v_mov_b32_dpp v47, v48 row_shr:4 row_mask:0xf bank_mask:0xf
	v_mov_b32_dpp v53, v49 row_shr:4 row_mask:0xf bank_mask:0xf
	v_cmp_lt_u32_e32 vcc, 3, v46
	;; [unrolled: 16-line block ×3, first 2 shown]
	s_and_saveexec_b64 s[28:29], vcc
; %bb.85:
	v_cmp_eq_u32_e32 vcc, 0, v50
	v_cndmask_b32_e32 v47, 0, v47, vcc
	v_add_u32_e32 v46, v52, v50
	v_cndmask_b32_e32 v50, 0, v53, vcc
	v_add_co_u32_e32 v48, vcc, v47, v48
	v_addc_co_u32_e32 v49, vcc, v50, v49, vcc
	v_mov_b32_e32 v50, v46
; %bb.86:
	s_or_b64 exec, exec, s[28:29]
	v_and_b32_e32 v53, 16, v51
	v_mov_b32_dpp v47, v50 row_bcast:15 row_mask:0xf bank_mask:0xf
	v_mov_b32_dpp v46, v48 row_bcast:15 row_mask:0xf bank_mask:0xf
	;; [unrolled: 1-line block ×3, first 2 shown]
	v_cmp_ne_u32_e32 vcc, 0, v53
	s_and_saveexec_b64 s[28:29], vcc
; %bb.87:
	v_cmp_eq_u32_e32 vcc, 0, v50
	v_cndmask_b32_e32 v46, 0, v46, vcc
	v_add_u32_e32 v47, v47, v50
	v_cndmask_b32_e32 v50, 0, v52, vcc
	v_add_co_u32_e32 v48, vcc, v46, v48
	v_addc_co_u32_e32 v49, vcc, v50, v49, vcc
	v_mov_b32_e32 v50, v47
; %bb.88:
	s_or_b64 exec, exec, s[28:29]
	s_nop 0
	v_mov_b32_dpp v47, v50 row_bcast:31 row_mask:0xf bank_mask:0xf
	v_mov_b32_dpp v46, v48 row_bcast:31 row_mask:0xf bank_mask:0xf
	;; [unrolled: 1-line block ×3, first 2 shown]
	v_cmp_lt_u32_e32 vcc, 31, v51
	s_and_saveexec_b64 s[28:29], vcc
; %bb.89:
	v_cmp_eq_u32_e32 vcc, 0, v50
	v_cndmask_b32_e32 v46, 0, v46, vcc
	v_add_u32_e32 v47, v47, v50
	v_cndmask_b32_e32 v50, 0, v52, vcc
	v_add_co_u32_e32 v48, vcc, v46, v48
	v_addc_co_u32_e32 v49, vcc, v50, v49, vcc
	v_mov_b32_e32 v50, v47
; %bb.90:
	s_or_b64 exec, exec, s[28:29]
	v_lshrrev_b32_e32 v46, 6, v0
	v_or_b32_e32 v47, 63, v0
	v_cmp_eq_u32_e32 vcc, v47, v0
	v_lshlrev_b32_e32 v52, 4, v46
	s_and_saveexec_b64 s[28:29], vcc
	s_cbranch_execz .LBB888_92
; %bb.91:
	ds_write_b32 v52, v50 offset:2080
	ds_write_b64 v52, v[48:49] offset:2088
.LBB888_92:
	s_or_b64 exec, exec, s[28:29]
	v_cmp_gt_u32_e32 vcc, 4, v0
	s_waitcnt lgkmcnt(0)
	s_barrier
	s_and_saveexec_b64 s[28:29], vcc
	s_cbranch_execz .LBB888_98
; %bb.93:
	v_lshlrev_b32_e32 v53, 4, v0
	ds_read_b32 v54, v53 offset:2080
	ds_read_b64 v[46:47], v53 offset:2088
	v_and_b32_e32 v55, 3, v51
	v_cmp_ne_u32_e32 vcc, 0, v55
	s_waitcnt lgkmcnt(1)
	v_mov_b32_dpp v57, v54 row_shr:1 row_mask:0xf bank_mask:0xf
	s_waitcnt lgkmcnt(0)
	v_mov_b32_dpp v56, v46 row_shr:1 row_mask:0xf bank_mask:0xf
	v_mov_b32_dpp v58, v47 row_shr:1 row_mask:0xf bank_mask:0xf
	s_and_saveexec_b64 s[42:43], vcc
; %bb.94:
	v_cmp_eq_u32_e32 vcc, 0, v54
	v_cndmask_b32_e32 v56, 0, v56, vcc
	v_add_u32_e32 v57, v57, v54
	v_cndmask_b32_e32 v54, 0, v58, vcc
	v_add_co_u32_e32 v46, vcc, v56, v46
	v_addc_co_u32_e32 v47, vcc, v54, v47, vcc
	v_mov_b32_e32 v54, v57
; %bb.95:
	s_or_b64 exec, exec, s[42:43]
	s_nop 0
	v_mov_b32_dpp v57, v54 row_shr:2 row_mask:0xf bank_mask:0xf
	v_mov_b32_dpp v56, v46 row_shr:2 row_mask:0xf bank_mask:0xf
	;; [unrolled: 1-line block ×3, first 2 shown]
	v_cmp_lt_u32_e32 vcc, 1, v55
	s_and_saveexec_b64 s[42:43], vcc
; %bb.96:
	v_cmp_eq_u32_e32 vcc, 0, v54
	v_cndmask_b32_e32 v56, 0, v56, vcc
	v_add_u32_e32 v55, v57, v54
	v_cndmask_b32_e32 v54, 0, v58, vcc
	v_add_co_u32_e32 v46, vcc, v56, v46
	v_addc_co_u32_e32 v47, vcc, v54, v47, vcc
	v_mov_b32_e32 v54, v55
; %bb.97:
	s_or_b64 exec, exec, s[42:43]
	ds_write_b32 v53, v54 offset:2080
	ds_write_b64 v53, v[46:47] offset:2088
.LBB888_98:
	s_or_b64 exec, exec, s[28:29]
	v_cmp_gt_u32_e32 vcc, 64, v0
	v_cmp_lt_u32_e64 s[28:29], 63, v0
	v_pk_mov_b32 v[46:47], 0, 0
	v_mov_b32_e32 v58, 0
	s_waitcnt lgkmcnt(0)
	s_barrier
	s_and_saveexec_b64 s[42:43], s[28:29]
	s_cbranch_execz .LBB888_100
; %bb.99:
	ds_read_b32 v58, v52 offset:2064
	ds_read_b64 v[46:47], v52 offset:2072
	v_cmp_eq_u32_e64 s[28:29], 0, v50
	s_waitcnt lgkmcnt(1)
	v_add_u32_e32 v52, v58, v50
	s_waitcnt lgkmcnt(0)
	v_cndmask_b32_e64 v53, 0, v46, s[28:29]
	v_cndmask_b32_e64 v50, 0, v47, s[28:29]
	v_add_co_u32_e64 v48, s[28:29], v53, v48
	v_addc_co_u32_e64 v49, s[28:29], v50, v49, s[28:29]
	v_mov_b32_e32 v50, v52
.LBB888_100:
	s_or_b64 exec, exec, s[42:43]
	v_add_u32_e32 v52, -1, v51
	v_and_b32_e32 v53, 64, v51
	v_cmp_lt_i32_e64 s[28:29], v52, v53
	v_cndmask_b32_e64 v52, v52, v51, s[28:29]
	v_lshlrev_b32_e32 v52, 2, v52
	ds_bpermute_b32 v59, v52, v50
	ds_bpermute_b32 v60, v52, v48
	;; [unrolled: 1-line block ×3, first 2 shown]
	v_cmp_eq_u32_e64 s[28:29], 0, v51
	s_and_saveexec_b64 s[42:43], vcc
	s_cbranch_execz .LBB888_147
; %bb.101:
	v_mov_b32_e32 v53, 0
	ds_read_b32 v62, v53 offset:2128
	ds_read_b64 v[48:49], v53 offset:2136
	s_and_saveexec_b64 s[46:47], s[28:29]
	s_cbranch_execz .LBB888_103
; %bb.102:
	s_add_i32 s48, s62, 64
	s_mov_b32 s49, 0
	s_lshl_b64 s[58:59], s[48:49], 4
	s_add_u32 s58, s36, s58
	s_addc_u32 s59, s37, s59
	v_mov_b32_e32 v50, s48
	v_mov_b32_e32 v52, 1
	s_waitcnt lgkmcnt(1)
	global_store_dword v53, v62, s[58:59]
	s_waitcnt lgkmcnt(0)
	global_store_dwordx2 v53, v[48:49], s[58:59] offset:8
	s_waitcnt vmcnt(0)
	buffer_wbinvl1_vol
	global_store_byte v50, v52, s[40:41]
.LBB888_103:
	s_or_b64 exec, exec, s[46:47]
	v_xad_u32 v50, v51, -1, s62
	v_add_u32_e32 v52, 64, v50
	global_load_ubyte v63, v52, s[40:41] glc
	s_waitcnt vmcnt(0)
	v_cmp_eq_u16_e32 vcc, 0, v63
	s_and_saveexec_b64 s[46:47], vcc
	s_cbranch_execz .LBB888_109
; %bb.104:
	v_mov_b32_e32 v55, s41
	v_add_co_u32_e32 v54, vcc, s40, v52
	v_addc_co_u32_e32 v55, vcc, 0, v55, vcc
	s_mov_b32 s58, 1
	s_mov_b64 s[48:49], 0
.LBB888_105:                            ; =>This Loop Header: Depth=1
                                        ;     Child Loop BB888_106 Depth 2
	s_max_u32 s59, s58, 1
.LBB888_106:                            ;   Parent Loop BB888_105 Depth=1
                                        ; =>  This Inner Loop Header: Depth=2
	s_add_i32 s59, s59, -1
	s_cmp_eq_u32 s59, 0
	s_sleep 1
	s_cbranch_scc0 .LBB888_106
; %bb.107:                              ;   in Loop: Header=BB888_105 Depth=1
	global_load_ubyte v63, v[54:55], off glc
	s_cmp_lt_u32 s58, 32
	s_cselect_b64 s[60:61], -1, 0
	s_cmp_lg_u64 s[60:61], 0
	s_addc_u32 s58, s58, 0
	s_waitcnt vmcnt(0)
	v_cmp_ne_u16_e32 vcc, 0, v63
	s_or_b64 s[48:49], vcc, s[48:49]
	s_andn2_b64 exec, exec, s[48:49]
	s_cbranch_execnz .LBB888_105
; %bb.108:
	s_or_b64 exec, exec, s[48:49]
.LBB888_109:
	s_or_b64 exec, exec, s[46:47]
	v_mov_b32_e32 v54, s39
	v_mov_b32_e32 v55, s37
	v_cmp_eq_u16_e32 vcc, 1, v63
	v_cndmask_b32_e32 v54, v54, v55, vcc
	v_mov_b32_e32 v55, s38
	v_mov_b32_e32 v56, s36
	v_cndmask_b32_e32 v55, v55, v56, vcc
	v_lshlrev_b64 v[52:53], 4, v[52:53]
	v_add_co_u32_e32 v52, vcc, v55, v52
	v_addc_co_u32_e32 v53, vcc, v54, v53, vcc
	s_waitcnt lgkmcnt(0)
	buffer_wbinvl1_vol
	global_load_dword v78, v[52:53], off
	global_load_dwordx2 v[56:57], v[52:53], off offset:8
	v_cmp_eq_u16_e32 vcc, 2, v63
	v_lshlrev_b64 v[52:53], v51, -1
	v_and_b32_e32 v64, 63, v51
	v_and_b32_e32 v54, vcc_hi, v53
	v_and_b32_e32 v68, vcc_lo, v52
	v_cmp_ne_u32_e32 vcc, 63, v64
	v_addc_co_u32_e32 v55, vcc, 0, v51, vcc
	v_lshlrev_b32_e32 v65, 2, v55
	v_or_b32_e32 v54, 0x80000000, v54
	v_ffbl_b32_e32 v54, v54
	v_add_u32_e32 v54, 32, v54
	v_ffbl_b32_e32 v68, v68
	v_min_u32_e32 v54, v68, v54
	v_cmp_lt_u32_e32 vcc, v64, v54
	s_waitcnt vmcnt(1)
	ds_bpermute_b32 v66, v65, v78
	s_waitcnt vmcnt(0)
	ds_bpermute_b32 v55, v65, v56
	ds_bpermute_b32 v67, v65, v57
	s_and_saveexec_b64 s[46:47], vcc
	s_cbranch_execz .LBB888_111
; %bb.110:
	v_cmp_eq_u32_e32 vcc, 0, v78
	s_waitcnt lgkmcnt(1)
	v_cndmask_b32_e32 v55, 0, v55, vcc
	v_add_u32_e32 v66, v66, v78
	s_waitcnt lgkmcnt(0)
	v_cndmask_b32_e32 v67, 0, v67, vcc
	v_add_co_u32_e32 v56, vcc, v55, v56
	v_addc_co_u32_e32 v57, vcc, v67, v57, vcc
	v_mov_b32_e32 v78, v66
.LBB888_111:
	s_or_b64 exec, exec, s[46:47]
	v_cmp_gt_u32_e32 vcc, 62, v64
	s_waitcnt lgkmcnt(1)
	v_cndmask_b32_e64 v55, 0, 1, vcc
	v_lshlrev_b32_e32 v55, 1, v55
	v_add_lshl_u32 v66, v55, v51, 2
	ds_bpermute_b32 v68, v66, v78
	ds_bpermute_b32 v55, v66, v56
	ds_bpermute_b32 v69, v66, v57
	s_waitcnt lgkmcnt(3)
	v_add_u32_e32 v67, 2, v64
	v_cmp_le_u32_e32 vcc, v67, v54
	s_and_saveexec_b64 s[46:47], vcc
	s_cbranch_execz .LBB888_113
; %bb.112:
	v_cmp_eq_u32_e32 vcc, 0, v78
	s_waitcnt lgkmcnt(1)
	v_cndmask_b32_e32 v55, 0, v55, vcc
	v_add_u32_e32 v68, v68, v78
	s_waitcnt lgkmcnt(0)
	v_cndmask_b32_e32 v69, 0, v69, vcc
	v_add_co_u32_e32 v56, vcc, v55, v56
	v_addc_co_u32_e32 v57, vcc, v69, v57, vcc
	v_mov_b32_e32 v78, v68
.LBB888_113:
	s_or_b64 exec, exec, s[46:47]
	v_cmp_gt_u32_e32 vcc, 60, v64
	s_waitcnt lgkmcnt(1)
	v_cndmask_b32_e64 v55, 0, 1, vcc
	v_lshlrev_b32_e32 v55, 2, v55
	v_add_lshl_u32 v68, v55, v51, 2
	ds_bpermute_b32 v70, v68, v78
	ds_bpermute_b32 v55, v68, v56
	ds_bpermute_b32 v71, v68, v57
	s_waitcnt lgkmcnt(3)
	v_add_u32_e32 v69, 4, v64
	v_cmp_le_u32_e32 vcc, v69, v54
	s_and_saveexec_b64 s[46:47], vcc
	s_cbranch_execz .LBB888_115
; %bb.114:
	v_cmp_eq_u32_e32 vcc, 0, v78
	s_waitcnt lgkmcnt(1)
	v_cndmask_b32_e32 v55, 0, v55, vcc
	v_add_u32_e32 v70, v70, v78
	s_waitcnt lgkmcnt(0)
	v_cndmask_b32_e32 v71, 0, v71, vcc
	v_add_co_u32_e32 v56, vcc, v55, v56
	v_addc_co_u32_e32 v57, vcc, v71, v57, vcc
	v_mov_b32_e32 v78, v70
.LBB888_115:
	s_or_b64 exec, exec, s[46:47]
	v_cmp_gt_u32_e32 vcc, 56, v64
	s_waitcnt lgkmcnt(1)
	v_cndmask_b32_e64 v55, 0, 1, vcc
	v_lshlrev_b32_e32 v55, 3, v55
	v_add_lshl_u32 v70, v55, v51, 2
	ds_bpermute_b32 v72, v70, v78
	ds_bpermute_b32 v55, v70, v56
	ds_bpermute_b32 v73, v70, v57
	s_waitcnt lgkmcnt(3)
	v_add_u32_e32 v71, 8, v64
	v_cmp_le_u32_e32 vcc, v71, v54
	s_and_saveexec_b64 s[46:47], vcc
	s_cbranch_execz .LBB888_117
; %bb.116:
	v_cmp_eq_u32_e32 vcc, 0, v78
	s_waitcnt lgkmcnt(1)
	v_cndmask_b32_e32 v55, 0, v55, vcc
	v_add_u32_e32 v72, v72, v78
	s_waitcnt lgkmcnt(0)
	v_cndmask_b32_e32 v73, 0, v73, vcc
	v_add_co_u32_e32 v56, vcc, v55, v56
	v_addc_co_u32_e32 v57, vcc, v73, v57, vcc
	v_mov_b32_e32 v78, v72
.LBB888_117:
	s_or_b64 exec, exec, s[46:47]
	v_cmp_gt_u32_e32 vcc, 48, v64
	s_waitcnt lgkmcnt(1)
	v_cndmask_b32_e64 v55, 0, 1, vcc
	v_lshlrev_b32_e32 v55, 4, v55
	v_add_lshl_u32 v72, v55, v51, 2
	ds_bpermute_b32 v74, v72, v78
	ds_bpermute_b32 v55, v72, v56
	ds_bpermute_b32 v75, v72, v57
	s_waitcnt lgkmcnt(3)
	v_add_u32_e32 v73, 16, v64
	v_cmp_le_u32_e32 vcc, v73, v54
	s_and_saveexec_b64 s[46:47], vcc
	s_cbranch_execz .LBB888_119
; %bb.118:
	v_cmp_eq_u32_e32 vcc, 0, v78
	s_waitcnt lgkmcnt(1)
	v_cndmask_b32_e32 v55, 0, v55, vcc
	v_add_u32_e32 v74, v74, v78
	s_waitcnt lgkmcnt(0)
	v_cndmask_b32_e32 v75, 0, v75, vcc
	v_add_co_u32_e32 v56, vcc, v55, v56
	v_addc_co_u32_e32 v57, vcc, v75, v57, vcc
	v_mov_b32_e32 v78, v74
.LBB888_119:
	s_or_b64 exec, exec, s[46:47]
	v_cmp_gt_u32_e32 vcc, 32, v64
	s_waitcnt lgkmcnt(1)
	v_cndmask_b32_e64 v55, 0, 1, vcc
	v_lshlrev_b32_e32 v55, 5, v55
	v_add_lshl_u32 v74, v55, v51, 2
	ds_bpermute_b32 v55, v74, v78
	ds_bpermute_b32 v51, v74, v56
	s_waitcnt lgkmcnt(2)
	ds_bpermute_b32 v75, v74, v57
	v_add_u32_e32 v76, 32, v64
	v_cmp_le_u32_e32 vcc, v76, v54
	s_and_saveexec_b64 s[46:47], vcc
	s_cbranch_execz .LBB888_121
; %bb.120:
	v_cmp_eq_u32_e32 vcc, 0, v78
	s_waitcnt lgkmcnt(1)
	v_cndmask_b32_e32 v51, 0, v51, vcc
	v_add_u32_e32 v54, v55, v78
	s_waitcnt lgkmcnt(0)
	v_cndmask_b32_e32 v55, 0, v75, vcc
	v_add_co_u32_e32 v56, vcc, v51, v56
	v_addc_co_u32_e32 v57, vcc, v55, v57, vcc
	v_mov_b32_e32 v78, v54
.LBB888_121:
	s_or_b64 exec, exec, s[46:47]
	s_waitcnt lgkmcnt(1)
	v_mov_b32_e32 v51, 0
	v_mov_b32_e32 v77, 2
	s_branch .LBB888_123
.LBB888_122:                            ;   in Loop: Header=BB888_123 Depth=1
	s_or_b64 exec, exec, s[46:47]
	v_cmp_eq_u32_e32 vcc, 0, v75
	v_cndmask_b32_e32 v56, 0, v56, vcc
	v_cndmask_b32_e32 v57, 0, v57, vcc
	v_add_co_u32_e32 v56, vcc, v56, v54
	v_subrev_u32_e32 v50, 64, v50
	v_add_u32_e32 v78, v79, v75
	v_addc_co_u32_e32 v57, vcc, v57, v55, vcc
.LBB888_123:                            ; =>This Loop Header: Depth=1
                                        ;     Child Loop BB888_126 Depth 2
                                        ;       Child Loop BB888_127 Depth 3
	v_cmp_ne_u16_sdwa s[46:47], v63, v77 src0_sel:BYTE_0 src1_sel:DWORD
	v_pk_mov_b32 v[54:55], v[56:57], v[56:57] op_sel:[0,1]
	v_cndmask_b32_e64 v56, 0, 1, s[46:47]
	;;#ASMSTART
	;;#ASMEND
	v_cmp_ne_u32_e32 vcc, 0, v56
	s_cmp_lg_u64 vcc, exec
	s_waitcnt lgkmcnt(0)
	v_mov_b32_e32 v75, v78
	s_cbranch_scc1 .LBB888_142
; %bb.124:                              ;   in Loop: Header=BB888_123 Depth=1
	global_load_ubyte v63, v50, s[40:41] glc
	s_waitcnt vmcnt(0)
	v_cmp_eq_u16_e32 vcc, 0, v63
	s_and_saveexec_b64 s[46:47], vcc
	s_cbranch_execz .LBB888_130
; %bb.125:                              ;   in Loop: Header=BB888_123 Depth=1
	v_mov_b32_e32 v57, s41
	v_add_co_u32_e32 v56, vcc, s40, v50
	v_addc_co_u32_e32 v57, vcc, 0, v57, vcc
	s_mov_b32 s58, 1
	s_mov_b64 s[48:49], 0
.LBB888_126:                            ;   Parent Loop BB888_123 Depth=1
                                        ; =>  This Loop Header: Depth=2
                                        ;       Child Loop BB888_127 Depth 3
	s_max_u32 s59, s58, 1
.LBB888_127:                            ;   Parent Loop BB888_123 Depth=1
                                        ;     Parent Loop BB888_126 Depth=2
                                        ; =>    This Inner Loop Header: Depth=3
	s_add_i32 s59, s59, -1
	s_cmp_eq_u32 s59, 0
	s_sleep 1
	s_cbranch_scc0 .LBB888_127
; %bb.128:                              ;   in Loop: Header=BB888_126 Depth=2
	global_load_ubyte v63, v[56:57], off glc
	s_cmp_lt_u32 s58, 32
	s_cselect_b64 s[60:61], -1, 0
	s_cmp_lg_u64 s[60:61], 0
	s_addc_u32 s58, s58, 0
	s_waitcnt vmcnt(0)
	v_cmp_ne_u16_e32 vcc, 0, v63
	s_or_b64 s[48:49], vcc, s[48:49]
	s_andn2_b64 exec, exec, s[48:49]
	s_cbranch_execnz .LBB888_126
; %bb.129:                              ;   in Loop: Header=BB888_123 Depth=1
	s_or_b64 exec, exec, s[48:49]
.LBB888_130:                            ;   in Loop: Header=BB888_123 Depth=1
	s_or_b64 exec, exec, s[46:47]
	v_mov_b32_e32 v56, s39
	v_mov_b32_e32 v57, s37
	v_cmp_eq_u16_e32 vcc, 1, v63
	v_cndmask_b32_e32 v78, v56, v57, vcc
	v_mov_b32_e32 v56, s38
	v_mov_b32_e32 v57, s36
	v_cndmask_b32_e32 v79, v56, v57, vcc
	v_lshlrev_b64 v[56:57], 4, v[50:51]
	v_add_co_u32_e32 v56, vcc, v79, v56
	v_addc_co_u32_e32 v57, vcc, v78, v57, vcc
	buffer_wbinvl1_vol
	global_load_dword v79, v[56:57], off
	s_nop 0
	global_load_dwordx2 v[56:57], v[56:57], off offset:8
	v_cmp_eq_u16_e32 vcc, 2, v63
	v_and_b32_e32 v78, vcc_hi, v53
	v_or_b32_e32 v78, 0x80000000, v78
	v_and_b32_e32 v100, vcc_lo, v52
	v_ffbl_b32_e32 v78, v78
	v_add_u32_e32 v78, 32, v78
	v_ffbl_b32_e32 v100, v100
	v_min_u32_e32 v78, v100, v78
	v_cmp_lt_u32_e32 vcc, v64, v78
	s_waitcnt vmcnt(1)
	ds_bpermute_b32 v81, v65, v79
	s_waitcnt vmcnt(0)
	ds_bpermute_b32 v80, v65, v56
	ds_bpermute_b32 v99, v65, v57
	s_and_saveexec_b64 s[46:47], vcc
	s_cbranch_execz .LBB888_132
; %bb.131:                              ;   in Loop: Header=BB888_123 Depth=1
	v_cmp_eq_u32_e32 vcc, 0, v79
	s_waitcnt lgkmcnt(1)
	v_cndmask_b32_e32 v80, 0, v80, vcc
	v_add_u32_e32 v81, v81, v79
	s_waitcnt lgkmcnt(0)
	v_cndmask_b32_e32 v79, 0, v99, vcc
	v_add_co_u32_e32 v56, vcc, v80, v56
	v_addc_co_u32_e32 v57, vcc, v79, v57, vcc
	v_mov_b32_e32 v79, v81
.LBB888_132:                            ;   in Loop: Header=BB888_123 Depth=1
	s_or_b64 exec, exec, s[46:47]
	s_waitcnt lgkmcnt(2)
	ds_bpermute_b32 v81, v66, v79
	s_waitcnt lgkmcnt(2)
	ds_bpermute_b32 v80, v66, v56
	s_waitcnt lgkmcnt(2)
	ds_bpermute_b32 v99, v66, v57
	v_cmp_le_u32_e32 vcc, v67, v78
	s_and_saveexec_b64 s[46:47], vcc
	s_cbranch_execz .LBB888_134
; %bb.133:                              ;   in Loop: Header=BB888_123 Depth=1
	v_cmp_eq_u32_e32 vcc, 0, v79
	s_waitcnt lgkmcnt(1)
	v_cndmask_b32_e32 v80, 0, v80, vcc
	v_add_u32_e32 v81, v81, v79
	s_waitcnt lgkmcnt(0)
	v_cndmask_b32_e32 v79, 0, v99, vcc
	v_add_co_u32_e32 v56, vcc, v80, v56
	v_addc_co_u32_e32 v57, vcc, v79, v57, vcc
	v_mov_b32_e32 v79, v81
.LBB888_134:                            ;   in Loop: Header=BB888_123 Depth=1
	s_or_b64 exec, exec, s[46:47]
	s_waitcnt lgkmcnt(2)
	ds_bpermute_b32 v81, v68, v79
	s_waitcnt lgkmcnt(2)
	ds_bpermute_b32 v80, v68, v56
	s_waitcnt lgkmcnt(2)
	ds_bpermute_b32 v99, v68, v57
	v_cmp_le_u32_e32 vcc, v69, v78
	;; [unrolled: 21-line block ×5, first 2 shown]
	s_and_saveexec_b64 s[46:47], vcc
	s_cbranch_execz .LBB888_122
; %bb.141:                              ;   in Loop: Header=BB888_123 Depth=1
	v_cmp_eq_u32_e32 vcc, 0, v79
	s_waitcnt lgkmcnt(1)
	v_cndmask_b32_e32 v80, 0, v80, vcc
	v_add_u32_e32 v78, v81, v79
	s_waitcnt lgkmcnt(0)
	v_cndmask_b32_e32 v79, 0, v99, vcc
	v_add_co_u32_e32 v56, vcc, v80, v56
	v_addc_co_u32_e32 v57, vcc, v79, v57, vcc
	v_mov_b32_e32 v79, v78
	s_branch .LBB888_122
.LBB888_142:                            ;   in Loop: Header=BB888_123 Depth=1
                                        ; implicit-def: $vgpr56_vgpr57
                                        ; implicit-def: $vgpr78
                                        ; implicit-def: $vgpr63
	s_cbranch_execz .LBB888_123
; %bb.143:
	s_and_saveexec_b64 s[36:37], s[28:29]
	s_cbranch_execz .LBB888_145
; %bb.144:
	s_mov_b32 s47, 0
	v_cmp_eq_u32_e32 vcc, 0, v62
	s_add_i32 s46, s62, 64
	v_cndmask_b32_e32 v50, 0, v54, vcc
	s_lshl_b64 s[48:49], s[46:47], 4
	v_cndmask_b32_e32 v51, 0, v55, vcc
	v_add_co_u32_e32 v50, vcc, v50, v48
	s_add_u32 s48, s38, s48
	v_add_u32_e32 v52, v75, v62
	v_addc_co_u32_e32 v51, vcc, v51, v49, vcc
	s_addc_u32 s49, s39, s49
	v_mov_b32_e32 v53, 0
	global_store_dword v53, v52, s[48:49]
	global_store_dwordx2 v53, v[50:51], s[48:49] offset:8
	v_mov_b32_e32 v50, s46
	v_mov_b32_e32 v51, 2
	s_waitcnt vmcnt(0) lgkmcnt(0)
	buffer_wbinvl1_vol
	global_store_byte v50, v51, s[40:41]
	ds_write_b32 v53, v62 offset:2048
	ds_write_b64 v53, v[48:49] offset:2056
	ds_write_b32 v53, v75 offset:2064
	ds_write_b64 v53, v[54:55] offset:2072
.LBB888_145:
	s_or_b64 exec, exec, s[36:37]
	s_and_b64 exec, exec, s[0:1]
	s_cbranch_execz .LBB888_147
; %bb.146:
	v_mov_b32_e32 v48, 0
	ds_write_b32 v48, v75 offset:2128
	ds_write_b64 v48, v[54:55] offset:2136
.LBB888_147:
	s_or_b64 exec, exec, s[42:43]
	v_mov_b32_e32 v51, 0
	s_waitcnt lgkmcnt(0)
	s_barrier
	ds_read_b32 v50, v51 offset:2128
	ds_read_b64 v[48:49], v51 offset:2136
	v_cndmask_b32_e64 v52, v59, v58, s[28:29]
	v_cmp_eq_u32_e32 vcc, 0, v52
	v_cndmask_b32_e64 v46, v60, v46, s[28:29]
	v_cndmask_b32_e64 v47, v61, v47, s[28:29]
	s_waitcnt lgkmcnt(0)
	v_cndmask_b32_e32 v54, 0, v48, vcc
	v_cndmask_b32_e32 v53, 0, v49, vcc
	v_add_co_u32_e32 v46, vcc, v54, v46
	v_addc_co_u32_e32 v47, vcc, v53, v47, vcc
	v_cndmask_b32_e64 v76, v46, v48, s[0:1]
	v_cmp_eq_u32_e32 vcc, 0, v96
	v_cndmask_b32_e64 v52, v52, 0, s[0:1]
	v_cndmask_b32_e64 v77, v47, v49, s[0:1]
	v_cndmask_b32_e32 v47, 0, v76, vcc
	v_add_u32_e32 v99, v50, v52
	v_cndmask_b32_e32 v46, 0, v77, vcc
	v_add_co_u32_e32 v52, vcc, v47, v42
	v_addc_co_u32_e32 v53, vcc, v46, v43, vcc
	v_cndmask_b32_e64 v47, 0, v52, s[26:27]
	v_cndmask_b32_e64 v46, 0, v53, s[26:27]
	v_add_co_u32_e32 v54, vcc, v47, v40
	v_addc_co_u32_e32 v55, vcc, v46, v41, vcc
	v_cndmask_b32_e64 v47, 0, v54, s[24:25]
	v_cndmask_b32_e64 v46, 0, v55, s[24:25]
	;; [unrolled: 4-line block ×11, first 2 shown]
	v_add_co_u32_e32 v74, vcc, v47, v20
	v_addc_co_u32_e32 v75, vcc, v46, v21, vcc
	s_barrier
	ds_read_b32 v46, v51 offset:2048
	ds_read_b64 v[48:49], v51 offset:2056
	ds_read_b32 v50, v51 offset:2064
	ds_read_b64 v[100:101], v51 offset:2072
	v_cndmask_b32_e64 v78, 0, v74, s[4:5]
	v_cndmask_b32_e64 v47, 0, v75, s[4:5]
	v_add_co_u32_e32 v78, vcc, v78, v18
	v_addc_co_u32_e32 v79, vcc, v47, v19, vcc
	s_waitcnt lgkmcnt(3)
	v_cmp_eq_u32_e32 vcc, 0, v46
	s_waitcnt lgkmcnt(0)
	v_cndmask_b32_e32 v51, 0, v100, vcc
	v_cndmask_b32_e32 v47, 0, v101, vcc
	v_add_co_u32_e32 v48, vcc, v51, v48
	v_cndmask_b32_e64 v81, 0, v79, s[2:3]
	v_cndmask_b32_e64 v80, 0, v78, s[2:3]
	v_addc_co_u32_e32 v49, vcc, v47, v49, vcc
	s_branch .LBB888_176
.LBB888_148:
                                        ; implicit-def: $vgpr46
                                        ; implicit-def: $vgpr48_vgpr49
                                        ; implicit-def: $vgpr50
                                        ; implicit-def: $vgpr76_vgpr77
                                        ; implicit-def: $vgpr52_vgpr53
                                        ; implicit-def: $vgpr54_vgpr55
                                        ; implicit-def: $vgpr56_vgpr57
                                        ; implicit-def: $vgpr58_vgpr59
                                        ; implicit-def: $vgpr60_vgpr61
                                        ; implicit-def: $vgpr62_vgpr63
                                        ; implicit-def: $vgpr64_vgpr65
                                        ; implicit-def: $vgpr66_vgpr67
                                        ; implicit-def: $vgpr68_vgpr69
                                        ; implicit-def: $vgpr70_vgpr71
                                        ; implicit-def: $vgpr72_vgpr73
                                        ; implicit-def: $vgpr74_vgpr75
                                        ; implicit-def: $vgpr78_vgpr79
                                        ; implicit-def: $vgpr80_vgpr81
                                        ; implicit-def: $vgpr99
	s_cbranch_execz .LBB888_176
; %bb.149:
	s_and_b64 s[2:3], s[34:35], exec
	s_cselect_b32 s3, 0, s57
	s_cselect_b32 s2, 0, s56
	s_cmp_eq_u64 s[2:3], 0
	v_pk_mov_b32 v[50:51], v[42:43], v[42:43] op_sel:[0,1]
	s_cbranch_scc1 .LBB888_151
; %bb.150:
	v_mov_b32_e32 v46, 0
	global_load_dwordx2 v[50:51], v46, s[2:3]
.LBB888_151:
	v_cmp_eq_u32_e64 s[24:25], 0, v95
	v_cndmask_b32_e64 v47, 0, v42, s[24:25]
	v_cndmask_b32_e64 v46, 0, v43, s[24:25]
	v_add_co_u32_e32 v47, vcc, v47, v40
	v_cmp_eq_u32_e64 s[22:23], 0, v94
	v_addc_co_u32_e32 v46, vcc, v46, v41, vcc
	v_cndmask_b32_e64 v47, 0, v47, s[22:23]
	v_cndmask_b32_e64 v46, 0, v46, s[22:23]
	v_add_co_u32_e32 v47, vcc, v47, v38
	v_cmp_eq_u32_e64 s[20:21], 0, v93
	v_addc_co_u32_e32 v46, vcc, v46, v39, vcc
	;; [unrolled: 5-line block ×11, first 2 shown]
	v_cndmask_b32_e64 v47, 0, v47, s[4:5]
	v_cndmask_b32_e64 v46, 0, v46, s[4:5]
	v_add_co_u32_e32 v47, vcc, v47, v18
	v_addc_co_u32_e32 v46, vcc, v46, v19, vcc
	v_cmp_eq_u32_e32 vcc, 0, v83
	v_cndmask_b32_e32 v47, 0, v47, vcc
	v_add3_u32 v48, v98, v91, v90
	v_cndmask_b32_e32 v46, 0, v46, vcc
	v_add_co_u32_e64 v47, s[26:27], v47, v16
	v_add3_u32 v48, v48, v89, v88
	v_addc_co_u32_e64 v46, s[26:27], v46, v17, s[26:27]
	v_add3_u32 v48, v48, v87, v86
	v_cmp_eq_u32_e64 s[26:27], 0, v82
	v_add3_u32 v48, v48, v85, v84
	v_cndmask_b32_e64 v47, 0, v47, s[26:27]
	v_add3_u32 v49, v48, v83, v82
	v_cndmask_b32_e64 v46, 0, v46, s[26:27]
	v_add_co_u32_e64 v44, s[26:27], v47, v44
	v_mbcnt_hi_u32_b32 v48, -1, v97
	v_addc_co_u32_e64 v45, s[26:27], v46, v45, s[26:27]
	v_and_b32_e32 v46, 15, v48
	v_mov_b32_dpp v52, v49 row_shr:1 row_mask:0xf bank_mask:0xf
	v_mov_b32_dpp v47, v44 row_shr:1 row_mask:0xf bank_mask:0xf
	v_mov_b32_dpp v53, v45 row_shr:1 row_mask:0xf bank_mask:0xf
	v_cmp_ne_u32_e64 s[26:27], 0, v46
	s_and_saveexec_b64 s[28:29], s[26:27]
; %bb.152:
	v_cmp_eq_u32_e64 s[26:27], 0, v49
	v_cndmask_b32_e64 v47, 0, v47, s[26:27]
	v_add_u32_e32 v52, v52, v49
	v_cndmask_b32_e64 v49, 0, v53, s[26:27]
	v_add_co_u32_e64 v44, s[26:27], v47, v44
	v_addc_co_u32_e64 v45, s[26:27], v49, v45, s[26:27]
	v_mov_b32_e32 v49, v52
; %bb.153:
	s_or_b64 exec, exec, s[28:29]
	s_nop 0
	v_mov_b32_dpp v52, v49 row_shr:2 row_mask:0xf bank_mask:0xf
	v_mov_b32_dpp v47, v44 row_shr:2 row_mask:0xf bank_mask:0xf
	v_mov_b32_dpp v53, v45 row_shr:2 row_mask:0xf bank_mask:0xf
	v_cmp_lt_u32_e64 s[26:27], 1, v46
	s_and_saveexec_b64 s[28:29], s[26:27]
; %bb.154:
	v_cmp_eq_u32_e64 s[26:27], 0, v49
	v_cndmask_b32_e64 v47, 0, v47, s[26:27]
	v_add_u32_e32 v52, v52, v49
	v_cndmask_b32_e64 v49, 0, v53, s[26:27]
	v_add_co_u32_e64 v44, s[26:27], v47, v44
	v_addc_co_u32_e64 v45, s[26:27], v49, v45, s[26:27]
	v_mov_b32_e32 v49, v52
; %bb.155:
	s_or_b64 exec, exec, s[28:29]
	s_nop 0
	v_mov_b32_dpp v52, v49 row_shr:4 row_mask:0xf bank_mask:0xf
	v_mov_b32_dpp v47, v44 row_shr:4 row_mask:0xf bank_mask:0xf
	v_mov_b32_dpp v53, v45 row_shr:4 row_mask:0xf bank_mask:0xf
	v_cmp_lt_u32_e64 s[26:27], 3, v46
	;; [unrolled: 16-line block ×3, first 2 shown]
	s_and_saveexec_b64 s[28:29], s[26:27]
; %bb.158:
	v_cmp_eq_u32_e64 s[26:27], 0, v49
	v_cndmask_b32_e64 v47, 0, v47, s[26:27]
	v_add_u32_e32 v46, v52, v49
	v_cndmask_b32_e64 v49, 0, v53, s[26:27]
	v_add_co_u32_e64 v44, s[26:27], v47, v44
	v_addc_co_u32_e64 v45, s[26:27], v49, v45, s[26:27]
	v_mov_b32_e32 v49, v46
; %bb.159:
	s_or_b64 exec, exec, s[28:29]
	v_and_b32_e32 v53, 16, v48
	v_mov_b32_dpp v47, v49 row_bcast:15 row_mask:0xf bank_mask:0xf
	v_mov_b32_dpp v46, v44 row_bcast:15 row_mask:0xf bank_mask:0xf
	;; [unrolled: 1-line block ×3, first 2 shown]
	v_cmp_ne_u32_e64 s[26:27], 0, v53
	s_and_saveexec_b64 s[28:29], s[26:27]
; %bb.160:
	v_cmp_eq_u32_e64 s[26:27], 0, v49
	v_cndmask_b32_e64 v46, 0, v46, s[26:27]
	v_add_u32_e32 v47, v47, v49
	v_cndmask_b32_e64 v49, 0, v52, s[26:27]
	v_add_co_u32_e64 v44, s[26:27], v46, v44
	v_addc_co_u32_e64 v45, s[26:27], v49, v45, s[26:27]
	v_mov_b32_e32 v49, v47
; %bb.161:
	s_or_b64 exec, exec, s[28:29]
	s_nop 0
	v_mov_b32_dpp v47, v49 row_bcast:31 row_mask:0xf bank_mask:0xf
	v_mov_b32_dpp v46, v44 row_bcast:31 row_mask:0xf bank_mask:0xf
	;; [unrolled: 1-line block ×3, first 2 shown]
	v_cmp_lt_u32_e64 s[26:27], 31, v48
	s_and_saveexec_b64 s[28:29], s[26:27]
; %bb.162:
	v_cmp_eq_u32_e64 s[26:27], 0, v49
	v_cndmask_b32_e64 v46, 0, v46, s[26:27]
	v_add_u32_e32 v47, v47, v49
	v_cndmask_b32_e64 v49, 0, v52, s[26:27]
	v_add_co_u32_e64 v44, s[26:27], v46, v44
	v_addc_co_u32_e64 v45, s[26:27], v49, v45, s[26:27]
	v_mov_b32_e32 v49, v47
; %bb.163:
	s_or_b64 exec, exec, s[28:29]
	v_or_b32_e32 v46, 63, v0
	v_lshrrev_b32_e32 v52, 6, v0
	v_cmp_eq_u32_e64 s[26:27], v46, v0
	s_and_saveexec_b64 s[28:29], s[26:27]
	s_cbranch_execz .LBB888_165
; %bb.164:
	v_lshlrev_b32_e32 v46, 4, v52
	ds_write_b32 v46, v49 offset:2080
	ds_write_b64 v46, v[44:45] offset:2088
.LBB888_165:
	s_or_b64 exec, exec, s[28:29]
	v_cmp_gt_u32_e64 s[26:27], 4, v0
	s_waitcnt lgkmcnt(0)
	s_barrier
	s_and_saveexec_b64 s[28:29], s[26:27]
	s_cbranch_execz .LBB888_171
; %bb.166:
	v_lshlrev_b32_e32 v53, 4, v0
	ds_read_b32 v54, v53 offset:2080
	ds_read_b64 v[46:47], v53 offset:2088
	v_and_b32_e32 v55, 3, v48
	v_cmp_ne_u32_e64 s[26:27], 0, v55
	s_waitcnt lgkmcnt(1)
	v_mov_b32_dpp v57, v54 row_shr:1 row_mask:0xf bank_mask:0xf
	s_waitcnt lgkmcnt(0)
	v_mov_b32_dpp v56, v46 row_shr:1 row_mask:0xf bank_mask:0xf
	v_mov_b32_dpp v58, v47 row_shr:1 row_mask:0xf bank_mask:0xf
	s_and_saveexec_b64 s[36:37], s[26:27]
; %bb.167:
	v_cmp_eq_u32_e64 s[26:27], 0, v54
	v_cndmask_b32_e64 v56, 0, v56, s[26:27]
	v_add_u32_e32 v57, v57, v54
	v_cndmask_b32_e64 v54, 0, v58, s[26:27]
	v_add_co_u32_e64 v46, s[26:27], v56, v46
	v_addc_co_u32_e64 v47, s[26:27], v54, v47, s[26:27]
	v_mov_b32_e32 v54, v57
; %bb.168:
	s_or_b64 exec, exec, s[36:37]
	s_nop 0
	v_mov_b32_dpp v57, v54 row_shr:2 row_mask:0xf bank_mask:0xf
	v_mov_b32_dpp v56, v46 row_shr:2 row_mask:0xf bank_mask:0xf
	v_mov_b32_dpp v58, v47 row_shr:2 row_mask:0xf bank_mask:0xf
	v_cmp_lt_u32_e64 s[26:27], 1, v55
	s_and_saveexec_b64 s[36:37], s[26:27]
; %bb.169:
	v_cmp_eq_u32_e64 s[26:27], 0, v54
	v_cndmask_b32_e64 v56, 0, v56, s[26:27]
	v_add_u32_e32 v55, v57, v54
	v_cndmask_b32_e64 v54, 0, v58, s[26:27]
	v_add_co_u32_e64 v46, s[26:27], v56, v46
	v_addc_co_u32_e64 v47, s[26:27], v54, v47, s[26:27]
	v_mov_b32_e32 v54, v55
; %bb.170:
	s_or_b64 exec, exec, s[36:37]
	ds_write_b32 v53, v54 offset:2080
	ds_write_b64 v53, v[46:47] offset:2088
.LBB888_171:
	s_or_b64 exec, exec, s[28:29]
	v_cmp_lt_u32_e64 s[26:27], 63, v0
	v_mov_b32_e32 v97, 0
	v_mov_b32_e32 v53, 0
	s_waitcnt vmcnt(0)
	v_pk_mov_b32 v[46:47], v[50:51], v[50:51] op_sel:[0,1]
	s_waitcnt lgkmcnt(0)
	s_barrier
	s_and_saveexec_b64 s[28:29], s[26:27]
	s_cbranch_execz .LBB888_173
; %bb.172:
	v_lshlrev_b32_e32 v46, 4, v52
	ds_read_b32 v53, v46 offset:2064
	ds_read_b64 v[46:47], v46 offset:2072
	s_waitcnt lgkmcnt(1)
	v_cmp_eq_u32_e64 s[26:27], 0, v53
	v_cndmask_b32_e64 v54, 0, v50, s[26:27]
	v_cndmask_b32_e64 v52, 0, v51, s[26:27]
	s_waitcnt lgkmcnt(0)
	v_add_co_u32_e64 v46, s[26:27], v54, v46
	v_addc_co_u32_e64 v47, s[26:27], v52, v47, s[26:27]
.LBB888_173:
	s_or_b64 exec, exec, s[28:29]
	v_cmp_eq_u32_e64 s[26:27], 0, v49
	v_cndmask_b32_e64 v54, 0, v46, s[26:27]
	v_add_u32_e32 v52, v53, v49
	v_cndmask_b32_e64 v49, 0, v47, s[26:27]
	v_add_co_u32_e64 v44, s[26:27], v54, v44
	v_addc_co_u32_e64 v45, s[26:27], v49, v45, s[26:27]
	v_add_u32_e32 v49, -1, v48
	v_and_b32_e32 v54, 64, v48
	v_cmp_lt_i32_e64 s[26:27], v49, v54
	v_cndmask_b32_e64 v49, v49, v48, s[26:27]
	v_lshlrev_b32_e32 v49, 2, v49
	ds_bpermute_b32 v44, v49, v44
	ds_bpermute_b32 v52, v49, v52
	;; [unrolled: 1-line block ×3, first 2 shown]
	v_cmp_eq_u32_e64 s[26:27], 0, v48
	s_waitcnt lgkmcnt(2)
	v_cndmask_b32_e64 v76, v44, v46, s[26:27]
	s_waitcnt lgkmcnt(1)
	v_cndmask_b32_e64 v99, v52, v53, s[26:27]
	;; [unrolled: 2-line block ×3, first 2 shown]
	v_cndmask_b32_e64 v44, v76, v50, s[0:1]
	v_cmp_eq_u32_e64 s[26:27], 0, v96
	v_cndmask_b32_e64 v45, v77, v51, s[0:1]
	v_cndmask_b32_e64 v44, 0, v44, s[26:27]
	;; [unrolled: 1-line block ×3, first 2 shown]
	v_add_co_u32_e64 v52, s[26:27], v44, v42
	v_addc_co_u32_e64 v53, s[26:27], v45, v43, s[26:27]
	v_cndmask_b32_e64 v43, 0, v52, s[24:25]
	v_cndmask_b32_e64 v42, 0, v53, s[24:25]
	v_add_co_u32_e64 v54, s[24:25], v43, v40
	v_addc_co_u32_e64 v55, s[24:25], v42, v41, s[24:25]
	v_cndmask_b32_e64 v41, 0, v54, s[22:23]
	v_cndmask_b32_e64 v40, 0, v55, s[22:23]
	;; [unrolled: 4-line block ×11, first 2 shown]
	v_add_co_u32_e64 v74, s[2:3], v23, v20
	v_addc_co_u32_e64 v75, s[2:3], v22, v21, s[2:3]
	v_cndmask_b32_e64 v21, 0, v74, s[4:5]
	ds_read_b32 v46, v97 offset:2128
	v_cndmask_b32_e64 v20, 0, v75, s[4:5]
	v_add_co_u32_e64 v78, s[2:3], v21, v18
	v_addc_co_u32_e64 v79, s[2:3], v20, v19, s[2:3]
	ds_read_b64 v[18:19], v97 offset:2136
	v_cndmask_b32_e32 v81, 0, v79, vcc
	v_cndmask_b32_e32 v80, 0, v78, vcc
	s_waitcnt lgkmcnt(1)
	v_cmp_eq_u32_e32 vcc, 0, v46
	v_cndmask_b32_e32 v21, 0, v50, vcc
	v_cndmask_b32_e32 v20, 0, v51, vcc
	s_waitcnt lgkmcnt(0)
	v_add_co_u32_e32 v48, vcc, v21, v18
	v_addc_co_u32_e32 v49, vcc, v20, v19, vcc
	s_and_saveexec_b64 s[2:3], s[0:1]
	s_cbranch_execz .LBB888_175
; %bb.174:
	v_mov_b32_e32 v99, 0
	v_mov_b32_e32 v18, 2
	v_pk_mov_b32 v[76:77], v[50:51], v[50:51] op_sel:[0,1]
	global_store_dword v99, v46, s[38:39] offset:1024
	global_store_dwordx2 v99, v[48:49], s[38:39] offset:1032
	s_waitcnt vmcnt(0)
	buffer_wbinvl1_vol
	global_store_byte v99, v18, s[40:41] offset:64
.LBB888_175:
	s_or_b64 exec, exec, s[2:3]
	v_mov_b32_e32 v50, 0
.LBB888_176:
	s_and_b64 s[2:3], s[34:35], exec
	s_cselect_b32 s3, 0, s51
	s_cselect_b32 s2, 0, s50
	s_cmp_eq_u64 s[2:3], 0
	v_pk_mov_b32 v[18:19], 0, 0
	s_barrier
	s_cbranch_scc1 .LBB888_178
; %bb.177:
	v_mov_b32_e32 v18, 0
	global_load_dwordx2 v[18:19], v18, s[2:3]
.LBB888_178:
	v_add_u32_e32 v33, v99, v96
	v_add_u32_e32 v32, v33, v95
	;; [unrolled: 1-line block ×12, first 2 shown]
	s_movk_i32 s38, 0x100
	v_add_u32_e32 v21, v22, v84
	v_cmp_gt_u32_e32 vcc, s38, v46
	v_add_u32_e32 v20, v21, v83
	s_cbranch_vccnz .LBB888_227
; %bb.179:
	v_cmp_eq_u32_e64 s[28:29], 0, v95
	v_cndmask_b32_e64 v51, 1, 2, s[28:29]
	v_cmp_eq_u32_e64 s[28:29], 0, v96
	v_cmp_eq_u32_e64 s[26:27], 0, v94
	v_cndmask_b32_e64 v97, 1, 2, s[28:29]
	v_cmp_eq_u32_e64 s[24:25], 0, v93
	v_cndmask_b32_e64 v47, 1, 2, s[26:27]
	v_and_b32_e32 v51, v51, v97
	v_cmp_eq_u32_e64 s[22:23], 0, v92
	v_cndmask_b32_e64 v45, 1, 2, s[24:25]
	v_and_b32_e32 v47, v51, v47
	;; [unrolled: 3-line block ×11, first 2 shown]
	v_cmp_eq_u32_e32 vcc, 0, v82
	v_cndmask_b32_e64 v35, 1, 2, s[2:3]
	v_and_b32_e32 v36, v37, v36
	v_cndmask_b32_e64 v34, 1, 2, vcc
	v_and_b32_e32 v35, v36, v35
	v_and_b32_e32 v34, v35, v34
	v_cmp_ne_u32_e64 s[20:21], 0, v96
	v_cmp_ne_u32_e32 vcc, 0, v83
	v_cmp_ne_u32_e64 s[2:3], 0, v84
	v_cmp_ne_u32_e64 s[4:5], 0, v85
	v_cmp_ne_u32_e64 s[6:7], 0, v86
	v_cmp_ne_u32_e64 s[8:9], 0, v87
	v_cmp_ne_u32_e64 s[10:11], 0, v88
	v_cmp_ne_u32_e64 s[12:13], 0, v89
	v_cmp_ne_u32_e64 s[14:15], 0, v90
	v_cmp_ne_u32_e64 s[16:17], 0, v91
	v_cmp_ne_u32_e64 s[18:19], 0, v92
	v_cmp_ne_u32_e64 s[22:23], 0, v93
	v_cmp_ne_u32_e64 s[24:25], 0, v94
	v_cmp_ne_u32_e64 s[26:27], 0, v95
	v_cmp_gt_i16_e64 s[28:29], 2, v34
	s_and_saveexec_b64 s[34:35], s[28:29]
	s_cbranch_execz .LBB888_226
; %bb.180:
	v_cmp_ne_u16_e64 s[28:29], 1, v34
	s_mov_b64 s[36:37], 0
	s_and_saveexec_b64 s[40:41], s[28:29]
	s_xor_b64 s[28:29], exec, s[40:41]
	s_cbranch_execz .LBB888_204
; %bb.181:
	s_and_saveexec_b64 s[36:37], s[20:21]
	s_cbranch_execz .LBB888_209
; %bb.182:
	v_sub_u32_e32 v34, v99, v50
	v_lshlrev_b32_e32 v34, 2, v34
	ds_write_b32 v34, v14
	s_or_b64 exec, exec, s[36:37]
	s_and_saveexec_b64 s[20:21], s[26:27]
	s_cbranch_execnz .LBB888_210
.LBB888_183:
	s_or_b64 exec, exec, s[20:21]
	s_and_saveexec_b64 s[20:21], s[24:25]
	s_cbranch_execz .LBB888_211
.LBB888_184:
	v_sub_u32_e32 v14, v32, v50
	v_lshlrev_b32_e32 v14, 2, v14
	ds_write_b32 v14, v12
	s_or_b64 exec, exec, s[20:21]
	s_and_saveexec_b64 s[20:21], s[22:23]
	s_cbranch_execnz .LBB888_212
.LBB888_185:
	s_or_b64 exec, exec, s[20:21]
	s_and_saveexec_b64 s[20:21], s[18:19]
	s_cbranch_execz .LBB888_213
.LBB888_186:
	v_sub_u32_e32 v12, v30, v50
	v_lshlrev_b32_e32 v12, 2, v12
	ds_write_b32 v12, v10
	s_or_b64 exec, exec, s[20:21]
	s_and_saveexec_b64 s[18:19], s[16:17]
	s_cbranch_execnz .LBB888_214
.LBB888_187:
	s_or_b64 exec, exec, s[18:19]
	s_and_saveexec_b64 s[16:17], s[14:15]
	s_cbranch_execz .LBB888_215
.LBB888_188:
	v_sub_u32_e32 v10, v28, v50
	v_lshlrev_b32_e32 v10, 2, v10
	ds_write_b32 v10, v8
	s_or_b64 exec, exec, s[16:17]
	s_and_saveexec_b64 s[14:15], s[12:13]
	s_cbranch_execnz .LBB888_216
.LBB888_189:
	s_or_b64 exec, exec, s[14:15]
	s_and_saveexec_b64 s[12:13], s[10:11]
	s_cbranch_execz .LBB888_217
.LBB888_190:
	v_sub_u32_e32 v8, v26, v50
	v_lshlrev_b32_e32 v8, 2, v8
	ds_write_b32 v8, v6
	s_or_b64 exec, exec, s[12:13]
	s_and_saveexec_b64 s[10:11], s[8:9]
	s_cbranch_execnz .LBB888_218
.LBB888_191:
	s_or_b64 exec, exec, s[10:11]
	s_and_saveexec_b64 s[8:9], s[6:7]
	s_cbranch_execz .LBB888_219
.LBB888_192:
	v_sub_u32_e32 v6, v24, v50
	v_lshlrev_b32_e32 v6, 2, v6
	ds_write_b32 v6, v4
	s_or_b64 exec, exec, s[8:9]
	s_and_saveexec_b64 s[6:7], s[4:5]
	s_cbranch_execnz .LBB888_220
.LBB888_193:
	s_or_b64 exec, exec, s[6:7]
	s_and_saveexec_b64 s[4:5], s[2:3]
	s_cbranch_execz .LBB888_221
.LBB888_194:
	v_sub_u32_e32 v4, v22, v50
	v_lshlrev_b32_e32 v4, 2, v4
	ds_write_b32 v4, v2
	s_or_b64 exec, exec, s[4:5]
	v_cmp_ne_u32_e64 s[2:3], 0, v82
	s_and_saveexec_b64 s[4:5], vcc
	s_cbranch_execnz .LBB888_222
	s_branch .LBB888_223
.LBB888_195:
                                        ; implicit-def: $sgpr4_sgpr5
                                        ; implicit-def: $vgpr82
                                        ; implicit-def: $vgpr83
                                        ; implicit-def: $vgpr84
                                        ; implicit-def: $vgpr85
                                        ; implicit-def: $vgpr86
                                        ; implicit-def: $vgpr87
                                        ; implicit-def: $vgpr88
                                        ; implicit-def: $vgpr89
                                        ; implicit-def: $vgpr90
                                        ; implicit-def: $vgpr91
                                        ; implicit-def: $vgpr92
                                        ; implicit-def: $vgpr93
                                        ; implicit-def: $vgpr94
                                        ; implicit-def: $vgpr95
	s_cbranch_execz .LBB888_73
; %bb.196:
	v_cmp_ne_u32_e32 vcc, v15, v52
	v_cndmask_b32_e64 v95, 0, 1, vcc
	v_cmp_ne_u32_e32 vcc, v15, v53
	v_cndmask_b32_e64 v94, 0, 1, vcc
	;; [unrolled: 2-line block ×13, first 2 shown]
	v_cmp_ne_u32_e32 vcc, v3, v1
	v_lshlrev_b32_e32 v51, 2, v0
	v_cndmask_b32_e64 v82, 0, 1, vcc
	ds_write_b32 v51, v1
	s_waitcnt lgkmcnt(0)
	s_barrier
	s_waitcnt lgkmcnt(0)
                                        ; implicit-def: $sgpr4_sgpr5
	s_and_saveexec_b64 s[10:11], s[2:3]
	s_xor_b64 s[10:11], exec, s[10:11]
	s_cbranch_execz .LBB888_198
; %bb.197:
	v_add_u32_e32 v46, -4, v51
	ds_read_b32 v46, v46
	s_or_b64 s[6:7], s[6:7], exec
	s_waitcnt lgkmcnt(0)
	v_cmp_ne_u32_e32 vcc, v46, v14
	s_and_b64 s[4:5], vcc, exec
.LBB888_198:
	s_or_b64 exec, exec, s[10:11]
	s_mov_b32 s12, 1
	s_branch .LBB888_75
.LBB888_199:
	s_mul_hi_u32 s5, s58, 0xfffff100
	s_mul_i32 s4, s59, 0xfffff100
	s_sub_i32 s5, s5, s58
	s_add_i32 s5, s5, s4
	s_mul_i32 s4, s58, 0xfffff100
	s_add_u32 s10, s4, s48
	s_addc_u32 s11, s5, s49
	s_and_b64 vcc, exec, s[8:9]
	s_cbranch_vccz .LBB888_206
; %bb.200:
	v_add_co_u32_e32 v46, vcc, -4, v54
	v_addc_co_u32_e32 v47, vcc, -1, v55, vcc
	flat_load_dword v50, v[46:47]
	v_mad_u32_u24 v48, v0, 15, 14
	v_mov_b32_e32 v49, 0
	v_cmp_gt_u64_e32 vcc, s[10:11], v[48:49]
	v_cmp_ne_u32_e64 s[4:5], v3, v1
	v_mad_u32_u24 v48, v0, 15, 13
	s_and_b64 s[6:7], vcc, s[4:5]
	v_cmp_gt_u64_e32 vcc, s[10:11], v[48:49]
	v_cmp_ne_u32_e64 s[4:5], v2, v3
	v_mad_u32_u24 v48, v0, 15, 12
	s_and_b64 s[8:9], vcc, s[4:5]
	;; [unrolled: 4-line block ×13, first 2 shown]
	v_cmp_gt_u64_e32 vcc, s[10:11], v[48:49]
	v_cmp_ne_u32_e64 s[4:5], v14, v15
	v_lshlrev_b32_e32 v47, 2, v0
	v_mul_u32_u24_e32 v46, 15, v0
	s_and_b64 s[4:5], vcc, s[4:5]
	ds_write_b32 v47, v1
	s_waitcnt lgkmcnt(0)
	s_barrier
	s_and_saveexec_b64 s[48:49], s[2:3]
	s_cbranch_execz .LBB888_202
; %bb.201:
	v_add_u32_e32 v47, -4, v47
	s_waitcnt vmcnt(0)
	ds_read_b32 v50, v47
.LBB888_202:
	s_or_b64 exec, exec, s[48:49]
	v_mov_b32_e32 v47, v49
	v_cndmask_b32_e64 v95, 0, 1, s[4:5]
	v_cmp_gt_u64_e32 vcc, s[10:11], v[46:47]
	s_waitcnt vmcnt(0) lgkmcnt(0)
	v_cmp_ne_u32_e64 s[4:5], v50, v14
	v_cndmask_b32_e64 v82, 0, 1, s[6:7]
	v_cndmask_b32_e64 v83, 0, 1, s[8:9]
	;; [unrolled: 1-line block ×13, first 2 shown]
	s_and_b64 s[4:5], vcc, s[4:5]
	s_mov_b64 s[6:7], -1
.LBB888_203:
                                        ; implicit-def: $sgpr12
	v_mov_b32_e32 v96, s12
	s_and_saveexec_b64 s[2:3], s[6:7]
	s_cbranch_execnz .LBB888_76
	s_branch .LBB888_77
.LBB888_204:
	s_andn2_saveexec_b64 s[2:3], s[28:29]
	s_cbranch_execz .LBB888_224
.LBB888_205:
	v_sub_u32_e32 v34, v99, v50
	v_lshlrev_b32_e32 v34, 2, v34
	ds_write_b32 v34, v14
	v_sub_u32_e32 v14, v33, v50
	v_lshlrev_b32_e32 v14, 2, v14
	ds_write_b32 v14, v15
	;; [unrolled: 3-line block ×13, first 2 shown]
	v_sub_u32_e32 v2, v21, v50
	v_lshlrev_b32_e32 v2, 2, v2
	s_or_b64 s[36:37], s[36:37], exec
	ds_write_b32 v2, v3
	s_or_b64 exec, exec, s[2:3]
	s_and_b64 exec, exec, s[36:37]
	s_cbranch_execnz .LBB888_225
	s_branch .LBB888_226
.LBB888_206:
                                        ; implicit-def: $sgpr4_sgpr5
                                        ; implicit-def: $vgpr82
                                        ; implicit-def: $vgpr83
                                        ; implicit-def: $vgpr84
                                        ; implicit-def: $vgpr85
                                        ; implicit-def: $vgpr86
                                        ; implicit-def: $vgpr87
                                        ; implicit-def: $vgpr88
                                        ; implicit-def: $vgpr89
                                        ; implicit-def: $vgpr90
                                        ; implicit-def: $vgpr91
                                        ; implicit-def: $vgpr92
                                        ; implicit-def: $vgpr93
                                        ; implicit-def: $vgpr94
                                        ; implicit-def: $vgpr95
	s_cbranch_execz .LBB888_203
; %bb.207:
	v_mad_u32_u24 v46, v0, 15, 14
	v_mov_b32_e32 v47, 0
	v_cmp_gt_u64_e32 vcc, s[10:11], v[46:47]
	v_cmp_ne_u32_e64 s[4:5], v3, v1
	s_and_b64 s[4:5], vcc, s[4:5]
	v_mad_u32_u24 v46, v0, 15, 13
	v_cndmask_b32_e64 v82, 0, 1, s[4:5]
	v_cmp_gt_u64_e32 vcc, s[10:11], v[46:47]
	v_cmp_ne_u32_e64 s[4:5], v2, v3
	s_and_b64 s[4:5], vcc, s[4:5]
	v_mad_u32_u24 v46, v0, 15, 12
	v_cndmask_b32_e64 v83, 0, 1, s[4:5]
	;; [unrolled: 5-line block ×13, first 2 shown]
	v_cmp_gt_u64_e32 vcc, s[10:11], v[46:47]
	v_cmp_ne_u32_e64 s[4:5], v14, v15
	s_and_b64 s[4:5], vcc, s[4:5]
	v_lshlrev_b32_e32 v48, 2, v0
	s_mov_b32 s12, 1
	v_cndmask_b32_e64 v95, 0, 1, s[4:5]
	ds_write_b32 v48, v1
	s_waitcnt lgkmcnt(0)
	s_barrier
	s_waitcnt lgkmcnt(0)
                                        ; implicit-def: $sgpr4_sgpr5
	s_and_saveexec_b64 s[8:9], s[2:3]
	s_cbranch_execz .LBB888_246
; %bb.208:
	v_add_u32_e32 v46, -4, v48
	ds_read_b32 v48, v46
	v_mul_u32_u24_e32 v46, 15, v0
	v_cmp_gt_u64_e32 vcc, s[10:11], v[46:47]
	s_or_b64 s[6:7], s[6:7], exec
	s_waitcnt lgkmcnt(0)
	v_cmp_ne_u32_e64 s[2:3], v48, v14
	s_and_b64 s[2:3], vcc, s[2:3]
	s_and_b64 s[4:5], s[2:3], exec
	s_or_b64 exec, exec, s[8:9]
	v_mov_b32_e32 v96, s12
	s_and_saveexec_b64 s[2:3], s[6:7]
	s_cbranch_execz .LBB888_77
	s_branch .LBB888_76
.LBB888_209:
	s_or_b64 exec, exec, s[36:37]
	s_and_saveexec_b64 s[20:21], s[26:27]
	s_cbranch_execz .LBB888_183
.LBB888_210:
	v_sub_u32_e32 v14, v33, v50
	v_lshlrev_b32_e32 v14, 2, v14
	ds_write_b32 v14, v15
	s_or_b64 exec, exec, s[20:21]
	s_and_saveexec_b64 s[20:21], s[24:25]
	s_cbranch_execnz .LBB888_184
.LBB888_211:
	s_or_b64 exec, exec, s[20:21]
	s_and_saveexec_b64 s[20:21], s[22:23]
	s_cbranch_execz .LBB888_185
.LBB888_212:
	v_sub_u32_e32 v12, v31, v50
	v_lshlrev_b32_e32 v12, 2, v12
	ds_write_b32 v12, v13
	s_or_b64 exec, exec, s[20:21]
	s_and_saveexec_b64 s[20:21], s[18:19]
	s_cbranch_execnz .LBB888_186
.LBB888_213:
	s_or_b64 exec, exec, s[20:21]
	s_and_saveexec_b64 s[18:19], s[16:17]
	s_cbranch_execz .LBB888_187
.LBB888_214:
	v_sub_u32_e32 v10, v29, v50
	v_lshlrev_b32_e32 v10, 2, v10
	ds_write_b32 v10, v11
	s_or_b64 exec, exec, s[18:19]
	s_and_saveexec_b64 s[16:17], s[14:15]
	s_cbranch_execnz .LBB888_188
.LBB888_215:
	s_or_b64 exec, exec, s[16:17]
	s_and_saveexec_b64 s[14:15], s[12:13]
	s_cbranch_execz .LBB888_189
.LBB888_216:
	v_sub_u32_e32 v8, v27, v50
	v_lshlrev_b32_e32 v8, 2, v8
	ds_write_b32 v8, v9
	s_or_b64 exec, exec, s[14:15]
	s_and_saveexec_b64 s[12:13], s[10:11]
	s_cbranch_execnz .LBB888_190
.LBB888_217:
	s_or_b64 exec, exec, s[12:13]
	s_and_saveexec_b64 s[10:11], s[8:9]
	s_cbranch_execz .LBB888_191
.LBB888_218:
	v_sub_u32_e32 v6, v25, v50
	v_lshlrev_b32_e32 v6, 2, v6
	ds_write_b32 v6, v7
	s_or_b64 exec, exec, s[10:11]
	s_and_saveexec_b64 s[8:9], s[6:7]
	s_cbranch_execnz .LBB888_192
.LBB888_219:
	s_or_b64 exec, exec, s[8:9]
	s_and_saveexec_b64 s[6:7], s[4:5]
	s_cbranch_execz .LBB888_193
.LBB888_220:
	v_sub_u32_e32 v4, v23, v50
	v_lshlrev_b32_e32 v4, 2, v4
	ds_write_b32 v4, v5
	s_or_b64 exec, exec, s[6:7]
	s_and_saveexec_b64 s[4:5], s[2:3]
	s_cbranch_execnz .LBB888_194
.LBB888_221:
	s_or_b64 exec, exec, s[4:5]
	v_cmp_ne_u32_e64 s[2:3], 0, v82
	s_and_saveexec_b64 s[4:5], vcc
	s_cbranch_execz .LBB888_223
.LBB888_222:
	v_sub_u32_e32 v2, v21, v50
	v_lshlrev_b32_e32 v2, 2, v2
	ds_write_b32 v2, v3
.LBB888_223:
	s_or_b64 exec, exec, s[4:5]
	s_and_b64 s[36:37], s[2:3], exec
                                        ; implicit-def: $vgpr2
                                        ; implicit-def: $vgpr4
                                        ; implicit-def: $vgpr6
                                        ; implicit-def: $vgpr8
                                        ; implicit-def: $vgpr10
                                        ; implicit-def: $vgpr12
                                        ; implicit-def: $vgpr14
	s_andn2_saveexec_b64 s[2:3], s[28:29]
	s_cbranch_execnz .LBB888_205
.LBB888_224:
	s_or_b64 exec, exec, s[2:3]
	s_and_b64 exec, exec, s[36:37]
	s_cbranch_execz .LBB888_226
.LBB888_225:
	v_sub_u32_e32 v2, v20, v50
	v_lshlrev_b32_e32 v2, 2, v2
	ds_write_b32 v2, v1
.LBB888_226:
	s_or_b64 exec, exec, s[34:35]
	s_waitcnt lgkmcnt(0)
	s_barrier
.LBB888_227:
	s_cmpk_lg_i32 s33, 0xf00
	s_cselect_b64 s[2:3], -1, 0
	v_cndmask_b32_e64 v8, 0, 1, s[30:31]
	s_and_b64 s[2:3], s[2:3], s[44:45]
	v_sub_u32_e32 v1, v46, v8
	v_cndmask_b32_e64 v4, 0, 1, s[2:3]
	s_and_b64 s[0:1], s[0:1], s[30:31]
	v_add_co_u32_e32 v2, vcc, v80, v16
	v_add_u32_e32 v1, v1, v4
	v_cndmask_b32_e64 v4, v96, 0, s[0:1]
	s_mul_hi_u32 s0, s33, 0x88888889
	v_addc_co_u32_e32 v3, vcc, v81, v17, vcc
	s_lshr_b32 s0, s0, 3
	v_mad_i32_i24 v5, v0, -15, s33
	v_cmp_eq_u32_e32 vcc, s0, v0
	v_cmp_ne_u32_e64 s[0:1], 0, v5
	v_cndmask_b32_e64 v6, 1, v4, s[0:1]
	v_cmp_ne_u32_e64 s[0:1], 1, v5
	v_cndmask_b32_e64 v7, 1, v95, s[0:1]
	;; [unrolled: 2-line block ×15, first 2 shown]
	s_and_b64 vcc, vcc, s[44:45]
	v_cndmask_b32_e32 v37, v82, v5, vcc
	v_cndmask_b32_e32 v39, v4, v6, vcc
	s_waitcnt vmcnt(0)
	v_lshlrev_b64 v[4:5], 3, v[18:19]
	v_mov_b32_e32 v51, 0
	v_cndmask_b32_e32 v36, v83, v36, vcc
	v_cndmask_b32_e32 v35, v84, v35, vcc
	;; [unrolled: 1-line block ×13, first 2 shown]
	v_mov_b32_e32 v6, s53
	v_add_co_u32_e32 v7, vcc, s52, v4
	v_addc_co_u32_e32 v6, vcc, v6, v5, vcc
	v_lshlrev_b64 v[4:5], 3, v[50:51]
	v_add_co_u32_e32 v4, vcc, v7, v4
	v_addc_co_u32_e32 v5, vcc, v6, v5, vcc
	v_lshlrev_b32_e32 v6, 3, v8
	v_add_co_u32_e32 v6, vcc, v6, v4
	v_addc_co_u32_e32 v7, vcc, 0, v5, vcc
	v_add_co_u32_e32 v6, vcc, -8, v6
	v_addc_co_u32_e32 v7, vcc, -1, v7, vcc
	v_cmp_eq_u32_e32 vcc, 0, v39
	v_cmp_ne_u32_e64 s[28:29], 0, v39
	v_cndmask_b32_e64 v39, 1, 2, vcc
	v_cmp_eq_u32_e32 vcc, 0, v38
	v_cmp_ne_u32_e64 s[26:27], 0, v38
	v_cndmask_b32_e64 v38, 1, 2, vcc
	v_cmp_eq_u32_e32 vcc, 0, v9
	v_and_b32_e32 v38, v38, v39
	v_cmp_ne_u32_e64 s[24:25], 0, v9
	v_cndmask_b32_e64 v9, 1, 2, vcc
	v_cmp_eq_u32_e32 vcc, 0, v10
	v_and_b32_e32 v9, v38, v9
	;; [unrolled: 4-line block ×3, first 2 shown]
	v_cndmask_b32_e64 v10, 1, 2, vcc
	v_cmp_eq_u32_e32 vcc, 0, v12
	v_and_b32_e32 v9, v9, v10
	v_cndmask_b32_e64 v10, 1, 2, vcc
	v_cmp_eq_u32_e32 vcc, 0, v13
	v_and_b32_e32 v9, v9, v10
	;; [unrolled: 3-line block ×10, first 2 shown]
	v_cndmask_b32_e64 v10, 1, 2, vcc
	v_and_b32_e32 v9, v9, v10
	v_cmp_gt_u32_e32 vcc, s38, v1
	v_add_u32_e32 v8, v50, v8
	v_cmp_ne_u32_e64 s[20:21], 0, v11
	v_cmp_ne_u32_e64 s[18:19], 0, v12
	;; [unrolled: 1-line block ×11, first 2 shown]
	s_mov_b64 s[34:35], -1
	v_cmp_gt_i16_e64 s[30:31], 2, v9
	s_barrier
	s_cbranch_vccz .LBB888_265
; %bb.228:
	s_and_saveexec_b64 s[34:35], s[30:31]
	s_cbranch_execz .LBB888_264
; %bb.229:
	v_cmp_ne_u16_e32 vcc, 1, v9
	s_mov_b64 s[36:37], 0
	s_and_saveexec_b64 s[30:31], vcc
	s_xor_b64 s[30:31], exec, s[30:31]
	s_cbranch_execz .LBB888_244
; %bb.230:
	s_and_saveexec_b64 s[36:37], s[28:29]
	s_cbranch_execz .LBB888_247
; %bb.231:
	v_sub_u32_e32 v10, v99, v8
	v_mov_b32_e32 v11, 0
	v_lshlrev_b64 v[10:11], 3, v[10:11]
	v_add_co_u32_e32 v10, vcc, v6, v10
	v_addc_co_u32_e32 v11, vcc, v7, v11, vcc
	global_store_dwordx2 v[10:11], v[76:77], off
	s_or_b64 exec, exec, s[36:37]
	s_and_saveexec_b64 s[36:37], s[26:27]
	s_cbranch_execnz .LBB888_248
.LBB888_232:
	s_or_b64 exec, exec, s[36:37]
	s_and_saveexec_b64 s[36:37], s[24:25]
	s_cbranch_execz .LBB888_249
.LBB888_233:
	v_sub_u32_e32 v10, v32, v8
	v_mov_b32_e32 v11, 0
	v_lshlrev_b64 v[10:11], 3, v[10:11]
	v_add_co_u32_e32 v10, vcc, v6, v10
	v_addc_co_u32_e32 v11, vcc, v7, v11, vcc
	global_store_dwordx2 v[10:11], v[54:55], off
	s_or_b64 exec, exec, s[36:37]
	s_and_saveexec_b64 s[36:37], s[22:23]
	s_cbranch_execnz .LBB888_250
.LBB888_234:
	s_or_b64 exec, exec, s[36:37]
	s_and_saveexec_b64 s[36:37], s[20:21]
	s_cbranch_execz .LBB888_251
.LBB888_235:
	v_sub_u32_e32 v10, v30, v8
	v_mov_b32_e32 v11, 0
	v_lshlrev_b64 v[10:11], 3, v[10:11]
	v_add_co_u32_e32 v10, vcc, v6, v10
	v_addc_co_u32_e32 v11, vcc, v7, v11, vcc
	global_store_dwordx2 v[10:11], v[58:59], off
	s_or_b64 exec, exec, s[36:37]
	s_and_saveexec_b64 s[36:37], s[18:19]
	s_cbranch_execnz .LBB888_252
.LBB888_236:
	s_or_b64 exec, exec, s[36:37]
	s_and_saveexec_b64 s[36:37], s[16:17]
	s_cbranch_execz .LBB888_253
.LBB888_237:
	v_sub_u32_e32 v10, v28, v8
	v_mov_b32_e32 v11, 0
	v_lshlrev_b64 v[10:11], 3, v[10:11]
	v_add_co_u32_e32 v10, vcc, v6, v10
	v_addc_co_u32_e32 v11, vcc, v7, v11, vcc
	global_store_dwordx2 v[10:11], v[62:63], off
	s_or_b64 exec, exec, s[36:37]
	s_and_saveexec_b64 s[36:37], s[14:15]
	s_cbranch_execnz .LBB888_254
.LBB888_238:
	s_or_b64 exec, exec, s[36:37]
	s_and_saveexec_b64 s[36:37], s[12:13]
	s_cbranch_execz .LBB888_255
.LBB888_239:
	v_sub_u32_e32 v10, v26, v8
	v_mov_b32_e32 v11, 0
	v_lshlrev_b64 v[10:11], 3, v[10:11]
	v_add_co_u32_e32 v10, vcc, v6, v10
	v_addc_co_u32_e32 v11, vcc, v7, v11, vcc
	global_store_dwordx2 v[10:11], v[66:67], off
	s_or_b64 exec, exec, s[36:37]
	s_and_saveexec_b64 s[36:37], s[10:11]
	s_cbranch_execnz .LBB888_256
.LBB888_240:
	s_or_b64 exec, exec, s[36:37]
	s_and_saveexec_b64 s[36:37], s[8:9]
	s_cbranch_execz .LBB888_257
.LBB888_241:
	v_sub_u32_e32 v10, v24, v8
	v_mov_b32_e32 v11, 0
	v_lshlrev_b64 v[10:11], 3, v[10:11]
	v_add_co_u32_e32 v10, vcc, v6, v10
	v_addc_co_u32_e32 v11, vcc, v7, v11, vcc
	global_store_dwordx2 v[10:11], v[70:71], off
	s_or_b64 exec, exec, s[36:37]
	s_and_saveexec_b64 s[36:37], s[6:7]
	s_cbranch_execnz .LBB888_258
.LBB888_242:
	s_or_b64 exec, exec, s[36:37]
	s_and_saveexec_b64 s[36:37], s[4:5]
	s_cbranch_execz .LBB888_259
.LBB888_243:
	v_sub_u32_e32 v10, v22, v8
	v_mov_b32_e32 v11, 0
	v_lshlrev_b64 v[10:11], 3, v[10:11]
	v_add_co_u32_e32 v10, vcc, v6, v10
	v_addc_co_u32_e32 v11, vcc, v7, v11, vcc
	global_store_dwordx2 v[10:11], v[74:75], off
	s_or_b64 exec, exec, s[36:37]
	s_and_saveexec_b64 s[36:37], s[2:3]
	s_cbranch_execnz .LBB888_260
	s_branch .LBB888_261
.LBB888_244:
	s_andn2_saveexec_b64 s[30:31], s[30:31]
	s_cbranch_execz .LBB888_262
.LBB888_245:
	v_sub_u32_e32 v10, v99, v8
	v_mov_b32_e32 v11, 0
	v_lshlrev_b64 v[12:13], 3, v[10:11]
	v_add_co_u32_e32 v12, vcc, v6, v12
	v_addc_co_u32_e32 v13, vcc, v7, v13, vcc
	v_sub_u32_e32 v10, v33, v8
	global_store_dwordx2 v[12:13], v[76:77], off
	v_lshlrev_b64 v[12:13], 3, v[10:11]
	v_add_co_u32_e32 v12, vcc, v6, v12
	v_addc_co_u32_e32 v13, vcc, v7, v13, vcc
	v_sub_u32_e32 v10, v32, v8
	global_store_dwordx2 v[12:13], v[52:53], off
	;; [unrolled: 5-line block ×12, first 2 shown]
	v_lshlrev_b64 v[12:13], 3, v[10:11]
	v_add_co_u32_e32 v12, vcc, v6, v12
	v_sub_u32_e32 v10, v21, v8
	v_addc_co_u32_e32 v13, vcc, v7, v13, vcc
	v_lshlrev_b64 v[10:11], 3, v[10:11]
	v_add_co_u32_e32 v10, vcc, v6, v10
	v_addc_co_u32_e32 v11, vcc, v7, v11, vcc
	s_or_b64 s[36:37], s[36:37], exec
	global_store_dwordx2 v[12:13], v[74:75], off
	global_store_dwordx2 v[10:11], v[78:79], off
	s_or_b64 exec, exec, s[30:31]
	s_and_b64 exec, exec, s[36:37]
	s_cbranch_execnz .LBB888_263
	s_branch .LBB888_264
.LBB888_246:
	s_or_b64 exec, exec, s[8:9]
	v_mov_b32_e32 v96, s12
	s_and_saveexec_b64 s[2:3], s[6:7]
	s_cbranch_execnz .LBB888_76
	s_branch .LBB888_77
.LBB888_247:
	s_or_b64 exec, exec, s[36:37]
	s_and_saveexec_b64 s[36:37], s[26:27]
	s_cbranch_execz .LBB888_232
.LBB888_248:
	v_sub_u32_e32 v10, v33, v8
	v_mov_b32_e32 v11, 0
	v_lshlrev_b64 v[10:11], 3, v[10:11]
	v_add_co_u32_e32 v10, vcc, v6, v10
	v_addc_co_u32_e32 v11, vcc, v7, v11, vcc
	global_store_dwordx2 v[10:11], v[52:53], off
	s_or_b64 exec, exec, s[36:37]
	s_and_saveexec_b64 s[36:37], s[24:25]
	s_cbranch_execnz .LBB888_233
.LBB888_249:
	s_or_b64 exec, exec, s[36:37]
	s_and_saveexec_b64 s[36:37], s[22:23]
	s_cbranch_execz .LBB888_234
.LBB888_250:
	v_sub_u32_e32 v10, v31, v8
	v_mov_b32_e32 v11, 0
	v_lshlrev_b64 v[10:11], 3, v[10:11]
	v_add_co_u32_e32 v10, vcc, v6, v10
	v_addc_co_u32_e32 v11, vcc, v7, v11, vcc
	global_store_dwordx2 v[10:11], v[56:57], off
	s_or_b64 exec, exec, s[36:37]
	s_and_saveexec_b64 s[36:37], s[20:21]
	s_cbranch_execnz .LBB888_235
.LBB888_251:
	s_or_b64 exec, exec, s[36:37]
	s_and_saveexec_b64 s[36:37], s[18:19]
	s_cbranch_execz .LBB888_236
.LBB888_252:
	v_sub_u32_e32 v10, v29, v8
	v_mov_b32_e32 v11, 0
	v_lshlrev_b64 v[10:11], 3, v[10:11]
	v_add_co_u32_e32 v10, vcc, v6, v10
	v_addc_co_u32_e32 v11, vcc, v7, v11, vcc
	global_store_dwordx2 v[10:11], v[60:61], off
	s_or_b64 exec, exec, s[36:37]
	s_and_saveexec_b64 s[36:37], s[16:17]
	s_cbranch_execnz .LBB888_237
.LBB888_253:
	s_or_b64 exec, exec, s[36:37]
	s_and_saveexec_b64 s[36:37], s[14:15]
	s_cbranch_execz .LBB888_238
.LBB888_254:
	v_sub_u32_e32 v10, v27, v8
	v_mov_b32_e32 v11, 0
	v_lshlrev_b64 v[10:11], 3, v[10:11]
	v_add_co_u32_e32 v10, vcc, v6, v10
	v_addc_co_u32_e32 v11, vcc, v7, v11, vcc
	global_store_dwordx2 v[10:11], v[64:65], off
	s_or_b64 exec, exec, s[36:37]
	s_and_saveexec_b64 s[36:37], s[12:13]
	s_cbranch_execnz .LBB888_239
.LBB888_255:
	s_or_b64 exec, exec, s[36:37]
	s_and_saveexec_b64 s[36:37], s[10:11]
	s_cbranch_execz .LBB888_240
.LBB888_256:
	v_sub_u32_e32 v10, v25, v8
	v_mov_b32_e32 v11, 0
	v_lshlrev_b64 v[10:11], 3, v[10:11]
	v_add_co_u32_e32 v10, vcc, v6, v10
	v_addc_co_u32_e32 v11, vcc, v7, v11, vcc
	global_store_dwordx2 v[10:11], v[68:69], off
	s_or_b64 exec, exec, s[36:37]
	s_and_saveexec_b64 s[36:37], s[8:9]
	s_cbranch_execnz .LBB888_241
.LBB888_257:
	s_or_b64 exec, exec, s[36:37]
	s_and_saveexec_b64 s[36:37], s[6:7]
	s_cbranch_execz .LBB888_242
.LBB888_258:
	v_sub_u32_e32 v10, v23, v8
	v_mov_b32_e32 v11, 0
	v_lshlrev_b64 v[10:11], 3, v[10:11]
	v_add_co_u32_e32 v10, vcc, v6, v10
	v_addc_co_u32_e32 v11, vcc, v7, v11, vcc
	global_store_dwordx2 v[10:11], v[72:73], off
	s_or_b64 exec, exec, s[36:37]
	s_and_saveexec_b64 s[36:37], s[4:5]
	s_cbranch_execnz .LBB888_243
.LBB888_259:
	s_or_b64 exec, exec, s[36:37]
	s_and_saveexec_b64 s[36:37], s[2:3]
	s_cbranch_execz .LBB888_261
.LBB888_260:
	v_sub_u32_e32 v10, v21, v8
	v_mov_b32_e32 v11, 0
	v_lshlrev_b64 v[10:11], 3, v[10:11]
	v_add_co_u32_e32 v10, vcc, v6, v10
	v_addc_co_u32_e32 v11, vcc, v7, v11, vcc
	global_store_dwordx2 v[10:11], v[78:79], off
.LBB888_261:
	s_or_b64 exec, exec, s[36:37]
	s_and_b64 s[36:37], s[0:1], exec
	s_andn2_saveexec_b64 s[30:31], s[30:31]
	s_cbranch_execnz .LBB888_245
.LBB888_262:
	s_or_b64 exec, exec, s[30:31]
	s_and_b64 exec, exec, s[36:37]
	s_cbranch_execz .LBB888_264
.LBB888_263:
	v_sub_u32_e32 v10, v20, v8
	v_mov_b32_e32 v11, 0
	v_lshlrev_b64 v[10:11], 3, v[10:11]
	v_add_co_u32_e32 v10, vcc, v6, v10
	v_addc_co_u32_e32 v11, vcc, v7, v11, vcc
	global_store_dwordx2 v[10:11], v[2:3], off
.LBB888_264:
	s_or_b64 exec, exec, s[34:35]
	s_mov_b64 s[34:35], 0
.LBB888_265:
	s_and_b64 vcc, exec, s[34:35]
	s_cbranch_vccz .LBB888_305
; %bb.266:
	v_cmp_gt_i16_e32 vcc, 2, v9
	s_and_saveexec_b64 s[30:31], vcc
	s_cbranch_execz .LBB888_301
; %bb.267:
	v_cmp_ne_u16_e32 vcc, 1, v9
	s_mov_b64 s[36:37], 0
	s_and_saveexec_b64 s[34:35], vcc
	s_xor_b64 s[34:35], exec, s[34:35]
	s_cbranch_execz .LBB888_282
; %bb.268:
	s_and_saveexec_b64 s[36:37], s[28:29]
	s_cbranch_execz .LBB888_284
; %bb.269:
	v_sub_u32_e32 v9, v99, v8
	v_lshlrev_b32_e32 v9, 3, v9
	ds_write_b64 v9, v[76:77]
	s_or_b64 exec, exec, s[36:37]
	s_and_saveexec_b64 s[28:29], s[26:27]
	s_cbranch_execnz .LBB888_285
.LBB888_270:
	s_or_b64 exec, exec, s[28:29]
	s_and_saveexec_b64 s[26:27], s[24:25]
	s_cbranch_execz .LBB888_286
.LBB888_271:
	v_sub_u32_e32 v9, v32, v8
	v_lshlrev_b32_e32 v9, 3, v9
	ds_write_b64 v9, v[54:55]
	s_or_b64 exec, exec, s[26:27]
	s_and_saveexec_b64 s[24:25], s[22:23]
	s_cbranch_execnz .LBB888_287
.LBB888_272:
	s_or_b64 exec, exec, s[24:25]
	s_and_saveexec_b64 s[22:23], s[20:21]
	s_cbranch_execz .LBB888_288
.LBB888_273:
	v_sub_u32_e32 v9, v30, v8
	v_lshlrev_b32_e32 v9, 3, v9
	ds_write_b64 v9, v[58:59]
	s_or_b64 exec, exec, s[22:23]
	s_and_saveexec_b64 s[20:21], s[18:19]
	s_cbranch_execnz .LBB888_289
.LBB888_274:
	s_or_b64 exec, exec, s[20:21]
	s_and_saveexec_b64 s[18:19], s[16:17]
	s_cbranch_execz .LBB888_290
.LBB888_275:
	v_sub_u32_e32 v9, v28, v8
	v_lshlrev_b32_e32 v9, 3, v9
	ds_write_b64 v9, v[62:63]
	s_or_b64 exec, exec, s[18:19]
	s_and_saveexec_b64 s[16:17], s[14:15]
	s_cbranch_execnz .LBB888_291
.LBB888_276:
	s_or_b64 exec, exec, s[16:17]
	s_and_saveexec_b64 s[14:15], s[12:13]
	s_cbranch_execz .LBB888_292
.LBB888_277:
	v_sub_u32_e32 v9, v26, v8
	v_lshlrev_b32_e32 v9, 3, v9
	ds_write_b64 v9, v[66:67]
	s_or_b64 exec, exec, s[14:15]
	s_and_saveexec_b64 s[12:13], s[10:11]
	s_cbranch_execnz .LBB888_293
.LBB888_278:
	s_or_b64 exec, exec, s[12:13]
	s_and_saveexec_b64 s[10:11], s[8:9]
	s_cbranch_execz .LBB888_294
.LBB888_279:
	v_sub_u32_e32 v9, v24, v8
	v_lshlrev_b32_e32 v9, 3, v9
	ds_write_b64 v9, v[70:71]
	s_or_b64 exec, exec, s[10:11]
	s_and_saveexec_b64 s[8:9], s[6:7]
	s_cbranch_execnz .LBB888_295
.LBB888_280:
	s_or_b64 exec, exec, s[8:9]
	s_and_saveexec_b64 s[6:7], s[4:5]
	s_cbranch_execz .LBB888_296
.LBB888_281:
	v_sub_u32_e32 v9, v22, v8
	v_lshlrev_b32_e32 v9, 3, v9
	ds_write_b64 v9, v[74:75]
	s_or_b64 exec, exec, s[6:7]
	s_and_saveexec_b64 s[4:5], s[2:3]
	s_cbranch_execnz .LBB888_297
	s_branch .LBB888_298
.LBB888_282:
	s_andn2_saveexec_b64 s[0:1], s[34:35]
	s_cbranch_execz .LBB888_299
.LBB888_283:
	v_sub_u32_e32 v9, v99, v8
	v_lshlrev_b32_e32 v9, 3, v9
	ds_write_b64 v9, v[76:77]
	v_sub_u32_e32 v9, v33, v8
	v_lshlrev_b32_e32 v9, 3, v9
	ds_write_b64 v9, v[52:53]
	;; [unrolled: 3-line block ×13, first 2 shown]
	v_sub_u32_e32 v9, v21, v8
	v_lshlrev_b32_e32 v9, 3, v9
	s_or_b64 s[36:37], s[36:37], exec
	ds_write_b64 v9, v[78:79]
	s_or_b64 exec, exec, s[0:1]
	s_and_b64 exec, exec, s[36:37]
	s_cbranch_execnz .LBB888_300
	s_branch .LBB888_301
.LBB888_284:
	s_or_b64 exec, exec, s[36:37]
	s_and_saveexec_b64 s[28:29], s[26:27]
	s_cbranch_execz .LBB888_270
.LBB888_285:
	v_sub_u32_e32 v9, v33, v8
	v_lshlrev_b32_e32 v9, 3, v9
	ds_write_b64 v9, v[52:53]
	s_or_b64 exec, exec, s[28:29]
	s_and_saveexec_b64 s[26:27], s[24:25]
	s_cbranch_execnz .LBB888_271
.LBB888_286:
	s_or_b64 exec, exec, s[26:27]
	s_and_saveexec_b64 s[24:25], s[22:23]
	s_cbranch_execz .LBB888_272
.LBB888_287:
	v_sub_u32_e32 v9, v31, v8
	v_lshlrev_b32_e32 v9, 3, v9
	ds_write_b64 v9, v[56:57]
	s_or_b64 exec, exec, s[24:25]
	s_and_saveexec_b64 s[22:23], s[20:21]
	s_cbranch_execnz .LBB888_273
.LBB888_288:
	s_or_b64 exec, exec, s[22:23]
	s_and_saveexec_b64 s[20:21], s[18:19]
	s_cbranch_execz .LBB888_274
.LBB888_289:
	v_sub_u32_e32 v9, v29, v8
	v_lshlrev_b32_e32 v9, 3, v9
	ds_write_b64 v9, v[60:61]
	s_or_b64 exec, exec, s[20:21]
	s_and_saveexec_b64 s[18:19], s[16:17]
	s_cbranch_execnz .LBB888_275
.LBB888_290:
	s_or_b64 exec, exec, s[18:19]
	s_and_saveexec_b64 s[16:17], s[14:15]
	s_cbranch_execz .LBB888_276
.LBB888_291:
	v_sub_u32_e32 v9, v27, v8
	v_lshlrev_b32_e32 v9, 3, v9
	ds_write_b64 v9, v[64:65]
	s_or_b64 exec, exec, s[16:17]
	s_and_saveexec_b64 s[14:15], s[12:13]
	s_cbranch_execnz .LBB888_277
.LBB888_292:
	s_or_b64 exec, exec, s[14:15]
	s_and_saveexec_b64 s[12:13], s[10:11]
	s_cbranch_execz .LBB888_278
.LBB888_293:
	v_sub_u32_e32 v9, v25, v8
	v_lshlrev_b32_e32 v9, 3, v9
	ds_write_b64 v9, v[68:69]
	s_or_b64 exec, exec, s[12:13]
	s_and_saveexec_b64 s[10:11], s[8:9]
	s_cbranch_execnz .LBB888_279
.LBB888_294:
	s_or_b64 exec, exec, s[10:11]
	s_and_saveexec_b64 s[8:9], s[6:7]
	s_cbranch_execz .LBB888_280
.LBB888_295:
	v_sub_u32_e32 v9, v23, v8
	v_lshlrev_b32_e32 v9, 3, v9
	ds_write_b64 v9, v[72:73]
	s_or_b64 exec, exec, s[8:9]
	s_and_saveexec_b64 s[6:7], s[4:5]
	s_cbranch_execnz .LBB888_281
.LBB888_296:
	s_or_b64 exec, exec, s[6:7]
	s_and_saveexec_b64 s[4:5], s[2:3]
	s_cbranch_execz .LBB888_298
.LBB888_297:
	v_sub_u32_e32 v9, v21, v8
	v_lshlrev_b32_e32 v9, 3, v9
	ds_write_b64 v9, v[78:79]
.LBB888_298:
	s_or_b64 exec, exec, s[4:5]
	s_and_b64 s[36:37], s[0:1], exec
                                        ; implicit-def: $vgpr76_vgpr77
                                        ; implicit-def: $vgpr52_vgpr53
                                        ; implicit-def: $vgpr54_vgpr55
                                        ; implicit-def: $vgpr56_vgpr57
                                        ; implicit-def: $vgpr58_vgpr59
                                        ; implicit-def: $vgpr60_vgpr61
                                        ; implicit-def: $vgpr62_vgpr63
                                        ; implicit-def: $vgpr64_vgpr65
                                        ; implicit-def: $vgpr66_vgpr67
                                        ; implicit-def: $vgpr68_vgpr69
                                        ; implicit-def: $vgpr70_vgpr71
                                        ; implicit-def: $vgpr72_vgpr73
                                        ; implicit-def: $vgpr74_vgpr75
                                        ; implicit-def: $vgpr78_vgpr79
                                        ; implicit-def: $vgpr99
                                        ; implicit-def: $vgpr33
                                        ; implicit-def: $vgpr32
                                        ; implicit-def: $vgpr31
                                        ; implicit-def: $vgpr30
                                        ; implicit-def: $vgpr29
                                        ; implicit-def: $vgpr28
                                        ; implicit-def: $vgpr27
                                        ; implicit-def: $vgpr26
                                        ; implicit-def: $vgpr25
                                        ; implicit-def: $vgpr24
                                        ; implicit-def: $vgpr23
                                        ; implicit-def: $vgpr22
                                        ; implicit-def: $vgpr21
	s_andn2_saveexec_b64 s[0:1], s[34:35]
	s_cbranch_execnz .LBB888_283
.LBB888_299:
	s_or_b64 exec, exec, s[0:1]
	s_and_b64 exec, exec, s[36:37]
	s_cbranch_execz .LBB888_301
.LBB888_300:
	v_sub_u32_e32 v8, v20, v8
	v_lshlrev_b32_e32 v8, 3, v8
	ds_write_b64 v8, v[2:3]
.LBB888_301:
	s_or_b64 exec, exec, s[30:31]
	v_cmp_lt_u32_e32 vcc, v0, v1
	s_waitcnt lgkmcnt(0)
	s_barrier
	s_and_saveexec_b64 s[0:1], vcc
	s_cbranch_execz .LBB888_304
; %bb.302:
	v_lshlrev_b32_e32 v8, 3, v0
	s_mov_b64 s[2:3], 0
	v_mov_b32_e32 v3, 0
	v_mov_b32_e32 v2, v0
.LBB888_303:                            ; =>This Inner Loop Header: Depth=1
	v_lshlrev_b64 v[10:11], 3, v[2:3]
	ds_read_b64 v[12:13], v8
	v_add_co_u32_e32 v10, vcc, v6, v10
	v_add_u32_e32 v2, 0x100, v2
	v_addc_co_u32_e32 v11, vcc, v7, v11, vcc
	v_cmp_ge_u32_e32 vcc, v2, v1
	v_add_u32_e32 v8, 0x800, v8
	s_or_b64 s[2:3], vcc, s[2:3]
	s_waitcnt lgkmcnt(0)
	global_store_dwordx2 v[10:11], v[12:13], off
	s_andn2_b64 exec, exec, s[2:3]
	s_cbranch_execnz .LBB888_303
.LBB888_304:
	s_or_b64 exec, exec, s[0:1]
.LBB888_305:
	s_movk_i32 s0, 0xff
	v_cmp_eq_u32_e32 vcc, s0, v0
	s_and_b64 s[0:1], vcc, s[44:45]
	s_and_saveexec_b64 s[2:3], s[0:1]
	s_cbranch_execz .LBB888_308
; %bb.306:
	v_add_co_u32_e32 v0, vcc, v46, v50
	v_addc_co_u32_e64 v1, s[0:1], 0, 0, vcc
	v_add_co_u32_e32 v0, vcc, v0, v18
	v_mov_b32_e32 v47, 0
	v_addc_co_u32_e32 v1, vcc, v1, v19, vcc
	s_cmpk_lg_i32 s33, 0xf00
	global_store_dwordx2 v47, v[0:1], s[54:55]
	s_cbranch_scc1 .LBB888_308
; %bb.307:
	v_lshlrev_b64 v[0:1], 3, v[46:47]
	v_add_co_u32_e32 v0, vcc, v4, v0
	v_addc_co_u32_e32 v1, vcc, v5, v1, vcc
	global_store_dwordx2 v[0:1], v[48:49], off offset:-8
.LBB888_308:
	s_endpgm
	.section	.rodata,"a",@progbits
	.p2align	6, 0x0
	.amdhsa_kernel _ZN7rocprim17ROCPRIM_400000_NS6detail17trampoline_kernelINS0_14default_configENS1_29reduce_by_key_config_selectorIjyN6thrust23THRUST_200600_302600_NS4plusIyEEEEZZNS1_33reduce_by_key_impl_wrapped_configILNS1_25lookback_scan_determinismE0ES3_S9_NS6_6detail15normal_iteratorINS6_10device_ptrIjEEEENSD_INSE_IyEEEENS6_16discard_iteratorINS6_11use_defaultEEESI_PmS8_NS6_8equal_toIjEEEE10hipError_tPvRmT2_T3_mT4_T5_T6_T7_T8_P12ihipStream_tbENKUlT_T0_E_clISt17integral_constantIbLb1EES16_EEDaS11_S12_EUlS11_E_NS1_11comp_targetILNS1_3genE4ELNS1_11target_archE910ELNS1_3gpuE8ELNS1_3repE0EEENS1_30default_config_static_selectorELNS0_4arch9wavefront6targetE1EEEvT1_
		.amdhsa_group_segment_fixed_size 30720
		.amdhsa_private_segment_fixed_size 0
		.amdhsa_kernarg_size 144
		.amdhsa_user_sgpr_count 6
		.amdhsa_user_sgpr_private_segment_buffer 1
		.amdhsa_user_sgpr_dispatch_ptr 0
		.amdhsa_user_sgpr_queue_ptr 0
		.amdhsa_user_sgpr_kernarg_segment_ptr 1
		.amdhsa_user_sgpr_dispatch_id 0
		.amdhsa_user_sgpr_flat_scratch_init 0
		.amdhsa_user_sgpr_kernarg_preload_length 0
		.amdhsa_user_sgpr_kernarg_preload_offset 0
		.amdhsa_user_sgpr_private_segment_size 0
		.amdhsa_uses_dynamic_stack 0
		.amdhsa_system_sgpr_private_segment_wavefront_offset 0
		.amdhsa_system_sgpr_workgroup_id_x 1
		.amdhsa_system_sgpr_workgroup_id_y 0
		.amdhsa_system_sgpr_workgroup_id_z 0
		.amdhsa_system_sgpr_workgroup_info 0
		.amdhsa_system_vgpr_workitem_id 0
		.amdhsa_next_free_vgpr 102
		.amdhsa_next_free_sgpr 63
		.amdhsa_accum_offset 104
		.amdhsa_reserve_vcc 1
		.amdhsa_reserve_flat_scratch 0
		.amdhsa_float_round_mode_32 0
		.amdhsa_float_round_mode_16_64 0
		.amdhsa_float_denorm_mode_32 3
		.amdhsa_float_denorm_mode_16_64 3
		.amdhsa_dx10_clamp 1
		.amdhsa_ieee_mode 1
		.amdhsa_fp16_overflow 0
		.amdhsa_tg_split 0
		.amdhsa_exception_fp_ieee_invalid_op 0
		.amdhsa_exception_fp_denorm_src 0
		.amdhsa_exception_fp_ieee_div_zero 0
		.amdhsa_exception_fp_ieee_overflow 0
		.amdhsa_exception_fp_ieee_underflow 0
		.amdhsa_exception_fp_ieee_inexact 0
		.amdhsa_exception_int_div_zero 0
	.end_amdhsa_kernel
	.section	.text._ZN7rocprim17ROCPRIM_400000_NS6detail17trampoline_kernelINS0_14default_configENS1_29reduce_by_key_config_selectorIjyN6thrust23THRUST_200600_302600_NS4plusIyEEEEZZNS1_33reduce_by_key_impl_wrapped_configILNS1_25lookback_scan_determinismE0ES3_S9_NS6_6detail15normal_iteratorINS6_10device_ptrIjEEEENSD_INSE_IyEEEENS6_16discard_iteratorINS6_11use_defaultEEESI_PmS8_NS6_8equal_toIjEEEE10hipError_tPvRmT2_T3_mT4_T5_T6_T7_T8_P12ihipStream_tbENKUlT_T0_E_clISt17integral_constantIbLb1EES16_EEDaS11_S12_EUlS11_E_NS1_11comp_targetILNS1_3genE4ELNS1_11target_archE910ELNS1_3gpuE8ELNS1_3repE0EEENS1_30default_config_static_selectorELNS0_4arch9wavefront6targetE1EEEvT1_,"axG",@progbits,_ZN7rocprim17ROCPRIM_400000_NS6detail17trampoline_kernelINS0_14default_configENS1_29reduce_by_key_config_selectorIjyN6thrust23THRUST_200600_302600_NS4plusIyEEEEZZNS1_33reduce_by_key_impl_wrapped_configILNS1_25lookback_scan_determinismE0ES3_S9_NS6_6detail15normal_iteratorINS6_10device_ptrIjEEEENSD_INSE_IyEEEENS6_16discard_iteratorINS6_11use_defaultEEESI_PmS8_NS6_8equal_toIjEEEE10hipError_tPvRmT2_T3_mT4_T5_T6_T7_T8_P12ihipStream_tbENKUlT_T0_E_clISt17integral_constantIbLb1EES16_EEDaS11_S12_EUlS11_E_NS1_11comp_targetILNS1_3genE4ELNS1_11target_archE910ELNS1_3gpuE8ELNS1_3repE0EEENS1_30default_config_static_selectorELNS0_4arch9wavefront6targetE1EEEvT1_,comdat
.Lfunc_end888:
	.size	_ZN7rocprim17ROCPRIM_400000_NS6detail17trampoline_kernelINS0_14default_configENS1_29reduce_by_key_config_selectorIjyN6thrust23THRUST_200600_302600_NS4plusIyEEEEZZNS1_33reduce_by_key_impl_wrapped_configILNS1_25lookback_scan_determinismE0ES3_S9_NS6_6detail15normal_iteratorINS6_10device_ptrIjEEEENSD_INSE_IyEEEENS6_16discard_iteratorINS6_11use_defaultEEESI_PmS8_NS6_8equal_toIjEEEE10hipError_tPvRmT2_T3_mT4_T5_T6_T7_T8_P12ihipStream_tbENKUlT_T0_E_clISt17integral_constantIbLb1EES16_EEDaS11_S12_EUlS11_E_NS1_11comp_targetILNS1_3genE4ELNS1_11target_archE910ELNS1_3gpuE8ELNS1_3repE0EEENS1_30default_config_static_selectorELNS0_4arch9wavefront6targetE1EEEvT1_, .Lfunc_end888-_ZN7rocprim17ROCPRIM_400000_NS6detail17trampoline_kernelINS0_14default_configENS1_29reduce_by_key_config_selectorIjyN6thrust23THRUST_200600_302600_NS4plusIyEEEEZZNS1_33reduce_by_key_impl_wrapped_configILNS1_25lookback_scan_determinismE0ES3_S9_NS6_6detail15normal_iteratorINS6_10device_ptrIjEEEENSD_INSE_IyEEEENS6_16discard_iteratorINS6_11use_defaultEEESI_PmS8_NS6_8equal_toIjEEEE10hipError_tPvRmT2_T3_mT4_T5_T6_T7_T8_P12ihipStream_tbENKUlT_T0_E_clISt17integral_constantIbLb1EES16_EEDaS11_S12_EUlS11_E_NS1_11comp_targetILNS1_3genE4ELNS1_11target_archE910ELNS1_3gpuE8ELNS1_3repE0EEENS1_30default_config_static_selectorELNS0_4arch9wavefront6targetE1EEEvT1_
                                        ; -- End function
	.section	.AMDGPU.csdata,"",@progbits
; Kernel info:
; codeLenInByte = 15716
; NumSgprs: 67
; NumVgprs: 102
; NumAgprs: 0
; TotalNumVgprs: 102
; ScratchSize: 0
; MemoryBound: 0
; FloatMode: 240
; IeeeMode: 1
; LDSByteSize: 30720 bytes/workgroup (compile time only)
; SGPRBlocks: 8
; VGPRBlocks: 12
; NumSGPRsForWavesPerEU: 67
; NumVGPRsForWavesPerEU: 102
; AccumOffset: 104
; Occupancy: 2
; WaveLimiterHint : 1
; COMPUTE_PGM_RSRC2:SCRATCH_EN: 0
; COMPUTE_PGM_RSRC2:USER_SGPR: 6
; COMPUTE_PGM_RSRC2:TRAP_HANDLER: 0
; COMPUTE_PGM_RSRC2:TGID_X_EN: 1
; COMPUTE_PGM_RSRC2:TGID_Y_EN: 0
; COMPUTE_PGM_RSRC2:TGID_Z_EN: 0
; COMPUTE_PGM_RSRC2:TIDIG_COMP_CNT: 0
; COMPUTE_PGM_RSRC3_GFX90A:ACCUM_OFFSET: 25
; COMPUTE_PGM_RSRC3_GFX90A:TG_SPLIT: 0
	.section	.text._ZN7rocprim17ROCPRIM_400000_NS6detail17trampoline_kernelINS0_14default_configENS1_29reduce_by_key_config_selectorIjyN6thrust23THRUST_200600_302600_NS4plusIyEEEEZZNS1_33reduce_by_key_impl_wrapped_configILNS1_25lookback_scan_determinismE0ES3_S9_NS6_6detail15normal_iteratorINS6_10device_ptrIjEEEENSD_INSE_IyEEEENS6_16discard_iteratorINS6_11use_defaultEEESI_PmS8_NS6_8equal_toIjEEEE10hipError_tPvRmT2_T3_mT4_T5_T6_T7_T8_P12ihipStream_tbENKUlT_T0_E_clISt17integral_constantIbLb1EES16_EEDaS11_S12_EUlS11_E_NS1_11comp_targetILNS1_3genE3ELNS1_11target_archE908ELNS1_3gpuE7ELNS1_3repE0EEENS1_30default_config_static_selectorELNS0_4arch9wavefront6targetE1EEEvT1_,"axG",@progbits,_ZN7rocprim17ROCPRIM_400000_NS6detail17trampoline_kernelINS0_14default_configENS1_29reduce_by_key_config_selectorIjyN6thrust23THRUST_200600_302600_NS4plusIyEEEEZZNS1_33reduce_by_key_impl_wrapped_configILNS1_25lookback_scan_determinismE0ES3_S9_NS6_6detail15normal_iteratorINS6_10device_ptrIjEEEENSD_INSE_IyEEEENS6_16discard_iteratorINS6_11use_defaultEEESI_PmS8_NS6_8equal_toIjEEEE10hipError_tPvRmT2_T3_mT4_T5_T6_T7_T8_P12ihipStream_tbENKUlT_T0_E_clISt17integral_constantIbLb1EES16_EEDaS11_S12_EUlS11_E_NS1_11comp_targetILNS1_3genE3ELNS1_11target_archE908ELNS1_3gpuE7ELNS1_3repE0EEENS1_30default_config_static_selectorELNS0_4arch9wavefront6targetE1EEEvT1_,comdat
	.protected	_ZN7rocprim17ROCPRIM_400000_NS6detail17trampoline_kernelINS0_14default_configENS1_29reduce_by_key_config_selectorIjyN6thrust23THRUST_200600_302600_NS4plusIyEEEEZZNS1_33reduce_by_key_impl_wrapped_configILNS1_25lookback_scan_determinismE0ES3_S9_NS6_6detail15normal_iteratorINS6_10device_ptrIjEEEENSD_INSE_IyEEEENS6_16discard_iteratorINS6_11use_defaultEEESI_PmS8_NS6_8equal_toIjEEEE10hipError_tPvRmT2_T3_mT4_T5_T6_T7_T8_P12ihipStream_tbENKUlT_T0_E_clISt17integral_constantIbLb1EES16_EEDaS11_S12_EUlS11_E_NS1_11comp_targetILNS1_3genE3ELNS1_11target_archE908ELNS1_3gpuE7ELNS1_3repE0EEENS1_30default_config_static_selectorELNS0_4arch9wavefront6targetE1EEEvT1_ ; -- Begin function _ZN7rocprim17ROCPRIM_400000_NS6detail17trampoline_kernelINS0_14default_configENS1_29reduce_by_key_config_selectorIjyN6thrust23THRUST_200600_302600_NS4plusIyEEEEZZNS1_33reduce_by_key_impl_wrapped_configILNS1_25lookback_scan_determinismE0ES3_S9_NS6_6detail15normal_iteratorINS6_10device_ptrIjEEEENSD_INSE_IyEEEENS6_16discard_iteratorINS6_11use_defaultEEESI_PmS8_NS6_8equal_toIjEEEE10hipError_tPvRmT2_T3_mT4_T5_T6_T7_T8_P12ihipStream_tbENKUlT_T0_E_clISt17integral_constantIbLb1EES16_EEDaS11_S12_EUlS11_E_NS1_11comp_targetILNS1_3genE3ELNS1_11target_archE908ELNS1_3gpuE7ELNS1_3repE0EEENS1_30default_config_static_selectorELNS0_4arch9wavefront6targetE1EEEvT1_
	.globl	_ZN7rocprim17ROCPRIM_400000_NS6detail17trampoline_kernelINS0_14default_configENS1_29reduce_by_key_config_selectorIjyN6thrust23THRUST_200600_302600_NS4plusIyEEEEZZNS1_33reduce_by_key_impl_wrapped_configILNS1_25lookback_scan_determinismE0ES3_S9_NS6_6detail15normal_iteratorINS6_10device_ptrIjEEEENSD_INSE_IyEEEENS6_16discard_iteratorINS6_11use_defaultEEESI_PmS8_NS6_8equal_toIjEEEE10hipError_tPvRmT2_T3_mT4_T5_T6_T7_T8_P12ihipStream_tbENKUlT_T0_E_clISt17integral_constantIbLb1EES16_EEDaS11_S12_EUlS11_E_NS1_11comp_targetILNS1_3genE3ELNS1_11target_archE908ELNS1_3gpuE7ELNS1_3repE0EEENS1_30default_config_static_selectorELNS0_4arch9wavefront6targetE1EEEvT1_
	.p2align	8
	.type	_ZN7rocprim17ROCPRIM_400000_NS6detail17trampoline_kernelINS0_14default_configENS1_29reduce_by_key_config_selectorIjyN6thrust23THRUST_200600_302600_NS4plusIyEEEEZZNS1_33reduce_by_key_impl_wrapped_configILNS1_25lookback_scan_determinismE0ES3_S9_NS6_6detail15normal_iteratorINS6_10device_ptrIjEEEENSD_INSE_IyEEEENS6_16discard_iteratorINS6_11use_defaultEEESI_PmS8_NS6_8equal_toIjEEEE10hipError_tPvRmT2_T3_mT4_T5_T6_T7_T8_P12ihipStream_tbENKUlT_T0_E_clISt17integral_constantIbLb1EES16_EEDaS11_S12_EUlS11_E_NS1_11comp_targetILNS1_3genE3ELNS1_11target_archE908ELNS1_3gpuE7ELNS1_3repE0EEENS1_30default_config_static_selectorELNS0_4arch9wavefront6targetE1EEEvT1_,@function
_ZN7rocprim17ROCPRIM_400000_NS6detail17trampoline_kernelINS0_14default_configENS1_29reduce_by_key_config_selectorIjyN6thrust23THRUST_200600_302600_NS4plusIyEEEEZZNS1_33reduce_by_key_impl_wrapped_configILNS1_25lookback_scan_determinismE0ES3_S9_NS6_6detail15normal_iteratorINS6_10device_ptrIjEEEENSD_INSE_IyEEEENS6_16discard_iteratorINS6_11use_defaultEEESI_PmS8_NS6_8equal_toIjEEEE10hipError_tPvRmT2_T3_mT4_T5_T6_T7_T8_P12ihipStream_tbENKUlT_T0_E_clISt17integral_constantIbLb1EES16_EEDaS11_S12_EUlS11_E_NS1_11comp_targetILNS1_3genE3ELNS1_11target_archE908ELNS1_3gpuE7ELNS1_3repE0EEENS1_30default_config_static_selectorELNS0_4arch9wavefront6targetE1EEEvT1_: ; @_ZN7rocprim17ROCPRIM_400000_NS6detail17trampoline_kernelINS0_14default_configENS1_29reduce_by_key_config_selectorIjyN6thrust23THRUST_200600_302600_NS4plusIyEEEEZZNS1_33reduce_by_key_impl_wrapped_configILNS1_25lookback_scan_determinismE0ES3_S9_NS6_6detail15normal_iteratorINS6_10device_ptrIjEEEENSD_INSE_IyEEEENS6_16discard_iteratorINS6_11use_defaultEEESI_PmS8_NS6_8equal_toIjEEEE10hipError_tPvRmT2_T3_mT4_T5_T6_T7_T8_P12ihipStream_tbENKUlT_T0_E_clISt17integral_constantIbLb1EES16_EEDaS11_S12_EUlS11_E_NS1_11comp_targetILNS1_3genE3ELNS1_11target_archE908ELNS1_3gpuE7ELNS1_3repE0EEENS1_30default_config_static_selectorELNS0_4arch9wavefront6targetE1EEEvT1_
; %bb.0:
	.section	.rodata,"a",@progbits
	.p2align	6, 0x0
	.amdhsa_kernel _ZN7rocprim17ROCPRIM_400000_NS6detail17trampoline_kernelINS0_14default_configENS1_29reduce_by_key_config_selectorIjyN6thrust23THRUST_200600_302600_NS4plusIyEEEEZZNS1_33reduce_by_key_impl_wrapped_configILNS1_25lookback_scan_determinismE0ES3_S9_NS6_6detail15normal_iteratorINS6_10device_ptrIjEEEENSD_INSE_IyEEEENS6_16discard_iteratorINS6_11use_defaultEEESI_PmS8_NS6_8equal_toIjEEEE10hipError_tPvRmT2_T3_mT4_T5_T6_T7_T8_P12ihipStream_tbENKUlT_T0_E_clISt17integral_constantIbLb1EES16_EEDaS11_S12_EUlS11_E_NS1_11comp_targetILNS1_3genE3ELNS1_11target_archE908ELNS1_3gpuE7ELNS1_3repE0EEENS1_30default_config_static_selectorELNS0_4arch9wavefront6targetE1EEEvT1_
		.amdhsa_group_segment_fixed_size 0
		.amdhsa_private_segment_fixed_size 0
		.amdhsa_kernarg_size 144
		.amdhsa_user_sgpr_count 6
		.amdhsa_user_sgpr_private_segment_buffer 1
		.amdhsa_user_sgpr_dispatch_ptr 0
		.amdhsa_user_sgpr_queue_ptr 0
		.amdhsa_user_sgpr_kernarg_segment_ptr 1
		.amdhsa_user_sgpr_dispatch_id 0
		.amdhsa_user_sgpr_flat_scratch_init 0
		.amdhsa_user_sgpr_kernarg_preload_length 0
		.amdhsa_user_sgpr_kernarg_preload_offset 0
		.amdhsa_user_sgpr_private_segment_size 0
		.amdhsa_uses_dynamic_stack 0
		.amdhsa_system_sgpr_private_segment_wavefront_offset 0
		.amdhsa_system_sgpr_workgroup_id_x 1
		.amdhsa_system_sgpr_workgroup_id_y 0
		.amdhsa_system_sgpr_workgroup_id_z 0
		.amdhsa_system_sgpr_workgroup_info 0
		.amdhsa_system_vgpr_workitem_id 0
		.amdhsa_next_free_vgpr 1
		.amdhsa_next_free_sgpr 0
		.amdhsa_accum_offset 4
		.amdhsa_reserve_vcc 0
		.amdhsa_reserve_flat_scratch 0
		.amdhsa_float_round_mode_32 0
		.amdhsa_float_round_mode_16_64 0
		.amdhsa_float_denorm_mode_32 3
		.amdhsa_float_denorm_mode_16_64 3
		.amdhsa_dx10_clamp 1
		.amdhsa_ieee_mode 1
		.amdhsa_fp16_overflow 0
		.amdhsa_tg_split 0
		.amdhsa_exception_fp_ieee_invalid_op 0
		.amdhsa_exception_fp_denorm_src 0
		.amdhsa_exception_fp_ieee_div_zero 0
		.amdhsa_exception_fp_ieee_overflow 0
		.amdhsa_exception_fp_ieee_underflow 0
		.amdhsa_exception_fp_ieee_inexact 0
		.amdhsa_exception_int_div_zero 0
	.end_amdhsa_kernel
	.section	.text._ZN7rocprim17ROCPRIM_400000_NS6detail17trampoline_kernelINS0_14default_configENS1_29reduce_by_key_config_selectorIjyN6thrust23THRUST_200600_302600_NS4plusIyEEEEZZNS1_33reduce_by_key_impl_wrapped_configILNS1_25lookback_scan_determinismE0ES3_S9_NS6_6detail15normal_iteratorINS6_10device_ptrIjEEEENSD_INSE_IyEEEENS6_16discard_iteratorINS6_11use_defaultEEESI_PmS8_NS6_8equal_toIjEEEE10hipError_tPvRmT2_T3_mT4_T5_T6_T7_T8_P12ihipStream_tbENKUlT_T0_E_clISt17integral_constantIbLb1EES16_EEDaS11_S12_EUlS11_E_NS1_11comp_targetILNS1_3genE3ELNS1_11target_archE908ELNS1_3gpuE7ELNS1_3repE0EEENS1_30default_config_static_selectorELNS0_4arch9wavefront6targetE1EEEvT1_,"axG",@progbits,_ZN7rocprim17ROCPRIM_400000_NS6detail17trampoline_kernelINS0_14default_configENS1_29reduce_by_key_config_selectorIjyN6thrust23THRUST_200600_302600_NS4plusIyEEEEZZNS1_33reduce_by_key_impl_wrapped_configILNS1_25lookback_scan_determinismE0ES3_S9_NS6_6detail15normal_iteratorINS6_10device_ptrIjEEEENSD_INSE_IyEEEENS6_16discard_iteratorINS6_11use_defaultEEESI_PmS8_NS6_8equal_toIjEEEE10hipError_tPvRmT2_T3_mT4_T5_T6_T7_T8_P12ihipStream_tbENKUlT_T0_E_clISt17integral_constantIbLb1EES16_EEDaS11_S12_EUlS11_E_NS1_11comp_targetILNS1_3genE3ELNS1_11target_archE908ELNS1_3gpuE7ELNS1_3repE0EEENS1_30default_config_static_selectorELNS0_4arch9wavefront6targetE1EEEvT1_,comdat
.Lfunc_end889:
	.size	_ZN7rocprim17ROCPRIM_400000_NS6detail17trampoline_kernelINS0_14default_configENS1_29reduce_by_key_config_selectorIjyN6thrust23THRUST_200600_302600_NS4plusIyEEEEZZNS1_33reduce_by_key_impl_wrapped_configILNS1_25lookback_scan_determinismE0ES3_S9_NS6_6detail15normal_iteratorINS6_10device_ptrIjEEEENSD_INSE_IyEEEENS6_16discard_iteratorINS6_11use_defaultEEESI_PmS8_NS6_8equal_toIjEEEE10hipError_tPvRmT2_T3_mT4_T5_T6_T7_T8_P12ihipStream_tbENKUlT_T0_E_clISt17integral_constantIbLb1EES16_EEDaS11_S12_EUlS11_E_NS1_11comp_targetILNS1_3genE3ELNS1_11target_archE908ELNS1_3gpuE7ELNS1_3repE0EEENS1_30default_config_static_selectorELNS0_4arch9wavefront6targetE1EEEvT1_, .Lfunc_end889-_ZN7rocprim17ROCPRIM_400000_NS6detail17trampoline_kernelINS0_14default_configENS1_29reduce_by_key_config_selectorIjyN6thrust23THRUST_200600_302600_NS4plusIyEEEEZZNS1_33reduce_by_key_impl_wrapped_configILNS1_25lookback_scan_determinismE0ES3_S9_NS6_6detail15normal_iteratorINS6_10device_ptrIjEEEENSD_INSE_IyEEEENS6_16discard_iteratorINS6_11use_defaultEEESI_PmS8_NS6_8equal_toIjEEEE10hipError_tPvRmT2_T3_mT4_T5_T6_T7_T8_P12ihipStream_tbENKUlT_T0_E_clISt17integral_constantIbLb1EES16_EEDaS11_S12_EUlS11_E_NS1_11comp_targetILNS1_3genE3ELNS1_11target_archE908ELNS1_3gpuE7ELNS1_3repE0EEENS1_30default_config_static_selectorELNS0_4arch9wavefront6targetE1EEEvT1_
                                        ; -- End function
	.section	.AMDGPU.csdata,"",@progbits
; Kernel info:
; codeLenInByte = 0
; NumSgprs: 4
; NumVgprs: 0
; NumAgprs: 0
; TotalNumVgprs: 0
; ScratchSize: 0
; MemoryBound: 0
; FloatMode: 240
; IeeeMode: 1
; LDSByteSize: 0 bytes/workgroup (compile time only)
; SGPRBlocks: 0
; VGPRBlocks: 0
; NumSGPRsForWavesPerEU: 4
; NumVGPRsForWavesPerEU: 1
; AccumOffset: 4
; Occupancy: 8
; WaveLimiterHint : 0
; COMPUTE_PGM_RSRC2:SCRATCH_EN: 0
; COMPUTE_PGM_RSRC2:USER_SGPR: 6
; COMPUTE_PGM_RSRC2:TRAP_HANDLER: 0
; COMPUTE_PGM_RSRC2:TGID_X_EN: 1
; COMPUTE_PGM_RSRC2:TGID_Y_EN: 0
; COMPUTE_PGM_RSRC2:TGID_Z_EN: 0
; COMPUTE_PGM_RSRC2:TIDIG_COMP_CNT: 0
; COMPUTE_PGM_RSRC3_GFX90A:ACCUM_OFFSET: 0
; COMPUTE_PGM_RSRC3_GFX90A:TG_SPLIT: 0
	.section	.text._ZN7rocprim17ROCPRIM_400000_NS6detail17trampoline_kernelINS0_14default_configENS1_29reduce_by_key_config_selectorIjyN6thrust23THRUST_200600_302600_NS4plusIyEEEEZZNS1_33reduce_by_key_impl_wrapped_configILNS1_25lookback_scan_determinismE0ES3_S9_NS6_6detail15normal_iteratorINS6_10device_ptrIjEEEENSD_INSE_IyEEEENS6_16discard_iteratorINS6_11use_defaultEEESI_PmS8_NS6_8equal_toIjEEEE10hipError_tPvRmT2_T3_mT4_T5_T6_T7_T8_P12ihipStream_tbENKUlT_T0_E_clISt17integral_constantIbLb1EES16_EEDaS11_S12_EUlS11_E_NS1_11comp_targetILNS1_3genE2ELNS1_11target_archE906ELNS1_3gpuE6ELNS1_3repE0EEENS1_30default_config_static_selectorELNS0_4arch9wavefront6targetE1EEEvT1_,"axG",@progbits,_ZN7rocprim17ROCPRIM_400000_NS6detail17trampoline_kernelINS0_14default_configENS1_29reduce_by_key_config_selectorIjyN6thrust23THRUST_200600_302600_NS4plusIyEEEEZZNS1_33reduce_by_key_impl_wrapped_configILNS1_25lookback_scan_determinismE0ES3_S9_NS6_6detail15normal_iteratorINS6_10device_ptrIjEEEENSD_INSE_IyEEEENS6_16discard_iteratorINS6_11use_defaultEEESI_PmS8_NS6_8equal_toIjEEEE10hipError_tPvRmT2_T3_mT4_T5_T6_T7_T8_P12ihipStream_tbENKUlT_T0_E_clISt17integral_constantIbLb1EES16_EEDaS11_S12_EUlS11_E_NS1_11comp_targetILNS1_3genE2ELNS1_11target_archE906ELNS1_3gpuE6ELNS1_3repE0EEENS1_30default_config_static_selectorELNS0_4arch9wavefront6targetE1EEEvT1_,comdat
	.protected	_ZN7rocprim17ROCPRIM_400000_NS6detail17trampoline_kernelINS0_14default_configENS1_29reduce_by_key_config_selectorIjyN6thrust23THRUST_200600_302600_NS4plusIyEEEEZZNS1_33reduce_by_key_impl_wrapped_configILNS1_25lookback_scan_determinismE0ES3_S9_NS6_6detail15normal_iteratorINS6_10device_ptrIjEEEENSD_INSE_IyEEEENS6_16discard_iteratorINS6_11use_defaultEEESI_PmS8_NS6_8equal_toIjEEEE10hipError_tPvRmT2_T3_mT4_T5_T6_T7_T8_P12ihipStream_tbENKUlT_T0_E_clISt17integral_constantIbLb1EES16_EEDaS11_S12_EUlS11_E_NS1_11comp_targetILNS1_3genE2ELNS1_11target_archE906ELNS1_3gpuE6ELNS1_3repE0EEENS1_30default_config_static_selectorELNS0_4arch9wavefront6targetE1EEEvT1_ ; -- Begin function _ZN7rocprim17ROCPRIM_400000_NS6detail17trampoline_kernelINS0_14default_configENS1_29reduce_by_key_config_selectorIjyN6thrust23THRUST_200600_302600_NS4plusIyEEEEZZNS1_33reduce_by_key_impl_wrapped_configILNS1_25lookback_scan_determinismE0ES3_S9_NS6_6detail15normal_iteratorINS6_10device_ptrIjEEEENSD_INSE_IyEEEENS6_16discard_iteratorINS6_11use_defaultEEESI_PmS8_NS6_8equal_toIjEEEE10hipError_tPvRmT2_T3_mT4_T5_T6_T7_T8_P12ihipStream_tbENKUlT_T0_E_clISt17integral_constantIbLb1EES16_EEDaS11_S12_EUlS11_E_NS1_11comp_targetILNS1_3genE2ELNS1_11target_archE906ELNS1_3gpuE6ELNS1_3repE0EEENS1_30default_config_static_selectorELNS0_4arch9wavefront6targetE1EEEvT1_
	.globl	_ZN7rocprim17ROCPRIM_400000_NS6detail17trampoline_kernelINS0_14default_configENS1_29reduce_by_key_config_selectorIjyN6thrust23THRUST_200600_302600_NS4plusIyEEEEZZNS1_33reduce_by_key_impl_wrapped_configILNS1_25lookback_scan_determinismE0ES3_S9_NS6_6detail15normal_iteratorINS6_10device_ptrIjEEEENSD_INSE_IyEEEENS6_16discard_iteratorINS6_11use_defaultEEESI_PmS8_NS6_8equal_toIjEEEE10hipError_tPvRmT2_T3_mT4_T5_T6_T7_T8_P12ihipStream_tbENKUlT_T0_E_clISt17integral_constantIbLb1EES16_EEDaS11_S12_EUlS11_E_NS1_11comp_targetILNS1_3genE2ELNS1_11target_archE906ELNS1_3gpuE6ELNS1_3repE0EEENS1_30default_config_static_selectorELNS0_4arch9wavefront6targetE1EEEvT1_
	.p2align	8
	.type	_ZN7rocprim17ROCPRIM_400000_NS6detail17trampoline_kernelINS0_14default_configENS1_29reduce_by_key_config_selectorIjyN6thrust23THRUST_200600_302600_NS4plusIyEEEEZZNS1_33reduce_by_key_impl_wrapped_configILNS1_25lookback_scan_determinismE0ES3_S9_NS6_6detail15normal_iteratorINS6_10device_ptrIjEEEENSD_INSE_IyEEEENS6_16discard_iteratorINS6_11use_defaultEEESI_PmS8_NS6_8equal_toIjEEEE10hipError_tPvRmT2_T3_mT4_T5_T6_T7_T8_P12ihipStream_tbENKUlT_T0_E_clISt17integral_constantIbLb1EES16_EEDaS11_S12_EUlS11_E_NS1_11comp_targetILNS1_3genE2ELNS1_11target_archE906ELNS1_3gpuE6ELNS1_3repE0EEENS1_30default_config_static_selectorELNS0_4arch9wavefront6targetE1EEEvT1_,@function
_ZN7rocprim17ROCPRIM_400000_NS6detail17trampoline_kernelINS0_14default_configENS1_29reduce_by_key_config_selectorIjyN6thrust23THRUST_200600_302600_NS4plusIyEEEEZZNS1_33reduce_by_key_impl_wrapped_configILNS1_25lookback_scan_determinismE0ES3_S9_NS6_6detail15normal_iteratorINS6_10device_ptrIjEEEENSD_INSE_IyEEEENS6_16discard_iteratorINS6_11use_defaultEEESI_PmS8_NS6_8equal_toIjEEEE10hipError_tPvRmT2_T3_mT4_T5_T6_T7_T8_P12ihipStream_tbENKUlT_T0_E_clISt17integral_constantIbLb1EES16_EEDaS11_S12_EUlS11_E_NS1_11comp_targetILNS1_3genE2ELNS1_11target_archE906ELNS1_3gpuE6ELNS1_3repE0EEENS1_30default_config_static_selectorELNS0_4arch9wavefront6targetE1EEEvT1_: ; @_ZN7rocprim17ROCPRIM_400000_NS6detail17trampoline_kernelINS0_14default_configENS1_29reduce_by_key_config_selectorIjyN6thrust23THRUST_200600_302600_NS4plusIyEEEEZZNS1_33reduce_by_key_impl_wrapped_configILNS1_25lookback_scan_determinismE0ES3_S9_NS6_6detail15normal_iteratorINS6_10device_ptrIjEEEENSD_INSE_IyEEEENS6_16discard_iteratorINS6_11use_defaultEEESI_PmS8_NS6_8equal_toIjEEEE10hipError_tPvRmT2_T3_mT4_T5_T6_T7_T8_P12ihipStream_tbENKUlT_T0_E_clISt17integral_constantIbLb1EES16_EEDaS11_S12_EUlS11_E_NS1_11comp_targetILNS1_3genE2ELNS1_11target_archE906ELNS1_3gpuE6ELNS1_3repE0EEENS1_30default_config_static_selectorELNS0_4arch9wavefront6targetE1EEEvT1_
; %bb.0:
	.section	.rodata,"a",@progbits
	.p2align	6, 0x0
	.amdhsa_kernel _ZN7rocprim17ROCPRIM_400000_NS6detail17trampoline_kernelINS0_14default_configENS1_29reduce_by_key_config_selectorIjyN6thrust23THRUST_200600_302600_NS4plusIyEEEEZZNS1_33reduce_by_key_impl_wrapped_configILNS1_25lookback_scan_determinismE0ES3_S9_NS6_6detail15normal_iteratorINS6_10device_ptrIjEEEENSD_INSE_IyEEEENS6_16discard_iteratorINS6_11use_defaultEEESI_PmS8_NS6_8equal_toIjEEEE10hipError_tPvRmT2_T3_mT4_T5_T6_T7_T8_P12ihipStream_tbENKUlT_T0_E_clISt17integral_constantIbLb1EES16_EEDaS11_S12_EUlS11_E_NS1_11comp_targetILNS1_3genE2ELNS1_11target_archE906ELNS1_3gpuE6ELNS1_3repE0EEENS1_30default_config_static_selectorELNS0_4arch9wavefront6targetE1EEEvT1_
		.amdhsa_group_segment_fixed_size 0
		.amdhsa_private_segment_fixed_size 0
		.amdhsa_kernarg_size 144
		.amdhsa_user_sgpr_count 6
		.amdhsa_user_sgpr_private_segment_buffer 1
		.amdhsa_user_sgpr_dispatch_ptr 0
		.amdhsa_user_sgpr_queue_ptr 0
		.amdhsa_user_sgpr_kernarg_segment_ptr 1
		.amdhsa_user_sgpr_dispatch_id 0
		.amdhsa_user_sgpr_flat_scratch_init 0
		.amdhsa_user_sgpr_kernarg_preload_length 0
		.amdhsa_user_sgpr_kernarg_preload_offset 0
		.amdhsa_user_sgpr_private_segment_size 0
		.amdhsa_uses_dynamic_stack 0
		.amdhsa_system_sgpr_private_segment_wavefront_offset 0
		.amdhsa_system_sgpr_workgroup_id_x 1
		.amdhsa_system_sgpr_workgroup_id_y 0
		.amdhsa_system_sgpr_workgroup_id_z 0
		.amdhsa_system_sgpr_workgroup_info 0
		.amdhsa_system_vgpr_workitem_id 0
		.amdhsa_next_free_vgpr 1
		.amdhsa_next_free_sgpr 0
		.amdhsa_accum_offset 4
		.amdhsa_reserve_vcc 0
		.amdhsa_reserve_flat_scratch 0
		.amdhsa_float_round_mode_32 0
		.amdhsa_float_round_mode_16_64 0
		.amdhsa_float_denorm_mode_32 3
		.amdhsa_float_denorm_mode_16_64 3
		.amdhsa_dx10_clamp 1
		.amdhsa_ieee_mode 1
		.amdhsa_fp16_overflow 0
		.amdhsa_tg_split 0
		.amdhsa_exception_fp_ieee_invalid_op 0
		.amdhsa_exception_fp_denorm_src 0
		.amdhsa_exception_fp_ieee_div_zero 0
		.amdhsa_exception_fp_ieee_overflow 0
		.amdhsa_exception_fp_ieee_underflow 0
		.amdhsa_exception_fp_ieee_inexact 0
		.amdhsa_exception_int_div_zero 0
	.end_amdhsa_kernel
	.section	.text._ZN7rocprim17ROCPRIM_400000_NS6detail17trampoline_kernelINS0_14default_configENS1_29reduce_by_key_config_selectorIjyN6thrust23THRUST_200600_302600_NS4plusIyEEEEZZNS1_33reduce_by_key_impl_wrapped_configILNS1_25lookback_scan_determinismE0ES3_S9_NS6_6detail15normal_iteratorINS6_10device_ptrIjEEEENSD_INSE_IyEEEENS6_16discard_iteratorINS6_11use_defaultEEESI_PmS8_NS6_8equal_toIjEEEE10hipError_tPvRmT2_T3_mT4_T5_T6_T7_T8_P12ihipStream_tbENKUlT_T0_E_clISt17integral_constantIbLb1EES16_EEDaS11_S12_EUlS11_E_NS1_11comp_targetILNS1_3genE2ELNS1_11target_archE906ELNS1_3gpuE6ELNS1_3repE0EEENS1_30default_config_static_selectorELNS0_4arch9wavefront6targetE1EEEvT1_,"axG",@progbits,_ZN7rocprim17ROCPRIM_400000_NS6detail17trampoline_kernelINS0_14default_configENS1_29reduce_by_key_config_selectorIjyN6thrust23THRUST_200600_302600_NS4plusIyEEEEZZNS1_33reduce_by_key_impl_wrapped_configILNS1_25lookback_scan_determinismE0ES3_S9_NS6_6detail15normal_iteratorINS6_10device_ptrIjEEEENSD_INSE_IyEEEENS6_16discard_iteratorINS6_11use_defaultEEESI_PmS8_NS6_8equal_toIjEEEE10hipError_tPvRmT2_T3_mT4_T5_T6_T7_T8_P12ihipStream_tbENKUlT_T0_E_clISt17integral_constantIbLb1EES16_EEDaS11_S12_EUlS11_E_NS1_11comp_targetILNS1_3genE2ELNS1_11target_archE906ELNS1_3gpuE6ELNS1_3repE0EEENS1_30default_config_static_selectorELNS0_4arch9wavefront6targetE1EEEvT1_,comdat
.Lfunc_end890:
	.size	_ZN7rocprim17ROCPRIM_400000_NS6detail17trampoline_kernelINS0_14default_configENS1_29reduce_by_key_config_selectorIjyN6thrust23THRUST_200600_302600_NS4plusIyEEEEZZNS1_33reduce_by_key_impl_wrapped_configILNS1_25lookback_scan_determinismE0ES3_S9_NS6_6detail15normal_iteratorINS6_10device_ptrIjEEEENSD_INSE_IyEEEENS6_16discard_iteratorINS6_11use_defaultEEESI_PmS8_NS6_8equal_toIjEEEE10hipError_tPvRmT2_T3_mT4_T5_T6_T7_T8_P12ihipStream_tbENKUlT_T0_E_clISt17integral_constantIbLb1EES16_EEDaS11_S12_EUlS11_E_NS1_11comp_targetILNS1_3genE2ELNS1_11target_archE906ELNS1_3gpuE6ELNS1_3repE0EEENS1_30default_config_static_selectorELNS0_4arch9wavefront6targetE1EEEvT1_, .Lfunc_end890-_ZN7rocprim17ROCPRIM_400000_NS6detail17trampoline_kernelINS0_14default_configENS1_29reduce_by_key_config_selectorIjyN6thrust23THRUST_200600_302600_NS4plusIyEEEEZZNS1_33reduce_by_key_impl_wrapped_configILNS1_25lookback_scan_determinismE0ES3_S9_NS6_6detail15normal_iteratorINS6_10device_ptrIjEEEENSD_INSE_IyEEEENS6_16discard_iteratorINS6_11use_defaultEEESI_PmS8_NS6_8equal_toIjEEEE10hipError_tPvRmT2_T3_mT4_T5_T6_T7_T8_P12ihipStream_tbENKUlT_T0_E_clISt17integral_constantIbLb1EES16_EEDaS11_S12_EUlS11_E_NS1_11comp_targetILNS1_3genE2ELNS1_11target_archE906ELNS1_3gpuE6ELNS1_3repE0EEENS1_30default_config_static_selectorELNS0_4arch9wavefront6targetE1EEEvT1_
                                        ; -- End function
	.section	.AMDGPU.csdata,"",@progbits
; Kernel info:
; codeLenInByte = 0
; NumSgprs: 4
; NumVgprs: 0
; NumAgprs: 0
; TotalNumVgprs: 0
; ScratchSize: 0
; MemoryBound: 0
; FloatMode: 240
; IeeeMode: 1
; LDSByteSize: 0 bytes/workgroup (compile time only)
; SGPRBlocks: 0
; VGPRBlocks: 0
; NumSGPRsForWavesPerEU: 4
; NumVGPRsForWavesPerEU: 1
; AccumOffset: 4
; Occupancy: 8
; WaveLimiterHint : 0
; COMPUTE_PGM_RSRC2:SCRATCH_EN: 0
; COMPUTE_PGM_RSRC2:USER_SGPR: 6
; COMPUTE_PGM_RSRC2:TRAP_HANDLER: 0
; COMPUTE_PGM_RSRC2:TGID_X_EN: 1
; COMPUTE_PGM_RSRC2:TGID_Y_EN: 0
; COMPUTE_PGM_RSRC2:TGID_Z_EN: 0
; COMPUTE_PGM_RSRC2:TIDIG_COMP_CNT: 0
; COMPUTE_PGM_RSRC3_GFX90A:ACCUM_OFFSET: 0
; COMPUTE_PGM_RSRC3_GFX90A:TG_SPLIT: 0
	.section	.text._ZN7rocprim17ROCPRIM_400000_NS6detail17trampoline_kernelINS0_14default_configENS1_29reduce_by_key_config_selectorIjyN6thrust23THRUST_200600_302600_NS4plusIyEEEEZZNS1_33reduce_by_key_impl_wrapped_configILNS1_25lookback_scan_determinismE0ES3_S9_NS6_6detail15normal_iteratorINS6_10device_ptrIjEEEENSD_INSE_IyEEEENS6_16discard_iteratorINS6_11use_defaultEEESI_PmS8_NS6_8equal_toIjEEEE10hipError_tPvRmT2_T3_mT4_T5_T6_T7_T8_P12ihipStream_tbENKUlT_T0_E_clISt17integral_constantIbLb1EES16_EEDaS11_S12_EUlS11_E_NS1_11comp_targetILNS1_3genE10ELNS1_11target_archE1201ELNS1_3gpuE5ELNS1_3repE0EEENS1_30default_config_static_selectorELNS0_4arch9wavefront6targetE1EEEvT1_,"axG",@progbits,_ZN7rocprim17ROCPRIM_400000_NS6detail17trampoline_kernelINS0_14default_configENS1_29reduce_by_key_config_selectorIjyN6thrust23THRUST_200600_302600_NS4plusIyEEEEZZNS1_33reduce_by_key_impl_wrapped_configILNS1_25lookback_scan_determinismE0ES3_S9_NS6_6detail15normal_iteratorINS6_10device_ptrIjEEEENSD_INSE_IyEEEENS6_16discard_iteratorINS6_11use_defaultEEESI_PmS8_NS6_8equal_toIjEEEE10hipError_tPvRmT2_T3_mT4_T5_T6_T7_T8_P12ihipStream_tbENKUlT_T0_E_clISt17integral_constantIbLb1EES16_EEDaS11_S12_EUlS11_E_NS1_11comp_targetILNS1_3genE10ELNS1_11target_archE1201ELNS1_3gpuE5ELNS1_3repE0EEENS1_30default_config_static_selectorELNS0_4arch9wavefront6targetE1EEEvT1_,comdat
	.protected	_ZN7rocprim17ROCPRIM_400000_NS6detail17trampoline_kernelINS0_14default_configENS1_29reduce_by_key_config_selectorIjyN6thrust23THRUST_200600_302600_NS4plusIyEEEEZZNS1_33reduce_by_key_impl_wrapped_configILNS1_25lookback_scan_determinismE0ES3_S9_NS6_6detail15normal_iteratorINS6_10device_ptrIjEEEENSD_INSE_IyEEEENS6_16discard_iteratorINS6_11use_defaultEEESI_PmS8_NS6_8equal_toIjEEEE10hipError_tPvRmT2_T3_mT4_T5_T6_T7_T8_P12ihipStream_tbENKUlT_T0_E_clISt17integral_constantIbLb1EES16_EEDaS11_S12_EUlS11_E_NS1_11comp_targetILNS1_3genE10ELNS1_11target_archE1201ELNS1_3gpuE5ELNS1_3repE0EEENS1_30default_config_static_selectorELNS0_4arch9wavefront6targetE1EEEvT1_ ; -- Begin function _ZN7rocprim17ROCPRIM_400000_NS6detail17trampoline_kernelINS0_14default_configENS1_29reduce_by_key_config_selectorIjyN6thrust23THRUST_200600_302600_NS4plusIyEEEEZZNS1_33reduce_by_key_impl_wrapped_configILNS1_25lookback_scan_determinismE0ES3_S9_NS6_6detail15normal_iteratorINS6_10device_ptrIjEEEENSD_INSE_IyEEEENS6_16discard_iteratorINS6_11use_defaultEEESI_PmS8_NS6_8equal_toIjEEEE10hipError_tPvRmT2_T3_mT4_T5_T6_T7_T8_P12ihipStream_tbENKUlT_T0_E_clISt17integral_constantIbLb1EES16_EEDaS11_S12_EUlS11_E_NS1_11comp_targetILNS1_3genE10ELNS1_11target_archE1201ELNS1_3gpuE5ELNS1_3repE0EEENS1_30default_config_static_selectorELNS0_4arch9wavefront6targetE1EEEvT1_
	.globl	_ZN7rocprim17ROCPRIM_400000_NS6detail17trampoline_kernelINS0_14default_configENS1_29reduce_by_key_config_selectorIjyN6thrust23THRUST_200600_302600_NS4plusIyEEEEZZNS1_33reduce_by_key_impl_wrapped_configILNS1_25lookback_scan_determinismE0ES3_S9_NS6_6detail15normal_iteratorINS6_10device_ptrIjEEEENSD_INSE_IyEEEENS6_16discard_iteratorINS6_11use_defaultEEESI_PmS8_NS6_8equal_toIjEEEE10hipError_tPvRmT2_T3_mT4_T5_T6_T7_T8_P12ihipStream_tbENKUlT_T0_E_clISt17integral_constantIbLb1EES16_EEDaS11_S12_EUlS11_E_NS1_11comp_targetILNS1_3genE10ELNS1_11target_archE1201ELNS1_3gpuE5ELNS1_3repE0EEENS1_30default_config_static_selectorELNS0_4arch9wavefront6targetE1EEEvT1_
	.p2align	8
	.type	_ZN7rocprim17ROCPRIM_400000_NS6detail17trampoline_kernelINS0_14default_configENS1_29reduce_by_key_config_selectorIjyN6thrust23THRUST_200600_302600_NS4plusIyEEEEZZNS1_33reduce_by_key_impl_wrapped_configILNS1_25lookback_scan_determinismE0ES3_S9_NS6_6detail15normal_iteratorINS6_10device_ptrIjEEEENSD_INSE_IyEEEENS6_16discard_iteratorINS6_11use_defaultEEESI_PmS8_NS6_8equal_toIjEEEE10hipError_tPvRmT2_T3_mT4_T5_T6_T7_T8_P12ihipStream_tbENKUlT_T0_E_clISt17integral_constantIbLb1EES16_EEDaS11_S12_EUlS11_E_NS1_11comp_targetILNS1_3genE10ELNS1_11target_archE1201ELNS1_3gpuE5ELNS1_3repE0EEENS1_30default_config_static_selectorELNS0_4arch9wavefront6targetE1EEEvT1_,@function
_ZN7rocprim17ROCPRIM_400000_NS6detail17trampoline_kernelINS0_14default_configENS1_29reduce_by_key_config_selectorIjyN6thrust23THRUST_200600_302600_NS4plusIyEEEEZZNS1_33reduce_by_key_impl_wrapped_configILNS1_25lookback_scan_determinismE0ES3_S9_NS6_6detail15normal_iteratorINS6_10device_ptrIjEEEENSD_INSE_IyEEEENS6_16discard_iteratorINS6_11use_defaultEEESI_PmS8_NS6_8equal_toIjEEEE10hipError_tPvRmT2_T3_mT4_T5_T6_T7_T8_P12ihipStream_tbENKUlT_T0_E_clISt17integral_constantIbLb1EES16_EEDaS11_S12_EUlS11_E_NS1_11comp_targetILNS1_3genE10ELNS1_11target_archE1201ELNS1_3gpuE5ELNS1_3repE0EEENS1_30default_config_static_selectorELNS0_4arch9wavefront6targetE1EEEvT1_: ; @_ZN7rocprim17ROCPRIM_400000_NS6detail17trampoline_kernelINS0_14default_configENS1_29reduce_by_key_config_selectorIjyN6thrust23THRUST_200600_302600_NS4plusIyEEEEZZNS1_33reduce_by_key_impl_wrapped_configILNS1_25lookback_scan_determinismE0ES3_S9_NS6_6detail15normal_iteratorINS6_10device_ptrIjEEEENSD_INSE_IyEEEENS6_16discard_iteratorINS6_11use_defaultEEESI_PmS8_NS6_8equal_toIjEEEE10hipError_tPvRmT2_T3_mT4_T5_T6_T7_T8_P12ihipStream_tbENKUlT_T0_E_clISt17integral_constantIbLb1EES16_EEDaS11_S12_EUlS11_E_NS1_11comp_targetILNS1_3genE10ELNS1_11target_archE1201ELNS1_3gpuE5ELNS1_3repE0EEENS1_30default_config_static_selectorELNS0_4arch9wavefront6targetE1EEEvT1_
; %bb.0:
	.section	.rodata,"a",@progbits
	.p2align	6, 0x0
	.amdhsa_kernel _ZN7rocprim17ROCPRIM_400000_NS6detail17trampoline_kernelINS0_14default_configENS1_29reduce_by_key_config_selectorIjyN6thrust23THRUST_200600_302600_NS4plusIyEEEEZZNS1_33reduce_by_key_impl_wrapped_configILNS1_25lookback_scan_determinismE0ES3_S9_NS6_6detail15normal_iteratorINS6_10device_ptrIjEEEENSD_INSE_IyEEEENS6_16discard_iteratorINS6_11use_defaultEEESI_PmS8_NS6_8equal_toIjEEEE10hipError_tPvRmT2_T3_mT4_T5_T6_T7_T8_P12ihipStream_tbENKUlT_T0_E_clISt17integral_constantIbLb1EES16_EEDaS11_S12_EUlS11_E_NS1_11comp_targetILNS1_3genE10ELNS1_11target_archE1201ELNS1_3gpuE5ELNS1_3repE0EEENS1_30default_config_static_selectorELNS0_4arch9wavefront6targetE1EEEvT1_
		.amdhsa_group_segment_fixed_size 0
		.amdhsa_private_segment_fixed_size 0
		.amdhsa_kernarg_size 144
		.amdhsa_user_sgpr_count 6
		.amdhsa_user_sgpr_private_segment_buffer 1
		.amdhsa_user_sgpr_dispatch_ptr 0
		.amdhsa_user_sgpr_queue_ptr 0
		.amdhsa_user_sgpr_kernarg_segment_ptr 1
		.amdhsa_user_sgpr_dispatch_id 0
		.amdhsa_user_sgpr_flat_scratch_init 0
		.amdhsa_user_sgpr_kernarg_preload_length 0
		.amdhsa_user_sgpr_kernarg_preload_offset 0
		.amdhsa_user_sgpr_private_segment_size 0
		.amdhsa_uses_dynamic_stack 0
		.amdhsa_system_sgpr_private_segment_wavefront_offset 0
		.amdhsa_system_sgpr_workgroup_id_x 1
		.amdhsa_system_sgpr_workgroup_id_y 0
		.amdhsa_system_sgpr_workgroup_id_z 0
		.amdhsa_system_sgpr_workgroup_info 0
		.amdhsa_system_vgpr_workitem_id 0
		.amdhsa_next_free_vgpr 1
		.amdhsa_next_free_sgpr 0
		.amdhsa_accum_offset 4
		.amdhsa_reserve_vcc 0
		.amdhsa_reserve_flat_scratch 0
		.amdhsa_float_round_mode_32 0
		.amdhsa_float_round_mode_16_64 0
		.amdhsa_float_denorm_mode_32 3
		.amdhsa_float_denorm_mode_16_64 3
		.amdhsa_dx10_clamp 1
		.amdhsa_ieee_mode 1
		.amdhsa_fp16_overflow 0
		.amdhsa_tg_split 0
		.amdhsa_exception_fp_ieee_invalid_op 0
		.amdhsa_exception_fp_denorm_src 0
		.amdhsa_exception_fp_ieee_div_zero 0
		.amdhsa_exception_fp_ieee_overflow 0
		.amdhsa_exception_fp_ieee_underflow 0
		.amdhsa_exception_fp_ieee_inexact 0
		.amdhsa_exception_int_div_zero 0
	.end_amdhsa_kernel
	.section	.text._ZN7rocprim17ROCPRIM_400000_NS6detail17trampoline_kernelINS0_14default_configENS1_29reduce_by_key_config_selectorIjyN6thrust23THRUST_200600_302600_NS4plusIyEEEEZZNS1_33reduce_by_key_impl_wrapped_configILNS1_25lookback_scan_determinismE0ES3_S9_NS6_6detail15normal_iteratorINS6_10device_ptrIjEEEENSD_INSE_IyEEEENS6_16discard_iteratorINS6_11use_defaultEEESI_PmS8_NS6_8equal_toIjEEEE10hipError_tPvRmT2_T3_mT4_T5_T6_T7_T8_P12ihipStream_tbENKUlT_T0_E_clISt17integral_constantIbLb1EES16_EEDaS11_S12_EUlS11_E_NS1_11comp_targetILNS1_3genE10ELNS1_11target_archE1201ELNS1_3gpuE5ELNS1_3repE0EEENS1_30default_config_static_selectorELNS0_4arch9wavefront6targetE1EEEvT1_,"axG",@progbits,_ZN7rocprim17ROCPRIM_400000_NS6detail17trampoline_kernelINS0_14default_configENS1_29reduce_by_key_config_selectorIjyN6thrust23THRUST_200600_302600_NS4plusIyEEEEZZNS1_33reduce_by_key_impl_wrapped_configILNS1_25lookback_scan_determinismE0ES3_S9_NS6_6detail15normal_iteratorINS6_10device_ptrIjEEEENSD_INSE_IyEEEENS6_16discard_iteratorINS6_11use_defaultEEESI_PmS8_NS6_8equal_toIjEEEE10hipError_tPvRmT2_T3_mT4_T5_T6_T7_T8_P12ihipStream_tbENKUlT_T0_E_clISt17integral_constantIbLb1EES16_EEDaS11_S12_EUlS11_E_NS1_11comp_targetILNS1_3genE10ELNS1_11target_archE1201ELNS1_3gpuE5ELNS1_3repE0EEENS1_30default_config_static_selectorELNS0_4arch9wavefront6targetE1EEEvT1_,comdat
.Lfunc_end891:
	.size	_ZN7rocprim17ROCPRIM_400000_NS6detail17trampoline_kernelINS0_14default_configENS1_29reduce_by_key_config_selectorIjyN6thrust23THRUST_200600_302600_NS4plusIyEEEEZZNS1_33reduce_by_key_impl_wrapped_configILNS1_25lookback_scan_determinismE0ES3_S9_NS6_6detail15normal_iteratorINS6_10device_ptrIjEEEENSD_INSE_IyEEEENS6_16discard_iteratorINS6_11use_defaultEEESI_PmS8_NS6_8equal_toIjEEEE10hipError_tPvRmT2_T3_mT4_T5_T6_T7_T8_P12ihipStream_tbENKUlT_T0_E_clISt17integral_constantIbLb1EES16_EEDaS11_S12_EUlS11_E_NS1_11comp_targetILNS1_3genE10ELNS1_11target_archE1201ELNS1_3gpuE5ELNS1_3repE0EEENS1_30default_config_static_selectorELNS0_4arch9wavefront6targetE1EEEvT1_, .Lfunc_end891-_ZN7rocprim17ROCPRIM_400000_NS6detail17trampoline_kernelINS0_14default_configENS1_29reduce_by_key_config_selectorIjyN6thrust23THRUST_200600_302600_NS4plusIyEEEEZZNS1_33reduce_by_key_impl_wrapped_configILNS1_25lookback_scan_determinismE0ES3_S9_NS6_6detail15normal_iteratorINS6_10device_ptrIjEEEENSD_INSE_IyEEEENS6_16discard_iteratorINS6_11use_defaultEEESI_PmS8_NS6_8equal_toIjEEEE10hipError_tPvRmT2_T3_mT4_T5_T6_T7_T8_P12ihipStream_tbENKUlT_T0_E_clISt17integral_constantIbLb1EES16_EEDaS11_S12_EUlS11_E_NS1_11comp_targetILNS1_3genE10ELNS1_11target_archE1201ELNS1_3gpuE5ELNS1_3repE0EEENS1_30default_config_static_selectorELNS0_4arch9wavefront6targetE1EEEvT1_
                                        ; -- End function
	.section	.AMDGPU.csdata,"",@progbits
; Kernel info:
; codeLenInByte = 0
; NumSgprs: 4
; NumVgprs: 0
; NumAgprs: 0
; TotalNumVgprs: 0
; ScratchSize: 0
; MemoryBound: 0
; FloatMode: 240
; IeeeMode: 1
; LDSByteSize: 0 bytes/workgroup (compile time only)
; SGPRBlocks: 0
; VGPRBlocks: 0
; NumSGPRsForWavesPerEU: 4
; NumVGPRsForWavesPerEU: 1
; AccumOffset: 4
; Occupancy: 8
; WaveLimiterHint : 0
; COMPUTE_PGM_RSRC2:SCRATCH_EN: 0
; COMPUTE_PGM_RSRC2:USER_SGPR: 6
; COMPUTE_PGM_RSRC2:TRAP_HANDLER: 0
; COMPUTE_PGM_RSRC2:TGID_X_EN: 1
; COMPUTE_PGM_RSRC2:TGID_Y_EN: 0
; COMPUTE_PGM_RSRC2:TGID_Z_EN: 0
; COMPUTE_PGM_RSRC2:TIDIG_COMP_CNT: 0
; COMPUTE_PGM_RSRC3_GFX90A:ACCUM_OFFSET: 0
; COMPUTE_PGM_RSRC3_GFX90A:TG_SPLIT: 0
	.section	.text._ZN7rocprim17ROCPRIM_400000_NS6detail17trampoline_kernelINS0_14default_configENS1_29reduce_by_key_config_selectorIjyN6thrust23THRUST_200600_302600_NS4plusIyEEEEZZNS1_33reduce_by_key_impl_wrapped_configILNS1_25lookback_scan_determinismE0ES3_S9_NS6_6detail15normal_iteratorINS6_10device_ptrIjEEEENSD_INSE_IyEEEENS6_16discard_iteratorINS6_11use_defaultEEESI_PmS8_NS6_8equal_toIjEEEE10hipError_tPvRmT2_T3_mT4_T5_T6_T7_T8_P12ihipStream_tbENKUlT_T0_E_clISt17integral_constantIbLb1EES16_EEDaS11_S12_EUlS11_E_NS1_11comp_targetILNS1_3genE10ELNS1_11target_archE1200ELNS1_3gpuE4ELNS1_3repE0EEENS1_30default_config_static_selectorELNS0_4arch9wavefront6targetE1EEEvT1_,"axG",@progbits,_ZN7rocprim17ROCPRIM_400000_NS6detail17trampoline_kernelINS0_14default_configENS1_29reduce_by_key_config_selectorIjyN6thrust23THRUST_200600_302600_NS4plusIyEEEEZZNS1_33reduce_by_key_impl_wrapped_configILNS1_25lookback_scan_determinismE0ES3_S9_NS6_6detail15normal_iteratorINS6_10device_ptrIjEEEENSD_INSE_IyEEEENS6_16discard_iteratorINS6_11use_defaultEEESI_PmS8_NS6_8equal_toIjEEEE10hipError_tPvRmT2_T3_mT4_T5_T6_T7_T8_P12ihipStream_tbENKUlT_T0_E_clISt17integral_constantIbLb1EES16_EEDaS11_S12_EUlS11_E_NS1_11comp_targetILNS1_3genE10ELNS1_11target_archE1200ELNS1_3gpuE4ELNS1_3repE0EEENS1_30default_config_static_selectorELNS0_4arch9wavefront6targetE1EEEvT1_,comdat
	.protected	_ZN7rocprim17ROCPRIM_400000_NS6detail17trampoline_kernelINS0_14default_configENS1_29reduce_by_key_config_selectorIjyN6thrust23THRUST_200600_302600_NS4plusIyEEEEZZNS1_33reduce_by_key_impl_wrapped_configILNS1_25lookback_scan_determinismE0ES3_S9_NS6_6detail15normal_iteratorINS6_10device_ptrIjEEEENSD_INSE_IyEEEENS6_16discard_iteratorINS6_11use_defaultEEESI_PmS8_NS6_8equal_toIjEEEE10hipError_tPvRmT2_T3_mT4_T5_T6_T7_T8_P12ihipStream_tbENKUlT_T0_E_clISt17integral_constantIbLb1EES16_EEDaS11_S12_EUlS11_E_NS1_11comp_targetILNS1_3genE10ELNS1_11target_archE1200ELNS1_3gpuE4ELNS1_3repE0EEENS1_30default_config_static_selectorELNS0_4arch9wavefront6targetE1EEEvT1_ ; -- Begin function _ZN7rocprim17ROCPRIM_400000_NS6detail17trampoline_kernelINS0_14default_configENS1_29reduce_by_key_config_selectorIjyN6thrust23THRUST_200600_302600_NS4plusIyEEEEZZNS1_33reduce_by_key_impl_wrapped_configILNS1_25lookback_scan_determinismE0ES3_S9_NS6_6detail15normal_iteratorINS6_10device_ptrIjEEEENSD_INSE_IyEEEENS6_16discard_iteratorINS6_11use_defaultEEESI_PmS8_NS6_8equal_toIjEEEE10hipError_tPvRmT2_T3_mT4_T5_T6_T7_T8_P12ihipStream_tbENKUlT_T0_E_clISt17integral_constantIbLb1EES16_EEDaS11_S12_EUlS11_E_NS1_11comp_targetILNS1_3genE10ELNS1_11target_archE1200ELNS1_3gpuE4ELNS1_3repE0EEENS1_30default_config_static_selectorELNS0_4arch9wavefront6targetE1EEEvT1_
	.globl	_ZN7rocprim17ROCPRIM_400000_NS6detail17trampoline_kernelINS0_14default_configENS1_29reduce_by_key_config_selectorIjyN6thrust23THRUST_200600_302600_NS4plusIyEEEEZZNS1_33reduce_by_key_impl_wrapped_configILNS1_25lookback_scan_determinismE0ES3_S9_NS6_6detail15normal_iteratorINS6_10device_ptrIjEEEENSD_INSE_IyEEEENS6_16discard_iteratorINS6_11use_defaultEEESI_PmS8_NS6_8equal_toIjEEEE10hipError_tPvRmT2_T3_mT4_T5_T6_T7_T8_P12ihipStream_tbENKUlT_T0_E_clISt17integral_constantIbLb1EES16_EEDaS11_S12_EUlS11_E_NS1_11comp_targetILNS1_3genE10ELNS1_11target_archE1200ELNS1_3gpuE4ELNS1_3repE0EEENS1_30default_config_static_selectorELNS0_4arch9wavefront6targetE1EEEvT1_
	.p2align	8
	.type	_ZN7rocprim17ROCPRIM_400000_NS6detail17trampoline_kernelINS0_14default_configENS1_29reduce_by_key_config_selectorIjyN6thrust23THRUST_200600_302600_NS4plusIyEEEEZZNS1_33reduce_by_key_impl_wrapped_configILNS1_25lookback_scan_determinismE0ES3_S9_NS6_6detail15normal_iteratorINS6_10device_ptrIjEEEENSD_INSE_IyEEEENS6_16discard_iteratorINS6_11use_defaultEEESI_PmS8_NS6_8equal_toIjEEEE10hipError_tPvRmT2_T3_mT4_T5_T6_T7_T8_P12ihipStream_tbENKUlT_T0_E_clISt17integral_constantIbLb1EES16_EEDaS11_S12_EUlS11_E_NS1_11comp_targetILNS1_3genE10ELNS1_11target_archE1200ELNS1_3gpuE4ELNS1_3repE0EEENS1_30default_config_static_selectorELNS0_4arch9wavefront6targetE1EEEvT1_,@function
_ZN7rocprim17ROCPRIM_400000_NS6detail17trampoline_kernelINS0_14default_configENS1_29reduce_by_key_config_selectorIjyN6thrust23THRUST_200600_302600_NS4plusIyEEEEZZNS1_33reduce_by_key_impl_wrapped_configILNS1_25lookback_scan_determinismE0ES3_S9_NS6_6detail15normal_iteratorINS6_10device_ptrIjEEEENSD_INSE_IyEEEENS6_16discard_iteratorINS6_11use_defaultEEESI_PmS8_NS6_8equal_toIjEEEE10hipError_tPvRmT2_T3_mT4_T5_T6_T7_T8_P12ihipStream_tbENKUlT_T0_E_clISt17integral_constantIbLb1EES16_EEDaS11_S12_EUlS11_E_NS1_11comp_targetILNS1_3genE10ELNS1_11target_archE1200ELNS1_3gpuE4ELNS1_3repE0EEENS1_30default_config_static_selectorELNS0_4arch9wavefront6targetE1EEEvT1_: ; @_ZN7rocprim17ROCPRIM_400000_NS6detail17trampoline_kernelINS0_14default_configENS1_29reduce_by_key_config_selectorIjyN6thrust23THRUST_200600_302600_NS4plusIyEEEEZZNS1_33reduce_by_key_impl_wrapped_configILNS1_25lookback_scan_determinismE0ES3_S9_NS6_6detail15normal_iteratorINS6_10device_ptrIjEEEENSD_INSE_IyEEEENS6_16discard_iteratorINS6_11use_defaultEEESI_PmS8_NS6_8equal_toIjEEEE10hipError_tPvRmT2_T3_mT4_T5_T6_T7_T8_P12ihipStream_tbENKUlT_T0_E_clISt17integral_constantIbLb1EES16_EEDaS11_S12_EUlS11_E_NS1_11comp_targetILNS1_3genE10ELNS1_11target_archE1200ELNS1_3gpuE4ELNS1_3repE0EEENS1_30default_config_static_selectorELNS0_4arch9wavefront6targetE1EEEvT1_
; %bb.0:
	.section	.rodata,"a",@progbits
	.p2align	6, 0x0
	.amdhsa_kernel _ZN7rocprim17ROCPRIM_400000_NS6detail17trampoline_kernelINS0_14default_configENS1_29reduce_by_key_config_selectorIjyN6thrust23THRUST_200600_302600_NS4plusIyEEEEZZNS1_33reduce_by_key_impl_wrapped_configILNS1_25lookback_scan_determinismE0ES3_S9_NS6_6detail15normal_iteratorINS6_10device_ptrIjEEEENSD_INSE_IyEEEENS6_16discard_iteratorINS6_11use_defaultEEESI_PmS8_NS6_8equal_toIjEEEE10hipError_tPvRmT2_T3_mT4_T5_T6_T7_T8_P12ihipStream_tbENKUlT_T0_E_clISt17integral_constantIbLb1EES16_EEDaS11_S12_EUlS11_E_NS1_11comp_targetILNS1_3genE10ELNS1_11target_archE1200ELNS1_3gpuE4ELNS1_3repE0EEENS1_30default_config_static_selectorELNS0_4arch9wavefront6targetE1EEEvT1_
		.amdhsa_group_segment_fixed_size 0
		.amdhsa_private_segment_fixed_size 0
		.amdhsa_kernarg_size 144
		.amdhsa_user_sgpr_count 6
		.amdhsa_user_sgpr_private_segment_buffer 1
		.amdhsa_user_sgpr_dispatch_ptr 0
		.amdhsa_user_sgpr_queue_ptr 0
		.amdhsa_user_sgpr_kernarg_segment_ptr 1
		.amdhsa_user_sgpr_dispatch_id 0
		.amdhsa_user_sgpr_flat_scratch_init 0
		.amdhsa_user_sgpr_kernarg_preload_length 0
		.amdhsa_user_sgpr_kernarg_preload_offset 0
		.amdhsa_user_sgpr_private_segment_size 0
		.amdhsa_uses_dynamic_stack 0
		.amdhsa_system_sgpr_private_segment_wavefront_offset 0
		.amdhsa_system_sgpr_workgroup_id_x 1
		.amdhsa_system_sgpr_workgroup_id_y 0
		.amdhsa_system_sgpr_workgroup_id_z 0
		.amdhsa_system_sgpr_workgroup_info 0
		.amdhsa_system_vgpr_workitem_id 0
		.amdhsa_next_free_vgpr 1
		.amdhsa_next_free_sgpr 0
		.amdhsa_accum_offset 4
		.amdhsa_reserve_vcc 0
		.amdhsa_reserve_flat_scratch 0
		.amdhsa_float_round_mode_32 0
		.amdhsa_float_round_mode_16_64 0
		.amdhsa_float_denorm_mode_32 3
		.amdhsa_float_denorm_mode_16_64 3
		.amdhsa_dx10_clamp 1
		.amdhsa_ieee_mode 1
		.amdhsa_fp16_overflow 0
		.amdhsa_tg_split 0
		.amdhsa_exception_fp_ieee_invalid_op 0
		.amdhsa_exception_fp_denorm_src 0
		.amdhsa_exception_fp_ieee_div_zero 0
		.amdhsa_exception_fp_ieee_overflow 0
		.amdhsa_exception_fp_ieee_underflow 0
		.amdhsa_exception_fp_ieee_inexact 0
		.amdhsa_exception_int_div_zero 0
	.end_amdhsa_kernel
	.section	.text._ZN7rocprim17ROCPRIM_400000_NS6detail17trampoline_kernelINS0_14default_configENS1_29reduce_by_key_config_selectorIjyN6thrust23THRUST_200600_302600_NS4plusIyEEEEZZNS1_33reduce_by_key_impl_wrapped_configILNS1_25lookback_scan_determinismE0ES3_S9_NS6_6detail15normal_iteratorINS6_10device_ptrIjEEEENSD_INSE_IyEEEENS6_16discard_iteratorINS6_11use_defaultEEESI_PmS8_NS6_8equal_toIjEEEE10hipError_tPvRmT2_T3_mT4_T5_T6_T7_T8_P12ihipStream_tbENKUlT_T0_E_clISt17integral_constantIbLb1EES16_EEDaS11_S12_EUlS11_E_NS1_11comp_targetILNS1_3genE10ELNS1_11target_archE1200ELNS1_3gpuE4ELNS1_3repE0EEENS1_30default_config_static_selectorELNS0_4arch9wavefront6targetE1EEEvT1_,"axG",@progbits,_ZN7rocprim17ROCPRIM_400000_NS6detail17trampoline_kernelINS0_14default_configENS1_29reduce_by_key_config_selectorIjyN6thrust23THRUST_200600_302600_NS4plusIyEEEEZZNS1_33reduce_by_key_impl_wrapped_configILNS1_25lookback_scan_determinismE0ES3_S9_NS6_6detail15normal_iteratorINS6_10device_ptrIjEEEENSD_INSE_IyEEEENS6_16discard_iteratorINS6_11use_defaultEEESI_PmS8_NS6_8equal_toIjEEEE10hipError_tPvRmT2_T3_mT4_T5_T6_T7_T8_P12ihipStream_tbENKUlT_T0_E_clISt17integral_constantIbLb1EES16_EEDaS11_S12_EUlS11_E_NS1_11comp_targetILNS1_3genE10ELNS1_11target_archE1200ELNS1_3gpuE4ELNS1_3repE0EEENS1_30default_config_static_selectorELNS0_4arch9wavefront6targetE1EEEvT1_,comdat
.Lfunc_end892:
	.size	_ZN7rocprim17ROCPRIM_400000_NS6detail17trampoline_kernelINS0_14default_configENS1_29reduce_by_key_config_selectorIjyN6thrust23THRUST_200600_302600_NS4plusIyEEEEZZNS1_33reduce_by_key_impl_wrapped_configILNS1_25lookback_scan_determinismE0ES3_S9_NS6_6detail15normal_iteratorINS6_10device_ptrIjEEEENSD_INSE_IyEEEENS6_16discard_iteratorINS6_11use_defaultEEESI_PmS8_NS6_8equal_toIjEEEE10hipError_tPvRmT2_T3_mT4_T5_T6_T7_T8_P12ihipStream_tbENKUlT_T0_E_clISt17integral_constantIbLb1EES16_EEDaS11_S12_EUlS11_E_NS1_11comp_targetILNS1_3genE10ELNS1_11target_archE1200ELNS1_3gpuE4ELNS1_3repE0EEENS1_30default_config_static_selectorELNS0_4arch9wavefront6targetE1EEEvT1_, .Lfunc_end892-_ZN7rocprim17ROCPRIM_400000_NS6detail17trampoline_kernelINS0_14default_configENS1_29reduce_by_key_config_selectorIjyN6thrust23THRUST_200600_302600_NS4plusIyEEEEZZNS1_33reduce_by_key_impl_wrapped_configILNS1_25lookback_scan_determinismE0ES3_S9_NS6_6detail15normal_iteratorINS6_10device_ptrIjEEEENSD_INSE_IyEEEENS6_16discard_iteratorINS6_11use_defaultEEESI_PmS8_NS6_8equal_toIjEEEE10hipError_tPvRmT2_T3_mT4_T5_T6_T7_T8_P12ihipStream_tbENKUlT_T0_E_clISt17integral_constantIbLb1EES16_EEDaS11_S12_EUlS11_E_NS1_11comp_targetILNS1_3genE10ELNS1_11target_archE1200ELNS1_3gpuE4ELNS1_3repE0EEENS1_30default_config_static_selectorELNS0_4arch9wavefront6targetE1EEEvT1_
                                        ; -- End function
	.section	.AMDGPU.csdata,"",@progbits
; Kernel info:
; codeLenInByte = 0
; NumSgprs: 4
; NumVgprs: 0
; NumAgprs: 0
; TotalNumVgprs: 0
; ScratchSize: 0
; MemoryBound: 0
; FloatMode: 240
; IeeeMode: 1
; LDSByteSize: 0 bytes/workgroup (compile time only)
; SGPRBlocks: 0
; VGPRBlocks: 0
; NumSGPRsForWavesPerEU: 4
; NumVGPRsForWavesPerEU: 1
; AccumOffset: 4
; Occupancy: 8
; WaveLimiterHint : 0
; COMPUTE_PGM_RSRC2:SCRATCH_EN: 0
; COMPUTE_PGM_RSRC2:USER_SGPR: 6
; COMPUTE_PGM_RSRC2:TRAP_HANDLER: 0
; COMPUTE_PGM_RSRC2:TGID_X_EN: 1
; COMPUTE_PGM_RSRC2:TGID_Y_EN: 0
; COMPUTE_PGM_RSRC2:TGID_Z_EN: 0
; COMPUTE_PGM_RSRC2:TIDIG_COMP_CNT: 0
; COMPUTE_PGM_RSRC3_GFX90A:ACCUM_OFFSET: 0
; COMPUTE_PGM_RSRC3_GFX90A:TG_SPLIT: 0
	.section	.text._ZN7rocprim17ROCPRIM_400000_NS6detail17trampoline_kernelINS0_14default_configENS1_29reduce_by_key_config_selectorIjyN6thrust23THRUST_200600_302600_NS4plusIyEEEEZZNS1_33reduce_by_key_impl_wrapped_configILNS1_25lookback_scan_determinismE0ES3_S9_NS6_6detail15normal_iteratorINS6_10device_ptrIjEEEENSD_INSE_IyEEEENS6_16discard_iteratorINS6_11use_defaultEEESI_PmS8_NS6_8equal_toIjEEEE10hipError_tPvRmT2_T3_mT4_T5_T6_T7_T8_P12ihipStream_tbENKUlT_T0_E_clISt17integral_constantIbLb1EES16_EEDaS11_S12_EUlS11_E_NS1_11comp_targetILNS1_3genE9ELNS1_11target_archE1100ELNS1_3gpuE3ELNS1_3repE0EEENS1_30default_config_static_selectorELNS0_4arch9wavefront6targetE1EEEvT1_,"axG",@progbits,_ZN7rocprim17ROCPRIM_400000_NS6detail17trampoline_kernelINS0_14default_configENS1_29reduce_by_key_config_selectorIjyN6thrust23THRUST_200600_302600_NS4plusIyEEEEZZNS1_33reduce_by_key_impl_wrapped_configILNS1_25lookback_scan_determinismE0ES3_S9_NS6_6detail15normal_iteratorINS6_10device_ptrIjEEEENSD_INSE_IyEEEENS6_16discard_iteratorINS6_11use_defaultEEESI_PmS8_NS6_8equal_toIjEEEE10hipError_tPvRmT2_T3_mT4_T5_T6_T7_T8_P12ihipStream_tbENKUlT_T0_E_clISt17integral_constantIbLb1EES16_EEDaS11_S12_EUlS11_E_NS1_11comp_targetILNS1_3genE9ELNS1_11target_archE1100ELNS1_3gpuE3ELNS1_3repE0EEENS1_30default_config_static_selectorELNS0_4arch9wavefront6targetE1EEEvT1_,comdat
	.protected	_ZN7rocprim17ROCPRIM_400000_NS6detail17trampoline_kernelINS0_14default_configENS1_29reduce_by_key_config_selectorIjyN6thrust23THRUST_200600_302600_NS4plusIyEEEEZZNS1_33reduce_by_key_impl_wrapped_configILNS1_25lookback_scan_determinismE0ES3_S9_NS6_6detail15normal_iteratorINS6_10device_ptrIjEEEENSD_INSE_IyEEEENS6_16discard_iteratorINS6_11use_defaultEEESI_PmS8_NS6_8equal_toIjEEEE10hipError_tPvRmT2_T3_mT4_T5_T6_T7_T8_P12ihipStream_tbENKUlT_T0_E_clISt17integral_constantIbLb1EES16_EEDaS11_S12_EUlS11_E_NS1_11comp_targetILNS1_3genE9ELNS1_11target_archE1100ELNS1_3gpuE3ELNS1_3repE0EEENS1_30default_config_static_selectorELNS0_4arch9wavefront6targetE1EEEvT1_ ; -- Begin function _ZN7rocprim17ROCPRIM_400000_NS6detail17trampoline_kernelINS0_14default_configENS1_29reduce_by_key_config_selectorIjyN6thrust23THRUST_200600_302600_NS4plusIyEEEEZZNS1_33reduce_by_key_impl_wrapped_configILNS1_25lookback_scan_determinismE0ES3_S9_NS6_6detail15normal_iteratorINS6_10device_ptrIjEEEENSD_INSE_IyEEEENS6_16discard_iteratorINS6_11use_defaultEEESI_PmS8_NS6_8equal_toIjEEEE10hipError_tPvRmT2_T3_mT4_T5_T6_T7_T8_P12ihipStream_tbENKUlT_T0_E_clISt17integral_constantIbLb1EES16_EEDaS11_S12_EUlS11_E_NS1_11comp_targetILNS1_3genE9ELNS1_11target_archE1100ELNS1_3gpuE3ELNS1_3repE0EEENS1_30default_config_static_selectorELNS0_4arch9wavefront6targetE1EEEvT1_
	.globl	_ZN7rocprim17ROCPRIM_400000_NS6detail17trampoline_kernelINS0_14default_configENS1_29reduce_by_key_config_selectorIjyN6thrust23THRUST_200600_302600_NS4plusIyEEEEZZNS1_33reduce_by_key_impl_wrapped_configILNS1_25lookback_scan_determinismE0ES3_S9_NS6_6detail15normal_iteratorINS6_10device_ptrIjEEEENSD_INSE_IyEEEENS6_16discard_iteratorINS6_11use_defaultEEESI_PmS8_NS6_8equal_toIjEEEE10hipError_tPvRmT2_T3_mT4_T5_T6_T7_T8_P12ihipStream_tbENKUlT_T0_E_clISt17integral_constantIbLb1EES16_EEDaS11_S12_EUlS11_E_NS1_11comp_targetILNS1_3genE9ELNS1_11target_archE1100ELNS1_3gpuE3ELNS1_3repE0EEENS1_30default_config_static_selectorELNS0_4arch9wavefront6targetE1EEEvT1_
	.p2align	8
	.type	_ZN7rocprim17ROCPRIM_400000_NS6detail17trampoline_kernelINS0_14default_configENS1_29reduce_by_key_config_selectorIjyN6thrust23THRUST_200600_302600_NS4plusIyEEEEZZNS1_33reduce_by_key_impl_wrapped_configILNS1_25lookback_scan_determinismE0ES3_S9_NS6_6detail15normal_iteratorINS6_10device_ptrIjEEEENSD_INSE_IyEEEENS6_16discard_iteratorINS6_11use_defaultEEESI_PmS8_NS6_8equal_toIjEEEE10hipError_tPvRmT2_T3_mT4_T5_T6_T7_T8_P12ihipStream_tbENKUlT_T0_E_clISt17integral_constantIbLb1EES16_EEDaS11_S12_EUlS11_E_NS1_11comp_targetILNS1_3genE9ELNS1_11target_archE1100ELNS1_3gpuE3ELNS1_3repE0EEENS1_30default_config_static_selectorELNS0_4arch9wavefront6targetE1EEEvT1_,@function
_ZN7rocprim17ROCPRIM_400000_NS6detail17trampoline_kernelINS0_14default_configENS1_29reduce_by_key_config_selectorIjyN6thrust23THRUST_200600_302600_NS4plusIyEEEEZZNS1_33reduce_by_key_impl_wrapped_configILNS1_25lookback_scan_determinismE0ES3_S9_NS6_6detail15normal_iteratorINS6_10device_ptrIjEEEENSD_INSE_IyEEEENS6_16discard_iteratorINS6_11use_defaultEEESI_PmS8_NS6_8equal_toIjEEEE10hipError_tPvRmT2_T3_mT4_T5_T6_T7_T8_P12ihipStream_tbENKUlT_T0_E_clISt17integral_constantIbLb1EES16_EEDaS11_S12_EUlS11_E_NS1_11comp_targetILNS1_3genE9ELNS1_11target_archE1100ELNS1_3gpuE3ELNS1_3repE0EEENS1_30default_config_static_selectorELNS0_4arch9wavefront6targetE1EEEvT1_: ; @_ZN7rocprim17ROCPRIM_400000_NS6detail17trampoline_kernelINS0_14default_configENS1_29reduce_by_key_config_selectorIjyN6thrust23THRUST_200600_302600_NS4plusIyEEEEZZNS1_33reduce_by_key_impl_wrapped_configILNS1_25lookback_scan_determinismE0ES3_S9_NS6_6detail15normal_iteratorINS6_10device_ptrIjEEEENSD_INSE_IyEEEENS6_16discard_iteratorINS6_11use_defaultEEESI_PmS8_NS6_8equal_toIjEEEE10hipError_tPvRmT2_T3_mT4_T5_T6_T7_T8_P12ihipStream_tbENKUlT_T0_E_clISt17integral_constantIbLb1EES16_EEDaS11_S12_EUlS11_E_NS1_11comp_targetILNS1_3genE9ELNS1_11target_archE1100ELNS1_3gpuE3ELNS1_3repE0EEENS1_30default_config_static_selectorELNS0_4arch9wavefront6targetE1EEEvT1_
; %bb.0:
	.section	.rodata,"a",@progbits
	.p2align	6, 0x0
	.amdhsa_kernel _ZN7rocprim17ROCPRIM_400000_NS6detail17trampoline_kernelINS0_14default_configENS1_29reduce_by_key_config_selectorIjyN6thrust23THRUST_200600_302600_NS4plusIyEEEEZZNS1_33reduce_by_key_impl_wrapped_configILNS1_25lookback_scan_determinismE0ES3_S9_NS6_6detail15normal_iteratorINS6_10device_ptrIjEEEENSD_INSE_IyEEEENS6_16discard_iteratorINS6_11use_defaultEEESI_PmS8_NS6_8equal_toIjEEEE10hipError_tPvRmT2_T3_mT4_T5_T6_T7_T8_P12ihipStream_tbENKUlT_T0_E_clISt17integral_constantIbLb1EES16_EEDaS11_S12_EUlS11_E_NS1_11comp_targetILNS1_3genE9ELNS1_11target_archE1100ELNS1_3gpuE3ELNS1_3repE0EEENS1_30default_config_static_selectorELNS0_4arch9wavefront6targetE1EEEvT1_
		.amdhsa_group_segment_fixed_size 0
		.amdhsa_private_segment_fixed_size 0
		.amdhsa_kernarg_size 144
		.amdhsa_user_sgpr_count 6
		.amdhsa_user_sgpr_private_segment_buffer 1
		.amdhsa_user_sgpr_dispatch_ptr 0
		.amdhsa_user_sgpr_queue_ptr 0
		.amdhsa_user_sgpr_kernarg_segment_ptr 1
		.amdhsa_user_sgpr_dispatch_id 0
		.amdhsa_user_sgpr_flat_scratch_init 0
		.amdhsa_user_sgpr_kernarg_preload_length 0
		.amdhsa_user_sgpr_kernarg_preload_offset 0
		.amdhsa_user_sgpr_private_segment_size 0
		.amdhsa_uses_dynamic_stack 0
		.amdhsa_system_sgpr_private_segment_wavefront_offset 0
		.amdhsa_system_sgpr_workgroup_id_x 1
		.amdhsa_system_sgpr_workgroup_id_y 0
		.amdhsa_system_sgpr_workgroup_id_z 0
		.amdhsa_system_sgpr_workgroup_info 0
		.amdhsa_system_vgpr_workitem_id 0
		.amdhsa_next_free_vgpr 1
		.amdhsa_next_free_sgpr 0
		.amdhsa_accum_offset 4
		.amdhsa_reserve_vcc 0
		.amdhsa_reserve_flat_scratch 0
		.amdhsa_float_round_mode_32 0
		.amdhsa_float_round_mode_16_64 0
		.amdhsa_float_denorm_mode_32 3
		.amdhsa_float_denorm_mode_16_64 3
		.amdhsa_dx10_clamp 1
		.amdhsa_ieee_mode 1
		.amdhsa_fp16_overflow 0
		.amdhsa_tg_split 0
		.amdhsa_exception_fp_ieee_invalid_op 0
		.amdhsa_exception_fp_denorm_src 0
		.amdhsa_exception_fp_ieee_div_zero 0
		.amdhsa_exception_fp_ieee_overflow 0
		.amdhsa_exception_fp_ieee_underflow 0
		.amdhsa_exception_fp_ieee_inexact 0
		.amdhsa_exception_int_div_zero 0
	.end_amdhsa_kernel
	.section	.text._ZN7rocprim17ROCPRIM_400000_NS6detail17trampoline_kernelINS0_14default_configENS1_29reduce_by_key_config_selectorIjyN6thrust23THRUST_200600_302600_NS4plusIyEEEEZZNS1_33reduce_by_key_impl_wrapped_configILNS1_25lookback_scan_determinismE0ES3_S9_NS6_6detail15normal_iteratorINS6_10device_ptrIjEEEENSD_INSE_IyEEEENS6_16discard_iteratorINS6_11use_defaultEEESI_PmS8_NS6_8equal_toIjEEEE10hipError_tPvRmT2_T3_mT4_T5_T6_T7_T8_P12ihipStream_tbENKUlT_T0_E_clISt17integral_constantIbLb1EES16_EEDaS11_S12_EUlS11_E_NS1_11comp_targetILNS1_3genE9ELNS1_11target_archE1100ELNS1_3gpuE3ELNS1_3repE0EEENS1_30default_config_static_selectorELNS0_4arch9wavefront6targetE1EEEvT1_,"axG",@progbits,_ZN7rocprim17ROCPRIM_400000_NS6detail17trampoline_kernelINS0_14default_configENS1_29reduce_by_key_config_selectorIjyN6thrust23THRUST_200600_302600_NS4plusIyEEEEZZNS1_33reduce_by_key_impl_wrapped_configILNS1_25lookback_scan_determinismE0ES3_S9_NS6_6detail15normal_iteratorINS6_10device_ptrIjEEEENSD_INSE_IyEEEENS6_16discard_iteratorINS6_11use_defaultEEESI_PmS8_NS6_8equal_toIjEEEE10hipError_tPvRmT2_T3_mT4_T5_T6_T7_T8_P12ihipStream_tbENKUlT_T0_E_clISt17integral_constantIbLb1EES16_EEDaS11_S12_EUlS11_E_NS1_11comp_targetILNS1_3genE9ELNS1_11target_archE1100ELNS1_3gpuE3ELNS1_3repE0EEENS1_30default_config_static_selectorELNS0_4arch9wavefront6targetE1EEEvT1_,comdat
.Lfunc_end893:
	.size	_ZN7rocprim17ROCPRIM_400000_NS6detail17trampoline_kernelINS0_14default_configENS1_29reduce_by_key_config_selectorIjyN6thrust23THRUST_200600_302600_NS4plusIyEEEEZZNS1_33reduce_by_key_impl_wrapped_configILNS1_25lookback_scan_determinismE0ES3_S9_NS6_6detail15normal_iteratorINS6_10device_ptrIjEEEENSD_INSE_IyEEEENS6_16discard_iteratorINS6_11use_defaultEEESI_PmS8_NS6_8equal_toIjEEEE10hipError_tPvRmT2_T3_mT4_T5_T6_T7_T8_P12ihipStream_tbENKUlT_T0_E_clISt17integral_constantIbLb1EES16_EEDaS11_S12_EUlS11_E_NS1_11comp_targetILNS1_3genE9ELNS1_11target_archE1100ELNS1_3gpuE3ELNS1_3repE0EEENS1_30default_config_static_selectorELNS0_4arch9wavefront6targetE1EEEvT1_, .Lfunc_end893-_ZN7rocprim17ROCPRIM_400000_NS6detail17trampoline_kernelINS0_14default_configENS1_29reduce_by_key_config_selectorIjyN6thrust23THRUST_200600_302600_NS4plusIyEEEEZZNS1_33reduce_by_key_impl_wrapped_configILNS1_25lookback_scan_determinismE0ES3_S9_NS6_6detail15normal_iteratorINS6_10device_ptrIjEEEENSD_INSE_IyEEEENS6_16discard_iteratorINS6_11use_defaultEEESI_PmS8_NS6_8equal_toIjEEEE10hipError_tPvRmT2_T3_mT4_T5_T6_T7_T8_P12ihipStream_tbENKUlT_T0_E_clISt17integral_constantIbLb1EES16_EEDaS11_S12_EUlS11_E_NS1_11comp_targetILNS1_3genE9ELNS1_11target_archE1100ELNS1_3gpuE3ELNS1_3repE0EEENS1_30default_config_static_selectorELNS0_4arch9wavefront6targetE1EEEvT1_
                                        ; -- End function
	.section	.AMDGPU.csdata,"",@progbits
; Kernel info:
; codeLenInByte = 0
; NumSgprs: 4
; NumVgprs: 0
; NumAgprs: 0
; TotalNumVgprs: 0
; ScratchSize: 0
; MemoryBound: 0
; FloatMode: 240
; IeeeMode: 1
; LDSByteSize: 0 bytes/workgroup (compile time only)
; SGPRBlocks: 0
; VGPRBlocks: 0
; NumSGPRsForWavesPerEU: 4
; NumVGPRsForWavesPerEU: 1
; AccumOffset: 4
; Occupancy: 8
; WaveLimiterHint : 0
; COMPUTE_PGM_RSRC2:SCRATCH_EN: 0
; COMPUTE_PGM_RSRC2:USER_SGPR: 6
; COMPUTE_PGM_RSRC2:TRAP_HANDLER: 0
; COMPUTE_PGM_RSRC2:TGID_X_EN: 1
; COMPUTE_PGM_RSRC2:TGID_Y_EN: 0
; COMPUTE_PGM_RSRC2:TGID_Z_EN: 0
; COMPUTE_PGM_RSRC2:TIDIG_COMP_CNT: 0
; COMPUTE_PGM_RSRC3_GFX90A:ACCUM_OFFSET: 0
; COMPUTE_PGM_RSRC3_GFX90A:TG_SPLIT: 0
	.section	.text._ZN7rocprim17ROCPRIM_400000_NS6detail17trampoline_kernelINS0_14default_configENS1_29reduce_by_key_config_selectorIjyN6thrust23THRUST_200600_302600_NS4plusIyEEEEZZNS1_33reduce_by_key_impl_wrapped_configILNS1_25lookback_scan_determinismE0ES3_S9_NS6_6detail15normal_iteratorINS6_10device_ptrIjEEEENSD_INSE_IyEEEENS6_16discard_iteratorINS6_11use_defaultEEESI_PmS8_NS6_8equal_toIjEEEE10hipError_tPvRmT2_T3_mT4_T5_T6_T7_T8_P12ihipStream_tbENKUlT_T0_E_clISt17integral_constantIbLb1EES16_EEDaS11_S12_EUlS11_E_NS1_11comp_targetILNS1_3genE8ELNS1_11target_archE1030ELNS1_3gpuE2ELNS1_3repE0EEENS1_30default_config_static_selectorELNS0_4arch9wavefront6targetE1EEEvT1_,"axG",@progbits,_ZN7rocprim17ROCPRIM_400000_NS6detail17trampoline_kernelINS0_14default_configENS1_29reduce_by_key_config_selectorIjyN6thrust23THRUST_200600_302600_NS4plusIyEEEEZZNS1_33reduce_by_key_impl_wrapped_configILNS1_25lookback_scan_determinismE0ES3_S9_NS6_6detail15normal_iteratorINS6_10device_ptrIjEEEENSD_INSE_IyEEEENS6_16discard_iteratorINS6_11use_defaultEEESI_PmS8_NS6_8equal_toIjEEEE10hipError_tPvRmT2_T3_mT4_T5_T6_T7_T8_P12ihipStream_tbENKUlT_T0_E_clISt17integral_constantIbLb1EES16_EEDaS11_S12_EUlS11_E_NS1_11comp_targetILNS1_3genE8ELNS1_11target_archE1030ELNS1_3gpuE2ELNS1_3repE0EEENS1_30default_config_static_selectorELNS0_4arch9wavefront6targetE1EEEvT1_,comdat
	.protected	_ZN7rocprim17ROCPRIM_400000_NS6detail17trampoline_kernelINS0_14default_configENS1_29reduce_by_key_config_selectorIjyN6thrust23THRUST_200600_302600_NS4plusIyEEEEZZNS1_33reduce_by_key_impl_wrapped_configILNS1_25lookback_scan_determinismE0ES3_S9_NS6_6detail15normal_iteratorINS6_10device_ptrIjEEEENSD_INSE_IyEEEENS6_16discard_iteratorINS6_11use_defaultEEESI_PmS8_NS6_8equal_toIjEEEE10hipError_tPvRmT2_T3_mT4_T5_T6_T7_T8_P12ihipStream_tbENKUlT_T0_E_clISt17integral_constantIbLb1EES16_EEDaS11_S12_EUlS11_E_NS1_11comp_targetILNS1_3genE8ELNS1_11target_archE1030ELNS1_3gpuE2ELNS1_3repE0EEENS1_30default_config_static_selectorELNS0_4arch9wavefront6targetE1EEEvT1_ ; -- Begin function _ZN7rocprim17ROCPRIM_400000_NS6detail17trampoline_kernelINS0_14default_configENS1_29reduce_by_key_config_selectorIjyN6thrust23THRUST_200600_302600_NS4plusIyEEEEZZNS1_33reduce_by_key_impl_wrapped_configILNS1_25lookback_scan_determinismE0ES3_S9_NS6_6detail15normal_iteratorINS6_10device_ptrIjEEEENSD_INSE_IyEEEENS6_16discard_iteratorINS6_11use_defaultEEESI_PmS8_NS6_8equal_toIjEEEE10hipError_tPvRmT2_T3_mT4_T5_T6_T7_T8_P12ihipStream_tbENKUlT_T0_E_clISt17integral_constantIbLb1EES16_EEDaS11_S12_EUlS11_E_NS1_11comp_targetILNS1_3genE8ELNS1_11target_archE1030ELNS1_3gpuE2ELNS1_3repE0EEENS1_30default_config_static_selectorELNS0_4arch9wavefront6targetE1EEEvT1_
	.globl	_ZN7rocprim17ROCPRIM_400000_NS6detail17trampoline_kernelINS0_14default_configENS1_29reduce_by_key_config_selectorIjyN6thrust23THRUST_200600_302600_NS4plusIyEEEEZZNS1_33reduce_by_key_impl_wrapped_configILNS1_25lookback_scan_determinismE0ES3_S9_NS6_6detail15normal_iteratorINS6_10device_ptrIjEEEENSD_INSE_IyEEEENS6_16discard_iteratorINS6_11use_defaultEEESI_PmS8_NS6_8equal_toIjEEEE10hipError_tPvRmT2_T3_mT4_T5_T6_T7_T8_P12ihipStream_tbENKUlT_T0_E_clISt17integral_constantIbLb1EES16_EEDaS11_S12_EUlS11_E_NS1_11comp_targetILNS1_3genE8ELNS1_11target_archE1030ELNS1_3gpuE2ELNS1_3repE0EEENS1_30default_config_static_selectorELNS0_4arch9wavefront6targetE1EEEvT1_
	.p2align	8
	.type	_ZN7rocprim17ROCPRIM_400000_NS6detail17trampoline_kernelINS0_14default_configENS1_29reduce_by_key_config_selectorIjyN6thrust23THRUST_200600_302600_NS4plusIyEEEEZZNS1_33reduce_by_key_impl_wrapped_configILNS1_25lookback_scan_determinismE0ES3_S9_NS6_6detail15normal_iteratorINS6_10device_ptrIjEEEENSD_INSE_IyEEEENS6_16discard_iteratorINS6_11use_defaultEEESI_PmS8_NS6_8equal_toIjEEEE10hipError_tPvRmT2_T3_mT4_T5_T6_T7_T8_P12ihipStream_tbENKUlT_T0_E_clISt17integral_constantIbLb1EES16_EEDaS11_S12_EUlS11_E_NS1_11comp_targetILNS1_3genE8ELNS1_11target_archE1030ELNS1_3gpuE2ELNS1_3repE0EEENS1_30default_config_static_selectorELNS0_4arch9wavefront6targetE1EEEvT1_,@function
_ZN7rocprim17ROCPRIM_400000_NS6detail17trampoline_kernelINS0_14default_configENS1_29reduce_by_key_config_selectorIjyN6thrust23THRUST_200600_302600_NS4plusIyEEEEZZNS1_33reduce_by_key_impl_wrapped_configILNS1_25lookback_scan_determinismE0ES3_S9_NS6_6detail15normal_iteratorINS6_10device_ptrIjEEEENSD_INSE_IyEEEENS6_16discard_iteratorINS6_11use_defaultEEESI_PmS8_NS6_8equal_toIjEEEE10hipError_tPvRmT2_T3_mT4_T5_T6_T7_T8_P12ihipStream_tbENKUlT_T0_E_clISt17integral_constantIbLb1EES16_EEDaS11_S12_EUlS11_E_NS1_11comp_targetILNS1_3genE8ELNS1_11target_archE1030ELNS1_3gpuE2ELNS1_3repE0EEENS1_30default_config_static_selectorELNS0_4arch9wavefront6targetE1EEEvT1_: ; @_ZN7rocprim17ROCPRIM_400000_NS6detail17trampoline_kernelINS0_14default_configENS1_29reduce_by_key_config_selectorIjyN6thrust23THRUST_200600_302600_NS4plusIyEEEEZZNS1_33reduce_by_key_impl_wrapped_configILNS1_25lookback_scan_determinismE0ES3_S9_NS6_6detail15normal_iteratorINS6_10device_ptrIjEEEENSD_INSE_IyEEEENS6_16discard_iteratorINS6_11use_defaultEEESI_PmS8_NS6_8equal_toIjEEEE10hipError_tPvRmT2_T3_mT4_T5_T6_T7_T8_P12ihipStream_tbENKUlT_T0_E_clISt17integral_constantIbLb1EES16_EEDaS11_S12_EUlS11_E_NS1_11comp_targetILNS1_3genE8ELNS1_11target_archE1030ELNS1_3gpuE2ELNS1_3repE0EEENS1_30default_config_static_selectorELNS0_4arch9wavefront6targetE1EEEvT1_
; %bb.0:
	.section	.rodata,"a",@progbits
	.p2align	6, 0x0
	.amdhsa_kernel _ZN7rocprim17ROCPRIM_400000_NS6detail17trampoline_kernelINS0_14default_configENS1_29reduce_by_key_config_selectorIjyN6thrust23THRUST_200600_302600_NS4plusIyEEEEZZNS1_33reduce_by_key_impl_wrapped_configILNS1_25lookback_scan_determinismE0ES3_S9_NS6_6detail15normal_iteratorINS6_10device_ptrIjEEEENSD_INSE_IyEEEENS6_16discard_iteratorINS6_11use_defaultEEESI_PmS8_NS6_8equal_toIjEEEE10hipError_tPvRmT2_T3_mT4_T5_T6_T7_T8_P12ihipStream_tbENKUlT_T0_E_clISt17integral_constantIbLb1EES16_EEDaS11_S12_EUlS11_E_NS1_11comp_targetILNS1_3genE8ELNS1_11target_archE1030ELNS1_3gpuE2ELNS1_3repE0EEENS1_30default_config_static_selectorELNS0_4arch9wavefront6targetE1EEEvT1_
		.amdhsa_group_segment_fixed_size 0
		.amdhsa_private_segment_fixed_size 0
		.amdhsa_kernarg_size 144
		.amdhsa_user_sgpr_count 6
		.amdhsa_user_sgpr_private_segment_buffer 1
		.amdhsa_user_sgpr_dispatch_ptr 0
		.amdhsa_user_sgpr_queue_ptr 0
		.amdhsa_user_sgpr_kernarg_segment_ptr 1
		.amdhsa_user_sgpr_dispatch_id 0
		.amdhsa_user_sgpr_flat_scratch_init 0
		.amdhsa_user_sgpr_kernarg_preload_length 0
		.amdhsa_user_sgpr_kernarg_preload_offset 0
		.amdhsa_user_sgpr_private_segment_size 0
		.amdhsa_uses_dynamic_stack 0
		.amdhsa_system_sgpr_private_segment_wavefront_offset 0
		.amdhsa_system_sgpr_workgroup_id_x 1
		.amdhsa_system_sgpr_workgroup_id_y 0
		.amdhsa_system_sgpr_workgroup_id_z 0
		.amdhsa_system_sgpr_workgroup_info 0
		.amdhsa_system_vgpr_workitem_id 0
		.amdhsa_next_free_vgpr 1
		.amdhsa_next_free_sgpr 0
		.amdhsa_accum_offset 4
		.amdhsa_reserve_vcc 0
		.amdhsa_reserve_flat_scratch 0
		.amdhsa_float_round_mode_32 0
		.amdhsa_float_round_mode_16_64 0
		.amdhsa_float_denorm_mode_32 3
		.amdhsa_float_denorm_mode_16_64 3
		.amdhsa_dx10_clamp 1
		.amdhsa_ieee_mode 1
		.amdhsa_fp16_overflow 0
		.amdhsa_tg_split 0
		.amdhsa_exception_fp_ieee_invalid_op 0
		.amdhsa_exception_fp_denorm_src 0
		.amdhsa_exception_fp_ieee_div_zero 0
		.amdhsa_exception_fp_ieee_overflow 0
		.amdhsa_exception_fp_ieee_underflow 0
		.amdhsa_exception_fp_ieee_inexact 0
		.amdhsa_exception_int_div_zero 0
	.end_amdhsa_kernel
	.section	.text._ZN7rocprim17ROCPRIM_400000_NS6detail17trampoline_kernelINS0_14default_configENS1_29reduce_by_key_config_selectorIjyN6thrust23THRUST_200600_302600_NS4plusIyEEEEZZNS1_33reduce_by_key_impl_wrapped_configILNS1_25lookback_scan_determinismE0ES3_S9_NS6_6detail15normal_iteratorINS6_10device_ptrIjEEEENSD_INSE_IyEEEENS6_16discard_iteratorINS6_11use_defaultEEESI_PmS8_NS6_8equal_toIjEEEE10hipError_tPvRmT2_T3_mT4_T5_T6_T7_T8_P12ihipStream_tbENKUlT_T0_E_clISt17integral_constantIbLb1EES16_EEDaS11_S12_EUlS11_E_NS1_11comp_targetILNS1_3genE8ELNS1_11target_archE1030ELNS1_3gpuE2ELNS1_3repE0EEENS1_30default_config_static_selectorELNS0_4arch9wavefront6targetE1EEEvT1_,"axG",@progbits,_ZN7rocprim17ROCPRIM_400000_NS6detail17trampoline_kernelINS0_14default_configENS1_29reduce_by_key_config_selectorIjyN6thrust23THRUST_200600_302600_NS4plusIyEEEEZZNS1_33reduce_by_key_impl_wrapped_configILNS1_25lookback_scan_determinismE0ES3_S9_NS6_6detail15normal_iteratorINS6_10device_ptrIjEEEENSD_INSE_IyEEEENS6_16discard_iteratorINS6_11use_defaultEEESI_PmS8_NS6_8equal_toIjEEEE10hipError_tPvRmT2_T3_mT4_T5_T6_T7_T8_P12ihipStream_tbENKUlT_T0_E_clISt17integral_constantIbLb1EES16_EEDaS11_S12_EUlS11_E_NS1_11comp_targetILNS1_3genE8ELNS1_11target_archE1030ELNS1_3gpuE2ELNS1_3repE0EEENS1_30default_config_static_selectorELNS0_4arch9wavefront6targetE1EEEvT1_,comdat
.Lfunc_end894:
	.size	_ZN7rocprim17ROCPRIM_400000_NS6detail17trampoline_kernelINS0_14default_configENS1_29reduce_by_key_config_selectorIjyN6thrust23THRUST_200600_302600_NS4plusIyEEEEZZNS1_33reduce_by_key_impl_wrapped_configILNS1_25lookback_scan_determinismE0ES3_S9_NS6_6detail15normal_iteratorINS6_10device_ptrIjEEEENSD_INSE_IyEEEENS6_16discard_iteratorINS6_11use_defaultEEESI_PmS8_NS6_8equal_toIjEEEE10hipError_tPvRmT2_T3_mT4_T5_T6_T7_T8_P12ihipStream_tbENKUlT_T0_E_clISt17integral_constantIbLb1EES16_EEDaS11_S12_EUlS11_E_NS1_11comp_targetILNS1_3genE8ELNS1_11target_archE1030ELNS1_3gpuE2ELNS1_3repE0EEENS1_30default_config_static_selectorELNS0_4arch9wavefront6targetE1EEEvT1_, .Lfunc_end894-_ZN7rocprim17ROCPRIM_400000_NS6detail17trampoline_kernelINS0_14default_configENS1_29reduce_by_key_config_selectorIjyN6thrust23THRUST_200600_302600_NS4plusIyEEEEZZNS1_33reduce_by_key_impl_wrapped_configILNS1_25lookback_scan_determinismE0ES3_S9_NS6_6detail15normal_iteratorINS6_10device_ptrIjEEEENSD_INSE_IyEEEENS6_16discard_iteratorINS6_11use_defaultEEESI_PmS8_NS6_8equal_toIjEEEE10hipError_tPvRmT2_T3_mT4_T5_T6_T7_T8_P12ihipStream_tbENKUlT_T0_E_clISt17integral_constantIbLb1EES16_EEDaS11_S12_EUlS11_E_NS1_11comp_targetILNS1_3genE8ELNS1_11target_archE1030ELNS1_3gpuE2ELNS1_3repE0EEENS1_30default_config_static_selectorELNS0_4arch9wavefront6targetE1EEEvT1_
                                        ; -- End function
	.section	.AMDGPU.csdata,"",@progbits
; Kernel info:
; codeLenInByte = 0
; NumSgprs: 4
; NumVgprs: 0
; NumAgprs: 0
; TotalNumVgprs: 0
; ScratchSize: 0
; MemoryBound: 0
; FloatMode: 240
; IeeeMode: 1
; LDSByteSize: 0 bytes/workgroup (compile time only)
; SGPRBlocks: 0
; VGPRBlocks: 0
; NumSGPRsForWavesPerEU: 4
; NumVGPRsForWavesPerEU: 1
; AccumOffset: 4
; Occupancy: 8
; WaveLimiterHint : 0
; COMPUTE_PGM_RSRC2:SCRATCH_EN: 0
; COMPUTE_PGM_RSRC2:USER_SGPR: 6
; COMPUTE_PGM_RSRC2:TRAP_HANDLER: 0
; COMPUTE_PGM_RSRC2:TGID_X_EN: 1
; COMPUTE_PGM_RSRC2:TGID_Y_EN: 0
; COMPUTE_PGM_RSRC2:TGID_Z_EN: 0
; COMPUTE_PGM_RSRC2:TIDIG_COMP_CNT: 0
; COMPUTE_PGM_RSRC3_GFX90A:ACCUM_OFFSET: 0
; COMPUTE_PGM_RSRC3_GFX90A:TG_SPLIT: 0
	.section	.text._ZN7rocprim17ROCPRIM_400000_NS6detail17trampoline_kernelINS0_14default_configENS1_29reduce_by_key_config_selectorIjyN6thrust23THRUST_200600_302600_NS4plusIyEEEEZZNS1_33reduce_by_key_impl_wrapped_configILNS1_25lookback_scan_determinismE0ES3_S9_NS6_6detail15normal_iteratorINS6_10device_ptrIjEEEENSD_INSE_IyEEEENS6_16discard_iteratorINS6_11use_defaultEEESI_PmS8_NS6_8equal_toIjEEEE10hipError_tPvRmT2_T3_mT4_T5_T6_T7_T8_P12ihipStream_tbENKUlT_T0_E_clISt17integral_constantIbLb1EES15_IbLb0EEEEDaS11_S12_EUlS11_E_NS1_11comp_targetILNS1_3genE0ELNS1_11target_archE4294967295ELNS1_3gpuE0ELNS1_3repE0EEENS1_30default_config_static_selectorELNS0_4arch9wavefront6targetE1EEEvT1_,"axG",@progbits,_ZN7rocprim17ROCPRIM_400000_NS6detail17trampoline_kernelINS0_14default_configENS1_29reduce_by_key_config_selectorIjyN6thrust23THRUST_200600_302600_NS4plusIyEEEEZZNS1_33reduce_by_key_impl_wrapped_configILNS1_25lookback_scan_determinismE0ES3_S9_NS6_6detail15normal_iteratorINS6_10device_ptrIjEEEENSD_INSE_IyEEEENS6_16discard_iteratorINS6_11use_defaultEEESI_PmS8_NS6_8equal_toIjEEEE10hipError_tPvRmT2_T3_mT4_T5_T6_T7_T8_P12ihipStream_tbENKUlT_T0_E_clISt17integral_constantIbLb1EES15_IbLb0EEEEDaS11_S12_EUlS11_E_NS1_11comp_targetILNS1_3genE0ELNS1_11target_archE4294967295ELNS1_3gpuE0ELNS1_3repE0EEENS1_30default_config_static_selectorELNS0_4arch9wavefront6targetE1EEEvT1_,comdat
	.protected	_ZN7rocprim17ROCPRIM_400000_NS6detail17trampoline_kernelINS0_14default_configENS1_29reduce_by_key_config_selectorIjyN6thrust23THRUST_200600_302600_NS4plusIyEEEEZZNS1_33reduce_by_key_impl_wrapped_configILNS1_25lookback_scan_determinismE0ES3_S9_NS6_6detail15normal_iteratorINS6_10device_ptrIjEEEENSD_INSE_IyEEEENS6_16discard_iteratorINS6_11use_defaultEEESI_PmS8_NS6_8equal_toIjEEEE10hipError_tPvRmT2_T3_mT4_T5_T6_T7_T8_P12ihipStream_tbENKUlT_T0_E_clISt17integral_constantIbLb1EES15_IbLb0EEEEDaS11_S12_EUlS11_E_NS1_11comp_targetILNS1_3genE0ELNS1_11target_archE4294967295ELNS1_3gpuE0ELNS1_3repE0EEENS1_30default_config_static_selectorELNS0_4arch9wavefront6targetE1EEEvT1_ ; -- Begin function _ZN7rocprim17ROCPRIM_400000_NS6detail17trampoline_kernelINS0_14default_configENS1_29reduce_by_key_config_selectorIjyN6thrust23THRUST_200600_302600_NS4plusIyEEEEZZNS1_33reduce_by_key_impl_wrapped_configILNS1_25lookback_scan_determinismE0ES3_S9_NS6_6detail15normal_iteratorINS6_10device_ptrIjEEEENSD_INSE_IyEEEENS6_16discard_iteratorINS6_11use_defaultEEESI_PmS8_NS6_8equal_toIjEEEE10hipError_tPvRmT2_T3_mT4_T5_T6_T7_T8_P12ihipStream_tbENKUlT_T0_E_clISt17integral_constantIbLb1EES15_IbLb0EEEEDaS11_S12_EUlS11_E_NS1_11comp_targetILNS1_3genE0ELNS1_11target_archE4294967295ELNS1_3gpuE0ELNS1_3repE0EEENS1_30default_config_static_selectorELNS0_4arch9wavefront6targetE1EEEvT1_
	.globl	_ZN7rocprim17ROCPRIM_400000_NS6detail17trampoline_kernelINS0_14default_configENS1_29reduce_by_key_config_selectorIjyN6thrust23THRUST_200600_302600_NS4plusIyEEEEZZNS1_33reduce_by_key_impl_wrapped_configILNS1_25lookback_scan_determinismE0ES3_S9_NS6_6detail15normal_iteratorINS6_10device_ptrIjEEEENSD_INSE_IyEEEENS6_16discard_iteratorINS6_11use_defaultEEESI_PmS8_NS6_8equal_toIjEEEE10hipError_tPvRmT2_T3_mT4_T5_T6_T7_T8_P12ihipStream_tbENKUlT_T0_E_clISt17integral_constantIbLb1EES15_IbLb0EEEEDaS11_S12_EUlS11_E_NS1_11comp_targetILNS1_3genE0ELNS1_11target_archE4294967295ELNS1_3gpuE0ELNS1_3repE0EEENS1_30default_config_static_selectorELNS0_4arch9wavefront6targetE1EEEvT1_
	.p2align	8
	.type	_ZN7rocprim17ROCPRIM_400000_NS6detail17trampoline_kernelINS0_14default_configENS1_29reduce_by_key_config_selectorIjyN6thrust23THRUST_200600_302600_NS4plusIyEEEEZZNS1_33reduce_by_key_impl_wrapped_configILNS1_25lookback_scan_determinismE0ES3_S9_NS6_6detail15normal_iteratorINS6_10device_ptrIjEEEENSD_INSE_IyEEEENS6_16discard_iteratorINS6_11use_defaultEEESI_PmS8_NS6_8equal_toIjEEEE10hipError_tPvRmT2_T3_mT4_T5_T6_T7_T8_P12ihipStream_tbENKUlT_T0_E_clISt17integral_constantIbLb1EES15_IbLb0EEEEDaS11_S12_EUlS11_E_NS1_11comp_targetILNS1_3genE0ELNS1_11target_archE4294967295ELNS1_3gpuE0ELNS1_3repE0EEENS1_30default_config_static_selectorELNS0_4arch9wavefront6targetE1EEEvT1_,@function
_ZN7rocprim17ROCPRIM_400000_NS6detail17trampoline_kernelINS0_14default_configENS1_29reduce_by_key_config_selectorIjyN6thrust23THRUST_200600_302600_NS4plusIyEEEEZZNS1_33reduce_by_key_impl_wrapped_configILNS1_25lookback_scan_determinismE0ES3_S9_NS6_6detail15normal_iteratorINS6_10device_ptrIjEEEENSD_INSE_IyEEEENS6_16discard_iteratorINS6_11use_defaultEEESI_PmS8_NS6_8equal_toIjEEEE10hipError_tPvRmT2_T3_mT4_T5_T6_T7_T8_P12ihipStream_tbENKUlT_T0_E_clISt17integral_constantIbLb1EES15_IbLb0EEEEDaS11_S12_EUlS11_E_NS1_11comp_targetILNS1_3genE0ELNS1_11target_archE4294967295ELNS1_3gpuE0ELNS1_3repE0EEENS1_30default_config_static_selectorELNS0_4arch9wavefront6targetE1EEEvT1_: ; @_ZN7rocprim17ROCPRIM_400000_NS6detail17trampoline_kernelINS0_14default_configENS1_29reduce_by_key_config_selectorIjyN6thrust23THRUST_200600_302600_NS4plusIyEEEEZZNS1_33reduce_by_key_impl_wrapped_configILNS1_25lookback_scan_determinismE0ES3_S9_NS6_6detail15normal_iteratorINS6_10device_ptrIjEEEENSD_INSE_IyEEEENS6_16discard_iteratorINS6_11use_defaultEEESI_PmS8_NS6_8equal_toIjEEEE10hipError_tPvRmT2_T3_mT4_T5_T6_T7_T8_P12ihipStream_tbENKUlT_T0_E_clISt17integral_constantIbLb1EES15_IbLb0EEEEDaS11_S12_EUlS11_E_NS1_11comp_targetILNS1_3genE0ELNS1_11target_archE4294967295ELNS1_3gpuE0ELNS1_3repE0EEENS1_30default_config_static_selectorELNS0_4arch9wavefront6targetE1EEEvT1_
; %bb.0:
	.section	.rodata,"a",@progbits
	.p2align	6, 0x0
	.amdhsa_kernel _ZN7rocprim17ROCPRIM_400000_NS6detail17trampoline_kernelINS0_14default_configENS1_29reduce_by_key_config_selectorIjyN6thrust23THRUST_200600_302600_NS4plusIyEEEEZZNS1_33reduce_by_key_impl_wrapped_configILNS1_25lookback_scan_determinismE0ES3_S9_NS6_6detail15normal_iteratorINS6_10device_ptrIjEEEENSD_INSE_IyEEEENS6_16discard_iteratorINS6_11use_defaultEEESI_PmS8_NS6_8equal_toIjEEEE10hipError_tPvRmT2_T3_mT4_T5_T6_T7_T8_P12ihipStream_tbENKUlT_T0_E_clISt17integral_constantIbLb1EES15_IbLb0EEEEDaS11_S12_EUlS11_E_NS1_11comp_targetILNS1_3genE0ELNS1_11target_archE4294967295ELNS1_3gpuE0ELNS1_3repE0EEENS1_30default_config_static_selectorELNS0_4arch9wavefront6targetE1EEEvT1_
		.amdhsa_group_segment_fixed_size 0
		.amdhsa_private_segment_fixed_size 0
		.amdhsa_kernarg_size 144
		.amdhsa_user_sgpr_count 6
		.amdhsa_user_sgpr_private_segment_buffer 1
		.amdhsa_user_sgpr_dispatch_ptr 0
		.amdhsa_user_sgpr_queue_ptr 0
		.amdhsa_user_sgpr_kernarg_segment_ptr 1
		.amdhsa_user_sgpr_dispatch_id 0
		.amdhsa_user_sgpr_flat_scratch_init 0
		.amdhsa_user_sgpr_kernarg_preload_length 0
		.amdhsa_user_sgpr_kernarg_preload_offset 0
		.amdhsa_user_sgpr_private_segment_size 0
		.amdhsa_uses_dynamic_stack 0
		.amdhsa_system_sgpr_private_segment_wavefront_offset 0
		.amdhsa_system_sgpr_workgroup_id_x 1
		.amdhsa_system_sgpr_workgroup_id_y 0
		.amdhsa_system_sgpr_workgroup_id_z 0
		.amdhsa_system_sgpr_workgroup_info 0
		.amdhsa_system_vgpr_workitem_id 0
		.amdhsa_next_free_vgpr 1
		.amdhsa_next_free_sgpr 0
		.amdhsa_accum_offset 4
		.amdhsa_reserve_vcc 0
		.amdhsa_reserve_flat_scratch 0
		.amdhsa_float_round_mode_32 0
		.amdhsa_float_round_mode_16_64 0
		.amdhsa_float_denorm_mode_32 3
		.amdhsa_float_denorm_mode_16_64 3
		.amdhsa_dx10_clamp 1
		.amdhsa_ieee_mode 1
		.amdhsa_fp16_overflow 0
		.amdhsa_tg_split 0
		.amdhsa_exception_fp_ieee_invalid_op 0
		.amdhsa_exception_fp_denorm_src 0
		.amdhsa_exception_fp_ieee_div_zero 0
		.amdhsa_exception_fp_ieee_overflow 0
		.amdhsa_exception_fp_ieee_underflow 0
		.amdhsa_exception_fp_ieee_inexact 0
		.amdhsa_exception_int_div_zero 0
	.end_amdhsa_kernel
	.section	.text._ZN7rocprim17ROCPRIM_400000_NS6detail17trampoline_kernelINS0_14default_configENS1_29reduce_by_key_config_selectorIjyN6thrust23THRUST_200600_302600_NS4plusIyEEEEZZNS1_33reduce_by_key_impl_wrapped_configILNS1_25lookback_scan_determinismE0ES3_S9_NS6_6detail15normal_iteratorINS6_10device_ptrIjEEEENSD_INSE_IyEEEENS6_16discard_iteratorINS6_11use_defaultEEESI_PmS8_NS6_8equal_toIjEEEE10hipError_tPvRmT2_T3_mT4_T5_T6_T7_T8_P12ihipStream_tbENKUlT_T0_E_clISt17integral_constantIbLb1EES15_IbLb0EEEEDaS11_S12_EUlS11_E_NS1_11comp_targetILNS1_3genE0ELNS1_11target_archE4294967295ELNS1_3gpuE0ELNS1_3repE0EEENS1_30default_config_static_selectorELNS0_4arch9wavefront6targetE1EEEvT1_,"axG",@progbits,_ZN7rocprim17ROCPRIM_400000_NS6detail17trampoline_kernelINS0_14default_configENS1_29reduce_by_key_config_selectorIjyN6thrust23THRUST_200600_302600_NS4plusIyEEEEZZNS1_33reduce_by_key_impl_wrapped_configILNS1_25lookback_scan_determinismE0ES3_S9_NS6_6detail15normal_iteratorINS6_10device_ptrIjEEEENSD_INSE_IyEEEENS6_16discard_iteratorINS6_11use_defaultEEESI_PmS8_NS6_8equal_toIjEEEE10hipError_tPvRmT2_T3_mT4_T5_T6_T7_T8_P12ihipStream_tbENKUlT_T0_E_clISt17integral_constantIbLb1EES15_IbLb0EEEEDaS11_S12_EUlS11_E_NS1_11comp_targetILNS1_3genE0ELNS1_11target_archE4294967295ELNS1_3gpuE0ELNS1_3repE0EEENS1_30default_config_static_selectorELNS0_4arch9wavefront6targetE1EEEvT1_,comdat
.Lfunc_end895:
	.size	_ZN7rocprim17ROCPRIM_400000_NS6detail17trampoline_kernelINS0_14default_configENS1_29reduce_by_key_config_selectorIjyN6thrust23THRUST_200600_302600_NS4plusIyEEEEZZNS1_33reduce_by_key_impl_wrapped_configILNS1_25lookback_scan_determinismE0ES3_S9_NS6_6detail15normal_iteratorINS6_10device_ptrIjEEEENSD_INSE_IyEEEENS6_16discard_iteratorINS6_11use_defaultEEESI_PmS8_NS6_8equal_toIjEEEE10hipError_tPvRmT2_T3_mT4_T5_T6_T7_T8_P12ihipStream_tbENKUlT_T0_E_clISt17integral_constantIbLb1EES15_IbLb0EEEEDaS11_S12_EUlS11_E_NS1_11comp_targetILNS1_3genE0ELNS1_11target_archE4294967295ELNS1_3gpuE0ELNS1_3repE0EEENS1_30default_config_static_selectorELNS0_4arch9wavefront6targetE1EEEvT1_, .Lfunc_end895-_ZN7rocprim17ROCPRIM_400000_NS6detail17trampoline_kernelINS0_14default_configENS1_29reduce_by_key_config_selectorIjyN6thrust23THRUST_200600_302600_NS4plusIyEEEEZZNS1_33reduce_by_key_impl_wrapped_configILNS1_25lookback_scan_determinismE0ES3_S9_NS6_6detail15normal_iteratorINS6_10device_ptrIjEEEENSD_INSE_IyEEEENS6_16discard_iteratorINS6_11use_defaultEEESI_PmS8_NS6_8equal_toIjEEEE10hipError_tPvRmT2_T3_mT4_T5_T6_T7_T8_P12ihipStream_tbENKUlT_T0_E_clISt17integral_constantIbLb1EES15_IbLb0EEEEDaS11_S12_EUlS11_E_NS1_11comp_targetILNS1_3genE0ELNS1_11target_archE4294967295ELNS1_3gpuE0ELNS1_3repE0EEENS1_30default_config_static_selectorELNS0_4arch9wavefront6targetE1EEEvT1_
                                        ; -- End function
	.section	.AMDGPU.csdata,"",@progbits
; Kernel info:
; codeLenInByte = 0
; NumSgprs: 4
; NumVgprs: 0
; NumAgprs: 0
; TotalNumVgprs: 0
; ScratchSize: 0
; MemoryBound: 0
; FloatMode: 240
; IeeeMode: 1
; LDSByteSize: 0 bytes/workgroup (compile time only)
; SGPRBlocks: 0
; VGPRBlocks: 0
; NumSGPRsForWavesPerEU: 4
; NumVGPRsForWavesPerEU: 1
; AccumOffset: 4
; Occupancy: 8
; WaveLimiterHint : 0
; COMPUTE_PGM_RSRC2:SCRATCH_EN: 0
; COMPUTE_PGM_RSRC2:USER_SGPR: 6
; COMPUTE_PGM_RSRC2:TRAP_HANDLER: 0
; COMPUTE_PGM_RSRC2:TGID_X_EN: 1
; COMPUTE_PGM_RSRC2:TGID_Y_EN: 0
; COMPUTE_PGM_RSRC2:TGID_Z_EN: 0
; COMPUTE_PGM_RSRC2:TIDIG_COMP_CNT: 0
; COMPUTE_PGM_RSRC3_GFX90A:ACCUM_OFFSET: 0
; COMPUTE_PGM_RSRC3_GFX90A:TG_SPLIT: 0
	.section	.text._ZN7rocprim17ROCPRIM_400000_NS6detail17trampoline_kernelINS0_14default_configENS1_29reduce_by_key_config_selectorIjyN6thrust23THRUST_200600_302600_NS4plusIyEEEEZZNS1_33reduce_by_key_impl_wrapped_configILNS1_25lookback_scan_determinismE0ES3_S9_NS6_6detail15normal_iteratorINS6_10device_ptrIjEEEENSD_INSE_IyEEEENS6_16discard_iteratorINS6_11use_defaultEEESI_PmS8_NS6_8equal_toIjEEEE10hipError_tPvRmT2_T3_mT4_T5_T6_T7_T8_P12ihipStream_tbENKUlT_T0_E_clISt17integral_constantIbLb1EES15_IbLb0EEEEDaS11_S12_EUlS11_E_NS1_11comp_targetILNS1_3genE5ELNS1_11target_archE942ELNS1_3gpuE9ELNS1_3repE0EEENS1_30default_config_static_selectorELNS0_4arch9wavefront6targetE1EEEvT1_,"axG",@progbits,_ZN7rocprim17ROCPRIM_400000_NS6detail17trampoline_kernelINS0_14default_configENS1_29reduce_by_key_config_selectorIjyN6thrust23THRUST_200600_302600_NS4plusIyEEEEZZNS1_33reduce_by_key_impl_wrapped_configILNS1_25lookback_scan_determinismE0ES3_S9_NS6_6detail15normal_iteratorINS6_10device_ptrIjEEEENSD_INSE_IyEEEENS6_16discard_iteratorINS6_11use_defaultEEESI_PmS8_NS6_8equal_toIjEEEE10hipError_tPvRmT2_T3_mT4_T5_T6_T7_T8_P12ihipStream_tbENKUlT_T0_E_clISt17integral_constantIbLb1EES15_IbLb0EEEEDaS11_S12_EUlS11_E_NS1_11comp_targetILNS1_3genE5ELNS1_11target_archE942ELNS1_3gpuE9ELNS1_3repE0EEENS1_30default_config_static_selectorELNS0_4arch9wavefront6targetE1EEEvT1_,comdat
	.protected	_ZN7rocprim17ROCPRIM_400000_NS6detail17trampoline_kernelINS0_14default_configENS1_29reduce_by_key_config_selectorIjyN6thrust23THRUST_200600_302600_NS4plusIyEEEEZZNS1_33reduce_by_key_impl_wrapped_configILNS1_25lookback_scan_determinismE0ES3_S9_NS6_6detail15normal_iteratorINS6_10device_ptrIjEEEENSD_INSE_IyEEEENS6_16discard_iteratorINS6_11use_defaultEEESI_PmS8_NS6_8equal_toIjEEEE10hipError_tPvRmT2_T3_mT4_T5_T6_T7_T8_P12ihipStream_tbENKUlT_T0_E_clISt17integral_constantIbLb1EES15_IbLb0EEEEDaS11_S12_EUlS11_E_NS1_11comp_targetILNS1_3genE5ELNS1_11target_archE942ELNS1_3gpuE9ELNS1_3repE0EEENS1_30default_config_static_selectorELNS0_4arch9wavefront6targetE1EEEvT1_ ; -- Begin function _ZN7rocprim17ROCPRIM_400000_NS6detail17trampoline_kernelINS0_14default_configENS1_29reduce_by_key_config_selectorIjyN6thrust23THRUST_200600_302600_NS4plusIyEEEEZZNS1_33reduce_by_key_impl_wrapped_configILNS1_25lookback_scan_determinismE0ES3_S9_NS6_6detail15normal_iteratorINS6_10device_ptrIjEEEENSD_INSE_IyEEEENS6_16discard_iteratorINS6_11use_defaultEEESI_PmS8_NS6_8equal_toIjEEEE10hipError_tPvRmT2_T3_mT4_T5_T6_T7_T8_P12ihipStream_tbENKUlT_T0_E_clISt17integral_constantIbLb1EES15_IbLb0EEEEDaS11_S12_EUlS11_E_NS1_11comp_targetILNS1_3genE5ELNS1_11target_archE942ELNS1_3gpuE9ELNS1_3repE0EEENS1_30default_config_static_selectorELNS0_4arch9wavefront6targetE1EEEvT1_
	.globl	_ZN7rocprim17ROCPRIM_400000_NS6detail17trampoline_kernelINS0_14default_configENS1_29reduce_by_key_config_selectorIjyN6thrust23THRUST_200600_302600_NS4plusIyEEEEZZNS1_33reduce_by_key_impl_wrapped_configILNS1_25lookback_scan_determinismE0ES3_S9_NS6_6detail15normal_iteratorINS6_10device_ptrIjEEEENSD_INSE_IyEEEENS6_16discard_iteratorINS6_11use_defaultEEESI_PmS8_NS6_8equal_toIjEEEE10hipError_tPvRmT2_T3_mT4_T5_T6_T7_T8_P12ihipStream_tbENKUlT_T0_E_clISt17integral_constantIbLb1EES15_IbLb0EEEEDaS11_S12_EUlS11_E_NS1_11comp_targetILNS1_3genE5ELNS1_11target_archE942ELNS1_3gpuE9ELNS1_3repE0EEENS1_30default_config_static_selectorELNS0_4arch9wavefront6targetE1EEEvT1_
	.p2align	8
	.type	_ZN7rocprim17ROCPRIM_400000_NS6detail17trampoline_kernelINS0_14default_configENS1_29reduce_by_key_config_selectorIjyN6thrust23THRUST_200600_302600_NS4plusIyEEEEZZNS1_33reduce_by_key_impl_wrapped_configILNS1_25lookback_scan_determinismE0ES3_S9_NS6_6detail15normal_iteratorINS6_10device_ptrIjEEEENSD_INSE_IyEEEENS6_16discard_iteratorINS6_11use_defaultEEESI_PmS8_NS6_8equal_toIjEEEE10hipError_tPvRmT2_T3_mT4_T5_T6_T7_T8_P12ihipStream_tbENKUlT_T0_E_clISt17integral_constantIbLb1EES15_IbLb0EEEEDaS11_S12_EUlS11_E_NS1_11comp_targetILNS1_3genE5ELNS1_11target_archE942ELNS1_3gpuE9ELNS1_3repE0EEENS1_30default_config_static_selectorELNS0_4arch9wavefront6targetE1EEEvT1_,@function
_ZN7rocprim17ROCPRIM_400000_NS6detail17trampoline_kernelINS0_14default_configENS1_29reduce_by_key_config_selectorIjyN6thrust23THRUST_200600_302600_NS4plusIyEEEEZZNS1_33reduce_by_key_impl_wrapped_configILNS1_25lookback_scan_determinismE0ES3_S9_NS6_6detail15normal_iteratorINS6_10device_ptrIjEEEENSD_INSE_IyEEEENS6_16discard_iteratorINS6_11use_defaultEEESI_PmS8_NS6_8equal_toIjEEEE10hipError_tPvRmT2_T3_mT4_T5_T6_T7_T8_P12ihipStream_tbENKUlT_T0_E_clISt17integral_constantIbLb1EES15_IbLb0EEEEDaS11_S12_EUlS11_E_NS1_11comp_targetILNS1_3genE5ELNS1_11target_archE942ELNS1_3gpuE9ELNS1_3repE0EEENS1_30default_config_static_selectorELNS0_4arch9wavefront6targetE1EEEvT1_: ; @_ZN7rocprim17ROCPRIM_400000_NS6detail17trampoline_kernelINS0_14default_configENS1_29reduce_by_key_config_selectorIjyN6thrust23THRUST_200600_302600_NS4plusIyEEEEZZNS1_33reduce_by_key_impl_wrapped_configILNS1_25lookback_scan_determinismE0ES3_S9_NS6_6detail15normal_iteratorINS6_10device_ptrIjEEEENSD_INSE_IyEEEENS6_16discard_iteratorINS6_11use_defaultEEESI_PmS8_NS6_8equal_toIjEEEE10hipError_tPvRmT2_T3_mT4_T5_T6_T7_T8_P12ihipStream_tbENKUlT_T0_E_clISt17integral_constantIbLb1EES15_IbLb0EEEEDaS11_S12_EUlS11_E_NS1_11comp_targetILNS1_3genE5ELNS1_11target_archE942ELNS1_3gpuE9ELNS1_3repE0EEENS1_30default_config_static_selectorELNS0_4arch9wavefront6targetE1EEEvT1_
; %bb.0:
	.section	.rodata,"a",@progbits
	.p2align	6, 0x0
	.amdhsa_kernel _ZN7rocprim17ROCPRIM_400000_NS6detail17trampoline_kernelINS0_14default_configENS1_29reduce_by_key_config_selectorIjyN6thrust23THRUST_200600_302600_NS4plusIyEEEEZZNS1_33reduce_by_key_impl_wrapped_configILNS1_25lookback_scan_determinismE0ES3_S9_NS6_6detail15normal_iteratorINS6_10device_ptrIjEEEENSD_INSE_IyEEEENS6_16discard_iteratorINS6_11use_defaultEEESI_PmS8_NS6_8equal_toIjEEEE10hipError_tPvRmT2_T3_mT4_T5_T6_T7_T8_P12ihipStream_tbENKUlT_T0_E_clISt17integral_constantIbLb1EES15_IbLb0EEEEDaS11_S12_EUlS11_E_NS1_11comp_targetILNS1_3genE5ELNS1_11target_archE942ELNS1_3gpuE9ELNS1_3repE0EEENS1_30default_config_static_selectorELNS0_4arch9wavefront6targetE1EEEvT1_
		.amdhsa_group_segment_fixed_size 0
		.amdhsa_private_segment_fixed_size 0
		.amdhsa_kernarg_size 144
		.amdhsa_user_sgpr_count 6
		.amdhsa_user_sgpr_private_segment_buffer 1
		.amdhsa_user_sgpr_dispatch_ptr 0
		.amdhsa_user_sgpr_queue_ptr 0
		.amdhsa_user_sgpr_kernarg_segment_ptr 1
		.amdhsa_user_sgpr_dispatch_id 0
		.amdhsa_user_sgpr_flat_scratch_init 0
		.amdhsa_user_sgpr_kernarg_preload_length 0
		.amdhsa_user_sgpr_kernarg_preload_offset 0
		.amdhsa_user_sgpr_private_segment_size 0
		.amdhsa_uses_dynamic_stack 0
		.amdhsa_system_sgpr_private_segment_wavefront_offset 0
		.amdhsa_system_sgpr_workgroup_id_x 1
		.amdhsa_system_sgpr_workgroup_id_y 0
		.amdhsa_system_sgpr_workgroup_id_z 0
		.amdhsa_system_sgpr_workgroup_info 0
		.amdhsa_system_vgpr_workitem_id 0
		.amdhsa_next_free_vgpr 1
		.amdhsa_next_free_sgpr 0
		.amdhsa_accum_offset 4
		.amdhsa_reserve_vcc 0
		.amdhsa_reserve_flat_scratch 0
		.amdhsa_float_round_mode_32 0
		.amdhsa_float_round_mode_16_64 0
		.amdhsa_float_denorm_mode_32 3
		.amdhsa_float_denorm_mode_16_64 3
		.amdhsa_dx10_clamp 1
		.amdhsa_ieee_mode 1
		.amdhsa_fp16_overflow 0
		.amdhsa_tg_split 0
		.amdhsa_exception_fp_ieee_invalid_op 0
		.amdhsa_exception_fp_denorm_src 0
		.amdhsa_exception_fp_ieee_div_zero 0
		.amdhsa_exception_fp_ieee_overflow 0
		.amdhsa_exception_fp_ieee_underflow 0
		.amdhsa_exception_fp_ieee_inexact 0
		.amdhsa_exception_int_div_zero 0
	.end_amdhsa_kernel
	.section	.text._ZN7rocprim17ROCPRIM_400000_NS6detail17trampoline_kernelINS0_14default_configENS1_29reduce_by_key_config_selectorIjyN6thrust23THRUST_200600_302600_NS4plusIyEEEEZZNS1_33reduce_by_key_impl_wrapped_configILNS1_25lookback_scan_determinismE0ES3_S9_NS6_6detail15normal_iteratorINS6_10device_ptrIjEEEENSD_INSE_IyEEEENS6_16discard_iteratorINS6_11use_defaultEEESI_PmS8_NS6_8equal_toIjEEEE10hipError_tPvRmT2_T3_mT4_T5_T6_T7_T8_P12ihipStream_tbENKUlT_T0_E_clISt17integral_constantIbLb1EES15_IbLb0EEEEDaS11_S12_EUlS11_E_NS1_11comp_targetILNS1_3genE5ELNS1_11target_archE942ELNS1_3gpuE9ELNS1_3repE0EEENS1_30default_config_static_selectorELNS0_4arch9wavefront6targetE1EEEvT1_,"axG",@progbits,_ZN7rocprim17ROCPRIM_400000_NS6detail17trampoline_kernelINS0_14default_configENS1_29reduce_by_key_config_selectorIjyN6thrust23THRUST_200600_302600_NS4plusIyEEEEZZNS1_33reduce_by_key_impl_wrapped_configILNS1_25lookback_scan_determinismE0ES3_S9_NS6_6detail15normal_iteratorINS6_10device_ptrIjEEEENSD_INSE_IyEEEENS6_16discard_iteratorINS6_11use_defaultEEESI_PmS8_NS6_8equal_toIjEEEE10hipError_tPvRmT2_T3_mT4_T5_T6_T7_T8_P12ihipStream_tbENKUlT_T0_E_clISt17integral_constantIbLb1EES15_IbLb0EEEEDaS11_S12_EUlS11_E_NS1_11comp_targetILNS1_3genE5ELNS1_11target_archE942ELNS1_3gpuE9ELNS1_3repE0EEENS1_30default_config_static_selectorELNS0_4arch9wavefront6targetE1EEEvT1_,comdat
.Lfunc_end896:
	.size	_ZN7rocprim17ROCPRIM_400000_NS6detail17trampoline_kernelINS0_14default_configENS1_29reduce_by_key_config_selectorIjyN6thrust23THRUST_200600_302600_NS4plusIyEEEEZZNS1_33reduce_by_key_impl_wrapped_configILNS1_25lookback_scan_determinismE0ES3_S9_NS6_6detail15normal_iteratorINS6_10device_ptrIjEEEENSD_INSE_IyEEEENS6_16discard_iteratorINS6_11use_defaultEEESI_PmS8_NS6_8equal_toIjEEEE10hipError_tPvRmT2_T3_mT4_T5_T6_T7_T8_P12ihipStream_tbENKUlT_T0_E_clISt17integral_constantIbLb1EES15_IbLb0EEEEDaS11_S12_EUlS11_E_NS1_11comp_targetILNS1_3genE5ELNS1_11target_archE942ELNS1_3gpuE9ELNS1_3repE0EEENS1_30default_config_static_selectorELNS0_4arch9wavefront6targetE1EEEvT1_, .Lfunc_end896-_ZN7rocprim17ROCPRIM_400000_NS6detail17trampoline_kernelINS0_14default_configENS1_29reduce_by_key_config_selectorIjyN6thrust23THRUST_200600_302600_NS4plusIyEEEEZZNS1_33reduce_by_key_impl_wrapped_configILNS1_25lookback_scan_determinismE0ES3_S9_NS6_6detail15normal_iteratorINS6_10device_ptrIjEEEENSD_INSE_IyEEEENS6_16discard_iteratorINS6_11use_defaultEEESI_PmS8_NS6_8equal_toIjEEEE10hipError_tPvRmT2_T3_mT4_T5_T6_T7_T8_P12ihipStream_tbENKUlT_T0_E_clISt17integral_constantIbLb1EES15_IbLb0EEEEDaS11_S12_EUlS11_E_NS1_11comp_targetILNS1_3genE5ELNS1_11target_archE942ELNS1_3gpuE9ELNS1_3repE0EEENS1_30default_config_static_selectorELNS0_4arch9wavefront6targetE1EEEvT1_
                                        ; -- End function
	.section	.AMDGPU.csdata,"",@progbits
; Kernel info:
; codeLenInByte = 0
; NumSgprs: 4
; NumVgprs: 0
; NumAgprs: 0
; TotalNumVgprs: 0
; ScratchSize: 0
; MemoryBound: 0
; FloatMode: 240
; IeeeMode: 1
; LDSByteSize: 0 bytes/workgroup (compile time only)
; SGPRBlocks: 0
; VGPRBlocks: 0
; NumSGPRsForWavesPerEU: 4
; NumVGPRsForWavesPerEU: 1
; AccumOffset: 4
; Occupancy: 8
; WaveLimiterHint : 0
; COMPUTE_PGM_RSRC2:SCRATCH_EN: 0
; COMPUTE_PGM_RSRC2:USER_SGPR: 6
; COMPUTE_PGM_RSRC2:TRAP_HANDLER: 0
; COMPUTE_PGM_RSRC2:TGID_X_EN: 1
; COMPUTE_PGM_RSRC2:TGID_Y_EN: 0
; COMPUTE_PGM_RSRC2:TGID_Z_EN: 0
; COMPUTE_PGM_RSRC2:TIDIG_COMP_CNT: 0
; COMPUTE_PGM_RSRC3_GFX90A:ACCUM_OFFSET: 0
; COMPUTE_PGM_RSRC3_GFX90A:TG_SPLIT: 0
	.section	.text._ZN7rocprim17ROCPRIM_400000_NS6detail17trampoline_kernelINS0_14default_configENS1_29reduce_by_key_config_selectorIjyN6thrust23THRUST_200600_302600_NS4plusIyEEEEZZNS1_33reduce_by_key_impl_wrapped_configILNS1_25lookback_scan_determinismE0ES3_S9_NS6_6detail15normal_iteratorINS6_10device_ptrIjEEEENSD_INSE_IyEEEENS6_16discard_iteratorINS6_11use_defaultEEESI_PmS8_NS6_8equal_toIjEEEE10hipError_tPvRmT2_T3_mT4_T5_T6_T7_T8_P12ihipStream_tbENKUlT_T0_E_clISt17integral_constantIbLb1EES15_IbLb0EEEEDaS11_S12_EUlS11_E_NS1_11comp_targetILNS1_3genE4ELNS1_11target_archE910ELNS1_3gpuE8ELNS1_3repE0EEENS1_30default_config_static_selectorELNS0_4arch9wavefront6targetE1EEEvT1_,"axG",@progbits,_ZN7rocprim17ROCPRIM_400000_NS6detail17trampoline_kernelINS0_14default_configENS1_29reduce_by_key_config_selectorIjyN6thrust23THRUST_200600_302600_NS4plusIyEEEEZZNS1_33reduce_by_key_impl_wrapped_configILNS1_25lookback_scan_determinismE0ES3_S9_NS6_6detail15normal_iteratorINS6_10device_ptrIjEEEENSD_INSE_IyEEEENS6_16discard_iteratorINS6_11use_defaultEEESI_PmS8_NS6_8equal_toIjEEEE10hipError_tPvRmT2_T3_mT4_T5_T6_T7_T8_P12ihipStream_tbENKUlT_T0_E_clISt17integral_constantIbLb1EES15_IbLb0EEEEDaS11_S12_EUlS11_E_NS1_11comp_targetILNS1_3genE4ELNS1_11target_archE910ELNS1_3gpuE8ELNS1_3repE0EEENS1_30default_config_static_selectorELNS0_4arch9wavefront6targetE1EEEvT1_,comdat
	.protected	_ZN7rocprim17ROCPRIM_400000_NS6detail17trampoline_kernelINS0_14default_configENS1_29reduce_by_key_config_selectorIjyN6thrust23THRUST_200600_302600_NS4plusIyEEEEZZNS1_33reduce_by_key_impl_wrapped_configILNS1_25lookback_scan_determinismE0ES3_S9_NS6_6detail15normal_iteratorINS6_10device_ptrIjEEEENSD_INSE_IyEEEENS6_16discard_iteratorINS6_11use_defaultEEESI_PmS8_NS6_8equal_toIjEEEE10hipError_tPvRmT2_T3_mT4_T5_T6_T7_T8_P12ihipStream_tbENKUlT_T0_E_clISt17integral_constantIbLb1EES15_IbLb0EEEEDaS11_S12_EUlS11_E_NS1_11comp_targetILNS1_3genE4ELNS1_11target_archE910ELNS1_3gpuE8ELNS1_3repE0EEENS1_30default_config_static_selectorELNS0_4arch9wavefront6targetE1EEEvT1_ ; -- Begin function _ZN7rocprim17ROCPRIM_400000_NS6detail17trampoline_kernelINS0_14default_configENS1_29reduce_by_key_config_selectorIjyN6thrust23THRUST_200600_302600_NS4plusIyEEEEZZNS1_33reduce_by_key_impl_wrapped_configILNS1_25lookback_scan_determinismE0ES3_S9_NS6_6detail15normal_iteratorINS6_10device_ptrIjEEEENSD_INSE_IyEEEENS6_16discard_iteratorINS6_11use_defaultEEESI_PmS8_NS6_8equal_toIjEEEE10hipError_tPvRmT2_T3_mT4_T5_T6_T7_T8_P12ihipStream_tbENKUlT_T0_E_clISt17integral_constantIbLb1EES15_IbLb0EEEEDaS11_S12_EUlS11_E_NS1_11comp_targetILNS1_3genE4ELNS1_11target_archE910ELNS1_3gpuE8ELNS1_3repE0EEENS1_30default_config_static_selectorELNS0_4arch9wavefront6targetE1EEEvT1_
	.globl	_ZN7rocprim17ROCPRIM_400000_NS6detail17trampoline_kernelINS0_14default_configENS1_29reduce_by_key_config_selectorIjyN6thrust23THRUST_200600_302600_NS4plusIyEEEEZZNS1_33reduce_by_key_impl_wrapped_configILNS1_25lookback_scan_determinismE0ES3_S9_NS6_6detail15normal_iteratorINS6_10device_ptrIjEEEENSD_INSE_IyEEEENS6_16discard_iteratorINS6_11use_defaultEEESI_PmS8_NS6_8equal_toIjEEEE10hipError_tPvRmT2_T3_mT4_T5_T6_T7_T8_P12ihipStream_tbENKUlT_T0_E_clISt17integral_constantIbLb1EES15_IbLb0EEEEDaS11_S12_EUlS11_E_NS1_11comp_targetILNS1_3genE4ELNS1_11target_archE910ELNS1_3gpuE8ELNS1_3repE0EEENS1_30default_config_static_selectorELNS0_4arch9wavefront6targetE1EEEvT1_
	.p2align	8
	.type	_ZN7rocprim17ROCPRIM_400000_NS6detail17trampoline_kernelINS0_14default_configENS1_29reduce_by_key_config_selectorIjyN6thrust23THRUST_200600_302600_NS4plusIyEEEEZZNS1_33reduce_by_key_impl_wrapped_configILNS1_25lookback_scan_determinismE0ES3_S9_NS6_6detail15normal_iteratorINS6_10device_ptrIjEEEENSD_INSE_IyEEEENS6_16discard_iteratorINS6_11use_defaultEEESI_PmS8_NS6_8equal_toIjEEEE10hipError_tPvRmT2_T3_mT4_T5_T6_T7_T8_P12ihipStream_tbENKUlT_T0_E_clISt17integral_constantIbLb1EES15_IbLb0EEEEDaS11_S12_EUlS11_E_NS1_11comp_targetILNS1_3genE4ELNS1_11target_archE910ELNS1_3gpuE8ELNS1_3repE0EEENS1_30default_config_static_selectorELNS0_4arch9wavefront6targetE1EEEvT1_,@function
_ZN7rocprim17ROCPRIM_400000_NS6detail17trampoline_kernelINS0_14default_configENS1_29reduce_by_key_config_selectorIjyN6thrust23THRUST_200600_302600_NS4plusIyEEEEZZNS1_33reduce_by_key_impl_wrapped_configILNS1_25lookback_scan_determinismE0ES3_S9_NS6_6detail15normal_iteratorINS6_10device_ptrIjEEEENSD_INSE_IyEEEENS6_16discard_iteratorINS6_11use_defaultEEESI_PmS8_NS6_8equal_toIjEEEE10hipError_tPvRmT2_T3_mT4_T5_T6_T7_T8_P12ihipStream_tbENKUlT_T0_E_clISt17integral_constantIbLb1EES15_IbLb0EEEEDaS11_S12_EUlS11_E_NS1_11comp_targetILNS1_3genE4ELNS1_11target_archE910ELNS1_3gpuE8ELNS1_3repE0EEENS1_30default_config_static_selectorELNS0_4arch9wavefront6targetE1EEEvT1_: ; @_ZN7rocprim17ROCPRIM_400000_NS6detail17trampoline_kernelINS0_14default_configENS1_29reduce_by_key_config_selectorIjyN6thrust23THRUST_200600_302600_NS4plusIyEEEEZZNS1_33reduce_by_key_impl_wrapped_configILNS1_25lookback_scan_determinismE0ES3_S9_NS6_6detail15normal_iteratorINS6_10device_ptrIjEEEENSD_INSE_IyEEEENS6_16discard_iteratorINS6_11use_defaultEEESI_PmS8_NS6_8equal_toIjEEEE10hipError_tPvRmT2_T3_mT4_T5_T6_T7_T8_P12ihipStream_tbENKUlT_T0_E_clISt17integral_constantIbLb1EES15_IbLb0EEEEDaS11_S12_EUlS11_E_NS1_11comp_targetILNS1_3genE4ELNS1_11target_archE910ELNS1_3gpuE8ELNS1_3repE0EEENS1_30default_config_static_selectorELNS0_4arch9wavefront6targetE1EEEvT1_
; %bb.0:
	s_load_dwordx4 s[0:3], s[4:5], 0x0
	s_load_dwordx2 s[8:9], s[4:5], 0x10
	s_load_dwordx16 s[36:51], s[4:5], 0x40
	s_waitcnt lgkmcnt(0)
	s_lshl_b64 s[10:11], s[2:3], 2
	s_add_u32 s7, s0, s10
	s_addc_u32 s10, s1, s11
	s_lshl_b64 s[0:1], s[2:3], 3
	s_add_u32 s8, s8, s0
	s_addc_u32 s9, s9, s1
	s_mul_i32 s0, s44, s43
	s_mul_hi_u32 s1, s44, s42
	s_add_i32 s0, s1, s0
	s_mul_i32 s1, s45, s42
	s_add_i32 s11, s0, s1
	s_mul_i32 s0, s6, 0xf00
	s_mov_b32 s1, 0
	s_lshl_b64 s[2:3], s[0:1], 2
	s_add_u32 s7, s7, s2
	s_addc_u32 s60, s10, s3
	s_lshl_b64 s[0:1], s[0:1], 3
	s_add_u32 s61, s8, s0
	s_mul_i32 s12, s44, s42
	s_addc_u32 s62, s9, s1
	s_add_u32 s56, s12, s6
	s_addc_u32 s57, s11, 0
	s_add_u32 s2, s46, -1
	s_addc_u32 s3, s47, -1
	s_cmp_eq_u64 s[56:57], s[2:3]
	s_cselect_b64 s[52:53], -1, 0
	s_cmp_lg_u64 s[56:57], s[2:3]
	s_mov_b64 s[0:1], -1
	s_cselect_b64 s[58:59], -1, 0
	s_mul_i32 s33, s2, 0xfffff100
	s_and_b64 vcc, exec, s[52:53]
	s_cbranch_vccnz .LBB897_2
; %bb.1:
	v_lshlrev_b32_e32 v1, 2, v0
	v_mov_b32_e32 v3, s60
	v_add_co_u32_e32 v2, vcc, s7, v1
	v_addc_co_u32_e32 v3, vcc, 0, v3, vcc
	v_add_co_u32_e32 v4, vcc, 0x1000, v2
	v_addc_co_u32_e32 v5, vcc, 0, v3, vcc
	flat_load_dword v6, v[2:3]
	flat_load_dword v7, v[2:3] offset:1024
	flat_load_dword v8, v[2:3] offset:2048
	;; [unrolled: 1-line block ×3, first 2 shown]
	flat_load_dword v10, v[4:5]
	flat_load_dword v11, v[4:5] offset:1024
	flat_load_dword v12, v[4:5] offset:2048
	;; [unrolled: 1-line block ×3, first 2 shown]
	v_add_co_u32_e32 v4, vcc, 0x2000, v2
	v_addc_co_u32_e32 v5, vcc, 0, v3, vcc
	v_add_co_u32_e32 v2, vcc, 0x3000, v2
	v_addc_co_u32_e32 v3, vcc, 0, v3, vcc
	flat_load_dword v14, v[4:5]
	flat_load_dword v15, v[4:5] offset:1024
	flat_load_dword v24, v[4:5] offset:2048
	;; [unrolled: 1-line block ×3, first 2 shown]
	flat_load_dword v26, v[2:3]
	flat_load_dword v27, v[2:3] offset:1024
	flat_load_dword v28, v[2:3] offset:2048
	v_lshlrev_b32_e32 v2, 3, v0
	v_mov_b32_e32 v3, s62
	v_add_co_u32_e32 v16, vcc, s61, v2
	s_movk_i32 s0, 0x1000
	v_addc_co_u32_e32 v17, vcc, 0, v3, vcc
	v_add_co_u32_e32 v18, vcc, s0, v16
	s_movk_i32 s1, 0x2000
	v_addc_co_u32_e32 v19, vcc, 0, v17, vcc
	;; [unrolled: 3-line block ×3, first 2 shown]
	v_add_co_u32_e32 v22, vcc, s2, v16
	v_mad_u32_u24 v46, v0, 56, v1
	v_addc_co_u32_e32 v23, vcc, 0, v17, vcc
	s_movk_i32 s0, 0x4000
	v_mul_u32_u24_e32 v54, 15, v0
	v_mad_u32_u24 v68, v0, 15, 1
	v_mad_u32_u24 v66, v0, 15, 2
	;; [unrolled: 1-line block ×14, first 2 shown]
	s_waitcnt vmcnt(0) lgkmcnt(0)
	ds_write2st64_b32 v1, v6, v7 offset1:4
	ds_write2st64_b32 v1, v8, v9 offset0:8 offset1:12
	ds_write2st64_b32 v1, v10, v11 offset0:16 offset1:20
	;; [unrolled: 1-line block ×6, first 2 shown]
	ds_write_b32 v1, v28 offset:14336
	s_waitcnt lgkmcnt(0)
	s_barrier
	ds_read2_b32 v[14:15], v46 offset1:1
	ds_read2_b32 v[12:13], v46 offset0:2 offset1:3
	ds_read2_b32 v[10:11], v46 offset0:4 offset1:5
	ds_read2_b32 v[8:9], v46 offset0:6 offset1:7
	ds_read2_b32 v[6:7], v46 offset0:8 offset1:9
	ds_read2_b32 v[4:5], v46 offset0:10 offset1:11
	ds_read2_b32 v[2:3], v46 offset0:12 offset1:13
	ds_read_b32 v1, v46 offset:56
	s_waitcnt lgkmcnt(0)
	s_barrier
	flat_load_dwordx2 v[24:25], v[16:17]
	flat_load_dwordx2 v[26:27], v[16:17] offset:2048
	flat_load_dwordx2 v[28:29], v[18:19]
	flat_load_dwordx2 v[30:31], v[18:19] offset:2048
	;; [unrolled: 2-line block ×4, first 2 shown]
	v_add_co_u32_e32 v18, vcc, s0, v16
	v_addc_co_u32_e32 v19, vcc, 0, v17, vcc
	s_movk_i32 s0, 0x5000
	v_add_co_u32_e32 v20, vcc, s0, v16
	v_addc_co_u32_e32 v21, vcc, 0, v17, vcc
	s_movk_i32 s0, 0x6000
	flat_load_dwordx2 v[22:23], v[18:19]
	flat_load_dwordx2 v[40:41], v[18:19] offset:2048
	flat_load_dwordx2 v[42:43], v[20:21]
	flat_load_dwordx2 v[44:45], v[20:21] offset:2048
	v_add_co_u32_e32 v18, vcc, s0, v16
	v_addc_co_u32_e32 v19, vcc, 0, v17, vcc
	s_movk_i32 s0, 0x7000
	v_add_co_u32_e32 v16, vcc, s0, v16
	v_addc_co_u32_e32 v17, vcc, 0, v17, vcc
	flat_load_dwordx2 v[20:21], v[18:19]
	flat_load_dwordx2 v[70:71], v[18:19] offset:2048
	flat_load_dwordx2 v[72:73], v[16:17]
	s_movk_i32 s0, 0xffcc
	v_mad_i32_i24 v16, v0, s0, v46
	v_mov_b32_e32 v52, v14
	v_mov_b32_e32 v53, v12
	;; [unrolled: 1-line block ×7, first 2 shown]
	s_waitcnt vmcnt(0) lgkmcnt(0)
	ds_write2st64_b64 v16, v[24:25], v[26:27] offset1:4
	ds_write2st64_b64 v16, v[28:29], v[30:31] offset0:8 offset1:12
	ds_write2st64_b64 v16, v[32:33], v[34:35] offset0:16 offset1:20
	;; [unrolled: 1-line block ×6, first 2 shown]
	ds_write_b64 v16, v[72:73] offset:28672
	s_waitcnt lgkmcnt(0)
	s_barrier
	s_load_dwordx2 s[54:55], s[4:5], 0x80
	s_add_i32 s33, s33, s48
	s_cbranch_execz .LBB897_3
	s_branch .LBB897_64
.LBB897_2:
                                        ; implicit-def: $vgpr1
                                        ; implicit-def: $vgpr2
                                        ; implicit-def: $vgpr4
                                        ; implicit-def: $vgpr6
                                        ; implicit-def: $vgpr8
                                        ; implicit-def: $vgpr10
                                        ; implicit-def: $vgpr12
                                        ; implicit-def: $vgpr14
                                        ; implicit-def: $vgpr55
                                        ; implicit-def: $vgpr57
                                        ; implicit-def: $vgpr56
                                        ; implicit-def: $vgpr60
                                        ; implicit-def: $vgpr58
                                        ; implicit-def: $vgpr61
                                        ; implicit-def: $vgpr59
                                        ; implicit-def: $vgpr64
                                        ; implicit-def: $vgpr62
                                        ; implicit-def: $vgpr65
                                        ; implicit-def: $vgpr63
                                        ; implicit-def: $vgpr67
                                        ; implicit-def: $vgpr66
                                        ; implicit-def: $vgpr68
                                        ; implicit-def: $vgpr54
                                        ; implicit-def: $vgpr46_vgpr47
                                        ; implicit-def: $vgpr48_vgpr49
                                        ; implicit-def: $vgpr52_vgpr53
                                        ; implicit-def: $vgpr50_vgpr51
	s_load_dwordx2 s[54:55], s[4:5], 0x80
	s_andn2_b64 vcc, exec, s[0:1]
	s_add_i32 s33, s33, s48
	s_cbranch_vccnz .LBB897_64
.LBB897_3:
	v_cmp_gt_u32_e32 vcc, s33, v0
                                        ; implicit-def: $vgpr1
	s_and_saveexec_b64 s[2:3], vcc
	s_cbranch_execz .LBB897_5
; %bb.4:
	v_lshlrev_b32_e32 v1, 2, v0
	v_mov_b32_e32 v3, s60
	v_add_co_u32_e64 v2, s[0:1], s7, v1
	v_addc_co_u32_e64 v3, s[0:1], 0, v3, s[0:1]
	flat_load_dword v1, v[2:3]
.LBB897_5:
	s_or_b64 exec, exec, s[2:3]
	v_or_b32_e32 v2, 0x100, v0
	v_cmp_gt_u32_e64 s[0:1], s33, v2
                                        ; implicit-def: $vgpr2
	s_and_saveexec_b64 s[8:9], s[0:1]
	s_cbranch_execz .LBB897_7
; %bb.6:
	v_lshlrev_b32_e32 v2, 2, v0
	v_mov_b32_e32 v3, s60
	v_add_co_u32_e64 v2, s[2:3], s7, v2
	v_addc_co_u32_e64 v3, s[2:3], 0, v3, s[2:3]
	flat_load_dword v2, v[2:3] offset:1024
.LBB897_7:
	s_or_b64 exec, exec, s[8:9]
	v_or_b32_e32 v22, 0x200, v0
	v_cmp_gt_u32_e64 s[2:3], s33, v22
                                        ; implicit-def: $vgpr3
	s_and_saveexec_b64 s[10:11], s[2:3]
	s_cbranch_execz .LBB897_9
; %bb.8:
	v_lshlrev_b32_e32 v3, 2, v0
	v_mov_b32_e32 v5, s60
	v_add_co_u32_e64 v4, s[8:9], s7, v3
	v_addc_co_u32_e64 v5, s[8:9], 0, v5, s[8:9]
	flat_load_dword v3, v[4:5] offset:2048
.LBB897_9:
	s_or_b64 exec, exec, s[10:11]
	v_or_b32_e32 v24, 0x300, v0
	v_cmp_gt_u32_e64 s[30:31], s33, v24
                                        ; implicit-def: $vgpr4
	s_and_saveexec_b64 s[10:11], s[30:31]
	s_cbranch_execz .LBB897_11
; %bb.10:
	v_lshlrev_b32_e32 v4, 2, v0
	v_mov_b32_e32 v5, s60
	v_add_co_u32_e64 v4, s[8:9], s7, v4
	v_addc_co_u32_e64 v5, s[8:9], 0, v5, s[8:9]
	flat_load_dword v4, v[4:5] offset:3072
.LBB897_11:
	s_or_b64 exec, exec, s[10:11]
	v_or_b32_e32 v26, 0x400, v0
	v_cmp_gt_u32_e64 s[8:9], s33, v26
                                        ; implicit-def: $vgpr5
	s_and_saveexec_b64 s[12:13], s[8:9]
	s_cbranch_execz .LBB897_13
; %bb.12:
	v_lshlrev_b32_e32 v5, 2, v26
	v_mov_b32_e32 v7, s60
	v_add_co_u32_e64 v6, s[10:11], s7, v5
	v_addc_co_u32_e64 v7, s[10:11], 0, v7, s[10:11]
	flat_load_dword v5, v[6:7]
.LBB897_13:
	s_or_b64 exec, exec, s[12:13]
	v_or_b32_e32 v28, 0x500, v0
	v_cmp_gt_u32_e64 s[10:11], s33, v28
                                        ; implicit-def: $vgpr6
	s_and_saveexec_b64 s[14:15], s[10:11]
	s_cbranch_execz .LBB897_15
; %bb.14:
	v_lshlrev_b32_e32 v6, 2, v28
	v_mov_b32_e32 v7, s60
	v_add_co_u32_e64 v6, s[12:13], s7, v6
	v_addc_co_u32_e64 v7, s[12:13], 0, v7, s[12:13]
	flat_load_dword v6, v[6:7]
.LBB897_15:
	s_or_b64 exec, exec, s[14:15]
	v_or_b32_e32 v30, 0x600, v0
	v_cmp_gt_u32_e64 s[12:13], s33, v30
                                        ; implicit-def: $vgpr7
	s_and_saveexec_b64 s[16:17], s[12:13]
	s_cbranch_execz .LBB897_17
; %bb.16:
	v_lshlrev_b32_e32 v7, 2, v30
	v_mov_b32_e32 v9, s60
	v_add_co_u32_e64 v8, s[14:15], s7, v7
	v_addc_co_u32_e64 v9, s[14:15], 0, v9, s[14:15]
	flat_load_dword v7, v[8:9]
.LBB897_17:
	s_or_b64 exec, exec, s[16:17]
	v_or_b32_e32 v32, 0x700, v0
	v_cmp_gt_u32_e64 s[14:15], s33, v32
                                        ; implicit-def: $vgpr8
	s_and_saveexec_b64 s[18:19], s[14:15]
	s_cbranch_execz .LBB897_19
; %bb.18:
	v_lshlrev_b32_e32 v8, 2, v32
	v_mov_b32_e32 v9, s60
	v_add_co_u32_e64 v8, s[16:17], s7, v8
	v_addc_co_u32_e64 v9, s[16:17], 0, v9, s[16:17]
	flat_load_dword v8, v[8:9]
.LBB897_19:
	s_or_b64 exec, exec, s[18:19]
	v_or_b32_e32 v34, 0x800, v0
	v_cmp_gt_u32_e64 s[16:17], s33, v34
                                        ; implicit-def: $vgpr9
	s_and_saveexec_b64 s[20:21], s[16:17]
	s_cbranch_execz .LBB897_21
; %bb.20:
	v_lshlrev_b32_e32 v9, 2, v34
	v_mov_b32_e32 v11, s60
	v_add_co_u32_e64 v10, s[18:19], s7, v9
	v_addc_co_u32_e64 v11, s[18:19], 0, v11, s[18:19]
	flat_load_dword v9, v[10:11]
.LBB897_21:
	s_or_b64 exec, exec, s[20:21]
	v_or_b32_e32 v36, 0x900, v0
	v_cmp_gt_u32_e64 s[18:19], s33, v36
                                        ; implicit-def: $vgpr10
	s_and_saveexec_b64 s[22:23], s[18:19]
	s_cbranch_execz .LBB897_23
; %bb.22:
	v_lshlrev_b32_e32 v10, 2, v36
	v_mov_b32_e32 v11, s60
	v_add_co_u32_e64 v10, s[20:21], s7, v10
	v_addc_co_u32_e64 v11, s[20:21], 0, v11, s[20:21]
	flat_load_dword v10, v[10:11]
.LBB897_23:
	s_or_b64 exec, exec, s[22:23]
	v_or_b32_e32 v38, 0xa00, v0
	v_cmp_gt_u32_e64 s[20:21], s33, v38
                                        ; implicit-def: $vgpr11
	s_and_saveexec_b64 s[24:25], s[20:21]
	s_cbranch_execz .LBB897_25
; %bb.24:
	v_lshlrev_b32_e32 v11, 2, v38
	v_mov_b32_e32 v13, s60
	v_add_co_u32_e64 v12, s[22:23], s7, v11
	v_addc_co_u32_e64 v13, s[22:23], 0, v13, s[22:23]
	flat_load_dword v11, v[12:13]
.LBB897_25:
	s_or_b64 exec, exec, s[24:25]
	v_or_b32_e32 v40, 0xb00, v0
	v_cmp_gt_u32_e64 s[22:23], s33, v40
                                        ; implicit-def: $vgpr12
	s_and_saveexec_b64 s[26:27], s[22:23]
	s_cbranch_execz .LBB897_27
; %bb.26:
	v_lshlrev_b32_e32 v12, 2, v40
	v_mov_b32_e32 v13, s60
	v_add_co_u32_e64 v12, s[24:25], s7, v12
	v_addc_co_u32_e64 v13, s[24:25], 0, v13, s[24:25]
	flat_load_dword v12, v[12:13]
.LBB897_27:
	s_or_b64 exec, exec, s[26:27]
	v_or_b32_e32 v42, 0xc00, v0
	v_cmp_gt_u32_e64 s[24:25], s33, v42
                                        ; implicit-def: $vgpr13
	s_and_saveexec_b64 s[28:29], s[24:25]
	s_cbranch_execz .LBB897_29
; %bb.28:
	v_lshlrev_b32_e32 v13, 2, v42
	v_mov_b32_e32 v15, s60
	v_add_co_u32_e64 v14, s[26:27], s7, v13
	v_addc_co_u32_e64 v15, s[26:27], 0, v15, s[26:27]
	flat_load_dword v13, v[14:15]
.LBB897_29:
	s_or_b64 exec, exec, s[28:29]
	v_or_b32_e32 v44, 0xd00, v0
	v_cmp_gt_u32_e64 s[26:27], s33, v44
                                        ; implicit-def: $vgpr14
	s_and_saveexec_b64 s[34:35], s[26:27]
	s_cbranch_execz .LBB897_31
; %bb.30:
	v_lshlrev_b32_e32 v14, 2, v44
	v_mov_b32_e32 v15, s60
	v_add_co_u32_e64 v14, s[28:29], s7, v14
	v_addc_co_u32_e64 v15, s[28:29], 0, v15, s[28:29]
	flat_load_dword v14, v[14:15]
.LBB897_31:
	s_or_b64 exec, exec, s[34:35]
	v_or_b32_e32 v47, 0xe00, v0
	v_cmp_gt_u32_e64 s[28:29], s33, v47
                                        ; implicit-def: $vgpr15
	s_and_saveexec_b64 s[44:45], s[28:29]
	s_cbranch_execz .LBB897_33
; %bb.32:
	v_lshlrev_b32_e32 v15, 2, v47
	v_mov_b32_e32 v17, s60
	v_add_co_u32_e64 v16, s[34:35], s7, v15
	v_addc_co_u32_e64 v17, s[34:35], 0, v17, s[34:35]
	flat_load_dword v15, v[16:17]
.LBB897_33:
	s_or_b64 exec, exec, s[44:45]
	v_lshlrev_b32_e32 v16, 2, v0
	v_mad_u32_u24 v46, v0, 56, v16
	s_waitcnt vmcnt(0) lgkmcnt(0)
	ds_write2st64_b32 v16, v1, v2 offset1:4
	ds_write2st64_b32 v16, v3, v4 offset0:8 offset1:12
	ds_write2st64_b32 v16, v5, v6 offset0:16 offset1:20
	;; [unrolled: 1-line block ×6, first 2 shown]
	ds_write_b32 v16, v15 offset:14336
	s_waitcnt lgkmcnt(0)
	s_barrier
	ds_read2_b32 v[14:15], v46 offset1:1
	ds_read2_b32 v[12:13], v46 offset0:2 offset1:3
	ds_read2_b32 v[10:11], v46 offset0:4 offset1:5
	ds_read2_b32 v[8:9], v46 offset0:6 offset1:7
	ds_read2_b32 v[6:7], v46 offset0:8 offset1:9
	ds_read2_b32 v[4:5], v46 offset0:10 offset1:11
	ds_read2_b32 v[2:3], v46 offset0:12 offset1:13
	ds_read_b32 v1, v46 offset:56
	s_waitcnt lgkmcnt(0)
	s_barrier
	s_waitcnt lgkmcnt(0)
                                        ; implicit-def: $vgpr16_vgpr17
	s_and_saveexec_b64 s[34:35], vcc
	s_cbranch_execz .LBB897_47
; %bb.34:
	v_lshlrev_b32_e32 v16, 3, v0
	v_mov_b32_e32 v17, s62
	v_add_co_u32_e32 v16, vcc, s61, v16
	v_addc_co_u32_e32 v17, vcc, 0, v17, vcc
	flat_load_dwordx2 v[16:17], v[16:17]
	s_or_b64 exec, exec, s[34:35]
                                        ; implicit-def: $vgpr18_vgpr19
	s_and_saveexec_b64 s[34:35], s[0:1]
	s_cbranch_execnz .LBB897_48
.LBB897_35:
	s_or_b64 exec, exec, s[34:35]
                                        ; implicit-def: $vgpr20_vgpr21
	s_and_saveexec_b64 s[0:1], s[2:3]
	s_cbranch_execz .LBB897_49
.LBB897_36:
	v_lshlrev_b32_e32 v20, 3, v22
	v_mov_b32_e32 v21, s62
	v_add_co_u32_e32 v20, vcc, s61, v20
	v_addc_co_u32_e32 v21, vcc, 0, v21, vcc
	flat_load_dwordx2 v[20:21], v[20:21]
	s_or_b64 exec, exec, s[0:1]
                                        ; implicit-def: $vgpr22_vgpr23
	s_and_saveexec_b64 s[0:1], s[30:31]
	s_cbranch_execnz .LBB897_50
.LBB897_37:
	s_or_b64 exec, exec, s[0:1]
                                        ; implicit-def: $vgpr24_vgpr25
	s_and_saveexec_b64 s[0:1], s[8:9]
	s_cbranch_execz .LBB897_51
.LBB897_38:
	v_lshlrev_b32_e32 v24, 3, v26
	v_mov_b32_e32 v25, s62
	v_add_co_u32_e32 v24, vcc, s61, v24
	v_addc_co_u32_e32 v25, vcc, 0, v25, vcc
	flat_load_dwordx2 v[24:25], v[24:25]
	s_or_b64 exec, exec, s[0:1]
                                        ; implicit-def: $vgpr26_vgpr27
	s_and_saveexec_b64 s[0:1], s[10:11]
	s_cbranch_execnz .LBB897_52
.LBB897_39:
	s_or_b64 exec, exec, s[0:1]
                                        ; implicit-def: $vgpr28_vgpr29
	s_and_saveexec_b64 s[0:1], s[12:13]
	s_cbranch_execz .LBB897_53
.LBB897_40:
	v_lshlrev_b32_e32 v28, 3, v30
	v_mov_b32_e32 v29, s62
	v_add_co_u32_e32 v28, vcc, s61, v28
	v_addc_co_u32_e32 v29, vcc, 0, v29, vcc
	flat_load_dwordx2 v[28:29], v[28:29]
	s_or_b64 exec, exec, s[0:1]
                                        ; implicit-def: $vgpr30_vgpr31
	s_and_saveexec_b64 s[0:1], s[14:15]
	s_cbranch_execnz .LBB897_54
.LBB897_41:
	s_or_b64 exec, exec, s[0:1]
                                        ; implicit-def: $vgpr32_vgpr33
	s_and_saveexec_b64 s[0:1], s[16:17]
	s_cbranch_execz .LBB897_55
.LBB897_42:
	v_lshlrev_b32_e32 v32, 3, v34
	v_mov_b32_e32 v33, s62
	v_add_co_u32_e32 v32, vcc, s61, v32
	v_addc_co_u32_e32 v33, vcc, 0, v33, vcc
	flat_load_dwordx2 v[32:33], v[32:33]
	s_or_b64 exec, exec, s[0:1]
                                        ; implicit-def: $vgpr34_vgpr35
	s_and_saveexec_b64 s[0:1], s[18:19]
	s_cbranch_execnz .LBB897_56
.LBB897_43:
	s_or_b64 exec, exec, s[0:1]
                                        ; implicit-def: $vgpr36_vgpr37
	s_and_saveexec_b64 s[0:1], s[20:21]
	s_cbranch_execz .LBB897_57
.LBB897_44:
	v_lshlrev_b32_e32 v36, 3, v38
	v_mov_b32_e32 v37, s62
	v_add_co_u32_e32 v36, vcc, s61, v36
	v_addc_co_u32_e32 v37, vcc, 0, v37, vcc
	flat_load_dwordx2 v[36:37], v[36:37]
	s_or_b64 exec, exec, s[0:1]
                                        ; implicit-def: $vgpr38_vgpr39
	s_and_saveexec_b64 s[0:1], s[22:23]
	s_cbranch_execnz .LBB897_58
.LBB897_45:
	s_or_b64 exec, exec, s[0:1]
                                        ; implicit-def: $vgpr40_vgpr41
	s_and_saveexec_b64 s[0:1], s[24:25]
	s_cbranch_execz .LBB897_59
.LBB897_46:
	v_lshlrev_b32_e32 v40, 3, v42
	v_mov_b32_e32 v41, s62
	v_add_co_u32_e32 v40, vcc, s61, v40
	v_addc_co_u32_e32 v41, vcc, 0, v41, vcc
	flat_load_dwordx2 v[40:41], v[40:41]
	s_or_b64 exec, exec, s[0:1]
                                        ; implicit-def: $vgpr42_vgpr43
	s_and_saveexec_b64 s[0:1], s[26:27]
	s_cbranch_execz .LBB897_61
	s_branch .LBB897_60
.LBB897_47:
	s_or_b64 exec, exec, s[34:35]
                                        ; implicit-def: $vgpr18_vgpr19
	s_and_saveexec_b64 s[34:35], s[0:1]
	s_cbranch_execz .LBB897_35
.LBB897_48:
	v_lshlrev_b32_e32 v18, 3, v0
	v_mov_b32_e32 v19, s62
	v_add_co_u32_e32 v18, vcc, s61, v18
	v_addc_co_u32_e32 v19, vcc, 0, v19, vcc
	flat_load_dwordx2 v[18:19], v[18:19] offset:2048
	s_or_b64 exec, exec, s[34:35]
                                        ; implicit-def: $vgpr20_vgpr21
	s_and_saveexec_b64 s[0:1], s[2:3]
	s_cbranch_execnz .LBB897_36
.LBB897_49:
	s_or_b64 exec, exec, s[0:1]
                                        ; implicit-def: $vgpr22_vgpr23
	s_and_saveexec_b64 s[0:1], s[30:31]
	s_cbranch_execz .LBB897_37
.LBB897_50:
	v_lshlrev_b32_e32 v22, 3, v24
	v_mov_b32_e32 v23, s62
	v_add_co_u32_e32 v22, vcc, s61, v22
	v_addc_co_u32_e32 v23, vcc, 0, v23, vcc
	flat_load_dwordx2 v[22:23], v[22:23]
	s_or_b64 exec, exec, s[0:1]
                                        ; implicit-def: $vgpr24_vgpr25
	s_and_saveexec_b64 s[0:1], s[8:9]
	s_cbranch_execnz .LBB897_38
.LBB897_51:
	s_or_b64 exec, exec, s[0:1]
                                        ; implicit-def: $vgpr26_vgpr27
	s_and_saveexec_b64 s[0:1], s[10:11]
	s_cbranch_execz .LBB897_39
.LBB897_52:
	v_lshlrev_b32_e32 v26, 3, v28
	v_mov_b32_e32 v27, s62
	v_add_co_u32_e32 v26, vcc, s61, v26
	v_addc_co_u32_e32 v27, vcc, 0, v27, vcc
	flat_load_dwordx2 v[26:27], v[26:27]
	s_or_b64 exec, exec, s[0:1]
                                        ; implicit-def: $vgpr28_vgpr29
	s_and_saveexec_b64 s[0:1], s[12:13]
	s_cbranch_execnz .LBB897_40
.LBB897_53:
	s_or_b64 exec, exec, s[0:1]
                                        ; implicit-def: $vgpr30_vgpr31
	s_and_saveexec_b64 s[0:1], s[14:15]
	s_cbranch_execz .LBB897_41
.LBB897_54:
	v_lshlrev_b32_e32 v30, 3, v32
	v_mov_b32_e32 v31, s62
	v_add_co_u32_e32 v30, vcc, s61, v30
	v_addc_co_u32_e32 v31, vcc, 0, v31, vcc
	flat_load_dwordx2 v[30:31], v[30:31]
	s_or_b64 exec, exec, s[0:1]
                                        ; implicit-def: $vgpr32_vgpr33
	s_and_saveexec_b64 s[0:1], s[16:17]
	s_cbranch_execnz .LBB897_42
.LBB897_55:
	s_or_b64 exec, exec, s[0:1]
                                        ; implicit-def: $vgpr34_vgpr35
	s_and_saveexec_b64 s[0:1], s[18:19]
	s_cbranch_execz .LBB897_43
.LBB897_56:
	v_lshlrev_b32_e32 v34, 3, v36
	v_mov_b32_e32 v35, s62
	v_add_co_u32_e32 v34, vcc, s61, v34
	v_addc_co_u32_e32 v35, vcc, 0, v35, vcc
	flat_load_dwordx2 v[34:35], v[34:35]
	s_or_b64 exec, exec, s[0:1]
                                        ; implicit-def: $vgpr36_vgpr37
	s_and_saveexec_b64 s[0:1], s[20:21]
	s_cbranch_execnz .LBB897_44
.LBB897_57:
	s_or_b64 exec, exec, s[0:1]
                                        ; implicit-def: $vgpr38_vgpr39
	s_and_saveexec_b64 s[0:1], s[22:23]
	s_cbranch_execz .LBB897_45
.LBB897_58:
	v_lshlrev_b32_e32 v38, 3, v40
	v_mov_b32_e32 v39, s62
	v_add_co_u32_e32 v38, vcc, s61, v38
	v_addc_co_u32_e32 v39, vcc, 0, v39, vcc
	flat_load_dwordx2 v[38:39], v[38:39]
	s_or_b64 exec, exec, s[0:1]
                                        ; implicit-def: $vgpr40_vgpr41
	s_and_saveexec_b64 s[0:1], s[24:25]
	s_cbranch_execnz .LBB897_46
.LBB897_59:
	s_or_b64 exec, exec, s[0:1]
                                        ; implicit-def: $vgpr42_vgpr43
	s_and_saveexec_b64 s[0:1], s[26:27]
	s_cbranch_execz .LBB897_61
.LBB897_60:
	v_lshlrev_b32_e32 v42, 3, v44
	v_mov_b32_e32 v43, s62
	v_add_co_u32_e32 v42, vcc, s61, v42
	v_addc_co_u32_e32 v43, vcc, 0, v43, vcc
	flat_load_dwordx2 v[42:43], v[42:43]
.LBB897_61:
	s_or_b64 exec, exec, s[0:1]
	v_mul_u32_u24_e32 v54, 15, v0
                                        ; implicit-def: $vgpr44_vgpr45
	s_and_saveexec_b64 s[0:1], s[28:29]
	s_cbranch_execz .LBB897_63
; %bb.62:
	v_lshlrev_b32_e32 v44, 3, v47
	v_mov_b32_e32 v45, s62
	v_add_co_u32_e32 v44, vcc, s61, v44
	v_addc_co_u32_e32 v45, vcc, 0, v45, vcc
	flat_load_dwordx2 v[44:45], v[44:45]
.LBB897_63:
	s_or_b64 exec, exec, s[0:1]
	s_movk_i32 s0, 0xffcc
	v_mad_i32_i24 v46, v0, s0, v46
	v_add_u32_e32 v68, 1, v54
	v_add_u32_e32 v66, 2, v54
	;; [unrolled: 1-line block ×14, first 2 shown]
	s_waitcnt vmcnt(0) lgkmcnt(0)
	ds_write2st64_b64 v46, v[16:17], v[18:19] offset1:4
	ds_write2st64_b64 v46, v[20:21], v[22:23] offset0:8 offset1:12
	ds_write2st64_b64 v46, v[24:25], v[26:27] offset0:16 offset1:20
	ds_write2st64_b64 v46, v[28:29], v[30:31] offset0:24 offset1:28
	ds_write2st64_b64 v46, v[32:33], v[34:35] offset0:32 offset1:36
	ds_write2st64_b64 v46, v[36:37], v[38:39] offset0:40 offset1:44
	ds_write2st64_b64 v46, v[40:41], v[42:43] offset0:48 offset1:52
	ds_write_b64 v46, v[44:45] offset:28672
	v_mov_b32_e32 v52, v14
	v_mov_b32_e32 v53, v12
	;; [unrolled: 1-line block ×7, first 2 shown]
	s_waitcnt lgkmcnt(0)
	s_barrier
.LBB897_64:
	v_lshlrev_b32_e32 v16, 3, v54
	v_lshlrev_b32_e32 v17, 3, v68
	s_waitcnt lgkmcnt(0)
	v_lshlrev_b32_e32 v18, 3, v66
	v_lshlrev_b32_e32 v19, 3, v67
	ds_read_b64 v[42:43], v16
	ds_read_b64 v[40:41], v17
	ds_read_b64 v[38:39], v18
	ds_read_b64 v[34:35], v19
	v_lshlrev_b32_e32 v16, 3, v63
	v_lshlrev_b32_e32 v17, 3, v65
	v_lshlrev_b32_e32 v18, 3, v62
	v_lshlrev_b32_e32 v19, 3, v64
	ds_read_b64 v[36:37], v16
	ds_read_b64 v[32:33], v17
	ds_read_b64 v[30:31], v18
	ds_read_b64 v[26:27], v19
	v_lshlrev_b32_e32 v16, 3, v59
	v_lshlrev_b32_e32 v17, 3, v61
	;; [unrolled: 8-line block ×3, first 2 shown]
	v_lshlrev_b32_e32 v44, 3, v55
	ds_read_b64 v[18:19], v16
	ds_read_b64 v[16:17], v17
	ds_read_b64 v[44:45], v44
	s_load_dwordx4 s[44:47], s[4:5], 0x28
	s_cmp_eq_u64 s[56:57], 0
	s_cselect_b64 s[30:31], -1, 0
	s_cmp_lg_u64 s[56:57], 0
	s_mov_b64 s[2:3], 0
	s_cselect_b64 s[4:5], -1, 0
	s_and_b64 vcc, exec, s[58:59]
	s_waitcnt lgkmcnt(0)
	s_barrier
	s_cbranch_vccz .LBB897_70
; %bb.65:
	s_and_b64 vcc, exec, s[4:5]
	s_cbranch_vccz .LBB897_191
; %bb.66:
	v_mov_b32_e32 v51, s60
	v_add_co_u32_e64 v54, vcc, -4, s7
	v_addc_co_u32_e32 v55, vcc, -1, v51, vcc
	flat_load_dword v51, v[54:55]
	v_lshlrev_b32_e32 v54, 2, v0
	v_cmp_ne_u32_e32 vcc, 0, v0
	ds_write_b32 v54, v1
	s_waitcnt lgkmcnt(0)
	s_barrier
	s_and_saveexec_b64 s[0:1], vcc
	s_cbranch_execz .LBB897_68
; %bb.67:
	s_waitcnt vmcnt(0)
	v_add_u32_e32 v51, -4, v54
	ds_read_b32 v51, v51
.LBB897_68:
	s_or_b64 exec, exec, s[0:1]
	v_cmp_ne_u32_e32 vcc, v52, v15
	v_cndmask_b32_e64 v95, 0, 1, vcc
	v_cmp_ne_u32_e32 vcc, v53, v15
	v_cndmask_b32_e64 v94, 0, 1, vcc
	;; [unrolled: 2-line block ×14, first 2 shown]
	s_waitcnt vmcnt(0) lgkmcnt(0)
	v_cmp_ne_u32_e64 s[0:1], v51, v14
	s_mov_b64 s[2:3], -1
.LBB897_69:
                                        ; implicit-def: $sgpr10
	s_branch .LBB897_71
.LBB897_70:
                                        ; implicit-def: $sgpr0_sgpr1
                                        ; implicit-def: $vgpr82
                                        ; implicit-def: $vgpr83
                                        ; implicit-def: $vgpr84
                                        ; implicit-def: $vgpr85
                                        ; implicit-def: $vgpr86
                                        ; implicit-def: $vgpr87
                                        ; implicit-def: $vgpr88
                                        ; implicit-def: $vgpr89
                                        ; implicit-def: $vgpr90
                                        ; implicit-def: $vgpr91
                                        ; implicit-def: $vgpr92
                                        ; implicit-def: $vgpr93
                                        ; implicit-def: $vgpr94
                                        ; implicit-def: $vgpr95
                                        ; implicit-def: $sgpr10
	s_cbranch_execnz .LBB897_195
.LBB897_71:
	v_mov_b32_e32 v96, s10
	s_and_saveexec_b64 s[4:5], s[2:3]
.LBB897_72:
	v_cndmask_b32_e64 v96, 0, 1, s[0:1]
.LBB897_73:
	s_or_b64 exec, exec, s[4:5]
	s_cmp_eq_u64 s[42:43], 0
	v_add3_u32 v46, v95, v96, v94
	s_cselect_b64 s[34:35], -1, 0
	s_cmp_lg_u32 s6, 0
	v_cmp_eq_u32_e64 s[24:25], 0, v95
	v_cmp_eq_u32_e64 s[22:23], 0, v94
	;; [unrolled: 1-line block ×3, first 2 shown]
	v_add3_u32 v98, v46, v93, v92
	v_cmp_eq_u32_e64 s[18:19], 0, v92
	v_cmp_eq_u32_e64 s[16:17], 0, v91
	;; [unrolled: 1-line block ×10, first 2 shown]
	v_cmp_eq_u32_e32 vcc, 0, v82
	v_mbcnt_lo_u32_b32 v97, -1, 0
	s_cbranch_scc0 .LBB897_144
; %bb.74:
	v_cndmask_b32_e64 v47, 0, v42, s[24:25]
	v_cndmask_b32_e64 v46, 0, v43, s[24:25]
	v_add_co_u32_e64 v47, s[26:27], v47, v40
	v_addc_co_u32_e64 v46, s[26:27], v46, v41, s[26:27]
	v_cndmask_b32_e64 v47, 0, v47, s[22:23]
	v_cndmask_b32_e64 v46, 0, v46, s[22:23]
	v_add_co_u32_e64 v47, s[26:27], v47, v38
	v_addc_co_u32_e64 v46, s[26:27], v46, v39, s[26:27]
	;; [unrolled: 4-line block ×11, first 2 shown]
	v_cndmask_b32_e64 v47, 0, v47, s[2:3]
	v_add3_u32 v48, v98, v91, v90
	v_cndmask_b32_e64 v46, 0, v46, s[2:3]
	v_add_co_u32_e64 v47, s[26:27], v47, v18
	v_add3_u32 v48, v48, v89, v88
	v_addc_co_u32_e64 v46, s[26:27], v46, v19, s[26:27]
	v_cndmask_b32_e64 v47, 0, v47, s[0:1]
	v_add3_u32 v48, v48, v87, v86
	v_cndmask_b32_e64 v46, 0, v46, s[0:1]
	v_add_co_u32_e64 v47, s[26:27], v47, v16
	v_add3_u32 v48, v48, v85, v84
	v_addc_co_u32_e64 v46, s[26:27], v46, v17, s[26:27]
	v_cndmask_b32_e32 v47, 0, v47, vcc
	v_add3_u32 v50, v48, v83, v82
	v_cndmask_b32_e32 v46, 0, v46, vcc
	v_add_co_u32_e32 v48, vcc, v47, v44
	v_mbcnt_hi_u32_b32 v51, -1, v97
	v_addc_co_u32_e32 v49, vcc, v46, v45, vcc
	v_and_b32_e32 v46, 15, v51
	v_mov_b32_dpp v52, v50 row_shr:1 row_mask:0xf bank_mask:0xf
	v_mov_b32_dpp v47, v48 row_shr:1 row_mask:0xf bank_mask:0xf
	;; [unrolled: 1-line block ×3, first 2 shown]
	v_cmp_ne_u32_e32 vcc, 0, v46
	s_and_saveexec_b64 s[26:27], vcc
; %bb.75:
	v_cmp_eq_u32_e32 vcc, 0, v50
	v_cndmask_b32_e32 v47, 0, v47, vcc
	v_add_u32_e32 v52, v52, v50
	v_cndmask_b32_e32 v50, 0, v53, vcc
	v_add_co_u32_e32 v48, vcc, v47, v48
	v_addc_co_u32_e32 v49, vcc, v50, v49, vcc
	v_mov_b32_e32 v50, v52
; %bb.76:
	s_or_b64 exec, exec, s[26:27]
	s_nop 0
	v_mov_b32_dpp v52, v50 row_shr:2 row_mask:0xf bank_mask:0xf
	v_mov_b32_dpp v47, v48 row_shr:2 row_mask:0xf bank_mask:0xf
	v_mov_b32_dpp v53, v49 row_shr:2 row_mask:0xf bank_mask:0xf
	v_cmp_lt_u32_e32 vcc, 1, v46
	s_and_saveexec_b64 s[26:27], vcc
; %bb.77:
	v_cmp_eq_u32_e32 vcc, 0, v50
	v_cndmask_b32_e32 v47, 0, v47, vcc
	v_add_u32_e32 v52, v52, v50
	v_cndmask_b32_e32 v50, 0, v53, vcc
	v_add_co_u32_e32 v48, vcc, v47, v48
	v_addc_co_u32_e32 v49, vcc, v50, v49, vcc
	v_mov_b32_e32 v50, v52
; %bb.78:
	s_or_b64 exec, exec, s[26:27]
	s_nop 0
	v_mov_b32_dpp v52, v50 row_shr:4 row_mask:0xf bank_mask:0xf
	v_mov_b32_dpp v47, v48 row_shr:4 row_mask:0xf bank_mask:0xf
	v_mov_b32_dpp v53, v49 row_shr:4 row_mask:0xf bank_mask:0xf
	v_cmp_lt_u32_e32 vcc, 3, v46
	;; [unrolled: 16-line block ×3, first 2 shown]
	s_and_saveexec_b64 s[26:27], vcc
; %bb.81:
	v_cmp_eq_u32_e32 vcc, 0, v50
	v_cndmask_b32_e32 v47, 0, v47, vcc
	v_add_u32_e32 v46, v52, v50
	v_cndmask_b32_e32 v50, 0, v53, vcc
	v_add_co_u32_e32 v48, vcc, v47, v48
	v_addc_co_u32_e32 v49, vcc, v50, v49, vcc
	v_mov_b32_e32 v50, v46
; %bb.82:
	s_or_b64 exec, exec, s[26:27]
	v_and_b32_e32 v53, 16, v51
	v_mov_b32_dpp v47, v50 row_bcast:15 row_mask:0xf bank_mask:0xf
	v_mov_b32_dpp v46, v48 row_bcast:15 row_mask:0xf bank_mask:0xf
	;; [unrolled: 1-line block ×3, first 2 shown]
	v_cmp_ne_u32_e32 vcc, 0, v53
	s_and_saveexec_b64 s[26:27], vcc
; %bb.83:
	v_cmp_eq_u32_e32 vcc, 0, v50
	v_cndmask_b32_e32 v46, 0, v46, vcc
	v_add_u32_e32 v47, v47, v50
	v_cndmask_b32_e32 v50, 0, v52, vcc
	v_add_co_u32_e32 v48, vcc, v46, v48
	v_addc_co_u32_e32 v49, vcc, v50, v49, vcc
	v_mov_b32_e32 v50, v47
; %bb.84:
	s_or_b64 exec, exec, s[26:27]
	s_nop 0
	v_mov_b32_dpp v47, v50 row_bcast:31 row_mask:0xf bank_mask:0xf
	v_mov_b32_dpp v46, v48 row_bcast:31 row_mask:0xf bank_mask:0xf
	;; [unrolled: 1-line block ×3, first 2 shown]
	v_cmp_lt_u32_e32 vcc, 31, v51
	s_and_saveexec_b64 s[26:27], vcc
; %bb.85:
	v_cmp_eq_u32_e32 vcc, 0, v50
	v_cndmask_b32_e32 v46, 0, v46, vcc
	v_add_u32_e32 v47, v47, v50
	v_cndmask_b32_e32 v50, 0, v52, vcc
	v_add_co_u32_e32 v48, vcc, v46, v48
	v_addc_co_u32_e32 v49, vcc, v50, v49, vcc
	v_mov_b32_e32 v50, v47
; %bb.86:
	s_or_b64 exec, exec, s[26:27]
	v_lshrrev_b32_e32 v46, 6, v0
	v_or_b32_e32 v47, 63, v0
	v_cmp_eq_u32_e32 vcc, v47, v0
	v_lshlrev_b32_e32 v52, 4, v46
	s_and_saveexec_b64 s[26:27], vcc
	s_cbranch_execz .LBB897_88
; %bb.87:
	ds_write_b32 v52, v50 offset:2080
	ds_write_b64 v52, v[48:49] offset:2088
.LBB897_88:
	s_or_b64 exec, exec, s[26:27]
	v_cmp_gt_u32_e32 vcc, 4, v0
	s_waitcnt lgkmcnt(0)
	s_barrier
	s_and_saveexec_b64 s[26:27], vcc
	s_cbranch_execz .LBB897_94
; %bb.89:
	v_lshlrev_b32_e32 v53, 4, v0
	ds_read_b32 v54, v53 offset:2080
	ds_read_b64 v[46:47], v53 offset:2088
	v_and_b32_e32 v55, 3, v51
	v_cmp_ne_u32_e32 vcc, 0, v55
	s_waitcnt lgkmcnt(1)
	v_mov_b32_dpp v57, v54 row_shr:1 row_mask:0xf bank_mask:0xf
	s_waitcnt lgkmcnt(0)
	v_mov_b32_dpp v56, v46 row_shr:1 row_mask:0xf bank_mask:0xf
	v_mov_b32_dpp v58, v47 row_shr:1 row_mask:0xf bank_mask:0xf
	s_and_saveexec_b64 s[42:43], vcc
; %bb.90:
	v_cmp_eq_u32_e32 vcc, 0, v54
	v_cndmask_b32_e32 v56, 0, v56, vcc
	v_add_u32_e32 v57, v57, v54
	v_cndmask_b32_e32 v54, 0, v58, vcc
	v_add_co_u32_e32 v46, vcc, v56, v46
	v_addc_co_u32_e32 v47, vcc, v54, v47, vcc
	v_mov_b32_e32 v54, v57
; %bb.91:
	s_or_b64 exec, exec, s[42:43]
	s_nop 0
	v_mov_b32_dpp v57, v54 row_shr:2 row_mask:0xf bank_mask:0xf
	v_mov_b32_dpp v56, v46 row_shr:2 row_mask:0xf bank_mask:0xf
	;; [unrolled: 1-line block ×3, first 2 shown]
	v_cmp_lt_u32_e32 vcc, 1, v55
	s_and_saveexec_b64 s[42:43], vcc
; %bb.92:
	v_cmp_eq_u32_e32 vcc, 0, v54
	v_cndmask_b32_e32 v56, 0, v56, vcc
	v_add_u32_e32 v55, v57, v54
	v_cndmask_b32_e32 v54, 0, v58, vcc
	v_add_co_u32_e32 v46, vcc, v56, v46
	v_addc_co_u32_e32 v47, vcc, v54, v47, vcc
	v_mov_b32_e32 v54, v55
; %bb.93:
	s_or_b64 exec, exec, s[42:43]
	ds_write_b32 v53, v54 offset:2080
	ds_write_b64 v53, v[46:47] offset:2088
.LBB897_94:
	s_or_b64 exec, exec, s[26:27]
	v_cmp_gt_u32_e32 vcc, 64, v0
	v_cmp_lt_u32_e64 s[26:27], 63, v0
	v_pk_mov_b32 v[46:47], 0, 0
	v_mov_b32_e32 v58, 0
	s_waitcnt lgkmcnt(0)
	s_barrier
	s_and_saveexec_b64 s[42:43], s[26:27]
	s_cbranch_execz .LBB897_96
; %bb.95:
	ds_read_b32 v58, v52 offset:2064
	ds_read_b64 v[46:47], v52 offset:2072
	v_cmp_eq_u32_e64 s[26:27], 0, v50
	s_waitcnt lgkmcnt(1)
	v_add_u32_e32 v52, v58, v50
	s_waitcnt lgkmcnt(0)
	v_cndmask_b32_e64 v53, 0, v46, s[26:27]
	v_cndmask_b32_e64 v50, 0, v47, s[26:27]
	v_add_co_u32_e64 v48, s[26:27], v53, v48
	v_addc_co_u32_e64 v49, s[26:27], v50, v49, s[26:27]
	v_mov_b32_e32 v50, v52
.LBB897_96:
	s_or_b64 exec, exec, s[42:43]
	v_add_u32_e32 v52, -1, v51
	v_and_b32_e32 v53, 64, v51
	v_cmp_lt_i32_e64 s[26:27], v52, v53
	v_cndmask_b32_e64 v52, v52, v51, s[26:27]
	v_lshlrev_b32_e32 v52, 2, v52
	ds_bpermute_b32 v59, v52, v50
	ds_bpermute_b32 v60, v52, v48
	ds_bpermute_b32 v61, v52, v49
	v_cmp_eq_u32_e64 s[26:27], 0, v51
	s_and_saveexec_b64 s[42:43], vcc
	s_cbranch_execz .LBB897_143
; %bb.97:
	v_mov_b32_e32 v53, 0
	ds_read_b32 v62, v53 offset:2128
	ds_read_b64 v[48:49], v53 offset:2136
	s_and_saveexec_b64 s[48:49], s[26:27]
	s_cbranch_execz .LBB897_99
; %bb.98:
	s_add_i32 s56, s6, 64
	s_mov_b32 s57, 0
	s_lshl_b64 s[58:59], s[56:57], 4
	s_add_u32 s58, s36, s58
	s_addc_u32 s59, s37, s59
	v_mov_b32_e32 v50, s56
	v_mov_b32_e32 v52, 1
	s_waitcnt lgkmcnt(1)
	global_store_dword v53, v62, s[58:59]
	s_waitcnt lgkmcnt(0)
	global_store_dwordx2 v53, v[48:49], s[58:59] offset:8
	s_waitcnt vmcnt(0)
	buffer_wbinvl1_vol
	global_store_byte v50, v52, s[40:41]
.LBB897_99:
	s_or_b64 exec, exec, s[48:49]
	v_xad_u32 v50, v51, -1, s6
	v_add_u32_e32 v52, 64, v50
	global_load_ubyte v63, v52, s[40:41] glc
	s_waitcnt vmcnt(0)
	v_cmp_eq_u16_e32 vcc, 0, v63
	s_and_saveexec_b64 s[48:49], vcc
	s_cbranch_execz .LBB897_105
; %bb.100:
	v_mov_b32_e32 v55, s41
	v_add_co_u32_e32 v54, vcc, s40, v52
	v_addc_co_u32_e32 v55, vcc, 0, v55, vcc
	s_mov_b32 s7, 1
	s_mov_b64 s[56:57], 0
.LBB897_101:                            ; =>This Loop Header: Depth=1
                                        ;     Child Loop BB897_102 Depth 2
	s_max_u32 s58, s7, 1
.LBB897_102:                            ;   Parent Loop BB897_101 Depth=1
                                        ; =>  This Inner Loop Header: Depth=2
	s_add_i32 s58, s58, -1
	s_cmp_eq_u32 s58, 0
	s_sleep 1
	s_cbranch_scc0 .LBB897_102
; %bb.103:                              ;   in Loop: Header=BB897_101 Depth=1
	global_load_ubyte v63, v[54:55], off glc
	s_cmp_lt_u32 s7, 32
	s_cselect_b64 s[58:59], -1, 0
	s_cmp_lg_u64 s[58:59], 0
	s_addc_u32 s7, s7, 0
	s_waitcnt vmcnt(0)
	v_cmp_ne_u16_e32 vcc, 0, v63
	s_or_b64 s[56:57], vcc, s[56:57]
	s_andn2_b64 exec, exec, s[56:57]
	s_cbranch_execnz .LBB897_101
; %bb.104:
	s_or_b64 exec, exec, s[56:57]
.LBB897_105:
	s_or_b64 exec, exec, s[48:49]
	v_mov_b32_e32 v54, s39
	v_mov_b32_e32 v55, s37
	v_cmp_eq_u16_e32 vcc, 1, v63
	v_cndmask_b32_e32 v54, v54, v55, vcc
	v_mov_b32_e32 v55, s38
	v_mov_b32_e32 v56, s36
	v_cndmask_b32_e32 v55, v55, v56, vcc
	v_lshlrev_b64 v[52:53], 4, v[52:53]
	v_add_co_u32_e32 v52, vcc, v55, v52
	v_addc_co_u32_e32 v53, vcc, v54, v53, vcc
	s_waitcnt lgkmcnt(0)
	buffer_wbinvl1_vol
	global_load_dword v78, v[52:53], off
	global_load_dwordx2 v[56:57], v[52:53], off offset:8
	v_cmp_eq_u16_e32 vcc, 2, v63
	v_lshlrev_b64 v[52:53], v51, -1
	v_and_b32_e32 v64, 63, v51
	v_and_b32_e32 v54, vcc_hi, v53
	v_and_b32_e32 v68, vcc_lo, v52
	v_cmp_ne_u32_e32 vcc, 63, v64
	v_addc_co_u32_e32 v55, vcc, 0, v51, vcc
	v_lshlrev_b32_e32 v65, 2, v55
	v_or_b32_e32 v54, 0x80000000, v54
	v_ffbl_b32_e32 v54, v54
	v_add_u32_e32 v54, 32, v54
	v_ffbl_b32_e32 v68, v68
	v_min_u32_e32 v54, v68, v54
	v_cmp_lt_u32_e32 vcc, v64, v54
	s_waitcnt vmcnt(1)
	ds_bpermute_b32 v66, v65, v78
	s_waitcnt vmcnt(0)
	ds_bpermute_b32 v55, v65, v56
	ds_bpermute_b32 v67, v65, v57
	s_and_saveexec_b64 s[48:49], vcc
	s_cbranch_execz .LBB897_107
; %bb.106:
	v_cmp_eq_u32_e32 vcc, 0, v78
	s_waitcnt lgkmcnt(1)
	v_cndmask_b32_e32 v55, 0, v55, vcc
	v_add_u32_e32 v66, v66, v78
	s_waitcnt lgkmcnt(0)
	v_cndmask_b32_e32 v67, 0, v67, vcc
	v_add_co_u32_e32 v56, vcc, v55, v56
	v_addc_co_u32_e32 v57, vcc, v67, v57, vcc
	v_mov_b32_e32 v78, v66
.LBB897_107:
	s_or_b64 exec, exec, s[48:49]
	v_cmp_gt_u32_e32 vcc, 62, v64
	s_waitcnt lgkmcnt(1)
	v_cndmask_b32_e64 v55, 0, 1, vcc
	v_lshlrev_b32_e32 v55, 1, v55
	v_add_lshl_u32 v66, v55, v51, 2
	ds_bpermute_b32 v68, v66, v78
	ds_bpermute_b32 v55, v66, v56
	ds_bpermute_b32 v69, v66, v57
	s_waitcnt lgkmcnt(3)
	v_add_u32_e32 v67, 2, v64
	v_cmp_le_u32_e32 vcc, v67, v54
	s_and_saveexec_b64 s[48:49], vcc
	s_cbranch_execz .LBB897_109
; %bb.108:
	v_cmp_eq_u32_e32 vcc, 0, v78
	s_waitcnt lgkmcnt(1)
	v_cndmask_b32_e32 v55, 0, v55, vcc
	v_add_u32_e32 v68, v68, v78
	s_waitcnt lgkmcnt(0)
	v_cndmask_b32_e32 v69, 0, v69, vcc
	v_add_co_u32_e32 v56, vcc, v55, v56
	v_addc_co_u32_e32 v57, vcc, v69, v57, vcc
	v_mov_b32_e32 v78, v68
.LBB897_109:
	s_or_b64 exec, exec, s[48:49]
	v_cmp_gt_u32_e32 vcc, 60, v64
	s_waitcnt lgkmcnt(1)
	v_cndmask_b32_e64 v55, 0, 1, vcc
	v_lshlrev_b32_e32 v55, 2, v55
	v_add_lshl_u32 v68, v55, v51, 2
	ds_bpermute_b32 v70, v68, v78
	ds_bpermute_b32 v55, v68, v56
	ds_bpermute_b32 v71, v68, v57
	s_waitcnt lgkmcnt(3)
	v_add_u32_e32 v69, 4, v64
	v_cmp_le_u32_e32 vcc, v69, v54
	;; [unrolled: 25-line block ×4, first 2 shown]
	s_and_saveexec_b64 s[48:49], vcc
	s_cbranch_execz .LBB897_115
; %bb.114:
	v_cmp_eq_u32_e32 vcc, 0, v78
	s_waitcnt lgkmcnt(1)
	v_cndmask_b32_e32 v55, 0, v55, vcc
	v_add_u32_e32 v74, v74, v78
	s_waitcnt lgkmcnt(0)
	v_cndmask_b32_e32 v75, 0, v75, vcc
	v_add_co_u32_e32 v56, vcc, v55, v56
	v_addc_co_u32_e32 v57, vcc, v75, v57, vcc
	v_mov_b32_e32 v78, v74
.LBB897_115:
	s_or_b64 exec, exec, s[48:49]
	v_cmp_gt_u32_e32 vcc, 32, v64
	s_waitcnt lgkmcnt(1)
	v_cndmask_b32_e64 v55, 0, 1, vcc
	v_lshlrev_b32_e32 v55, 5, v55
	v_add_lshl_u32 v74, v55, v51, 2
	ds_bpermute_b32 v55, v74, v78
	ds_bpermute_b32 v51, v74, v56
	s_waitcnt lgkmcnt(2)
	ds_bpermute_b32 v75, v74, v57
	v_add_u32_e32 v76, 32, v64
	v_cmp_le_u32_e32 vcc, v76, v54
	s_and_saveexec_b64 s[48:49], vcc
	s_cbranch_execz .LBB897_117
; %bb.116:
	v_cmp_eq_u32_e32 vcc, 0, v78
	s_waitcnt lgkmcnt(1)
	v_cndmask_b32_e32 v51, 0, v51, vcc
	v_add_u32_e32 v54, v55, v78
	s_waitcnt lgkmcnt(0)
	v_cndmask_b32_e32 v55, 0, v75, vcc
	v_add_co_u32_e32 v56, vcc, v51, v56
	v_addc_co_u32_e32 v57, vcc, v55, v57, vcc
	v_mov_b32_e32 v78, v54
.LBB897_117:
	s_or_b64 exec, exec, s[48:49]
	s_waitcnt lgkmcnt(1)
	v_mov_b32_e32 v51, 0
	v_mov_b32_e32 v77, 2
	s_branch .LBB897_119
.LBB897_118:                            ;   in Loop: Header=BB897_119 Depth=1
	s_or_b64 exec, exec, s[48:49]
	v_cmp_eq_u32_e32 vcc, 0, v75
	v_cndmask_b32_e32 v56, 0, v56, vcc
	v_cndmask_b32_e32 v57, 0, v57, vcc
	v_add_co_u32_e32 v56, vcc, v56, v54
	v_subrev_u32_e32 v50, 64, v50
	v_add_u32_e32 v78, v79, v75
	v_addc_co_u32_e32 v57, vcc, v57, v55, vcc
.LBB897_119:                            ; =>This Loop Header: Depth=1
                                        ;     Child Loop BB897_122 Depth 2
                                        ;       Child Loop BB897_123 Depth 3
	v_cmp_ne_u16_sdwa s[48:49], v63, v77 src0_sel:BYTE_0 src1_sel:DWORD
	v_pk_mov_b32 v[54:55], v[56:57], v[56:57] op_sel:[0,1]
	v_cndmask_b32_e64 v56, 0, 1, s[48:49]
	;;#ASMSTART
	;;#ASMEND
	v_cmp_ne_u32_e32 vcc, 0, v56
	s_cmp_lg_u64 vcc, exec
	s_waitcnt lgkmcnt(0)
	v_mov_b32_e32 v75, v78
	s_cbranch_scc1 .LBB897_138
; %bb.120:                              ;   in Loop: Header=BB897_119 Depth=1
	global_load_ubyte v63, v50, s[40:41] glc
	s_waitcnt vmcnt(0)
	v_cmp_eq_u16_e32 vcc, 0, v63
	s_and_saveexec_b64 s[48:49], vcc
	s_cbranch_execz .LBB897_126
; %bb.121:                              ;   in Loop: Header=BB897_119 Depth=1
	v_mov_b32_e32 v57, s41
	v_add_co_u32_e32 v56, vcc, s40, v50
	v_addc_co_u32_e32 v57, vcc, 0, v57, vcc
	s_mov_b32 s7, 1
	s_mov_b64 s[56:57], 0
.LBB897_122:                            ;   Parent Loop BB897_119 Depth=1
                                        ; =>  This Loop Header: Depth=2
                                        ;       Child Loop BB897_123 Depth 3
	s_max_u32 s58, s7, 1
.LBB897_123:                            ;   Parent Loop BB897_119 Depth=1
                                        ;     Parent Loop BB897_122 Depth=2
                                        ; =>    This Inner Loop Header: Depth=3
	s_add_i32 s58, s58, -1
	s_cmp_eq_u32 s58, 0
	s_sleep 1
	s_cbranch_scc0 .LBB897_123
; %bb.124:                              ;   in Loop: Header=BB897_122 Depth=2
	global_load_ubyte v63, v[56:57], off glc
	s_cmp_lt_u32 s7, 32
	s_cselect_b64 s[58:59], -1, 0
	s_cmp_lg_u64 s[58:59], 0
	s_addc_u32 s7, s7, 0
	s_waitcnt vmcnt(0)
	v_cmp_ne_u16_e32 vcc, 0, v63
	s_or_b64 s[56:57], vcc, s[56:57]
	s_andn2_b64 exec, exec, s[56:57]
	s_cbranch_execnz .LBB897_122
; %bb.125:                              ;   in Loop: Header=BB897_119 Depth=1
	s_or_b64 exec, exec, s[56:57]
.LBB897_126:                            ;   in Loop: Header=BB897_119 Depth=1
	s_or_b64 exec, exec, s[48:49]
	v_mov_b32_e32 v56, s39
	v_mov_b32_e32 v57, s37
	v_cmp_eq_u16_e32 vcc, 1, v63
	v_cndmask_b32_e32 v78, v56, v57, vcc
	v_mov_b32_e32 v56, s38
	v_mov_b32_e32 v57, s36
	v_cndmask_b32_e32 v79, v56, v57, vcc
	v_lshlrev_b64 v[56:57], 4, v[50:51]
	v_add_co_u32_e32 v56, vcc, v79, v56
	v_addc_co_u32_e32 v57, vcc, v78, v57, vcc
	buffer_wbinvl1_vol
	global_load_dword v79, v[56:57], off
	s_nop 0
	global_load_dwordx2 v[56:57], v[56:57], off offset:8
	v_cmp_eq_u16_e32 vcc, 2, v63
	v_and_b32_e32 v78, vcc_hi, v53
	v_or_b32_e32 v78, 0x80000000, v78
	v_and_b32_e32 v100, vcc_lo, v52
	v_ffbl_b32_e32 v78, v78
	v_add_u32_e32 v78, 32, v78
	v_ffbl_b32_e32 v100, v100
	v_min_u32_e32 v78, v100, v78
	v_cmp_lt_u32_e32 vcc, v64, v78
	s_waitcnt vmcnt(1)
	ds_bpermute_b32 v81, v65, v79
	s_waitcnt vmcnt(0)
	ds_bpermute_b32 v80, v65, v56
	ds_bpermute_b32 v99, v65, v57
	s_and_saveexec_b64 s[48:49], vcc
	s_cbranch_execz .LBB897_128
; %bb.127:                              ;   in Loop: Header=BB897_119 Depth=1
	v_cmp_eq_u32_e32 vcc, 0, v79
	s_waitcnt lgkmcnt(1)
	v_cndmask_b32_e32 v80, 0, v80, vcc
	v_add_u32_e32 v81, v81, v79
	s_waitcnt lgkmcnt(0)
	v_cndmask_b32_e32 v79, 0, v99, vcc
	v_add_co_u32_e32 v56, vcc, v80, v56
	v_addc_co_u32_e32 v57, vcc, v79, v57, vcc
	v_mov_b32_e32 v79, v81
.LBB897_128:                            ;   in Loop: Header=BB897_119 Depth=1
	s_or_b64 exec, exec, s[48:49]
	s_waitcnt lgkmcnt(2)
	ds_bpermute_b32 v81, v66, v79
	s_waitcnt lgkmcnt(2)
	ds_bpermute_b32 v80, v66, v56
	s_waitcnt lgkmcnt(2)
	ds_bpermute_b32 v99, v66, v57
	v_cmp_le_u32_e32 vcc, v67, v78
	s_and_saveexec_b64 s[48:49], vcc
	s_cbranch_execz .LBB897_130
; %bb.129:                              ;   in Loop: Header=BB897_119 Depth=1
	v_cmp_eq_u32_e32 vcc, 0, v79
	s_waitcnt lgkmcnt(1)
	v_cndmask_b32_e32 v80, 0, v80, vcc
	v_add_u32_e32 v81, v81, v79
	s_waitcnt lgkmcnt(0)
	v_cndmask_b32_e32 v79, 0, v99, vcc
	v_add_co_u32_e32 v56, vcc, v80, v56
	v_addc_co_u32_e32 v57, vcc, v79, v57, vcc
	v_mov_b32_e32 v79, v81
.LBB897_130:                            ;   in Loop: Header=BB897_119 Depth=1
	s_or_b64 exec, exec, s[48:49]
	s_waitcnt lgkmcnt(2)
	ds_bpermute_b32 v81, v68, v79
	s_waitcnt lgkmcnt(2)
	ds_bpermute_b32 v80, v68, v56
	s_waitcnt lgkmcnt(2)
	ds_bpermute_b32 v99, v68, v57
	v_cmp_le_u32_e32 vcc, v69, v78
	;; [unrolled: 21-line block ×5, first 2 shown]
	s_and_saveexec_b64 s[48:49], vcc
	s_cbranch_execz .LBB897_118
; %bb.137:                              ;   in Loop: Header=BB897_119 Depth=1
	v_cmp_eq_u32_e32 vcc, 0, v79
	s_waitcnt lgkmcnt(1)
	v_cndmask_b32_e32 v80, 0, v80, vcc
	v_add_u32_e32 v78, v81, v79
	s_waitcnt lgkmcnt(0)
	v_cndmask_b32_e32 v79, 0, v99, vcc
	v_add_co_u32_e32 v56, vcc, v80, v56
	v_addc_co_u32_e32 v57, vcc, v79, v57, vcc
	v_mov_b32_e32 v79, v78
	s_branch .LBB897_118
.LBB897_138:                            ;   in Loop: Header=BB897_119 Depth=1
                                        ; implicit-def: $vgpr56_vgpr57
                                        ; implicit-def: $vgpr78
                                        ; implicit-def: $vgpr63
	s_cbranch_execz .LBB897_119
; %bb.139:
	s_and_saveexec_b64 s[36:37], s[26:27]
	s_cbranch_execz .LBB897_141
; %bb.140:
	s_mov_b32 s7, 0
	v_cmp_eq_u32_e32 vcc, 0, v62
	s_add_i32 s6, s6, 64
	v_cndmask_b32_e32 v50, 0, v54, vcc
	s_lshl_b64 s[48:49], s[6:7], 4
	v_cndmask_b32_e32 v51, 0, v55, vcc
	v_add_co_u32_e32 v50, vcc, v50, v48
	s_add_u32 s48, s38, s48
	v_add_u32_e32 v52, v75, v62
	v_addc_co_u32_e32 v51, vcc, v51, v49, vcc
	s_addc_u32 s49, s39, s49
	v_mov_b32_e32 v53, 0
	global_store_dword v53, v52, s[48:49]
	global_store_dwordx2 v53, v[50:51], s[48:49] offset:8
	v_mov_b32_e32 v50, s6
	v_mov_b32_e32 v51, 2
	s_waitcnt vmcnt(0) lgkmcnt(0)
	buffer_wbinvl1_vol
	global_store_byte v50, v51, s[40:41]
	ds_write_b32 v53, v62 offset:2048
	ds_write_b64 v53, v[48:49] offset:2056
	ds_write_b32 v53, v75 offset:2064
	ds_write_b64 v53, v[54:55] offset:2072
.LBB897_141:
	s_or_b64 exec, exec, s[36:37]
	v_cmp_eq_u32_e32 vcc, 0, v0
	s_and_b64 exec, exec, vcc
	s_cbranch_execz .LBB897_143
; %bb.142:
	v_mov_b32_e32 v48, 0
	ds_write_b32 v48, v75 offset:2128
	ds_write_b64 v48, v[54:55] offset:2136
.LBB897_143:
	s_or_b64 exec, exec, s[42:43]
	v_mov_b32_e32 v51, 0
	s_waitcnt lgkmcnt(0)
	s_barrier
	ds_read_b32 v50, v51 offset:2128
	ds_read_b64 v[48:49], v51 offset:2136
	v_cndmask_b32_e64 v52, v59, v58, s[26:27]
	v_cmp_eq_u32_e32 vcc, 0, v52
	v_cndmask_b32_e64 v46, v60, v46, s[26:27]
	v_cndmask_b32_e64 v47, v61, v47, s[26:27]
	s_waitcnt lgkmcnt(0)
	v_cndmask_b32_e32 v54, 0, v48, vcc
	v_cndmask_b32_e32 v53, 0, v49, vcc
	v_add_co_u32_e32 v46, vcc, v54, v46
	v_addc_co_u32_e32 v47, vcc, v53, v47, vcc
	v_cmp_eq_u32_e32 vcc, 0, v0
	v_cndmask_b32_e64 v52, v52, 0, vcc
	v_cndmask_b32_e32 v77, v47, v49, vcc
	v_cndmask_b32_e32 v76, v46, v48, vcc
	v_cmp_eq_u32_e32 vcc, 0, v96
	v_cndmask_b32_e32 v47, 0, v76, vcc
	v_add_u32_e32 v99, v50, v52
	v_cndmask_b32_e32 v46, 0, v77, vcc
	v_add_co_u32_e32 v52, vcc, v47, v42
	v_addc_co_u32_e32 v53, vcc, v46, v43, vcc
	v_cndmask_b32_e64 v47, 0, v52, s[24:25]
	v_cndmask_b32_e64 v46, 0, v53, s[24:25]
	v_add_co_u32_e32 v54, vcc, v47, v40
	v_addc_co_u32_e32 v55, vcc, v46, v41, vcc
	v_cndmask_b32_e64 v47, 0, v54, s[22:23]
	v_cndmask_b32_e64 v46, 0, v55, s[22:23]
	;; [unrolled: 4-line block ×11, first 2 shown]
	v_add_co_u32_e32 v74, vcc, v47, v20
	v_addc_co_u32_e32 v75, vcc, v46, v21, vcc
	s_barrier
	ds_read_b32 v46, v51 offset:2048
	ds_read_b64 v[48:49], v51 offset:2056
	ds_read_b32 v50, v51 offset:2064
	ds_read_b64 v[100:101], v51 offset:2072
	v_cndmask_b32_e64 v78, 0, v74, s[2:3]
	v_cndmask_b32_e64 v47, 0, v75, s[2:3]
	v_add_co_u32_e32 v78, vcc, v78, v18
	v_addc_co_u32_e32 v79, vcc, v47, v19, vcc
	s_waitcnt lgkmcnt(3)
	v_cmp_eq_u32_e32 vcc, 0, v46
	s_waitcnt lgkmcnt(0)
	v_cndmask_b32_e32 v51, 0, v100, vcc
	v_cndmask_b32_e32 v47, 0, v101, vcc
	v_add_co_u32_e32 v48, vcc, v51, v48
	v_cndmask_b32_e64 v81, 0, v79, s[0:1]
	v_cndmask_b32_e64 v80, 0, v78, s[0:1]
	v_addc_co_u32_e32 v49, vcc, v47, v49, vcc
	s_branch .LBB897_172
.LBB897_144:
                                        ; implicit-def: $vgpr46
                                        ; implicit-def: $vgpr48_vgpr49
                                        ; implicit-def: $vgpr50
                                        ; implicit-def: $vgpr76_vgpr77
                                        ; implicit-def: $vgpr52_vgpr53
                                        ; implicit-def: $vgpr54_vgpr55
                                        ; implicit-def: $vgpr56_vgpr57
                                        ; implicit-def: $vgpr58_vgpr59
                                        ; implicit-def: $vgpr60_vgpr61
                                        ; implicit-def: $vgpr62_vgpr63
                                        ; implicit-def: $vgpr64_vgpr65
                                        ; implicit-def: $vgpr66_vgpr67
                                        ; implicit-def: $vgpr68_vgpr69
                                        ; implicit-def: $vgpr70_vgpr71
                                        ; implicit-def: $vgpr72_vgpr73
                                        ; implicit-def: $vgpr74_vgpr75
                                        ; implicit-def: $vgpr78_vgpr79
                                        ; implicit-def: $vgpr80_vgpr81
                                        ; implicit-def: $vgpr99
	s_cbranch_execz .LBB897_172
; %bb.145:
	s_and_b64 s[0:1], s[34:35], exec
	s_cselect_b32 s1, 0, s55
	s_cselect_b32 s0, 0, s54
	s_cmp_eq_u64 s[0:1], 0
	v_pk_mov_b32 v[50:51], v[42:43], v[42:43] op_sel:[0,1]
	s_cbranch_scc1 .LBB897_147
; %bb.146:
	v_mov_b32_e32 v46, 0
	global_load_dwordx2 v[50:51], v46, s[0:1]
.LBB897_147:
	v_cmp_eq_u32_e64 s[22:23], 0, v95
	v_cndmask_b32_e64 v47, 0, v42, s[22:23]
	v_cndmask_b32_e64 v46, 0, v43, s[22:23]
	v_add_co_u32_e32 v47, vcc, v47, v40
	v_cmp_eq_u32_e64 s[20:21], 0, v94
	v_addc_co_u32_e32 v46, vcc, v46, v41, vcc
	v_cndmask_b32_e64 v47, 0, v47, s[20:21]
	v_cndmask_b32_e64 v46, 0, v46, s[20:21]
	v_add_co_u32_e32 v47, vcc, v47, v38
	v_cmp_eq_u32_e64 s[18:19], 0, v93
	v_addc_co_u32_e32 v46, vcc, v46, v39, vcc
	;; [unrolled: 5-line block ×11, first 2 shown]
	v_cndmask_b32_e64 v47, 0, v47, s[2:3]
	v_cndmask_b32_e64 v46, 0, v46, s[2:3]
	v_add_co_u32_e32 v47, vcc, v47, v18
	v_addc_co_u32_e32 v46, vcc, v46, v19, vcc
	v_cmp_eq_u32_e32 vcc, 0, v83
	v_cndmask_b32_e32 v47, 0, v47, vcc
	v_add3_u32 v48, v98, v91, v90
	v_cndmask_b32_e32 v46, 0, v46, vcc
	v_add_co_u32_e64 v47, s[24:25], v47, v16
	v_add3_u32 v48, v48, v89, v88
	v_addc_co_u32_e64 v46, s[24:25], v46, v17, s[24:25]
	v_add3_u32 v48, v48, v87, v86
	v_cmp_eq_u32_e64 s[24:25], 0, v82
	v_add3_u32 v48, v48, v85, v84
	v_cndmask_b32_e64 v47, 0, v47, s[24:25]
	v_add3_u32 v49, v48, v83, v82
	v_cndmask_b32_e64 v46, 0, v46, s[24:25]
	v_add_co_u32_e64 v44, s[24:25], v47, v44
	v_mbcnt_hi_u32_b32 v48, -1, v97
	v_addc_co_u32_e64 v45, s[24:25], v46, v45, s[24:25]
	v_and_b32_e32 v46, 15, v48
	v_mov_b32_dpp v52, v49 row_shr:1 row_mask:0xf bank_mask:0xf
	v_mov_b32_dpp v47, v44 row_shr:1 row_mask:0xf bank_mask:0xf
	v_mov_b32_dpp v53, v45 row_shr:1 row_mask:0xf bank_mask:0xf
	v_cmp_ne_u32_e64 s[24:25], 0, v46
	s_and_saveexec_b64 s[26:27], s[24:25]
; %bb.148:
	v_cmp_eq_u32_e64 s[24:25], 0, v49
	v_cndmask_b32_e64 v47, 0, v47, s[24:25]
	v_add_u32_e32 v52, v52, v49
	v_cndmask_b32_e64 v49, 0, v53, s[24:25]
	v_add_co_u32_e64 v44, s[24:25], v47, v44
	v_addc_co_u32_e64 v45, s[24:25], v49, v45, s[24:25]
	v_mov_b32_e32 v49, v52
; %bb.149:
	s_or_b64 exec, exec, s[26:27]
	s_nop 0
	v_mov_b32_dpp v52, v49 row_shr:2 row_mask:0xf bank_mask:0xf
	v_mov_b32_dpp v47, v44 row_shr:2 row_mask:0xf bank_mask:0xf
	v_mov_b32_dpp v53, v45 row_shr:2 row_mask:0xf bank_mask:0xf
	v_cmp_lt_u32_e64 s[24:25], 1, v46
	s_and_saveexec_b64 s[26:27], s[24:25]
; %bb.150:
	v_cmp_eq_u32_e64 s[24:25], 0, v49
	v_cndmask_b32_e64 v47, 0, v47, s[24:25]
	v_add_u32_e32 v52, v52, v49
	v_cndmask_b32_e64 v49, 0, v53, s[24:25]
	v_add_co_u32_e64 v44, s[24:25], v47, v44
	v_addc_co_u32_e64 v45, s[24:25], v49, v45, s[24:25]
	v_mov_b32_e32 v49, v52
; %bb.151:
	s_or_b64 exec, exec, s[26:27]
	s_nop 0
	v_mov_b32_dpp v52, v49 row_shr:4 row_mask:0xf bank_mask:0xf
	v_mov_b32_dpp v47, v44 row_shr:4 row_mask:0xf bank_mask:0xf
	v_mov_b32_dpp v53, v45 row_shr:4 row_mask:0xf bank_mask:0xf
	v_cmp_lt_u32_e64 s[24:25], 3, v46
	s_and_saveexec_b64 s[26:27], s[24:25]
; %bb.152:
	v_cmp_eq_u32_e64 s[24:25], 0, v49
	v_cndmask_b32_e64 v47, 0, v47, s[24:25]
	v_add_u32_e32 v52, v52, v49
	v_cndmask_b32_e64 v49, 0, v53, s[24:25]
	v_add_co_u32_e64 v44, s[24:25], v47, v44
	v_addc_co_u32_e64 v45, s[24:25], v49, v45, s[24:25]
	v_mov_b32_e32 v49, v52
; %bb.153:
	s_or_b64 exec, exec, s[26:27]
	s_nop 0
	v_mov_b32_dpp v52, v49 row_shr:8 row_mask:0xf bank_mask:0xf
	v_mov_b32_dpp v47, v44 row_shr:8 row_mask:0xf bank_mask:0xf
	v_mov_b32_dpp v53, v45 row_shr:8 row_mask:0xf bank_mask:0xf
	v_cmp_lt_u32_e64 s[24:25], 7, v46
	s_and_saveexec_b64 s[26:27], s[24:25]
; %bb.154:
	v_cmp_eq_u32_e64 s[24:25], 0, v49
	v_cndmask_b32_e64 v47, 0, v47, s[24:25]
	v_add_u32_e32 v46, v52, v49
	v_cndmask_b32_e64 v49, 0, v53, s[24:25]
	v_add_co_u32_e64 v44, s[24:25], v47, v44
	v_addc_co_u32_e64 v45, s[24:25], v49, v45, s[24:25]
	v_mov_b32_e32 v49, v46
; %bb.155:
	s_or_b64 exec, exec, s[26:27]
	v_and_b32_e32 v53, 16, v48
	v_mov_b32_dpp v47, v49 row_bcast:15 row_mask:0xf bank_mask:0xf
	v_mov_b32_dpp v46, v44 row_bcast:15 row_mask:0xf bank_mask:0xf
	;; [unrolled: 1-line block ×3, first 2 shown]
	v_cmp_ne_u32_e64 s[24:25], 0, v53
	s_and_saveexec_b64 s[26:27], s[24:25]
; %bb.156:
	v_cmp_eq_u32_e64 s[24:25], 0, v49
	v_cndmask_b32_e64 v46, 0, v46, s[24:25]
	v_add_u32_e32 v47, v47, v49
	v_cndmask_b32_e64 v49, 0, v52, s[24:25]
	v_add_co_u32_e64 v44, s[24:25], v46, v44
	v_addc_co_u32_e64 v45, s[24:25], v49, v45, s[24:25]
	v_mov_b32_e32 v49, v47
; %bb.157:
	s_or_b64 exec, exec, s[26:27]
	s_nop 0
	v_mov_b32_dpp v47, v49 row_bcast:31 row_mask:0xf bank_mask:0xf
	v_mov_b32_dpp v46, v44 row_bcast:31 row_mask:0xf bank_mask:0xf
	;; [unrolled: 1-line block ×3, first 2 shown]
	v_cmp_lt_u32_e64 s[24:25], 31, v48
	s_and_saveexec_b64 s[26:27], s[24:25]
; %bb.158:
	v_cmp_eq_u32_e64 s[24:25], 0, v49
	v_cndmask_b32_e64 v46, 0, v46, s[24:25]
	v_add_u32_e32 v47, v47, v49
	v_cndmask_b32_e64 v49, 0, v52, s[24:25]
	v_add_co_u32_e64 v44, s[24:25], v46, v44
	v_addc_co_u32_e64 v45, s[24:25], v49, v45, s[24:25]
	v_mov_b32_e32 v49, v47
; %bb.159:
	s_or_b64 exec, exec, s[26:27]
	v_or_b32_e32 v46, 63, v0
	v_lshrrev_b32_e32 v52, 6, v0
	v_cmp_eq_u32_e64 s[24:25], v46, v0
	s_and_saveexec_b64 s[26:27], s[24:25]
	s_cbranch_execz .LBB897_161
; %bb.160:
	v_lshlrev_b32_e32 v46, 4, v52
	ds_write_b32 v46, v49 offset:2080
	ds_write_b64 v46, v[44:45] offset:2088
.LBB897_161:
	s_or_b64 exec, exec, s[26:27]
	v_cmp_gt_u32_e64 s[24:25], 4, v0
	s_waitcnt lgkmcnt(0)
	s_barrier
	s_and_saveexec_b64 s[26:27], s[24:25]
	s_cbranch_execz .LBB897_167
; %bb.162:
	v_lshlrev_b32_e32 v53, 4, v0
	ds_read_b32 v54, v53 offset:2080
	ds_read_b64 v[46:47], v53 offset:2088
	v_and_b32_e32 v55, 3, v48
	v_cmp_ne_u32_e64 s[24:25], 0, v55
	s_waitcnt lgkmcnt(1)
	v_mov_b32_dpp v57, v54 row_shr:1 row_mask:0xf bank_mask:0xf
	s_waitcnt lgkmcnt(0)
	v_mov_b32_dpp v56, v46 row_shr:1 row_mask:0xf bank_mask:0xf
	v_mov_b32_dpp v58, v47 row_shr:1 row_mask:0xf bank_mask:0xf
	s_and_saveexec_b64 s[28:29], s[24:25]
; %bb.163:
	v_cmp_eq_u32_e64 s[24:25], 0, v54
	v_cndmask_b32_e64 v56, 0, v56, s[24:25]
	v_add_u32_e32 v57, v57, v54
	v_cndmask_b32_e64 v54, 0, v58, s[24:25]
	v_add_co_u32_e64 v46, s[24:25], v56, v46
	v_addc_co_u32_e64 v47, s[24:25], v54, v47, s[24:25]
	v_mov_b32_e32 v54, v57
; %bb.164:
	s_or_b64 exec, exec, s[28:29]
	s_nop 0
	v_mov_b32_dpp v57, v54 row_shr:2 row_mask:0xf bank_mask:0xf
	v_mov_b32_dpp v56, v46 row_shr:2 row_mask:0xf bank_mask:0xf
	;; [unrolled: 1-line block ×3, first 2 shown]
	v_cmp_lt_u32_e64 s[24:25], 1, v55
	s_and_saveexec_b64 s[28:29], s[24:25]
; %bb.165:
	v_cmp_eq_u32_e64 s[24:25], 0, v54
	v_cndmask_b32_e64 v56, 0, v56, s[24:25]
	v_add_u32_e32 v55, v57, v54
	v_cndmask_b32_e64 v54, 0, v58, s[24:25]
	v_add_co_u32_e64 v46, s[24:25], v56, v46
	v_addc_co_u32_e64 v47, s[24:25], v54, v47, s[24:25]
	v_mov_b32_e32 v54, v55
; %bb.166:
	s_or_b64 exec, exec, s[28:29]
	ds_write_b32 v53, v54 offset:2080
	ds_write_b64 v53, v[46:47] offset:2088
.LBB897_167:
	s_or_b64 exec, exec, s[26:27]
	v_cmp_lt_u32_e64 s[24:25], 63, v0
	v_mov_b32_e32 v97, 0
	v_mov_b32_e32 v53, 0
	s_waitcnt vmcnt(0)
	v_pk_mov_b32 v[46:47], v[50:51], v[50:51] op_sel:[0,1]
	s_waitcnt lgkmcnt(0)
	s_barrier
	s_and_saveexec_b64 s[26:27], s[24:25]
	s_cbranch_execz .LBB897_169
; %bb.168:
	v_lshlrev_b32_e32 v46, 4, v52
	ds_read_b32 v53, v46 offset:2064
	ds_read_b64 v[46:47], v46 offset:2072
	s_waitcnt lgkmcnt(1)
	v_cmp_eq_u32_e64 s[24:25], 0, v53
	v_cndmask_b32_e64 v54, 0, v50, s[24:25]
	v_cndmask_b32_e64 v52, 0, v51, s[24:25]
	s_waitcnt lgkmcnt(0)
	v_add_co_u32_e64 v46, s[24:25], v54, v46
	v_addc_co_u32_e64 v47, s[24:25], v52, v47, s[24:25]
.LBB897_169:
	s_or_b64 exec, exec, s[26:27]
	v_cmp_eq_u32_e64 s[24:25], 0, v49
	v_cndmask_b32_e64 v54, 0, v46, s[24:25]
	v_add_u32_e32 v52, v53, v49
	v_cndmask_b32_e64 v49, 0, v47, s[24:25]
	v_add_co_u32_e64 v44, s[24:25], v54, v44
	v_addc_co_u32_e64 v45, s[24:25], v49, v45, s[24:25]
	v_add_u32_e32 v49, -1, v48
	v_and_b32_e32 v54, 64, v48
	v_cmp_lt_i32_e64 s[24:25], v49, v54
	v_cndmask_b32_e64 v49, v49, v48, s[24:25]
	v_lshlrev_b32_e32 v49, 2, v49
	ds_bpermute_b32 v52, v49, v52
	ds_bpermute_b32 v45, v49, v45
	;; [unrolled: 1-line block ×3, first 2 shown]
	v_cmp_eq_u32_e64 s[24:25], 0, v48
	v_cmp_eq_u32_e64 s[26:27], 0, v96
	s_waitcnt lgkmcnt(2)
	v_cndmask_b32_e64 v99, v52, v53, s[24:25]
	s_waitcnt lgkmcnt(1)
	v_cndmask_b32_e64 v77, v45, v47, s[24:25]
	;; [unrolled: 2-line block ×3, first 2 shown]
	v_cmp_eq_u32_e64 s[24:25], 0, v0
	v_cndmask_b32_e64 v44, v76, v50, s[24:25]
	v_cndmask_b32_e64 v45, v77, v51, s[24:25]
	;; [unrolled: 1-line block ×4, first 2 shown]
	v_add_co_u32_e64 v52, s[26:27], v44, v42
	v_addc_co_u32_e64 v53, s[26:27], v45, v43, s[26:27]
	v_cndmask_b32_e64 v43, 0, v52, s[22:23]
	v_cndmask_b32_e64 v42, 0, v53, s[22:23]
	v_add_co_u32_e64 v54, s[22:23], v43, v40
	v_addc_co_u32_e64 v55, s[22:23], v42, v41, s[22:23]
	v_cndmask_b32_e64 v41, 0, v54, s[20:21]
	v_cndmask_b32_e64 v40, 0, v55, s[20:21]
	;; [unrolled: 4-line block ×11, first 2 shown]
	v_add_co_u32_e64 v74, s[0:1], v23, v20
	v_addc_co_u32_e64 v75, s[0:1], v22, v21, s[0:1]
	v_cndmask_b32_e64 v21, 0, v74, s[2:3]
	ds_read_b32 v46, v97 offset:2128
	v_cndmask_b32_e64 v20, 0, v75, s[2:3]
	v_add_co_u32_e64 v78, s[0:1], v21, v18
	v_addc_co_u32_e64 v79, s[0:1], v20, v19, s[0:1]
	ds_read_b64 v[18:19], v97 offset:2136
	v_cndmask_b32_e32 v81, 0, v79, vcc
	v_cndmask_b32_e32 v80, 0, v78, vcc
	s_waitcnt lgkmcnt(1)
	v_cmp_eq_u32_e32 vcc, 0, v46
	v_cndmask_b32_e32 v21, 0, v50, vcc
	v_cndmask_b32_e32 v20, 0, v51, vcc
	s_waitcnt lgkmcnt(0)
	v_add_co_u32_e32 v48, vcc, v21, v18
	v_addc_co_u32_e32 v49, vcc, v20, v19, vcc
	s_and_saveexec_b64 s[0:1], s[24:25]
	s_cbranch_execz .LBB897_171
; %bb.170:
	v_mov_b32_e32 v99, 0
	v_mov_b32_e32 v18, 2
	v_pk_mov_b32 v[76:77], v[50:51], v[50:51] op_sel:[0,1]
	global_store_dword v99, v46, s[38:39] offset:1024
	global_store_dwordx2 v99, v[48:49], s[38:39] offset:1032
	s_waitcnt vmcnt(0)
	buffer_wbinvl1_vol
	global_store_byte v99, v18, s[40:41] offset:64
.LBB897_171:
	s_or_b64 exec, exec, s[0:1]
	v_mov_b32_e32 v50, 0
.LBB897_172:
	s_and_b64 s[0:1], s[34:35], exec
	s_cselect_b32 s1, 0, s51
	s_cselect_b32 s0, 0, s50
	s_cmp_eq_u64 s[0:1], 0
	v_pk_mov_b32 v[18:19], 0, 0
	s_barrier
	s_cbranch_scc1 .LBB897_174
; %bb.173:
	v_mov_b32_e32 v18, 0
	global_load_dwordx2 v[18:19], v18, s[0:1]
.LBB897_174:
	v_add_u32_e32 v33, v99, v96
	v_add_u32_e32 v32, v33, v95
	;; [unrolled: 1-line block ×12, first 2 shown]
	s_movk_i32 s36, 0x100
	v_add_u32_e32 v21, v22, v84
	v_cmp_gt_u32_e32 vcc, s36, v46
	v_add_u32_e32 v20, v21, v83
	s_cbranch_vccnz .LBB897_223
; %bb.175:
	v_cmp_eq_u32_e64 s[26:27], 0, v95
	v_cndmask_b32_e64 v51, 1, 2, s[26:27]
	v_cmp_eq_u32_e64 s[26:27], 0, v96
	v_cmp_eq_u32_e64 s[24:25], 0, v94
	v_cndmask_b32_e64 v97, 1, 2, s[26:27]
	v_cmp_eq_u32_e64 s[22:23], 0, v93
	v_cndmask_b32_e64 v47, 1, 2, s[24:25]
	v_and_b32_e32 v51, v51, v97
	v_cmp_eq_u32_e64 s[20:21], 0, v92
	v_cndmask_b32_e64 v45, 1, 2, s[22:23]
	v_and_b32_e32 v47, v51, v47
	;; [unrolled: 3-line block ×11, first 2 shown]
	v_cmp_eq_u32_e32 vcc, 0, v82
	v_cndmask_b32_e64 v35, 1, 2, s[0:1]
	v_and_b32_e32 v36, v37, v36
	v_cndmask_b32_e64 v34, 1, 2, vcc
	v_and_b32_e32 v35, v36, v35
	v_and_b32_e32 v34, v35, v34
	v_cmp_ne_u32_e64 s[18:19], 0, v96
	v_cmp_ne_u32_e32 vcc, 0, v83
	v_cmp_ne_u32_e64 s[0:1], 0, v84
	v_cmp_ne_u32_e64 s[2:3], 0, v85
	v_cmp_ne_u32_e64 s[4:5], 0, v86
	v_cmp_ne_u32_e64 s[6:7], 0, v87
	v_cmp_ne_u32_e64 s[8:9], 0, v88
	v_cmp_ne_u32_e64 s[10:11], 0, v89
	v_cmp_ne_u32_e64 s[12:13], 0, v90
	v_cmp_ne_u32_e64 s[14:15], 0, v91
	v_cmp_ne_u32_e64 s[16:17], 0, v92
	v_cmp_ne_u32_e64 s[20:21], 0, v93
	v_cmp_ne_u32_e64 s[22:23], 0, v94
	v_cmp_ne_u32_e64 s[24:25], 0, v95
	v_cmp_gt_i16_e64 s[26:27], 2, v34
	s_and_saveexec_b64 s[28:29], s[26:27]
	s_cbranch_execz .LBB897_222
; %bb.176:
	v_cmp_ne_u16_e64 s[26:27], 1, v34
	s_mov_b64 s[34:35], 0
	s_and_saveexec_b64 s[38:39], s[26:27]
	s_xor_b64 s[26:27], exec, s[38:39]
	s_cbranch_execz .LBB897_200
; %bb.177:
	s_and_saveexec_b64 s[34:35], s[18:19]
	s_cbranch_execz .LBB897_205
; %bb.178:
	v_sub_u32_e32 v34, v99, v50
	v_lshlrev_b32_e32 v34, 2, v34
	ds_write_b32 v34, v14
	s_or_b64 exec, exec, s[34:35]
	s_and_saveexec_b64 s[18:19], s[24:25]
	s_cbranch_execnz .LBB897_206
.LBB897_179:
	s_or_b64 exec, exec, s[18:19]
	s_and_saveexec_b64 s[18:19], s[22:23]
	s_cbranch_execz .LBB897_207
.LBB897_180:
	v_sub_u32_e32 v14, v32, v50
	v_lshlrev_b32_e32 v14, 2, v14
	ds_write_b32 v14, v12
	s_or_b64 exec, exec, s[18:19]
	s_and_saveexec_b64 s[18:19], s[20:21]
	s_cbranch_execnz .LBB897_208
.LBB897_181:
	s_or_b64 exec, exec, s[18:19]
	s_and_saveexec_b64 s[18:19], s[16:17]
	s_cbranch_execz .LBB897_209
.LBB897_182:
	v_sub_u32_e32 v12, v30, v50
	v_lshlrev_b32_e32 v12, 2, v12
	ds_write_b32 v12, v10
	s_or_b64 exec, exec, s[18:19]
	s_and_saveexec_b64 s[16:17], s[14:15]
	s_cbranch_execnz .LBB897_210
.LBB897_183:
	s_or_b64 exec, exec, s[16:17]
	s_and_saveexec_b64 s[14:15], s[12:13]
	s_cbranch_execz .LBB897_211
.LBB897_184:
	v_sub_u32_e32 v10, v28, v50
	v_lshlrev_b32_e32 v10, 2, v10
	ds_write_b32 v10, v8
	s_or_b64 exec, exec, s[14:15]
	s_and_saveexec_b64 s[12:13], s[10:11]
	s_cbranch_execnz .LBB897_212
.LBB897_185:
	s_or_b64 exec, exec, s[12:13]
	s_and_saveexec_b64 s[10:11], s[8:9]
	s_cbranch_execz .LBB897_213
.LBB897_186:
	v_sub_u32_e32 v8, v26, v50
	v_lshlrev_b32_e32 v8, 2, v8
	ds_write_b32 v8, v6
	s_or_b64 exec, exec, s[10:11]
	s_and_saveexec_b64 s[8:9], s[6:7]
	s_cbranch_execnz .LBB897_214
.LBB897_187:
	s_or_b64 exec, exec, s[8:9]
	s_and_saveexec_b64 s[6:7], s[4:5]
	s_cbranch_execz .LBB897_215
.LBB897_188:
	v_sub_u32_e32 v6, v24, v50
	v_lshlrev_b32_e32 v6, 2, v6
	ds_write_b32 v6, v4
	s_or_b64 exec, exec, s[6:7]
	s_and_saveexec_b64 s[4:5], s[2:3]
	s_cbranch_execnz .LBB897_216
.LBB897_189:
	s_or_b64 exec, exec, s[4:5]
	s_and_saveexec_b64 s[2:3], s[0:1]
	s_cbranch_execz .LBB897_217
.LBB897_190:
	v_sub_u32_e32 v4, v22, v50
	v_lshlrev_b32_e32 v4, 2, v4
	ds_write_b32 v4, v2
	s_or_b64 exec, exec, s[2:3]
	v_cmp_ne_u32_e64 s[0:1], 0, v82
	s_and_saveexec_b64 s[2:3], vcc
	s_cbranch_execnz .LBB897_218
	s_branch .LBB897_219
.LBB897_191:
                                        ; implicit-def: $sgpr0_sgpr1
                                        ; implicit-def: $vgpr82
                                        ; implicit-def: $vgpr83
                                        ; implicit-def: $vgpr84
                                        ; implicit-def: $vgpr85
                                        ; implicit-def: $vgpr86
                                        ; implicit-def: $vgpr87
                                        ; implicit-def: $vgpr88
                                        ; implicit-def: $vgpr89
                                        ; implicit-def: $vgpr90
                                        ; implicit-def: $vgpr91
                                        ; implicit-def: $vgpr92
                                        ; implicit-def: $vgpr93
                                        ; implicit-def: $vgpr94
                                        ; implicit-def: $vgpr95
	s_cbranch_execz .LBB897_69
; %bb.192:
	v_cmp_ne_u32_e32 vcc, v15, v52
	v_cndmask_b32_e64 v95, 0, 1, vcc
	v_cmp_ne_u32_e32 vcc, v15, v53
	v_cndmask_b32_e64 v94, 0, 1, vcc
	;; [unrolled: 2-line block ×13, first 2 shown]
	v_cmp_ne_u32_e32 vcc, v3, v1
	v_lshlrev_b32_e32 v51, 2, v0
	v_cndmask_b32_e64 v82, 0, 1, vcc
	v_cmp_ne_u32_e32 vcc, 0, v0
	ds_write_b32 v51, v1
	s_waitcnt lgkmcnt(0)
	s_barrier
	s_waitcnt lgkmcnt(0)
                                        ; implicit-def: $sgpr0_sgpr1
	s_and_saveexec_b64 s[8:9], vcc
	s_xor_b64 s[8:9], exec, s[8:9]
	s_cbranch_execz .LBB897_194
; %bb.193:
	v_add_u32_e32 v46, -4, v51
	ds_read_b32 v46, v46
	s_or_b64 s[2:3], s[2:3], exec
	s_waitcnt lgkmcnt(0)
	v_cmp_ne_u32_e32 vcc, v46, v14
	s_and_b64 s[0:1], vcc, exec
.LBB897_194:
	s_or_b64 exec, exec, s[8:9]
	s_mov_b32 s10, 1
	s_branch .LBB897_71
.LBB897_195:
	s_mul_hi_u32 s1, s56, 0xfffff100
	s_mul_i32 s0, s57, 0xfffff100
	s_sub_i32 s1, s1, s56
	s_add_i32 s1, s1, s0
	s_mul_i32 s0, s56, 0xfffff100
	s_add_u32 s8, s0, s48
	s_addc_u32 s9, s1, s49
	s_and_b64 vcc, exec, s[4:5]
	s_cbranch_vccz .LBB897_202
; %bb.196:
	v_mov_b32_e32 v47, s60
	v_add_co_u32_e64 v46, vcc, -4, s7
	v_addc_co_u32_e32 v47, vcc, -1, v47, vcc
	flat_load_dword v50, v[46:47]
	v_mad_u32_u24 v48, v0, 15, 14
	v_mov_b32_e32 v49, 0
	v_cmp_gt_u64_e32 vcc, s[8:9], v[48:49]
	v_cmp_ne_u32_e64 s[0:1], v3, v1
	v_mad_u32_u24 v48, v0, 15, 13
	s_and_b64 s[2:3], vcc, s[0:1]
	v_cmp_gt_u64_e32 vcc, s[8:9], v[48:49]
	v_cmp_ne_u32_e64 s[0:1], v2, v3
	v_mad_u32_u24 v48, v0, 15, 12
	s_and_b64 s[4:5], vcc, s[0:1]
	;; [unrolled: 4-line block ×13, first 2 shown]
	v_cmp_gt_u64_e32 vcc, s[8:9], v[48:49]
	v_cmp_ne_u32_e64 s[0:1], v14, v15
	v_lshlrev_b32_e32 v47, 2, v0
	v_mul_u32_u24_e32 v46, 15, v0
	s_and_b64 s[0:1], vcc, s[0:1]
	v_cmp_ne_u32_e32 vcc, 0, v0
	ds_write_b32 v47, v1
	s_waitcnt lgkmcnt(0)
	s_barrier
	s_and_saveexec_b64 s[48:49], vcc
	s_cbranch_execz .LBB897_198
; %bb.197:
	v_add_u32_e32 v47, -4, v47
	s_waitcnt vmcnt(0)
	ds_read_b32 v50, v47
.LBB897_198:
	s_or_b64 exec, exec, s[48:49]
	v_mov_b32_e32 v47, v49
	v_cndmask_b32_e64 v95, 0, 1, s[0:1]
	v_cmp_gt_u64_e32 vcc, s[8:9], v[46:47]
	s_waitcnt vmcnt(0) lgkmcnt(0)
	v_cmp_ne_u32_e64 s[0:1], v50, v14
	v_cndmask_b32_e64 v82, 0, 1, s[2:3]
	v_cndmask_b32_e64 v83, 0, 1, s[4:5]
	;; [unrolled: 1-line block ×13, first 2 shown]
	s_and_b64 s[0:1], vcc, s[0:1]
	s_mov_b64 s[2:3], -1
.LBB897_199:
                                        ; implicit-def: $sgpr10
	v_mov_b32_e32 v96, s10
	s_and_saveexec_b64 s[4:5], s[2:3]
	s_cbranch_execnz .LBB897_72
	s_branch .LBB897_73
.LBB897_200:
	s_andn2_saveexec_b64 s[0:1], s[26:27]
	s_cbranch_execz .LBB897_220
.LBB897_201:
	v_sub_u32_e32 v34, v99, v50
	v_lshlrev_b32_e32 v34, 2, v34
	ds_write_b32 v34, v14
	v_sub_u32_e32 v14, v33, v50
	v_lshlrev_b32_e32 v14, 2, v14
	ds_write_b32 v14, v15
	;; [unrolled: 3-line block ×13, first 2 shown]
	v_sub_u32_e32 v2, v21, v50
	v_lshlrev_b32_e32 v2, 2, v2
	s_or_b64 s[34:35], s[34:35], exec
	ds_write_b32 v2, v3
	s_or_b64 exec, exec, s[0:1]
	s_and_b64 exec, exec, s[34:35]
	s_cbranch_execnz .LBB897_221
	s_branch .LBB897_222
.LBB897_202:
                                        ; implicit-def: $sgpr0_sgpr1
                                        ; implicit-def: $vgpr82
                                        ; implicit-def: $vgpr83
                                        ; implicit-def: $vgpr84
                                        ; implicit-def: $vgpr85
                                        ; implicit-def: $vgpr86
                                        ; implicit-def: $vgpr87
                                        ; implicit-def: $vgpr88
                                        ; implicit-def: $vgpr89
                                        ; implicit-def: $vgpr90
                                        ; implicit-def: $vgpr91
                                        ; implicit-def: $vgpr92
                                        ; implicit-def: $vgpr93
                                        ; implicit-def: $vgpr94
                                        ; implicit-def: $vgpr95
	s_cbranch_execz .LBB897_199
; %bb.203:
	v_mad_u32_u24 v46, v0, 15, 14
	v_mov_b32_e32 v47, 0
	v_cmp_gt_u64_e32 vcc, s[8:9], v[46:47]
	v_cmp_ne_u32_e64 s[0:1], v3, v1
	s_and_b64 s[0:1], vcc, s[0:1]
	v_mad_u32_u24 v46, v0, 15, 13
	v_cndmask_b32_e64 v82, 0, 1, s[0:1]
	v_cmp_gt_u64_e32 vcc, s[8:9], v[46:47]
	v_cmp_ne_u32_e64 s[0:1], v2, v3
	s_and_b64 s[0:1], vcc, s[0:1]
	v_mad_u32_u24 v46, v0, 15, 12
	v_cndmask_b32_e64 v83, 0, 1, s[0:1]
	;; [unrolled: 5-line block ×13, first 2 shown]
	v_cmp_gt_u64_e32 vcc, s[8:9], v[46:47]
	v_cmp_ne_u32_e64 s[0:1], v14, v15
	s_and_b64 s[0:1], vcc, s[0:1]
	v_lshlrev_b32_e32 v48, 2, v0
	s_mov_b32 s10, 1
	v_cndmask_b32_e64 v95, 0, 1, s[0:1]
	v_cmp_ne_u32_e32 vcc, 0, v0
	ds_write_b32 v48, v1
	s_waitcnt lgkmcnt(0)
	s_barrier
	s_waitcnt lgkmcnt(0)
                                        ; implicit-def: $sgpr0_sgpr1
	s_and_saveexec_b64 s[4:5], vcc
	s_cbranch_execz .LBB897_242
; %bb.204:
	v_add_u32_e32 v46, -4, v48
	ds_read_b32 v48, v46
	v_mul_u32_u24_e32 v46, 15, v0
	v_cmp_gt_u64_e32 vcc, s[8:9], v[46:47]
	s_or_b64 s[2:3], s[2:3], exec
	s_waitcnt lgkmcnt(0)
	v_cmp_ne_u32_e64 s[0:1], v48, v14
	s_and_b64 s[0:1], vcc, s[0:1]
	s_and_b64 s[0:1], s[0:1], exec
	s_or_b64 exec, exec, s[4:5]
	v_mov_b32_e32 v96, s10
	s_and_saveexec_b64 s[4:5], s[2:3]
	s_cbranch_execz .LBB897_73
	s_branch .LBB897_72
.LBB897_205:
	s_or_b64 exec, exec, s[34:35]
	s_and_saveexec_b64 s[18:19], s[24:25]
	s_cbranch_execz .LBB897_179
.LBB897_206:
	v_sub_u32_e32 v14, v33, v50
	v_lshlrev_b32_e32 v14, 2, v14
	ds_write_b32 v14, v15
	s_or_b64 exec, exec, s[18:19]
	s_and_saveexec_b64 s[18:19], s[22:23]
	s_cbranch_execnz .LBB897_180
.LBB897_207:
	s_or_b64 exec, exec, s[18:19]
	s_and_saveexec_b64 s[18:19], s[20:21]
	s_cbranch_execz .LBB897_181
.LBB897_208:
	v_sub_u32_e32 v12, v31, v50
	v_lshlrev_b32_e32 v12, 2, v12
	ds_write_b32 v12, v13
	s_or_b64 exec, exec, s[18:19]
	s_and_saveexec_b64 s[18:19], s[16:17]
	s_cbranch_execnz .LBB897_182
.LBB897_209:
	s_or_b64 exec, exec, s[18:19]
	s_and_saveexec_b64 s[16:17], s[14:15]
	s_cbranch_execz .LBB897_183
.LBB897_210:
	v_sub_u32_e32 v10, v29, v50
	v_lshlrev_b32_e32 v10, 2, v10
	ds_write_b32 v10, v11
	s_or_b64 exec, exec, s[16:17]
	s_and_saveexec_b64 s[14:15], s[12:13]
	s_cbranch_execnz .LBB897_184
.LBB897_211:
	s_or_b64 exec, exec, s[14:15]
	s_and_saveexec_b64 s[12:13], s[10:11]
	s_cbranch_execz .LBB897_185
.LBB897_212:
	v_sub_u32_e32 v8, v27, v50
	v_lshlrev_b32_e32 v8, 2, v8
	ds_write_b32 v8, v9
	s_or_b64 exec, exec, s[12:13]
	s_and_saveexec_b64 s[10:11], s[8:9]
	s_cbranch_execnz .LBB897_186
.LBB897_213:
	s_or_b64 exec, exec, s[10:11]
	s_and_saveexec_b64 s[8:9], s[6:7]
	s_cbranch_execz .LBB897_187
.LBB897_214:
	v_sub_u32_e32 v6, v25, v50
	v_lshlrev_b32_e32 v6, 2, v6
	ds_write_b32 v6, v7
	s_or_b64 exec, exec, s[8:9]
	s_and_saveexec_b64 s[6:7], s[4:5]
	s_cbranch_execnz .LBB897_188
.LBB897_215:
	s_or_b64 exec, exec, s[6:7]
	s_and_saveexec_b64 s[4:5], s[2:3]
	s_cbranch_execz .LBB897_189
.LBB897_216:
	v_sub_u32_e32 v4, v23, v50
	v_lshlrev_b32_e32 v4, 2, v4
	ds_write_b32 v4, v5
	s_or_b64 exec, exec, s[4:5]
	s_and_saveexec_b64 s[2:3], s[0:1]
	s_cbranch_execnz .LBB897_190
.LBB897_217:
	s_or_b64 exec, exec, s[2:3]
	v_cmp_ne_u32_e64 s[0:1], 0, v82
	s_and_saveexec_b64 s[2:3], vcc
	s_cbranch_execz .LBB897_219
.LBB897_218:
	v_sub_u32_e32 v2, v21, v50
	v_lshlrev_b32_e32 v2, 2, v2
	ds_write_b32 v2, v3
.LBB897_219:
	s_or_b64 exec, exec, s[2:3]
	s_and_b64 s[34:35], s[0:1], exec
                                        ; implicit-def: $vgpr2
                                        ; implicit-def: $vgpr4
                                        ; implicit-def: $vgpr6
                                        ; implicit-def: $vgpr8
                                        ; implicit-def: $vgpr10
                                        ; implicit-def: $vgpr12
                                        ; implicit-def: $vgpr14
	s_andn2_saveexec_b64 s[0:1], s[26:27]
	s_cbranch_execnz .LBB897_201
.LBB897_220:
	s_or_b64 exec, exec, s[0:1]
	s_and_b64 exec, exec, s[34:35]
	s_cbranch_execz .LBB897_222
.LBB897_221:
	v_sub_u32_e32 v2, v20, v50
	v_lshlrev_b32_e32 v2, 2, v2
	ds_write_b32 v2, v1
.LBB897_222:
	s_or_b64 exec, exec, s[28:29]
	s_waitcnt lgkmcnt(0)
	s_barrier
.LBB897_223:
	v_add_co_u32_e32 v2, vcc, v80, v16
	s_cmpk_lg_i32 s33, 0xf00
	v_addc_co_u32_e32 v3, vcc, v81, v17, vcc
	s_cselect_b64 s[0:1], -1, 0
	v_cndmask_b32_e64 v8, 0, 1, s[30:31]
	s_and_b64 s[0:1], s[52:53], s[0:1]
	v_cmp_eq_u32_e32 vcc, 0, v0
	v_sub_u32_e32 v1, v46, v8
	v_cndmask_b32_e64 v4, 0, 1, s[0:1]
	s_and_b64 s[0:1], vcc, s[30:31]
	v_add_u32_e32 v1, v1, v4
	v_cndmask_b32_e64 v4, v96, 0, s[0:1]
	s_mul_hi_u32 s0, s33, 0x88888889
	s_lshr_b32 s0, s0, 3
	v_mad_i32_i24 v5, v0, -15, s33
	v_cmp_eq_u32_e32 vcc, s0, v0
	v_cmp_ne_u32_e64 s[0:1], 0, v5
	v_cndmask_b32_e64 v6, 1, v4, s[0:1]
	v_cmp_ne_u32_e64 s[0:1], 1, v5
	v_cndmask_b32_e64 v7, 1, v95, s[0:1]
	;; [unrolled: 2-line block ×15, first 2 shown]
	s_and_b64 vcc, s[52:53], vcc
	v_cndmask_b32_e32 v37, v82, v5, vcc
	v_cndmask_b32_e32 v39, v4, v6, vcc
	s_waitcnt vmcnt(0)
	v_lshlrev_b64 v[4:5], 3, v[18:19]
	v_mov_b32_e32 v51, 0
	v_cndmask_b32_e32 v36, v83, v36, vcc
	v_cndmask_b32_e32 v35, v84, v35, vcc
	;; [unrolled: 1-line block ×13, first 2 shown]
	v_mov_b32_e32 v6, s45
	v_add_co_u32_e32 v7, vcc, s44, v4
	v_addc_co_u32_e32 v6, vcc, v6, v5, vcc
	v_lshlrev_b64 v[4:5], 3, v[50:51]
	v_add_co_u32_e32 v4, vcc, v7, v4
	v_addc_co_u32_e32 v5, vcc, v6, v5, vcc
	v_lshlrev_b32_e32 v6, 3, v8
	v_add_co_u32_e32 v6, vcc, v6, v4
	v_addc_co_u32_e32 v7, vcc, 0, v5, vcc
	v_add_co_u32_e32 v6, vcc, -8, v6
	v_addc_co_u32_e32 v7, vcc, -1, v7, vcc
	v_cmp_eq_u32_e32 vcc, 0, v39
	v_cmp_ne_u32_e64 s[28:29], 0, v39
	v_cndmask_b32_e64 v39, 1, 2, vcc
	v_cmp_eq_u32_e32 vcc, 0, v38
	v_cmp_ne_u32_e64 s[26:27], 0, v38
	v_cndmask_b32_e64 v38, 1, 2, vcc
	v_cmp_eq_u32_e32 vcc, 0, v9
	v_and_b32_e32 v38, v38, v39
	v_cmp_ne_u32_e64 s[24:25], 0, v9
	v_cndmask_b32_e64 v9, 1, 2, vcc
	v_cmp_eq_u32_e32 vcc, 0, v10
	v_and_b32_e32 v9, v38, v9
	;; [unrolled: 4-line block ×3, first 2 shown]
	v_cndmask_b32_e64 v10, 1, 2, vcc
	v_cmp_eq_u32_e32 vcc, 0, v12
	v_and_b32_e32 v9, v9, v10
	v_cndmask_b32_e64 v10, 1, 2, vcc
	v_cmp_eq_u32_e32 vcc, 0, v13
	v_and_b32_e32 v9, v9, v10
	;; [unrolled: 3-line block ×10, first 2 shown]
	v_cndmask_b32_e64 v10, 1, 2, vcc
	v_and_b32_e32 v9, v9, v10
	v_cmp_gt_u32_e32 vcc, s36, v1
	v_add_u32_e32 v8, v50, v8
	v_cmp_ne_u32_e64 s[20:21], 0, v11
	v_cmp_ne_u32_e64 s[18:19], 0, v12
	;; [unrolled: 1-line block ×11, first 2 shown]
	s_mov_b64 s[34:35], -1
	v_cmp_gt_i16_e64 s[30:31], 2, v9
	s_barrier
	s_cbranch_vccz .LBB897_261
; %bb.224:
	s_and_saveexec_b64 s[34:35], s[30:31]
	s_cbranch_execz .LBB897_260
; %bb.225:
	v_cmp_ne_u16_e32 vcc, 1, v9
	s_mov_b64 s[36:37], 0
	s_and_saveexec_b64 s[30:31], vcc
	s_xor_b64 s[30:31], exec, s[30:31]
	s_cbranch_execz .LBB897_240
; %bb.226:
	s_and_saveexec_b64 s[36:37], s[28:29]
	s_cbranch_execz .LBB897_243
; %bb.227:
	v_sub_u32_e32 v10, v99, v8
	v_mov_b32_e32 v11, 0
	v_lshlrev_b64 v[10:11], 3, v[10:11]
	v_add_co_u32_e32 v10, vcc, v6, v10
	v_addc_co_u32_e32 v11, vcc, v7, v11, vcc
	global_store_dwordx2 v[10:11], v[76:77], off
	s_or_b64 exec, exec, s[36:37]
	s_and_saveexec_b64 s[36:37], s[26:27]
	s_cbranch_execnz .LBB897_244
.LBB897_228:
	s_or_b64 exec, exec, s[36:37]
	s_and_saveexec_b64 s[36:37], s[24:25]
	s_cbranch_execz .LBB897_245
.LBB897_229:
	v_sub_u32_e32 v10, v32, v8
	v_mov_b32_e32 v11, 0
	v_lshlrev_b64 v[10:11], 3, v[10:11]
	v_add_co_u32_e32 v10, vcc, v6, v10
	v_addc_co_u32_e32 v11, vcc, v7, v11, vcc
	global_store_dwordx2 v[10:11], v[54:55], off
	s_or_b64 exec, exec, s[36:37]
	s_and_saveexec_b64 s[36:37], s[22:23]
	s_cbranch_execnz .LBB897_246
.LBB897_230:
	s_or_b64 exec, exec, s[36:37]
	s_and_saveexec_b64 s[36:37], s[20:21]
	s_cbranch_execz .LBB897_247
.LBB897_231:
	v_sub_u32_e32 v10, v30, v8
	v_mov_b32_e32 v11, 0
	v_lshlrev_b64 v[10:11], 3, v[10:11]
	v_add_co_u32_e32 v10, vcc, v6, v10
	v_addc_co_u32_e32 v11, vcc, v7, v11, vcc
	global_store_dwordx2 v[10:11], v[58:59], off
	s_or_b64 exec, exec, s[36:37]
	s_and_saveexec_b64 s[36:37], s[18:19]
	s_cbranch_execnz .LBB897_248
.LBB897_232:
	s_or_b64 exec, exec, s[36:37]
	s_and_saveexec_b64 s[36:37], s[16:17]
	s_cbranch_execz .LBB897_249
.LBB897_233:
	v_sub_u32_e32 v10, v28, v8
	v_mov_b32_e32 v11, 0
	v_lshlrev_b64 v[10:11], 3, v[10:11]
	v_add_co_u32_e32 v10, vcc, v6, v10
	v_addc_co_u32_e32 v11, vcc, v7, v11, vcc
	global_store_dwordx2 v[10:11], v[62:63], off
	s_or_b64 exec, exec, s[36:37]
	s_and_saveexec_b64 s[36:37], s[14:15]
	s_cbranch_execnz .LBB897_250
.LBB897_234:
	s_or_b64 exec, exec, s[36:37]
	s_and_saveexec_b64 s[36:37], s[12:13]
	s_cbranch_execz .LBB897_251
.LBB897_235:
	v_sub_u32_e32 v10, v26, v8
	v_mov_b32_e32 v11, 0
	v_lshlrev_b64 v[10:11], 3, v[10:11]
	v_add_co_u32_e32 v10, vcc, v6, v10
	v_addc_co_u32_e32 v11, vcc, v7, v11, vcc
	global_store_dwordx2 v[10:11], v[66:67], off
	s_or_b64 exec, exec, s[36:37]
	s_and_saveexec_b64 s[36:37], s[10:11]
	s_cbranch_execnz .LBB897_252
.LBB897_236:
	s_or_b64 exec, exec, s[36:37]
	s_and_saveexec_b64 s[36:37], s[8:9]
	s_cbranch_execz .LBB897_253
.LBB897_237:
	v_sub_u32_e32 v10, v24, v8
	v_mov_b32_e32 v11, 0
	v_lshlrev_b64 v[10:11], 3, v[10:11]
	v_add_co_u32_e32 v10, vcc, v6, v10
	v_addc_co_u32_e32 v11, vcc, v7, v11, vcc
	global_store_dwordx2 v[10:11], v[70:71], off
	s_or_b64 exec, exec, s[36:37]
	s_and_saveexec_b64 s[36:37], s[6:7]
	s_cbranch_execnz .LBB897_254
.LBB897_238:
	s_or_b64 exec, exec, s[36:37]
	s_and_saveexec_b64 s[36:37], s[4:5]
	s_cbranch_execz .LBB897_255
.LBB897_239:
	v_sub_u32_e32 v10, v22, v8
	v_mov_b32_e32 v11, 0
	v_lshlrev_b64 v[10:11], 3, v[10:11]
	v_add_co_u32_e32 v10, vcc, v6, v10
	v_addc_co_u32_e32 v11, vcc, v7, v11, vcc
	global_store_dwordx2 v[10:11], v[74:75], off
	s_or_b64 exec, exec, s[36:37]
	s_and_saveexec_b64 s[36:37], s[2:3]
	s_cbranch_execnz .LBB897_256
	s_branch .LBB897_257
.LBB897_240:
	s_andn2_saveexec_b64 s[30:31], s[30:31]
	s_cbranch_execz .LBB897_258
.LBB897_241:
	v_sub_u32_e32 v10, v99, v8
	v_mov_b32_e32 v11, 0
	v_lshlrev_b64 v[12:13], 3, v[10:11]
	v_add_co_u32_e32 v12, vcc, v6, v12
	v_addc_co_u32_e32 v13, vcc, v7, v13, vcc
	v_sub_u32_e32 v10, v33, v8
	global_store_dwordx2 v[12:13], v[76:77], off
	v_lshlrev_b64 v[12:13], 3, v[10:11]
	v_add_co_u32_e32 v12, vcc, v6, v12
	v_addc_co_u32_e32 v13, vcc, v7, v13, vcc
	v_sub_u32_e32 v10, v32, v8
	global_store_dwordx2 v[12:13], v[52:53], off
	;; [unrolled: 5-line block ×12, first 2 shown]
	v_lshlrev_b64 v[12:13], 3, v[10:11]
	v_add_co_u32_e32 v12, vcc, v6, v12
	v_sub_u32_e32 v10, v21, v8
	v_addc_co_u32_e32 v13, vcc, v7, v13, vcc
	v_lshlrev_b64 v[10:11], 3, v[10:11]
	v_add_co_u32_e32 v10, vcc, v6, v10
	v_addc_co_u32_e32 v11, vcc, v7, v11, vcc
	s_or_b64 s[36:37], s[36:37], exec
	global_store_dwordx2 v[12:13], v[74:75], off
	global_store_dwordx2 v[10:11], v[78:79], off
	s_or_b64 exec, exec, s[30:31]
	s_and_b64 exec, exec, s[36:37]
	s_cbranch_execnz .LBB897_259
	s_branch .LBB897_260
.LBB897_242:
	s_or_b64 exec, exec, s[4:5]
	v_mov_b32_e32 v96, s10
	s_and_saveexec_b64 s[4:5], s[2:3]
	s_cbranch_execnz .LBB897_72
	s_branch .LBB897_73
.LBB897_243:
	s_or_b64 exec, exec, s[36:37]
	s_and_saveexec_b64 s[36:37], s[26:27]
	s_cbranch_execz .LBB897_228
.LBB897_244:
	v_sub_u32_e32 v10, v33, v8
	v_mov_b32_e32 v11, 0
	v_lshlrev_b64 v[10:11], 3, v[10:11]
	v_add_co_u32_e32 v10, vcc, v6, v10
	v_addc_co_u32_e32 v11, vcc, v7, v11, vcc
	global_store_dwordx2 v[10:11], v[52:53], off
	s_or_b64 exec, exec, s[36:37]
	s_and_saveexec_b64 s[36:37], s[24:25]
	s_cbranch_execnz .LBB897_229
.LBB897_245:
	s_or_b64 exec, exec, s[36:37]
	s_and_saveexec_b64 s[36:37], s[22:23]
	s_cbranch_execz .LBB897_230
.LBB897_246:
	v_sub_u32_e32 v10, v31, v8
	v_mov_b32_e32 v11, 0
	v_lshlrev_b64 v[10:11], 3, v[10:11]
	v_add_co_u32_e32 v10, vcc, v6, v10
	v_addc_co_u32_e32 v11, vcc, v7, v11, vcc
	global_store_dwordx2 v[10:11], v[56:57], off
	s_or_b64 exec, exec, s[36:37]
	s_and_saveexec_b64 s[36:37], s[20:21]
	s_cbranch_execnz .LBB897_231
.LBB897_247:
	s_or_b64 exec, exec, s[36:37]
	s_and_saveexec_b64 s[36:37], s[18:19]
	s_cbranch_execz .LBB897_232
.LBB897_248:
	v_sub_u32_e32 v10, v29, v8
	v_mov_b32_e32 v11, 0
	v_lshlrev_b64 v[10:11], 3, v[10:11]
	v_add_co_u32_e32 v10, vcc, v6, v10
	v_addc_co_u32_e32 v11, vcc, v7, v11, vcc
	global_store_dwordx2 v[10:11], v[60:61], off
	s_or_b64 exec, exec, s[36:37]
	s_and_saveexec_b64 s[36:37], s[16:17]
	s_cbranch_execnz .LBB897_233
.LBB897_249:
	s_or_b64 exec, exec, s[36:37]
	s_and_saveexec_b64 s[36:37], s[14:15]
	s_cbranch_execz .LBB897_234
.LBB897_250:
	v_sub_u32_e32 v10, v27, v8
	v_mov_b32_e32 v11, 0
	v_lshlrev_b64 v[10:11], 3, v[10:11]
	v_add_co_u32_e32 v10, vcc, v6, v10
	v_addc_co_u32_e32 v11, vcc, v7, v11, vcc
	global_store_dwordx2 v[10:11], v[64:65], off
	s_or_b64 exec, exec, s[36:37]
	s_and_saveexec_b64 s[36:37], s[12:13]
	s_cbranch_execnz .LBB897_235
.LBB897_251:
	s_or_b64 exec, exec, s[36:37]
	s_and_saveexec_b64 s[36:37], s[10:11]
	s_cbranch_execz .LBB897_236
.LBB897_252:
	v_sub_u32_e32 v10, v25, v8
	v_mov_b32_e32 v11, 0
	v_lshlrev_b64 v[10:11], 3, v[10:11]
	v_add_co_u32_e32 v10, vcc, v6, v10
	v_addc_co_u32_e32 v11, vcc, v7, v11, vcc
	global_store_dwordx2 v[10:11], v[68:69], off
	s_or_b64 exec, exec, s[36:37]
	s_and_saveexec_b64 s[36:37], s[8:9]
	s_cbranch_execnz .LBB897_237
.LBB897_253:
	s_or_b64 exec, exec, s[36:37]
	s_and_saveexec_b64 s[36:37], s[6:7]
	s_cbranch_execz .LBB897_238
.LBB897_254:
	v_sub_u32_e32 v10, v23, v8
	v_mov_b32_e32 v11, 0
	v_lshlrev_b64 v[10:11], 3, v[10:11]
	v_add_co_u32_e32 v10, vcc, v6, v10
	v_addc_co_u32_e32 v11, vcc, v7, v11, vcc
	global_store_dwordx2 v[10:11], v[72:73], off
	s_or_b64 exec, exec, s[36:37]
	s_and_saveexec_b64 s[36:37], s[4:5]
	s_cbranch_execnz .LBB897_239
.LBB897_255:
	s_or_b64 exec, exec, s[36:37]
	s_and_saveexec_b64 s[36:37], s[2:3]
	s_cbranch_execz .LBB897_257
.LBB897_256:
	v_sub_u32_e32 v10, v21, v8
	v_mov_b32_e32 v11, 0
	v_lshlrev_b64 v[10:11], 3, v[10:11]
	v_add_co_u32_e32 v10, vcc, v6, v10
	v_addc_co_u32_e32 v11, vcc, v7, v11, vcc
	global_store_dwordx2 v[10:11], v[78:79], off
.LBB897_257:
	s_or_b64 exec, exec, s[36:37]
	s_and_b64 s[36:37], s[0:1], exec
	s_andn2_saveexec_b64 s[30:31], s[30:31]
	s_cbranch_execnz .LBB897_241
.LBB897_258:
	s_or_b64 exec, exec, s[30:31]
	s_and_b64 exec, exec, s[36:37]
	s_cbranch_execz .LBB897_260
.LBB897_259:
	v_sub_u32_e32 v10, v20, v8
	v_mov_b32_e32 v11, 0
	v_lshlrev_b64 v[10:11], 3, v[10:11]
	v_add_co_u32_e32 v10, vcc, v6, v10
	v_addc_co_u32_e32 v11, vcc, v7, v11, vcc
	global_store_dwordx2 v[10:11], v[2:3], off
.LBB897_260:
	s_or_b64 exec, exec, s[34:35]
	s_mov_b64 s[34:35], 0
.LBB897_261:
	s_and_b64 vcc, exec, s[34:35]
	s_cbranch_vccz .LBB897_301
; %bb.262:
	v_cmp_gt_i16_e32 vcc, 2, v9
	s_and_saveexec_b64 s[30:31], vcc
	s_cbranch_execz .LBB897_297
; %bb.263:
	v_cmp_ne_u16_e32 vcc, 1, v9
	s_mov_b64 s[36:37], 0
	s_and_saveexec_b64 s[34:35], vcc
	s_xor_b64 s[34:35], exec, s[34:35]
	s_cbranch_execz .LBB897_278
; %bb.264:
	s_and_saveexec_b64 s[36:37], s[28:29]
	s_cbranch_execz .LBB897_280
; %bb.265:
	v_sub_u32_e32 v9, v99, v8
	v_lshlrev_b32_e32 v9, 3, v9
	ds_write_b64 v9, v[76:77]
	s_or_b64 exec, exec, s[36:37]
	s_and_saveexec_b64 s[28:29], s[26:27]
	s_cbranch_execnz .LBB897_281
.LBB897_266:
	s_or_b64 exec, exec, s[28:29]
	s_and_saveexec_b64 s[26:27], s[24:25]
	s_cbranch_execz .LBB897_282
.LBB897_267:
	v_sub_u32_e32 v9, v32, v8
	v_lshlrev_b32_e32 v9, 3, v9
	ds_write_b64 v9, v[54:55]
	s_or_b64 exec, exec, s[26:27]
	s_and_saveexec_b64 s[24:25], s[22:23]
	s_cbranch_execnz .LBB897_283
.LBB897_268:
	s_or_b64 exec, exec, s[24:25]
	s_and_saveexec_b64 s[22:23], s[20:21]
	s_cbranch_execz .LBB897_284
.LBB897_269:
	v_sub_u32_e32 v9, v30, v8
	v_lshlrev_b32_e32 v9, 3, v9
	ds_write_b64 v9, v[58:59]
	s_or_b64 exec, exec, s[22:23]
	s_and_saveexec_b64 s[20:21], s[18:19]
	s_cbranch_execnz .LBB897_285
.LBB897_270:
	s_or_b64 exec, exec, s[20:21]
	s_and_saveexec_b64 s[18:19], s[16:17]
	s_cbranch_execz .LBB897_286
.LBB897_271:
	v_sub_u32_e32 v9, v28, v8
	v_lshlrev_b32_e32 v9, 3, v9
	ds_write_b64 v9, v[62:63]
	s_or_b64 exec, exec, s[18:19]
	s_and_saveexec_b64 s[16:17], s[14:15]
	s_cbranch_execnz .LBB897_287
.LBB897_272:
	s_or_b64 exec, exec, s[16:17]
	s_and_saveexec_b64 s[14:15], s[12:13]
	s_cbranch_execz .LBB897_288
.LBB897_273:
	v_sub_u32_e32 v9, v26, v8
	v_lshlrev_b32_e32 v9, 3, v9
	ds_write_b64 v9, v[66:67]
	s_or_b64 exec, exec, s[14:15]
	s_and_saveexec_b64 s[12:13], s[10:11]
	s_cbranch_execnz .LBB897_289
.LBB897_274:
	s_or_b64 exec, exec, s[12:13]
	s_and_saveexec_b64 s[10:11], s[8:9]
	s_cbranch_execz .LBB897_290
.LBB897_275:
	v_sub_u32_e32 v9, v24, v8
	v_lshlrev_b32_e32 v9, 3, v9
	ds_write_b64 v9, v[70:71]
	s_or_b64 exec, exec, s[10:11]
	s_and_saveexec_b64 s[8:9], s[6:7]
	s_cbranch_execnz .LBB897_291
.LBB897_276:
	s_or_b64 exec, exec, s[8:9]
	s_and_saveexec_b64 s[6:7], s[4:5]
	s_cbranch_execz .LBB897_292
.LBB897_277:
	v_sub_u32_e32 v9, v22, v8
	v_lshlrev_b32_e32 v9, 3, v9
	ds_write_b64 v9, v[74:75]
	s_or_b64 exec, exec, s[6:7]
	s_and_saveexec_b64 s[4:5], s[2:3]
	s_cbranch_execnz .LBB897_293
	s_branch .LBB897_294
.LBB897_278:
	s_andn2_saveexec_b64 s[0:1], s[34:35]
	s_cbranch_execz .LBB897_295
.LBB897_279:
	v_sub_u32_e32 v9, v99, v8
	v_lshlrev_b32_e32 v9, 3, v9
	ds_write_b64 v9, v[76:77]
	v_sub_u32_e32 v9, v33, v8
	v_lshlrev_b32_e32 v9, 3, v9
	ds_write_b64 v9, v[52:53]
	v_sub_u32_e32 v9, v32, v8
	v_lshlrev_b32_e32 v9, 3, v9
	ds_write_b64 v9, v[54:55]
	v_sub_u32_e32 v9, v31, v8
	v_lshlrev_b32_e32 v9, 3, v9
	ds_write_b64 v9, v[56:57]
	v_sub_u32_e32 v9, v30, v8
	v_lshlrev_b32_e32 v9, 3, v9
	ds_write_b64 v9, v[58:59]
	v_sub_u32_e32 v9, v29, v8
	v_lshlrev_b32_e32 v9, 3, v9
	ds_write_b64 v9, v[60:61]
	v_sub_u32_e32 v9, v28, v8
	v_lshlrev_b32_e32 v9, 3, v9
	ds_write_b64 v9, v[62:63]
	v_sub_u32_e32 v9, v27, v8
	v_lshlrev_b32_e32 v9, 3, v9
	ds_write_b64 v9, v[64:65]
	v_sub_u32_e32 v9, v26, v8
	v_lshlrev_b32_e32 v9, 3, v9
	ds_write_b64 v9, v[66:67]
	v_sub_u32_e32 v9, v25, v8
	v_lshlrev_b32_e32 v9, 3, v9
	ds_write_b64 v9, v[68:69]
	v_sub_u32_e32 v9, v24, v8
	v_lshlrev_b32_e32 v9, 3, v9
	ds_write_b64 v9, v[70:71]
	v_sub_u32_e32 v9, v23, v8
	v_lshlrev_b32_e32 v9, 3, v9
	ds_write_b64 v9, v[72:73]
	v_sub_u32_e32 v9, v22, v8
	v_lshlrev_b32_e32 v9, 3, v9
	ds_write_b64 v9, v[74:75]
	v_sub_u32_e32 v9, v21, v8
	v_lshlrev_b32_e32 v9, 3, v9
	s_or_b64 s[36:37], s[36:37], exec
	ds_write_b64 v9, v[78:79]
	s_or_b64 exec, exec, s[0:1]
	s_and_b64 exec, exec, s[36:37]
	s_cbranch_execnz .LBB897_296
	s_branch .LBB897_297
.LBB897_280:
	s_or_b64 exec, exec, s[36:37]
	s_and_saveexec_b64 s[28:29], s[26:27]
	s_cbranch_execz .LBB897_266
.LBB897_281:
	v_sub_u32_e32 v9, v33, v8
	v_lshlrev_b32_e32 v9, 3, v9
	ds_write_b64 v9, v[52:53]
	s_or_b64 exec, exec, s[28:29]
	s_and_saveexec_b64 s[26:27], s[24:25]
	s_cbranch_execnz .LBB897_267
.LBB897_282:
	s_or_b64 exec, exec, s[26:27]
	s_and_saveexec_b64 s[24:25], s[22:23]
	s_cbranch_execz .LBB897_268
.LBB897_283:
	v_sub_u32_e32 v9, v31, v8
	v_lshlrev_b32_e32 v9, 3, v9
	ds_write_b64 v9, v[56:57]
	s_or_b64 exec, exec, s[24:25]
	s_and_saveexec_b64 s[22:23], s[20:21]
	s_cbranch_execnz .LBB897_269
.LBB897_284:
	s_or_b64 exec, exec, s[22:23]
	s_and_saveexec_b64 s[20:21], s[18:19]
	s_cbranch_execz .LBB897_270
.LBB897_285:
	v_sub_u32_e32 v9, v29, v8
	v_lshlrev_b32_e32 v9, 3, v9
	ds_write_b64 v9, v[60:61]
	s_or_b64 exec, exec, s[20:21]
	s_and_saveexec_b64 s[18:19], s[16:17]
	s_cbranch_execnz .LBB897_271
.LBB897_286:
	s_or_b64 exec, exec, s[18:19]
	s_and_saveexec_b64 s[16:17], s[14:15]
	s_cbranch_execz .LBB897_272
.LBB897_287:
	v_sub_u32_e32 v9, v27, v8
	v_lshlrev_b32_e32 v9, 3, v9
	ds_write_b64 v9, v[64:65]
	s_or_b64 exec, exec, s[16:17]
	s_and_saveexec_b64 s[14:15], s[12:13]
	s_cbranch_execnz .LBB897_273
.LBB897_288:
	s_or_b64 exec, exec, s[14:15]
	s_and_saveexec_b64 s[12:13], s[10:11]
	s_cbranch_execz .LBB897_274
.LBB897_289:
	v_sub_u32_e32 v9, v25, v8
	v_lshlrev_b32_e32 v9, 3, v9
	ds_write_b64 v9, v[68:69]
	s_or_b64 exec, exec, s[12:13]
	s_and_saveexec_b64 s[10:11], s[8:9]
	s_cbranch_execnz .LBB897_275
.LBB897_290:
	s_or_b64 exec, exec, s[10:11]
	s_and_saveexec_b64 s[8:9], s[6:7]
	s_cbranch_execz .LBB897_276
.LBB897_291:
	v_sub_u32_e32 v9, v23, v8
	v_lshlrev_b32_e32 v9, 3, v9
	ds_write_b64 v9, v[72:73]
	s_or_b64 exec, exec, s[8:9]
	s_and_saveexec_b64 s[6:7], s[4:5]
	s_cbranch_execnz .LBB897_277
.LBB897_292:
	s_or_b64 exec, exec, s[6:7]
	s_and_saveexec_b64 s[4:5], s[2:3]
	s_cbranch_execz .LBB897_294
.LBB897_293:
	v_sub_u32_e32 v9, v21, v8
	v_lshlrev_b32_e32 v9, 3, v9
	ds_write_b64 v9, v[78:79]
.LBB897_294:
	s_or_b64 exec, exec, s[4:5]
	s_and_b64 s[36:37], s[0:1], exec
                                        ; implicit-def: $vgpr76_vgpr77
                                        ; implicit-def: $vgpr52_vgpr53
                                        ; implicit-def: $vgpr54_vgpr55
                                        ; implicit-def: $vgpr56_vgpr57
                                        ; implicit-def: $vgpr58_vgpr59
                                        ; implicit-def: $vgpr60_vgpr61
                                        ; implicit-def: $vgpr62_vgpr63
                                        ; implicit-def: $vgpr64_vgpr65
                                        ; implicit-def: $vgpr66_vgpr67
                                        ; implicit-def: $vgpr68_vgpr69
                                        ; implicit-def: $vgpr70_vgpr71
                                        ; implicit-def: $vgpr72_vgpr73
                                        ; implicit-def: $vgpr74_vgpr75
                                        ; implicit-def: $vgpr78_vgpr79
                                        ; implicit-def: $vgpr99
                                        ; implicit-def: $vgpr33
                                        ; implicit-def: $vgpr32
                                        ; implicit-def: $vgpr31
                                        ; implicit-def: $vgpr30
                                        ; implicit-def: $vgpr29
                                        ; implicit-def: $vgpr28
                                        ; implicit-def: $vgpr27
                                        ; implicit-def: $vgpr26
                                        ; implicit-def: $vgpr25
                                        ; implicit-def: $vgpr24
                                        ; implicit-def: $vgpr23
                                        ; implicit-def: $vgpr22
                                        ; implicit-def: $vgpr21
	s_andn2_saveexec_b64 s[0:1], s[34:35]
	s_cbranch_execnz .LBB897_279
.LBB897_295:
	s_or_b64 exec, exec, s[0:1]
	s_and_b64 exec, exec, s[36:37]
	s_cbranch_execz .LBB897_297
.LBB897_296:
	v_sub_u32_e32 v8, v20, v8
	v_lshlrev_b32_e32 v8, 3, v8
	ds_write_b64 v8, v[2:3]
.LBB897_297:
	s_or_b64 exec, exec, s[30:31]
	v_cmp_lt_u32_e32 vcc, v0, v1
	s_waitcnt lgkmcnt(0)
	s_barrier
	s_and_saveexec_b64 s[0:1], vcc
	s_cbranch_execz .LBB897_300
; %bb.298:
	v_lshlrev_b32_e32 v8, 3, v0
	s_mov_b64 s[2:3], 0
	v_mov_b32_e32 v3, 0
	v_mov_b32_e32 v2, v0
.LBB897_299:                            ; =>This Inner Loop Header: Depth=1
	v_lshlrev_b64 v[10:11], 3, v[2:3]
	ds_read_b64 v[12:13], v8
	v_add_co_u32_e32 v10, vcc, v6, v10
	v_add_u32_e32 v2, 0x100, v2
	v_addc_co_u32_e32 v11, vcc, v7, v11, vcc
	v_cmp_ge_u32_e32 vcc, v2, v1
	v_add_u32_e32 v8, 0x800, v8
	s_or_b64 s[2:3], vcc, s[2:3]
	s_waitcnt lgkmcnt(0)
	global_store_dwordx2 v[10:11], v[12:13], off
	s_andn2_b64 exec, exec, s[2:3]
	s_cbranch_execnz .LBB897_299
.LBB897_300:
	s_or_b64 exec, exec, s[0:1]
.LBB897_301:
	s_movk_i32 s0, 0xff
	v_cmp_eq_u32_e32 vcc, s0, v0
	s_and_b64 s[0:1], vcc, s[52:53]
	s_and_saveexec_b64 s[2:3], s[0:1]
	s_cbranch_execz .LBB897_304
; %bb.302:
	v_add_co_u32_e32 v0, vcc, v46, v50
	v_addc_co_u32_e64 v1, s[0:1], 0, 0, vcc
	v_add_co_u32_e32 v0, vcc, v0, v18
	v_mov_b32_e32 v47, 0
	v_addc_co_u32_e32 v1, vcc, v1, v19, vcc
	s_cmpk_lg_i32 s33, 0xf00
	global_store_dwordx2 v47, v[0:1], s[46:47]
	s_cbranch_scc1 .LBB897_304
; %bb.303:
	v_lshlrev_b64 v[0:1], 3, v[46:47]
	v_add_co_u32_e32 v0, vcc, v4, v0
	v_addc_co_u32_e32 v1, vcc, v5, v1, vcc
	global_store_dwordx2 v[0:1], v[48:49], off offset:-8
.LBB897_304:
	s_endpgm
	.section	.rodata,"a",@progbits
	.p2align	6, 0x0
	.amdhsa_kernel _ZN7rocprim17ROCPRIM_400000_NS6detail17trampoline_kernelINS0_14default_configENS1_29reduce_by_key_config_selectorIjyN6thrust23THRUST_200600_302600_NS4plusIyEEEEZZNS1_33reduce_by_key_impl_wrapped_configILNS1_25lookback_scan_determinismE0ES3_S9_NS6_6detail15normal_iteratorINS6_10device_ptrIjEEEENSD_INSE_IyEEEENS6_16discard_iteratorINS6_11use_defaultEEESI_PmS8_NS6_8equal_toIjEEEE10hipError_tPvRmT2_T3_mT4_T5_T6_T7_T8_P12ihipStream_tbENKUlT_T0_E_clISt17integral_constantIbLb1EES15_IbLb0EEEEDaS11_S12_EUlS11_E_NS1_11comp_targetILNS1_3genE4ELNS1_11target_archE910ELNS1_3gpuE8ELNS1_3repE0EEENS1_30default_config_static_selectorELNS0_4arch9wavefront6targetE1EEEvT1_
		.amdhsa_group_segment_fixed_size 30720
		.amdhsa_private_segment_fixed_size 0
		.amdhsa_kernarg_size 144
		.amdhsa_user_sgpr_count 6
		.amdhsa_user_sgpr_private_segment_buffer 1
		.amdhsa_user_sgpr_dispatch_ptr 0
		.amdhsa_user_sgpr_queue_ptr 0
		.amdhsa_user_sgpr_kernarg_segment_ptr 1
		.amdhsa_user_sgpr_dispatch_id 0
		.amdhsa_user_sgpr_flat_scratch_init 0
		.amdhsa_user_sgpr_kernarg_preload_length 0
		.amdhsa_user_sgpr_kernarg_preload_offset 0
		.amdhsa_user_sgpr_private_segment_size 0
		.amdhsa_uses_dynamic_stack 0
		.amdhsa_system_sgpr_private_segment_wavefront_offset 0
		.amdhsa_system_sgpr_workgroup_id_x 1
		.amdhsa_system_sgpr_workgroup_id_y 0
		.amdhsa_system_sgpr_workgroup_id_z 0
		.amdhsa_system_sgpr_workgroup_info 0
		.amdhsa_system_vgpr_workitem_id 0
		.amdhsa_next_free_vgpr 102
		.amdhsa_next_free_sgpr 63
		.amdhsa_accum_offset 104
		.amdhsa_reserve_vcc 1
		.amdhsa_reserve_flat_scratch 0
		.amdhsa_float_round_mode_32 0
		.amdhsa_float_round_mode_16_64 0
		.amdhsa_float_denorm_mode_32 3
		.amdhsa_float_denorm_mode_16_64 3
		.amdhsa_dx10_clamp 1
		.amdhsa_ieee_mode 1
		.amdhsa_fp16_overflow 0
		.amdhsa_tg_split 0
		.amdhsa_exception_fp_ieee_invalid_op 0
		.amdhsa_exception_fp_denorm_src 0
		.amdhsa_exception_fp_ieee_div_zero 0
		.amdhsa_exception_fp_ieee_overflow 0
		.amdhsa_exception_fp_ieee_underflow 0
		.amdhsa_exception_fp_ieee_inexact 0
		.amdhsa_exception_int_div_zero 0
	.end_amdhsa_kernel
	.section	.text._ZN7rocprim17ROCPRIM_400000_NS6detail17trampoline_kernelINS0_14default_configENS1_29reduce_by_key_config_selectorIjyN6thrust23THRUST_200600_302600_NS4plusIyEEEEZZNS1_33reduce_by_key_impl_wrapped_configILNS1_25lookback_scan_determinismE0ES3_S9_NS6_6detail15normal_iteratorINS6_10device_ptrIjEEEENSD_INSE_IyEEEENS6_16discard_iteratorINS6_11use_defaultEEESI_PmS8_NS6_8equal_toIjEEEE10hipError_tPvRmT2_T3_mT4_T5_T6_T7_T8_P12ihipStream_tbENKUlT_T0_E_clISt17integral_constantIbLb1EES15_IbLb0EEEEDaS11_S12_EUlS11_E_NS1_11comp_targetILNS1_3genE4ELNS1_11target_archE910ELNS1_3gpuE8ELNS1_3repE0EEENS1_30default_config_static_selectorELNS0_4arch9wavefront6targetE1EEEvT1_,"axG",@progbits,_ZN7rocprim17ROCPRIM_400000_NS6detail17trampoline_kernelINS0_14default_configENS1_29reduce_by_key_config_selectorIjyN6thrust23THRUST_200600_302600_NS4plusIyEEEEZZNS1_33reduce_by_key_impl_wrapped_configILNS1_25lookback_scan_determinismE0ES3_S9_NS6_6detail15normal_iteratorINS6_10device_ptrIjEEEENSD_INSE_IyEEEENS6_16discard_iteratorINS6_11use_defaultEEESI_PmS8_NS6_8equal_toIjEEEE10hipError_tPvRmT2_T3_mT4_T5_T6_T7_T8_P12ihipStream_tbENKUlT_T0_E_clISt17integral_constantIbLb1EES15_IbLb0EEEEDaS11_S12_EUlS11_E_NS1_11comp_targetILNS1_3genE4ELNS1_11target_archE910ELNS1_3gpuE8ELNS1_3repE0EEENS1_30default_config_static_selectorELNS0_4arch9wavefront6targetE1EEEvT1_,comdat
.Lfunc_end897:
	.size	_ZN7rocprim17ROCPRIM_400000_NS6detail17trampoline_kernelINS0_14default_configENS1_29reduce_by_key_config_selectorIjyN6thrust23THRUST_200600_302600_NS4plusIyEEEEZZNS1_33reduce_by_key_impl_wrapped_configILNS1_25lookback_scan_determinismE0ES3_S9_NS6_6detail15normal_iteratorINS6_10device_ptrIjEEEENSD_INSE_IyEEEENS6_16discard_iteratorINS6_11use_defaultEEESI_PmS8_NS6_8equal_toIjEEEE10hipError_tPvRmT2_T3_mT4_T5_T6_T7_T8_P12ihipStream_tbENKUlT_T0_E_clISt17integral_constantIbLb1EES15_IbLb0EEEEDaS11_S12_EUlS11_E_NS1_11comp_targetILNS1_3genE4ELNS1_11target_archE910ELNS1_3gpuE8ELNS1_3repE0EEENS1_30default_config_static_selectorELNS0_4arch9wavefront6targetE1EEEvT1_, .Lfunc_end897-_ZN7rocprim17ROCPRIM_400000_NS6detail17trampoline_kernelINS0_14default_configENS1_29reduce_by_key_config_selectorIjyN6thrust23THRUST_200600_302600_NS4plusIyEEEEZZNS1_33reduce_by_key_impl_wrapped_configILNS1_25lookback_scan_determinismE0ES3_S9_NS6_6detail15normal_iteratorINS6_10device_ptrIjEEEENSD_INSE_IyEEEENS6_16discard_iteratorINS6_11use_defaultEEESI_PmS8_NS6_8equal_toIjEEEE10hipError_tPvRmT2_T3_mT4_T5_T6_T7_T8_P12ihipStream_tbENKUlT_T0_E_clISt17integral_constantIbLb1EES15_IbLb0EEEEDaS11_S12_EUlS11_E_NS1_11comp_targetILNS1_3genE4ELNS1_11target_archE910ELNS1_3gpuE8ELNS1_3repE0EEENS1_30default_config_static_selectorELNS0_4arch9wavefront6targetE1EEEvT1_
                                        ; -- End function
	.section	.AMDGPU.csdata,"",@progbits
; Kernel info:
; codeLenInByte = 15736
; NumSgprs: 67
; NumVgprs: 102
; NumAgprs: 0
; TotalNumVgprs: 102
; ScratchSize: 0
; MemoryBound: 0
; FloatMode: 240
; IeeeMode: 1
; LDSByteSize: 30720 bytes/workgroup (compile time only)
; SGPRBlocks: 8
; VGPRBlocks: 12
; NumSGPRsForWavesPerEU: 67
; NumVGPRsForWavesPerEU: 102
; AccumOffset: 104
; Occupancy: 2
; WaveLimiterHint : 1
; COMPUTE_PGM_RSRC2:SCRATCH_EN: 0
; COMPUTE_PGM_RSRC2:USER_SGPR: 6
; COMPUTE_PGM_RSRC2:TRAP_HANDLER: 0
; COMPUTE_PGM_RSRC2:TGID_X_EN: 1
; COMPUTE_PGM_RSRC2:TGID_Y_EN: 0
; COMPUTE_PGM_RSRC2:TGID_Z_EN: 0
; COMPUTE_PGM_RSRC2:TIDIG_COMP_CNT: 0
; COMPUTE_PGM_RSRC3_GFX90A:ACCUM_OFFSET: 25
; COMPUTE_PGM_RSRC3_GFX90A:TG_SPLIT: 0
	.section	.text._ZN7rocprim17ROCPRIM_400000_NS6detail17trampoline_kernelINS0_14default_configENS1_29reduce_by_key_config_selectorIjyN6thrust23THRUST_200600_302600_NS4plusIyEEEEZZNS1_33reduce_by_key_impl_wrapped_configILNS1_25lookback_scan_determinismE0ES3_S9_NS6_6detail15normal_iteratorINS6_10device_ptrIjEEEENSD_INSE_IyEEEENS6_16discard_iteratorINS6_11use_defaultEEESI_PmS8_NS6_8equal_toIjEEEE10hipError_tPvRmT2_T3_mT4_T5_T6_T7_T8_P12ihipStream_tbENKUlT_T0_E_clISt17integral_constantIbLb1EES15_IbLb0EEEEDaS11_S12_EUlS11_E_NS1_11comp_targetILNS1_3genE3ELNS1_11target_archE908ELNS1_3gpuE7ELNS1_3repE0EEENS1_30default_config_static_selectorELNS0_4arch9wavefront6targetE1EEEvT1_,"axG",@progbits,_ZN7rocprim17ROCPRIM_400000_NS6detail17trampoline_kernelINS0_14default_configENS1_29reduce_by_key_config_selectorIjyN6thrust23THRUST_200600_302600_NS4plusIyEEEEZZNS1_33reduce_by_key_impl_wrapped_configILNS1_25lookback_scan_determinismE0ES3_S9_NS6_6detail15normal_iteratorINS6_10device_ptrIjEEEENSD_INSE_IyEEEENS6_16discard_iteratorINS6_11use_defaultEEESI_PmS8_NS6_8equal_toIjEEEE10hipError_tPvRmT2_T3_mT4_T5_T6_T7_T8_P12ihipStream_tbENKUlT_T0_E_clISt17integral_constantIbLb1EES15_IbLb0EEEEDaS11_S12_EUlS11_E_NS1_11comp_targetILNS1_3genE3ELNS1_11target_archE908ELNS1_3gpuE7ELNS1_3repE0EEENS1_30default_config_static_selectorELNS0_4arch9wavefront6targetE1EEEvT1_,comdat
	.protected	_ZN7rocprim17ROCPRIM_400000_NS6detail17trampoline_kernelINS0_14default_configENS1_29reduce_by_key_config_selectorIjyN6thrust23THRUST_200600_302600_NS4plusIyEEEEZZNS1_33reduce_by_key_impl_wrapped_configILNS1_25lookback_scan_determinismE0ES3_S9_NS6_6detail15normal_iteratorINS6_10device_ptrIjEEEENSD_INSE_IyEEEENS6_16discard_iteratorINS6_11use_defaultEEESI_PmS8_NS6_8equal_toIjEEEE10hipError_tPvRmT2_T3_mT4_T5_T6_T7_T8_P12ihipStream_tbENKUlT_T0_E_clISt17integral_constantIbLb1EES15_IbLb0EEEEDaS11_S12_EUlS11_E_NS1_11comp_targetILNS1_3genE3ELNS1_11target_archE908ELNS1_3gpuE7ELNS1_3repE0EEENS1_30default_config_static_selectorELNS0_4arch9wavefront6targetE1EEEvT1_ ; -- Begin function _ZN7rocprim17ROCPRIM_400000_NS6detail17trampoline_kernelINS0_14default_configENS1_29reduce_by_key_config_selectorIjyN6thrust23THRUST_200600_302600_NS4plusIyEEEEZZNS1_33reduce_by_key_impl_wrapped_configILNS1_25lookback_scan_determinismE0ES3_S9_NS6_6detail15normal_iteratorINS6_10device_ptrIjEEEENSD_INSE_IyEEEENS6_16discard_iteratorINS6_11use_defaultEEESI_PmS8_NS6_8equal_toIjEEEE10hipError_tPvRmT2_T3_mT4_T5_T6_T7_T8_P12ihipStream_tbENKUlT_T0_E_clISt17integral_constantIbLb1EES15_IbLb0EEEEDaS11_S12_EUlS11_E_NS1_11comp_targetILNS1_3genE3ELNS1_11target_archE908ELNS1_3gpuE7ELNS1_3repE0EEENS1_30default_config_static_selectorELNS0_4arch9wavefront6targetE1EEEvT1_
	.globl	_ZN7rocprim17ROCPRIM_400000_NS6detail17trampoline_kernelINS0_14default_configENS1_29reduce_by_key_config_selectorIjyN6thrust23THRUST_200600_302600_NS4plusIyEEEEZZNS1_33reduce_by_key_impl_wrapped_configILNS1_25lookback_scan_determinismE0ES3_S9_NS6_6detail15normal_iteratorINS6_10device_ptrIjEEEENSD_INSE_IyEEEENS6_16discard_iteratorINS6_11use_defaultEEESI_PmS8_NS6_8equal_toIjEEEE10hipError_tPvRmT2_T3_mT4_T5_T6_T7_T8_P12ihipStream_tbENKUlT_T0_E_clISt17integral_constantIbLb1EES15_IbLb0EEEEDaS11_S12_EUlS11_E_NS1_11comp_targetILNS1_3genE3ELNS1_11target_archE908ELNS1_3gpuE7ELNS1_3repE0EEENS1_30default_config_static_selectorELNS0_4arch9wavefront6targetE1EEEvT1_
	.p2align	8
	.type	_ZN7rocprim17ROCPRIM_400000_NS6detail17trampoline_kernelINS0_14default_configENS1_29reduce_by_key_config_selectorIjyN6thrust23THRUST_200600_302600_NS4plusIyEEEEZZNS1_33reduce_by_key_impl_wrapped_configILNS1_25lookback_scan_determinismE0ES3_S9_NS6_6detail15normal_iteratorINS6_10device_ptrIjEEEENSD_INSE_IyEEEENS6_16discard_iteratorINS6_11use_defaultEEESI_PmS8_NS6_8equal_toIjEEEE10hipError_tPvRmT2_T3_mT4_T5_T6_T7_T8_P12ihipStream_tbENKUlT_T0_E_clISt17integral_constantIbLb1EES15_IbLb0EEEEDaS11_S12_EUlS11_E_NS1_11comp_targetILNS1_3genE3ELNS1_11target_archE908ELNS1_3gpuE7ELNS1_3repE0EEENS1_30default_config_static_selectorELNS0_4arch9wavefront6targetE1EEEvT1_,@function
_ZN7rocprim17ROCPRIM_400000_NS6detail17trampoline_kernelINS0_14default_configENS1_29reduce_by_key_config_selectorIjyN6thrust23THRUST_200600_302600_NS4plusIyEEEEZZNS1_33reduce_by_key_impl_wrapped_configILNS1_25lookback_scan_determinismE0ES3_S9_NS6_6detail15normal_iteratorINS6_10device_ptrIjEEEENSD_INSE_IyEEEENS6_16discard_iteratorINS6_11use_defaultEEESI_PmS8_NS6_8equal_toIjEEEE10hipError_tPvRmT2_T3_mT4_T5_T6_T7_T8_P12ihipStream_tbENKUlT_T0_E_clISt17integral_constantIbLb1EES15_IbLb0EEEEDaS11_S12_EUlS11_E_NS1_11comp_targetILNS1_3genE3ELNS1_11target_archE908ELNS1_3gpuE7ELNS1_3repE0EEENS1_30default_config_static_selectorELNS0_4arch9wavefront6targetE1EEEvT1_: ; @_ZN7rocprim17ROCPRIM_400000_NS6detail17trampoline_kernelINS0_14default_configENS1_29reduce_by_key_config_selectorIjyN6thrust23THRUST_200600_302600_NS4plusIyEEEEZZNS1_33reduce_by_key_impl_wrapped_configILNS1_25lookback_scan_determinismE0ES3_S9_NS6_6detail15normal_iteratorINS6_10device_ptrIjEEEENSD_INSE_IyEEEENS6_16discard_iteratorINS6_11use_defaultEEESI_PmS8_NS6_8equal_toIjEEEE10hipError_tPvRmT2_T3_mT4_T5_T6_T7_T8_P12ihipStream_tbENKUlT_T0_E_clISt17integral_constantIbLb1EES15_IbLb0EEEEDaS11_S12_EUlS11_E_NS1_11comp_targetILNS1_3genE3ELNS1_11target_archE908ELNS1_3gpuE7ELNS1_3repE0EEENS1_30default_config_static_selectorELNS0_4arch9wavefront6targetE1EEEvT1_
; %bb.0:
	.section	.rodata,"a",@progbits
	.p2align	6, 0x0
	.amdhsa_kernel _ZN7rocprim17ROCPRIM_400000_NS6detail17trampoline_kernelINS0_14default_configENS1_29reduce_by_key_config_selectorIjyN6thrust23THRUST_200600_302600_NS4plusIyEEEEZZNS1_33reduce_by_key_impl_wrapped_configILNS1_25lookback_scan_determinismE0ES3_S9_NS6_6detail15normal_iteratorINS6_10device_ptrIjEEEENSD_INSE_IyEEEENS6_16discard_iteratorINS6_11use_defaultEEESI_PmS8_NS6_8equal_toIjEEEE10hipError_tPvRmT2_T3_mT4_T5_T6_T7_T8_P12ihipStream_tbENKUlT_T0_E_clISt17integral_constantIbLb1EES15_IbLb0EEEEDaS11_S12_EUlS11_E_NS1_11comp_targetILNS1_3genE3ELNS1_11target_archE908ELNS1_3gpuE7ELNS1_3repE0EEENS1_30default_config_static_selectorELNS0_4arch9wavefront6targetE1EEEvT1_
		.amdhsa_group_segment_fixed_size 0
		.amdhsa_private_segment_fixed_size 0
		.amdhsa_kernarg_size 144
		.amdhsa_user_sgpr_count 6
		.amdhsa_user_sgpr_private_segment_buffer 1
		.amdhsa_user_sgpr_dispatch_ptr 0
		.amdhsa_user_sgpr_queue_ptr 0
		.amdhsa_user_sgpr_kernarg_segment_ptr 1
		.amdhsa_user_sgpr_dispatch_id 0
		.amdhsa_user_sgpr_flat_scratch_init 0
		.amdhsa_user_sgpr_kernarg_preload_length 0
		.amdhsa_user_sgpr_kernarg_preload_offset 0
		.amdhsa_user_sgpr_private_segment_size 0
		.amdhsa_uses_dynamic_stack 0
		.amdhsa_system_sgpr_private_segment_wavefront_offset 0
		.amdhsa_system_sgpr_workgroup_id_x 1
		.amdhsa_system_sgpr_workgroup_id_y 0
		.amdhsa_system_sgpr_workgroup_id_z 0
		.amdhsa_system_sgpr_workgroup_info 0
		.amdhsa_system_vgpr_workitem_id 0
		.amdhsa_next_free_vgpr 1
		.amdhsa_next_free_sgpr 0
		.amdhsa_accum_offset 4
		.amdhsa_reserve_vcc 0
		.amdhsa_reserve_flat_scratch 0
		.amdhsa_float_round_mode_32 0
		.amdhsa_float_round_mode_16_64 0
		.amdhsa_float_denorm_mode_32 3
		.amdhsa_float_denorm_mode_16_64 3
		.amdhsa_dx10_clamp 1
		.amdhsa_ieee_mode 1
		.amdhsa_fp16_overflow 0
		.amdhsa_tg_split 0
		.amdhsa_exception_fp_ieee_invalid_op 0
		.amdhsa_exception_fp_denorm_src 0
		.amdhsa_exception_fp_ieee_div_zero 0
		.amdhsa_exception_fp_ieee_overflow 0
		.amdhsa_exception_fp_ieee_underflow 0
		.amdhsa_exception_fp_ieee_inexact 0
		.amdhsa_exception_int_div_zero 0
	.end_amdhsa_kernel
	.section	.text._ZN7rocprim17ROCPRIM_400000_NS6detail17trampoline_kernelINS0_14default_configENS1_29reduce_by_key_config_selectorIjyN6thrust23THRUST_200600_302600_NS4plusIyEEEEZZNS1_33reduce_by_key_impl_wrapped_configILNS1_25lookback_scan_determinismE0ES3_S9_NS6_6detail15normal_iteratorINS6_10device_ptrIjEEEENSD_INSE_IyEEEENS6_16discard_iteratorINS6_11use_defaultEEESI_PmS8_NS6_8equal_toIjEEEE10hipError_tPvRmT2_T3_mT4_T5_T6_T7_T8_P12ihipStream_tbENKUlT_T0_E_clISt17integral_constantIbLb1EES15_IbLb0EEEEDaS11_S12_EUlS11_E_NS1_11comp_targetILNS1_3genE3ELNS1_11target_archE908ELNS1_3gpuE7ELNS1_3repE0EEENS1_30default_config_static_selectorELNS0_4arch9wavefront6targetE1EEEvT1_,"axG",@progbits,_ZN7rocprim17ROCPRIM_400000_NS6detail17trampoline_kernelINS0_14default_configENS1_29reduce_by_key_config_selectorIjyN6thrust23THRUST_200600_302600_NS4plusIyEEEEZZNS1_33reduce_by_key_impl_wrapped_configILNS1_25lookback_scan_determinismE0ES3_S9_NS6_6detail15normal_iteratorINS6_10device_ptrIjEEEENSD_INSE_IyEEEENS6_16discard_iteratorINS6_11use_defaultEEESI_PmS8_NS6_8equal_toIjEEEE10hipError_tPvRmT2_T3_mT4_T5_T6_T7_T8_P12ihipStream_tbENKUlT_T0_E_clISt17integral_constantIbLb1EES15_IbLb0EEEEDaS11_S12_EUlS11_E_NS1_11comp_targetILNS1_3genE3ELNS1_11target_archE908ELNS1_3gpuE7ELNS1_3repE0EEENS1_30default_config_static_selectorELNS0_4arch9wavefront6targetE1EEEvT1_,comdat
.Lfunc_end898:
	.size	_ZN7rocprim17ROCPRIM_400000_NS6detail17trampoline_kernelINS0_14default_configENS1_29reduce_by_key_config_selectorIjyN6thrust23THRUST_200600_302600_NS4plusIyEEEEZZNS1_33reduce_by_key_impl_wrapped_configILNS1_25lookback_scan_determinismE0ES3_S9_NS6_6detail15normal_iteratorINS6_10device_ptrIjEEEENSD_INSE_IyEEEENS6_16discard_iteratorINS6_11use_defaultEEESI_PmS8_NS6_8equal_toIjEEEE10hipError_tPvRmT2_T3_mT4_T5_T6_T7_T8_P12ihipStream_tbENKUlT_T0_E_clISt17integral_constantIbLb1EES15_IbLb0EEEEDaS11_S12_EUlS11_E_NS1_11comp_targetILNS1_3genE3ELNS1_11target_archE908ELNS1_3gpuE7ELNS1_3repE0EEENS1_30default_config_static_selectorELNS0_4arch9wavefront6targetE1EEEvT1_, .Lfunc_end898-_ZN7rocprim17ROCPRIM_400000_NS6detail17trampoline_kernelINS0_14default_configENS1_29reduce_by_key_config_selectorIjyN6thrust23THRUST_200600_302600_NS4plusIyEEEEZZNS1_33reduce_by_key_impl_wrapped_configILNS1_25lookback_scan_determinismE0ES3_S9_NS6_6detail15normal_iteratorINS6_10device_ptrIjEEEENSD_INSE_IyEEEENS6_16discard_iteratorINS6_11use_defaultEEESI_PmS8_NS6_8equal_toIjEEEE10hipError_tPvRmT2_T3_mT4_T5_T6_T7_T8_P12ihipStream_tbENKUlT_T0_E_clISt17integral_constantIbLb1EES15_IbLb0EEEEDaS11_S12_EUlS11_E_NS1_11comp_targetILNS1_3genE3ELNS1_11target_archE908ELNS1_3gpuE7ELNS1_3repE0EEENS1_30default_config_static_selectorELNS0_4arch9wavefront6targetE1EEEvT1_
                                        ; -- End function
	.section	.AMDGPU.csdata,"",@progbits
; Kernel info:
; codeLenInByte = 0
; NumSgprs: 4
; NumVgprs: 0
; NumAgprs: 0
; TotalNumVgprs: 0
; ScratchSize: 0
; MemoryBound: 0
; FloatMode: 240
; IeeeMode: 1
; LDSByteSize: 0 bytes/workgroup (compile time only)
; SGPRBlocks: 0
; VGPRBlocks: 0
; NumSGPRsForWavesPerEU: 4
; NumVGPRsForWavesPerEU: 1
; AccumOffset: 4
; Occupancy: 8
; WaveLimiterHint : 0
; COMPUTE_PGM_RSRC2:SCRATCH_EN: 0
; COMPUTE_PGM_RSRC2:USER_SGPR: 6
; COMPUTE_PGM_RSRC2:TRAP_HANDLER: 0
; COMPUTE_PGM_RSRC2:TGID_X_EN: 1
; COMPUTE_PGM_RSRC2:TGID_Y_EN: 0
; COMPUTE_PGM_RSRC2:TGID_Z_EN: 0
; COMPUTE_PGM_RSRC2:TIDIG_COMP_CNT: 0
; COMPUTE_PGM_RSRC3_GFX90A:ACCUM_OFFSET: 0
; COMPUTE_PGM_RSRC3_GFX90A:TG_SPLIT: 0
	.section	.text._ZN7rocprim17ROCPRIM_400000_NS6detail17trampoline_kernelINS0_14default_configENS1_29reduce_by_key_config_selectorIjyN6thrust23THRUST_200600_302600_NS4plusIyEEEEZZNS1_33reduce_by_key_impl_wrapped_configILNS1_25lookback_scan_determinismE0ES3_S9_NS6_6detail15normal_iteratorINS6_10device_ptrIjEEEENSD_INSE_IyEEEENS6_16discard_iteratorINS6_11use_defaultEEESI_PmS8_NS6_8equal_toIjEEEE10hipError_tPvRmT2_T3_mT4_T5_T6_T7_T8_P12ihipStream_tbENKUlT_T0_E_clISt17integral_constantIbLb1EES15_IbLb0EEEEDaS11_S12_EUlS11_E_NS1_11comp_targetILNS1_3genE2ELNS1_11target_archE906ELNS1_3gpuE6ELNS1_3repE0EEENS1_30default_config_static_selectorELNS0_4arch9wavefront6targetE1EEEvT1_,"axG",@progbits,_ZN7rocprim17ROCPRIM_400000_NS6detail17trampoline_kernelINS0_14default_configENS1_29reduce_by_key_config_selectorIjyN6thrust23THRUST_200600_302600_NS4plusIyEEEEZZNS1_33reduce_by_key_impl_wrapped_configILNS1_25lookback_scan_determinismE0ES3_S9_NS6_6detail15normal_iteratorINS6_10device_ptrIjEEEENSD_INSE_IyEEEENS6_16discard_iteratorINS6_11use_defaultEEESI_PmS8_NS6_8equal_toIjEEEE10hipError_tPvRmT2_T3_mT4_T5_T6_T7_T8_P12ihipStream_tbENKUlT_T0_E_clISt17integral_constantIbLb1EES15_IbLb0EEEEDaS11_S12_EUlS11_E_NS1_11comp_targetILNS1_3genE2ELNS1_11target_archE906ELNS1_3gpuE6ELNS1_3repE0EEENS1_30default_config_static_selectorELNS0_4arch9wavefront6targetE1EEEvT1_,comdat
	.protected	_ZN7rocprim17ROCPRIM_400000_NS6detail17trampoline_kernelINS0_14default_configENS1_29reduce_by_key_config_selectorIjyN6thrust23THRUST_200600_302600_NS4plusIyEEEEZZNS1_33reduce_by_key_impl_wrapped_configILNS1_25lookback_scan_determinismE0ES3_S9_NS6_6detail15normal_iteratorINS6_10device_ptrIjEEEENSD_INSE_IyEEEENS6_16discard_iteratorINS6_11use_defaultEEESI_PmS8_NS6_8equal_toIjEEEE10hipError_tPvRmT2_T3_mT4_T5_T6_T7_T8_P12ihipStream_tbENKUlT_T0_E_clISt17integral_constantIbLb1EES15_IbLb0EEEEDaS11_S12_EUlS11_E_NS1_11comp_targetILNS1_3genE2ELNS1_11target_archE906ELNS1_3gpuE6ELNS1_3repE0EEENS1_30default_config_static_selectorELNS0_4arch9wavefront6targetE1EEEvT1_ ; -- Begin function _ZN7rocprim17ROCPRIM_400000_NS6detail17trampoline_kernelINS0_14default_configENS1_29reduce_by_key_config_selectorIjyN6thrust23THRUST_200600_302600_NS4plusIyEEEEZZNS1_33reduce_by_key_impl_wrapped_configILNS1_25lookback_scan_determinismE0ES3_S9_NS6_6detail15normal_iteratorINS6_10device_ptrIjEEEENSD_INSE_IyEEEENS6_16discard_iteratorINS6_11use_defaultEEESI_PmS8_NS6_8equal_toIjEEEE10hipError_tPvRmT2_T3_mT4_T5_T6_T7_T8_P12ihipStream_tbENKUlT_T0_E_clISt17integral_constantIbLb1EES15_IbLb0EEEEDaS11_S12_EUlS11_E_NS1_11comp_targetILNS1_3genE2ELNS1_11target_archE906ELNS1_3gpuE6ELNS1_3repE0EEENS1_30default_config_static_selectorELNS0_4arch9wavefront6targetE1EEEvT1_
	.globl	_ZN7rocprim17ROCPRIM_400000_NS6detail17trampoline_kernelINS0_14default_configENS1_29reduce_by_key_config_selectorIjyN6thrust23THRUST_200600_302600_NS4plusIyEEEEZZNS1_33reduce_by_key_impl_wrapped_configILNS1_25lookback_scan_determinismE0ES3_S9_NS6_6detail15normal_iteratorINS6_10device_ptrIjEEEENSD_INSE_IyEEEENS6_16discard_iteratorINS6_11use_defaultEEESI_PmS8_NS6_8equal_toIjEEEE10hipError_tPvRmT2_T3_mT4_T5_T6_T7_T8_P12ihipStream_tbENKUlT_T0_E_clISt17integral_constantIbLb1EES15_IbLb0EEEEDaS11_S12_EUlS11_E_NS1_11comp_targetILNS1_3genE2ELNS1_11target_archE906ELNS1_3gpuE6ELNS1_3repE0EEENS1_30default_config_static_selectorELNS0_4arch9wavefront6targetE1EEEvT1_
	.p2align	8
	.type	_ZN7rocprim17ROCPRIM_400000_NS6detail17trampoline_kernelINS0_14default_configENS1_29reduce_by_key_config_selectorIjyN6thrust23THRUST_200600_302600_NS4plusIyEEEEZZNS1_33reduce_by_key_impl_wrapped_configILNS1_25lookback_scan_determinismE0ES3_S9_NS6_6detail15normal_iteratorINS6_10device_ptrIjEEEENSD_INSE_IyEEEENS6_16discard_iteratorINS6_11use_defaultEEESI_PmS8_NS6_8equal_toIjEEEE10hipError_tPvRmT2_T3_mT4_T5_T6_T7_T8_P12ihipStream_tbENKUlT_T0_E_clISt17integral_constantIbLb1EES15_IbLb0EEEEDaS11_S12_EUlS11_E_NS1_11comp_targetILNS1_3genE2ELNS1_11target_archE906ELNS1_3gpuE6ELNS1_3repE0EEENS1_30default_config_static_selectorELNS0_4arch9wavefront6targetE1EEEvT1_,@function
_ZN7rocprim17ROCPRIM_400000_NS6detail17trampoline_kernelINS0_14default_configENS1_29reduce_by_key_config_selectorIjyN6thrust23THRUST_200600_302600_NS4plusIyEEEEZZNS1_33reduce_by_key_impl_wrapped_configILNS1_25lookback_scan_determinismE0ES3_S9_NS6_6detail15normal_iteratorINS6_10device_ptrIjEEEENSD_INSE_IyEEEENS6_16discard_iteratorINS6_11use_defaultEEESI_PmS8_NS6_8equal_toIjEEEE10hipError_tPvRmT2_T3_mT4_T5_T6_T7_T8_P12ihipStream_tbENKUlT_T0_E_clISt17integral_constantIbLb1EES15_IbLb0EEEEDaS11_S12_EUlS11_E_NS1_11comp_targetILNS1_3genE2ELNS1_11target_archE906ELNS1_3gpuE6ELNS1_3repE0EEENS1_30default_config_static_selectorELNS0_4arch9wavefront6targetE1EEEvT1_: ; @_ZN7rocprim17ROCPRIM_400000_NS6detail17trampoline_kernelINS0_14default_configENS1_29reduce_by_key_config_selectorIjyN6thrust23THRUST_200600_302600_NS4plusIyEEEEZZNS1_33reduce_by_key_impl_wrapped_configILNS1_25lookback_scan_determinismE0ES3_S9_NS6_6detail15normal_iteratorINS6_10device_ptrIjEEEENSD_INSE_IyEEEENS6_16discard_iteratorINS6_11use_defaultEEESI_PmS8_NS6_8equal_toIjEEEE10hipError_tPvRmT2_T3_mT4_T5_T6_T7_T8_P12ihipStream_tbENKUlT_T0_E_clISt17integral_constantIbLb1EES15_IbLb0EEEEDaS11_S12_EUlS11_E_NS1_11comp_targetILNS1_3genE2ELNS1_11target_archE906ELNS1_3gpuE6ELNS1_3repE0EEENS1_30default_config_static_selectorELNS0_4arch9wavefront6targetE1EEEvT1_
; %bb.0:
	.section	.rodata,"a",@progbits
	.p2align	6, 0x0
	.amdhsa_kernel _ZN7rocprim17ROCPRIM_400000_NS6detail17trampoline_kernelINS0_14default_configENS1_29reduce_by_key_config_selectorIjyN6thrust23THRUST_200600_302600_NS4plusIyEEEEZZNS1_33reduce_by_key_impl_wrapped_configILNS1_25lookback_scan_determinismE0ES3_S9_NS6_6detail15normal_iteratorINS6_10device_ptrIjEEEENSD_INSE_IyEEEENS6_16discard_iteratorINS6_11use_defaultEEESI_PmS8_NS6_8equal_toIjEEEE10hipError_tPvRmT2_T3_mT4_T5_T6_T7_T8_P12ihipStream_tbENKUlT_T0_E_clISt17integral_constantIbLb1EES15_IbLb0EEEEDaS11_S12_EUlS11_E_NS1_11comp_targetILNS1_3genE2ELNS1_11target_archE906ELNS1_3gpuE6ELNS1_3repE0EEENS1_30default_config_static_selectorELNS0_4arch9wavefront6targetE1EEEvT1_
		.amdhsa_group_segment_fixed_size 0
		.amdhsa_private_segment_fixed_size 0
		.amdhsa_kernarg_size 144
		.amdhsa_user_sgpr_count 6
		.amdhsa_user_sgpr_private_segment_buffer 1
		.amdhsa_user_sgpr_dispatch_ptr 0
		.amdhsa_user_sgpr_queue_ptr 0
		.amdhsa_user_sgpr_kernarg_segment_ptr 1
		.amdhsa_user_sgpr_dispatch_id 0
		.amdhsa_user_sgpr_flat_scratch_init 0
		.amdhsa_user_sgpr_kernarg_preload_length 0
		.amdhsa_user_sgpr_kernarg_preload_offset 0
		.amdhsa_user_sgpr_private_segment_size 0
		.amdhsa_uses_dynamic_stack 0
		.amdhsa_system_sgpr_private_segment_wavefront_offset 0
		.amdhsa_system_sgpr_workgroup_id_x 1
		.amdhsa_system_sgpr_workgroup_id_y 0
		.amdhsa_system_sgpr_workgroup_id_z 0
		.amdhsa_system_sgpr_workgroup_info 0
		.amdhsa_system_vgpr_workitem_id 0
		.amdhsa_next_free_vgpr 1
		.amdhsa_next_free_sgpr 0
		.amdhsa_accum_offset 4
		.amdhsa_reserve_vcc 0
		.amdhsa_reserve_flat_scratch 0
		.amdhsa_float_round_mode_32 0
		.amdhsa_float_round_mode_16_64 0
		.amdhsa_float_denorm_mode_32 3
		.amdhsa_float_denorm_mode_16_64 3
		.amdhsa_dx10_clamp 1
		.amdhsa_ieee_mode 1
		.amdhsa_fp16_overflow 0
		.amdhsa_tg_split 0
		.amdhsa_exception_fp_ieee_invalid_op 0
		.amdhsa_exception_fp_denorm_src 0
		.amdhsa_exception_fp_ieee_div_zero 0
		.amdhsa_exception_fp_ieee_overflow 0
		.amdhsa_exception_fp_ieee_underflow 0
		.amdhsa_exception_fp_ieee_inexact 0
		.amdhsa_exception_int_div_zero 0
	.end_amdhsa_kernel
	.section	.text._ZN7rocprim17ROCPRIM_400000_NS6detail17trampoline_kernelINS0_14default_configENS1_29reduce_by_key_config_selectorIjyN6thrust23THRUST_200600_302600_NS4plusIyEEEEZZNS1_33reduce_by_key_impl_wrapped_configILNS1_25lookback_scan_determinismE0ES3_S9_NS6_6detail15normal_iteratorINS6_10device_ptrIjEEEENSD_INSE_IyEEEENS6_16discard_iteratorINS6_11use_defaultEEESI_PmS8_NS6_8equal_toIjEEEE10hipError_tPvRmT2_T3_mT4_T5_T6_T7_T8_P12ihipStream_tbENKUlT_T0_E_clISt17integral_constantIbLb1EES15_IbLb0EEEEDaS11_S12_EUlS11_E_NS1_11comp_targetILNS1_3genE2ELNS1_11target_archE906ELNS1_3gpuE6ELNS1_3repE0EEENS1_30default_config_static_selectorELNS0_4arch9wavefront6targetE1EEEvT1_,"axG",@progbits,_ZN7rocprim17ROCPRIM_400000_NS6detail17trampoline_kernelINS0_14default_configENS1_29reduce_by_key_config_selectorIjyN6thrust23THRUST_200600_302600_NS4plusIyEEEEZZNS1_33reduce_by_key_impl_wrapped_configILNS1_25lookback_scan_determinismE0ES3_S9_NS6_6detail15normal_iteratorINS6_10device_ptrIjEEEENSD_INSE_IyEEEENS6_16discard_iteratorINS6_11use_defaultEEESI_PmS8_NS6_8equal_toIjEEEE10hipError_tPvRmT2_T3_mT4_T5_T6_T7_T8_P12ihipStream_tbENKUlT_T0_E_clISt17integral_constantIbLb1EES15_IbLb0EEEEDaS11_S12_EUlS11_E_NS1_11comp_targetILNS1_3genE2ELNS1_11target_archE906ELNS1_3gpuE6ELNS1_3repE0EEENS1_30default_config_static_selectorELNS0_4arch9wavefront6targetE1EEEvT1_,comdat
.Lfunc_end899:
	.size	_ZN7rocprim17ROCPRIM_400000_NS6detail17trampoline_kernelINS0_14default_configENS1_29reduce_by_key_config_selectorIjyN6thrust23THRUST_200600_302600_NS4plusIyEEEEZZNS1_33reduce_by_key_impl_wrapped_configILNS1_25lookback_scan_determinismE0ES3_S9_NS6_6detail15normal_iteratorINS6_10device_ptrIjEEEENSD_INSE_IyEEEENS6_16discard_iteratorINS6_11use_defaultEEESI_PmS8_NS6_8equal_toIjEEEE10hipError_tPvRmT2_T3_mT4_T5_T6_T7_T8_P12ihipStream_tbENKUlT_T0_E_clISt17integral_constantIbLb1EES15_IbLb0EEEEDaS11_S12_EUlS11_E_NS1_11comp_targetILNS1_3genE2ELNS1_11target_archE906ELNS1_3gpuE6ELNS1_3repE0EEENS1_30default_config_static_selectorELNS0_4arch9wavefront6targetE1EEEvT1_, .Lfunc_end899-_ZN7rocprim17ROCPRIM_400000_NS6detail17trampoline_kernelINS0_14default_configENS1_29reduce_by_key_config_selectorIjyN6thrust23THRUST_200600_302600_NS4plusIyEEEEZZNS1_33reduce_by_key_impl_wrapped_configILNS1_25lookback_scan_determinismE0ES3_S9_NS6_6detail15normal_iteratorINS6_10device_ptrIjEEEENSD_INSE_IyEEEENS6_16discard_iteratorINS6_11use_defaultEEESI_PmS8_NS6_8equal_toIjEEEE10hipError_tPvRmT2_T3_mT4_T5_T6_T7_T8_P12ihipStream_tbENKUlT_T0_E_clISt17integral_constantIbLb1EES15_IbLb0EEEEDaS11_S12_EUlS11_E_NS1_11comp_targetILNS1_3genE2ELNS1_11target_archE906ELNS1_3gpuE6ELNS1_3repE0EEENS1_30default_config_static_selectorELNS0_4arch9wavefront6targetE1EEEvT1_
                                        ; -- End function
	.section	.AMDGPU.csdata,"",@progbits
; Kernel info:
; codeLenInByte = 0
; NumSgprs: 4
; NumVgprs: 0
; NumAgprs: 0
; TotalNumVgprs: 0
; ScratchSize: 0
; MemoryBound: 0
; FloatMode: 240
; IeeeMode: 1
; LDSByteSize: 0 bytes/workgroup (compile time only)
; SGPRBlocks: 0
; VGPRBlocks: 0
; NumSGPRsForWavesPerEU: 4
; NumVGPRsForWavesPerEU: 1
; AccumOffset: 4
; Occupancy: 8
; WaveLimiterHint : 0
; COMPUTE_PGM_RSRC2:SCRATCH_EN: 0
; COMPUTE_PGM_RSRC2:USER_SGPR: 6
; COMPUTE_PGM_RSRC2:TRAP_HANDLER: 0
; COMPUTE_PGM_RSRC2:TGID_X_EN: 1
; COMPUTE_PGM_RSRC2:TGID_Y_EN: 0
; COMPUTE_PGM_RSRC2:TGID_Z_EN: 0
; COMPUTE_PGM_RSRC2:TIDIG_COMP_CNT: 0
; COMPUTE_PGM_RSRC3_GFX90A:ACCUM_OFFSET: 0
; COMPUTE_PGM_RSRC3_GFX90A:TG_SPLIT: 0
	.section	.text._ZN7rocprim17ROCPRIM_400000_NS6detail17trampoline_kernelINS0_14default_configENS1_29reduce_by_key_config_selectorIjyN6thrust23THRUST_200600_302600_NS4plusIyEEEEZZNS1_33reduce_by_key_impl_wrapped_configILNS1_25lookback_scan_determinismE0ES3_S9_NS6_6detail15normal_iteratorINS6_10device_ptrIjEEEENSD_INSE_IyEEEENS6_16discard_iteratorINS6_11use_defaultEEESI_PmS8_NS6_8equal_toIjEEEE10hipError_tPvRmT2_T3_mT4_T5_T6_T7_T8_P12ihipStream_tbENKUlT_T0_E_clISt17integral_constantIbLb1EES15_IbLb0EEEEDaS11_S12_EUlS11_E_NS1_11comp_targetILNS1_3genE10ELNS1_11target_archE1201ELNS1_3gpuE5ELNS1_3repE0EEENS1_30default_config_static_selectorELNS0_4arch9wavefront6targetE1EEEvT1_,"axG",@progbits,_ZN7rocprim17ROCPRIM_400000_NS6detail17trampoline_kernelINS0_14default_configENS1_29reduce_by_key_config_selectorIjyN6thrust23THRUST_200600_302600_NS4plusIyEEEEZZNS1_33reduce_by_key_impl_wrapped_configILNS1_25lookback_scan_determinismE0ES3_S9_NS6_6detail15normal_iteratorINS6_10device_ptrIjEEEENSD_INSE_IyEEEENS6_16discard_iteratorINS6_11use_defaultEEESI_PmS8_NS6_8equal_toIjEEEE10hipError_tPvRmT2_T3_mT4_T5_T6_T7_T8_P12ihipStream_tbENKUlT_T0_E_clISt17integral_constantIbLb1EES15_IbLb0EEEEDaS11_S12_EUlS11_E_NS1_11comp_targetILNS1_3genE10ELNS1_11target_archE1201ELNS1_3gpuE5ELNS1_3repE0EEENS1_30default_config_static_selectorELNS0_4arch9wavefront6targetE1EEEvT1_,comdat
	.protected	_ZN7rocprim17ROCPRIM_400000_NS6detail17trampoline_kernelINS0_14default_configENS1_29reduce_by_key_config_selectorIjyN6thrust23THRUST_200600_302600_NS4plusIyEEEEZZNS1_33reduce_by_key_impl_wrapped_configILNS1_25lookback_scan_determinismE0ES3_S9_NS6_6detail15normal_iteratorINS6_10device_ptrIjEEEENSD_INSE_IyEEEENS6_16discard_iteratorINS6_11use_defaultEEESI_PmS8_NS6_8equal_toIjEEEE10hipError_tPvRmT2_T3_mT4_T5_T6_T7_T8_P12ihipStream_tbENKUlT_T0_E_clISt17integral_constantIbLb1EES15_IbLb0EEEEDaS11_S12_EUlS11_E_NS1_11comp_targetILNS1_3genE10ELNS1_11target_archE1201ELNS1_3gpuE5ELNS1_3repE0EEENS1_30default_config_static_selectorELNS0_4arch9wavefront6targetE1EEEvT1_ ; -- Begin function _ZN7rocprim17ROCPRIM_400000_NS6detail17trampoline_kernelINS0_14default_configENS1_29reduce_by_key_config_selectorIjyN6thrust23THRUST_200600_302600_NS4plusIyEEEEZZNS1_33reduce_by_key_impl_wrapped_configILNS1_25lookback_scan_determinismE0ES3_S9_NS6_6detail15normal_iteratorINS6_10device_ptrIjEEEENSD_INSE_IyEEEENS6_16discard_iteratorINS6_11use_defaultEEESI_PmS8_NS6_8equal_toIjEEEE10hipError_tPvRmT2_T3_mT4_T5_T6_T7_T8_P12ihipStream_tbENKUlT_T0_E_clISt17integral_constantIbLb1EES15_IbLb0EEEEDaS11_S12_EUlS11_E_NS1_11comp_targetILNS1_3genE10ELNS1_11target_archE1201ELNS1_3gpuE5ELNS1_3repE0EEENS1_30default_config_static_selectorELNS0_4arch9wavefront6targetE1EEEvT1_
	.globl	_ZN7rocprim17ROCPRIM_400000_NS6detail17trampoline_kernelINS0_14default_configENS1_29reduce_by_key_config_selectorIjyN6thrust23THRUST_200600_302600_NS4plusIyEEEEZZNS1_33reduce_by_key_impl_wrapped_configILNS1_25lookback_scan_determinismE0ES3_S9_NS6_6detail15normal_iteratorINS6_10device_ptrIjEEEENSD_INSE_IyEEEENS6_16discard_iteratorINS6_11use_defaultEEESI_PmS8_NS6_8equal_toIjEEEE10hipError_tPvRmT2_T3_mT4_T5_T6_T7_T8_P12ihipStream_tbENKUlT_T0_E_clISt17integral_constantIbLb1EES15_IbLb0EEEEDaS11_S12_EUlS11_E_NS1_11comp_targetILNS1_3genE10ELNS1_11target_archE1201ELNS1_3gpuE5ELNS1_3repE0EEENS1_30default_config_static_selectorELNS0_4arch9wavefront6targetE1EEEvT1_
	.p2align	8
	.type	_ZN7rocprim17ROCPRIM_400000_NS6detail17trampoline_kernelINS0_14default_configENS1_29reduce_by_key_config_selectorIjyN6thrust23THRUST_200600_302600_NS4plusIyEEEEZZNS1_33reduce_by_key_impl_wrapped_configILNS1_25lookback_scan_determinismE0ES3_S9_NS6_6detail15normal_iteratorINS6_10device_ptrIjEEEENSD_INSE_IyEEEENS6_16discard_iteratorINS6_11use_defaultEEESI_PmS8_NS6_8equal_toIjEEEE10hipError_tPvRmT2_T3_mT4_T5_T6_T7_T8_P12ihipStream_tbENKUlT_T0_E_clISt17integral_constantIbLb1EES15_IbLb0EEEEDaS11_S12_EUlS11_E_NS1_11comp_targetILNS1_3genE10ELNS1_11target_archE1201ELNS1_3gpuE5ELNS1_3repE0EEENS1_30default_config_static_selectorELNS0_4arch9wavefront6targetE1EEEvT1_,@function
_ZN7rocprim17ROCPRIM_400000_NS6detail17trampoline_kernelINS0_14default_configENS1_29reduce_by_key_config_selectorIjyN6thrust23THRUST_200600_302600_NS4plusIyEEEEZZNS1_33reduce_by_key_impl_wrapped_configILNS1_25lookback_scan_determinismE0ES3_S9_NS6_6detail15normal_iteratorINS6_10device_ptrIjEEEENSD_INSE_IyEEEENS6_16discard_iteratorINS6_11use_defaultEEESI_PmS8_NS6_8equal_toIjEEEE10hipError_tPvRmT2_T3_mT4_T5_T6_T7_T8_P12ihipStream_tbENKUlT_T0_E_clISt17integral_constantIbLb1EES15_IbLb0EEEEDaS11_S12_EUlS11_E_NS1_11comp_targetILNS1_3genE10ELNS1_11target_archE1201ELNS1_3gpuE5ELNS1_3repE0EEENS1_30default_config_static_selectorELNS0_4arch9wavefront6targetE1EEEvT1_: ; @_ZN7rocprim17ROCPRIM_400000_NS6detail17trampoline_kernelINS0_14default_configENS1_29reduce_by_key_config_selectorIjyN6thrust23THRUST_200600_302600_NS4plusIyEEEEZZNS1_33reduce_by_key_impl_wrapped_configILNS1_25lookback_scan_determinismE0ES3_S9_NS6_6detail15normal_iteratorINS6_10device_ptrIjEEEENSD_INSE_IyEEEENS6_16discard_iteratorINS6_11use_defaultEEESI_PmS8_NS6_8equal_toIjEEEE10hipError_tPvRmT2_T3_mT4_T5_T6_T7_T8_P12ihipStream_tbENKUlT_T0_E_clISt17integral_constantIbLb1EES15_IbLb0EEEEDaS11_S12_EUlS11_E_NS1_11comp_targetILNS1_3genE10ELNS1_11target_archE1201ELNS1_3gpuE5ELNS1_3repE0EEENS1_30default_config_static_selectorELNS0_4arch9wavefront6targetE1EEEvT1_
; %bb.0:
	.section	.rodata,"a",@progbits
	.p2align	6, 0x0
	.amdhsa_kernel _ZN7rocprim17ROCPRIM_400000_NS6detail17trampoline_kernelINS0_14default_configENS1_29reduce_by_key_config_selectorIjyN6thrust23THRUST_200600_302600_NS4plusIyEEEEZZNS1_33reduce_by_key_impl_wrapped_configILNS1_25lookback_scan_determinismE0ES3_S9_NS6_6detail15normal_iteratorINS6_10device_ptrIjEEEENSD_INSE_IyEEEENS6_16discard_iteratorINS6_11use_defaultEEESI_PmS8_NS6_8equal_toIjEEEE10hipError_tPvRmT2_T3_mT4_T5_T6_T7_T8_P12ihipStream_tbENKUlT_T0_E_clISt17integral_constantIbLb1EES15_IbLb0EEEEDaS11_S12_EUlS11_E_NS1_11comp_targetILNS1_3genE10ELNS1_11target_archE1201ELNS1_3gpuE5ELNS1_3repE0EEENS1_30default_config_static_selectorELNS0_4arch9wavefront6targetE1EEEvT1_
		.amdhsa_group_segment_fixed_size 0
		.amdhsa_private_segment_fixed_size 0
		.amdhsa_kernarg_size 144
		.amdhsa_user_sgpr_count 6
		.amdhsa_user_sgpr_private_segment_buffer 1
		.amdhsa_user_sgpr_dispatch_ptr 0
		.amdhsa_user_sgpr_queue_ptr 0
		.amdhsa_user_sgpr_kernarg_segment_ptr 1
		.amdhsa_user_sgpr_dispatch_id 0
		.amdhsa_user_sgpr_flat_scratch_init 0
		.amdhsa_user_sgpr_kernarg_preload_length 0
		.amdhsa_user_sgpr_kernarg_preload_offset 0
		.amdhsa_user_sgpr_private_segment_size 0
		.amdhsa_uses_dynamic_stack 0
		.amdhsa_system_sgpr_private_segment_wavefront_offset 0
		.amdhsa_system_sgpr_workgroup_id_x 1
		.amdhsa_system_sgpr_workgroup_id_y 0
		.amdhsa_system_sgpr_workgroup_id_z 0
		.amdhsa_system_sgpr_workgroup_info 0
		.amdhsa_system_vgpr_workitem_id 0
		.amdhsa_next_free_vgpr 1
		.amdhsa_next_free_sgpr 0
		.amdhsa_accum_offset 4
		.amdhsa_reserve_vcc 0
		.amdhsa_reserve_flat_scratch 0
		.amdhsa_float_round_mode_32 0
		.amdhsa_float_round_mode_16_64 0
		.amdhsa_float_denorm_mode_32 3
		.amdhsa_float_denorm_mode_16_64 3
		.amdhsa_dx10_clamp 1
		.amdhsa_ieee_mode 1
		.amdhsa_fp16_overflow 0
		.amdhsa_tg_split 0
		.amdhsa_exception_fp_ieee_invalid_op 0
		.amdhsa_exception_fp_denorm_src 0
		.amdhsa_exception_fp_ieee_div_zero 0
		.amdhsa_exception_fp_ieee_overflow 0
		.amdhsa_exception_fp_ieee_underflow 0
		.amdhsa_exception_fp_ieee_inexact 0
		.amdhsa_exception_int_div_zero 0
	.end_amdhsa_kernel
	.section	.text._ZN7rocprim17ROCPRIM_400000_NS6detail17trampoline_kernelINS0_14default_configENS1_29reduce_by_key_config_selectorIjyN6thrust23THRUST_200600_302600_NS4plusIyEEEEZZNS1_33reduce_by_key_impl_wrapped_configILNS1_25lookback_scan_determinismE0ES3_S9_NS6_6detail15normal_iteratorINS6_10device_ptrIjEEEENSD_INSE_IyEEEENS6_16discard_iteratorINS6_11use_defaultEEESI_PmS8_NS6_8equal_toIjEEEE10hipError_tPvRmT2_T3_mT4_T5_T6_T7_T8_P12ihipStream_tbENKUlT_T0_E_clISt17integral_constantIbLb1EES15_IbLb0EEEEDaS11_S12_EUlS11_E_NS1_11comp_targetILNS1_3genE10ELNS1_11target_archE1201ELNS1_3gpuE5ELNS1_3repE0EEENS1_30default_config_static_selectorELNS0_4arch9wavefront6targetE1EEEvT1_,"axG",@progbits,_ZN7rocprim17ROCPRIM_400000_NS6detail17trampoline_kernelINS0_14default_configENS1_29reduce_by_key_config_selectorIjyN6thrust23THRUST_200600_302600_NS4plusIyEEEEZZNS1_33reduce_by_key_impl_wrapped_configILNS1_25lookback_scan_determinismE0ES3_S9_NS6_6detail15normal_iteratorINS6_10device_ptrIjEEEENSD_INSE_IyEEEENS6_16discard_iteratorINS6_11use_defaultEEESI_PmS8_NS6_8equal_toIjEEEE10hipError_tPvRmT2_T3_mT4_T5_T6_T7_T8_P12ihipStream_tbENKUlT_T0_E_clISt17integral_constantIbLb1EES15_IbLb0EEEEDaS11_S12_EUlS11_E_NS1_11comp_targetILNS1_3genE10ELNS1_11target_archE1201ELNS1_3gpuE5ELNS1_3repE0EEENS1_30default_config_static_selectorELNS0_4arch9wavefront6targetE1EEEvT1_,comdat
.Lfunc_end900:
	.size	_ZN7rocprim17ROCPRIM_400000_NS6detail17trampoline_kernelINS0_14default_configENS1_29reduce_by_key_config_selectorIjyN6thrust23THRUST_200600_302600_NS4plusIyEEEEZZNS1_33reduce_by_key_impl_wrapped_configILNS1_25lookback_scan_determinismE0ES3_S9_NS6_6detail15normal_iteratorINS6_10device_ptrIjEEEENSD_INSE_IyEEEENS6_16discard_iteratorINS6_11use_defaultEEESI_PmS8_NS6_8equal_toIjEEEE10hipError_tPvRmT2_T3_mT4_T5_T6_T7_T8_P12ihipStream_tbENKUlT_T0_E_clISt17integral_constantIbLb1EES15_IbLb0EEEEDaS11_S12_EUlS11_E_NS1_11comp_targetILNS1_3genE10ELNS1_11target_archE1201ELNS1_3gpuE5ELNS1_3repE0EEENS1_30default_config_static_selectorELNS0_4arch9wavefront6targetE1EEEvT1_, .Lfunc_end900-_ZN7rocprim17ROCPRIM_400000_NS6detail17trampoline_kernelINS0_14default_configENS1_29reduce_by_key_config_selectorIjyN6thrust23THRUST_200600_302600_NS4plusIyEEEEZZNS1_33reduce_by_key_impl_wrapped_configILNS1_25lookback_scan_determinismE0ES3_S9_NS6_6detail15normal_iteratorINS6_10device_ptrIjEEEENSD_INSE_IyEEEENS6_16discard_iteratorINS6_11use_defaultEEESI_PmS8_NS6_8equal_toIjEEEE10hipError_tPvRmT2_T3_mT4_T5_T6_T7_T8_P12ihipStream_tbENKUlT_T0_E_clISt17integral_constantIbLb1EES15_IbLb0EEEEDaS11_S12_EUlS11_E_NS1_11comp_targetILNS1_3genE10ELNS1_11target_archE1201ELNS1_3gpuE5ELNS1_3repE0EEENS1_30default_config_static_selectorELNS0_4arch9wavefront6targetE1EEEvT1_
                                        ; -- End function
	.section	.AMDGPU.csdata,"",@progbits
; Kernel info:
; codeLenInByte = 0
; NumSgprs: 4
; NumVgprs: 0
; NumAgprs: 0
; TotalNumVgprs: 0
; ScratchSize: 0
; MemoryBound: 0
; FloatMode: 240
; IeeeMode: 1
; LDSByteSize: 0 bytes/workgroup (compile time only)
; SGPRBlocks: 0
; VGPRBlocks: 0
; NumSGPRsForWavesPerEU: 4
; NumVGPRsForWavesPerEU: 1
; AccumOffset: 4
; Occupancy: 8
; WaveLimiterHint : 0
; COMPUTE_PGM_RSRC2:SCRATCH_EN: 0
; COMPUTE_PGM_RSRC2:USER_SGPR: 6
; COMPUTE_PGM_RSRC2:TRAP_HANDLER: 0
; COMPUTE_PGM_RSRC2:TGID_X_EN: 1
; COMPUTE_PGM_RSRC2:TGID_Y_EN: 0
; COMPUTE_PGM_RSRC2:TGID_Z_EN: 0
; COMPUTE_PGM_RSRC2:TIDIG_COMP_CNT: 0
; COMPUTE_PGM_RSRC3_GFX90A:ACCUM_OFFSET: 0
; COMPUTE_PGM_RSRC3_GFX90A:TG_SPLIT: 0
	.section	.text._ZN7rocprim17ROCPRIM_400000_NS6detail17trampoline_kernelINS0_14default_configENS1_29reduce_by_key_config_selectorIjyN6thrust23THRUST_200600_302600_NS4plusIyEEEEZZNS1_33reduce_by_key_impl_wrapped_configILNS1_25lookback_scan_determinismE0ES3_S9_NS6_6detail15normal_iteratorINS6_10device_ptrIjEEEENSD_INSE_IyEEEENS6_16discard_iteratorINS6_11use_defaultEEESI_PmS8_NS6_8equal_toIjEEEE10hipError_tPvRmT2_T3_mT4_T5_T6_T7_T8_P12ihipStream_tbENKUlT_T0_E_clISt17integral_constantIbLb1EES15_IbLb0EEEEDaS11_S12_EUlS11_E_NS1_11comp_targetILNS1_3genE10ELNS1_11target_archE1200ELNS1_3gpuE4ELNS1_3repE0EEENS1_30default_config_static_selectorELNS0_4arch9wavefront6targetE1EEEvT1_,"axG",@progbits,_ZN7rocprim17ROCPRIM_400000_NS6detail17trampoline_kernelINS0_14default_configENS1_29reduce_by_key_config_selectorIjyN6thrust23THRUST_200600_302600_NS4plusIyEEEEZZNS1_33reduce_by_key_impl_wrapped_configILNS1_25lookback_scan_determinismE0ES3_S9_NS6_6detail15normal_iteratorINS6_10device_ptrIjEEEENSD_INSE_IyEEEENS6_16discard_iteratorINS6_11use_defaultEEESI_PmS8_NS6_8equal_toIjEEEE10hipError_tPvRmT2_T3_mT4_T5_T6_T7_T8_P12ihipStream_tbENKUlT_T0_E_clISt17integral_constantIbLb1EES15_IbLb0EEEEDaS11_S12_EUlS11_E_NS1_11comp_targetILNS1_3genE10ELNS1_11target_archE1200ELNS1_3gpuE4ELNS1_3repE0EEENS1_30default_config_static_selectorELNS0_4arch9wavefront6targetE1EEEvT1_,comdat
	.protected	_ZN7rocprim17ROCPRIM_400000_NS6detail17trampoline_kernelINS0_14default_configENS1_29reduce_by_key_config_selectorIjyN6thrust23THRUST_200600_302600_NS4plusIyEEEEZZNS1_33reduce_by_key_impl_wrapped_configILNS1_25lookback_scan_determinismE0ES3_S9_NS6_6detail15normal_iteratorINS6_10device_ptrIjEEEENSD_INSE_IyEEEENS6_16discard_iteratorINS6_11use_defaultEEESI_PmS8_NS6_8equal_toIjEEEE10hipError_tPvRmT2_T3_mT4_T5_T6_T7_T8_P12ihipStream_tbENKUlT_T0_E_clISt17integral_constantIbLb1EES15_IbLb0EEEEDaS11_S12_EUlS11_E_NS1_11comp_targetILNS1_3genE10ELNS1_11target_archE1200ELNS1_3gpuE4ELNS1_3repE0EEENS1_30default_config_static_selectorELNS0_4arch9wavefront6targetE1EEEvT1_ ; -- Begin function _ZN7rocprim17ROCPRIM_400000_NS6detail17trampoline_kernelINS0_14default_configENS1_29reduce_by_key_config_selectorIjyN6thrust23THRUST_200600_302600_NS4plusIyEEEEZZNS1_33reduce_by_key_impl_wrapped_configILNS1_25lookback_scan_determinismE0ES3_S9_NS6_6detail15normal_iteratorINS6_10device_ptrIjEEEENSD_INSE_IyEEEENS6_16discard_iteratorINS6_11use_defaultEEESI_PmS8_NS6_8equal_toIjEEEE10hipError_tPvRmT2_T3_mT4_T5_T6_T7_T8_P12ihipStream_tbENKUlT_T0_E_clISt17integral_constantIbLb1EES15_IbLb0EEEEDaS11_S12_EUlS11_E_NS1_11comp_targetILNS1_3genE10ELNS1_11target_archE1200ELNS1_3gpuE4ELNS1_3repE0EEENS1_30default_config_static_selectorELNS0_4arch9wavefront6targetE1EEEvT1_
	.globl	_ZN7rocprim17ROCPRIM_400000_NS6detail17trampoline_kernelINS0_14default_configENS1_29reduce_by_key_config_selectorIjyN6thrust23THRUST_200600_302600_NS4plusIyEEEEZZNS1_33reduce_by_key_impl_wrapped_configILNS1_25lookback_scan_determinismE0ES3_S9_NS6_6detail15normal_iteratorINS6_10device_ptrIjEEEENSD_INSE_IyEEEENS6_16discard_iteratorINS6_11use_defaultEEESI_PmS8_NS6_8equal_toIjEEEE10hipError_tPvRmT2_T3_mT4_T5_T6_T7_T8_P12ihipStream_tbENKUlT_T0_E_clISt17integral_constantIbLb1EES15_IbLb0EEEEDaS11_S12_EUlS11_E_NS1_11comp_targetILNS1_3genE10ELNS1_11target_archE1200ELNS1_3gpuE4ELNS1_3repE0EEENS1_30default_config_static_selectorELNS0_4arch9wavefront6targetE1EEEvT1_
	.p2align	8
	.type	_ZN7rocprim17ROCPRIM_400000_NS6detail17trampoline_kernelINS0_14default_configENS1_29reduce_by_key_config_selectorIjyN6thrust23THRUST_200600_302600_NS4plusIyEEEEZZNS1_33reduce_by_key_impl_wrapped_configILNS1_25lookback_scan_determinismE0ES3_S9_NS6_6detail15normal_iteratorINS6_10device_ptrIjEEEENSD_INSE_IyEEEENS6_16discard_iteratorINS6_11use_defaultEEESI_PmS8_NS6_8equal_toIjEEEE10hipError_tPvRmT2_T3_mT4_T5_T6_T7_T8_P12ihipStream_tbENKUlT_T0_E_clISt17integral_constantIbLb1EES15_IbLb0EEEEDaS11_S12_EUlS11_E_NS1_11comp_targetILNS1_3genE10ELNS1_11target_archE1200ELNS1_3gpuE4ELNS1_3repE0EEENS1_30default_config_static_selectorELNS0_4arch9wavefront6targetE1EEEvT1_,@function
_ZN7rocprim17ROCPRIM_400000_NS6detail17trampoline_kernelINS0_14default_configENS1_29reduce_by_key_config_selectorIjyN6thrust23THRUST_200600_302600_NS4plusIyEEEEZZNS1_33reduce_by_key_impl_wrapped_configILNS1_25lookback_scan_determinismE0ES3_S9_NS6_6detail15normal_iteratorINS6_10device_ptrIjEEEENSD_INSE_IyEEEENS6_16discard_iteratorINS6_11use_defaultEEESI_PmS8_NS6_8equal_toIjEEEE10hipError_tPvRmT2_T3_mT4_T5_T6_T7_T8_P12ihipStream_tbENKUlT_T0_E_clISt17integral_constantIbLb1EES15_IbLb0EEEEDaS11_S12_EUlS11_E_NS1_11comp_targetILNS1_3genE10ELNS1_11target_archE1200ELNS1_3gpuE4ELNS1_3repE0EEENS1_30default_config_static_selectorELNS0_4arch9wavefront6targetE1EEEvT1_: ; @_ZN7rocprim17ROCPRIM_400000_NS6detail17trampoline_kernelINS0_14default_configENS1_29reduce_by_key_config_selectorIjyN6thrust23THRUST_200600_302600_NS4plusIyEEEEZZNS1_33reduce_by_key_impl_wrapped_configILNS1_25lookback_scan_determinismE0ES3_S9_NS6_6detail15normal_iteratorINS6_10device_ptrIjEEEENSD_INSE_IyEEEENS6_16discard_iteratorINS6_11use_defaultEEESI_PmS8_NS6_8equal_toIjEEEE10hipError_tPvRmT2_T3_mT4_T5_T6_T7_T8_P12ihipStream_tbENKUlT_T0_E_clISt17integral_constantIbLb1EES15_IbLb0EEEEDaS11_S12_EUlS11_E_NS1_11comp_targetILNS1_3genE10ELNS1_11target_archE1200ELNS1_3gpuE4ELNS1_3repE0EEENS1_30default_config_static_selectorELNS0_4arch9wavefront6targetE1EEEvT1_
; %bb.0:
	.section	.rodata,"a",@progbits
	.p2align	6, 0x0
	.amdhsa_kernel _ZN7rocprim17ROCPRIM_400000_NS6detail17trampoline_kernelINS0_14default_configENS1_29reduce_by_key_config_selectorIjyN6thrust23THRUST_200600_302600_NS4plusIyEEEEZZNS1_33reduce_by_key_impl_wrapped_configILNS1_25lookback_scan_determinismE0ES3_S9_NS6_6detail15normal_iteratorINS6_10device_ptrIjEEEENSD_INSE_IyEEEENS6_16discard_iteratorINS6_11use_defaultEEESI_PmS8_NS6_8equal_toIjEEEE10hipError_tPvRmT2_T3_mT4_T5_T6_T7_T8_P12ihipStream_tbENKUlT_T0_E_clISt17integral_constantIbLb1EES15_IbLb0EEEEDaS11_S12_EUlS11_E_NS1_11comp_targetILNS1_3genE10ELNS1_11target_archE1200ELNS1_3gpuE4ELNS1_3repE0EEENS1_30default_config_static_selectorELNS0_4arch9wavefront6targetE1EEEvT1_
		.amdhsa_group_segment_fixed_size 0
		.amdhsa_private_segment_fixed_size 0
		.amdhsa_kernarg_size 144
		.amdhsa_user_sgpr_count 6
		.amdhsa_user_sgpr_private_segment_buffer 1
		.amdhsa_user_sgpr_dispatch_ptr 0
		.amdhsa_user_sgpr_queue_ptr 0
		.amdhsa_user_sgpr_kernarg_segment_ptr 1
		.amdhsa_user_sgpr_dispatch_id 0
		.amdhsa_user_sgpr_flat_scratch_init 0
		.amdhsa_user_sgpr_kernarg_preload_length 0
		.amdhsa_user_sgpr_kernarg_preload_offset 0
		.amdhsa_user_sgpr_private_segment_size 0
		.amdhsa_uses_dynamic_stack 0
		.amdhsa_system_sgpr_private_segment_wavefront_offset 0
		.amdhsa_system_sgpr_workgroup_id_x 1
		.amdhsa_system_sgpr_workgroup_id_y 0
		.amdhsa_system_sgpr_workgroup_id_z 0
		.amdhsa_system_sgpr_workgroup_info 0
		.amdhsa_system_vgpr_workitem_id 0
		.amdhsa_next_free_vgpr 1
		.amdhsa_next_free_sgpr 0
		.amdhsa_accum_offset 4
		.amdhsa_reserve_vcc 0
		.amdhsa_reserve_flat_scratch 0
		.amdhsa_float_round_mode_32 0
		.amdhsa_float_round_mode_16_64 0
		.amdhsa_float_denorm_mode_32 3
		.amdhsa_float_denorm_mode_16_64 3
		.amdhsa_dx10_clamp 1
		.amdhsa_ieee_mode 1
		.amdhsa_fp16_overflow 0
		.amdhsa_tg_split 0
		.amdhsa_exception_fp_ieee_invalid_op 0
		.amdhsa_exception_fp_denorm_src 0
		.amdhsa_exception_fp_ieee_div_zero 0
		.amdhsa_exception_fp_ieee_overflow 0
		.amdhsa_exception_fp_ieee_underflow 0
		.amdhsa_exception_fp_ieee_inexact 0
		.amdhsa_exception_int_div_zero 0
	.end_amdhsa_kernel
	.section	.text._ZN7rocprim17ROCPRIM_400000_NS6detail17trampoline_kernelINS0_14default_configENS1_29reduce_by_key_config_selectorIjyN6thrust23THRUST_200600_302600_NS4plusIyEEEEZZNS1_33reduce_by_key_impl_wrapped_configILNS1_25lookback_scan_determinismE0ES3_S9_NS6_6detail15normal_iteratorINS6_10device_ptrIjEEEENSD_INSE_IyEEEENS6_16discard_iteratorINS6_11use_defaultEEESI_PmS8_NS6_8equal_toIjEEEE10hipError_tPvRmT2_T3_mT4_T5_T6_T7_T8_P12ihipStream_tbENKUlT_T0_E_clISt17integral_constantIbLb1EES15_IbLb0EEEEDaS11_S12_EUlS11_E_NS1_11comp_targetILNS1_3genE10ELNS1_11target_archE1200ELNS1_3gpuE4ELNS1_3repE0EEENS1_30default_config_static_selectorELNS0_4arch9wavefront6targetE1EEEvT1_,"axG",@progbits,_ZN7rocprim17ROCPRIM_400000_NS6detail17trampoline_kernelINS0_14default_configENS1_29reduce_by_key_config_selectorIjyN6thrust23THRUST_200600_302600_NS4plusIyEEEEZZNS1_33reduce_by_key_impl_wrapped_configILNS1_25lookback_scan_determinismE0ES3_S9_NS6_6detail15normal_iteratorINS6_10device_ptrIjEEEENSD_INSE_IyEEEENS6_16discard_iteratorINS6_11use_defaultEEESI_PmS8_NS6_8equal_toIjEEEE10hipError_tPvRmT2_T3_mT4_T5_T6_T7_T8_P12ihipStream_tbENKUlT_T0_E_clISt17integral_constantIbLb1EES15_IbLb0EEEEDaS11_S12_EUlS11_E_NS1_11comp_targetILNS1_3genE10ELNS1_11target_archE1200ELNS1_3gpuE4ELNS1_3repE0EEENS1_30default_config_static_selectorELNS0_4arch9wavefront6targetE1EEEvT1_,comdat
.Lfunc_end901:
	.size	_ZN7rocprim17ROCPRIM_400000_NS6detail17trampoline_kernelINS0_14default_configENS1_29reduce_by_key_config_selectorIjyN6thrust23THRUST_200600_302600_NS4plusIyEEEEZZNS1_33reduce_by_key_impl_wrapped_configILNS1_25lookback_scan_determinismE0ES3_S9_NS6_6detail15normal_iteratorINS6_10device_ptrIjEEEENSD_INSE_IyEEEENS6_16discard_iteratorINS6_11use_defaultEEESI_PmS8_NS6_8equal_toIjEEEE10hipError_tPvRmT2_T3_mT4_T5_T6_T7_T8_P12ihipStream_tbENKUlT_T0_E_clISt17integral_constantIbLb1EES15_IbLb0EEEEDaS11_S12_EUlS11_E_NS1_11comp_targetILNS1_3genE10ELNS1_11target_archE1200ELNS1_3gpuE4ELNS1_3repE0EEENS1_30default_config_static_selectorELNS0_4arch9wavefront6targetE1EEEvT1_, .Lfunc_end901-_ZN7rocprim17ROCPRIM_400000_NS6detail17trampoline_kernelINS0_14default_configENS1_29reduce_by_key_config_selectorIjyN6thrust23THRUST_200600_302600_NS4plusIyEEEEZZNS1_33reduce_by_key_impl_wrapped_configILNS1_25lookback_scan_determinismE0ES3_S9_NS6_6detail15normal_iteratorINS6_10device_ptrIjEEEENSD_INSE_IyEEEENS6_16discard_iteratorINS6_11use_defaultEEESI_PmS8_NS6_8equal_toIjEEEE10hipError_tPvRmT2_T3_mT4_T5_T6_T7_T8_P12ihipStream_tbENKUlT_T0_E_clISt17integral_constantIbLb1EES15_IbLb0EEEEDaS11_S12_EUlS11_E_NS1_11comp_targetILNS1_3genE10ELNS1_11target_archE1200ELNS1_3gpuE4ELNS1_3repE0EEENS1_30default_config_static_selectorELNS0_4arch9wavefront6targetE1EEEvT1_
                                        ; -- End function
	.section	.AMDGPU.csdata,"",@progbits
; Kernel info:
; codeLenInByte = 0
; NumSgprs: 4
; NumVgprs: 0
; NumAgprs: 0
; TotalNumVgprs: 0
; ScratchSize: 0
; MemoryBound: 0
; FloatMode: 240
; IeeeMode: 1
; LDSByteSize: 0 bytes/workgroup (compile time only)
; SGPRBlocks: 0
; VGPRBlocks: 0
; NumSGPRsForWavesPerEU: 4
; NumVGPRsForWavesPerEU: 1
; AccumOffset: 4
; Occupancy: 8
; WaveLimiterHint : 0
; COMPUTE_PGM_RSRC2:SCRATCH_EN: 0
; COMPUTE_PGM_RSRC2:USER_SGPR: 6
; COMPUTE_PGM_RSRC2:TRAP_HANDLER: 0
; COMPUTE_PGM_RSRC2:TGID_X_EN: 1
; COMPUTE_PGM_RSRC2:TGID_Y_EN: 0
; COMPUTE_PGM_RSRC2:TGID_Z_EN: 0
; COMPUTE_PGM_RSRC2:TIDIG_COMP_CNT: 0
; COMPUTE_PGM_RSRC3_GFX90A:ACCUM_OFFSET: 0
; COMPUTE_PGM_RSRC3_GFX90A:TG_SPLIT: 0
	.section	.text._ZN7rocprim17ROCPRIM_400000_NS6detail17trampoline_kernelINS0_14default_configENS1_29reduce_by_key_config_selectorIjyN6thrust23THRUST_200600_302600_NS4plusIyEEEEZZNS1_33reduce_by_key_impl_wrapped_configILNS1_25lookback_scan_determinismE0ES3_S9_NS6_6detail15normal_iteratorINS6_10device_ptrIjEEEENSD_INSE_IyEEEENS6_16discard_iteratorINS6_11use_defaultEEESI_PmS8_NS6_8equal_toIjEEEE10hipError_tPvRmT2_T3_mT4_T5_T6_T7_T8_P12ihipStream_tbENKUlT_T0_E_clISt17integral_constantIbLb1EES15_IbLb0EEEEDaS11_S12_EUlS11_E_NS1_11comp_targetILNS1_3genE9ELNS1_11target_archE1100ELNS1_3gpuE3ELNS1_3repE0EEENS1_30default_config_static_selectorELNS0_4arch9wavefront6targetE1EEEvT1_,"axG",@progbits,_ZN7rocprim17ROCPRIM_400000_NS6detail17trampoline_kernelINS0_14default_configENS1_29reduce_by_key_config_selectorIjyN6thrust23THRUST_200600_302600_NS4plusIyEEEEZZNS1_33reduce_by_key_impl_wrapped_configILNS1_25lookback_scan_determinismE0ES3_S9_NS6_6detail15normal_iteratorINS6_10device_ptrIjEEEENSD_INSE_IyEEEENS6_16discard_iteratorINS6_11use_defaultEEESI_PmS8_NS6_8equal_toIjEEEE10hipError_tPvRmT2_T3_mT4_T5_T6_T7_T8_P12ihipStream_tbENKUlT_T0_E_clISt17integral_constantIbLb1EES15_IbLb0EEEEDaS11_S12_EUlS11_E_NS1_11comp_targetILNS1_3genE9ELNS1_11target_archE1100ELNS1_3gpuE3ELNS1_3repE0EEENS1_30default_config_static_selectorELNS0_4arch9wavefront6targetE1EEEvT1_,comdat
	.protected	_ZN7rocprim17ROCPRIM_400000_NS6detail17trampoline_kernelINS0_14default_configENS1_29reduce_by_key_config_selectorIjyN6thrust23THRUST_200600_302600_NS4plusIyEEEEZZNS1_33reduce_by_key_impl_wrapped_configILNS1_25lookback_scan_determinismE0ES3_S9_NS6_6detail15normal_iteratorINS6_10device_ptrIjEEEENSD_INSE_IyEEEENS6_16discard_iteratorINS6_11use_defaultEEESI_PmS8_NS6_8equal_toIjEEEE10hipError_tPvRmT2_T3_mT4_T5_T6_T7_T8_P12ihipStream_tbENKUlT_T0_E_clISt17integral_constantIbLb1EES15_IbLb0EEEEDaS11_S12_EUlS11_E_NS1_11comp_targetILNS1_3genE9ELNS1_11target_archE1100ELNS1_3gpuE3ELNS1_3repE0EEENS1_30default_config_static_selectorELNS0_4arch9wavefront6targetE1EEEvT1_ ; -- Begin function _ZN7rocprim17ROCPRIM_400000_NS6detail17trampoline_kernelINS0_14default_configENS1_29reduce_by_key_config_selectorIjyN6thrust23THRUST_200600_302600_NS4plusIyEEEEZZNS1_33reduce_by_key_impl_wrapped_configILNS1_25lookback_scan_determinismE0ES3_S9_NS6_6detail15normal_iteratorINS6_10device_ptrIjEEEENSD_INSE_IyEEEENS6_16discard_iteratorINS6_11use_defaultEEESI_PmS8_NS6_8equal_toIjEEEE10hipError_tPvRmT2_T3_mT4_T5_T6_T7_T8_P12ihipStream_tbENKUlT_T0_E_clISt17integral_constantIbLb1EES15_IbLb0EEEEDaS11_S12_EUlS11_E_NS1_11comp_targetILNS1_3genE9ELNS1_11target_archE1100ELNS1_3gpuE3ELNS1_3repE0EEENS1_30default_config_static_selectorELNS0_4arch9wavefront6targetE1EEEvT1_
	.globl	_ZN7rocprim17ROCPRIM_400000_NS6detail17trampoline_kernelINS0_14default_configENS1_29reduce_by_key_config_selectorIjyN6thrust23THRUST_200600_302600_NS4plusIyEEEEZZNS1_33reduce_by_key_impl_wrapped_configILNS1_25lookback_scan_determinismE0ES3_S9_NS6_6detail15normal_iteratorINS6_10device_ptrIjEEEENSD_INSE_IyEEEENS6_16discard_iteratorINS6_11use_defaultEEESI_PmS8_NS6_8equal_toIjEEEE10hipError_tPvRmT2_T3_mT4_T5_T6_T7_T8_P12ihipStream_tbENKUlT_T0_E_clISt17integral_constantIbLb1EES15_IbLb0EEEEDaS11_S12_EUlS11_E_NS1_11comp_targetILNS1_3genE9ELNS1_11target_archE1100ELNS1_3gpuE3ELNS1_3repE0EEENS1_30default_config_static_selectorELNS0_4arch9wavefront6targetE1EEEvT1_
	.p2align	8
	.type	_ZN7rocprim17ROCPRIM_400000_NS6detail17trampoline_kernelINS0_14default_configENS1_29reduce_by_key_config_selectorIjyN6thrust23THRUST_200600_302600_NS4plusIyEEEEZZNS1_33reduce_by_key_impl_wrapped_configILNS1_25lookback_scan_determinismE0ES3_S9_NS6_6detail15normal_iteratorINS6_10device_ptrIjEEEENSD_INSE_IyEEEENS6_16discard_iteratorINS6_11use_defaultEEESI_PmS8_NS6_8equal_toIjEEEE10hipError_tPvRmT2_T3_mT4_T5_T6_T7_T8_P12ihipStream_tbENKUlT_T0_E_clISt17integral_constantIbLb1EES15_IbLb0EEEEDaS11_S12_EUlS11_E_NS1_11comp_targetILNS1_3genE9ELNS1_11target_archE1100ELNS1_3gpuE3ELNS1_3repE0EEENS1_30default_config_static_selectorELNS0_4arch9wavefront6targetE1EEEvT1_,@function
_ZN7rocprim17ROCPRIM_400000_NS6detail17trampoline_kernelINS0_14default_configENS1_29reduce_by_key_config_selectorIjyN6thrust23THRUST_200600_302600_NS4plusIyEEEEZZNS1_33reduce_by_key_impl_wrapped_configILNS1_25lookback_scan_determinismE0ES3_S9_NS6_6detail15normal_iteratorINS6_10device_ptrIjEEEENSD_INSE_IyEEEENS6_16discard_iteratorINS6_11use_defaultEEESI_PmS8_NS6_8equal_toIjEEEE10hipError_tPvRmT2_T3_mT4_T5_T6_T7_T8_P12ihipStream_tbENKUlT_T0_E_clISt17integral_constantIbLb1EES15_IbLb0EEEEDaS11_S12_EUlS11_E_NS1_11comp_targetILNS1_3genE9ELNS1_11target_archE1100ELNS1_3gpuE3ELNS1_3repE0EEENS1_30default_config_static_selectorELNS0_4arch9wavefront6targetE1EEEvT1_: ; @_ZN7rocprim17ROCPRIM_400000_NS6detail17trampoline_kernelINS0_14default_configENS1_29reduce_by_key_config_selectorIjyN6thrust23THRUST_200600_302600_NS4plusIyEEEEZZNS1_33reduce_by_key_impl_wrapped_configILNS1_25lookback_scan_determinismE0ES3_S9_NS6_6detail15normal_iteratorINS6_10device_ptrIjEEEENSD_INSE_IyEEEENS6_16discard_iteratorINS6_11use_defaultEEESI_PmS8_NS6_8equal_toIjEEEE10hipError_tPvRmT2_T3_mT4_T5_T6_T7_T8_P12ihipStream_tbENKUlT_T0_E_clISt17integral_constantIbLb1EES15_IbLb0EEEEDaS11_S12_EUlS11_E_NS1_11comp_targetILNS1_3genE9ELNS1_11target_archE1100ELNS1_3gpuE3ELNS1_3repE0EEENS1_30default_config_static_selectorELNS0_4arch9wavefront6targetE1EEEvT1_
; %bb.0:
	.section	.rodata,"a",@progbits
	.p2align	6, 0x0
	.amdhsa_kernel _ZN7rocprim17ROCPRIM_400000_NS6detail17trampoline_kernelINS0_14default_configENS1_29reduce_by_key_config_selectorIjyN6thrust23THRUST_200600_302600_NS4plusIyEEEEZZNS1_33reduce_by_key_impl_wrapped_configILNS1_25lookback_scan_determinismE0ES3_S9_NS6_6detail15normal_iteratorINS6_10device_ptrIjEEEENSD_INSE_IyEEEENS6_16discard_iteratorINS6_11use_defaultEEESI_PmS8_NS6_8equal_toIjEEEE10hipError_tPvRmT2_T3_mT4_T5_T6_T7_T8_P12ihipStream_tbENKUlT_T0_E_clISt17integral_constantIbLb1EES15_IbLb0EEEEDaS11_S12_EUlS11_E_NS1_11comp_targetILNS1_3genE9ELNS1_11target_archE1100ELNS1_3gpuE3ELNS1_3repE0EEENS1_30default_config_static_selectorELNS0_4arch9wavefront6targetE1EEEvT1_
		.amdhsa_group_segment_fixed_size 0
		.amdhsa_private_segment_fixed_size 0
		.amdhsa_kernarg_size 144
		.amdhsa_user_sgpr_count 6
		.amdhsa_user_sgpr_private_segment_buffer 1
		.amdhsa_user_sgpr_dispatch_ptr 0
		.amdhsa_user_sgpr_queue_ptr 0
		.amdhsa_user_sgpr_kernarg_segment_ptr 1
		.amdhsa_user_sgpr_dispatch_id 0
		.amdhsa_user_sgpr_flat_scratch_init 0
		.amdhsa_user_sgpr_kernarg_preload_length 0
		.amdhsa_user_sgpr_kernarg_preload_offset 0
		.amdhsa_user_sgpr_private_segment_size 0
		.amdhsa_uses_dynamic_stack 0
		.amdhsa_system_sgpr_private_segment_wavefront_offset 0
		.amdhsa_system_sgpr_workgroup_id_x 1
		.amdhsa_system_sgpr_workgroup_id_y 0
		.amdhsa_system_sgpr_workgroup_id_z 0
		.amdhsa_system_sgpr_workgroup_info 0
		.amdhsa_system_vgpr_workitem_id 0
		.amdhsa_next_free_vgpr 1
		.amdhsa_next_free_sgpr 0
		.amdhsa_accum_offset 4
		.amdhsa_reserve_vcc 0
		.amdhsa_reserve_flat_scratch 0
		.amdhsa_float_round_mode_32 0
		.amdhsa_float_round_mode_16_64 0
		.amdhsa_float_denorm_mode_32 3
		.amdhsa_float_denorm_mode_16_64 3
		.amdhsa_dx10_clamp 1
		.amdhsa_ieee_mode 1
		.amdhsa_fp16_overflow 0
		.amdhsa_tg_split 0
		.amdhsa_exception_fp_ieee_invalid_op 0
		.amdhsa_exception_fp_denorm_src 0
		.amdhsa_exception_fp_ieee_div_zero 0
		.amdhsa_exception_fp_ieee_overflow 0
		.amdhsa_exception_fp_ieee_underflow 0
		.amdhsa_exception_fp_ieee_inexact 0
		.amdhsa_exception_int_div_zero 0
	.end_amdhsa_kernel
	.section	.text._ZN7rocprim17ROCPRIM_400000_NS6detail17trampoline_kernelINS0_14default_configENS1_29reduce_by_key_config_selectorIjyN6thrust23THRUST_200600_302600_NS4plusIyEEEEZZNS1_33reduce_by_key_impl_wrapped_configILNS1_25lookback_scan_determinismE0ES3_S9_NS6_6detail15normal_iteratorINS6_10device_ptrIjEEEENSD_INSE_IyEEEENS6_16discard_iteratorINS6_11use_defaultEEESI_PmS8_NS6_8equal_toIjEEEE10hipError_tPvRmT2_T3_mT4_T5_T6_T7_T8_P12ihipStream_tbENKUlT_T0_E_clISt17integral_constantIbLb1EES15_IbLb0EEEEDaS11_S12_EUlS11_E_NS1_11comp_targetILNS1_3genE9ELNS1_11target_archE1100ELNS1_3gpuE3ELNS1_3repE0EEENS1_30default_config_static_selectorELNS0_4arch9wavefront6targetE1EEEvT1_,"axG",@progbits,_ZN7rocprim17ROCPRIM_400000_NS6detail17trampoline_kernelINS0_14default_configENS1_29reduce_by_key_config_selectorIjyN6thrust23THRUST_200600_302600_NS4plusIyEEEEZZNS1_33reduce_by_key_impl_wrapped_configILNS1_25lookback_scan_determinismE0ES3_S9_NS6_6detail15normal_iteratorINS6_10device_ptrIjEEEENSD_INSE_IyEEEENS6_16discard_iteratorINS6_11use_defaultEEESI_PmS8_NS6_8equal_toIjEEEE10hipError_tPvRmT2_T3_mT4_T5_T6_T7_T8_P12ihipStream_tbENKUlT_T0_E_clISt17integral_constantIbLb1EES15_IbLb0EEEEDaS11_S12_EUlS11_E_NS1_11comp_targetILNS1_3genE9ELNS1_11target_archE1100ELNS1_3gpuE3ELNS1_3repE0EEENS1_30default_config_static_selectorELNS0_4arch9wavefront6targetE1EEEvT1_,comdat
.Lfunc_end902:
	.size	_ZN7rocprim17ROCPRIM_400000_NS6detail17trampoline_kernelINS0_14default_configENS1_29reduce_by_key_config_selectorIjyN6thrust23THRUST_200600_302600_NS4plusIyEEEEZZNS1_33reduce_by_key_impl_wrapped_configILNS1_25lookback_scan_determinismE0ES3_S9_NS6_6detail15normal_iteratorINS6_10device_ptrIjEEEENSD_INSE_IyEEEENS6_16discard_iteratorINS6_11use_defaultEEESI_PmS8_NS6_8equal_toIjEEEE10hipError_tPvRmT2_T3_mT4_T5_T6_T7_T8_P12ihipStream_tbENKUlT_T0_E_clISt17integral_constantIbLb1EES15_IbLb0EEEEDaS11_S12_EUlS11_E_NS1_11comp_targetILNS1_3genE9ELNS1_11target_archE1100ELNS1_3gpuE3ELNS1_3repE0EEENS1_30default_config_static_selectorELNS0_4arch9wavefront6targetE1EEEvT1_, .Lfunc_end902-_ZN7rocprim17ROCPRIM_400000_NS6detail17trampoline_kernelINS0_14default_configENS1_29reduce_by_key_config_selectorIjyN6thrust23THRUST_200600_302600_NS4plusIyEEEEZZNS1_33reduce_by_key_impl_wrapped_configILNS1_25lookback_scan_determinismE0ES3_S9_NS6_6detail15normal_iteratorINS6_10device_ptrIjEEEENSD_INSE_IyEEEENS6_16discard_iteratorINS6_11use_defaultEEESI_PmS8_NS6_8equal_toIjEEEE10hipError_tPvRmT2_T3_mT4_T5_T6_T7_T8_P12ihipStream_tbENKUlT_T0_E_clISt17integral_constantIbLb1EES15_IbLb0EEEEDaS11_S12_EUlS11_E_NS1_11comp_targetILNS1_3genE9ELNS1_11target_archE1100ELNS1_3gpuE3ELNS1_3repE0EEENS1_30default_config_static_selectorELNS0_4arch9wavefront6targetE1EEEvT1_
                                        ; -- End function
	.section	.AMDGPU.csdata,"",@progbits
; Kernel info:
; codeLenInByte = 0
; NumSgprs: 4
; NumVgprs: 0
; NumAgprs: 0
; TotalNumVgprs: 0
; ScratchSize: 0
; MemoryBound: 0
; FloatMode: 240
; IeeeMode: 1
; LDSByteSize: 0 bytes/workgroup (compile time only)
; SGPRBlocks: 0
; VGPRBlocks: 0
; NumSGPRsForWavesPerEU: 4
; NumVGPRsForWavesPerEU: 1
; AccumOffset: 4
; Occupancy: 8
; WaveLimiterHint : 0
; COMPUTE_PGM_RSRC2:SCRATCH_EN: 0
; COMPUTE_PGM_RSRC2:USER_SGPR: 6
; COMPUTE_PGM_RSRC2:TRAP_HANDLER: 0
; COMPUTE_PGM_RSRC2:TGID_X_EN: 1
; COMPUTE_PGM_RSRC2:TGID_Y_EN: 0
; COMPUTE_PGM_RSRC2:TGID_Z_EN: 0
; COMPUTE_PGM_RSRC2:TIDIG_COMP_CNT: 0
; COMPUTE_PGM_RSRC3_GFX90A:ACCUM_OFFSET: 0
; COMPUTE_PGM_RSRC3_GFX90A:TG_SPLIT: 0
	.section	.text._ZN7rocprim17ROCPRIM_400000_NS6detail17trampoline_kernelINS0_14default_configENS1_29reduce_by_key_config_selectorIjyN6thrust23THRUST_200600_302600_NS4plusIyEEEEZZNS1_33reduce_by_key_impl_wrapped_configILNS1_25lookback_scan_determinismE0ES3_S9_NS6_6detail15normal_iteratorINS6_10device_ptrIjEEEENSD_INSE_IyEEEENS6_16discard_iteratorINS6_11use_defaultEEESI_PmS8_NS6_8equal_toIjEEEE10hipError_tPvRmT2_T3_mT4_T5_T6_T7_T8_P12ihipStream_tbENKUlT_T0_E_clISt17integral_constantIbLb1EES15_IbLb0EEEEDaS11_S12_EUlS11_E_NS1_11comp_targetILNS1_3genE8ELNS1_11target_archE1030ELNS1_3gpuE2ELNS1_3repE0EEENS1_30default_config_static_selectorELNS0_4arch9wavefront6targetE1EEEvT1_,"axG",@progbits,_ZN7rocprim17ROCPRIM_400000_NS6detail17trampoline_kernelINS0_14default_configENS1_29reduce_by_key_config_selectorIjyN6thrust23THRUST_200600_302600_NS4plusIyEEEEZZNS1_33reduce_by_key_impl_wrapped_configILNS1_25lookback_scan_determinismE0ES3_S9_NS6_6detail15normal_iteratorINS6_10device_ptrIjEEEENSD_INSE_IyEEEENS6_16discard_iteratorINS6_11use_defaultEEESI_PmS8_NS6_8equal_toIjEEEE10hipError_tPvRmT2_T3_mT4_T5_T6_T7_T8_P12ihipStream_tbENKUlT_T0_E_clISt17integral_constantIbLb1EES15_IbLb0EEEEDaS11_S12_EUlS11_E_NS1_11comp_targetILNS1_3genE8ELNS1_11target_archE1030ELNS1_3gpuE2ELNS1_3repE0EEENS1_30default_config_static_selectorELNS0_4arch9wavefront6targetE1EEEvT1_,comdat
	.protected	_ZN7rocprim17ROCPRIM_400000_NS6detail17trampoline_kernelINS0_14default_configENS1_29reduce_by_key_config_selectorIjyN6thrust23THRUST_200600_302600_NS4plusIyEEEEZZNS1_33reduce_by_key_impl_wrapped_configILNS1_25lookback_scan_determinismE0ES3_S9_NS6_6detail15normal_iteratorINS6_10device_ptrIjEEEENSD_INSE_IyEEEENS6_16discard_iteratorINS6_11use_defaultEEESI_PmS8_NS6_8equal_toIjEEEE10hipError_tPvRmT2_T3_mT4_T5_T6_T7_T8_P12ihipStream_tbENKUlT_T0_E_clISt17integral_constantIbLb1EES15_IbLb0EEEEDaS11_S12_EUlS11_E_NS1_11comp_targetILNS1_3genE8ELNS1_11target_archE1030ELNS1_3gpuE2ELNS1_3repE0EEENS1_30default_config_static_selectorELNS0_4arch9wavefront6targetE1EEEvT1_ ; -- Begin function _ZN7rocprim17ROCPRIM_400000_NS6detail17trampoline_kernelINS0_14default_configENS1_29reduce_by_key_config_selectorIjyN6thrust23THRUST_200600_302600_NS4plusIyEEEEZZNS1_33reduce_by_key_impl_wrapped_configILNS1_25lookback_scan_determinismE0ES3_S9_NS6_6detail15normal_iteratorINS6_10device_ptrIjEEEENSD_INSE_IyEEEENS6_16discard_iteratorINS6_11use_defaultEEESI_PmS8_NS6_8equal_toIjEEEE10hipError_tPvRmT2_T3_mT4_T5_T6_T7_T8_P12ihipStream_tbENKUlT_T0_E_clISt17integral_constantIbLb1EES15_IbLb0EEEEDaS11_S12_EUlS11_E_NS1_11comp_targetILNS1_3genE8ELNS1_11target_archE1030ELNS1_3gpuE2ELNS1_3repE0EEENS1_30default_config_static_selectorELNS0_4arch9wavefront6targetE1EEEvT1_
	.globl	_ZN7rocprim17ROCPRIM_400000_NS6detail17trampoline_kernelINS0_14default_configENS1_29reduce_by_key_config_selectorIjyN6thrust23THRUST_200600_302600_NS4plusIyEEEEZZNS1_33reduce_by_key_impl_wrapped_configILNS1_25lookback_scan_determinismE0ES3_S9_NS6_6detail15normal_iteratorINS6_10device_ptrIjEEEENSD_INSE_IyEEEENS6_16discard_iteratorINS6_11use_defaultEEESI_PmS8_NS6_8equal_toIjEEEE10hipError_tPvRmT2_T3_mT4_T5_T6_T7_T8_P12ihipStream_tbENKUlT_T0_E_clISt17integral_constantIbLb1EES15_IbLb0EEEEDaS11_S12_EUlS11_E_NS1_11comp_targetILNS1_3genE8ELNS1_11target_archE1030ELNS1_3gpuE2ELNS1_3repE0EEENS1_30default_config_static_selectorELNS0_4arch9wavefront6targetE1EEEvT1_
	.p2align	8
	.type	_ZN7rocprim17ROCPRIM_400000_NS6detail17trampoline_kernelINS0_14default_configENS1_29reduce_by_key_config_selectorIjyN6thrust23THRUST_200600_302600_NS4plusIyEEEEZZNS1_33reduce_by_key_impl_wrapped_configILNS1_25lookback_scan_determinismE0ES3_S9_NS6_6detail15normal_iteratorINS6_10device_ptrIjEEEENSD_INSE_IyEEEENS6_16discard_iteratorINS6_11use_defaultEEESI_PmS8_NS6_8equal_toIjEEEE10hipError_tPvRmT2_T3_mT4_T5_T6_T7_T8_P12ihipStream_tbENKUlT_T0_E_clISt17integral_constantIbLb1EES15_IbLb0EEEEDaS11_S12_EUlS11_E_NS1_11comp_targetILNS1_3genE8ELNS1_11target_archE1030ELNS1_3gpuE2ELNS1_3repE0EEENS1_30default_config_static_selectorELNS0_4arch9wavefront6targetE1EEEvT1_,@function
_ZN7rocprim17ROCPRIM_400000_NS6detail17trampoline_kernelINS0_14default_configENS1_29reduce_by_key_config_selectorIjyN6thrust23THRUST_200600_302600_NS4plusIyEEEEZZNS1_33reduce_by_key_impl_wrapped_configILNS1_25lookback_scan_determinismE0ES3_S9_NS6_6detail15normal_iteratorINS6_10device_ptrIjEEEENSD_INSE_IyEEEENS6_16discard_iteratorINS6_11use_defaultEEESI_PmS8_NS6_8equal_toIjEEEE10hipError_tPvRmT2_T3_mT4_T5_T6_T7_T8_P12ihipStream_tbENKUlT_T0_E_clISt17integral_constantIbLb1EES15_IbLb0EEEEDaS11_S12_EUlS11_E_NS1_11comp_targetILNS1_3genE8ELNS1_11target_archE1030ELNS1_3gpuE2ELNS1_3repE0EEENS1_30default_config_static_selectorELNS0_4arch9wavefront6targetE1EEEvT1_: ; @_ZN7rocprim17ROCPRIM_400000_NS6detail17trampoline_kernelINS0_14default_configENS1_29reduce_by_key_config_selectorIjyN6thrust23THRUST_200600_302600_NS4plusIyEEEEZZNS1_33reduce_by_key_impl_wrapped_configILNS1_25lookback_scan_determinismE0ES3_S9_NS6_6detail15normal_iteratorINS6_10device_ptrIjEEEENSD_INSE_IyEEEENS6_16discard_iteratorINS6_11use_defaultEEESI_PmS8_NS6_8equal_toIjEEEE10hipError_tPvRmT2_T3_mT4_T5_T6_T7_T8_P12ihipStream_tbENKUlT_T0_E_clISt17integral_constantIbLb1EES15_IbLb0EEEEDaS11_S12_EUlS11_E_NS1_11comp_targetILNS1_3genE8ELNS1_11target_archE1030ELNS1_3gpuE2ELNS1_3repE0EEENS1_30default_config_static_selectorELNS0_4arch9wavefront6targetE1EEEvT1_
; %bb.0:
	.section	.rodata,"a",@progbits
	.p2align	6, 0x0
	.amdhsa_kernel _ZN7rocprim17ROCPRIM_400000_NS6detail17trampoline_kernelINS0_14default_configENS1_29reduce_by_key_config_selectorIjyN6thrust23THRUST_200600_302600_NS4plusIyEEEEZZNS1_33reduce_by_key_impl_wrapped_configILNS1_25lookback_scan_determinismE0ES3_S9_NS6_6detail15normal_iteratorINS6_10device_ptrIjEEEENSD_INSE_IyEEEENS6_16discard_iteratorINS6_11use_defaultEEESI_PmS8_NS6_8equal_toIjEEEE10hipError_tPvRmT2_T3_mT4_T5_T6_T7_T8_P12ihipStream_tbENKUlT_T0_E_clISt17integral_constantIbLb1EES15_IbLb0EEEEDaS11_S12_EUlS11_E_NS1_11comp_targetILNS1_3genE8ELNS1_11target_archE1030ELNS1_3gpuE2ELNS1_3repE0EEENS1_30default_config_static_selectorELNS0_4arch9wavefront6targetE1EEEvT1_
		.amdhsa_group_segment_fixed_size 0
		.amdhsa_private_segment_fixed_size 0
		.amdhsa_kernarg_size 144
		.amdhsa_user_sgpr_count 6
		.amdhsa_user_sgpr_private_segment_buffer 1
		.amdhsa_user_sgpr_dispatch_ptr 0
		.amdhsa_user_sgpr_queue_ptr 0
		.amdhsa_user_sgpr_kernarg_segment_ptr 1
		.amdhsa_user_sgpr_dispatch_id 0
		.amdhsa_user_sgpr_flat_scratch_init 0
		.amdhsa_user_sgpr_kernarg_preload_length 0
		.amdhsa_user_sgpr_kernarg_preload_offset 0
		.amdhsa_user_sgpr_private_segment_size 0
		.amdhsa_uses_dynamic_stack 0
		.amdhsa_system_sgpr_private_segment_wavefront_offset 0
		.amdhsa_system_sgpr_workgroup_id_x 1
		.amdhsa_system_sgpr_workgroup_id_y 0
		.amdhsa_system_sgpr_workgroup_id_z 0
		.amdhsa_system_sgpr_workgroup_info 0
		.amdhsa_system_vgpr_workitem_id 0
		.amdhsa_next_free_vgpr 1
		.amdhsa_next_free_sgpr 0
		.amdhsa_accum_offset 4
		.amdhsa_reserve_vcc 0
		.amdhsa_reserve_flat_scratch 0
		.amdhsa_float_round_mode_32 0
		.amdhsa_float_round_mode_16_64 0
		.amdhsa_float_denorm_mode_32 3
		.amdhsa_float_denorm_mode_16_64 3
		.amdhsa_dx10_clamp 1
		.amdhsa_ieee_mode 1
		.amdhsa_fp16_overflow 0
		.amdhsa_tg_split 0
		.amdhsa_exception_fp_ieee_invalid_op 0
		.amdhsa_exception_fp_denorm_src 0
		.amdhsa_exception_fp_ieee_div_zero 0
		.amdhsa_exception_fp_ieee_overflow 0
		.amdhsa_exception_fp_ieee_underflow 0
		.amdhsa_exception_fp_ieee_inexact 0
		.amdhsa_exception_int_div_zero 0
	.end_amdhsa_kernel
	.section	.text._ZN7rocprim17ROCPRIM_400000_NS6detail17trampoline_kernelINS0_14default_configENS1_29reduce_by_key_config_selectorIjyN6thrust23THRUST_200600_302600_NS4plusIyEEEEZZNS1_33reduce_by_key_impl_wrapped_configILNS1_25lookback_scan_determinismE0ES3_S9_NS6_6detail15normal_iteratorINS6_10device_ptrIjEEEENSD_INSE_IyEEEENS6_16discard_iteratorINS6_11use_defaultEEESI_PmS8_NS6_8equal_toIjEEEE10hipError_tPvRmT2_T3_mT4_T5_T6_T7_T8_P12ihipStream_tbENKUlT_T0_E_clISt17integral_constantIbLb1EES15_IbLb0EEEEDaS11_S12_EUlS11_E_NS1_11comp_targetILNS1_3genE8ELNS1_11target_archE1030ELNS1_3gpuE2ELNS1_3repE0EEENS1_30default_config_static_selectorELNS0_4arch9wavefront6targetE1EEEvT1_,"axG",@progbits,_ZN7rocprim17ROCPRIM_400000_NS6detail17trampoline_kernelINS0_14default_configENS1_29reduce_by_key_config_selectorIjyN6thrust23THRUST_200600_302600_NS4plusIyEEEEZZNS1_33reduce_by_key_impl_wrapped_configILNS1_25lookback_scan_determinismE0ES3_S9_NS6_6detail15normal_iteratorINS6_10device_ptrIjEEEENSD_INSE_IyEEEENS6_16discard_iteratorINS6_11use_defaultEEESI_PmS8_NS6_8equal_toIjEEEE10hipError_tPvRmT2_T3_mT4_T5_T6_T7_T8_P12ihipStream_tbENKUlT_T0_E_clISt17integral_constantIbLb1EES15_IbLb0EEEEDaS11_S12_EUlS11_E_NS1_11comp_targetILNS1_3genE8ELNS1_11target_archE1030ELNS1_3gpuE2ELNS1_3repE0EEENS1_30default_config_static_selectorELNS0_4arch9wavefront6targetE1EEEvT1_,comdat
.Lfunc_end903:
	.size	_ZN7rocprim17ROCPRIM_400000_NS6detail17trampoline_kernelINS0_14default_configENS1_29reduce_by_key_config_selectorIjyN6thrust23THRUST_200600_302600_NS4plusIyEEEEZZNS1_33reduce_by_key_impl_wrapped_configILNS1_25lookback_scan_determinismE0ES3_S9_NS6_6detail15normal_iteratorINS6_10device_ptrIjEEEENSD_INSE_IyEEEENS6_16discard_iteratorINS6_11use_defaultEEESI_PmS8_NS6_8equal_toIjEEEE10hipError_tPvRmT2_T3_mT4_T5_T6_T7_T8_P12ihipStream_tbENKUlT_T0_E_clISt17integral_constantIbLb1EES15_IbLb0EEEEDaS11_S12_EUlS11_E_NS1_11comp_targetILNS1_3genE8ELNS1_11target_archE1030ELNS1_3gpuE2ELNS1_3repE0EEENS1_30default_config_static_selectorELNS0_4arch9wavefront6targetE1EEEvT1_, .Lfunc_end903-_ZN7rocprim17ROCPRIM_400000_NS6detail17trampoline_kernelINS0_14default_configENS1_29reduce_by_key_config_selectorIjyN6thrust23THRUST_200600_302600_NS4plusIyEEEEZZNS1_33reduce_by_key_impl_wrapped_configILNS1_25lookback_scan_determinismE0ES3_S9_NS6_6detail15normal_iteratorINS6_10device_ptrIjEEEENSD_INSE_IyEEEENS6_16discard_iteratorINS6_11use_defaultEEESI_PmS8_NS6_8equal_toIjEEEE10hipError_tPvRmT2_T3_mT4_T5_T6_T7_T8_P12ihipStream_tbENKUlT_T0_E_clISt17integral_constantIbLb1EES15_IbLb0EEEEDaS11_S12_EUlS11_E_NS1_11comp_targetILNS1_3genE8ELNS1_11target_archE1030ELNS1_3gpuE2ELNS1_3repE0EEENS1_30default_config_static_selectorELNS0_4arch9wavefront6targetE1EEEvT1_
                                        ; -- End function
	.section	.AMDGPU.csdata,"",@progbits
; Kernel info:
; codeLenInByte = 0
; NumSgprs: 4
; NumVgprs: 0
; NumAgprs: 0
; TotalNumVgprs: 0
; ScratchSize: 0
; MemoryBound: 0
; FloatMode: 240
; IeeeMode: 1
; LDSByteSize: 0 bytes/workgroup (compile time only)
; SGPRBlocks: 0
; VGPRBlocks: 0
; NumSGPRsForWavesPerEU: 4
; NumVGPRsForWavesPerEU: 1
; AccumOffset: 4
; Occupancy: 8
; WaveLimiterHint : 0
; COMPUTE_PGM_RSRC2:SCRATCH_EN: 0
; COMPUTE_PGM_RSRC2:USER_SGPR: 6
; COMPUTE_PGM_RSRC2:TRAP_HANDLER: 0
; COMPUTE_PGM_RSRC2:TGID_X_EN: 1
; COMPUTE_PGM_RSRC2:TGID_Y_EN: 0
; COMPUTE_PGM_RSRC2:TGID_Z_EN: 0
; COMPUTE_PGM_RSRC2:TIDIG_COMP_CNT: 0
; COMPUTE_PGM_RSRC3_GFX90A:ACCUM_OFFSET: 0
; COMPUTE_PGM_RSRC3_GFX90A:TG_SPLIT: 0
	.section	.text._ZN7rocprim17ROCPRIM_400000_NS6detail17trampoline_kernelINS0_14default_configENS1_29reduce_by_key_config_selectorIjyN6thrust23THRUST_200600_302600_NS4plusIyEEEEZZNS1_33reduce_by_key_impl_wrapped_configILNS1_25lookback_scan_determinismE0ES3_S9_NS6_6detail15normal_iteratorINS6_10device_ptrIjEEEENSD_INSE_IyEEEENS6_16discard_iteratorINS6_11use_defaultEEESI_PmS8_NS6_8equal_toIjEEEE10hipError_tPvRmT2_T3_mT4_T5_T6_T7_T8_P12ihipStream_tbENKUlT_T0_E_clISt17integral_constantIbLb0EES15_IbLb1EEEEDaS11_S12_EUlS11_E_NS1_11comp_targetILNS1_3genE0ELNS1_11target_archE4294967295ELNS1_3gpuE0ELNS1_3repE0EEENS1_30default_config_static_selectorELNS0_4arch9wavefront6targetE1EEEvT1_,"axG",@progbits,_ZN7rocprim17ROCPRIM_400000_NS6detail17trampoline_kernelINS0_14default_configENS1_29reduce_by_key_config_selectorIjyN6thrust23THRUST_200600_302600_NS4plusIyEEEEZZNS1_33reduce_by_key_impl_wrapped_configILNS1_25lookback_scan_determinismE0ES3_S9_NS6_6detail15normal_iteratorINS6_10device_ptrIjEEEENSD_INSE_IyEEEENS6_16discard_iteratorINS6_11use_defaultEEESI_PmS8_NS6_8equal_toIjEEEE10hipError_tPvRmT2_T3_mT4_T5_T6_T7_T8_P12ihipStream_tbENKUlT_T0_E_clISt17integral_constantIbLb0EES15_IbLb1EEEEDaS11_S12_EUlS11_E_NS1_11comp_targetILNS1_3genE0ELNS1_11target_archE4294967295ELNS1_3gpuE0ELNS1_3repE0EEENS1_30default_config_static_selectorELNS0_4arch9wavefront6targetE1EEEvT1_,comdat
	.protected	_ZN7rocprim17ROCPRIM_400000_NS6detail17trampoline_kernelINS0_14default_configENS1_29reduce_by_key_config_selectorIjyN6thrust23THRUST_200600_302600_NS4plusIyEEEEZZNS1_33reduce_by_key_impl_wrapped_configILNS1_25lookback_scan_determinismE0ES3_S9_NS6_6detail15normal_iteratorINS6_10device_ptrIjEEEENSD_INSE_IyEEEENS6_16discard_iteratorINS6_11use_defaultEEESI_PmS8_NS6_8equal_toIjEEEE10hipError_tPvRmT2_T3_mT4_T5_T6_T7_T8_P12ihipStream_tbENKUlT_T0_E_clISt17integral_constantIbLb0EES15_IbLb1EEEEDaS11_S12_EUlS11_E_NS1_11comp_targetILNS1_3genE0ELNS1_11target_archE4294967295ELNS1_3gpuE0ELNS1_3repE0EEENS1_30default_config_static_selectorELNS0_4arch9wavefront6targetE1EEEvT1_ ; -- Begin function _ZN7rocprim17ROCPRIM_400000_NS6detail17trampoline_kernelINS0_14default_configENS1_29reduce_by_key_config_selectorIjyN6thrust23THRUST_200600_302600_NS4plusIyEEEEZZNS1_33reduce_by_key_impl_wrapped_configILNS1_25lookback_scan_determinismE0ES3_S9_NS6_6detail15normal_iteratorINS6_10device_ptrIjEEEENSD_INSE_IyEEEENS6_16discard_iteratorINS6_11use_defaultEEESI_PmS8_NS6_8equal_toIjEEEE10hipError_tPvRmT2_T3_mT4_T5_T6_T7_T8_P12ihipStream_tbENKUlT_T0_E_clISt17integral_constantIbLb0EES15_IbLb1EEEEDaS11_S12_EUlS11_E_NS1_11comp_targetILNS1_3genE0ELNS1_11target_archE4294967295ELNS1_3gpuE0ELNS1_3repE0EEENS1_30default_config_static_selectorELNS0_4arch9wavefront6targetE1EEEvT1_
	.globl	_ZN7rocprim17ROCPRIM_400000_NS6detail17trampoline_kernelINS0_14default_configENS1_29reduce_by_key_config_selectorIjyN6thrust23THRUST_200600_302600_NS4plusIyEEEEZZNS1_33reduce_by_key_impl_wrapped_configILNS1_25lookback_scan_determinismE0ES3_S9_NS6_6detail15normal_iteratorINS6_10device_ptrIjEEEENSD_INSE_IyEEEENS6_16discard_iteratorINS6_11use_defaultEEESI_PmS8_NS6_8equal_toIjEEEE10hipError_tPvRmT2_T3_mT4_T5_T6_T7_T8_P12ihipStream_tbENKUlT_T0_E_clISt17integral_constantIbLb0EES15_IbLb1EEEEDaS11_S12_EUlS11_E_NS1_11comp_targetILNS1_3genE0ELNS1_11target_archE4294967295ELNS1_3gpuE0ELNS1_3repE0EEENS1_30default_config_static_selectorELNS0_4arch9wavefront6targetE1EEEvT1_
	.p2align	8
	.type	_ZN7rocprim17ROCPRIM_400000_NS6detail17trampoline_kernelINS0_14default_configENS1_29reduce_by_key_config_selectorIjyN6thrust23THRUST_200600_302600_NS4plusIyEEEEZZNS1_33reduce_by_key_impl_wrapped_configILNS1_25lookback_scan_determinismE0ES3_S9_NS6_6detail15normal_iteratorINS6_10device_ptrIjEEEENSD_INSE_IyEEEENS6_16discard_iteratorINS6_11use_defaultEEESI_PmS8_NS6_8equal_toIjEEEE10hipError_tPvRmT2_T3_mT4_T5_T6_T7_T8_P12ihipStream_tbENKUlT_T0_E_clISt17integral_constantIbLb0EES15_IbLb1EEEEDaS11_S12_EUlS11_E_NS1_11comp_targetILNS1_3genE0ELNS1_11target_archE4294967295ELNS1_3gpuE0ELNS1_3repE0EEENS1_30default_config_static_selectorELNS0_4arch9wavefront6targetE1EEEvT1_,@function
_ZN7rocprim17ROCPRIM_400000_NS6detail17trampoline_kernelINS0_14default_configENS1_29reduce_by_key_config_selectorIjyN6thrust23THRUST_200600_302600_NS4plusIyEEEEZZNS1_33reduce_by_key_impl_wrapped_configILNS1_25lookback_scan_determinismE0ES3_S9_NS6_6detail15normal_iteratorINS6_10device_ptrIjEEEENSD_INSE_IyEEEENS6_16discard_iteratorINS6_11use_defaultEEESI_PmS8_NS6_8equal_toIjEEEE10hipError_tPvRmT2_T3_mT4_T5_T6_T7_T8_P12ihipStream_tbENKUlT_T0_E_clISt17integral_constantIbLb0EES15_IbLb1EEEEDaS11_S12_EUlS11_E_NS1_11comp_targetILNS1_3genE0ELNS1_11target_archE4294967295ELNS1_3gpuE0ELNS1_3repE0EEENS1_30default_config_static_selectorELNS0_4arch9wavefront6targetE1EEEvT1_: ; @_ZN7rocprim17ROCPRIM_400000_NS6detail17trampoline_kernelINS0_14default_configENS1_29reduce_by_key_config_selectorIjyN6thrust23THRUST_200600_302600_NS4plusIyEEEEZZNS1_33reduce_by_key_impl_wrapped_configILNS1_25lookback_scan_determinismE0ES3_S9_NS6_6detail15normal_iteratorINS6_10device_ptrIjEEEENSD_INSE_IyEEEENS6_16discard_iteratorINS6_11use_defaultEEESI_PmS8_NS6_8equal_toIjEEEE10hipError_tPvRmT2_T3_mT4_T5_T6_T7_T8_P12ihipStream_tbENKUlT_T0_E_clISt17integral_constantIbLb0EES15_IbLb1EEEEDaS11_S12_EUlS11_E_NS1_11comp_targetILNS1_3genE0ELNS1_11target_archE4294967295ELNS1_3gpuE0ELNS1_3repE0EEENS1_30default_config_static_selectorELNS0_4arch9wavefront6targetE1EEEvT1_
; %bb.0:
	.section	.rodata,"a",@progbits
	.p2align	6, 0x0
	.amdhsa_kernel _ZN7rocprim17ROCPRIM_400000_NS6detail17trampoline_kernelINS0_14default_configENS1_29reduce_by_key_config_selectorIjyN6thrust23THRUST_200600_302600_NS4plusIyEEEEZZNS1_33reduce_by_key_impl_wrapped_configILNS1_25lookback_scan_determinismE0ES3_S9_NS6_6detail15normal_iteratorINS6_10device_ptrIjEEEENSD_INSE_IyEEEENS6_16discard_iteratorINS6_11use_defaultEEESI_PmS8_NS6_8equal_toIjEEEE10hipError_tPvRmT2_T3_mT4_T5_T6_T7_T8_P12ihipStream_tbENKUlT_T0_E_clISt17integral_constantIbLb0EES15_IbLb1EEEEDaS11_S12_EUlS11_E_NS1_11comp_targetILNS1_3genE0ELNS1_11target_archE4294967295ELNS1_3gpuE0ELNS1_3repE0EEENS1_30default_config_static_selectorELNS0_4arch9wavefront6targetE1EEEvT1_
		.amdhsa_group_segment_fixed_size 0
		.amdhsa_private_segment_fixed_size 0
		.amdhsa_kernarg_size 144
		.amdhsa_user_sgpr_count 6
		.amdhsa_user_sgpr_private_segment_buffer 1
		.amdhsa_user_sgpr_dispatch_ptr 0
		.amdhsa_user_sgpr_queue_ptr 0
		.amdhsa_user_sgpr_kernarg_segment_ptr 1
		.amdhsa_user_sgpr_dispatch_id 0
		.amdhsa_user_sgpr_flat_scratch_init 0
		.amdhsa_user_sgpr_kernarg_preload_length 0
		.amdhsa_user_sgpr_kernarg_preload_offset 0
		.amdhsa_user_sgpr_private_segment_size 0
		.amdhsa_uses_dynamic_stack 0
		.amdhsa_system_sgpr_private_segment_wavefront_offset 0
		.amdhsa_system_sgpr_workgroup_id_x 1
		.amdhsa_system_sgpr_workgroup_id_y 0
		.amdhsa_system_sgpr_workgroup_id_z 0
		.amdhsa_system_sgpr_workgroup_info 0
		.amdhsa_system_vgpr_workitem_id 0
		.amdhsa_next_free_vgpr 1
		.amdhsa_next_free_sgpr 0
		.amdhsa_accum_offset 4
		.amdhsa_reserve_vcc 0
		.amdhsa_reserve_flat_scratch 0
		.amdhsa_float_round_mode_32 0
		.amdhsa_float_round_mode_16_64 0
		.amdhsa_float_denorm_mode_32 3
		.amdhsa_float_denorm_mode_16_64 3
		.amdhsa_dx10_clamp 1
		.amdhsa_ieee_mode 1
		.amdhsa_fp16_overflow 0
		.amdhsa_tg_split 0
		.amdhsa_exception_fp_ieee_invalid_op 0
		.amdhsa_exception_fp_denorm_src 0
		.amdhsa_exception_fp_ieee_div_zero 0
		.amdhsa_exception_fp_ieee_overflow 0
		.amdhsa_exception_fp_ieee_underflow 0
		.amdhsa_exception_fp_ieee_inexact 0
		.amdhsa_exception_int_div_zero 0
	.end_amdhsa_kernel
	.section	.text._ZN7rocprim17ROCPRIM_400000_NS6detail17trampoline_kernelINS0_14default_configENS1_29reduce_by_key_config_selectorIjyN6thrust23THRUST_200600_302600_NS4plusIyEEEEZZNS1_33reduce_by_key_impl_wrapped_configILNS1_25lookback_scan_determinismE0ES3_S9_NS6_6detail15normal_iteratorINS6_10device_ptrIjEEEENSD_INSE_IyEEEENS6_16discard_iteratorINS6_11use_defaultEEESI_PmS8_NS6_8equal_toIjEEEE10hipError_tPvRmT2_T3_mT4_T5_T6_T7_T8_P12ihipStream_tbENKUlT_T0_E_clISt17integral_constantIbLb0EES15_IbLb1EEEEDaS11_S12_EUlS11_E_NS1_11comp_targetILNS1_3genE0ELNS1_11target_archE4294967295ELNS1_3gpuE0ELNS1_3repE0EEENS1_30default_config_static_selectorELNS0_4arch9wavefront6targetE1EEEvT1_,"axG",@progbits,_ZN7rocprim17ROCPRIM_400000_NS6detail17trampoline_kernelINS0_14default_configENS1_29reduce_by_key_config_selectorIjyN6thrust23THRUST_200600_302600_NS4plusIyEEEEZZNS1_33reduce_by_key_impl_wrapped_configILNS1_25lookback_scan_determinismE0ES3_S9_NS6_6detail15normal_iteratorINS6_10device_ptrIjEEEENSD_INSE_IyEEEENS6_16discard_iteratorINS6_11use_defaultEEESI_PmS8_NS6_8equal_toIjEEEE10hipError_tPvRmT2_T3_mT4_T5_T6_T7_T8_P12ihipStream_tbENKUlT_T0_E_clISt17integral_constantIbLb0EES15_IbLb1EEEEDaS11_S12_EUlS11_E_NS1_11comp_targetILNS1_3genE0ELNS1_11target_archE4294967295ELNS1_3gpuE0ELNS1_3repE0EEENS1_30default_config_static_selectorELNS0_4arch9wavefront6targetE1EEEvT1_,comdat
.Lfunc_end904:
	.size	_ZN7rocprim17ROCPRIM_400000_NS6detail17trampoline_kernelINS0_14default_configENS1_29reduce_by_key_config_selectorIjyN6thrust23THRUST_200600_302600_NS4plusIyEEEEZZNS1_33reduce_by_key_impl_wrapped_configILNS1_25lookback_scan_determinismE0ES3_S9_NS6_6detail15normal_iteratorINS6_10device_ptrIjEEEENSD_INSE_IyEEEENS6_16discard_iteratorINS6_11use_defaultEEESI_PmS8_NS6_8equal_toIjEEEE10hipError_tPvRmT2_T3_mT4_T5_T6_T7_T8_P12ihipStream_tbENKUlT_T0_E_clISt17integral_constantIbLb0EES15_IbLb1EEEEDaS11_S12_EUlS11_E_NS1_11comp_targetILNS1_3genE0ELNS1_11target_archE4294967295ELNS1_3gpuE0ELNS1_3repE0EEENS1_30default_config_static_selectorELNS0_4arch9wavefront6targetE1EEEvT1_, .Lfunc_end904-_ZN7rocprim17ROCPRIM_400000_NS6detail17trampoline_kernelINS0_14default_configENS1_29reduce_by_key_config_selectorIjyN6thrust23THRUST_200600_302600_NS4plusIyEEEEZZNS1_33reduce_by_key_impl_wrapped_configILNS1_25lookback_scan_determinismE0ES3_S9_NS6_6detail15normal_iteratorINS6_10device_ptrIjEEEENSD_INSE_IyEEEENS6_16discard_iteratorINS6_11use_defaultEEESI_PmS8_NS6_8equal_toIjEEEE10hipError_tPvRmT2_T3_mT4_T5_T6_T7_T8_P12ihipStream_tbENKUlT_T0_E_clISt17integral_constantIbLb0EES15_IbLb1EEEEDaS11_S12_EUlS11_E_NS1_11comp_targetILNS1_3genE0ELNS1_11target_archE4294967295ELNS1_3gpuE0ELNS1_3repE0EEENS1_30default_config_static_selectorELNS0_4arch9wavefront6targetE1EEEvT1_
                                        ; -- End function
	.section	.AMDGPU.csdata,"",@progbits
; Kernel info:
; codeLenInByte = 0
; NumSgprs: 4
; NumVgprs: 0
; NumAgprs: 0
; TotalNumVgprs: 0
; ScratchSize: 0
; MemoryBound: 0
; FloatMode: 240
; IeeeMode: 1
; LDSByteSize: 0 bytes/workgroup (compile time only)
; SGPRBlocks: 0
; VGPRBlocks: 0
; NumSGPRsForWavesPerEU: 4
; NumVGPRsForWavesPerEU: 1
; AccumOffset: 4
; Occupancy: 8
; WaveLimiterHint : 0
; COMPUTE_PGM_RSRC2:SCRATCH_EN: 0
; COMPUTE_PGM_RSRC2:USER_SGPR: 6
; COMPUTE_PGM_RSRC2:TRAP_HANDLER: 0
; COMPUTE_PGM_RSRC2:TGID_X_EN: 1
; COMPUTE_PGM_RSRC2:TGID_Y_EN: 0
; COMPUTE_PGM_RSRC2:TGID_Z_EN: 0
; COMPUTE_PGM_RSRC2:TIDIG_COMP_CNT: 0
; COMPUTE_PGM_RSRC3_GFX90A:ACCUM_OFFSET: 0
; COMPUTE_PGM_RSRC3_GFX90A:TG_SPLIT: 0
	.section	.text._ZN7rocprim17ROCPRIM_400000_NS6detail17trampoline_kernelINS0_14default_configENS1_29reduce_by_key_config_selectorIjyN6thrust23THRUST_200600_302600_NS4plusIyEEEEZZNS1_33reduce_by_key_impl_wrapped_configILNS1_25lookback_scan_determinismE0ES3_S9_NS6_6detail15normal_iteratorINS6_10device_ptrIjEEEENSD_INSE_IyEEEENS6_16discard_iteratorINS6_11use_defaultEEESI_PmS8_NS6_8equal_toIjEEEE10hipError_tPvRmT2_T3_mT4_T5_T6_T7_T8_P12ihipStream_tbENKUlT_T0_E_clISt17integral_constantIbLb0EES15_IbLb1EEEEDaS11_S12_EUlS11_E_NS1_11comp_targetILNS1_3genE5ELNS1_11target_archE942ELNS1_3gpuE9ELNS1_3repE0EEENS1_30default_config_static_selectorELNS0_4arch9wavefront6targetE1EEEvT1_,"axG",@progbits,_ZN7rocprim17ROCPRIM_400000_NS6detail17trampoline_kernelINS0_14default_configENS1_29reduce_by_key_config_selectorIjyN6thrust23THRUST_200600_302600_NS4plusIyEEEEZZNS1_33reduce_by_key_impl_wrapped_configILNS1_25lookback_scan_determinismE0ES3_S9_NS6_6detail15normal_iteratorINS6_10device_ptrIjEEEENSD_INSE_IyEEEENS6_16discard_iteratorINS6_11use_defaultEEESI_PmS8_NS6_8equal_toIjEEEE10hipError_tPvRmT2_T3_mT4_T5_T6_T7_T8_P12ihipStream_tbENKUlT_T0_E_clISt17integral_constantIbLb0EES15_IbLb1EEEEDaS11_S12_EUlS11_E_NS1_11comp_targetILNS1_3genE5ELNS1_11target_archE942ELNS1_3gpuE9ELNS1_3repE0EEENS1_30default_config_static_selectorELNS0_4arch9wavefront6targetE1EEEvT1_,comdat
	.protected	_ZN7rocprim17ROCPRIM_400000_NS6detail17trampoline_kernelINS0_14default_configENS1_29reduce_by_key_config_selectorIjyN6thrust23THRUST_200600_302600_NS4plusIyEEEEZZNS1_33reduce_by_key_impl_wrapped_configILNS1_25lookback_scan_determinismE0ES3_S9_NS6_6detail15normal_iteratorINS6_10device_ptrIjEEEENSD_INSE_IyEEEENS6_16discard_iteratorINS6_11use_defaultEEESI_PmS8_NS6_8equal_toIjEEEE10hipError_tPvRmT2_T3_mT4_T5_T6_T7_T8_P12ihipStream_tbENKUlT_T0_E_clISt17integral_constantIbLb0EES15_IbLb1EEEEDaS11_S12_EUlS11_E_NS1_11comp_targetILNS1_3genE5ELNS1_11target_archE942ELNS1_3gpuE9ELNS1_3repE0EEENS1_30default_config_static_selectorELNS0_4arch9wavefront6targetE1EEEvT1_ ; -- Begin function _ZN7rocprim17ROCPRIM_400000_NS6detail17trampoline_kernelINS0_14default_configENS1_29reduce_by_key_config_selectorIjyN6thrust23THRUST_200600_302600_NS4plusIyEEEEZZNS1_33reduce_by_key_impl_wrapped_configILNS1_25lookback_scan_determinismE0ES3_S9_NS6_6detail15normal_iteratorINS6_10device_ptrIjEEEENSD_INSE_IyEEEENS6_16discard_iteratorINS6_11use_defaultEEESI_PmS8_NS6_8equal_toIjEEEE10hipError_tPvRmT2_T3_mT4_T5_T6_T7_T8_P12ihipStream_tbENKUlT_T0_E_clISt17integral_constantIbLb0EES15_IbLb1EEEEDaS11_S12_EUlS11_E_NS1_11comp_targetILNS1_3genE5ELNS1_11target_archE942ELNS1_3gpuE9ELNS1_3repE0EEENS1_30default_config_static_selectorELNS0_4arch9wavefront6targetE1EEEvT1_
	.globl	_ZN7rocprim17ROCPRIM_400000_NS6detail17trampoline_kernelINS0_14default_configENS1_29reduce_by_key_config_selectorIjyN6thrust23THRUST_200600_302600_NS4plusIyEEEEZZNS1_33reduce_by_key_impl_wrapped_configILNS1_25lookback_scan_determinismE0ES3_S9_NS6_6detail15normal_iteratorINS6_10device_ptrIjEEEENSD_INSE_IyEEEENS6_16discard_iteratorINS6_11use_defaultEEESI_PmS8_NS6_8equal_toIjEEEE10hipError_tPvRmT2_T3_mT4_T5_T6_T7_T8_P12ihipStream_tbENKUlT_T0_E_clISt17integral_constantIbLb0EES15_IbLb1EEEEDaS11_S12_EUlS11_E_NS1_11comp_targetILNS1_3genE5ELNS1_11target_archE942ELNS1_3gpuE9ELNS1_3repE0EEENS1_30default_config_static_selectorELNS0_4arch9wavefront6targetE1EEEvT1_
	.p2align	8
	.type	_ZN7rocprim17ROCPRIM_400000_NS6detail17trampoline_kernelINS0_14default_configENS1_29reduce_by_key_config_selectorIjyN6thrust23THRUST_200600_302600_NS4plusIyEEEEZZNS1_33reduce_by_key_impl_wrapped_configILNS1_25lookback_scan_determinismE0ES3_S9_NS6_6detail15normal_iteratorINS6_10device_ptrIjEEEENSD_INSE_IyEEEENS6_16discard_iteratorINS6_11use_defaultEEESI_PmS8_NS6_8equal_toIjEEEE10hipError_tPvRmT2_T3_mT4_T5_T6_T7_T8_P12ihipStream_tbENKUlT_T0_E_clISt17integral_constantIbLb0EES15_IbLb1EEEEDaS11_S12_EUlS11_E_NS1_11comp_targetILNS1_3genE5ELNS1_11target_archE942ELNS1_3gpuE9ELNS1_3repE0EEENS1_30default_config_static_selectorELNS0_4arch9wavefront6targetE1EEEvT1_,@function
_ZN7rocprim17ROCPRIM_400000_NS6detail17trampoline_kernelINS0_14default_configENS1_29reduce_by_key_config_selectorIjyN6thrust23THRUST_200600_302600_NS4plusIyEEEEZZNS1_33reduce_by_key_impl_wrapped_configILNS1_25lookback_scan_determinismE0ES3_S9_NS6_6detail15normal_iteratorINS6_10device_ptrIjEEEENSD_INSE_IyEEEENS6_16discard_iteratorINS6_11use_defaultEEESI_PmS8_NS6_8equal_toIjEEEE10hipError_tPvRmT2_T3_mT4_T5_T6_T7_T8_P12ihipStream_tbENKUlT_T0_E_clISt17integral_constantIbLb0EES15_IbLb1EEEEDaS11_S12_EUlS11_E_NS1_11comp_targetILNS1_3genE5ELNS1_11target_archE942ELNS1_3gpuE9ELNS1_3repE0EEENS1_30default_config_static_selectorELNS0_4arch9wavefront6targetE1EEEvT1_: ; @_ZN7rocprim17ROCPRIM_400000_NS6detail17trampoline_kernelINS0_14default_configENS1_29reduce_by_key_config_selectorIjyN6thrust23THRUST_200600_302600_NS4plusIyEEEEZZNS1_33reduce_by_key_impl_wrapped_configILNS1_25lookback_scan_determinismE0ES3_S9_NS6_6detail15normal_iteratorINS6_10device_ptrIjEEEENSD_INSE_IyEEEENS6_16discard_iteratorINS6_11use_defaultEEESI_PmS8_NS6_8equal_toIjEEEE10hipError_tPvRmT2_T3_mT4_T5_T6_T7_T8_P12ihipStream_tbENKUlT_T0_E_clISt17integral_constantIbLb0EES15_IbLb1EEEEDaS11_S12_EUlS11_E_NS1_11comp_targetILNS1_3genE5ELNS1_11target_archE942ELNS1_3gpuE9ELNS1_3repE0EEENS1_30default_config_static_selectorELNS0_4arch9wavefront6targetE1EEEvT1_
; %bb.0:
	.section	.rodata,"a",@progbits
	.p2align	6, 0x0
	.amdhsa_kernel _ZN7rocprim17ROCPRIM_400000_NS6detail17trampoline_kernelINS0_14default_configENS1_29reduce_by_key_config_selectorIjyN6thrust23THRUST_200600_302600_NS4plusIyEEEEZZNS1_33reduce_by_key_impl_wrapped_configILNS1_25lookback_scan_determinismE0ES3_S9_NS6_6detail15normal_iteratorINS6_10device_ptrIjEEEENSD_INSE_IyEEEENS6_16discard_iteratorINS6_11use_defaultEEESI_PmS8_NS6_8equal_toIjEEEE10hipError_tPvRmT2_T3_mT4_T5_T6_T7_T8_P12ihipStream_tbENKUlT_T0_E_clISt17integral_constantIbLb0EES15_IbLb1EEEEDaS11_S12_EUlS11_E_NS1_11comp_targetILNS1_3genE5ELNS1_11target_archE942ELNS1_3gpuE9ELNS1_3repE0EEENS1_30default_config_static_selectorELNS0_4arch9wavefront6targetE1EEEvT1_
		.amdhsa_group_segment_fixed_size 0
		.amdhsa_private_segment_fixed_size 0
		.amdhsa_kernarg_size 144
		.amdhsa_user_sgpr_count 6
		.amdhsa_user_sgpr_private_segment_buffer 1
		.amdhsa_user_sgpr_dispatch_ptr 0
		.amdhsa_user_sgpr_queue_ptr 0
		.amdhsa_user_sgpr_kernarg_segment_ptr 1
		.amdhsa_user_sgpr_dispatch_id 0
		.amdhsa_user_sgpr_flat_scratch_init 0
		.amdhsa_user_sgpr_kernarg_preload_length 0
		.amdhsa_user_sgpr_kernarg_preload_offset 0
		.amdhsa_user_sgpr_private_segment_size 0
		.amdhsa_uses_dynamic_stack 0
		.amdhsa_system_sgpr_private_segment_wavefront_offset 0
		.amdhsa_system_sgpr_workgroup_id_x 1
		.amdhsa_system_sgpr_workgroup_id_y 0
		.amdhsa_system_sgpr_workgroup_id_z 0
		.amdhsa_system_sgpr_workgroup_info 0
		.amdhsa_system_vgpr_workitem_id 0
		.amdhsa_next_free_vgpr 1
		.amdhsa_next_free_sgpr 0
		.amdhsa_accum_offset 4
		.amdhsa_reserve_vcc 0
		.amdhsa_reserve_flat_scratch 0
		.amdhsa_float_round_mode_32 0
		.amdhsa_float_round_mode_16_64 0
		.amdhsa_float_denorm_mode_32 3
		.amdhsa_float_denorm_mode_16_64 3
		.amdhsa_dx10_clamp 1
		.amdhsa_ieee_mode 1
		.amdhsa_fp16_overflow 0
		.amdhsa_tg_split 0
		.amdhsa_exception_fp_ieee_invalid_op 0
		.amdhsa_exception_fp_denorm_src 0
		.amdhsa_exception_fp_ieee_div_zero 0
		.amdhsa_exception_fp_ieee_overflow 0
		.amdhsa_exception_fp_ieee_underflow 0
		.amdhsa_exception_fp_ieee_inexact 0
		.amdhsa_exception_int_div_zero 0
	.end_amdhsa_kernel
	.section	.text._ZN7rocprim17ROCPRIM_400000_NS6detail17trampoline_kernelINS0_14default_configENS1_29reduce_by_key_config_selectorIjyN6thrust23THRUST_200600_302600_NS4plusIyEEEEZZNS1_33reduce_by_key_impl_wrapped_configILNS1_25lookback_scan_determinismE0ES3_S9_NS6_6detail15normal_iteratorINS6_10device_ptrIjEEEENSD_INSE_IyEEEENS6_16discard_iteratorINS6_11use_defaultEEESI_PmS8_NS6_8equal_toIjEEEE10hipError_tPvRmT2_T3_mT4_T5_T6_T7_T8_P12ihipStream_tbENKUlT_T0_E_clISt17integral_constantIbLb0EES15_IbLb1EEEEDaS11_S12_EUlS11_E_NS1_11comp_targetILNS1_3genE5ELNS1_11target_archE942ELNS1_3gpuE9ELNS1_3repE0EEENS1_30default_config_static_selectorELNS0_4arch9wavefront6targetE1EEEvT1_,"axG",@progbits,_ZN7rocprim17ROCPRIM_400000_NS6detail17trampoline_kernelINS0_14default_configENS1_29reduce_by_key_config_selectorIjyN6thrust23THRUST_200600_302600_NS4plusIyEEEEZZNS1_33reduce_by_key_impl_wrapped_configILNS1_25lookback_scan_determinismE0ES3_S9_NS6_6detail15normal_iteratorINS6_10device_ptrIjEEEENSD_INSE_IyEEEENS6_16discard_iteratorINS6_11use_defaultEEESI_PmS8_NS6_8equal_toIjEEEE10hipError_tPvRmT2_T3_mT4_T5_T6_T7_T8_P12ihipStream_tbENKUlT_T0_E_clISt17integral_constantIbLb0EES15_IbLb1EEEEDaS11_S12_EUlS11_E_NS1_11comp_targetILNS1_3genE5ELNS1_11target_archE942ELNS1_3gpuE9ELNS1_3repE0EEENS1_30default_config_static_selectorELNS0_4arch9wavefront6targetE1EEEvT1_,comdat
.Lfunc_end905:
	.size	_ZN7rocprim17ROCPRIM_400000_NS6detail17trampoline_kernelINS0_14default_configENS1_29reduce_by_key_config_selectorIjyN6thrust23THRUST_200600_302600_NS4plusIyEEEEZZNS1_33reduce_by_key_impl_wrapped_configILNS1_25lookback_scan_determinismE0ES3_S9_NS6_6detail15normal_iteratorINS6_10device_ptrIjEEEENSD_INSE_IyEEEENS6_16discard_iteratorINS6_11use_defaultEEESI_PmS8_NS6_8equal_toIjEEEE10hipError_tPvRmT2_T3_mT4_T5_T6_T7_T8_P12ihipStream_tbENKUlT_T0_E_clISt17integral_constantIbLb0EES15_IbLb1EEEEDaS11_S12_EUlS11_E_NS1_11comp_targetILNS1_3genE5ELNS1_11target_archE942ELNS1_3gpuE9ELNS1_3repE0EEENS1_30default_config_static_selectorELNS0_4arch9wavefront6targetE1EEEvT1_, .Lfunc_end905-_ZN7rocprim17ROCPRIM_400000_NS6detail17trampoline_kernelINS0_14default_configENS1_29reduce_by_key_config_selectorIjyN6thrust23THRUST_200600_302600_NS4plusIyEEEEZZNS1_33reduce_by_key_impl_wrapped_configILNS1_25lookback_scan_determinismE0ES3_S9_NS6_6detail15normal_iteratorINS6_10device_ptrIjEEEENSD_INSE_IyEEEENS6_16discard_iteratorINS6_11use_defaultEEESI_PmS8_NS6_8equal_toIjEEEE10hipError_tPvRmT2_T3_mT4_T5_T6_T7_T8_P12ihipStream_tbENKUlT_T0_E_clISt17integral_constantIbLb0EES15_IbLb1EEEEDaS11_S12_EUlS11_E_NS1_11comp_targetILNS1_3genE5ELNS1_11target_archE942ELNS1_3gpuE9ELNS1_3repE0EEENS1_30default_config_static_selectorELNS0_4arch9wavefront6targetE1EEEvT1_
                                        ; -- End function
	.section	.AMDGPU.csdata,"",@progbits
; Kernel info:
; codeLenInByte = 0
; NumSgprs: 4
; NumVgprs: 0
; NumAgprs: 0
; TotalNumVgprs: 0
; ScratchSize: 0
; MemoryBound: 0
; FloatMode: 240
; IeeeMode: 1
; LDSByteSize: 0 bytes/workgroup (compile time only)
; SGPRBlocks: 0
; VGPRBlocks: 0
; NumSGPRsForWavesPerEU: 4
; NumVGPRsForWavesPerEU: 1
; AccumOffset: 4
; Occupancy: 8
; WaveLimiterHint : 0
; COMPUTE_PGM_RSRC2:SCRATCH_EN: 0
; COMPUTE_PGM_RSRC2:USER_SGPR: 6
; COMPUTE_PGM_RSRC2:TRAP_HANDLER: 0
; COMPUTE_PGM_RSRC2:TGID_X_EN: 1
; COMPUTE_PGM_RSRC2:TGID_Y_EN: 0
; COMPUTE_PGM_RSRC2:TGID_Z_EN: 0
; COMPUTE_PGM_RSRC2:TIDIG_COMP_CNT: 0
; COMPUTE_PGM_RSRC3_GFX90A:ACCUM_OFFSET: 0
; COMPUTE_PGM_RSRC3_GFX90A:TG_SPLIT: 0
	.section	.text._ZN7rocprim17ROCPRIM_400000_NS6detail17trampoline_kernelINS0_14default_configENS1_29reduce_by_key_config_selectorIjyN6thrust23THRUST_200600_302600_NS4plusIyEEEEZZNS1_33reduce_by_key_impl_wrapped_configILNS1_25lookback_scan_determinismE0ES3_S9_NS6_6detail15normal_iteratorINS6_10device_ptrIjEEEENSD_INSE_IyEEEENS6_16discard_iteratorINS6_11use_defaultEEESI_PmS8_NS6_8equal_toIjEEEE10hipError_tPvRmT2_T3_mT4_T5_T6_T7_T8_P12ihipStream_tbENKUlT_T0_E_clISt17integral_constantIbLb0EES15_IbLb1EEEEDaS11_S12_EUlS11_E_NS1_11comp_targetILNS1_3genE4ELNS1_11target_archE910ELNS1_3gpuE8ELNS1_3repE0EEENS1_30default_config_static_selectorELNS0_4arch9wavefront6targetE1EEEvT1_,"axG",@progbits,_ZN7rocprim17ROCPRIM_400000_NS6detail17trampoline_kernelINS0_14default_configENS1_29reduce_by_key_config_selectorIjyN6thrust23THRUST_200600_302600_NS4plusIyEEEEZZNS1_33reduce_by_key_impl_wrapped_configILNS1_25lookback_scan_determinismE0ES3_S9_NS6_6detail15normal_iteratorINS6_10device_ptrIjEEEENSD_INSE_IyEEEENS6_16discard_iteratorINS6_11use_defaultEEESI_PmS8_NS6_8equal_toIjEEEE10hipError_tPvRmT2_T3_mT4_T5_T6_T7_T8_P12ihipStream_tbENKUlT_T0_E_clISt17integral_constantIbLb0EES15_IbLb1EEEEDaS11_S12_EUlS11_E_NS1_11comp_targetILNS1_3genE4ELNS1_11target_archE910ELNS1_3gpuE8ELNS1_3repE0EEENS1_30default_config_static_selectorELNS0_4arch9wavefront6targetE1EEEvT1_,comdat
	.protected	_ZN7rocprim17ROCPRIM_400000_NS6detail17trampoline_kernelINS0_14default_configENS1_29reduce_by_key_config_selectorIjyN6thrust23THRUST_200600_302600_NS4plusIyEEEEZZNS1_33reduce_by_key_impl_wrapped_configILNS1_25lookback_scan_determinismE0ES3_S9_NS6_6detail15normal_iteratorINS6_10device_ptrIjEEEENSD_INSE_IyEEEENS6_16discard_iteratorINS6_11use_defaultEEESI_PmS8_NS6_8equal_toIjEEEE10hipError_tPvRmT2_T3_mT4_T5_T6_T7_T8_P12ihipStream_tbENKUlT_T0_E_clISt17integral_constantIbLb0EES15_IbLb1EEEEDaS11_S12_EUlS11_E_NS1_11comp_targetILNS1_3genE4ELNS1_11target_archE910ELNS1_3gpuE8ELNS1_3repE0EEENS1_30default_config_static_selectorELNS0_4arch9wavefront6targetE1EEEvT1_ ; -- Begin function _ZN7rocprim17ROCPRIM_400000_NS6detail17trampoline_kernelINS0_14default_configENS1_29reduce_by_key_config_selectorIjyN6thrust23THRUST_200600_302600_NS4plusIyEEEEZZNS1_33reduce_by_key_impl_wrapped_configILNS1_25lookback_scan_determinismE0ES3_S9_NS6_6detail15normal_iteratorINS6_10device_ptrIjEEEENSD_INSE_IyEEEENS6_16discard_iteratorINS6_11use_defaultEEESI_PmS8_NS6_8equal_toIjEEEE10hipError_tPvRmT2_T3_mT4_T5_T6_T7_T8_P12ihipStream_tbENKUlT_T0_E_clISt17integral_constantIbLb0EES15_IbLb1EEEEDaS11_S12_EUlS11_E_NS1_11comp_targetILNS1_3genE4ELNS1_11target_archE910ELNS1_3gpuE8ELNS1_3repE0EEENS1_30default_config_static_selectorELNS0_4arch9wavefront6targetE1EEEvT1_
	.globl	_ZN7rocprim17ROCPRIM_400000_NS6detail17trampoline_kernelINS0_14default_configENS1_29reduce_by_key_config_selectorIjyN6thrust23THRUST_200600_302600_NS4plusIyEEEEZZNS1_33reduce_by_key_impl_wrapped_configILNS1_25lookback_scan_determinismE0ES3_S9_NS6_6detail15normal_iteratorINS6_10device_ptrIjEEEENSD_INSE_IyEEEENS6_16discard_iteratorINS6_11use_defaultEEESI_PmS8_NS6_8equal_toIjEEEE10hipError_tPvRmT2_T3_mT4_T5_T6_T7_T8_P12ihipStream_tbENKUlT_T0_E_clISt17integral_constantIbLb0EES15_IbLb1EEEEDaS11_S12_EUlS11_E_NS1_11comp_targetILNS1_3genE4ELNS1_11target_archE910ELNS1_3gpuE8ELNS1_3repE0EEENS1_30default_config_static_selectorELNS0_4arch9wavefront6targetE1EEEvT1_
	.p2align	8
	.type	_ZN7rocprim17ROCPRIM_400000_NS6detail17trampoline_kernelINS0_14default_configENS1_29reduce_by_key_config_selectorIjyN6thrust23THRUST_200600_302600_NS4plusIyEEEEZZNS1_33reduce_by_key_impl_wrapped_configILNS1_25lookback_scan_determinismE0ES3_S9_NS6_6detail15normal_iteratorINS6_10device_ptrIjEEEENSD_INSE_IyEEEENS6_16discard_iteratorINS6_11use_defaultEEESI_PmS8_NS6_8equal_toIjEEEE10hipError_tPvRmT2_T3_mT4_T5_T6_T7_T8_P12ihipStream_tbENKUlT_T0_E_clISt17integral_constantIbLb0EES15_IbLb1EEEEDaS11_S12_EUlS11_E_NS1_11comp_targetILNS1_3genE4ELNS1_11target_archE910ELNS1_3gpuE8ELNS1_3repE0EEENS1_30default_config_static_selectorELNS0_4arch9wavefront6targetE1EEEvT1_,@function
_ZN7rocprim17ROCPRIM_400000_NS6detail17trampoline_kernelINS0_14default_configENS1_29reduce_by_key_config_selectorIjyN6thrust23THRUST_200600_302600_NS4plusIyEEEEZZNS1_33reduce_by_key_impl_wrapped_configILNS1_25lookback_scan_determinismE0ES3_S9_NS6_6detail15normal_iteratorINS6_10device_ptrIjEEEENSD_INSE_IyEEEENS6_16discard_iteratorINS6_11use_defaultEEESI_PmS8_NS6_8equal_toIjEEEE10hipError_tPvRmT2_T3_mT4_T5_T6_T7_T8_P12ihipStream_tbENKUlT_T0_E_clISt17integral_constantIbLb0EES15_IbLb1EEEEDaS11_S12_EUlS11_E_NS1_11comp_targetILNS1_3genE4ELNS1_11target_archE910ELNS1_3gpuE8ELNS1_3repE0EEENS1_30default_config_static_selectorELNS0_4arch9wavefront6targetE1EEEvT1_: ; @_ZN7rocprim17ROCPRIM_400000_NS6detail17trampoline_kernelINS0_14default_configENS1_29reduce_by_key_config_selectorIjyN6thrust23THRUST_200600_302600_NS4plusIyEEEEZZNS1_33reduce_by_key_impl_wrapped_configILNS1_25lookback_scan_determinismE0ES3_S9_NS6_6detail15normal_iteratorINS6_10device_ptrIjEEEENSD_INSE_IyEEEENS6_16discard_iteratorINS6_11use_defaultEEESI_PmS8_NS6_8equal_toIjEEEE10hipError_tPvRmT2_T3_mT4_T5_T6_T7_T8_P12ihipStream_tbENKUlT_T0_E_clISt17integral_constantIbLb0EES15_IbLb1EEEEDaS11_S12_EUlS11_E_NS1_11comp_targetILNS1_3genE4ELNS1_11target_archE910ELNS1_3gpuE8ELNS1_3repE0EEENS1_30default_config_static_selectorELNS0_4arch9wavefront6targetE1EEEvT1_
; %bb.0:
	s_load_dwordx4 s[8:11], s[4:5], 0x0
	s_load_dwordx2 s[6:7], s[4:5], 0x10
	s_load_dwordx2 s[56:57], s[4:5], 0x80
	v_cmp_ne_u32_e64 s[2:3], 0, v0
	v_cmp_eq_u32_e64 s[0:1], 0, v0
	s_and_saveexec_b64 s[12:13], s[0:1]
	s_cbranch_execz .LBB906_4
; %bb.1:
	s_mov_b64 s[16:17], exec
	v_mbcnt_lo_u32_b32 v1, s16, 0
	v_mbcnt_hi_u32_b32 v1, s17, v1
	v_cmp_eq_u32_e32 vcc, 0, v1
                                        ; implicit-def: $vgpr2
	s_and_saveexec_b64 s[14:15], vcc
	s_cbranch_execz .LBB906_3
; %bb.2:
	s_load_dwordx2 s[18:19], s[4:5], 0x88
	s_bcnt1_i32_b64 s16, s[16:17]
	v_mov_b32_e32 v2, 0
	v_mov_b32_e32 v3, s16
	s_waitcnt lgkmcnt(0)
	global_atomic_add v2, v2, v3, s[18:19] glc
.LBB906_3:
	s_or_b64 exec, exec, s[14:15]
	s_waitcnt vmcnt(0)
	v_readfirstlane_b32 s14, v2
	v_add_u32_e32 v1, s14, v1
	v_mov_b32_e32 v2, 0
	ds_write_b32 v2, v1
.LBB906_4:
	s_or_b64 exec, exec, s[12:13]
	s_load_dwordx4 s[52:55], s[4:5], 0x28
	s_load_dwordx16 s[36:51], s[4:5], 0x40
	s_waitcnt lgkmcnt(0)
	s_lshl_b64 s[4:5], s[10:11], 2
	v_mov_b32_e32 v3, 0
	s_add_u32 s8, s8, s4
	s_barrier
	ds_read_b32 v1, v3
	s_addc_u32 s9, s9, s5
	s_lshl_b64 s[4:5], s[10:11], 3
	s_add_u32 s4, s6, s4
	s_addc_u32 s5, s7, s5
	s_mul_i32 s6, s44, s43
	s_mul_hi_u32 s7, s44, s42
	s_add_i32 s6, s7, s6
	s_mul_i32 s7, s45, s42
	s_add_i32 s6, s6, s7
	s_mul_i32 s7, s44, s42
	s_waitcnt lgkmcnt(0)
	v_readfirstlane_b32 s62, v1
	s_movk_i32 s10, 0xf00
	v_mul_lo_u32 v2, v1, s10
	s_add_u32 s58, s7, s62
	v_lshlrev_b64 v[4:5], 2, v[2:3]
	s_addc_u32 s59, s6, 0
	v_mov_b32_e32 v1, s9
	v_add_co_u32_e32 v47, vcc, s8, v4
	s_add_u32 s6, s46, -1
	v_addc_co_u32_e32 v49, vcc, v1, v5, vcc
	v_lshlrev_b64 v[2:3], 3, v[2:3]
	s_addc_u32 s7, s47, -1
	v_mov_b32_e32 v1, s5
	v_add_co_u32_e32 v51, vcc, s4, v2
	s_cmp_eq_u64 s[58:59], s[6:7]
	v_addc_co_u32_e32 v53, vcc, v1, v3, vcc
	s_cselect_b64 s[44:45], -1, 0
	s_cmp_lg_u64 s[58:59], s[6:7]
	s_mov_b64 s[4:5], -1
	s_cselect_b64 s[46:47], -1, 0
	s_mul_i32 s33, s6, 0xfffff100
	s_and_b64 vcc, exec, s[44:45]
	v_lshlrev_b32_e32 v96, 2, v0
	v_mad_u32_u24 v48, v0, 15, 1
	v_mad_u32_u24 v50, v0, 15, 2
	;; [unrolled: 1-line block ×14, first 2 shown]
	s_barrier
	s_cbranch_vccnz .LBB906_6
; %bb.5:
	v_add_co_u32_e32 v2, vcc, v47, v96
	v_addc_co_u32_e32 v3, vcc, 0, v49, vcc
	v_add_co_u32_e32 v4, vcc, 0x1000, v2
	v_addc_co_u32_e32 v5, vcc, 0, v3, vcc
	flat_load_dword v1, v[2:3]
	flat_load_dword v6, v[2:3] offset:1024
	flat_load_dword v7, v[2:3] offset:2048
	flat_load_dword v8, v[2:3] offset:3072
	flat_load_dword v9, v[4:5]
	flat_load_dword v10, v[4:5] offset:1024
	flat_load_dword v11, v[4:5] offset:2048
	;; [unrolled: 1-line block ×3, first 2 shown]
	v_add_co_u32_e32 v4, vcc, 0x2000, v2
	v_addc_co_u32_e32 v5, vcc, 0, v3, vcc
	v_add_co_u32_e32 v2, vcc, 0x3000, v2
	v_addc_co_u32_e32 v3, vcc, 0, v3, vcc
	flat_load_dword v13, v[4:5]
	flat_load_dword v14, v[4:5] offset:1024
	flat_load_dword v15, v[4:5] offset:2048
	;; [unrolled: 1-line block ×3, first 2 shown]
	flat_load_dword v25, v[2:3]
	flat_load_dword v26, v[2:3] offset:1024
	flat_load_dword v27, v[2:3] offset:2048
	v_lshlrev_b32_e32 v2, 3, v0
	v_add_co_u32_e32 v16, vcc, v51, v2
	s_movk_i32 s4, 0x1000
	v_addc_co_u32_e32 v17, vcc, 0, v53, vcc
	v_add_co_u32_e32 v18, vcc, s4, v16
	s_movk_i32 s5, 0x2000
	v_addc_co_u32_e32 v19, vcc, 0, v17, vcc
	;; [unrolled: 3-line block ×3, first 2 shown]
	v_add_co_u32_e32 v22, vcc, s6, v16
	v_mad_u32_u24 v57, v0, 56, v96
	s_movk_i32 s7, 0x4000
	v_addc_co_u32_e32 v23, vcc, 0, v17, vcc
	s_movk_i32 s4, 0x5000
	v_mul_u32_u24_e32 v55, 15, v0
	s_waitcnt vmcnt(0) lgkmcnt(0)
	ds_write2st64_b32 v96, v1, v6 offset1:4
	ds_write2st64_b32 v96, v7, v8 offset0:8 offset1:12
	ds_write2st64_b32 v96, v9, v10 offset0:16 offset1:20
	;; [unrolled: 1-line block ×6, first 2 shown]
	ds_write_b32 v96, v27 offset:14336
	s_waitcnt lgkmcnt(0)
	s_barrier
	ds_read2_b32 v[14:15], v57 offset1:1
	ds_read2_b32 v[12:13], v57 offset0:2 offset1:3
	ds_read2_b32 v[10:11], v57 offset0:4 offset1:5
	;; [unrolled: 1-line block ×6, first 2 shown]
	ds_read_b32 v1, v57 offset:56
	s_waitcnt lgkmcnt(0)
	s_barrier
	flat_load_dwordx2 v[24:25], v[16:17]
	flat_load_dwordx2 v[26:27], v[16:17] offset:2048
	flat_load_dwordx2 v[28:29], v[18:19]
	flat_load_dwordx2 v[30:31], v[18:19] offset:2048
	;; [unrolled: 2-line block ×4, first 2 shown]
	v_add_co_u32_e32 v18, vcc, s7, v16
	v_addc_co_u32_e32 v19, vcc, 0, v17, vcc
	v_add_co_u32_e32 v20, vcc, s4, v16
	v_addc_co_u32_e32 v21, vcc, 0, v17, vcc
	s_movk_i32 s4, 0x6000
	flat_load_dwordx2 v[22:23], v[18:19]
	flat_load_dwordx2 v[40:41], v[18:19] offset:2048
	flat_load_dwordx2 v[42:43], v[20:21]
	flat_load_dwordx2 v[44:45], v[20:21] offset:2048
	v_add_co_u32_e32 v18, vcc, s4, v16
	v_addc_co_u32_e32 v19, vcc, 0, v17, vcc
	s_movk_i32 s4, 0x7000
	v_add_co_u32_e32 v16, vcc, s4, v16
	v_addc_co_u32_e32 v17, vcc, 0, v17, vcc
	flat_load_dwordx2 v[20:21], v[18:19]
	flat_load_dwordx2 v[82:83], v[18:19] offset:2048
	flat_load_dwordx2 v[84:85], v[16:17]
	s_movk_i32 s4, 0xffcc
	v_mad_i32_i24 v16, v0, s4, v57
	v_mov_b32_e32 v80, v14
	v_mov_b32_e32 v81, v12
	;; [unrolled: 1-line block ×7, first 2 shown]
	s_mov_b64 s[4:5], 0
	s_waitcnt vmcnt(0) lgkmcnt(0)
	ds_write2st64_b64 v16, v[24:25], v[26:27] offset1:4
	ds_write2st64_b64 v16, v[28:29], v[30:31] offset0:8 offset1:12
	ds_write2st64_b64 v16, v[32:33], v[34:35] offset0:16 offset1:20
	;; [unrolled: 1-line block ×6, first 2 shown]
	ds_write_b64 v16, v[84:85] offset:28672
	s_waitcnt lgkmcnt(0)
	s_barrier
	s_branch .LBB906_7
.LBB906_6:
                                        ; implicit-def: $vgpr1
                                        ; implicit-def: $vgpr2
                                        ; implicit-def: $vgpr4
                                        ; implicit-def: $vgpr6
                                        ; implicit-def: $vgpr8
                                        ; implicit-def: $vgpr10
                                        ; implicit-def: $vgpr12
                                        ; implicit-def: $vgpr14
                                        ; implicit-def: $vgpr55
                                        ; implicit-def: $vgpr74_vgpr75
                                        ; implicit-def: $vgpr76_vgpr77
                                        ; implicit-def: $vgpr80_vgpr81
                                        ; implicit-def: $vgpr78_vgpr79
.LBB906_7:
	s_add_i32 s33, s33, s48
	s_andn2_b64 vcc, exec, s[4:5]
	v_mov_b32_e32 v59, v46
	v_mov_b32_e32 v61, v72
	;; [unrolled: 1-line block ×14, first 2 shown]
	s_cbranch_vccnz .LBB906_69
; %bb.8:
	v_cmp_gt_u32_e32 vcc, s33, v0
                                        ; implicit-def: $vgpr1
	s_and_saveexec_b64 s[6:7], vcc
	s_cbranch_execz .LBB906_10
; %bb.9:
	v_add_co_u32_e64 v2, s[4:5], v47, v96
	v_addc_co_u32_e64 v3, s[4:5], 0, v49, s[4:5]
	flat_load_dword v1, v[2:3]
.LBB906_10:
	s_or_b64 exec, exec, s[6:7]
	v_or_b32_e32 v2, 0x100, v0
	v_cmp_gt_u32_e64 s[4:5], s33, v2
                                        ; implicit-def: $vgpr2
	s_and_saveexec_b64 s[8:9], s[4:5]
	s_cbranch_execz .LBB906_12
; %bb.11:
	v_add_co_u32_e64 v2, s[6:7], v47, v96
	v_addc_co_u32_e64 v3, s[6:7], 0, v49, s[6:7]
	flat_load_dword v2, v[2:3] offset:1024
.LBB906_12:
	s_or_b64 exec, exec, s[8:9]
	v_or_b32_e32 v22, 0x200, v0
	v_cmp_gt_u32_e64 s[6:7], s33, v22
                                        ; implicit-def: $vgpr3
	s_and_saveexec_b64 s[10:11], s[6:7]
	s_cbranch_execz .LBB906_14
; %bb.13:
	v_add_co_u32_e64 v4, s[8:9], v47, v96
	v_addc_co_u32_e64 v5, s[8:9], 0, v49, s[8:9]
	flat_load_dword v3, v[4:5] offset:2048
.LBB906_14:
	s_or_b64 exec, exec, s[10:11]
	v_or_b32_e32 v24, 0x300, v0
	v_cmp_gt_u32_e64 s[8:9], s33, v24
                                        ; implicit-def: $vgpr4
	s_and_saveexec_b64 s[12:13], s[8:9]
	s_cbranch_execz .LBB906_16
; %bb.15:
	v_add_co_u32_e64 v4, s[10:11], v47, v96
	v_addc_co_u32_e64 v5, s[10:11], 0, v49, s[10:11]
	flat_load_dword v4, v[4:5] offset:3072
.LBB906_16:
	s_or_b64 exec, exec, s[12:13]
	v_or_b32_e32 v26, 0x400, v0
	v_cmp_gt_u32_e64 s[10:11], s33, v26
                                        ; implicit-def: $vgpr5
	s_and_saveexec_b64 s[14:15], s[10:11]
	s_cbranch_execz .LBB906_18
; %bb.17:
	v_lshlrev_b32_e32 v5, 2, v26
	v_add_co_u32_e64 v6, s[12:13], v47, v5
	v_addc_co_u32_e64 v7, s[12:13], 0, v49, s[12:13]
	flat_load_dword v5, v[6:7]
.LBB906_18:
	s_or_b64 exec, exec, s[14:15]
	v_or_b32_e32 v28, 0x500, v0
	v_cmp_gt_u32_e64 s[12:13], s33, v28
                                        ; implicit-def: $vgpr6
	s_and_saveexec_b64 s[16:17], s[12:13]
	s_cbranch_execz .LBB906_20
; %bb.19:
	v_lshlrev_b32_e32 v6, 2, v28
	v_add_co_u32_e64 v6, s[14:15], v47, v6
	v_addc_co_u32_e64 v7, s[14:15], 0, v49, s[14:15]
	flat_load_dword v6, v[6:7]
.LBB906_20:
	s_or_b64 exec, exec, s[16:17]
	v_or_b32_e32 v30, 0x600, v0
	v_cmp_gt_u32_e64 s[14:15], s33, v30
                                        ; implicit-def: $vgpr7
	s_and_saveexec_b64 s[18:19], s[14:15]
	s_cbranch_execz .LBB906_22
; %bb.21:
	v_lshlrev_b32_e32 v7, 2, v30
	v_add_co_u32_e64 v8, s[16:17], v47, v7
	v_addc_co_u32_e64 v9, s[16:17], 0, v49, s[16:17]
	flat_load_dword v7, v[8:9]
.LBB906_22:
	s_or_b64 exec, exec, s[18:19]
	v_or_b32_e32 v32, 0x700, v0
	v_cmp_gt_u32_e64 s[16:17], s33, v32
                                        ; implicit-def: $vgpr8
	s_and_saveexec_b64 s[20:21], s[16:17]
	s_cbranch_execz .LBB906_24
; %bb.23:
	v_lshlrev_b32_e32 v8, 2, v32
	v_add_co_u32_e64 v8, s[18:19], v47, v8
	v_addc_co_u32_e64 v9, s[18:19], 0, v49, s[18:19]
	flat_load_dword v8, v[8:9]
.LBB906_24:
	s_or_b64 exec, exec, s[20:21]
	v_or_b32_e32 v34, 0x800, v0
	v_cmp_gt_u32_e64 s[18:19], s33, v34
                                        ; implicit-def: $vgpr9
	s_and_saveexec_b64 s[22:23], s[18:19]
	s_cbranch_execz .LBB906_26
; %bb.25:
	v_lshlrev_b32_e32 v9, 2, v34
	v_add_co_u32_e64 v10, s[20:21], v47, v9
	v_addc_co_u32_e64 v11, s[20:21], 0, v49, s[20:21]
	flat_load_dword v9, v[10:11]
.LBB906_26:
	s_or_b64 exec, exec, s[22:23]
	v_or_b32_e32 v36, 0x900, v0
	v_cmp_gt_u32_e64 s[20:21], s33, v36
                                        ; implicit-def: $vgpr10
	s_and_saveexec_b64 s[24:25], s[20:21]
	s_cbranch_execz .LBB906_28
; %bb.27:
	v_lshlrev_b32_e32 v10, 2, v36
	v_add_co_u32_e64 v10, s[22:23], v47, v10
	v_addc_co_u32_e64 v11, s[22:23], 0, v49, s[22:23]
	flat_load_dword v10, v[10:11]
.LBB906_28:
	s_or_b64 exec, exec, s[24:25]
	v_or_b32_e32 v38, 0xa00, v0
	v_cmp_gt_u32_e64 s[22:23], s33, v38
                                        ; implicit-def: $vgpr11
	s_and_saveexec_b64 s[26:27], s[22:23]
	s_cbranch_execz .LBB906_30
; %bb.29:
	v_lshlrev_b32_e32 v11, 2, v38
	v_add_co_u32_e64 v12, s[24:25], v47, v11
	v_addc_co_u32_e64 v13, s[24:25], 0, v49, s[24:25]
	flat_load_dword v11, v[12:13]
.LBB906_30:
	s_or_b64 exec, exec, s[26:27]
	v_or_b32_e32 v40, 0xb00, v0
	v_cmp_gt_u32_e64 s[24:25], s33, v40
                                        ; implicit-def: $vgpr12
	s_and_saveexec_b64 s[28:29], s[24:25]
	s_cbranch_execz .LBB906_32
; %bb.31:
	v_lshlrev_b32_e32 v12, 2, v40
	v_add_co_u32_e64 v12, s[26:27], v47, v12
	v_addc_co_u32_e64 v13, s[26:27], 0, v49, s[26:27]
	flat_load_dword v12, v[12:13]
.LBB906_32:
	s_or_b64 exec, exec, s[28:29]
	v_or_b32_e32 v42, 0xc00, v0
	v_cmp_gt_u32_e64 s[26:27], s33, v42
                                        ; implicit-def: $vgpr13
	s_and_saveexec_b64 s[30:31], s[26:27]
	s_cbranch_execz .LBB906_34
; %bb.33:
	v_lshlrev_b32_e32 v13, 2, v42
	v_add_co_u32_e64 v14, s[28:29], v47, v13
	v_addc_co_u32_e64 v15, s[28:29], 0, v49, s[28:29]
	flat_load_dword v13, v[14:15]
.LBB906_34:
	s_or_b64 exec, exec, s[30:31]
	v_or_b32_e32 v44, 0xd00, v0
	v_cmp_gt_u32_e64 s[28:29], s33, v44
                                        ; implicit-def: $vgpr14
	s_and_saveexec_b64 s[34:35], s[28:29]
	s_cbranch_execz .LBB906_36
; %bb.35:
	v_lshlrev_b32_e32 v14, 2, v44
	v_add_co_u32_e64 v14, s[30:31], v47, v14
	v_addc_co_u32_e64 v15, s[30:31], 0, v49, s[30:31]
	flat_load_dword v14, v[14:15]
.LBB906_36:
	s_or_b64 exec, exec, s[34:35]
	v_or_b32_e32 v59, 0xe00, v0
	v_cmp_gt_u32_e64 s[30:31], s33, v59
                                        ; implicit-def: $vgpr15
	s_and_saveexec_b64 s[60:61], s[30:31]
	s_cbranch_execz .LBB906_38
; %bb.37:
	v_lshlrev_b32_e32 v15, 2, v59
	v_add_co_u32_e64 v16, s[34:35], v47, v15
	v_addc_co_u32_e64 v17, s[34:35], 0, v49, s[34:35]
	flat_load_dword v15, v[16:17]
.LBB906_38:
	s_or_b64 exec, exec, s[60:61]
	v_mad_u32_u24 v57, v0, 56, v96
	s_waitcnt vmcnt(0) lgkmcnt(0)
	ds_write2st64_b32 v96, v1, v2 offset1:4
	ds_write2st64_b32 v96, v3, v4 offset0:8 offset1:12
	ds_write2st64_b32 v96, v5, v6 offset0:16 offset1:20
	;; [unrolled: 1-line block ×6, first 2 shown]
	ds_write_b32 v96, v15 offset:14336
	s_waitcnt lgkmcnt(0)
	s_barrier
	ds_read2_b32 v[14:15], v57 offset1:1
	ds_read2_b32 v[12:13], v57 offset0:2 offset1:3
	ds_read2_b32 v[10:11], v57 offset0:4 offset1:5
	;; [unrolled: 1-line block ×6, first 2 shown]
	ds_read_b32 v1, v57 offset:56
	s_waitcnt lgkmcnt(0)
	s_barrier
	s_waitcnt lgkmcnt(0)
                                        ; implicit-def: $vgpr16_vgpr17
	s_and_saveexec_b64 s[34:35], vcc
	s_cbranch_execz .LBB906_52
; %bb.39:
	v_lshlrev_b32_e32 v16, 3, v0
	v_add_co_u32_e32 v16, vcc, v51, v16
	v_addc_co_u32_e32 v17, vcc, 0, v53, vcc
	flat_load_dwordx2 v[16:17], v[16:17]
	s_or_b64 exec, exec, s[34:35]
                                        ; implicit-def: $vgpr18_vgpr19
	s_and_saveexec_b64 s[34:35], s[4:5]
	s_cbranch_execnz .LBB906_53
.LBB906_40:
	s_or_b64 exec, exec, s[34:35]
                                        ; implicit-def: $vgpr20_vgpr21
	s_and_saveexec_b64 s[4:5], s[6:7]
	s_cbranch_execz .LBB906_54
.LBB906_41:
	v_lshlrev_b32_e32 v20, 3, v22
	v_add_co_u32_e32 v20, vcc, v51, v20
	v_addc_co_u32_e32 v21, vcc, 0, v53, vcc
	flat_load_dwordx2 v[20:21], v[20:21]
	s_or_b64 exec, exec, s[4:5]
                                        ; implicit-def: $vgpr22_vgpr23
	s_and_saveexec_b64 s[4:5], s[8:9]
	s_cbranch_execnz .LBB906_55
.LBB906_42:
	s_or_b64 exec, exec, s[4:5]
                                        ; implicit-def: $vgpr24_vgpr25
	s_and_saveexec_b64 s[4:5], s[10:11]
	s_cbranch_execz .LBB906_56
.LBB906_43:
	v_lshlrev_b32_e32 v24, 3, v26
	v_add_co_u32_e32 v24, vcc, v51, v24
	v_addc_co_u32_e32 v25, vcc, 0, v53, vcc
	flat_load_dwordx2 v[24:25], v[24:25]
	s_or_b64 exec, exec, s[4:5]
                                        ; implicit-def: $vgpr26_vgpr27
	s_and_saveexec_b64 s[4:5], s[12:13]
	s_cbranch_execnz .LBB906_57
.LBB906_44:
	s_or_b64 exec, exec, s[4:5]
                                        ; implicit-def: $vgpr28_vgpr29
	s_and_saveexec_b64 s[4:5], s[14:15]
	s_cbranch_execz .LBB906_58
.LBB906_45:
	v_lshlrev_b32_e32 v28, 3, v30
	v_add_co_u32_e32 v28, vcc, v51, v28
	v_addc_co_u32_e32 v29, vcc, 0, v53, vcc
	flat_load_dwordx2 v[28:29], v[28:29]
	s_or_b64 exec, exec, s[4:5]
                                        ; implicit-def: $vgpr30_vgpr31
	s_and_saveexec_b64 s[4:5], s[16:17]
	s_cbranch_execnz .LBB906_59
.LBB906_46:
	s_or_b64 exec, exec, s[4:5]
                                        ; implicit-def: $vgpr32_vgpr33
	s_and_saveexec_b64 s[4:5], s[18:19]
	s_cbranch_execz .LBB906_60
.LBB906_47:
	v_lshlrev_b32_e32 v32, 3, v34
	v_add_co_u32_e32 v32, vcc, v51, v32
	v_addc_co_u32_e32 v33, vcc, 0, v53, vcc
	flat_load_dwordx2 v[32:33], v[32:33]
	s_or_b64 exec, exec, s[4:5]
                                        ; implicit-def: $vgpr34_vgpr35
	s_and_saveexec_b64 s[4:5], s[20:21]
	s_cbranch_execnz .LBB906_61
.LBB906_48:
	s_or_b64 exec, exec, s[4:5]
                                        ; implicit-def: $vgpr36_vgpr37
	s_and_saveexec_b64 s[4:5], s[22:23]
	s_cbranch_execz .LBB906_62
.LBB906_49:
	v_lshlrev_b32_e32 v36, 3, v38
	v_add_co_u32_e32 v36, vcc, v51, v36
	v_addc_co_u32_e32 v37, vcc, 0, v53, vcc
	flat_load_dwordx2 v[36:37], v[36:37]
	s_or_b64 exec, exec, s[4:5]
                                        ; implicit-def: $vgpr38_vgpr39
	s_and_saveexec_b64 s[4:5], s[24:25]
	s_cbranch_execnz .LBB906_63
.LBB906_50:
	s_or_b64 exec, exec, s[4:5]
                                        ; implicit-def: $vgpr40_vgpr41
	s_and_saveexec_b64 s[4:5], s[26:27]
	s_cbranch_execz .LBB906_64
.LBB906_51:
	v_lshlrev_b32_e32 v40, 3, v42
	v_add_co_u32_e32 v40, vcc, v51, v40
	v_addc_co_u32_e32 v41, vcc, 0, v53, vcc
	flat_load_dwordx2 v[40:41], v[40:41]
	s_or_b64 exec, exec, s[4:5]
                                        ; implicit-def: $vgpr42_vgpr43
	s_and_saveexec_b64 s[4:5], s[28:29]
	s_cbranch_execz .LBB906_66
	s_branch .LBB906_65
.LBB906_52:
	s_or_b64 exec, exec, s[34:35]
                                        ; implicit-def: $vgpr18_vgpr19
	s_and_saveexec_b64 s[34:35], s[4:5]
	s_cbranch_execz .LBB906_40
.LBB906_53:
	v_lshlrev_b32_e32 v18, 3, v0
	v_add_co_u32_e32 v18, vcc, v51, v18
	v_addc_co_u32_e32 v19, vcc, 0, v53, vcc
	flat_load_dwordx2 v[18:19], v[18:19] offset:2048
	s_or_b64 exec, exec, s[34:35]
                                        ; implicit-def: $vgpr20_vgpr21
	s_and_saveexec_b64 s[4:5], s[6:7]
	s_cbranch_execnz .LBB906_41
.LBB906_54:
	s_or_b64 exec, exec, s[4:5]
                                        ; implicit-def: $vgpr22_vgpr23
	s_and_saveexec_b64 s[4:5], s[8:9]
	s_cbranch_execz .LBB906_42
.LBB906_55:
	v_lshlrev_b32_e32 v22, 3, v24
	v_add_co_u32_e32 v22, vcc, v51, v22
	v_addc_co_u32_e32 v23, vcc, 0, v53, vcc
	flat_load_dwordx2 v[22:23], v[22:23]
	s_or_b64 exec, exec, s[4:5]
                                        ; implicit-def: $vgpr24_vgpr25
	s_and_saveexec_b64 s[4:5], s[10:11]
	s_cbranch_execnz .LBB906_43
.LBB906_56:
	s_or_b64 exec, exec, s[4:5]
                                        ; implicit-def: $vgpr26_vgpr27
	s_and_saveexec_b64 s[4:5], s[12:13]
	s_cbranch_execz .LBB906_44
.LBB906_57:
	v_lshlrev_b32_e32 v26, 3, v28
	v_add_co_u32_e32 v26, vcc, v51, v26
	v_addc_co_u32_e32 v27, vcc, 0, v53, vcc
	flat_load_dwordx2 v[26:27], v[26:27]
	s_or_b64 exec, exec, s[4:5]
                                        ; implicit-def: $vgpr28_vgpr29
	s_and_saveexec_b64 s[4:5], s[14:15]
	s_cbranch_execnz .LBB906_45
.LBB906_58:
	s_or_b64 exec, exec, s[4:5]
                                        ; implicit-def: $vgpr30_vgpr31
	s_and_saveexec_b64 s[4:5], s[16:17]
	s_cbranch_execz .LBB906_46
.LBB906_59:
	v_lshlrev_b32_e32 v30, 3, v32
	v_add_co_u32_e32 v30, vcc, v51, v30
	v_addc_co_u32_e32 v31, vcc, 0, v53, vcc
	flat_load_dwordx2 v[30:31], v[30:31]
	s_or_b64 exec, exec, s[4:5]
                                        ; implicit-def: $vgpr32_vgpr33
	s_and_saveexec_b64 s[4:5], s[18:19]
	s_cbranch_execnz .LBB906_47
.LBB906_60:
	s_or_b64 exec, exec, s[4:5]
                                        ; implicit-def: $vgpr34_vgpr35
	s_and_saveexec_b64 s[4:5], s[20:21]
	s_cbranch_execz .LBB906_48
.LBB906_61:
	v_lshlrev_b32_e32 v34, 3, v36
	v_add_co_u32_e32 v34, vcc, v51, v34
	v_addc_co_u32_e32 v35, vcc, 0, v53, vcc
	flat_load_dwordx2 v[34:35], v[34:35]
	s_or_b64 exec, exec, s[4:5]
                                        ; implicit-def: $vgpr36_vgpr37
	s_and_saveexec_b64 s[4:5], s[22:23]
	s_cbranch_execnz .LBB906_49
.LBB906_62:
	s_or_b64 exec, exec, s[4:5]
                                        ; implicit-def: $vgpr38_vgpr39
	s_and_saveexec_b64 s[4:5], s[24:25]
	s_cbranch_execz .LBB906_50
.LBB906_63:
	v_lshlrev_b32_e32 v38, 3, v40
	v_add_co_u32_e32 v38, vcc, v51, v38
	v_addc_co_u32_e32 v39, vcc, 0, v53, vcc
	flat_load_dwordx2 v[38:39], v[38:39]
	s_or_b64 exec, exec, s[4:5]
                                        ; implicit-def: $vgpr40_vgpr41
	s_and_saveexec_b64 s[4:5], s[26:27]
	s_cbranch_execnz .LBB906_51
.LBB906_64:
	s_or_b64 exec, exec, s[4:5]
                                        ; implicit-def: $vgpr42_vgpr43
	s_and_saveexec_b64 s[4:5], s[28:29]
	s_cbranch_execz .LBB906_66
.LBB906_65:
	v_lshlrev_b32_e32 v42, 3, v44
	v_add_co_u32_e32 v42, vcc, v51, v42
	v_addc_co_u32_e32 v43, vcc, 0, v53, vcc
	flat_load_dwordx2 v[42:43], v[42:43]
.LBB906_66:
	s_or_b64 exec, exec, s[4:5]
	v_mul_u32_u24_e32 v55, 15, v0
                                        ; implicit-def: $vgpr44_vgpr45
	s_and_saveexec_b64 s[4:5], s[30:31]
	s_cbranch_execz .LBB906_68
; %bb.67:
	v_lshlrev_b32_e32 v44, 3, v59
	v_add_co_u32_e32 v44, vcc, v51, v44
	v_addc_co_u32_e32 v45, vcc, 0, v53, vcc
	flat_load_dwordx2 v[44:45], v[44:45]
.LBB906_68:
	s_or_b64 exec, exec, s[4:5]
	s_movk_i32 s4, 0xffcc
	v_add_u32_e32 v86, 1, v55
	v_add_u32_e32 v85, 2, v55
	;; [unrolled: 1-line block ×14, first 2 shown]
	v_mad_i32_i24 v51, v0, s4, v57
	v_mov_b32_e32 v80, v14
	v_mov_b32_e32 v81, v12
	;; [unrolled: 1-line block ×7, first 2 shown]
	s_waitcnt vmcnt(0) lgkmcnt(0)
	ds_write2st64_b64 v51, v[16:17], v[18:19] offset1:4
	ds_write2st64_b64 v51, v[20:21], v[22:23] offset0:8 offset1:12
	ds_write2st64_b64 v51, v[24:25], v[26:27] offset0:16 offset1:20
	;; [unrolled: 1-line block ×6, first 2 shown]
	ds_write_b64 v51, v[44:45] offset:28672
	s_waitcnt lgkmcnt(0)
	s_barrier
.LBB906_69:
	v_lshlrev_b32_e32 v16, 3, v55
	v_lshlrev_b32_e32 v17, 3, v86
	v_lshlrev_b32_e32 v18, 3, v85
	v_lshlrev_b32_e32 v19, 3, v84
	ds_read_b64 v[42:43], v16
	ds_read_b64 v[40:41], v17
	ds_read_b64 v[38:39], v18
	ds_read_b64 v[34:35], v19
	v_lshlrev_b32_e32 v16, 3, v83
	v_lshlrev_b32_e32 v17, 3, v82
	v_lshlrev_b32_e32 v18, 3, v79
	v_lshlrev_b32_e32 v19, 3, v73
	ds_read_b64 v[36:37], v16
	ds_read_b64 v[32:33], v17
	ds_read_b64 v[30:31], v18
	ds_read_b64 v[26:27], v19
	;; [unrolled: 8-line block ×3, first 2 shown]
	v_lshlrev_b32_e32 v16, 3, v63
	v_lshlrev_b32_e32 v17, 3, v61
	;; [unrolled: 1-line block ×3, first 2 shown]
	ds_read_b64 v[18:19], v16
	ds_read_b64 v[16:17], v17
	;; [unrolled: 1-line block ×3, first 2 shown]
	s_cmp_eq_u64 s[58:59], 0
	s_cselect_b64 s[34:35], -1, 0
	s_cmp_lg_u64 s[58:59], 0
	s_mov_b64 s[60:61], 0
	s_cselect_b64 s[6:7], -1, 0
	s_and_b64 vcc, exec, s[46:47]
	s_waitcnt lgkmcnt(0)
	s_barrier
	s_cbranch_vccz .LBB906_75
; %bb.70:
	s_and_b64 vcc, exec, s[6:7]
	s_cbranch_vccz .LBB906_192
; %bb.71:
	v_add_co_u32_e32 v82, vcc, -4, v47
	v_addc_co_u32_e32 v83, vcc, -1, v49, vcc
	flat_load_dword v51, v[82:83]
	ds_write_b32 v96, v1
	s_waitcnt lgkmcnt(0)
	s_barrier
	s_and_saveexec_b64 s[4:5], s[2:3]
	s_cbranch_execz .LBB906_73
; %bb.72:
	s_waitcnt vmcnt(0)
	v_add_u32_e32 v51, -4, v96
	ds_read_b32 v51, v51
.LBB906_73:
	s_or_b64 exec, exec, s[4:5]
	v_cmp_ne_u32_e32 vcc, v80, v15
	v_cndmask_b32_e64 v95, 0, 1, vcc
	v_cmp_ne_u32_e32 vcc, v81, v15
	v_cndmask_b32_e64 v94, 0, 1, vcc
	;; [unrolled: 2-line block ×14, first 2 shown]
	s_waitcnt vmcnt(0) lgkmcnt(0)
	v_cmp_ne_u32_e64 s[4:5], v51, v14
	s_mov_b64 s[60:61], -1
.LBB906_74:
                                        ; implicit-def: $sgpr10
	s_branch .LBB906_76
.LBB906_75:
                                        ; implicit-def: $sgpr4_sgpr5
                                        ; implicit-def: $vgpr82
                                        ; implicit-def: $vgpr83
                                        ; implicit-def: $vgpr84
                                        ; implicit-def: $vgpr85
                                        ; implicit-def: $vgpr86
                                        ; implicit-def: $vgpr87
                                        ; implicit-def: $vgpr88
                                        ; implicit-def: $vgpr89
                                        ; implicit-def: $vgpr90
                                        ; implicit-def: $vgpr91
                                        ; implicit-def: $vgpr92
                                        ; implicit-def: $vgpr93
                                        ; implicit-def: $vgpr94
                                        ; implicit-def: $vgpr95
                                        ; implicit-def: $sgpr10
	s_cbranch_execnz .LBB906_196
.LBB906_76:
	v_mov_b32_e32 v96, s10
	s_and_saveexec_b64 s[2:3], s[60:61]
.LBB906_77:
	v_cndmask_b32_e64 v96, 0, 1, s[4:5]
.LBB906_78:
	s_or_b64 exec, exec, s[2:3]
	s_cmp_eq_u64 s[42:43], 0
	v_add3_u32 v46, v95, v96, v94
	s_cselect_b64 s[30:31], -1, 0
	s_cmp_lg_u32 s62, 0
	v_cmp_eq_u32_e64 s[26:27], 0, v95
	v_cmp_eq_u32_e64 s[24:25], 0, v94
	;; [unrolled: 1-line block ×3, first 2 shown]
	v_add3_u32 v99, v46, v93, v92
	v_cmp_eq_u32_e64 s[20:21], 0, v92
	v_cmp_eq_u32_e64 s[18:19], 0, v91
	;; [unrolled: 1-line block ×10, first 2 shown]
	v_cmp_eq_u32_e32 vcc, 0, v82
	v_mbcnt_lo_u32_b32 v97, -1, 0
	s_cbranch_scc0 .LBB906_145
; %bb.79:
	v_cndmask_b32_e64 v47, 0, v42, s[26:27]
	v_cndmask_b32_e64 v46, 0, v43, s[26:27]
	v_add_co_u32_e64 v47, s[28:29], v47, v40
	v_addc_co_u32_e64 v46, s[28:29], v46, v41, s[28:29]
	v_cndmask_b32_e64 v47, 0, v47, s[24:25]
	v_cndmask_b32_e64 v46, 0, v46, s[24:25]
	v_add_co_u32_e64 v47, s[28:29], v47, v38
	v_addc_co_u32_e64 v46, s[28:29], v46, v39, s[28:29]
	;; [unrolled: 4-line block ×11, first 2 shown]
	v_cndmask_b32_e64 v47, 0, v47, s[4:5]
	v_add3_u32 v48, v99, v91, v90
	v_cndmask_b32_e64 v46, 0, v46, s[4:5]
	v_add_co_u32_e64 v47, s[28:29], v47, v18
	v_add3_u32 v48, v48, v89, v88
	v_addc_co_u32_e64 v46, s[28:29], v46, v19, s[28:29]
	v_cndmask_b32_e64 v47, 0, v47, s[2:3]
	v_add3_u32 v48, v48, v87, v86
	v_cndmask_b32_e64 v46, 0, v46, s[2:3]
	v_add_co_u32_e64 v47, s[28:29], v47, v16
	v_add3_u32 v48, v48, v85, v84
	v_addc_co_u32_e64 v46, s[28:29], v46, v17, s[28:29]
	v_cndmask_b32_e32 v47, 0, v47, vcc
	v_add3_u32 v50, v48, v83, v82
	v_cndmask_b32_e32 v46, 0, v46, vcc
	v_add_co_u32_e32 v48, vcc, v47, v44
	v_mbcnt_hi_u32_b32 v51, -1, v97
	v_addc_co_u32_e32 v49, vcc, v46, v45, vcc
	v_and_b32_e32 v46, 15, v51
	v_mov_b32_dpp v52, v50 row_shr:1 row_mask:0xf bank_mask:0xf
	v_mov_b32_dpp v47, v48 row_shr:1 row_mask:0xf bank_mask:0xf
	;; [unrolled: 1-line block ×3, first 2 shown]
	v_cmp_ne_u32_e32 vcc, 0, v46
	s_and_saveexec_b64 s[28:29], vcc
; %bb.80:
	v_cmp_eq_u32_e32 vcc, 0, v50
	v_cndmask_b32_e32 v47, 0, v47, vcc
	v_add_u32_e32 v52, v52, v50
	v_cndmask_b32_e32 v50, 0, v53, vcc
	v_add_co_u32_e32 v48, vcc, v47, v48
	v_addc_co_u32_e32 v49, vcc, v50, v49, vcc
	v_mov_b32_e32 v50, v52
; %bb.81:
	s_or_b64 exec, exec, s[28:29]
	s_nop 0
	v_mov_b32_dpp v52, v50 row_shr:2 row_mask:0xf bank_mask:0xf
	v_mov_b32_dpp v47, v48 row_shr:2 row_mask:0xf bank_mask:0xf
	v_mov_b32_dpp v53, v49 row_shr:2 row_mask:0xf bank_mask:0xf
	v_cmp_lt_u32_e32 vcc, 1, v46
	s_and_saveexec_b64 s[28:29], vcc
; %bb.82:
	v_cmp_eq_u32_e32 vcc, 0, v50
	v_cndmask_b32_e32 v47, 0, v47, vcc
	v_add_u32_e32 v52, v52, v50
	v_cndmask_b32_e32 v50, 0, v53, vcc
	v_add_co_u32_e32 v48, vcc, v47, v48
	v_addc_co_u32_e32 v49, vcc, v50, v49, vcc
	v_mov_b32_e32 v50, v52
; %bb.83:
	s_or_b64 exec, exec, s[28:29]
	s_nop 0
	v_mov_b32_dpp v52, v50 row_shr:4 row_mask:0xf bank_mask:0xf
	v_mov_b32_dpp v47, v48 row_shr:4 row_mask:0xf bank_mask:0xf
	v_mov_b32_dpp v53, v49 row_shr:4 row_mask:0xf bank_mask:0xf
	v_cmp_lt_u32_e32 vcc, 3, v46
	;; [unrolled: 16-line block ×3, first 2 shown]
	s_and_saveexec_b64 s[28:29], vcc
; %bb.86:
	v_cmp_eq_u32_e32 vcc, 0, v50
	v_cndmask_b32_e32 v47, 0, v47, vcc
	v_add_u32_e32 v46, v52, v50
	v_cndmask_b32_e32 v50, 0, v53, vcc
	v_add_co_u32_e32 v48, vcc, v47, v48
	v_addc_co_u32_e32 v49, vcc, v50, v49, vcc
	v_mov_b32_e32 v50, v46
; %bb.87:
	s_or_b64 exec, exec, s[28:29]
	v_and_b32_e32 v53, 16, v51
	v_mov_b32_dpp v47, v50 row_bcast:15 row_mask:0xf bank_mask:0xf
	v_mov_b32_dpp v46, v48 row_bcast:15 row_mask:0xf bank_mask:0xf
	;; [unrolled: 1-line block ×3, first 2 shown]
	v_cmp_ne_u32_e32 vcc, 0, v53
	s_and_saveexec_b64 s[28:29], vcc
; %bb.88:
	v_cmp_eq_u32_e32 vcc, 0, v50
	v_cndmask_b32_e32 v46, 0, v46, vcc
	v_add_u32_e32 v47, v47, v50
	v_cndmask_b32_e32 v50, 0, v52, vcc
	v_add_co_u32_e32 v48, vcc, v46, v48
	v_addc_co_u32_e32 v49, vcc, v50, v49, vcc
	v_mov_b32_e32 v50, v47
; %bb.89:
	s_or_b64 exec, exec, s[28:29]
	s_nop 0
	v_mov_b32_dpp v47, v50 row_bcast:31 row_mask:0xf bank_mask:0xf
	v_mov_b32_dpp v46, v48 row_bcast:31 row_mask:0xf bank_mask:0xf
	;; [unrolled: 1-line block ×3, first 2 shown]
	v_cmp_lt_u32_e32 vcc, 31, v51
	s_and_saveexec_b64 s[28:29], vcc
; %bb.90:
	v_cmp_eq_u32_e32 vcc, 0, v50
	v_cndmask_b32_e32 v46, 0, v46, vcc
	v_add_u32_e32 v47, v47, v50
	v_cndmask_b32_e32 v50, 0, v52, vcc
	v_add_co_u32_e32 v48, vcc, v46, v48
	v_addc_co_u32_e32 v49, vcc, v50, v49, vcc
	v_mov_b32_e32 v50, v47
; %bb.91:
	s_or_b64 exec, exec, s[28:29]
	v_lshrrev_b32_e32 v46, 6, v0
	v_or_b32_e32 v47, 63, v0
	v_cmp_eq_u32_e32 vcc, v47, v0
	v_lshlrev_b32_e32 v52, 4, v46
	s_and_saveexec_b64 s[28:29], vcc
	s_cbranch_execz .LBB906_93
; %bb.92:
	ds_write_b32 v52, v50 offset:2080
	ds_write_b64 v52, v[48:49] offset:2088
.LBB906_93:
	s_or_b64 exec, exec, s[28:29]
	v_cmp_gt_u32_e32 vcc, 4, v0
	s_waitcnt lgkmcnt(0)
	s_barrier
	s_and_saveexec_b64 s[28:29], vcc
	s_cbranch_execz .LBB906_99
; %bb.94:
	v_lshlrev_b32_e32 v53, 4, v0
	ds_read_b32 v54, v53 offset:2080
	ds_read_b64 v[46:47], v53 offset:2088
	v_and_b32_e32 v55, 3, v51
	v_cmp_ne_u32_e32 vcc, 0, v55
	s_waitcnt lgkmcnt(1)
	v_mov_b32_dpp v57, v54 row_shr:1 row_mask:0xf bank_mask:0xf
	s_waitcnt lgkmcnt(0)
	v_mov_b32_dpp v56, v46 row_shr:1 row_mask:0xf bank_mask:0xf
	v_mov_b32_dpp v58, v47 row_shr:1 row_mask:0xf bank_mask:0xf
	s_and_saveexec_b64 s[42:43], vcc
; %bb.95:
	v_cmp_eq_u32_e32 vcc, 0, v54
	v_cndmask_b32_e32 v56, 0, v56, vcc
	v_add_u32_e32 v57, v57, v54
	v_cndmask_b32_e32 v54, 0, v58, vcc
	v_add_co_u32_e32 v46, vcc, v56, v46
	v_addc_co_u32_e32 v47, vcc, v54, v47, vcc
	v_mov_b32_e32 v54, v57
; %bb.96:
	s_or_b64 exec, exec, s[42:43]
	s_nop 0
	v_mov_b32_dpp v57, v54 row_shr:2 row_mask:0xf bank_mask:0xf
	v_mov_b32_dpp v56, v46 row_shr:2 row_mask:0xf bank_mask:0xf
	;; [unrolled: 1-line block ×3, first 2 shown]
	v_cmp_lt_u32_e32 vcc, 1, v55
	s_and_saveexec_b64 s[42:43], vcc
; %bb.97:
	v_cmp_eq_u32_e32 vcc, 0, v54
	v_cndmask_b32_e32 v56, 0, v56, vcc
	v_add_u32_e32 v55, v57, v54
	v_cndmask_b32_e32 v54, 0, v58, vcc
	v_add_co_u32_e32 v46, vcc, v56, v46
	v_addc_co_u32_e32 v47, vcc, v54, v47, vcc
	v_mov_b32_e32 v54, v55
; %bb.98:
	s_or_b64 exec, exec, s[42:43]
	ds_write_b32 v53, v54 offset:2080
	ds_write_b64 v53, v[46:47] offset:2088
.LBB906_99:
	s_or_b64 exec, exec, s[28:29]
	v_cmp_gt_u32_e32 vcc, 64, v0
	v_cmp_lt_u32_e64 s[28:29], 63, v0
	v_pk_mov_b32 v[46:47], 0, 0
	v_mov_b32_e32 v58, 0
	s_waitcnt lgkmcnt(0)
	s_barrier
	s_and_saveexec_b64 s[42:43], s[28:29]
	s_cbranch_execz .LBB906_101
; %bb.100:
	ds_read_b32 v58, v52 offset:2064
	ds_read_b64 v[46:47], v52 offset:2072
	v_cmp_eq_u32_e64 s[28:29], 0, v50
	s_waitcnt lgkmcnt(1)
	v_add_u32_e32 v52, v58, v50
	s_waitcnt lgkmcnt(0)
	v_cndmask_b32_e64 v53, 0, v46, s[28:29]
	v_cndmask_b32_e64 v50, 0, v47, s[28:29]
	v_add_co_u32_e64 v48, s[28:29], v53, v48
	v_addc_co_u32_e64 v49, s[28:29], v50, v49, s[28:29]
	v_mov_b32_e32 v50, v52
.LBB906_101:
	s_or_b64 exec, exec, s[42:43]
	v_add_u32_e32 v52, -1, v51
	v_and_b32_e32 v53, 64, v51
	v_cmp_lt_i32_e64 s[28:29], v52, v53
	v_cndmask_b32_e64 v52, v52, v51, s[28:29]
	v_lshlrev_b32_e32 v52, 2, v52
	ds_bpermute_b32 v59, v52, v50
	ds_bpermute_b32 v60, v52, v48
	ds_bpermute_b32 v61, v52, v49
	v_cmp_eq_u32_e64 s[28:29], 0, v51
	s_and_saveexec_b64 s[42:43], vcc
	s_cbranch_execz .LBB906_144
; %bb.102:
	v_mov_b32_e32 v53, 0
	ds_read_b32 v62, v53 offset:2128
	ds_read_b64 v[48:49], v53 offset:2136
	s_and_saveexec_b64 s[46:47], s[28:29]
	s_cbranch_execz .LBB906_104
; %bb.103:
	s_add_i32 s48, s62, 64
	s_mov_b32 s49, 0
	s_lshl_b64 s[58:59], s[48:49], 4
	s_add_u32 s58, s36, s58
	s_addc_u32 s59, s37, s59
	v_mov_b32_e32 v50, s48
	v_mov_b32_e32 v52, 1
	s_waitcnt lgkmcnt(1)
	global_store_dword v53, v62, s[58:59]
	s_waitcnt lgkmcnt(0)
	global_store_dwordx2 v53, v[48:49], s[58:59] offset:8
	s_waitcnt vmcnt(0)
	buffer_wbinvl1_vol
	global_store_byte v50, v52, s[40:41]
.LBB906_104:
	s_or_b64 exec, exec, s[46:47]
	v_xad_u32 v50, v51, -1, s62
	v_add_u32_e32 v52, 64, v50
	global_load_ubyte v63, v52, s[40:41] glc
	s_waitcnt vmcnt(0)
	v_cmp_eq_u16_e32 vcc, 0, v63
	s_and_saveexec_b64 s[46:47], vcc
	s_cbranch_execz .LBB906_108
; %bb.105:
	v_mov_b32_e32 v55, s41
	v_add_co_u32_e32 v54, vcc, s40, v52
	v_addc_co_u32_e32 v55, vcc, 0, v55, vcc
	s_mov_b64 s[48:49], 0
.LBB906_106:                            ; =>This Inner Loop Header: Depth=1
	global_load_ubyte v63, v[54:55], off glc
	s_waitcnt vmcnt(0)
	v_cmp_ne_u16_e32 vcc, 0, v63
	s_or_b64 s[48:49], vcc, s[48:49]
	s_andn2_b64 exec, exec, s[48:49]
	s_cbranch_execnz .LBB906_106
; %bb.107:
	s_or_b64 exec, exec, s[48:49]
.LBB906_108:
	s_or_b64 exec, exec, s[46:47]
	v_mov_b32_e32 v54, s39
	v_mov_b32_e32 v55, s37
	v_cmp_eq_u16_e32 vcc, 1, v63
	v_cndmask_b32_e32 v54, v54, v55, vcc
	v_mov_b32_e32 v55, s38
	v_mov_b32_e32 v56, s36
	v_cndmask_b32_e32 v55, v55, v56, vcc
	v_lshlrev_b64 v[52:53], 4, v[52:53]
	v_add_co_u32_e32 v52, vcc, v55, v52
	v_addc_co_u32_e32 v53, vcc, v54, v53, vcc
	s_waitcnt lgkmcnt(0)
	buffer_wbinvl1_vol
	global_load_dword v78, v[52:53], off
	global_load_dwordx2 v[56:57], v[52:53], off offset:8
	v_cmp_eq_u16_e32 vcc, 2, v63
	v_lshlrev_b64 v[52:53], v51, -1
	v_and_b32_e32 v64, 63, v51
	v_and_b32_e32 v54, vcc_hi, v53
	v_and_b32_e32 v68, vcc_lo, v52
	v_cmp_ne_u32_e32 vcc, 63, v64
	v_addc_co_u32_e32 v55, vcc, 0, v51, vcc
	v_lshlrev_b32_e32 v65, 2, v55
	v_or_b32_e32 v54, 0x80000000, v54
	v_ffbl_b32_e32 v54, v54
	v_add_u32_e32 v54, 32, v54
	v_ffbl_b32_e32 v68, v68
	v_min_u32_e32 v54, v68, v54
	v_cmp_lt_u32_e32 vcc, v64, v54
	s_waitcnt vmcnt(1)
	ds_bpermute_b32 v66, v65, v78
	s_waitcnt vmcnt(0)
	ds_bpermute_b32 v55, v65, v56
	ds_bpermute_b32 v67, v65, v57
	s_and_saveexec_b64 s[46:47], vcc
	s_cbranch_execz .LBB906_110
; %bb.109:
	v_cmp_eq_u32_e32 vcc, 0, v78
	s_waitcnt lgkmcnt(1)
	v_cndmask_b32_e32 v55, 0, v55, vcc
	v_add_u32_e32 v66, v66, v78
	s_waitcnt lgkmcnt(0)
	v_cndmask_b32_e32 v67, 0, v67, vcc
	v_add_co_u32_e32 v56, vcc, v55, v56
	v_addc_co_u32_e32 v57, vcc, v67, v57, vcc
	v_mov_b32_e32 v78, v66
.LBB906_110:
	s_or_b64 exec, exec, s[46:47]
	v_cmp_gt_u32_e32 vcc, 62, v64
	s_waitcnt lgkmcnt(1)
	v_cndmask_b32_e64 v55, 0, 1, vcc
	v_lshlrev_b32_e32 v55, 1, v55
	v_add_lshl_u32 v66, v55, v51, 2
	ds_bpermute_b32 v68, v66, v78
	ds_bpermute_b32 v55, v66, v56
	ds_bpermute_b32 v69, v66, v57
	s_waitcnt lgkmcnt(3)
	v_add_u32_e32 v67, 2, v64
	v_cmp_le_u32_e32 vcc, v67, v54
	s_and_saveexec_b64 s[46:47], vcc
	s_cbranch_execz .LBB906_112
; %bb.111:
	v_cmp_eq_u32_e32 vcc, 0, v78
	s_waitcnt lgkmcnt(1)
	v_cndmask_b32_e32 v55, 0, v55, vcc
	v_add_u32_e32 v68, v68, v78
	s_waitcnt lgkmcnt(0)
	v_cndmask_b32_e32 v69, 0, v69, vcc
	v_add_co_u32_e32 v56, vcc, v55, v56
	v_addc_co_u32_e32 v57, vcc, v69, v57, vcc
	v_mov_b32_e32 v78, v68
.LBB906_112:
	s_or_b64 exec, exec, s[46:47]
	v_cmp_gt_u32_e32 vcc, 60, v64
	s_waitcnt lgkmcnt(1)
	v_cndmask_b32_e64 v55, 0, 1, vcc
	v_lshlrev_b32_e32 v55, 2, v55
	v_add_lshl_u32 v68, v55, v51, 2
	ds_bpermute_b32 v70, v68, v78
	ds_bpermute_b32 v55, v68, v56
	ds_bpermute_b32 v71, v68, v57
	s_waitcnt lgkmcnt(3)
	v_add_u32_e32 v69, 4, v64
	v_cmp_le_u32_e32 vcc, v69, v54
	;; [unrolled: 25-line block ×4, first 2 shown]
	s_and_saveexec_b64 s[46:47], vcc
	s_cbranch_execz .LBB906_118
; %bb.117:
	v_cmp_eq_u32_e32 vcc, 0, v78
	s_waitcnt lgkmcnt(1)
	v_cndmask_b32_e32 v55, 0, v55, vcc
	v_add_u32_e32 v74, v74, v78
	s_waitcnt lgkmcnt(0)
	v_cndmask_b32_e32 v75, 0, v75, vcc
	v_add_co_u32_e32 v56, vcc, v55, v56
	v_addc_co_u32_e32 v57, vcc, v75, v57, vcc
	v_mov_b32_e32 v78, v74
.LBB906_118:
	s_or_b64 exec, exec, s[46:47]
	v_cmp_gt_u32_e32 vcc, 32, v64
	s_waitcnt lgkmcnt(1)
	v_cndmask_b32_e64 v55, 0, 1, vcc
	v_lshlrev_b32_e32 v55, 5, v55
	v_add_lshl_u32 v74, v55, v51, 2
	ds_bpermute_b32 v55, v74, v78
	ds_bpermute_b32 v51, v74, v56
	s_waitcnt lgkmcnt(2)
	ds_bpermute_b32 v75, v74, v57
	v_add_u32_e32 v76, 32, v64
	v_cmp_le_u32_e32 vcc, v76, v54
	s_and_saveexec_b64 s[46:47], vcc
	s_cbranch_execz .LBB906_120
; %bb.119:
	v_cmp_eq_u32_e32 vcc, 0, v78
	s_waitcnt lgkmcnt(1)
	v_cndmask_b32_e32 v51, 0, v51, vcc
	v_add_u32_e32 v54, v55, v78
	s_waitcnt lgkmcnt(0)
	v_cndmask_b32_e32 v55, 0, v75, vcc
	v_add_co_u32_e32 v56, vcc, v51, v56
	v_addc_co_u32_e32 v57, vcc, v55, v57, vcc
	v_mov_b32_e32 v78, v54
.LBB906_120:
	s_or_b64 exec, exec, s[46:47]
	s_waitcnt lgkmcnt(1)
	v_mov_b32_e32 v51, 0
	v_mov_b32_e32 v77, 2
	s_branch .LBB906_122
.LBB906_121:                            ;   in Loop: Header=BB906_122 Depth=1
	s_or_b64 exec, exec, s[46:47]
	v_cmp_eq_u32_e32 vcc, 0, v75
	v_cndmask_b32_e32 v56, 0, v56, vcc
	v_cndmask_b32_e32 v57, 0, v57, vcc
	v_add_co_u32_e32 v56, vcc, v56, v54
	v_subrev_u32_e32 v50, 64, v50
	v_add_u32_e32 v78, v79, v75
	v_addc_co_u32_e32 v57, vcc, v57, v55, vcc
.LBB906_122:                            ; =>This Loop Header: Depth=1
                                        ;     Child Loop BB906_125 Depth 2
	v_cmp_ne_u16_sdwa s[46:47], v63, v77 src0_sel:BYTE_0 src1_sel:DWORD
	v_pk_mov_b32 v[54:55], v[56:57], v[56:57] op_sel:[0,1]
	v_cndmask_b32_e64 v56, 0, 1, s[46:47]
	;;#ASMSTART
	;;#ASMEND
	v_cmp_ne_u32_e32 vcc, 0, v56
	s_cmp_lg_u64 vcc, exec
	s_waitcnt lgkmcnt(0)
	v_mov_b32_e32 v75, v78
	s_cbranch_scc1 .LBB906_139
; %bb.123:                              ;   in Loop: Header=BB906_122 Depth=1
	global_load_ubyte v63, v50, s[40:41] glc
	s_waitcnt vmcnt(0)
	v_cmp_eq_u16_e32 vcc, 0, v63
	s_and_saveexec_b64 s[46:47], vcc
	s_cbranch_execz .LBB906_127
; %bb.124:                              ;   in Loop: Header=BB906_122 Depth=1
	v_mov_b32_e32 v57, s41
	v_add_co_u32_e32 v56, vcc, s40, v50
	v_addc_co_u32_e32 v57, vcc, 0, v57, vcc
	s_mov_b64 s[48:49], 0
.LBB906_125:                            ;   Parent Loop BB906_122 Depth=1
                                        ; =>  This Inner Loop Header: Depth=2
	global_load_ubyte v63, v[56:57], off glc
	s_waitcnt vmcnt(0)
	v_cmp_ne_u16_e32 vcc, 0, v63
	s_or_b64 s[48:49], vcc, s[48:49]
	s_andn2_b64 exec, exec, s[48:49]
	s_cbranch_execnz .LBB906_125
; %bb.126:                              ;   in Loop: Header=BB906_122 Depth=1
	s_or_b64 exec, exec, s[48:49]
.LBB906_127:                            ;   in Loop: Header=BB906_122 Depth=1
	s_or_b64 exec, exec, s[46:47]
	v_mov_b32_e32 v56, s39
	v_mov_b32_e32 v57, s37
	v_cmp_eq_u16_e32 vcc, 1, v63
	v_cndmask_b32_e32 v78, v56, v57, vcc
	v_mov_b32_e32 v56, s38
	v_mov_b32_e32 v57, s36
	v_cndmask_b32_e32 v79, v56, v57, vcc
	v_lshlrev_b64 v[56:57], 4, v[50:51]
	v_add_co_u32_e32 v56, vcc, v79, v56
	v_addc_co_u32_e32 v57, vcc, v78, v57, vcc
	buffer_wbinvl1_vol
	global_load_dword v79, v[56:57], off
	s_nop 0
	global_load_dwordx2 v[56:57], v[56:57], off offset:8
	v_cmp_eq_u16_e32 vcc, 2, v63
	v_and_b32_e32 v78, vcc_hi, v53
	v_or_b32_e32 v78, 0x80000000, v78
	v_and_b32_e32 v100, vcc_lo, v52
	v_ffbl_b32_e32 v78, v78
	v_add_u32_e32 v78, 32, v78
	v_ffbl_b32_e32 v100, v100
	v_min_u32_e32 v78, v100, v78
	v_cmp_lt_u32_e32 vcc, v64, v78
	s_waitcnt vmcnt(1)
	ds_bpermute_b32 v81, v65, v79
	s_waitcnt vmcnt(0)
	ds_bpermute_b32 v80, v65, v56
	ds_bpermute_b32 v98, v65, v57
	s_and_saveexec_b64 s[46:47], vcc
	s_cbranch_execz .LBB906_129
; %bb.128:                              ;   in Loop: Header=BB906_122 Depth=1
	v_cmp_eq_u32_e32 vcc, 0, v79
	s_waitcnt lgkmcnt(1)
	v_cndmask_b32_e32 v80, 0, v80, vcc
	v_add_u32_e32 v81, v81, v79
	s_waitcnt lgkmcnt(0)
	v_cndmask_b32_e32 v79, 0, v98, vcc
	v_add_co_u32_e32 v56, vcc, v80, v56
	v_addc_co_u32_e32 v57, vcc, v79, v57, vcc
	v_mov_b32_e32 v79, v81
.LBB906_129:                            ;   in Loop: Header=BB906_122 Depth=1
	s_or_b64 exec, exec, s[46:47]
	s_waitcnt lgkmcnt(2)
	ds_bpermute_b32 v81, v66, v79
	s_waitcnt lgkmcnt(2)
	ds_bpermute_b32 v80, v66, v56
	s_waitcnt lgkmcnt(2)
	ds_bpermute_b32 v98, v66, v57
	v_cmp_le_u32_e32 vcc, v67, v78
	s_and_saveexec_b64 s[46:47], vcc
	s_cbranch_execz .LBB906_131
; %bb.130:                              ;   in Loop: Header=BB906_122 Depth=1
	v_cmp_eq_u32_e32 vcc, 0, v79
	s_waitcnt lgkmcnt(1)
	v_cndmask_b32_e32 v80, 0, v80, vcc
	v_add_u32_e32 v81, v81, v79
	s_waitcnt lgkmcnt(0)
	v_cndmask_b32_e32 v79, 0, v98, vcc
	v_add_co_u32_e32 v56, vcc, v80, v56
	v_addc_co_u32_e32 v57, vcc, v79, v57, vcc
	v_mov_b32_e32 v79, v81
.LBB906_131:                            ;   in Loop: Header=BB906_122 Depth=1
	s_or_b64 exec, exec, s[46:47]
	s_waitcnt lgkmcnt(2)
	ds_bpermute_b32 v81, v68, v79
	s_waitcnt lgkmcnt(2)
	ds_bpermute_b32 v80, v68, v56
	s_waitcnt lgkmcnt(2)
	ds_bpermute_b32 v98, v68, v57
	v_cmp_le_u32_e32 vcc, v69, v78
	;; [unrolled: 21-line block ×5, first 2 shown]
	s_and_saveexec_b64 s[46:47], vcc
	s_cbranch_execz .LBB906_121
; %bb.138:                              ;   in Loop: Header=BB906_122 Depth=1
	v_cmp_eq_u32_e32 vcc, 0, v79
	s_waitcnt lgkmcnt(1)
	v_cndmask_b32_e32 v80, 0, v80, vcc
	v_add_u32_e32 v78, v81, v79
	s_waitcnt lgkmcnt(0)
	v_cndmask_b32_e32 v79, 0, v98, vcc
	v_add_co_u32_e32 v56, vcc, v80, v56
	v_addc_co_u32_e32 v57, vcc, v79, v57, vcc
	v_mov_b32_e32 v79, v78
	s_branch .LBB906_121
.LBB906_139:                            ;   in Loop: Header=BB906_122 Depth=1
                                        ; implicit-def: $vgpr56_vgpr57
                                        ; implicit-def: $vgpr78
                                        ; implicit-def: $vgpr63
	s_cbranch_execz .LBB906_122
; %bb.140:
	s_and_saveexec_b64 s[36:37], s[28:29]
	s_cbranch_execz .LBB906_142
; %bb.141:
	s_mov_b32 s47, 0
	v_cmp_eq_u32_e32 vcc, 0, v62
	s_add_i32 s46, s62, 64
	v_cndmask_b32_e32 v50, 0, v54, vcc
	s_lshl_b64 s[48:49], s[46:47], 4
	v_cndmask_b32_e32 v51, 0, v55, vcc
	v_add_co_u32_e32 v50, vcc, v50, v48
	s_add_u32 s48, s38, s48
	v_add_u32_e32 v52, v75, v62
	v_addc_co_u32_e32 v51, vcc, v51, v49, vcc
	s_addc_u32 s49, s39, s49
	v_mov_b32_e32 v53, 0
	global_store_dword v53, v52, s[48:49]
	global_store_dwordx2 v53, v[50:51], s[48:49] offset:8
	v_mov_b32_e32 v50, s46
	v_mov_b32_e32 v51, 2
	s_waitcnt vmcnt(0) lgkmcnt(0)
	buffer_wbinvl1_vol
	global_store_byte v50, v51, s[40:41]
	ds_write_b32 v53, v62 offset:2048
	ds_write_b64 v53, v[48:49] offset:2056
	ds_write_b32 v53, v75 offset:2064
	ds_write_b64 v53, v[54:55] offset:2072
.LBB906_142:
	s_or_b64 exec, exec, s[36:37]
	s_and_b64 exec, exec, s[0:1]
	s_cbranch_execz .LBB906_144
; %bb.143:
	v_mov_b32_e32 v48, 0
	ds_write_b32 v48, v75 offset:2128
	ds_write_b64 v48, v[54:55] offset:2136
.LBB906_144:
	s_or_b64 exec, exec, s[42:43]
	v_mov_b32_e32 v51, 0
	s_waitcnt lgkmcnt(0)
	s_barrier
	ds_read_b32 v50, v51 offset:2128
	ds_read_b64 v[48:49], v51 offset:2136
	v_cndmask_b32_e64 v52, v59, v58, s[28:29]
	v_cmp_eq_u32_e32 vcc, 0, v52
	v_cndmask_b32_e64 v46, v60, v46, s[28:29]
	v_cndmask_b32_e64 v47, v61, v47, s[28:29]
	s_waitcnt lgkmcnt(0)
	v_cndmask_b32_e32 v54, 0, v48, vcc
	v_cndmask_b32_e32 v53, 0, v49, vcc
	v_add_co_u32_e32 v46, vcc, v54, v46
	v_addc_co_u32_e32 v47, vcc, v53, v47, vcc
	v_cndmask_b32_e64 v76, v46, v48, s[0:1]
	v_cmp_eq_u32_e32 vcc, 0, v96
	v_cndmask_b32_e64 v52, v52, 0, s[0:1]
	v_cndmask_b32_e64 v77, v47, v49, s[0:1]
	v_cndmask_b32_e32 v47, 0, v76, vcc
	v_add_u32_e32 v98, v50, v52
	v_cndmask_b32_e32 v46, 0, v77, vcc
	v_add_co_u32_e32 v52, vcc, v47, v42
	v_addc_co_u32_e32 v53, vcc, v46, v43, vcc
	v_cndmask_b32_e64 v47, 0, v52, s[26:27]
	v_cndmask_b32_e64 v46, 0, v53, s[26:27]
	v_add_co_u32_e32 v54, vcc, v47, v40
	v_addc_co_u32_e32 v55, vcc, v46, v41, vcc
	v_cndmask_b32_e64 v47, 0, v54, s[24:25]
	v_cndmask_b32_e64 v46, 0, v55, s[24:25]
	;; [unrolled: 4-line block ×11, first 2 shown]
	v_add_co_u32_e32 v74, vcc, v47, v20
	v_addc_co_u32_e32 v75, vcc, v46, v21, vcc
	s_barrier
	ds_read_b32 v46, v51 offset:2048
	ds_read_b64 v[48:49], v51 offset:2056
	ds_read_b32 v50, v51 offset:2064
	ds_read_b64 v[100:101], v51 offset:2072
	v_cndmask_b32_e64 v78, 0, v74, s[4:5]
	v_cndmask_b32_e64 v47, 0, v75, s[4:5]
	v_add_co_u32_e32 v78, vcc, v78, v18
	v_addc_co_u32_e32 v79, vcc, v47, v19, vcc
	s_waitcnt lgkmcnt(3)
	v_cmp_eq_u32_e32 vcc, 0, v46
	s_waitcnt lgkmcnt(0)
	v_cndmask_b32_e32 v51, 0, v100, vcc
	v_cndmask_b32_e32 v47, 0, v101, vcc
	v_add_co_u32_e32 v48, vcc, v51, v48
	v_cndmask_b32_e64 v81, 0, v79, s[2:3]
	v_cndmask_b32_e64 v80, 0, v78, s[2:3]
	v_addc_co_u32_e32 v49, vcc, v47, v49, vcc
	s_branch .LBB906_173
.LBB906_145:
                                        ; implicit-def: $vgpr46
                                        ; implicit-def: $vgpr48_vgpr49
                                        ; implicit-def: $vgpr50
                                        ; implicit-def: $vgpr76_vgpr77
                                        ; implicit-def: $vgpr52_vgpr53
                                        ; implicit-def: $vgpr54_vgpr55
                                        ; implicit-def: $vgpr56_vgpr57
                                        ; implicit-def: $vgpr58_vgpr59
                                        ; implicit-def: $vgpr60_vgpr61
                                        ; implicit-def: $vgpr62_vgpr63
                                        ; implicit-def: $vgpr64_vgpr65
                                        ; implicit-def: $vgpr66_vgpr67
                                        ; implicit-def: $vgpr68_vgpr69
                                        ; implicit-def: $vgpr70_vgpr71
                                        ; implicit-def: $vgpr72_vgpr73
                                        ; implicit-def: $vgpr74_vgpr75
                                        ; implicit-def: $vgpr78_vgpr79
                                        ; implicit-def: $vgpr80_vgpr81
                                        ; implicit-def: $vgpr98
	s_cbranch_execz .LBB906_173
; %bb.146:
	s_and_b64 s[2:3], s[30:31], exec
	s_cselect_b32 s3, 0, s57
	s_cselect_b32 s2, 0, s56
	s_cmp_eq_u64 s[2:3], 0
	v_pk_mov_b32 v[50:51], v[42:43], v[42:43] op_sel:[0,1]
	s_cbranch_scc1 .LBB906_148
; %bb.147:
	v_mov_b32_e32 v46, 0
	global_load_dwordx2 v[50:51], v46, s[2:3]
.LBB906_148:
	v_cmp_eq_u32_e64 s[24:25], 0, v95
	v_cndmask_b32_e64 v47, 0, v42, s[24:25]
	v_cndmask_b32_e64 v46, 0, v43, s[24:25]
	v_add_co_u32_e32 v47, vcc, v47, v40
	v_cmp_eq_u32_e64 s[22:23], 0, v94
	v_addc_co_u32_e32 v46, vcc, v46, v41, vcc
	v_cndmask_b32_e64 v47, 0, v47, s[22:23]
	v_cndmask_b32_e64 v46, 0, v46, s[22:23]
	v_add_co_u32_e32 v47, vcc, v47, v38
	v_cmp_eq_u32_e64 s[20:21], 0, v93
	v_addc_co_u32_e32 v46, vcc, v46, v39, vcc
	;; [unrolled: 5-line block ×11, first 2 shown]
	v_cndmask_b32_e64 v47, 0, v47, s[4:5]
	v_cndmask_b32_e64 v46, 0, v46, s[4:5]
	v_add_co_u32_e32 v47, vcc, v47, v18
	v_addc_co_u32_e32 v46, vcc, v46, v19, vcc
	v_cmp_eq_u32_e32 vcc, 0, v83
	v_cndmask_b32_e32 v47, 0, v47, vcc
	v_add3_u32 v48, v99, v91, v90
	v_cndmask_b32_e32 v46, 0, v46, vcc
	v_add_co_u32_e64 v47, s[26:27], v47, v16
	v_add3_u32 v48, v48, v89, v88
	v_addc_co_u32_e64 v46, s[26:27], v46, v17, s[26:27]
	v_add3_u32 v48, v48, v87, v86
	v_cmp_eq_u32_e64 s[26:27], 0, v82
	v_add3_u32 v48, v48, v85, v84
	v_cndmask_b32_e64 v47, 0, v47, s[26:27]
	v_add3_u32 v49, v48, v83, v82
	v_cndmask_b32_e64 v46, 0, v46, s[26:27]
	v_add_co_u32_e64 v44, s[26:27], v47, v44
	v_mbcnt_hi_u32_b32 v48, -1, v97
	v_addc_co_u32_e64 v45, s[26:27], v46, v45, s[26:27]
	v_and_b32_e32 v46, 15, v48
	v_mov_b32_dpp v52, v49 row_shr:1 row_mask:0xf bank_mask:0xf
	v_mov_b32_dpp v47, v44 row_shr:1 row_mask:0xf bank_mask:0xf
	;; [unrolled: 1-line block ×3, first 2 shown]
	v_cmp_ne_u32_e64 s[26:27], 0, v46
	s_and_saveexec_b64 s[28:29], s[26:27]
; %bb.149:
	v_cmp_eq_u32_e64 s[26:27], 0, v49
	v_cndmask_b32_e64 v47, 0, v47, s[26:27]
	v_add_u32_e32 v52, v52, v49
	v_cndmask_b32_e64 v49, 0, v53, s[26:27]
	v_add_co_u32_e64 v44, s[26:27], v47, v44
	v_addc_co_u32_e64 v45, s[26:27], v49, v45, s[26:27]
	v_mov_b32_e32 v49, v52
; %bb.150:
	s_or_b64 exec, exec, s[28:29]
	s_nop 0
	v_mov_b32_dpp v52, v49 row_shr:2 row_mask:0xf bank_mask:0xf
	v_mov_b32_dpp v47, v44 row_shr:2 row_mask:0xf bank_mask:0xf
	v_mov_b32_dpp v53, v45 row_shr:2 row_mask:0xf bank_mask:0xf
	v_cmp_lt_u32_e64 s[26:27], 1, v46
	s_and_saveexec_b64 s[28:29], s[26:27]
; %bb.151:
	v_cmp_eq_u32_e64 s[26:27], 0, v49
	v_cndmask_b32_e64 v47, 0, v47, s[26:27]
	v_add_u32_e32 v52, v52, v49
	v_cndmask_b32_e64 v49, 0, v53, s[26:27]
	v_add_co_u32_e64 v44, s[26:27], v47, v44
	v_addc_co_u32_e64 v45, s[26:27], v49, v45, s[26:27]
	v_mov_b32_e32 v49, v52
; %bb.152:
	s_or_b64 exec, exec, s[28:29]
	s_nop 0
	v_mov_b32_dpp v52, v49 row_shr:4 row_mask:0xf bank_mask:0xf
	v_mov_b32_dpp v47, v44 row_shr:4 row_mask:0xf bank_mask:0xf
	v_mov_b32_dpp v53, v45 row_shr:4 row_mask:0xf bank_mask:0xf
	v_cmp_lt_u32_e64 s[26:27], 3, v46
	;; [unrolled: 16-line block ×3, first 2 shown]
	s_and_saveexec_b64 s[28:29], s[26:27]
; %bb.155:
	v_cmp_eq_u32_e64 s[26:27], 0, v49
	v_cndmask_b32_e64 v47, 0, v47, s[26:27]
	v_add_u32_e32 v46, v52, v49
	v_cndmask_b32_e64 v49, 0, v53, s[26:27]
	v_add_co_u32_e64 v44, s[26:27], v47, v44
	v_addc_co_u32_e64 v45, s[26:27], v49, v45, s[26:27]
	v_mov_b32_e32 v49, v46
; %bb.156:
	s_or_b64 exec, exec, s[28:29]
	v_and_b32_e32 v53, 16, v48
	v_mov_b32_dpp v47, v49 row_bcast:15 row_mask:0xf bank_mask:0xf
	v_mov_b32_dpp v46, v44 row_bcast:15 row_mask:0xf bank_mask:0xf
	;; [unrolled: 1-line block ×3, first 2 shown]
	v_cmp_ne_u32_e64 s[26:27], 0, v53
	s_and_saveexec_b64 s[28:29], s[26:27]
; %bb.157:
	v_cmp_eq_u32_e64 s[26:27], 0, v49
	v_cndmask_b32_e64 v46, 0, v46, s[26:27]
	v_add_u32_e32 v47, v47, v49
	v_cndmask_b32_e64 v49, 0, v52, s[26:27]
	v_add_co_u32_e64 v44, s[26:27], v46, v44
	v_addc_co_u32_e64 v45, s[26:27], v49, v45, s[26:27]
	v_mov_b32_e32 v49, v47
; %bb.158:
	s_or_b64 exec, exec, s[28:29]
	s_nop 0
	v_mov_b32_dpp v47, v49 row_bcast:31 row_mask:0xf bank_mask:0xf
	v_mov_b32_dpp v46, v44 row_bcast:31 row_mask:0xf bank_mask:0xf
	;; [unrolled: 1-line block ×3, first 2 shown]
	v_cmp_lt_u32_e64 s[26:27], 31, v48
	s_and_saveexec_b64 s[28:29], s[26:27]
; %bb.159:
	v_cmp_eq_u32_e64 s[26:27], 0, v49
	v_cndmask_b32_e64 v46, 0, v46, s[26:27]
	v_add_u32_e32 v47, v47, v49
	v_cndmask_b32_e64 v49, 0, v52, s[26:27]
	v_add_co_u32_e64 v44, s[26:27], v46, v44
	v_addc_co_u32_e64 v45, s[26:27], v49, v45, s[26:27]
	v_mov_b32_e32 v49, v47
; %bb.160:
	s_or_b64 exec, exec, s[28:29]
	v_lshrrev_b32_e32 v46, 6, v0
	v_or_b32_e32 v47, 63, v0
	v_cmp_eq_u32_e64 s[26:27], v47, v0
	v_lshlrev_b32_e32 v52, 4, v46
	s_and_saveexec_b64 s[28:29], s[26:27]
	s_cbranch_execz .LBB906_162
; %bb.161:
	ds_write_b32 v52, v49 offset:2080
	ds_write_b64 v52, v[44:45] offset:2088
.LBB906_162:
	s_or_b64 exec, exec, s[28:29]
	v_cmp_gt_u32_e64 s[26:27], 4, v0
	s_waitcnt lgkmcnt(0)
	s_barrier
	s_and_saveexec_b64 s[28:29], s[26:27]
	s_cbranch_execz .LBB906_168
; %bb.163:
	v_lshlrev_b32_e32 v53, 4, v0
	ds_read_b32 v54, v53 offset:2080
	ds_read_b64 v[46:47], v53 offset:2088
	v_and_b32_e32 v55, 3, v48
	v_cmp_ne_u32_e64 s[26:27], 0, v55
	s_waitcnt lgkmcnt(1)
	v_mov_b32_dpp v57, v54 row_shr:1 row_mask:0xf bank_mask:0xf
	s_waitcnt lgkmcnt(0)
	v_mov_b32_dpp v56, v46 row_shr:1 row_mask:0xf bank_mask:0xf
	v_mov_b32_dpp v58, v47 row_shr:1 row_mask:0xf bank_mask:0xf
	s_and_saveexec_b64 s[36:37], s[26:27]
; %bb.164:
	v_cmp_eq_u32_e64 s[26:27], 0, v54
	v_cndmask_b32_e64 v56, 0, v56, s[26:27]
	v_add_u32_e32 v57, v57, v54
	v_cndmask_b32_e64 v54, 0, v58, s[26:27]
	v_add_co_u32_e64 v46, s[26:27], v56, v46
	v_addc_co_u32_e64 v47, s[26:27], v54, v47, s[26:27]
	v_mov_b32_e32 v54, v57
; %bb.165:
	s_or_b64 exec, exec, s[36:37]
	s_nop 0
	v_mov_b32_dpp v57, v54 row_shr:2 row_mask:0xf bank_mask:0xf
	v_mov_b32_dpp v56, v46 row_shr:2 row_mask:0xf bank_mask:0xf
	;; [unrolled: 1-line block ×3, first 2 shown]
	v_cmp_lt_u32_e64 s[26:27], 1, v55
	s_and_saveexec_b64 s[36:37], s[26:27]
; %bb.166:
	v_cmp_eq_u32_e64 s[26:27], 0, v54
	v_cndmask_b32_e64 v56, 0, v56, s[26:27]
	v_add_u32_e32 v55, v57, v54
	v_cndmask_b32_e64 v54, 0, v58, s[26:27]
	v_add_co_u32_e64 v46, s[26:27], v56, v46
	v_addc_co_u32_e64 v47, s[26:27], v54, v47, s[26:27]
	v_mov_b32_e32 v54, v55
; %bb.167:
	s_or_b64 exec, exec, s[36:37]
	ds_write_b32 v53, v54 offset:2080
	ds_write_b64 v53, v[46:47] offset:2088
.LBB906_168:
	s_or_b64 exec, exec, s[28:29]
	v_cmp_lt_u32_e64 s[26:27], 63, v0
	v_mov_b32_e32 v97, 0
	v_mov_b32_e32 v53, 0
	s_waitcnt vmcnt(0)
	v_pk_mov_b32 v[46:47], v[50:51], v[50:51] op_sel:[0,1]
	s_waitcnt lgkmcnt(0)
	s_barrier
	s_and_saveexec_b64 s[28:29], s[26:27]
	s_cbranch_execz .LBB906_170
; %bb.169:
	ds_read_b32 v53, v52 offset:2064
	ds_read_b64 v[46:47], v52 offset:2072
	s_waitcnt lgkmcnt(1)
	v_cmp_eq_u32_e64 s[26:27], 0, v53
	v_cndmask_b32_e64 v54, 0, v50, s[26:27]
	v_cndmask_b32_e64 v52, 0, v51, s[26:27]
	s_waitcnt lgkmcnt(0)
	v_add_co_u32_e64 v46, s[26:27], v54, v46
	v_addc_co_u32_e64 v47, s[26:27], v52, v47, s[26:27]
.LBB906_170:
	s_or_b64 exec, exec, s[28:29]
	v_cmp_eq_u32_e64 s[26:27], 0, v49
	v_cndmask_b32_e64 v54, 0, v46, s[26:27]
	v_add_u32_e32 v52, v53, v49
	v_cndmask_b32_e64 v49, 0, v47, s[26:27]
	v_add_co_u32_e64 v44, s[26:27], v54, v44
	v_addc_co_u32_e64 v45, s[26:27], v49, v45, s[26:27]
	v_add_u32_e32 v49, -1, v48
	v_and_b32_e32 v54, 64, v48
	v_cmp_lt_i32_e64 s[26:27], v49, v54
	v_cndmask_b32_e64 v49, v49, v48, s[26:27]
	v_lshlrev_b32_e32 v49, 2, v49
	ds_bpermute_b32 v44, v49, v44
	ds_bpermute_b32 v52, v49, v52
	;; [unrolled: 1-line block ×3, first 2 shown]
	v_cmp_eq_u32_e64 s[26:27], 0, v48
	s_waitcnt lgkmcnt(2)
	v_cndmask_b32_e64 v76, v44, v46, s[26:27]
	s_waitcnt lgkmcnt(1)
	v_cndmask_b32_e64 v98, v52, v53, s[26:27]
	;; [unrolled: 2-line block ×3, first 2 shown]
	v_cndmask_b32_e64 v44, v76, v50, s[0:1]
	v_cmp_eq_u32_e64 s[26:27], 0, v96
	v_cndmask_b32_e64 v45, v77, v51, s[0:1]
	v_cndmask_b32_e64 v44, 0, v44, s[26:27]
	;; [unrolled: 1-line block ×3, first 2 shown]
	v_add_co_u32_e64 v52, s[26:27], v44, v42
	v_addc_co_u32_e64 v53, s[26:27], v45, v43, s[26:27]
	v_cndmask_b32_e64 v43, 0, v52, s[24:25]
	v_cndmask_b32_e64 v42, 0, v53, s[24:25]
	v_add_co_u32_e64 v54, s[24:25], v43, v40
	v_addc_co_u32_e64 v55, s[24:25], v42, v41, s[24:25]
	v_cndmask_b32_e64 v41, 0, v54, s[22:23]
	v_cndmask_b32_e64 v40, 0, v55, s[22:23]
	;; [unrolled: 4-line block ×11, first 2 shown]
	v_add_co_u32_e64 v74, s[2:3], v23, v20
	v_addc_co_u32_e64 v75, s[2:3], v22, v21, s[2:3]
	v_cndmask_b32_e64 v21, 0, v74, s[4:5]
	ds_read_b32 v46, v97 offset:2128
	v_cndmask_b32_e64 v20, 0, v75, s[4:5]
	v_add_co_u32_e64 v78, s[2:3], v21, v18
	v_addc_co_u32_e64 v79, s[2:3], v20, v19, s[2:3]
	ds_read_b64 v[18:19], v97 offset:2136
	v_cndmask_b32_e32 v81, 0, v79, vcc
	v_cndmask_b32_e32 v80, 0, v78, vcc
	s_waitcnt lgkmcnt(1)
	v_cmp_eq_u32_e32 vcc, 0, v46
	v_cndmask_b32_e32 v21, 0, v50, vcc
	v_cndmask_b32_e32 v20, 0, v51, vcc
	s_waitcnt lgkmcnt(0)
	v_add_co_u32_e32 v48, vcc, v21, v18
	v_addc_co_u32_e32 v49, vcc, v20, v19, vcc
	s_and_saveexec_b64 s[2:3], s[0:1]
	s_cbranch_execz .LBB906_172
; %bb.171:
	v_mov_b32_e32 v98, 0
	v_mov_b32_e32 v18, 2
	v_pk_mov_b32 v[76:77], v[50:51], v[50:51] op_sel:[0,1]
	global_store_dword v98, v46, s[38:39] offset:1024
	global_store_dwordx2 v98, v[48:49], s[38:39] offset:1032
	s_waitcnt vmcnt(0)
	buffer_wbinvl1_vol
	global_store_byte v98, v18, s[40:41] offset:64
.LBB906_172:
	s_or_b64 exec, exec, s[2:3]
	v_mov_b32_e32 v50, 0
.LBB906_173:
	s_and_b64 s[2:3], s[30:31], exec
	s_cselect_b32 s3, 0, s51
	s_cselect_b32 s2, 0, s50
	s_cmp_eq_u64 s[2:3], 0
	v_pk_mov_b32 v[18:19], 0, 0
	s_barrier
	s_cbranch_scc1 .LBB906_175
; %bb.174:
	v_mov_b32_e32 v18, 0
	global_load_dwordx2 v[18:19], v18, s[2:3]
.LBB906_175:
	v_add_u32_e32 v33, v98, v96
	v_add_u32_e32 v32, v33, v95
	;; [unrolled: 1-line block ×12, first 2 shown]
	s_movk_i32 s38, 0x100
	v_add_u32_e32 v21, v22, v84
	v_cmp_gt_u32_e32 vcc, s38, v46
	v_add_u32_e32 v20, v21, v83
	s_cbranch_vccnz .LBB906_224
; %bb.176:
	v_cmp_eq_u32_e64 s[28:29], 0, v95
	v_cndmask_b32_e64 v51, 1, 2, s[28:29]
	v_cmp_eq_u32_e64 s[28:29], 0, v96
	v_cmp_eq_u32_e64 s[26:27], 0, v94
	v_cndmask_b32_e64 v97, 1, 2, s[28:29]
	v_cmp_eq_u32_e64 s[24:25], 0, v93
	v_cndmask_b32_e64 v47, 1, 2, s[26:27]
	v_and_b32_e32 v51, v51, v97
	v_cmp_eq_u32_e64 s[22:23], 0, v92
	v_cndmask_b32_e64 v45, 1, 2, s[24:25]
	v_and_b32_e32 v47, v51, v47
	;; [unrolled: 3-line block ×11, first 2 shown]
	v_cmp_eq_u32_e32 vcc, 0, v82
	v_cndmask_b32_e64 v35, 1, 2, s[2:3]
	v_and_b32_e32 v36, v37, v36
	v_cndmask_b32_e64 v34, 1, 2, vcc
	v_and_b32_e32 v35, v36, v35
	v_and_b32_e32 v34, v35, v34
	v_cmp_ne_u32_e64 s[20:21], 0, v96
	v_cmp_ne_u32_e32 vcc, 0, v83
	v_cmp_ne_u32_e64 s[2:3], 0, v84
	v_cmp_ne_u32_e64 s[4:5], 0, v85
	;; [unrolled: 1-line block ×12, first 2 shown]
	v_cmp_gt_i16_e64 s[28:29], 2, v34
	s_and_saveexec_b64 s[30:31], s[28:29]
	s_cbranch_execz .LBB906_223
; %bb.177:
	v_cmp_ne_u16_e64 s[28:29], 1, v34
	s_mov_b64 s[36:37], 0
	s_and_saveexec_b64 s[40:41], s[28:29]
	s_xor_b64 s[28:29], exec, s[40:41]
	s_cbranch_execz .LBB906_201
; %bb.178:
	s_and_saveexec_b64 s[36:37], s[20:21]
	s_cbranch_execz .LBB906_206
; %bb.179:
	v_sub_u32_e32 v34, v98, v50
	v_lshlrev_b32_e32 v34, 2, v34
	ds_write_b32 v34, v14
	s_or_b64 exec, exec, s[36:37]
	s_and_saveexec_b64 s[20:21], s[26:27]
	s_cbranch_execnz .LBB906_207
.LBB906_180:
	s_or_b64 exec, exec, s[20:21]
	s_and_saveexec_b64 s[20:21], s[24:25]
	s_cbranch_execz .LBB906_208
.LBB906_181:
	v_sub_u32_e32 v14, v32, v50
	v_lshlrev_b32_e32 v14, 2, v14
	ds_write_b32 v14, v12
	s_or_b64 exec, exec, s[20:21]
	s_and_saveexec_b64 s[20:21], s[22:23]
	s_cbranch_execnz .LBB906_209
.LBB906_182:
	s_or_b64 exec, exec, s[20:21]
	s_and_saveexec_b64 s[20:21], s[18:19]
	s_cbranch_execz .LBB906_210
.LBB906_183:
	v_sub_u32_e32 v12, v30, v50
	v_lshlrev_b32_e32 v12, 2, v12
	ds_write_b32 v12, v10
	s_or_b64 exec, exec, s[20:21]
	s_and_saveexec_b64 s[18:19], s[16:17]
	s_cbranch_execnz .LBB906_211
.LBB906_184:
	s_or_b64 exec, exec, s[18:19]
	s_and_saveexec_b64 s[16:17], s[14:15]
	s_cbranch_execz .LBB906_212
.LBB906_185:
	v_sub_u32_e32 v10, v28, v50
	v_lshlrev_b32_e32 v10, 2, v10
	ds_write_b32 v10, v8
	s_or_b64 exec, exec, s[16:17]
	s_and_saveexec_b64 s[14:15], s[12:13]
	s_cbranch_execnz .LBB906_213
.LBB906_186:
	s_or_b64 exec, exec, s[14:15]
	s_and_saveexec_b64 s[12:13], s[10:11]
	s_cbranch_execz .LBB906_214
.LBB906_187:
	v_sub_u32_e32 v8, v26, v50
	v_lshlrev_b32_e32 v8, 2, v8
	ds_write_b32 v8, v6
	s_or_b64 exec, exec, s[12:13]
	s_and_saveexec_b64 s[10:11], s[8:9]
	s_cbranch_execnz .LBB906_215
.LBB906_188:
	s_or_b64 exec, exec, s[10:11]
	s_and_saveexec_b64 s[8:9], s[6:7]
	s_cbranch_execz .LBB906_216
.LBB906_189:
	v_sub_u32_e32 v6, v24, v50
	v_lshlrev_b32_e32 v6, 2, v6
	ds_write_b32 v6, v4
	s_or_b64 exec, exec, s[8:9]
	s_and_saveexec_b64 s[6:7], s[4:5]
	s_cbranch_execnz .LBB906_217
.LBB906_190:
	s_or_b64 exec, exec, s[6:7]
	s_and_saveexec_b64 s[4:5], s[2:3]
	s_cbranch_execz .LBB906_218
.LBB906_191:
	v_sub_u32_e32 v4, v22, v50
	v_lshlrev_b32_e32 v4, 2, v4
	ds_write_b32 v4, v2
	s_or_b64 exec, exec, s[4:5]
	v_cmp_ne_u32_e64 s[2:3], 0, v82
	s_and_saveexec_b64 s[4:5], vcc
	s_cbranch_execnz .LBB906_219
	s_branch .LBB906_220
.LBB906_192:
                                        ; implicit-def: $sgpr4_sgpr5
                                        ; implicit-def: $vgpr82
                                        ; implicit-def: $vgpr83
                                        ; implicit-def: $vgpr84
                                        ; implicit-def: $vgpr85
                                        ; implicit-def: $vgpr86
                                        ; implicit-def: $vgpr87
                                        ; implicit-def: $vgpr88
                                        ; implicit-def: $vgpr89
                                        ; implicit-def: $vgpr90
                                        ; implicit-def: $vgpr91
                                        ; implicit-def: $vgpr92
                                        ; implicit-def: $vgpr93
                                        ; implicit-def: $vgpr94
                                        ; implicit-def: $vgpr95
	s_cbranch_execz .LBB906_74
; %bb.193:
	v_cmp_ne_u32_e32 vcc, v15, v80
	v_cndmask_b32_e64 v95, 0, 1, vcc
	v_cmp_ne_u32_e32 vcc, v15, v81
	v_cndmask_b32_e64 v94, 0, 1, vcc
	;; [unrolled: 2-line block ×14, first 2 shown]
	ds_write_b32 v96, v1
	s_waitcnt lgkmcnt(0)
	s_barrier
	s_waitcnt lgkmcnt(0)
                                        ; implicit-def: $sgpr4_sgpr5
	s_and_saveexec_b64 s[8:9], s[2:3]
	s_xor_b64 s[8:9], exec, s[8:9]
	s_cbranch_execz .LBB906_195
; %bb.194:
	v_add_u32_e32 v51, -4, v96
	ds_read_b32 v51, v51
	s_or_b64 s[60:61], s[60:61], exec
	s_waitcnt lgkmcnt(0)
	v_cmp_ne_u32_e32 vcc, v51, v14
	s_and_b64 s[4:5], vcc, exec
.LBB906_195:
	s_or_b64 exec, exec, s[8:9]
	s_mov_b32 s10, 1
	s_branch .LBB906_76
.LBB906_196:
	s_mul_hi_u32 s5, s58, 0xfffff100
	s_mul_i32 s4, s59, 0xfffff100
	s_sub_i32 s5, s5, s58
	s_add_i32 s5, s5, s4
	s_mul_i32 s4, s58, 0xfffff100
	s_add_u32 s46, s4, s48
	s_addc_u32 s47, s5, s49
	s_and_b64 vcc, exec, s[6:7]
	v_cmp_ne_u32_e64 s[30:31], v3, v1
	v_cmp_ne_u32_e64 s[28:29], v2, v3
	;; [unrolled: 1-line block ×14, first 2 shown]
	s_cbranch_vccz .LBB906_203
; %bb.197:
	v_add_co_u32_e32 v74, vcc, -4, v47
	v_addc_co_u32_e32 v75, vcc, -1, v49, vcc
	flat_load_dword v76, v[74:75]
	v_mov_b32_e32 v47, 0
	v_cmp_gt_u64_e32 vcc, s[46:47], v[46:47]
	v_mov_b32_e32 v73, v47
	s_and_b64 s[30:31], vcc, s[30:31]
	v_cmp_gt_u64_e32 vcc, s[46:47], v[72:73]
	v_mov_b32_e32 v71, v47
	s_and_b64 s[28:29], vcc, s[28:29]
	;; [unrolled: 3-line block ×13, first 2 shown]
	v_cmp_gt_u64_e32 vcc, s[46:47], v[48:49]
	v_mul_u32_u24_e32 v74, 15, v0
	s_and_b64 s[4:5], vcc, s[4:5]
	ds_write_b32 v96, v1
	s_waitcnt lgkmcnt(0)
	s_barrier
	s_and_saveexec_b64 s[48:49], s[2:3]
	s_cbranch_execz .LBB906_199
; %bb.198:
	v_add_u32_e32 v49, -4, v96
	s_waitcnt vmcnt(0)
	ds_read_b32 v76, v49
.LBB906_199:
	s_or_b64 exec, exec, s[48:49]
	v_mov_b32_e32 v75, v47
	v_cndmask_b32_e64 v95, 0, 1, s[4:5]
	v_cmp_gt_u64_e32 vcc, s[46:47], v[74:75]
	s_waitcnt vmcnt(0) lgkmcnt(0)
	v_cmp_ne_u32_e64 s[4:5], v76, v14
	v_cndmask_b32_e64 v82, 0, 1, s[30:31]
	v_cndmask_b32_e64 v83, 0, 1, s[28:29]
	;; [unrolled: 1-line block ×13, first 2 shown]
	s_and_b64 s[4:5], vcc, s[4:5]
	s_mov_b64 s[60:61], -1
.LBB906_200:
                                        ; implicit-def: $sgpr10
	v_mov_b32_e32 v96, s10
	s_and_saveexec_b64 s[2:3], s[60:61]
	s_cbranch_execnz .LBB906_77
	s_branch .LBB906_78
.LBB906_201:
	s_andn2_saveexec_b64 s[2:3], s[28:29]
	s_cbranch_execz .LBB906_221
.LBB906_202:
	v_sub_u32_e32 v34, v98, v50
	v_lshlrev_b32_e32 v34, 2, v34
	ds_write_b32 v34, v14
	v_sub_u32_e32 v14, v33, v50
	v_lshlrev_b32_e32 v14, 2, v14
	ds_write_b32 v14, v15
	;; [unrolled: 3-line block ×13, first 2 shown]
	v_sub_u32_e32 v2, v21, v50
	v_lshlrev_b32_e32 v2, 2, v2
	s_or_b64 s[36:37], s[36:37], exec
	ds_write_b32 v2, v3
	s_or_b64 exec, exec, s[2:3]
	s_and_b64 exec, exec, s[36:37]
	s_cbranch_execnz .LBB906_222
	s_branch .LBB906_223
.LBB906_203:
                                        ; implicit-def: $sgpr4_sgpr5
                                        ; implicit-def: $vgpr82
                                        ; implicit-def: $vgpr83
                                        ; implicit-def: $vgpr84
                                        ; implicit-def: $vgpr85
                                        ; implicit-def: $vgpr86
                                        ; implicit-def: $vgpr87
                                        ; implicit-def: $vgpr88
                                        ; implicit-def: $vgpr89
                                        ; implicit-def: $vgpr90
                                        ; implicit-def: $vgpr91
                                        ; implicit-def: $vgpr92
                                        ; implicit-def: $vgpr93
                                        ; implicit-def: $vgpr94
                                        ; implicit-def: $vgpr95
	s_cbranch_execz .LBB906_200
; %bb.204:
	v_mov_b32_e32 v47, 0
	v_cmp_gt_u64_e32 vcc, s[46:47], v[46:47]
	v_cmp_ne_u32_e64 s[4:5], v3, v1
	s_and_b64 s[4:5], vcc, s[4:5]
	v_mov_b32_e32 v73, v47
	v_cndmask_b32_e64 v82, 0, 1, s[4:5]
	v_cmp_gt_u64_e32 vcc, s[46:47], v[72:73]
	v_cmp_ne_u32_e64 s[4:5], v2, v3
	s_and_b64 s[4:5], vcc, s[4:5]
	v_mov_b32_e32 v71, v47
	v_cndmask_b32_e64 v83, 0, 1, s[4:5]
	;; [unrolled: 5-line block ×13, first 2 shown]
	v_cmp_gt_u64_e32 vcc, s[46:47], v[48:49]
	v_cmp_ne_u32_e64 s[4:5], v14, v15
	s_and_b64 s[4:5], vcc, s[4:5]
	s_mov_b32 s10, 1
	v_cndmask_b32_e64 v95, 0, 1, s[4:5]
	ds_write_b32 v96, v1
	s_waitcnt lgkmcnt(0)
	s_barrier
	s_waitcnt lgkmcnt(0)
                                        ; implicit-def: $sgpr4_sgpr5
	s_and_saveexec_b64 s[6:7], s[2:3]
	s_cbranch_execz .LBB906_243
; %bb.205:
	v_add_u32_e32 v46, -4, v96
	ds_read_b32 v48, v46
	v_mul_u32_u24_e32 v46, 15, v0
	v_cmp_gt_u64_e32 vcc, s[46:47], v[46:47]
	s_or_b64 s[60:61], s[60:61], exec
	s_waitcnt lgkmcnt(0)
	v_cmp_ne_u32_e64 s[2:3], v48, v14
	s_and_b64 s[2:3], vcc, s[2:3]
	s_and_b64 s[4:5], s[2:3], exec
	s_or_b64 exec, exec, s[6:7]
	v_mov_b32_e32 v96, s10
	s_and_saveexec_b64 s[2:3], s[60:61]
	s_cbranch_execz .LBB906_78
	s_branch .LBB906_77
.LBB906_206:
	s_or_b64 exec, exec, s[36:37]
	s_and_saveexec_b64 s[20:21], s[26:27]
	s_cbranch_execz .LBB906_180
.LBB906_207:
	v_sub_u32_e32 v14, v33, v50
	v_lshlrev_b32_e32 v14, 2, v14
	ds_write_b32 v14, v15
	s_or_b64 exec, exec, s[20:21]
	s_and_saveexec_b64 s[20:21], s[24:25]
	s_cbranch_execnz .LBB906_181
.LBB906_208:
	s_or_b64 exec, exec, s[20:21]
	s_and_saveexec_b64 s[20:21], s[22:23]
	s_cbranch_execz .LBB906_182
.LBB906_209:
	v_sub_u32_e32 v12, v31, v50
	v_lshlrev_b32_e32 v12, 2, v12
	ds_write_b32 v12, v13
	s_or_b64 exec, exec, s[20:21]
	s_and_saveexec_b64 s[20:21], s[18:19]
	s_cbranch_execnz .LBB906_183
.LBB906_210:
	s_or_b64 exec, exec, s[20:21]
	s_and_saveexec_b64 s[18:19], s[16:17]
	s_cbranch_execz .LBB906_184
.LBB906_211:
	v_sub_u32_e32 v10, v29, v50
	v_lshlrev_b32_e32 v10, 2, v10
	ds_write_b32 v10, v11
	s_or_b64 exec, exec, s[18:19]
	s_and_saveexec_b64 s[16:17], s[14:15]
	s_cbranch_execnz .LBB906_185
.LBB906_212:
	s_or_b64 exec, exec, s[16:17]
	s_and_saveexec_b64 s[14:15], s[12:13]
	s_cbranch_execz .LBB906_186
.LBB906_213:
	v_sub_u32_e32 v8, v27, v50
	v_lshlrev_b32_e32 v8, 2, v8
	ds_write_b32 v8, v9
	s_or_b64 exec, exec, s[14:15]
	s_and_saveexec_b64 s[12:13], s[10:11]
	s_cbranch_execnz .LBB906_187
.LBB906_214:
	s_or_b64 exec, exec, s[12:13]
	s_and_saveexec_b64 s[10:11], s[8:9]
	s_cbranch_execz .LBB906_188
.LBB906_215:
	v_sub_u32_e32 v6, v25, v50
	v_lshlrev_b32_e32 v6, 2, v6
	ds_write_b32 v6, v7
	s_or_b64 exec, exec, s[10:11]
	s_and_saveexec_b64 s[8:9], s[6:7]
	s_cbranch_execnz .LBB906_189
.LBB906_216:
	s_or_b64 exec, exec, s[8:9]
	s_and_saveexec_b64 s[6:7], s[4:5]
	s_cbranch_execz .LBB906_190
.LBB906_217:
	v_sub_u32_e32 v4, v23, v50
	v_lshlrev_b32_e32 v4, 2, v4
	ds_write_b32 v4, v5
	s_or_b64 exec, exec, s[6:7]
	s_and_saveexec_b64 s[4:5], s[2:3]
	s_cbranch_execnz .LBB906_191
.LBB906_218:
	s_or_b64 exec, exec, s[4:5]
	v_cmp_ne_u32_e64 s[2:3], 0, v82
	s_and_saveexec_b64 s[4:5], vcc
	s_cbranch_execz .LBB906_220
.LBB906_219:
	v_sub_u32_e32 v2, v21, v50
	v_lshlrev_b32_e32 v2, 2, v2
	ds_write_b32 v2, v3
.LBB906_220:
	s_or_b64 exec, exec, s[4:5]
	s_and_b64 s[36:37], s[2:3], exec
                                        ; implicit-def: $vgpr2
                                        ; implicit-def: $vgpr4
                                        ; implicit-def: $vgpr6
                                        ; implicit-def: $vgpr8
                                        ; implicit-def: $vgpr10
                                        ; implicit-def: $vgpr12
                                        ; implicit-def: $vgpr14
	s_andn2_saveexec_b64 s[2:3], s[28:29]
	s_cbranch_execnz .LBB906_202
.LBB906_221:
	s_or_b64 exec, exec, s[2:3]
	s_and_b64 exec, exec, s[36:37]
	s_cbranch_execz .LBB906_223
.LBB906_222:
	v_sub_u32_e32 v2, v20, v50
	v_lshlrev_b32_e32 v2, 2, v2
	ds_write_b32 v2, v1
.LBB906_223:
	s_or_b64 exec, exec, s[30:31]
	s_waitcnt lgkmcnt(0)
	s_barrier
.LBB906_224:
	s_cmpk_lg_i32 s33, 0xf00
	s_cselect_b64 s[2:3], -1, 0
	v_cndmask_b32_e64 v8, 0, 1, s[34:35]
	s_and_b64 s[2:3], s[2:3], s[44:45]
	v_sub_u32_e32 v1, v46, v8
	v_cndmask_b32_e64 v4, 0, 1, s[2:3]
	s_and_b64 s[0:1], s[0:1], s[34:35]
	v_add_co_u32_e32 v2, vcc, v80, v16
	v_add_u32_e32 v1, v1, v4
	v_cndmask_b32_e64 v4, v96, 0, s[0:1]
	s_mul_hi_u32 s0, s33, 0x88888889
	v_addc_co_u32_e32 v3, vcc, v81, v17, vcc
	s_lshr_b32 s0, s0, 3
	v_mad_i32_i24 v5, v0, -15, s33
	v_cmp_eq_u32_e32 vcc, s0, v0
	v_cmp_ne_u32_e64 s[0:1], 0, v5
	v_cndmask_b32_e64 v6, 1, v4, s[0:1]
	v_cmp_ne_u32_e64 s[0:1], 1, v5
	v_cndmask_b32_e64 v7, 1, v95, s[0:1]
	;; [unrolled: 2-line block ×15, first 2 shown]
	s_and_b64 vcc, vcc, s[44:45]
	v_cndmask_b32_e32 v37, v82, v5, vcc
	v_cndmask_b32_e32 v39, v4, v6, vcc
	s_waitcnt vmcnt(0)
	v_lshlrev_b64 v[4:5], 3, v[18:19]
	v_mov_b32_e32 v51, 0
	v_cndmask_b32_e32 v36, v83, v36, vcc
	v_cndmask_b32_e32 v35, v84, v35, vcc
	;; [unrolled: 1-line block ×13, first 2 shown]
	v_mov_b32_e32 v6, s53
	v_add_co_u32_e32 v7, vcc, s52, v4
	v_addc_co_u32_e32 v6, vcc, v6, v5, vcc
	v_lshlrev_b64 v[4:5], 3, v[50:51]
	v_add_co_u32_e32 v4, vcc, v7, v4
	v_addc_co_u32_e32 v5, vcc, v6, v5, vcc
	v_lshlrev_b32_e32 v6, 3, v8
	v_add_co_u32_e32 v6, vcc, v6, v4
	v_addc_co_u32_e32 v7, vcc, 0, v5, vcc
	v_add_co_u32_e32 v6, vcc, -8, v6
	v_addc_co_u32_e32 v7, vcc, -1, v7, vcc
	v_cmp_eq_u32_e32 vcc, 0, v39
	v_cmp_ne_u32_e64 s[28:29], 0, v39
	v_cndmask_b32_e64 v39, 1, 2, vcc
	v_cmp_eq_u32_e32 vcc, 0, v38
	v_cmp_ne_u32_e64 s[26:27], 0, v38
	v_cndmask_b32_e64 v38, 1, 2, vcc
	v_cmp_eq_u32_e32 vcc, 0, v9
	v_and_b32_e32 v38, v38, v39
	v_cmp_ne_u32_e64 s[24:25], 0, v9
	v_cndmask_b32_e64 v9, 1, 2, vcc
	v_cmp_eq_u32_e32 vcc, 0, v10
	v_and_b32_e32 v9, v38, v9
	;; [unrolled: 4-line block ×3, first 2 shown]
	v_cndmask_b32_e64 v10, 1, 2, vcc
	v_cmp_eq_u32_e32 vcc, 0, v12
	v_and_b32_e32 v9, v9, v10
	v_cndmask_b32_e64 v10, 1, 2, vcc
	v_cmp_eq_u32_e32 vcc, 0, v13
	v_and_b32_e32 v9, v9, v10
	;; [unrolled: 3-line block ×10, first 2 shown]
	v_cndmask_b32_e64 v10, 1, 2, vcc
	v_and_b32_e32 v9, v9, v10
	v_cmp_gt_u32_e32 vcc, s38, v1
	v_add_u32_e32 v8, v50, v8
	v_cmp_ne_u32_e64 s[20:21], 0, v11
	v_cmp_ne_u32_e64 s[18:19], 0, v12
	;; [unrolled: 1-line block ×11, first 2 shown]
	s_mov_b64 s[34:35], -1
	v_cmp_gt_i16_e64 s[30:31], 2, v9
	s_barrier
	s_cbranch_vccz .LBB906_262
; %bb.225:
	s_and_saveexec_b64 s[34:35], s[30:31]
	s_cbranch_execz .LBB906_261
; %bb.226:
	v_cmp_ne_u16_e32 vcc, 1, v9
	s_mov_b64 s[36:37], 0
	s_and_saveexec_b64 s[30:31], vcc
	s_xor_b64 s[30:31], exec, s[30:31]
	s_cbranch_execz .LBB906_241
; %bb.227:
	s_and_saveexec_b64 s[36:37], s[28:29]
	s_cbranch_execz .LBB906_244
; %bb.228:
	v_sub_u32_e32 v10, v98, v8
	v_mov_b32_e32 v11, 0
	v_lshlrev_b64 v[10:11], 3, v[10:11]
	v_add_co_u32_e32 v10, vcc, v6, v10
	v_addc_co_u32_e32 v11, vcc, v7, v11, vcc
	global_store_dwordx2 v[10:11], v[76:77], off
	s_or_b64 exec, exec, s[36:37]
	s_and_saveexec_b64 s[36:37], s[26:27]
	s_cbranch_execnz .LBB906_245
.LBB906_229:
	s_or_b64 exec, exec, s[36:37]
	s_and_saveexec_b64 s[36:37], s[24:25]
	s_cbranch_execz .LBB906_246
.LBB906_230:
	v_sub_u32_e32 v10, v32, v8
	v_mov_b32_e32 v11, 0
	v_lshlrev_b64 v[10:11], 3, v[10:11]
	v_add_co_u32_e32 v10, vcc, v6, v10
	v_addc_co_u32_e32 v11, vcc, v7, v11, vcc
	global_store_dwordx2 v[10:11], v[54:55], off
	s_or_b64 exec, exec, s[36:37]
	s_and_saveexec_b64 s[36:37], s[22:23]
	s_cbranch_execnz .LBB906_247
.LBB906_231:
	s_or_b64 exec, exec, s[36:37]
	s_and_saveexec_b64 s[36:37], s[20:21]
	s_cbranch_execz .LBB906_248
.LBB906_232:
	v_sub_u32_e32 v10, v30, v8
	v_mov_b32_e32 v11, 0
	v_lshlrev_b64 v[10:11], 3, v[10:11]
	v_add_co_u32_e32 v10, vcc, v6, v10
	v_addc_co_u32_e32 v11, vcc, v7, v11, vcc
	global_store_dwordx2 v[10:11], v[58:59], off
	s_or_b64 exec, exec, s[36:37]
	s_and_saveexec_b64 s[36:37], s[18:19]
	s_cbranch_execnz .LBB906_249
.LBB906_233:
	s_or_b64 exec, exec, s[36:37]
	s_and_saveexec_b64 s[36:37], s[16:17]
	s_cbranch_execz .LBB906_250
.LBB906_234:
	v_sub_u32_e32 v10, v28, v8
	v_mov_b32_e32 v11, 0
	v_lshlrev_b64 v[10:11], 3, v[10:11]
	v_add_co_u32_e32 v10, vcc, v6, v10
	v_addc_co_u32_e32 v11, vcc, v7, v11, vcc
	global_store_dwordx2 v[10:11], v[62:63], off
	s_or_b64 exec, exec, s[36:37]
	s_and_saveexec_b64 s[36:37], s[14:15]
	s_cbranch_execnz .LBB906_251
.LBB906_235:
	s_or_b64 exec, exec, s[36:37]
	s_and_saveexec_b64 s[36:37], s[12:13]
	s_cbranch_execz .LBB906_252
.LBB906_236:
	v_sub_u32_e32 v10, v26, v8
	v_mov_b32_e32 v11, 0
	v_lshlrev_b64 v[10:11], 3, v[10:11]
	v_add_co_u32_e32 v10, vcc, v6, v10
	v_addc_co_u32_e32 v11, vcc, v7, v11, vcc
	global_store_dwordx2 v[10:11], v[66:67], off
	s_or_b64 exec, exec, s[36:37]
	s_and_saveexec_b64 s[36:37], s[10:11]
	s_cbranch_execnz .LBB906_253
.LBB906_237:
	s_or_b64 exec, exec, s[36:37]
	s_and_saveexec_b64 s[36:37], s[8:9]
	s_cbranch_execz .LBB906_254
.LBB906_238:
	v_sub_u32_e32 v10, v24, v8
	v_mov_b32_e32 v11, 0
	v_lshlrev_b64 v[10:11], 3, v[10:11]
	v_add_co_u32_e32 v10, vcc, v6, v10
	v_addc_co_u32_e32 v11, vcc, v7, v11, vcc
	global_store_dwordx2 v[10:11], v[70:71], off
	s_or_b64 exec, exec, s[36:37]
	s_and_saveexec_b64 s[36:37], s[6:7]
	s_cbranch_execnz .LBB906_255
.LBB906_239:
	s_or_b64 exec, exec, s[36:37]
	s_and_saveexec_b64 s[36:37], s[4:5]
	s_cbranch_execz .LBB906_256
.LBB906_240:
	v_sub_u32_e32 v10, v22, v8
	v_mov_b32_e32 v11, 0
	v_lshlrev_b64 v[10:11], 3, v[10:11]
	v_add_co_u32_e32 v10, vcc, v6, v10
	v_addc_co_u32_e32 v11, vcc, v7, v11, vcc
	global_store_dwordx2 v[10:11], v[74:75], off
	s_or_b64 exec, exec, s[36:37]
	s_and_saveexec_b64 s[36:37], s[2:3]
	s_cbranch_execnz .LBB906_257
	s_branch .LBB906_258
.LBB906_241:
	s_andn2_saveexec_b64 s[30:31], s[30:31]
	s_cbranch_execz .LBB906_259
.LBB906_242:
	v_sub_u32_e32 v10, v98, v8
	v_mov_b32_e32 v11, 0
	v_lshlrev_b64 v[12:13], 3, v[10:11]
	v_add_co_u32_e32 v12, vcc, v6, v12
	v_addc_co_u32_e32 v13, vcc, v7, v13, vcc
	v_sub_u32_e32 v10, v33, v8
	global_store_dwordx2 v[12:13], v[76:77], off
	v_lshlrev_b64 v[12:13], 3, v[10:11]
	v_add_co_u32_e32 v12, vcc, v6, v12
	v_addc_co_u32_e32 v13, vcc, v7, v13, vcc
	v_sub_u32_e32 v10, v32, v8
	global_store_dwordx2 v[12:13], v[52:53], off
	;; [unrolled: 5-line block ×12, first 2 shown]
	v_lshlrev_b64 v[12:13], 3, v[10:11]
	v_add_co_u32_e32 v12, vcc, v6, v12
	v_sub_u32_e32 v10, v21, v8
	v_addc_co_u32_e32 v13, vcc, v7, v13, vcc
	v_lshlrev_b64 v[10:11], 3, v[10:11]
	v_add_co_u32_e32 v10, vcc, v6, v10
	v_addc_co_u32_e32 v11, vcc, v7, v11, vcc
	s_or_b64 s[36:37], s[36:37], exec
	global_store_dwordx2 v[12:13], v[74:75], off
	global_store_dwordx2 v[10:11], v[78:79], off
	s_or_b64 exec, exec, s[30:31]
	s_and_b64 exec, exec, s[36:37]
	s_cbranch_execnz .LBB906_260
	s_branch .LBB906_261
.LBB906_243:
	s_or_b64 exec, exec, s[6:7]
	v_mov_b32_e32 v96, s10
	s_and_saveexec_b64 s[2:3], s[60:61]
	s_cbranch_execnz .LBB906_77
	s_branch .LBB906_78
.LBB906_244:
	s_or_b64 exec, exec, s[36:37]
	s_and_saveexec_b64 s[36:37], s[26:27]
	s_cbranch_execz .LBB906_229
.LBB906_245:
	v_sub_u32_e32 v10, v33, v8
	v_mov_b32_e32 v11, 0
	v_lshlrev_b64 v[10:11], 3, v[10:11]
	v_add_co_u32_e32 v10, vcc, v6, v10
	v_addc_co_u32_e32 v11, vcc, v7, v11, vcc
	global_store_dwordx2 v[10:11], v[52:53], off
	s_or_b64 exec, exec, s[36:37]
	s_and_saveexec_b64 s[36:37], s[24:25]
	s_cbranch_execnz .LBB906_230
.LBB906_246:
	s_or_b64 exec, exec, s[36:37]
	s_and_saveexec_b64 s[36:37], s[22:23]
	s_cbranch_execz .LBB906_231
.LBB906_247:
	v_sub_u32_e32 v10, v31, v8
	v_mov_b32_e32 v11, 0
	v_lshlrev_b64 v[10:11], 3, v[10:11]
	v_add_co_u32_e32 v10, vcc, v6, v10
	v_addc_co_u32_e32 v11, vcc, v7, v11, vcc
	global_store_dwordx2 v[10:11], v[56:57], off
	s_or_b64 exec, exec, s[36:37]
	s_and_saveexec_b64 s[36:37], s[20:21]
	s_cbranch_execnz .LBB906_232
.LBB906_248:
	s_or_b64 exec, exec, s[36:37]
	s_and_saveexec_b64 s[36:37], s[18:19]
	s_cbranch_execz .LBB906_233
.LBB906_249:
	v_sub_u32_e32 v10, v29, v8
	v_mov_b32_e32 v11, 0
	v_lshlrev_b64 v[10:11], 3, v[10:11]
	v_add_co_u32_e32 v10, vcc, v6, v10
	v_addc_co_u32_e32 v11, vcc, v7, v11, vcc
	global_store_dwordx2 v[10:11], v[60:61], off
	s_or_b64 exec, exec, s[36:37]
	s_and_saveexec_b64 s[36:37], s[16:17]
	s_cbranch_execnz .LBB906_234
.LBB906_250:
	s_or_b64 exec, exec, s[36:37]
	s_and_saveexec_b64 s[36:37], s[14:15]
	s_cbranch_execz .LBB906_235
.LBB906_251:
	v_sub_u32_e32 v10, v27, v8
	v_mov_b32_e32 v11, 0
	v_lshlrev_b64 v[10:11], 3, v[10:11]
	v_add_co_u32_e32 v10, vcc, v6, v10
	v_addc_co_u32_e32 v11, vcc, v7, v11, vcc
	global_store_dwordx2 v[10:11], v[64:65], off
	s_or_b64 exec, exec, s[36:37]
	s_and_saveexec_b64 s[36:37], s[12:13]
	s_cbranch_execnz .LBB906_236
.LBB906_252:
	s_or_b64 exec, exec, s[36:37]
	s_and_saveexec_b64 s[36:37], s[10:11]
	s_cbranch_execz .LBB906_237
.LBB906_253:
	v_sub_u32_e32 v10, v25, v8
	v_mov_b32_e32 v11, 0
	v_lshlrev_b64 v[10:11], 3, v[10:11]
	v_add_co_u32_e32 v10, vcc, v6, v10
	v_addc_co_u32_e32 v11, vcc, v7, v11, vcc
	global_store_dwordx2 v[10:11], v[68:69], off
	s_or_b64 exec, exec, s[36:37]
	s_and_saveexec_b64 s[36:37], s[8:9]
	s_cbranch_execnz .LBB906_238
.LBB906_254:
	s_or_b64 exec, exec, s[36:37]
	s_and_saveexec_b64 s[36:37], s[6:7]
	s_cbranch_execz .LBB906_239
.LBB906_255:
	v_sub_u32_e32 v10, v23, v8
	v_mov_b32_e32 v11, 0
	v_lshlrev_b64 v[10:11], 3, v[10:11]
	v_add_co_u32_e32 v10, vcc, v6, v10
	v_addc_co_u32_e32 v11, vcc, v7, v11, vcc
	global_store_dwordx2 v[10:11], v[72:73], off
	s_or_b64 exec, exec, s[36:37]
	s_and_saveexec_b64 s[36:37], s[4:5]
	s_cbranch_execnz .LBB906_240
.LBB906_256:
	s_or_b64 exec, exec, s[36:37]
	s_and_saveexec_b64 s[36:37], s[2:3]
	s_cbranch_execz .LBB906_258
.LBB906_257:
	v_sub_u32_e32 v10, v21, v8
	v_mov_b32_e32 v11, 0
	v_lshlrev_b64 v[10:11], 3, v[10:11]
	v_add_co_u32_e32 v10, vcc, v6, v10
	v_addc_co_u32_e32 v11, vcc, v7, v11, vcc
	global_store_dwordx2 v[10:11], v[78:79], off
.LBB906_258:
	s_or_b64 exec, exec, s[36:37]
	s_and_b64 s[36:37], s[0:1], exec
	s_andn2_saveexec_b64 s[30:31], s[30:31]
	s_cbranch_execnz .LBB906_242
.LBB906_259:
	s_or_b64 exec, exec, s[30:31]
	s_and_b64 exec, exec, s[36:37]
	s_cbranch_execz .LBB906_261
.LBB906_260:
	v_sub_u32_e32 v10, v20, v8
	v_mov_b32_e32 v11, 0
	v_lshlrev_b64 v[10:11], 3, v[10:11]
	v_add_co_u32_e32 v10, vcc, v6, v10
	v_addc_co_u32_e32 v11, vcc, v7, v11, vcc
	global_store_dwordx2 v[10:11], v[2:3], off
.LBB906_261:
	s_or_b64 exec, exec, s[34:35]
	s_mov_b64 s[34:35], 0
.LBB906_262:
	s_and_b64 vcc, exec, s[34:35]
	s_cbranch_vccz .LBB906_302
; %bb.263:
	v_cmp_gt_i16_e32 vcc, 2, v9
	s_and_saveexec_b64 s[30:31], vcc
	s_cbranch_execz .LBB906_298
; %bb.264:
	v_cmp_ne_u16_e32 vcc, 1, v9
	s_mov_b64 s[36:37], 0
	s_and_saveexec_b64 s[34:35], vcc
	s_xor_b64 s[34:35], exec, s[34:35]
	s_cbranch_execz .LBB906_279
; %bb.265:
	s_and_saveexec_b64 s[36:37], s[28:29]
	s_cbranch_execz .LBB906_281
; %bb.266:
	v_sub_u32_e32 v9, v98, v8
	v_lshlrev_b32_e32 v9, 3, v9
	ds_write_b64 v9, v[76:77]
	s_or_b64 exec, exec, s[36:37]
	s_and_saveexec_b64 s[28:29], s[26:27]
	s_cbranch_execnz .LBB906_282
.LBB906_267:
	s_or_b64 exec, exec, s[28:29]
	s_and_saveexec_b64 s[26:27], s[24:25]
	s_cbranch_execz .LBB906_283
.LBB906_268:
	v_sub_u32_e32 v9, v32, v8
	v_lshlrev_b32_e32 v9, 3, v9
	ds_write_b64 v9, v[54:55]
	s_or_b64 exec, exec, s[26:27]
	s_and_saveexec_b64 s[24:25], s[22:23]
	s_cbranch_execnz .LBB906_284
.LBB906_269:
	s_or_b64 exec, exec, s[24:25]
	s_and_saveexec_b64 s[22:23], s[20:21]
	s_cbranch_execz .LBB906_285
.LBB906_270:
	v_sub_u32_e32 v9, v30, v8
	v_lshlrev_b32_e32 v9, 3, v9
	ds_write_b64 v9, v[58:59]
	s_or_b64 exec, exec, s[22:23]
	s_and_saveexec_b64 s[20:21], s[18:19]
	s_cbranch_execnz .LBB906_286
.LBB906_271:
	s_or_b64 exec, exec, s[20:21]
	s_and_saveexec_b64 s[18:19], s[16:17]
	s_cbranch_execz .LBB906_287
.LBB906_272:
	v_sub_u32_e32 v9, v28, v8
	v_lshlrev_b32_e32 v9, 3, v9
	ds_write_b64 v9, v[62:63]
	s_or_b64 exec, exec, s[18:19]
	s_and_saveexec_b64 s[16:17], s[14:15]
	s_cbranch_execnz .LBB906_288
.LBB906_273:
	s_or_b64 exec, exec, s[16:17]
	s_and_saveexec_b64 s[14:15], s[12:13]
	s_cbranch_execz .LBB906_289
.LBB906_274:
	v_sub_u32_e32 v9, v26, v8
	v_lshlrev_b32_e32 v9, 3, v9
	ds_write_b64 v9, v[66:67]
	s_or_b64 exec, exec, s[14:15]
	s_and_saveexec_b64 s[12:13], s[10:11]
	s_cbranch_execnz .LBB906_290
.LBB906_275:
	s_or_b64 exec, exec, s[12:13]
	s_and_saveexec_b64 s[10:11], s[8:9]
	s_cbranch_execz .LBB906_291
.LBB906_276:
	v_sub_u32_e32 v9, v24, v8
	v_lshlrev_b32_e32 v9, 3, v9
	ds_write_b64 v9, v[70:71]
	s_or_b64 exec, exec, s[10:11]
	s_and_saveexec_b64 s[8:9], s[6:7]
	s_cbranch_execnz .LBB906_292
.LBB906_277:
	s_or_b64 exec, exec, s[8:9]
	s_and_saveexec_b64 s[6:7], s[4:5]
	s_cbranch_execz .LBB906_293
.LBB906_278:
	v_sub_u32_e32 v9, v22, v8
	v_lshlrev_b32_e32 v9, 3, v9
	ds_write_b64 v9, v[74:75]
	s_or_b64 exec, exec, s[6:7]
	s_and_saveexec_b64 s[4:5], s[2:3]
	s_cbranch_execnz .LBB906_294
	s_branch .LBB906_295
.LBB906_279:
	s_andn2_saveexec_b64 s[0:1], s[34:35]
	s_cbranch_execz .LBB906_296
.LBB906_280:
	v_sub_u32_e32 v9, v98, v8
	v_lshlrev_b32_e32 v9, 3, v9
	ds_write_b64 v9, v[76:77]
	v_sub_u32_e32 v9, v33, v8
	v_lshlrev_b32_e32 v9, 3, v9
	ds_write_b64 v9, v[52:53]
	;; [unrolled: 3-line block ×13, first 2 shown]
	v_sub_u32_e32 v9, v21, v8
	v_lshlrev_b32_e32 v9, 3, v9
	s_or_b64 s[36:37], s[36:37], exec
	ds_write_b64 v9, v[78:79]
	s_or_b64 exec, exec, s[0:1]
	s_and_b64 exec, exec, s[36:37]
	s_cbranch_execnz .LBB906_297
	s_branch .LBB906_298
.LBB906_281:
	s_or_b64 exec, exec, s[36:37]
	s_and_saveexec_b64 s[28:29], s[26:27]
	s_cbranch_execz .LBB906_267
.LBB906_282:
	v_sub_u32_e32 v9, v33, v8
	v_lshlrev_b32_e32 v9, 3, v9
	ds_write_b64 v9, v[52:53]
	s_or_b64 exec, exec, s[28:29]
	s_and_saveexec_b64 s[26:27], s[24:25]
	s_cbranch_execnz .LBB906_268
.LBB906_283:
	s_or_b64 exec, exec, s[26:27]
	s_and_saveexec_b64 s[24:25], s[22:23]
	s_cbranch_execz .LBB906_269
.LBB906_284:
	v_sub_u32_e32 v9, v31, v8
	v_lshlrev_b32_e32 v9, 3, v9
	ds_write_b64 v9, v[56:57]
	s_or_b64 exec, exec, s[24:25]
	s_and_saveexec_b64 s[22:23], s[20:21]
	s_cbranch_execnz .LBB906_270
.LBB906_285:
	s_or_b64 exec, exec, s[22:23]
	s_and_saveexec_b64 s[20:21], s[18:19]
	s_cbranch_execz .LBB906_271
.LBB906_286:
	v_sub_u32_e32 v9, v29, v8
	v_lshlrev_b32_e32 v9, 3, v9
	ds_write_b64 v9, v[60:61]
	s_or_b64 exec, exec, s[20:21]
	s_and_saveexec_b64 s[18:19], s[16:17]
	s_cbranch_execnz .LBB906_272
.LBB906_287:
	s_or_b64 exec, exec, s[18:19]
	s_and_saveexec_b64 s[16:17], s[14:15]
	s_cbranch_execz .LBB906_273
.LBB906_288:
	v_sub_u32_e32 v9, v27, v8
	v_lshlrev_b32_e32 v9, 3, v9
	ds_write_b64 v9, v[64:65]
	s_or_b64 exec, exec, s[16:17]
	s_and_saveexec_b64 s[14:15], s[12:13]
	s_cbranch_execnz .LBB906_274
.LBB906_289:
	s_or_b64 exec, exec, s[14:15]
	s_and_saveexec_b64 s[12:13], s[10:11]
	s_cbranch_execz .LBB906_275
.LBB906_290:
	v_sub_u32_e32 v9, v25, v8
	v_lshlrev_b32_e32 v9, 3, v9
	ds_write_b64 v9, v[68:69]
	s_or_b64 exec, exec, s[12:13]
	s_and_saveexec_b64 s[10:11], s[8:9]
	s_cbranch_execnz .LBB906_276
.LBB906_291:
	s_or_b64 exec, exec, s[10:11]
	s_and_saveexec_b64 s[8:9], s[6:7]
	s_cbranch_execz .LBB906_277
.LBB906_292:
	v_sub_u32_e32 v9, v23, v8
	v_lshlrev_b32_e32 v9, 3, v9
	ds_write_b64 v9, v[72:73]
	s_or_b64 exec, exec, s[8:9]
	s_and_saveexec_b64 s[6:7], s[4:5]
	s_cbranch_execnz .LBB906_278
.LBB906_293:
	s_or_b64 exec, exec, s[6:7]
	s_and_saveexec_b64 s[4:5], s[2:3]
	s_cbranch_execz .LBB906_295
.LBB906_294:
	v_sub_u32_e32 v9, v21, v8
	v_lshlrev_b32_e32 v9, 3, v9
	ds_write_b64 v9, v[78:79]
.LBB906_295:
	s_or_b64 exec, exec, s[4:5]
	s_and_b64 s[36:37], s[0:1], exec
                                        ; implicit-def: $vgpr76_vgpr77
                                        ; implicit-def: $vgpr52_vgpr53
                                        ; implicit-def: $vgpr54_vgpr55
                                        ; implicit-def: $vgpr56_vgpr57
                                        ; implicit-def: $vgpr58_vgpr59
                                        ; implicit-def: $vgpr60_vgpr61
                                        ; implicit-def: $vgpr62_vgpr63
                                        ; implicit-def: $vgpr64_vgpr65
                                        ; implicit-def: $vgpr66_vgpr67
                                        ; implicit-def: $vgpr68_vgpr69
                                        ; implicit-def: $vgpr70_vgpr71
                                        ; implicit-def: $vgpr72_vgpr73
                                        ; implicit-def: $vgpr74_vgpr75
                                        ; implicit-def: $vgpr78_vgpr79
                                        ; implicit-def: $vgpr98
                                        ; implicit-def: $vgpr33
                                        ; implicit-def: $vgpr32
                                        ; implicit-def: $vgpr31
                                        ; implicit-def: $vgpr30
                                        ; implicit-def: $vgpr29
                                        ; implicit-def: $vgpr28
                                        ; implicit-def: $vgpr27
                                        ; implicit-def: $vgpr26
                                        ; implicit-def: $vgpr25
                                        ; implicit-def: $vgpr24
                                        ; implicit-def: $vgpr23
                                        ; implicit-def: $vgpr22
                                        ; implicit-def: $vgpr21
	s_andn2_saveexec_b64 s[0:1], s[34:35]
	s_cbranch_execnz .LBB906_280
.LBB906_296:
	s_or_b64 exec, exec, s[0:1]
	s_and_b64 exec, exec, s[36:37]
	s_cbranch_execz .LBB906_298
.LBB906_297:
	v_sub_u32_e32 v8, v20, v8
	v_lshlrev_b32_e32 v8, 3, v8
	ds_write_b64 v8, v[2:3]
.LBB906_298:
	s_or_b64 exec, exec, s[30:31]
	v_cmp_lt_u32_e32 vcc, v0, v1
	s_waitcnt lgkmcnt(0)
	s_barrier
	s_and_saveexec_b64 s[0:1], vcc
	s_cbranch_execz .LBB906_301
; %bb.299:
	v_lshlrev_b32_e32 v8, 3, v0
	s_mov_b64 s[2:3], 0
	v_mov_b32_e32 v3, 0
	v_mov_b32_e32 v2, v0
.LBB906_300:                            ; =>This Inner Loop Header: Depth=1
	v_lshlrev_b64 v[10:11], 3, v[2:3]
	ds_read_b64 v[12:13], v8
	v_add_co_u32_e32 v10, vcc, v6, v10
	v_add_u32_e32 v2, 0x100, v2
	v_addc_co_u32_e32 v11, vcc, v7, v11, vcc
	v_cmp_ge_u32_e32 vcc, v2, v1
	v_add_u32_e32 v8, 0x800, v8
	s_or_b64 s[2:3], vcc, s[2:3]
	s_waitcnt lgkmcnt(0)
	global_store_dwordx2 v[10:11], v[12:13], off
	s_andn2_b64 exec, exec, s[2:3]
	s_cbranch_execnz .LBB906_300
.LBB906_301:
	s_or_b64 exec, exec, s[0:1]
.LBB906_302:
	s_movk_i32 s0, 0xff
	v_cmp_eq_u32_e32 vcc, s0, v0
	s_and_b64 s[0:1], vcc, s[44:45]
	s_and_saveexec_b64 s[2:3], s[0:1]
	s_cbranch_execz .LBB906_305
; %bb.303:
	v_add_co_u32_e32 v0, vcc, v46, v50
	v_addc_co_u32_e64 v1, s[0:1], 0, 0, vcc
	v_add_co_u32_e32 v0, vcc, v0, v18
	v_mov_b32_e32 v47, 0
	v_addc_co_u32_e32 v1, vcc, v1, v19, vcc
	s_cmpk_lg_i32 s33, 0xf00
	global_store_dwordx2 v47, v[0:1], s[54:55]
	s_cbranch_scc1 .LBB906_305
; %bb.304:
	v_lshlrev_b64 v[0:1], 3, v[46:47]
	v_add_co_u32_e32 v0, vcc, v4, v0
	v_addc_co_u32_e32 v1, vcc, v5, v1, vcc
	global_store_dwordx2 v[0:1], v[48:49], off offset:-8
.LBB906_305:
	s_endpgm
	.section	.rodata,"a",@progbits
	.p2align	6, 0x0
	.amdhsa_kernel _ZN7rocprim17ROCPRIM_400000_NS6detail17trampoline_kernelINS0_14default_configENS1_29reduce_by_key_config_selectorIjyN6thrust23THRUST_200600_302600_NS4plusIyEEEEZZNS1_33reduce_by_key_impl_wrapped_configILNS1_25lookback_scan_determinismE0ES3_S9_NS6_6detail15normal_iteratorINS6_10device_ptrIjEEEENSD_INSE_IyEEEENS6_16discard_iteratorINS6_11use_defaultEEESI_PmS8_NS6_8equal_toIjEEEE10hipError_tPvRmT2_T3_mT4_T5_T6_T7_T8_P12ihipStream_tbENKUlT_T0_E_clISt17integral_constantIbLb0EES15_IbLb1EEEEDaS11_S12_EUlS11_E_NS1_11comp_targetILNS1_3genE4ELNS1_11target_archE910ELNS1_3gpuE8ELNS1_3repE0EEENS1_30default_config_static_selectorELNS0_4arch9wavefront6targetE1EEEvT1_
		.amdhsa_group_segment_fixed_size 30720
		.amdhsa_private_segment_fixed_size 0
		.amdhsa_kernarg_size 144
		.amdhsa_user_sgpr_count 6
		.amdhsa_user_sgpr_private_segment_buffer 1
		.amdhsa_user_sgpr_dispatch_ptr 0
		.amdhsa_user_sgpr_queue_ptr 0
		.amdhsa_user_sgpr_kernarg_segment_ptr 1
		.amdhsa_user_sgpr_dispatch_id 0
		.amdhsa_user_sgpr_flat_scratch_init 0
		.amdhsa_user_sgpr_kernarg_preload_length 0
		.amdhsa_user_sgpr_kernarg_preload_offset 0
		.amdhsa_user_sgpr_private_segment_size 0
		.amdhsa_uses_dynamic_stack 0
		.amdhsa_system_sgpr_private_segment_wavefront_offset 0
		.amdhsa_system_sgpr_workgroup_id_x 1
		.amdhsa_system_sgpr_workgroup_id_y 0
		.amdhsa_system_sgpr_workgroup_id_z 0
		.amdhsa_system_sgpr_workgroup_info 0
		.amdhsa_system_vgpr_workitem_id 0
		.amdhsa_next_free_vgpr 102
		.amdhsa_next_free_sgpr 63
		.amdhsa_accum_offset 104
		.amdhsa_reserve_vcc 1
		.amdhsa_reserve_flat_scratch 0
		.amdhsa_float_round_mode_32 0
		.amdhsa_float_round_mode_16_64 0
		.amdhsa_float_denorm_mode_32 3
		.amdhsa_float_denorm_mode_16_64 3
		.amdhsa_dx10_clamp 1
		.amdhsa_ieee_mode 1
		.amdhsa_fp16_overflow 0
		.amdhsa_tg_split 0
		.amdhsa_exception_fp_ieee_invalid_op 0
		.amdhsa_exception_fp_denorm_src 0
		.amdhsa_exception_fp_ieee_div_zero 0
		.amdhsa_exception_fp_ieee_overflow 0
		.amdhsa_exception_fp_ieee_underflow 0
		.amdhsa_exception_fp_ieee_inexact 0
		.amdhsa_exception_int_div_zero 0
	.end_amdhsa_kernel
	.section	.text._ZN7rocprim17ROCPRIM_400000_NS6detail17trampoline_kernelINS0_14default_configENS1_29reduce_by_key_config_selectorIjyN6thrust23THRUST_200600_302600_NS4plusIyEEEEZZNS1_33reduce_by_key_impl_wrapped_configILNS1_25lookback_scan_determinismE0ES3_S9_NS6_6detail15normal_iteratorINS6_10device_ptrIjEEEENSD_INSE_IyEEEENS6_16discard_iteratorINS6_11use_defaultEEESI_PmS8_NS6_8equal_toIjEEEE10hipError_tPvRmT2_T3_mT4_T5_T6_T7_T8_P12ihipStream_tbENKUlT_T0_E_clISt17integral_constantIbLb0EES15_IbLb1EEEEDaS11_S12_EUlS11_E_NS1_11comp_targetILNS1_3genE4ELNS1_11target_archE910ELNS1_3gpuE8ELNS1_3repE0EEENS1_30default_config_static_selectorELNS0_4arch9wavefront6targetE1EEEvT1_,"axG",@progbits,_ZN7rocprim17ROCPRIM_400000_NS6detail17trampoline_kernelINS0_14default_configENS1_29reduce_by_key_config_selectorIjyN6thrust23THRUST_200600_302600_NS4plusIyEEEEZZNS1_33reduce_by_key_impl_wrapped_configILNS1_25lookback_scan_determinismE0ES3_S9_NS6_6detail15normal_iteratorINS6_10device_ptrIjEEEENSD_INSE_IyEEEENS6_16discard_iteratorINS6_11use_defaultEEESI_PmS8_NS6_8equal_toIjEEEE10hipError_tPvRmT2_T3_mT4_T5_T6_T7_T8_P12ihipStream_tbENKUlT_T0_E_clISt17integral_constantIbLb0EES15_IbLb1EEEEDaS11_S12_EUlS11_E_NS1_11comp_targetILNS1_3genE4ELNS1_11target_archE910ELNS1_3gpuE8ELNS1_3repE0EEENS1_30default_config_static_selectorELNS0_4arch9wavefront6targetE1EEEvT1_,comdat
.Lfunc_end906:
	.size	_ZN7rocprim17ROCPRIM_400000_NS6detail17trampoline_kernelINS0_14default_configENS1_29reduce_by_key_config_selectorIjyN6thrust23THRUST_200600_302600_NS4plusIyEEEEZZNS1_33reduce_by_key_impl_wrapped_configILNS1_25lookback_scan_determinismE0ES3_S9_NS6_6detail15normal_iteratorINS6_10device_ptrIjEEEENSD_INSE_IyEEEENS6_16discard_iteratorINS6_11use_defaultEEESI_PmS8_NS6_8equal_toIjEEEE10hipError_tPvRmT2_T3_mT4_T5_T6_T7_T8_P12ihipStream_tbENKUlT_T0_E_clISt17integral_constantIbLb0EES15_IbLb1EEEEDaS11_S12_EUlS11_E_NS1_11comp_targetILNS1_3genE4ELNS1_11target_archE910ELNS1_3gpuE8ELNS1_3repE0EEENS1_30default_config_static_selectorELNS0_4arch9wavefront6targetE1EEEvT1_, .Lfunc_end906-_ZN7rocprim17ROCPRIM_400000_NS6detail17trampoline_kernelINS0_14default_configENS1_29reduce_by_key_config_selectorIjyN6thrust23THRUST_200600_302600_NS4plusIyEEEEZZNS1_33reduce_by_key_impl_wrapped_configILNS1_25lookback_scan_determinismE0ES3_S9_NS6_6detail15normal_iteratorINS6_10device_ptrIjEEEENSD_INSE_IyEEEENS6_16discard_iteratorINS6_11use_defaultEEESI_PmS8_NS6_8equal_toIjEEEE10hipError_tPvRmT2_T3_mT4_T5_T6_T7_T8_P12ihipStream_tbENKUlT_T0_E_clISt17integral_constantIbLb0EES15_IbLb1EEEEDaS11_S12_EUlS11_E_NS1_11comp_targetILNS1_3genE4ELNS1_11target_archE910ELNS1_3gpuE8ELNS1_3repE0EEENS1_30default_config_static_selectorELNS0_4arch9wavefront6targetE1EEEvT1_
                                        ; -- End function
	.section	.AMDGPU.csdata,"",@progbits
; Kernel info:
; codeLenInByte = 15528
; NumSgprs: 67
; NumVgprs: 102
; NumAgprs: 0
; TotalNumVgprs: 102
; ScratchSize: 0
; MemoryBound: 0
; FloatMode: 240
; IeeeMode: 1
; LDSByteSize: 30720 bytes/workgroup (compile time only)
; SGPRBlocks: 8
; VGPRBlocks: 12
; NumSGPRsForWavesPerEU: 67
; NumVGPRsForWavesPerEU: 102
; AccumOffset: 104
; Occupancy: 2
; WaveLimiterHint : 1
; COMPUTE_PGM_RSRC2:SCRATCH_EN: 0
; COMPUTE_PGM_RSRC2:USER_SGPR: 6
; COMPUTE_PGM_RSRC2:TRAP_HANDLER: 0
; COMPUTE_PGM_RSRC2:TGID_X_EN: 1
; COMPUTE_PGM_RSRC2:TGID_Y_EN: 0
; COMPUTE_PGM_RSRC2:TGID_Z_EN: 0
; COMPUTE_PGM_RSRC2:TIDIG_COMP_CNT: 0
; COMPUTE_PGM_RSRC3_GFX90A:ACCUM_OFFSET: 25
; COMPUTE_PGM_RSRC3_GFX90A:TG_SPLIT: 0
	.section	.text._ZN7rocprim17ROCPRIM_400000_NS6detail17trampoline_kernelINS0_14default_configENS1_29reduce_by_key_config_selectorIjyN6thrust23THRUST_200600_302600_NS4plusIyEEEEZZNS1_33reduce_by_key_impl_wrapped_configILNS1_25lookback_scan_determinismE0ES3_S9_NS6_6detail15normal_iteratorINS6_10device_ptrIjEEEENSD_INSE_IyEEEENS6_16discard_iteratorINS6_11use_defaultEEESI_PmS8_NS6_8equal_toIjEEEE10hipError_tPvRmT2_T3_mT4_T5_T6_T7_T8_P12ihipStream_tbENKUlT_T0_E_clISt17integral_constantIbLb0EES15_IbLb1EEEEDaS11_S12_EUlS11_E_NS1_11comp_targetILNS1_3genE3ELNS1_11target_archE908ELNS1_3gpuE7ELNS1_3repE0EEENS1_30default_config_static_selectorELNS0_4arch9wavefront6targetE1EEEvT1_,"axG",@progbits,_ZN7rocprim17ROCPRIM_400000_NS6detail17trampoline_kernelINS0_14default_configENS1_29reduce_by_key_config_selectorIjyN6thrust23THRUST_200600_302600_NS4plusIyEEEEZZNS1_33reduce_by_key_impl_wrapped_configILNS1_25lookback_scan_determinismE0ES3_S9_NS6_6detail15normal_iteratorINS6_10device_ptrIjEEEENSD_INSE_IyEEEENS6_16discard_iteratorINS6_11use_defaultEEESI_PmS8_NS6_8equal_toIjEEEE10hipError_tPvRmT2_T3_mT4_T5_T6_T7_T8_P12ihipStream_tbENKUlT_T0_E_clISt17integral_constantIbLb0EES15_IbLb1EEEEDaS11_S12_EUlS11_E_NS1_11comp_targetILNS1_3genE3ELNS1_11target_archE908ELNS1_3gpuE7ELNS1_3repE0EEENS1_30default_config_static_selectorELNS0_4arch9wavefront6targetE1EEEvT1_,comdat
	.protected	_ZN7rocprim17ROCPRIM_400000_NS6detail17trampoline_kernelINS0_14default_configENS1_29reduce_by_key_config_selectorIjyN6thrust23THRUST_200600_302600_NS4plusIyEEEEZZNS1_33reduce_by_key_impl_wrapped_configILNS1_25lookback_scan_determinismE0ES3_S9_NS6_6detail15normal_iteratorINS6_10device_ptrIjEEEENSD_INSE_IyEEEENS6_16discard_iteratorINS6_11use_defaultEEESI_PmS8_NS6_8equal_toIjEEEE10hipError_tPvRmT2_T3_mT4_T5_T6_T7_T8_P12ihipStream_tbENKUlT_T0_E_clISt17integral_constantIbLb0EES15_IbLb1EEEEDaS11_S12_EUlS11_E_NS1_11comp_targetILNS1_3genE3ELNS1_11target_archE908ELNS1_3gpuE7ELNS1_3repE0EEENS1_30default_config_static_selectorELNS0_4arch9wavefront6targetE1EEEvT1_ ; -- Begin function _ZN7rocprim17ROCPRIM_400000_NS6detail17trampoline_kernelINS0_14default_configENS1_29reduce_by_key_config_selectorIjyN6thrust23THRUST_200600_302600_NS4plusIyEEEEZZNS1_33reduce_by_key_impl_wrapped_configILNS1_25lookback_scan_determinismE0ES3_S9_NS6_6detail15normal_iteratorINS6_10device_ptrIjEEEENSD_INSE_IyEEEENS6_16discard_iteratorINS6_11use_defaultEEESI_PmS8_NS6_8equal_toIjEEEE10hipError_tPvRmT2_T3_mT4_T5_T6_T7_T8_P12ihipStream_tbENKUlT_T0_E_clISt17integral_constantIbLb0EES15_IbLb1EEEEDaS11_S12_EUlS11_E_NS1_11comp_targetILNS1_3genE3ELNS1_11target_archE908ELNS1_3gpuE7ELNS1_3repE0EEENS1_30default_config_static_selectorELNS0_4arch9wavefront6targetE1EEEvT1_
	.globl	_ZN7rocprim17ROCPRIM_400000_NS6detail17trampoline_kernelINS0_14default_configENS1_29reduce_by_key_config_selectorIjyN6thrust23THRUST_200600_302600_NS4plusIyEEEEZZNS1_33reduce_by_key_impl_wrapped_configILNS1_25lookback_scan_determinismE0ES3_S9_NS6_6detail15normal_iteratorINS6_10device_ptrIjEEEENSD_INSE_IyEEEENS6_16discard_iteratorINS6_11use_defaultEEESI_PmS8_NS6_8equal_toIjEEEE10hipError_tPvRmT2_T3_mT4_T5_T6_T7_T8_P12ihipStream_tbENKUlT_T0_E_clISt17integral_constantIbLb0EES15_IbLb1EEEEDaS11_S12_EUlS11_E_NS1_11comp_targetILNS1_3genE3ELNS1_11target_archE908ELNS1_3gpuE7ELNS1_3repE0EEENS1_30default_config_static_selectorELNS0_4arch9wavefront6targetE1EEEvT1_
	.p2align	8
	.type	_ZN7rocprim17ROCPRIM_400000_NS6detail17trampoline_kernelINS0_14default_configENS1_29reduce_by_key_config_selectorIjyN6thrust23THRUST_200600_302600_NS4plusIyEEEEZZNS1_33reduce_by_key_impl_wrapped_configILNS1_25lookback_scan_determinismE0ES3_S9_NS6_6detail15normal_iteratorINS6_10device_ptrIjEEEENSD_INSE_IyEEEENS6_16discard_iteratorINS6_11use_defaultEEESI_PmS8_NS6_8equal_toIjEEEE10hipError_tPvRmT2_T3_mT4_T5_T6_T7_T8_P12ihipStream_tbENKUlT_T0_E_clISt17integral_constantIbLb0EES15_IbLb1EEEEDaS11_S12_EUlS11_E_NS1_11comp_targetILNS1_3genE3ELNS1_11target_archE908ELNS1_3gpuE7ELNS1_3repE0EEENS1_30default_config_static_selectorELNS0_4arch9wavefront6targetE1EEEvT1_,@function
_ZN7rocprim17ROCPRIM_400000_NS6detail17trampoline_kernelINS0_14default_configENS1_29reduce_by_key_config_selectorIjyN6thrust23THRUST_200600_302600_NS4plusIyEEEEZZNS1_33reduce_by_key_impl_wrapped_configILNS1_25lookback_scan_determinismE0ES3_S9_NS6_6detail15normal_iteratorINS6_10device_ptrIjEEEENSD_INSE_IyEEEENS6_16discard_iteratorINS6_11use_defaultEEESI_PmS8_NS6_8equal_toIjEEEE10hipError_tPvRmT2_T3_mT4_T5_T6_T7_T8_P12ihipStream_tbENKUlT_T0_E_clISt17integral_constantIbLb0EES15_IbLb1EEEEDaS11_S12_EUlS11_E_NS1_11comp_targetILNS1_3genE3ELNS1_11target_archE908ELNS1_3gpuE7ELNS1_3repE0EEENS1_30default_config_static_selectorELNS0_4arch9wavefront6targetE1EEEvT1_: ; @_ZN7rocprim17ROCPRIM_400000_NS6detail17trampoline_kernelINS0_14default_configENS1_29reduce_by_key_config_selectorIjyN6thrust23THRUST_200600_302600_NS4plusIyEEEEZZNS1_33reduce_by_key_impl_wrapped_configILNS1_25lookback_scan_determinismE0ES3_S9_NS6_6detail15normal_iteratorINS6_10device_ptrIjEEEENSD_INSE_IyEEEENS6_16discard_iteratorINS6_11use_defaultEEESI_PmS8_NS6_8equal_toIjEEEE10hipError_tPvRmT2_T3_mT4_T5_T6_T7_T8_P12ihipStream_tbENKUlT_T0_E_clISt17integral_constantIbLb0EES15_IbLb1EEEEDaS11_S12_EUlS11_E_NS1_11comp_targetILNS1_3genE3ELNS1_11target_archE908ELNS1_3gpuE7ELNS1_3repE0EEENS1_30default_config_static_selectorELNS0_4arch9wavefront6targetE1EEEvT1_
; %bb.0:
	.section	.rodata,"a",@progbits
	.p2align	6, 0x0
	.amdhsa_kernel _ZN7rocprim17ROCPRIM_400000_NS6detail17trampoline_kernelINS0_14default_configENS1_29reduce_by_key_config_selectorIjyN6thrust23THRUST_200600_302600_NS4plusIyEEEEZZNS1_33reduce_by_key_impl_wrapped_configILNS1_25lookback_scan_determinismE0ES3_S9_NS6_6detail15normal_iteratorINS6_10device_ptrIjEEEENSD_INSE_IyEEEENS6_16discard_iteratorINS6_11use_defaultEEESI_PmS8_NS6_8equal_toIjEEEE10hipError_tPvRmT2_T3_mT4_T5_T6_T7_T8_P12ihipStream_tbENKUlT_T0_E_clISt17integral_constantIbLb0EES15_IbLb1EEEEDaS11_S12_EUlS11_E_NS1_11comp_targetILNS1_3genE3ELNS1_11target_archE908ELNS1_3gpuE7ELNS1_3repE0EEENS1_30default_config_static_selectorELNS0_4arch9wavefront6targetE1EEEvT1_
		.amdhsa_group_segment_fixed_size 0
		.amdhsa_private_segment_fixed_size 0
		.amdhsa_kernarg_size 144
		.amdhsa_user_sgpr_count 6
		.amdhsa_user_sgpr_private_segment_buffer 1
		.amdhsa_user_sgpr_dispatch_ptr 0
		.amdhsa_user_sgpr_queue_ptr 0
		.amdhsa_user_sgpr_kernarg_segment_ptr 1
		.amdhsa_user_sgpr_dispatch_id 0
		.amdhsa_user_sgpr_flat_scratch_init 0
		.amdhsa_user_sgpr_kernarg_preload_length 0
		.amdhsa_user_sgpr_kernarg_preload_offset 0
		.amdhsa_user_sgpr_private_segment_size 0
		.amdhsa_uses_dynamic_stack 0
		.amdhsa_system_sgpr_private_segment_wavefront_offset 0
		.amdhsa_system_sgpr_workgroup_id_x 1
		.amdhsa_system_sgpr_workgroup_id_y 0
		.amdhsa_system_sgpr_workgroup_id_z 0
		.amdhsa_system_sgpr_workgroup_info 0
		.amdhsa_system_vgpr_workitem_id 0
		.amdhsa_next_free_vgpr 1
		.amdhsa_next_free_sgpr 0
		.amdhsa_accum_offset 4
		.amdhsa_reserve_vcc 0
		.amdhsa_reserve_flat_scratch 0
		.amdhsa_float_round_mode_32 0
		.amdhsa_float_round_mode_16_64 0
		.amdhsa_float_denorm_mode_32 3
		.amdhsa_float_denorm_mode_16_64 3
		.amdhsa_dx10_clamp 1
		.amdhsa_ieee_mode 1
		.amdhsa_fp16_overflow 0
		.amdhsa_tg_split 0
		.amdhsa_exception_fp_ieee_invalid_op 0
		.amdhsa_exception_fp_denorm_src 0
		.amdhsa_exception_fp_ieee_div_zero 0
		.amdhsa_exception_fp_ieee_overflow 0
		.amdhsa_exception_fp_ieee_underflow 0
		.amdhsa_exception_fp_ieee_inexact 0
		.amdhsa_exception_int_div_zero 0
	.end_amdhsa_kernel
	.section	.text._ZN7rocprim17ROCPRIM_400000_NS6detail17trampoline_kernelINS0_14default_configENS1_29reduce_by_key_config_selectorIjyN6thrust23THRUST_200600_302600_NS4plusIyEEEEZZNS1_33reduce_by_key_impl_wrapped_configILNS1_25lookback_scan_determinismE0ES3_S9_NS6_6detail15normal_iteratorINS6_10device_ptrIjEEEENSD_INSE_IyEEEENS6_16discard_iteratorINS6_11use_defaultEEESI_PmS8_NS6_8equal_toIjEEEE10hipError_tPvRmT2_T3_mT4_T5_T6_T7_T8_P12ihipStream_tbENKUlT_T0_E_clISt17integral_constantIbLb0EES15_IbLb1EEEEDaS11_S12_EUlS11_E_NS1_11comp_targetILNS1_3genE3ELNS1_11target_archE908ELNS1_3gpuE7ELNS1_3repE0EEENS1_30default_config_static_selectorELNS0_4arch9wavefront6targetE1EEEvT1_,"axG",@progbits,_ZN7rocprim17ROCPRIM_400000_NS6detail17trampoline_kernelINS0_14default_configENS1_29reduce_by_key_config_selectorIjyN6thrust23THRUST_200600_302600_NS4plusIyEEEEZZNS1_33reduce_by_key_impl_wrapped_configILNS1_25lookback_scan_determinismE0ES3_S9_NS6_6detail15normal_iteratorINS6_10device_ptrIjEEEENSD_INSE_IyEEEENS6_16discard_iteratorINS6_11use_defaultEEESI_PmS8_NS6_8equal_toIjEEEE10hipError_tPvRmT2_T3_mT4_T5_T6_T7_T8_P12ihipStream_tbENKUlT_T0_E_clISt17integral_constantIbLb0EES15_IbLb1EEEEDaS11_S12_EUlS11_E_NS1_11comp_targetILNS1_3genE3ELNS1_11target_archE908ELNS1_3gpuE7ELNS1_3repE0EEENS1_30default_config_static_selectorELNS0_4arch9wavefront6targetE1EEEvT1_,comdat
.Lfunc_end907:
	.size	_ZN7rocprim17ROCPRIM_400000_NS6detail17trampoline_kernelINS0_14default_configENS1_29reduce_by_key_config_selectorIjyN6thrust23THRUST_200600_302600_NS4plusIyEEEEZZNS1_33reduce_by_key_impl_wrapped_configILNS1_25lookback_scan_determinismE0ES3_S9_NS6_6detail15normal_iteratorINS6_10device_ptrIjEEEENSD_INSE_IyEEEENS6_16discard_iteratorINS6_11use_defaultEEESI_PmS8_NS6_8equal_toIjEEEE10hipError_tPvRmT2_T3_mT4_T5_T6_T7_T8_P12ihipStream_tbENKUlT_T0_E_clISt17integral_constantIbLb0EES15_IbLb1EEEEDaS11_S12_EUlS11_E_NS1_11comp_targetILNS1_3genE3ELNS1_11target_archE908ELNS1_3gpuE7ELNS1_3repE0EEENS1_30default_config_static_selectorELNS0_4arch9wavefront6targetE1EEEvT1_, .Lfunc_end907-_ZN7rocprim17ROCPRIM_400000_NS6detail17trampoline_kernelINS0_14default_configENS1_29reduce_by_key_config_selectorIjyN6thrust23THRUST_200600_302600_NS4plusIyEEEEZZNS1_33reduce_by_key_impl_wrapped_configILNS1_25lookback_scan_determinismE0ES3_S9_NS6_6detail15normal_iteratorINS6_10device_ptrIjEEEENSD_INSE_IyEEEENS6_16discard_iteratorINS6_11use_defaultEEESI_PmS8_NS6_8equal_toIjEEEE10hipError_tPvRmT2_T3_mT4_T5_T6_T7_T8_P12ihipStream_tbENKUlT_T0_E_clISt17integral_constantIbLb0EES15_IbLb1EEEEDaS11_S12_EUlS11_E_NS1_11comp_targetILNS1_3genE3ELNS1_11target_archE908ELNS1_3gpuE7ELNS1_3repE0EEENS1_30default_config_static_selectorELNS0_4arch9wavefront6targetE1EEEvT1_
                                        ; -- End function
	.section	.AMDGPU.csdata,"",@progbits
; Kernel info:
; codeLenInByte = 0
; NumSgprs: 4
; NumVgprs: 0
; NumAgprs: 0
; TotalNumVgprs: 0
; ScratchSize: 0
; MemoryBound: 0
; FloatMode: 240
; IeeeMode: 1
; LDSByteSize: 0 bytes/workgroup (compile time only)
; SGPRBlocks: 0
; VGPRBlocks: 0
; NumSGPRsForWavesPerEU: 4
; NumVGPRsForWavesPerEU: 1
; AccumOffset: 4
; Occupancy: 8
; WaveLimiterHint : 0
; COMPUTE_PGM_RSRC2:SCRATCH_EN: 0
; COMPUTE_PGM_RSRC2:USER_SGPR: 6
; COMPUTE_PGM_RSRC2:TRAP_HANDLER: 0
; COMPUTE_PGM_RSRC2:TGID_X_EN: 1
; COMPUTE_PGM_RSRC2:TGID_Y_EN: 0
; COMPUTE_PGM_RSRC2:TGID_Z_EN: 0
; COMPUTE_PGM_RSRC2:TIDIG_COMP_CNT: 0
; COMPUTE_PGM_RSRC3_GFX90A:ACCUM_OFFSET: 0
; COMPUTE_PGM_RSRC3_GFX90A:TG_SPLIT: 0
	.section	.text._ZN7rocprim17ROCPRIM_400000_NS6detail17trampoline_kernelINS0_14default_configENS1_29reduce_by_key_config_selectorIjyN6thrust23THRUST_200600_302600_NS4plusIyEEEEZZNS1_33reduce_by_key_impl_wrapped_configILNS1_25lookback_scan_determinismE0ES3_S9_NS6_6detail15normal_iteratorINS6_10device_ptrIjEEEENSD_INSE_IyEEEENS6_16discard_iteratorINS6_11use_defaultEEESI_PmS8_NS6_8equal_toIjEEEE10hipError_tPvRmT2_T3_mT4_T5_T6_T7_T8_P12ihipStream_tbENKUlT_T0_E_clISt17integral_constantIbLb0EES15_IbLb1EEEEDaS11_S12_EUlS11_E_NS1_11comp_targetILNS1_3genE2ELNS1_11target_archE906ELNS1_3gpuE6ELNS1_3repE0EEENS1_30default_config_static_selectorELNS0_4arch9wavefront6targetE1EEEvT1_,"axG",@progbits,_ZN7rocprim17ROCPRIM_400000_NS6detail17trampoline_kernelINS0_14default_configENS1_29reduce_by_key_config_selectorIjyN6thrust23THRUST_200600_302600_NS4plusIyEEEEZZNS1_33reduce_by_key_impl_wrapped_configILNS1_25lookback_scan_determinismE0ES3_S9_NS6_6detail15normal_iteratorINS6_10device_ptrIjEEEENSD_INSE_IyEEEENS6_16discard_iteratorINS6_11use_defaultEEESI_PmS8_NS6_8equal_toIjEEEE10hipError_tPvRmT2_T3_mT4_T5_T6_T7_T8_P12ihipStream_tbENKUlT_T0_E_clISt17integral_constantIbLb0EES15_IbLb1EEEEDaS11_S12_EUlS11_E_NS1_11comp_targetILNS1_3genE2ELNS1_11target_archE906ELNS1_3gpuE6ELNS1_3repE0EEENS1_30default_config_static_selectorELNS0_4arch9wavefront6targetE1EEEvT1_,comdat
	.protected	_ZN7rocprim17ROCPRIM_400000_NS6detail17trampoline_kernelINS0_14default_configENS1_29reduce_by_key_config_selectorIjyN6thrust23THRUST_200600_302600_NS4plusIyEEEEZZNS1_33reduce_by_key_impl_wrapped_configILNS1_25lookback_scan_determinismE0ES3_S9_NS6_6detail15normal_iteratorINS6_10device_ptrIjEEEENSD_INSE_IyEEEENS6_16discard_iteratorINS6_11use_defaultEEESI_PmS8_NS6_8equal_toIjEEEE10hipError_tPvRmT2_T3_mT4_T5_T6_T7_T8_P12ihipStream_tbENKUlT_T0_E_clISt17integral_constantIbLb0EES15_IbLb1EEEEDaS11_S12_EUlS11_E_NS1_11comp_targetILNS1_3genE2ELNS1_11target_archE906ELNS1_3gpuE6ELNS1_3repE0EEENS1_30default_config_static_selectorELNS0_4arch9wavefront6targetE1EEEvT1_ ; -- Begin function _ZN7rocprim17ROCPRIM_400000_NS6detail17trampoline_kernelINS0_14default_configENS1_29reduce_by_key_config_selectorIjyN6thrust23THRUST_200600_302600_NS4plusIyEEEEZZNS1_33reduce_by_key_impl_wrapped_configILNS1_25lookback_scan_determinismE0ES3_S9_NS6_6detail15normal_iteratorINS6_10device_ptrIjEEEENSD_INSE_IyEEEENS6_16discard_iteratorINS6_11use_defaultEEESI_PmS8_NS6_8equal_toIjEEEE10hipError_tPvRmT2_T3_mT4_T5_T6_T7_T8_P12ihipStream_tbENKUlT_T0_E_clISt17integral_constantIbLb0EES15_IbLb1EEEEDaS11_S12_EUlS11_E_NS1_11comp_targetILNS1_3genE2ELNS1_11target_archE906ELNS1_3gpuE6ELNS1_3repE0EEENS1_30default_config_static_selectorELNS0_4arch9wavefront6targetE1EEEvT1_
	.globl	_ZN7rocprim17ROCPRIM_400000_NS6detail17trampoline_kernelINS0_14default_configENS1_29reduce_by_key_config_selectorIjyN6thrust23THRUST_200600_302600_NS4plusIyEEEEZZNS1_33reduce_by_key_impl_wrapped_configILNS1_25lookback_scan_determinismE0ES3_S9_NS6_6detail15normal_iteratorINS6_10device_ptrIjEEEENSD_INSE_IyEEEENS6_16discard_iteratorINS6_11use_defaultEEESI_PmS8_NS6_8equal_toIjEEEE10hipError_tPvRmT2_T3_mT4_T5_T6_T7_T8_P12ihipStream_tbENKUlT_T0_E_clISt17integral_constantIbLb0EES15_IbLb1EEEEDaS11_S12_EUlS11_E_NS1_11comp_targetILNS1_3genE2ELNS1_11target_archE906ELNS1_3gpuE6ELNS1_3repE0EEENS1_30default_config_static_selectorELNS0_4arch9wavefront6targetE1EEEvT1_
	.p2align	8
	.type	_ZN7rocprim17ROCPRIM_400000_NS6detail17trampoline_kernelINS0_14default_configENS1_29reduce_by_key_config_selectorIjyN6thrust23THRUST_200600_302600_NS4plusIyEEEEZZNS1_33reduce_by_key_impl_wrapped_configILNS1_25lookback_scan_determinismE0ES3_S9_NS6_6detail15normal_iteratorINS6_10device_ptrIjEEEENSD_INSE_IyEEEENS6_16discard_iteratorINS6_11use_defaultEEESI_PmS8_NS6_8equal_toIjEEEE10hipError_tPvRmT2_T3_mT4_T5_T6_T7_T8_P12ihipStream_tbENKUlT_T0_E_clISt17integral_constantIbLb0EES15_IbLb1EEEEDaS11_S12_EUlS11_E_NS1_11comp_targetILNS1_3genE2ELNS1_11target_archE906ELNS1_3gpuE6ELNS1_3repE0EEENS1_30default_config_static_selectorELNS0_4arch9wavefront6targetE1EEEvT1_,@function
_ZN7rocprim17ROCPRIM_400000_NS6detail17trampoline_kernelINS0_14default_configENS1_29reduce_by_key_config_selectorIjyN6thrust23THRUST_200600_302600_NS4plusIyEEEEZZNS1_33reduce_by_key_impl_wrapped_configILNS1_25lookback_scan_determinismE0ES3_S9_NS6_6detail15normal_iteratorINS6_10device_ptrIjEEEENSD_INSE_IyEEEENS6_16discard_iteratorINS6_11use_defaultEEESI_PmS8_NS6_8equal_toIjEEEE10hipError_tPvRmT2_T3_mT4_T5_T6_T7_T8_P12ihipStream_tbENKUlT_T0_E_clISt17integral_constantIbLb0EES15_IbLb1EEEEDaS11_S12_EUlS11_E_NS1_11comp_targetILNS1_3genE2ELNS1_11target_archE906ELNS1_3gpuE6ELNS1_3repE0EEENS1_30default_config_static_selectorELNS0_4arch9wavefront6targetE1EEEvT1_: ; @_ZN7rocprim17ROCPRIM_400000_NS6detail17trampoline_kernelINS0_14default_configENS1_29reduce_by_key_config_selectorIjyN6thrust23THRUST_200600_302600_NS4plusIyEEEEZZNS1_33reduce_by_key_impl_wrapped_configILNS1_25lookback_scan_determinismE0ES3_S9_NS6_6detail15normal_iteratorINS6_10device_ptrIjEEEENSD_INSE_IyEEEENS6_16discard_iteratorINS6_11use_defaultEEESI_PmS8_NS6_8equal_toIjEEEE10hipError_tPvRmT2_T3_mT4_T5_T6_T7_T8_P12ihipStream_tbENKUlT_T0_E_clISt17integral_constantIbLb0EES15_IbLb1EEEEDaS11_S12_EUlS11_E_NS1_11comp_targetILNS1_3genE2ELNS1_11target_archE906ELNS1_3gpuE6ELNS1_3repE0EEENS1_30default_config_static_selectorELNS0_4arch9wavefront6targetE1EEEvT1_
; %bb.0:
	.section	.rodata,"a",@progbits
	.p2align	6, 0x0
	.amdhsa_kernel _ZN7rocprim17ROCPRIM_400000_NS6detail17trampoline_kernelINS0_14default_configENS1_29reduce_by_key_config_selectorIjyN6thrust23THRUST_200600_302600_NS4plusIyEEEEZZNS1_33reduce_by_key_impl_wrapped_configILNS1_25lookback_scan_determinismE0ES3_S9_NS6_6detail15normal_iteratorINS6_10device_ptrIjEEEENSD_INSE_IyEEEENS6_16discard_iteratorINS6_11use_defaultEEESI_PmS8_NS6_8equal_toIjEEEE10hipError_tPvRmT2_T3_mT4_T5_T6_T7_T8_P12ihipStream_tbENKUlT_T0_E_clISt17integral_constantIbLb0EES15_IbLb1EEEEDaS11_S12_EUlS11_E_NS1_11comp_targetILNS1_3genE2ELNS1_11target_archE906ELNS1_3gpuE6ELNS1_3repE0EEENS1_30default_config_static_selectorELNS0_4arch9wavefront6targetE1EEEvT1_
		.amdhsa_group_segment_fixed_size 0
		.amdhsa_private_segment_fixed_size 0
		.amdhsa_kernarg_size 144
		.amdhsa_user_sgpr_count 6
		.amdhsa_user_sgpr_private_segment_buffer 1
		.amdhsa_user_sgpr_dispatch_ptr 0
		.amdhsa_user_sgpr_queue_ptr 0
		.amdhsa_user_sgpr_kernarg_segment_ptr 1
		.amdhsa_user_sgpr_dispatch_id 0
		.amdhsa_user_sgpr_flat_scratch_init 0
		.amdhsa_user_sgpr_kernarg_preload_length 0
		.amdhsa_user_sgpr_kernarg_preload_offset 0
		.amdhsa_user_sgpr_private_segment_size 0
		.amdhsa_uses_dynamic_stack 0
		.amdhsa_system_sgpr_private_segment_wavefront_offset 0
		.amdhsa_system_sgpr_workgroup_id_x 1
		.amdhsa_system_sgpr_workgroup_id_y 0
		.amdhsa_system_sgpr_workgroup_id_z 0
		.amdhsa_system_sgpr_workgroup_info 0
		.amdhsa_system_vgpr_workitem_id 0
		.amdhsa_next_free_vgpr 1
		.amdhsa_next_free_sgpr 0
		.amdhsa_accum_offset 4
		.amdhsa_reserve_vcc 0
		.amdhsa_reserve_flat_scratch 0
		.amdhsa_float_round_mode_32 0
		.amdhsa_float_round_mode_16_64 0
		.amdhsa_float_denorm_mode_32 3
		.amdhsa_float_denorm_mode_16_64 3
		.amdhsa_dx10_clamp 1
		.amdhsa_ieee_mode 1
		.amdhsa_fp16_overflow 0
		.amdhsa_tg_split 0
		.amdhsa_exception_fp_ieee_invalid_op 0
		.amdhsa_exception_fp_denorm_src 0
		.amdhsa_exception_fp_ieee_div_zero 0
		.amdhsa_exception_fp_ieee_overflow 0
		.amdhsa_exception_fp_ieee_underflow 0
		.amdhsa_exception_fp_ieee_inexact 0
		.amdhsa_exception_int_div_zero 0
	.end_amdhsa_kernel
	.section	.text._ZN7rocprim17ROCPRIM_400000_NS6detail17trampoline_kernelINS0_14default_configENS1_29reduce_by_key_config_selectorIjyN6thrust23THRUST_200600_302600_NS4plusIyEEEEZZNS1_33reduce_by_key_impl_wrapped_configILNS1_25lookback_scan_determinismE0ES3_S9_NS6_6detail15normal_iteratorINS6_10device_ptrIjEEEENSD_INSE_IyEEEENS6_16discard_iteratorINS6_11use_defaultEEESI_PmS8_NS6_8equal_toIjEEEE10hipError_tPvRmT2_T3_mT4_T5_T6_T7_T8_P12ihipStream_tbENKUlT_T0_E_clISt17integral_constantIbLb0EES15_IbLb1EEEEDaS11_S12_EUlS11_E_NS1_11comp_targetILNS1_3genE2ELNS1_11target_archE906ELNS1_3gpuE6ELNS1_3repE0EEENS1_30default_config_static_selectorELNS0_4arch9wavefront6targetE1EEEvT1_,"axG",@progbits,_ZN7rocprim17ROCPRIM_400000_NS6detail17trampoline_kernelINS0_14default_configENS1_29reduce_by_key_config_selectorIjyN6thrust23THRUST_200600_302600_NS4plusIyEEEEZZNS1_33reduce_by_key_impl_wrapped_configILNS1_25lookback_scan_determinismE0ES3_S9_NS6_6detail15normal_iteratorINS6_10device_ptrIjEEEENSD_INSE_IyEEEENS6_16discard_iteratorINS6_11use_defaultEEESI_PmS8_NS6_8equal_toIjEEEE10hipError_tPvRmT2_T3_mT4_T5_T6_T7_T8_P12ihipStream_tbENKUlT_T0_E_clISt17integral_constantIbLb0EES15_IbLb1EEEEDaS11_S12_EUlS11_E_NS1_11comp_targetILNS1_3genE2ELNS1_11target_archE906ELNS1_3gpuE6ELNS1_3repE0EEENS1_30default_config_static_selectorELNS0_4arch9wavefront6targetE1EEEvT1_,comdat
.Lfunc_end908:
	.size	_ZN7rocprim17ROCPRIM_400000_NS6detail17trampoline_kernelINS0_14default_configENS1_29reduce_by_key_config_selectorIjyN6thrust23THRUST_200600_302600_NS4plusIyEEEEZZNS1_33reduce_by_key_impl_wrapped_configILNS1_25lookback_scan_determinismE0ES3_S9_NS6_6detail15normal_iteratorINS6_10device_ptrIjEEEENSD_INSE_IyEEEENS6_16discard_iteratorINS6_11use_defaultEEESI_PmS8_NS6_8equal_toIjEEEE10hipError_tPvRmT2_T3_mT4_T5_T6_T7_T8_P12ihipStream_tbENKUlT_T0_E_clISt17integral_constantIbLb0EES15_IbLb1EEEEDaS11_S12_EUlS11_E_NS1_11comp_targetILNS1_3genE2ELNS1_11target_archE906ELNS1_3gpuE6ELNS1_3repE0EEENS1_30default_config_static_selectorELNS0_4arch9wavefront6targetE1EEEvT1_, .Lfunc_end908-_ZN7rocprim17ROCPRIM_400000_NS6detail17trampoline_kernelINS0_14default_configENS1_29reduce_by_key_config_selectorIjyN6thrust23THRUST_200600_302600_NS4plusIyEEEEZZNS1_33reduce_by_key_impl_wrapped_configILNS1_25lookback_scan_determinismE0ES3_S9_NS6_6detail15normal_iteratorINS6_10device_ptrIjEEEENSD_INSE_IyEEEENS6_16discard_iteratorINS6_11use_defaultEEESI_PmS8_NS6_8equal_toIjEEEE10hipError_tPvRmT2_T3_mT4_T5_T6_T7_T8_P12ihipStream_tbENKUlT_T0_E_clISt17integral_constantIbLb0EES15_IbLb1EEEEDaS11_S12_EUlS11_E_NS1_11comp_targetILNS1_3genE2ELNS1_11target_archE906ELNS1_3gpuE6ELNS1_3repE0EEENS1_30default_config_static_selectorELNS0_4arch9wavefront6targetE1EEEvT1_
                                        ; -- End function
	.section	.AMDGPU.csdata,"",@progbits
; Kernel info:
; codeLenInByte = 0
; NumSgprs: 4
; NumVgprs: 0
; NumAgprs: 0
; TotalNumVgprs: 0
; ScratchSize: 0
; MemoryBound: 0
; FloatMode: 240
; IeeeMode: 1
; LDSByteSize: 0 bytes/workgroup (compile time only)
; SGPRBlocks: 0
; VGPRBlocks: 0
; NumSGPRsForWavesPerEU: 4
; NumVGPRsForWavesPerEU: 1
; AccumOffset: 4
; Occupancy: 8
; WaveLimiterHint : 0
; COMPUTE_PGM_RSRC2:SCRATCH_EN: 0
; COMPUTE_PGM_RSRC2:USER_SGPR: 6
; COMPUTE_PGM_RSRC2:TRAP_HANDLER: 0
; COMPUTE_PGM_RSRC2:TGID_X_EN: 1
; COMPUTE_PGM_RSRC2:TGID_Y_EN: 0
; COMPUTE_PGM_RSRC2:TGID_Z_EN: 0
; COMPUTE_PGM_RSRC2:TIDIG_COMP_CNT: 0
; COMPUTE_PGM_RSRC3_GFX90A:ACCUM_OFFSET: 0
; COMPUTE_PGM_RSRC3_GFX90A:TG_SPLIT: 0
	.section	.text._ZN7rocprim17ROCPRIM_400000_NS6detail17trampoline_kernelINS0_14default_configENS1_29reduce_by_key_config_selectorIjyN6thrust23THRUST_200600_302600_NS4plusIyEEEEZZNS1_33reduce_by_key_impl_wrapped_configILNS1_25lookback_scan_determinismE0ES3_S9_NS6_6detail15normal_iteratorINS6_10device_ptrIjEEEENSD_INSE_IyEEEENS6_16discard_iteratorINS6_11use_defaultEEESI_PmS8_NS6_8equal_toIjEEEE10hipError_tPvRmT2_T3_mT4_T5_T6_T7_T8_P12ihipStream_tbENKUlT_T0_E_clISt17integral_constantIbLb0EES15_IbLb1EEEEDaS11_S12_EUlS11_E_NS1_11comp_targetILNS1_3genE10ELNS1_11target_archE1201ELNS1_3gpuE5ELNS1_3repE0EEENS1_30default_config_static_selectorELNS0_4arch9wavefront6targetE1EEEvT1_,"axG",@progbits,_ZN7rocprim17ROCPRIM_400000_NS6detail17trampoline_kernelINS0_14default_configENS1_29reduce_by_key_config_selectorIjyN6thrust23THRUST_200600_302600_NS4plusIyEEEEZZNS1_33reduce_by_key_impl_wrapped_configILNS1_25lookback_scan_determinismE0ES3_S9_NS6_6detail15normal_iteratorINS6_10device_ptrIjEEEENSD_INSE_IyEEEENS6_16discard_iteratorINS6_11use_defaultEEESI_PmS8_NS6_8equal_toIjEEEE10hipError_tPvRmT2_T3_mT4_T5_T6_T7_T8_P12ihipStream_tbENKUlT_T0_E_clISt17integral_constantIbLb0EES15_IbLb1EEEEDaS11_S12_EUlS11_E_NS1_11comp_targetILNS1_3genE10ELNS1_11target_archE1201ELNS1_3gpuE5ELNS1_3repE0EEENS1_30default_config_static_selectorELNS0_4arch9wavefront6targetE1EEEvT1_,comdat
	.protected	_ZN7rocprim17ROCPRIM_400000_NS6detail17trampoline_kernelINS0_14default_configENS1_29reduce_by_key_config_selectorIjyN6thrust23THRUST_200600_302600_NS4plusIyEEEEZZNS1_33reduce_by_key_impl_wrapped_configILNS1_25lookback_scan_determinismE0ES3_S9_NS6_6detail15normal_iteratorINS6_10device_ptrIjEEEENSD_INSE_IyEEEENS6_16discard_iteratorINS6_11use_defaultEEESI_PmS8_NS6_8equal_toIjEEEE10hipError_tPvRmT2_T3_mT4_T5_T6_T7_T8_P12ihipStream_tbENKUlT_T0_E_clISt17integral_constantIbLb0EES15_IbLb1EEEEDaS11_S12_EUlS11_E_NS1_11comp_targetILNS1_3genE10ELNS1_11target_archE1201ELNS1_3gpuE5ELNS1_3repE0EEENS1_30default_config_static_selectorELNS0_4arch9wavefront6targetE1EEEvT1_ ; -- Begin function _ZN7rocprim17ROCPRIM_400000_NS6detail17trampoline_kernelINS0_14default_configENS1_29reduce_by_key_config_selectorIjyN6thrust23THRUST_200600_302600_NS4plusIyEEEEZZNS1_33reduce_by_key_impl_wrapped_configILNS1_25lookback_scan_determinismE0ES3_S9_NS6_6detail15normal_iteratorINS6_10device_ptrIjEEEENSD_INSE_IyEEEENS6_16discard_iteratorINS6_11use_defaultEEESI_PmS8_NS6_8equal_toIjEEEE10hipError_tPvRmT2_T3_mT4_T5_T6_T7_T8_P12ihipStream_tbENKUlT_T0_E_clISt17integral_constantIbLb0EES15_IbLb1EEEEDaS11_S12_EUlS11_E_NS1_11comp_targetILNS1_3genE10ELNS1_11target_archE1201ELNS1_3gpuE5ELNS1_3repE0EEENS1_30default_config_static_selectorELNS0_4arch9wavefront6targetE1EEEvT1_
	.globl	_ZN7rocprim17ROCPRIM_400000_NS6detail17trampoline_kernelINS0_14default_configENS1_29reduce_by_key_config_selectorIjyN6thrust23THRUST_200600_302600_NS4plusIyEEEEZZNS1_33reduce_by_key_impl_wrapped_configILNS1_25lookback_scan_determinismE0ES3_S9_NS6_6detail15normal_iteratorINS6_10device_ptrIjEEEENSD_INSE_IyEEEENS6_16discard_iteratorINS6_11use_defaultEEESI_PmS8_NS6_8equal_toIjEEEE10hipError_tPvRmT2_T3_mT4_T5_T6_T7_T8_P12ihipStream_tbENKUlT_T0_E_clISt17integral_constantIbLb0EES15_IbLb1EEEEDaS11_S12_EUlS11_E_NS1_11comp_targetILNS1_3genE10ELNS1_11target_archE1201ELNS1_3gpuE5ELNS1_3repE0EEENS1_30default_config_static_selectorELNS0_4arch9wavefront6targetE1EEEvT1_
	.p2align	8
	.type	_ZN7rocprim17ROCPRIM_400000_NS6detail17trampoline_kernelINS0_14default_configENS1_29reduce_by_key_config_selectorIjyN6thrust23THRUST_200600_302600_NS4plusIyEEEEZZNS1_33reduce_by_key_impl_wrapped_configILNS1_25lookback_scan_determinismE0ES3_S9_NS6_6detail15normal_iteratorINS6_10device_ptrIjEEEENSD_INSE_IyEEEENS6_16discard_iteratorINS6_11use_defaultEEESI_PmS8_NS6_8equal_toIjEEEE10hipError_tPvRmT2_T3_mT4_T5_T6_T7_T8_P12ihipStream_tbENKUlT_T0_E_clISt17integral_constantIbLb0EES15_IbLb1EEEEDaS11_S12_EUlS11_E_NS1_11comp_targetILNS1_3genE10ELNS1_11target_archE1201ELNS1_3gpuE5ELNS1_3repE0EEENS1_30default_config_static_selectorELNS0_4arch9wavefront6targetE1EEEvT1_,@function
_ZN7rocprim17ROCPRIM_400000_NS6detail17trampoline_kernelINS0_14default_configENS1_29reduce_by_key_config_selectorIjyN6thrust23THRUST_200600_302600_NS4plusIyEEEEZZNS1_33reduce_by_key_impl_wrapped_configILNS1_25lookback_scan_determinismE0ES3_S9_NS6_6detail15normal_iteratorINS6_10device_ptrIjEEEENSD_INSE_IyEEEENS6_16discard_iteratorINS6_11use_defaultEEESI_PmS8_NS6_8equal_toIjEEEE10hipError_tPvRmT2_T3_mT4_T5_T6_T7_T8_P12ihipStream_tbENKUlT_T0_E_clISt17integral_constantIbLb0EES15_IbLb1EEEEDaS11_S12_EUlS11_E_NS1_11comp_targetILNS1_3genE10ELNS1_11target_archE1201ELNS1_3gpuE5ELNS1_3repE0EEENS1_30default_config_static_selectorELNS0_4arch9wavefront6targetE1EEEvT1_: ; @_ZN7rocprim17ROCPRIM_400000_NS6detail17trampoline_kernelINS0_14default_configENS1_29reduce_by_key_config_selectorIjyN6thrust23THRUST_200600_302600_NS4plusIyEEEEZZNS1_33reduce_by_key_impl_wrapped_configILNS1_25lookback_scan_determinismE0ES3_S9_NS6_6detail15normal_iteratorINS6_10device_ptrIjEEEENSD_INSE_IyEEEENS6_16discard_iteratorINS6_11use_defaultEEESI_PmS8_NS6_8equal_toIjEEEE10hipError_tPvRmT2_T3_mT4_T5_T6_T7_T8_P12ihipStream_tbENKUlT_T0_E_clISt17integral_constantIbLb0EES15_IbLb1EEEEDaS11_S12_EUlS11_E_NS1_11comp_targetILNS1_3genE10ELNS1_11target_archE1201ELNS1_3gpuE5ELNS1_3repE0EEENS1_30default_config_static_selectorELNS0_4arch9wavefront6targetE1EEEvT1_
; %bb.0:
	.section	.rodata,"a",@progbits
	.p2align	6, 0x0
	.amdhsa_kernel _ZN7rocprim17ROCPRIM_400000_NS6detail17trampoline_kernelINS0_14default_configENS1_29reduce_by_key_config_selectorIjyN6thrust23THRUST_200600_302600_NS4plusIyEEEEZZNS1_33reduce_by_key_impl_wrapped_configILNS1_25lookback_scan_determinismE0ES3_S9_NS6_6detail15normal_iteratorINS6_10device_ptrIjEEEENSD_INSE_IyEEEENS6_16discard_iteratorINS6_11use_defaultEEESI_PmS8_NS6_8equal_toIjEEEE10hipError_tPvRmT2_T3_mT4_T5_T6_T7_T8_P12ihipStream_tbENKUlT_T0_E_clISt17integral_constantIbLb0EES15_IbLb1EEEEDaS11_S12_EUlS11_E_NS1_11comp_targetILNS1_3genE10ELNS1_11target_archE1201ELNS1_3gpuE5ELNS1_3repE0EEENS1_30default_config_static_selectorELNS0_4arch9wavefront6targetE1EEEvT1_
		.amdhsa_group_segment_fixed_size 0
		.amdhsa_private_segment_fixed_size 0
		.amdhsa_kernarg_size 144
		.amdhsa_user_sgpr_count 6
		.amdhsa_user_sgpr_private_segment_buffer 1
		.amdhsa_user_sgpr_dispatch_ptr 0
		.amdhsa_user_sgpr_queue_ptr 0
		.amdhsa_user_sgpr_kernarg_segment_ptr 1
		.amdhsa_user_sgpr_dispatch_id 0
		.amdhsa_user_sgpr_flat_scratch_init 0
		.amdhsa_user_sgpr_kernarg_preload_length 0
		.amdhsa_user_sgpr_kernarg_preload_offset 0
		.amdhsa_user_sgpr_private_segment_size 0
		.amdhsa_uses_dynamic_stack 0
		.amdhsa_system_sgpr_private_segment_wavefront_offset 0
		.amdhsa_system_sgpr_workgroup_id_x 1
		.amdhsa_system_sgpr_workgroup_id_y 0
		.amdhsa_system_sgpr_workgroup_id_z 0
		.amdhsa_system_sgpr_workgroup_info 0
		.amdhsa_system_vgpr_workitem_id 0
		.amdhsa_next_free_vgpr 1
		.amdhsa_next_free_sgpr 0
		.amdhsa_accum_offset 4
		.amdhsa_reserve_vcc 0
		.amdhsa_reserve_flat_scratch 0
		.amdhsa_float_round_mode_32 0
		.amdhsa_float_round_mode_16_64 0
		.amdhsa_float_denorm_mode_32 3
		.amdhsa_float_denorm_mode_16_64 3
		.amdhsa_dx10_clamp 1
		.amdhsa_ieee_mode 1
		.amdhsa_fp16_overflow 0
		.amdhsa_tg_split 0
		.amdhsa_exception_fp_ieee_invalid_op 0
		.amdhsa_exception_fp_denorm_src 0
		.amdhsa_exception_fp_ieee_div_zero 0
		.amdhsa_exception_fp_ieee_overflow 0
		.amdhsa_exception_fp_ieee_underflow 0
		.amdhsa_exception_fp_ieee_inexact 0
		.amdhsa_exception_int_div_zero 0
	.end_amdhsa_kernel
	.section	.text._ZN7rocprim17ROCPRIM_400000_NS6detail17trampoline_kernelINS0_14default_configENS1_29reduce_by_key_config_selectorIjyN6thrust23THRUST_200600_302600_NS4plusIyEEEEZZNS1_33reduce_by_key_impl_wrapped_configILNS1_25lookback_scan_determinismE0ES3_S9_NS6_6detail15normal_iteratorINS6_10device_ptrIjEEEENSD_INSE_IyEEEENS6_16discard_iteratorINS6_11use_defaultEEESI_PmS8_NS6_8equal_toIjEEEE10hipError_tPvRmT2_T3_mT4_T5_T6_T7_T8_P12ihipStream_tbENKUlT_T0_E_clISt17integral_constantIbLb0EES15_IbLb1EEEEDaS11_S12_EUlS11_E_NS1_11comp_targetILNS1_3genE10ELNS1_11target_archE1201ELNS1_3gpuE5ELNS1_3repE0EEENS1_30default_config_static_selectorELNS0_4arch9wavefront6targetE1EEEvT1_,"axG",@progbits,_ZN7rocprim17ROCPRIM_400000_NS6detail17trampoline_kernelINS0_14default_configENS1_29reduce_by_key_config_selectorIjyN6thrust23THRUST_200600_302600_NS4plusIyEEEEZZNS1_33reduce_by_key_impl_wrapped_configILNS1_25lookback_scan_determinismE0ES3_S9_NS6_6detail15normal_iteratorINS6_10device_ptrIjEEEENSD_INSE_IyEEEENS6_16discard_iteratorINS6_11use_defaultEEESI_PmS8_NS6_8equal_toIjEEEE10hipError_tPvRmT2_T3_mT4_T5_T6_T7_T8_P12ihipStream_tbENKUlT_T0_E_clISt17integral_constantIbLb0EES15_IbLb1EEEEDaS11_S12_EUlS11_E_NS1_11comp_targetILNS1_3genE10ELNS1_11target_archE1201ELNS1_3gpuE5ELNS1_3repE0EEENS1_30default_config_static_selectorELNS0_4arch9wavefront6targetE1EEEvT1_,comdat
.Lfunc_end909:
	.size	_ZN7rocprim17ROCPRIM_400000_NS6detail17trampoline_kernelINS0_14default_configENS1_29reduce_by_key_config_selectorIjyN6thrust23THRUST_200600_302600_NS4plusIyEEEEZZNS1_33reduce_by_key_impl_wrapped_configILNS1_25lookback_scan_determinismE0ES3_S9_NS6_6detail15normal_iteratorINS6_10device_ptrIjEEEENSD_INSE_IyEEEENS6_16discard_iteratorINS6_11use_defaultEEESI_PmS8_NS6_8equal_toIjEEEE10hipError_tPvRmT2_T3_mT4_T5_T6_T7_T8_P12ihipStream_tbENKUlT_T0_E_clISt17integral_constantIbLb0EES15_IbLb1EEEEDaS11_S12_EUlS11_E_NS1_11comp_targetILNS1_3genE10ELNS1_11target_archE1201ELNS1_3gpuE5ELNS1_3repE0EEENS1_30default_config_static_selectorELNS0_4arch9wavefront6targetE1EEEvT1_, .Lfunc_end909-_ZN7rocprim17ROCPRIM_400000_NS6detail17trampoline_kernelINS0_14default_configENS1_29reduce_by_key_config_selectorIjyN6thrust23THRUST_200600_302600_NS4plusIyEEEEZZNS1_33reduce_by_key_impl_wrapped_configILNS1_25lookback_scan_determinismE0ES3_S9_NS6_6detail15normal_iteratorINS6_10device_ptrIjEEEENSD_INSE_IyEEEENS6_16discard_iteratorINS6_11use_defaultEEESI_PmS8_NS6_8equal_toIjEEEE10hipError_tPvRmT2_T3_mT4_T5_T6_T7_T8_P12ihipStream_tbENKUlT_T0_E_clISt17integral_constantIbLb0EES15_IbLb1EEEEDaS11_S12_EUlS11_E_NS1_11comp_targetILNS1_3genE10ELNS1_11target_archE1201ELNS1_3gpuE5ELNS1_3repE0EEENS1_30default_config_static_selectorELNS0_4arch9wavefront6targetE1EEEvT1_
                                        ; -- End function
	.section	.AMDGPU.csdata,"",@progbits
; Kernel info:
; codeLenInByte = 0
; NumSgprs: 4
; NumVgprs: 0
; NumAgprs: 0
; TotalNumVgprs: 0
; ScratchSize: 0
; MemoryBound: 0
; FloatMode: 240
; IeeeMode: 1
; LDSByteSize: 0 bytes/workgroup (compile time only)
; SGPRBlocks: 0
; VGPRBlocks: 0
; NumSGPRsForWavesPerEU: 4
; NumVGPRsForWavesPerEU: 1
; AccumOffset: 4
; Occupancy: 8
; WaveLimiterHint : 0
; COMPUTE_PGM_RSRC2:SCRATCH_EN: 0
; COMPUTE_PGM_RSRC2:USER_SGPR: 6
; COMPUTE_PGM_RSRC2:TRAP_HANDLER: 0
; COMPUTE_PGM_RSRC2:TGID_X_EN: 1
; COMPUTE_PGM_RSRC2:TGID_Y_EN: 0
; COMPUTE_PGM_RSRC2:TGID_Z_EN: 0
; COMPUTE_PGM_RSRC2:TIDIG_COMP_CNT: 0
; COMPUTE_PGM_RSRC3_GFX90A:ACCUM_OFFSET: 0
; COMPUTE_PGM_RSRC3_GFX90A:TG_SPLIT: 0
	.section	.text._ZN7rocprim17ROCPRIM_400000_NS6detail17trampoline_kernelINS0_14default_configENS1_29reduce_by_key_config_selectorIjyN6thrust23THRUST_200600_302600_NS4plusIyEEEEZZNS1_33reduce_by_key_impl_wrapped_configILNS1_25lookback_scan_determinismE0ES3_S9_NS6_6detail15normal_iteratorINS6_10device_ptrIjEEEENSD_INSE_IyEEEENS6_16discard_iteratorINS6_11use_defaultEEESI_PmS8_NS6_8equal_toIjEEEE10hipError_tPvRmT2_T3_mT4_T5_T6_T7_T8_P12ihipStream_tbENKUlT_T0_E_clISt17integral_constantIbLb0EES15_IbLb1EEEEDaS11_S12_EUlS11_E_NS1_11comp_targetILNS1_3genE10ELNS1_11target_archE1200ELNS1_3gpuE4ELNS1_3repE0EEENS1_30default_config_static_selectorELNS0_4arch9wavefront6targetE1EEEvT1_,"axG",@progbits,_ZN7rocprim17ROCPRIM_400000_NS6detail17trampoline_kernelINS0_14default_configENS1_29reduce_by_key_config_selectorIjyN6thrust23THRUST_200600_302600_NS4plusIyEEEEZZNS1_33reduce_by_key_impl_wrapped_configILNS1_25lookback_scan_determinismE0ES3_S9_NS6_6detail15normal_iteratorINS6_10device_ptrIjEEEENSD_INSE_IyEEEENS6_16discard_iteratorINS6_11use_defaultEEESI_PmS8_NS6_8equal_toIjEEEE10hipError_tPvRmT2_T3_mT4_T5_T6_T7_T8_P12ihipStream_tbENKUlT_T0_E_clISt17integral_constantIbLb0EES15_IbLb1EEEEDaS11_S12_EUlS11_E_NS1_11comp_targetILNS1_3genE10ELNS1_11target_archE1200ELNS1_3gpuE4ELNS1_3repE0EEENS1_30default_config_static_selectorELNS0_4arch9wavefront6targetE1EEEvT1_,comdat
	.protected	_ZN7rocprim17ROCPRIM_400000_NS6detail17trampoline_kernelINS0_14default_configENS1_29reduce_by_key_config_selectorIjyN6thrust23THRUST_200600_302600_NS4plusIyEEEEZZNS1_33reduce_by_key_impl_wrapped_configILNS1_25lookback_scan_determinismE0ES3_S9_NS6_6detail15normal_iteratorINS6_10device_ptrIjEEEENSD_INSE_IyEEEENS6_16discard_iteratorINS6_11use_defaultEEESI_PmS8_NS6_8equal_toIjEEEE10hipError_tPvRmT2_T3_mT4_T5_T6_T7_T8_P12ihipStream_tbENKUlT_T0_E_clISt17integral_constantIbLb0EES15_IbLb1EEEEDaS11_S12_EUlS11_E_NS1_11comp_targetILNS1_3genE10ELNS1_11target_archE1200ELNS1_3gpuE4ELNS1_3repE0EEENS1_30default_config_static_selectorELNS0_4arch9wavefront6targetE1EEEvT1_ ; -- Begin function _ZN7rocprim17ROCPRIM_400000_NS6detail17trampoline_kernelINS0_14default_configENS1_29reduce_by_key_config_selectorIjyN6thrust23THRUST_200600_302600_NS4plusIyEEEEZZNS1_33reduce_by_key_impl_wrapped_configILNS1_25lookback_scan_determinismE0ES3_S9_NS6_6detail15normal_iteratorINS6_10device_ptrIjEEEENSD_INSE_IyEEEENS6_16discard_iteratorINS6_11use_defaultEEESI_PmS8_NS6_8equal_toIjEEEE10hipError_tPvRmT2_T3_mT4_T5_T6_T7_T8_P12ihipStream_tbENKUlT_T0_E_clISt17integral_constantIbLb0EES15_IbLb1EEEEDaS11_S12_EUlS11_E_NS1_11comp_targetILNS1_3genE10ELNS1_11target_archE1200ELNS1_3gpuE4ELNS1_3repE0EEENS1_30default_config_static_selectorELNS0_4arch9wavefront6targetE1EEEvT1_
	.globl	_ZN7rocprim17ROCPRIM_400000_NS6detail17trampoline_kernelINS0_14default_configENS1_29reduce_by_key_config_selectorIjyN6thrust23THRUST_200600_302600_NS4plusIyEEEEZZNS1_33reduce_by_key_impl_wrapped_configILNS1_25lookback_scan_determinismE0ES3_S9_NS6_6detail15normal_iteratorINS6_10device_ptrIjEEEENSD_INSE_IyEEEENS6_16discard_iteratorINS6_11use_defaultEEESI_PmS8_NS6_8equal_toIjEEEE10hipError_tPvRmT2_T3_mT4_T5_T6_T7_T8_P12ihipStream_tbENKUlT_T0_E_clISt17integral_constantIbLb0EES15_IbLb1EEEEDaS11_S12_EUlS11_E_NS1_11comp_targetILNS1_3genE10ELNS1_11target_archE1200ELNS1_3gpuE4ELNS1_3repE0EEENS1_30default_config_static_selectorELNS0_4arch9wavefront6targetE1EEEvT1_
	.p2align	8
	.type	_ZN7rocprim17ROCPRIM_400000_NS6detail17trampoline_kernelINS0_14default_configENS1_29reduce_by_key_config_selectorIjyN6thrust23THRUST_200600_302600_NS4plusIyEEEEZZNS1_33reduce_by_key_impl_wrapped_configILNS1_25lookback_scan_determinismE0ES3_S9_NS6_6detail15normal_iteratorINS6_10device_ptrIjEEEENSD_INSE_IyEEEENS6_16discard_iteratorINS6_11use_defaultEEESI_PmS8_NS6_8equal_toIjEEEE10hipError_tPvRmT2_T3_mT4_T5_T6_T7_T8_P12ihipStream_tbENKUlT_T0_E_clISt17integral_constantIbLb0EES15_IbLb1EEEEDaS11_S12_EUlS11_E_NS1_11comp_targetILNS1_3genE10ELNS1_11target_archE1200ELNS1_3gpuE4ELNS1_3repE0EEENS1_30default_config_static_selectorELNS0_4arch9wavefront6targetE1EEEvT1_,@function
_ZN7rocprim17ROCPRIM_400000_NS6detail17trampoline_kernelINS0_14default_configENS1_29reduce_by_key_config_selectorIjyN6thrust23THRUST_200600_302600_NS4plusIyEEEEZZNS1_33reduce_by_key_impl_wrapped_configILNS1_25lookback_scan_determinismE0ES3_S9_NS6_6detail15normal_iteratorINS6_10device_ptrIjEEEENSD_INSE_IyEEEENS6_16discard_iteratorINS6_11use_defaultEEESI_PmS8_NS6_8equal_toIjEEEE10hipError_tPvRmT2_T3_mT4_T5_T6_T7_T8_P12ihipStream_tbENKUlT_T0_E_clISt17integral_constantIbLb0EES15_IbLb1EEEEDaS11_S12_EUlS11_E_NS1_11comp_targetILNS1_3genE10ELNS1_11target_archE1200ELNS1_3gpuE4ELNS1_3repE0EEENS1_30default_config_static_selectorELNS0_4arch9wavefront6targetE1EEEvT1_: ; @_ZN7rocprim17ROCPRIM_400000_NS6detail17trampoline_kernelINS0_14default_configENS1_29reduce_by_key_config_selectorIjyN6thrust23THRUST_200600_302600_NS4plusIyEEEEZZNS1_33reduce_by_key_impl_wrapped_configILNS1_25lookback_scan_determinismE0ES3_S9_NS6_6detail15normal_iteratorINS6_10device_ptrIjEEEENSD_INSE_IyEEEENS6_16discard_iteratorINS6_11use_defaultEEESI_PmS8_NS6_8equal_toIjEEEE10hipError_tPvRmT2_T3_mT4_T5_T6_T7_T8_P12ihipStream_tbENKUlT_T0_E_clISt17integral_constantIbLb0EES15_IbLb1EEEEDaS11_S12_EUlS11_E_NS1_11comp_targetILNS1_3genE10ELNS1_11target_archE1200ELNS1_3gpuE4ELNS1_3repE0EEENS1_30default_config_static_selectorELNS0_4arch9wavefront6targetE1EEEvT1_
; %bb.0:
	.section	.rodata,"a",@progbits
	.p2align	6, 0x0
	.amdhsa_kernel _ZN7rocprim17ROCPRIM_400000_NS6detail17trampoline_kernelINS0_14default_configENS1_29reduce_by_key_config_selectorIjyN6thrust23THRUST_200600_302600_NS4plusIyEEEEZZNS1_33reduce_by_key_impl_wrapped_configILNS1_25lookback_scan_determinismE0ES3_S9_NS6_6detail15normal_iteratorINS6_10device_ptrIjEEEENSD_INSE_IyEEEENS6_16discard_iteratorINS6_11use_defaultEEESI_PmS8_NS6_8equal_toIjEEEE10hipError_tPvRmT2_T3_mT4_T5_T6_T7_T8_P12ihipStream_tbENKUlT_T0_E_clISt17integral_constantIbLb0EES15_IbLb1EEEEDaS11_S12_EUlS11_E_NS1_11comp_targetILNS1_3genE10ELNS1_11target_archE1200ELNS1_3gpuE4ELNS1_3repE0EEENS1_30default_config_static_selectorELNS0_4arch9wavefront6targetE1EEEvT1_
		.amdhsa_group_segment_fixed_size 0
		.amdhsa_private_segment_fixed_size 0
		.amdhsa_kernarg_size 144
		.amdhsa_user_sgpr_count 6
		.amdhsa_user_sgpr_private_segment_buffer 1
		.amdhsa_user_sgpr_dispatch_ptr 0
		.amdhsa_user_sgpr_queue_ptr 0
		.amdhsa_user_sgpr_kernarg_segment_ptr 1
		.amdhsa_user_sgpr_dispatch_id 0
		.amdhsa_user_sgpr_flat_scratch_init 0
		.amdhsa_user_sgpr_kernarg_preload_length 0
		.amdhsa_user_sgpr_kernarg_preload_offset 0
		.amdhsa_user_sgpr_private_segment_size 0
		.amdhsa_uses_dynamic_stack 0
		.amdhsa_system_sgpr_private_segment_wavefront_offset 0
		.amdhsa_system_sgpr_workgroup_id_x 1
		.amdhsa_system_sgpr_workgroup_id_y 0
		.amdhsa_system_sgpr_workgroup_id_z 0
		.amdhsa_system_sgpr_workgroup_info 0
		.amdhsa_system_vgpr_workitem_id 0
		.amdhsa_next_free_vgpr 1
		.amdhsa_next_free_sgpr 0
		.amdhsa_accum_offset 4
		.amdhsa_reserve_vcc 0
		.amdhsa_reserve_flat_scratch 0
		.amdhsa_float_round_mode_32 0
		.amdhsa_float_round_mode_16_64 0
		.amdhsa_float_denorm_mode_32 3
		.amdhsa_float_denorm_mode_16_64 3
		.amdhsa_dx10_clamp 1
		.amdhsa_ieee_mode 1
		.amdhsa_fp16_overflow 0
		.amdhsa_tg_split 0
		.amdhsa_exception_fp_ieee_invalid_op 0
		.amdhsa_exception_fp_denorm_src 0
		.amdhsa_exception_fp_ieee_div_zero 0
		.amdhsa_exception_fp_ieee_overflow 0
		.amdhsa_exception_fp_ieee_underflow 0
		.amdhsa_exception_fp_ieee_inexact 0
		.amdhsa_exception_int_div_zero 0
	.end_amdhsa_kernel
	.section	.text._ZN7rocprim17ROCPRIM_400000_NS6detail17trampoline_kernelINS0_14default_configENS1_29reduce_by_key_config_selectorIjyN6thrust23THRUST_200600_302600_NS4plusIyEEEEZZNS1_33reduce_by_key_impl_wrapped_configILNS1_25lookback_scan_determinismE0ES3_S9_NS6_6detail15normal_iteratorINS6_10device_ptrIjEEEENSD_INSE_IyEEEENS6_16discard_iteratorINS6_11use_defaultEEESI_PmS8_NS6_8equal_toIjEEEE10hipError_tPvRmT2_T3_mT4_T5_T6_T7_T8_P12ihipStream_tbENKUlT_T0_E_clISt17integral_constantIbLb0EES15_IbLb1EEEEDaS11_S12_EUlS11_E_NS1_11comp_targetILNS1_3genE10ELNS1_11target_archE1200ELNS1_3gpuE4ELNS1_3repE0EEENS1_30default_config_static_selectorELNS0_4arch9wavefront6targetE1EEEvT1_,"axG",@progbits,_ZN7rocprim17ROCPRIM_400000_NS6detail17trampoline_kernelINS0_14default_configENS1_29reduce_by_key_config_selectorIjyN6thrust23THRUST_200600_302600_NS4plusIyEEEEZZNS1_33reduce_by_key_impl_wrapped_configILNS1_25lookback_scan_determinismE0ES3_S9_NS6_6detail15normal_iteratorINS6_10device_ptrIjEEEENSD_INSE_IyEEEENS6_16discard_iteratorINS6_11use_defaultEEESI_PmS8_NS6_8equal_toIjEEEE10hipError_tPvRmT2_T3_mT4_T5_T6_T7_T8_P12ihipStream_tbENKUlT_T0_E_clISt17integral_constantIbLb0EES15_IbLb1EEEEDaS11_S12_EUlS11_E_NS1_11comp_targetILNS1_3genE10ELNS1_11target_archE1200ELNS1_3gpuE4ELNS1_3repE0EEENS1_30default_config_static_selectorELNS0_4arch9wavefront6targetE1EEEvT1_,comdat
.Lfunc_end910:
	.size	_ZN7rocprim17ROCPRIM_400000_NS6detail17trampoline_kernelINS0_14default_configENS1_29reduce_by_key_config_selectorIjyN6thrust23THRUST_200600_302600_NS4plusIyEEEEZZNS1_33reduce_by_key_impl_wrapped_configILNS1_25lookback_scan_determinismE0ES3_S9_NS6_6detail15normal_iteratorINS6_10device_ptrIjEEEENSD_INSE_IyEEEENS6_16discard_iteratorINS6_11use_defaultEEESI_PmS8_NS6_8equal_toIjEEEE10hipError_tPvRmT2_T3_mT4_T5_T6_T7_T8_P12ihipStream_tbENKUlT_T0_E_clISt17integral_constantIbLb0EES15_IbLb1EEEEDaS11_S12_EUlS11_E_NS1_11comp_targetILNS1_3genE10ELNS1_11target_archE1200ELNS1_3gpuE4ELNS1_3repE0EEENS1_30default_config_static_selectorELNS0_4arch9wavefront6targetE1EEEvT1_, .Lfunc_end910-_ZN7rocprim17ROCPRIM_400000_NS6detail17trampoline_kernelINS0_14default_configENS1_29reduce_by_key_config_selectorIjyN6thrust23THRUST_200600_302600_NS4plusIyEEEEZZNS1_33reduce_by_key_impl_wrapped_configILNS1_25lookback_scan_determinismE0ES3_S9_NS6_6detail15normal_iteratorINS6_10device_ptrIjEEEENSD_INSE_IyEEEENS6_16discard_iteratorINS6_11use_defaultEEESI_PmS8_NS6_8equal_toIjEEEE10hipError_tPvRmT2_T3_mT4_T5_T6_T7_T8_P12ihipStream_tbENKUlT_T0_E_clISt17integral_constantIbLb0EES15_IbLb1EEEEDaS11_S12_EUlS11_E_NS1_11comp_targetILNS1_3genE10ELNS1_11target_archE1200ELNS1_3gpuE4ELNS1_3repE0EEENS1_30default_config_static_selectorELNS0_4arch9wavefront6targetE1EEEvT1_
                                        ; -- End function
	.section	.AMDGPU.csdata,"",@progbits
; Kernel info:
; codeLenInByte = 0
; NumSgprs: 4
; NumVgprs: 0
; NumAgprs: 0
; TotalNumVgprs: 0
; ScratchSize: 0
; MemoryBound: 0
; FloatMode: 240
; IeeeMode: 1
; LDSByteSize: 0 bytes/workgroup (compile time only)
; SGPRBlocks: 0
; VGPRBlocks: 0
; NumSGPRsForWavesPerEU: 4
; NumVGPRsForWavesPerEU: 1
; AccumOffset: 4
; Occupancy: 8
; WaveLimiterHint : 0
; COMPUTE_PGM_RSRC2:SCRATCH_EN: 0
; COMPUTE_PGM_RSRC2:USER_SGPR: 6
; COMPUTE_PGM_RSRC2:TRAP_HANDLER: 0
; COMPUTE_PGM_RSRC2:TGID_X_EN: 1
; COMPUTE_PGM_RSRC2:TGID_Y_EN: 0
; COMPUTE_PGM_RSRC2:TGID_Z_EN: 0
; COMPUTE_PGM_RSRC2:TIDIG_COMP_CNT: 0
; COMPUTE_PGM_RSRC3_GFX90A:ACCUM_OFFSET: 0
; COMPUTE_PGM_RSRC3_GFX90A:TG_SPLIT: 0
	.section	.text._ZN7rocprim17ROCPRIM_400000_NS6detail17trampoline_kernelINS0_14default_configENS1_29reduce_by_key_config_selectorIjyN6thrust23THRUST_200600_302600_NS4plusIyEEEEZZNS1_33reduce_by_key_impl_wrapped_configILNS1_25lookback_scan_determinismE0ES3_S9_NS6_6detail15normal_iteratorINS6_10device_ptrIjEEEENSD_INSE_IyEEEENS6_16discard_iteratorINS6_11use_defaultEEESI_PmS8_NS6_8equal_toIjEEEE10hipError_tPvRmT2_T3_mT4_T5_T6_T7_T8_P12ihipStream_tbENKUlT_T0_E_clISt17integral_constantIbLb0EES15_IbLb1EEEEDaS11_S12_EUlS11_E_NS1_11comp_targetILNS1_3genE9ELNS1_11target_archE1100ELNS1_3gpuE3ELNS1_3repE0EEENS1_30default_config_static_selectorELNS0_4arch9wavefront6targetE1EEEvT1_,"axG",@progbits,_ZN7rocprim17ROCPRIM_400000_NS6detail17trampoline_kernelINS0_14default_configENS1_29reduce_by_key_config_selectorIjyN6thrust23THRUST_200600_302600_NS4plusIyEEEEZZNS1_33reduce_by_key_impl_wrapped_configILNS1_25lookback_scan_determinismE0ES3_S9_NS6_6detail15normal_iteratorINS6_10device_ptrIjEEEENSD_INSE_IyEEEENS6_16discard_iteratorINS6_11use_defaultEEESI_PmS8_NS6_8equal_toIjEEEE10hipError_tPvRmT2_T3_mT4_T5_T6_T7_T8_P12ihipStream_tbENKUlT_T0_E_clISt17integral_constantIbLb0EES15_IbLb1EEEEDaS11_S12_EUlS11_E_NS1_11comp_targetILNS1_3genE9ELNS1_11target_archE1100ELNS1_3gpuE3ELNS1_3repE0EEENS1_30default_config_static_selectorELNS0_4arch9wavefront6targetE1EEEvT1_,comdat
	.protected	_ZN7rocprim17ROCPRIM_400000_NS6detail17trampoline_kernelINS0_14default_configENS1_29reduce_by_key_config_selectorIjyN6thrust23THRUST_200600_302600_NS4plusIyEEEEZZNS1_33reduce_by_key_impl_wrapped_configILNS1_25lookback_scan_determinismE0ES3_S9_NS6_6detail15normal_iteratorINS6_10device_ptrIjEEEENSD_INSE_IyEEEENS6_16discard_iteratorINS6_11use_defaultEEESI_PmS8_NS6_8equal_toIjEEEE10hipError_tPvRmT2_T3_mT4_T5_T6_T7_T8_P12ihipStream_tbENKUlT_T0_E_clISt17integral_constantIbLb0EES15_IbLb1EEEEDaS11_S12_EUlS11_E_NS1_11comp_targetILNS1_3genE9ELNS1_11target_archE1100ELNS1_3gpuE3ELNS1_3repE0EEENS1_30default_config_static_selectorELNS0_4arch9wavefront6targetE1EEEvT1_ ; -- Begin function _ZN7rocprim17ROCPRIM_400000_NS6detail17trampoline_kernelINS0_14default_configENS1_29reduce_by_key_config_selectorIjyN6thrust23THRUST_200600_302600_NS4plusIyEEEEZZNS1_33reduce_by_key_impl_wrapped_configILNS1_25lookback_scan_determinismE0ES3_S9_NS6_6detail15normal_iteratorINS6_10device_ptrIjEEEENSD_INSE_IyEEEENS6_16discard_iteratorINS6_11use_defaultEEESI_PmS8_NS6_8equal_toIjEEEE10hipError_tPvRmT2_T3_mT4_T5_T6_T7_T8_P12ihipStream_tbENKUlT_T0_E_clISt17integral_constantIbLb0EES15_IbLb1EEEEDaS11_S12_EUlS11_E_NS1_11comp_targetILNS1_3genE9ELNS1_11target_archE1100ELNS1_3gpuE3ELNS1_3repE0EEENS1_30default_config_static_selectorELNS0_4arch9wavefront6targetE1EEEvT1_
	.globl	_ZN7rocprim17ROCPRIM_400000_NS6detail17trampoline_kernelINS0_14default_configENS1_29reduce_by_key_config_selectorIjyN6thrust23THRUST_200600_302600_NS4plusIyEEEEZZNS1_33reduce_by_key_impl_wrapped_configILNS1_25lookback_scan_determinismE0ES3_S9_NS6_6detail15normal_iteratorINS6_10device_ptrIjEEEENSD_INSE_IyEEEENS6_16discard_iteratorINS6_11use_defaultEEESI_PmS8_NS6_8equal_toIjEEEE10hipError_tPvRmT2_T3_mT4_T5_T6_T7_T8_P12ihipStream_tbENKUlT_T0_E_clISt17integral_constantIbLb0EES15_IbLb1EEEEDaS11_S12_EUlS11_E_NS1_11comp_targetILNS1_3genE9ELNS1_11target_archE1100ELNS1_3gpuE3ELNS1_3repE0EEENS1_30default_config_static_selectorELNS0_4arch9wavefront6targetE1EEEvT1_
	.p2align	8
	.type	_ZN7rocprim17ROCPRIM_400000_NS6detail17trampoline_kernelINS0_14default_configENS1_29reduce_by_key_config_selectorIjyN6thrust23THRUST_200600_302600_NS4plusIyEEEEZZNS1_33reduce_by_key_impl_wrapped_configILNS1_25lookback_scan_determinismE0ES3_S9_NS6_6detail15normal_iteratorINS6_10device_ptrIjEEEENSD_INSE_IyEEEENS6_16discard_iteratorINS6_11use_defaultEEESI_PmS8_NS6_8equal_toIjEEEE10hipError_tPvRmT2_T3_mT4_T5_T6_T7_T8_P12ihipStream_tbENKUlT_T0_E_clISt17integral_constantIbLb0EES15_IbLb1EEEEDaS11_S12_EUlS11_E_NS1_11comp_targetILNS1_3genE9ELNS1_11target_archE1100ELNS1_3gpuE3ELNS1_3repE0EEENS1_30default_config_static_selectorELNS0_4arch9wavefront6targetE1EEEvT1_,@function
_ZN7rocprim17ROCPRIM_400000_NS6detail17trampoline_kernelINS0_14default_configENS1_29reduce_by_key_config_selectorIjyN6thrust23THRUST_200600_302600_NS4plusIyEEEEZZNS1_33reduce_by_key_impl_wrapped_configILNS1_25lookback_scan_determinismE0ES3_S9_NS6_6detail15normal_iteratorINS6_10device_ptrIjEEEENSD_INSE_IyEEEENS6_16discard_iteratorINS6_11use_defaultEEESI_PmS8_NS6_8equal_toIjEEEE10hipError_tPvRmT2_T3_mT4_T5_T6_T7_T8_P12ihipStream_tbENKUlT_T0_E_clISt17integral_constantIbLb0EES15_IbLb1EEEEDaS11_S12_EUlS11_E_NS1_11comp_targetILNS1_3genE9ELNS1_11target_archE1100ELNS1_3gpuE3ELNS1_3repE0EEENS1_30default_config_static_selectorELNS0_4arch9wavefront6targetE1EEEvT1_: ; @_ZN7rocprim17ROCPRIM_400000_NS6detail17trampoline_kernelINS0_14default_configENS1_29reduce_by_key_config_selectorIjyN6thrust23THRUST_200600_302600_NS4plusIyEEEEZZNS1_33reduce_by_key_impl_wrapped_configILNS1_25lookback_scan_determinismE0ES3_S9_NS6_6detail15normal_iteratorINS6_10device_ptrIjEEEENSD_INSE_IyEEEENS6_16discard_iteratorINS6_11use_defaultEEESI_PmS8_NS6_8equal_toIjEEEE10hipError_tPvRmT2_T3_mT4_T5_T6_T7_T8_P12ihipStream_tbENKUlT_T0_E_clISt17integral_constantIbLb0EES15_IbLb1EEEEDaS11_S12_EUlS11_E_NS1_11comp_targetILNS1_3genE9ELNS1_11target_archE1100ELNS1_3gpuE3ELNS1_3repE0EEENS1_30default_config_static_selectorELNS0_4arch9wavefront6targetE1EEEvT1_
; %bb.0:
	.section	.rodata,"a",@progbits
	.p2align	6, 0x0
	.amdhsa_kernel _ZN7rocprim17ROCPRIM_400000_NS6detail17trampoline_kernelINS0_14default_configENS1_29reduce_by_key_config_selectorIjyN6thrust23THRUST_200600_302600_NS4plusIyEEEEZZNS1_33reduce_by_key_impl_wrapped_configILNS1_25lookback_scan_determinismE0ES3_S9_NS6_6detail15normal_iteratorINS6_10device_ptrIjEEEENSD_INSE_IyEEEENS6_16discard_iteratorINS6_11use_defaultEEESI_PmS8_NS6_8equal_toIjEEEE10hipError_tPvRmT2_T3_mT4_T5_T6_T7_T8_P12ihipStream_tbENKUlT_T0_E_clISt17integral_constantIbLb0EES15_IbLb1EEEEDaS11_S12_EUlS11_E_NS1_11comp_targetILNS1_3genE9ELNS1_11target_archE1100ELNS1_3gpuE3ELNS1_3repE0EEENS1_30default_config_static_selectorELNS0_4arch9wavefront6targetE1EEEvT1_
		.amdhsa_group_segment_fixed_size 0
		.amdhsa_private_segment_fixed_size 0
		.amdhsa_kernarg_size 144
		.amdhsa_user_sgpr_count 6
		.amdhsa_user_sgpr_private_segment_buffer 1
		.amdhsa_user_sgpr_dispatch_ptr 0
		.amdhsa_user_sgpr_queue_ptr 0
		.amdhsa_user_sgpr_kernarg_segment_ptr 1
		.amdhsa_user_sgpr_dispatch_id 0
		.amdhsa_user_sgpr_flat_scratch_init 0
		.amdhsa_user_sgpr_kernarg_preload_length 0
		.amdhsa_user_sgpr_kernarg_preload_offset 0
		.amdhsa_user_sgpr_private_segment_size 0
		.amdhsa_uses_dynamic_stack 0
		.amdhsa_system_sgpr_private_segment_wavefront_offset 0
		.amdhsa_system_sgpr_workgroup_id_x 1
		.amdhsa_system_sgpr_workgroup_id_y 0
		.amdhsa_system_sgpr_workgroup_id_z 0
		.amdhsa_system_sgpr_workgroup_info 0
		.amdhsa_system_vgpr_workitem_id 0
		.amdhsa_next_free_vgpr 1
		.amdhsa_next_free_sgpr 0
		.amdhsa_accum_offset 4
		.amdhsa_reserve_vcc 0
		.amdhsa_reserve_flat_scratch 0
		.amdhsa_float_round_mode_32 0
		.amdhsa_float_round_mode_16_64 0
		.amdhsa_float_denorm_mode_32 3
		.amdhsa_float_denorm_mode_16_64 3
		.amdhsa_dx10_clamp 1
		.amdhsa_ieee_mode 1
		.amdhsa_fp16_overflow 0
		.amdhsa_tg_split 0
		.amdhsa_exception_fp_ieee_invalid_op 0
		.amdhsa_exception_fp_denorm_src 0
		.amdhsa_exception_fp_ieee_div_zero 0
		.amdhsa_exception_fp_ieee_overflow 0
		.amdhsa_exception_fp_ieee_underflow 0
		.amdhsa_exception_fp_ieee_inexact 0
		.amdhsa_exception_int_div_zero 0
	.end_amdhsa_kernel
	.section	.text._ZN7rocprim17ROCPRIM_400000_NS6detail17trampoline_kernelINS0_14default_configENS1_29reduce_by_key_config_selectorIjyN6thrust23THRUST_200600_302600_NS4plusIyEEEEZZNS1_33reduce_by_key_impl_wrapped_configILNS1_25lookback_scan_determinismE0ES3_S9_NS6_6detail15normal_iteratorINS6_10device_ptrIjEEEENSD_INSE_IyEEEENS6_16discard_iteratorINS6_11use_defaultEEESI_PmS8_NS6_8equal_toIjEEEE10hipError_tPvRmT2_T3_mT4_T5_T6_T7_T8_P12ihipStream_tbENKUlT_T0_E_clISt17integral_constantIbLb0EES15_IbLb1EEEEDaS11_S12_EUlS11_E_NS1_11comp_targetILNS1_3genE9ELNS1_11target_archE1100ELNS1_3gpuE3ELNS1_3repE0EEENS1_30default_config_static_selectorELNS0_4arch9wavefront6targetE1EEEvT1_,"axG",@progbits,_ZN7rocprim17ROCPRIM_400000_NS6detail17trampoline_kernelINS0_14default_configENS1_29reduce_by_key_config_selectorIjyN6thrust23THRUST_200600_302600_NS4plusIyEEEEZZNS1_33reduce_by_key_impl_wrapped_configILNS1_25lookback_scan_determinismE0ES3_S9_NS6_6detail15normal_iteratorINS6_10device_ptrIjEEEENSD_INSE_IyEEEENS6_16discard_iteratorINS6_11use_defaultEEESI_PmS8_NS6_8equal_toIjEEEE10hipError_tPvRmT2_T3_mT4_T5_T6_T7_T8_P12ihipStream_tbENKUlT_T0_E_clISt17integral_constantIbLb0EES15_IbLb1EEEEDaS11_S12_EUlS11_E_NS1_11comp_targetILNS1_3genE9ELNS1_11target_archE1100ELNS1_3gpuE3ELNS1_3repE0EEENS1_30default_config_static_selectorELNS0_4arch9wavefront6targetE1EEEvT1_,comdat
.Lfunc_end911:
	.size	_ZN7rocprim17ROCPRIM_400000_NS6detail17trampoline_kernelINS0_14default_configENS1_29reduce_by_key_config_selectorIjyN6thrust23THRUST_200600_302600_NS4plusIyEEEEZZNS1_33reduce_by_key_impl_wrapped_configILNS1_25lookback_scan_determinismE0ES3_S9_NS6_6detail15normal_iteratorINS6_10device_ptrIjEEEENSD_INSE_IyEEEENS6_16discard_iteratorINS6_11use_defaultEEESI_PmS8_NS6_8equal_toIjEEEE10hipError_tPvRmT2_T3_mT4_T5_T6_T7_T8_P12ihipStream_tbENKUlT_T0_E_clISt17integral_constantIbLb0EES15_IbLb1EEEEDaS11_S12_EUlS11_E_NS1_11comp_targetILNS1_3genE9ELNS1_11target_archE1100ELNS1_3gpuE3ELNS1_3repE0EEENS1_30default_config_static_selectorELNS0_4arch9wavefront6targetE1EEEvT1_, .Lfunc_end911-_ZN7rocprim17ROCPRIM_400000_NS6detail17trampoline_kernelINS0_14default_configENS1_29reduce_by_key_config_selectorIjyN6thrust23THRUST_200600_302600_NS4plusIyEEEEZZNS1_33reduce_by_key_impl_wrapped_configILNS1_25lookback_scan_determinismE0ES3_S9_NS6_6detail15normal_iteratorINS6_10device_ptrIjEEEENSD_INSE_IyEEEENS6_16discard_iteratorINS6_11use_defaultEEESI_PmS8_NS6_8equal_toIjEEEE10hipError_tPvRmT2_T3_mT4_T5_T6_T7_T8_P12ihipStream_tbENKUlT_T0_E_clISt17integral_constantIbLb0EES15_IbLb1EEEEDaS11_S12_EUlS11_E_NS1_11comp_targetILNS1_3genE9ELNS1_11target_archE1100ELNS1_3gpuE3ELNS1_3repE0EEENS1_30default_config_static_selectorELNS0_4arch9wavefront6targetE1EEEvT1_
                                        ; -- End function
	.section	.AMDGPU.csdata,"",@progbits
; Kernel info:
; codeLenInByte = 0
; NumSgprs: 4
; NumVgprs: 0
; NumAgprs: 0
; TotalNumVgprs: 0
; ScratchSize: 0
; MemoryBound: 0
; FloatMode: 240
; IeeeMode: 1
; LDSByteSize: 0 bytes/workgroup (compile time only)
; SGPRBlocks: 0
; VGPRBlocks: 0
; NumSGPRsForWavesPerEU: 4
; NumVGPRsForWavesPerEU: 1
; AccumOffset: 4
; Occupancy: 8
; WaveLimiterHint : 0
; COMPUTE_PGM_RSRC2:SCRATCH_EN: 0
; COMPUTE_PGM_RSRC2:USER_SGPR: 6
; COMPUTE_PGM_RSRC2:TRAP_HANDLER: 0
; COMPUTE_PGM_RSRC2:TGID_X_EN: 1
; COMPUTE_PGM_RSRC2:TGID_Y_EN: 0
; COMPUTE_PGM_RSRC2:TGID_Z_EN: 0
; COMPUTE_PGM_RSRC2:TIDIG_COMP_CNT: 0
; COMPUTE_PGM_RSRC3_GFX90A:ACCUM_OFFSET: 0
; COMPUTE_PGM_RSRC3_GFX90A:TG_SPLIT: 0
	.section	.text._ZN7rocprim17ROCPRIM_400000_NS6detail17trampoline_kernelINS0_14default_configENS1_29reduce_by_key_config_selectorIjyN6thrust23THRUST_200600_302600_NS4plusIyEEEEZZNS1_33reduce_by_key_impl_wrapped_configILNS1_25lookback_scan_determinismE0ES3_S9_NS6_6detail15normal_iteratorINS6_10device_ptrIjEEEENSD_INSE_IyEEEENS6_16discard_iteratorINS6_11use_defaultEEESI_PmS8_NS6_8equal_toIjEEEE10hipError_tPvRmT2_T3_mT4_T5_T6_T7_T8_P12ihipStream_tbENKUlT_T0_E_clISt17integral_constantIbLb0EES15_IbLb1EEEEDaS11_S12_EUlS11_E_NS1_11comp_targetILNS1_3genE8ELNS1_11target_archE1030ELNS1_3gpuE2ELNS1_3repE0EEENS1_30default_config_static_selectorELNS0_4arch9wavefront6targetE1EEEvT1_,"axG",@progbits,_ZN7rocprim17ROCPRIM_400000_NS6detail17trampoline_kernelINS0_14default_configENS1_29reduce_by_key_config_selectorIjyN6thrust23THRUST_200600_302600_NS4plusIyEEEEZZNS1_33reduce_by_key_impl_wrapped_configILNS1_25lookback_scan_determinismE0ES3_S9_NS6_6detail15normal_iteratorINS6_10device_ptrIjEEEENSD_INSE_IyEEEENS6_16discard_iteratorINS6_11use_defaultEEESI_PmS8_NS6_8equal_toIjEEEE10hipError_tPvRmT2_T3_mT4_T5_T6_T7_T8_P12ihipStream_tbENKUlT_T0_E_clISt17integral_constantIbLb0EES15_IbLb1EEEEDaS11_S12_EUlS11_E_NS1_11comp_targetILNS1_3genE8ELNS1_11target_archE1030ELNS1_3gpuE2ELNS1_3repE0EEENS1_30default_config_static_selectorELNS0_4arch9wavefront6targetE1EEEvT1_,comdat
	.protected	_ZN7rocprim17ROCPRIM_400000_NS6detail17trampoline_kernelINS0_14default_configENS1_29reduce_by_key_config_selectorIjyN6thrust23THRUST_200600_302600_NS4plusIyEEEEZZNS1_33reduce_by_key_impl_wrapped_configILNS1_25lookback_scan_determinismE0ES3_S9_NS6_6detail15normal_iteratorINS6_10device_ptrIjEEEENSD_INSE_IyEEEENS6_16discard_iteratorINS6_11use_defaultEEESI_PmS8_NS6_8equal_toIjEEEE10hipError_tPvRmT2_T3_mT4_T5_T6_T7_T8_P12ihipStream_tbENKUlT_T0_E_clISt17integral_constantIbLb0EES15_IbLb1EEEEDaS11_S12_EUlS11_E_NS1_11comp_targetILNS1_3genE8ELNS1_11target_archE1030ELNS1_3gpuE2ELNS1_3repE0EEENS1_30default_config_static_selectorELNS0_4arch9wavefront6targetE1EEEvT1_ ; -- Begin function _ZN7rocprim17ROCPRIM_400000_NS6detail17trampoline_kernelINS0_14default_configENS1_29reduce_by_key_config_selectorIjyN6thrust23THRUST_200600_302600_NS4plusIyEEEEZZNS1_33reduce_by_key_impl_wrapped_configILNS1_25lookback_scan_determinismE0ES3_S9_NS6_6detail15normal_iteratorINS6_10device_ptrIjEEEENSD_INSE_IyEEEENS6_16discard_iteratorINS6_11use_defaultEEESI_PmS8_NS6_8equal_toIjEEEE10hipError_tPvRmT2_T3_mT4_T5_T6_T7_T8_P12ihipStream_tbENKUlT_T0_E_clISt17integral_constantIbLb0EES15_IbLb1EEEEDaS11_S12_EUlS11_E_NS1_11comp_targetILNS1_3genE8ELNS1_11target_archE1030ELNS1_3gpuE2ELNS1_3repE0EEENS1_30default_config_static_selectorELNS0_4arch9wavefront6targetE1EEEvT1_
	.globl	_ZN7rocprim17ROCPRIM_400000_NS6detail17trampoline_kernelINS0_14default_configENS1_29reduce_by_key_config_selectorIjyN6thrust23THRUST_200600_302600_NS4plusIyEEEEZZNS1_33reduce_by_key_impl_wrapped_configILNS1_25lookback_scan_determinismE0ES3_S9_NS6_6detail15normal_iteratorINS6_10device_ptrIjEEEENSD_INSE_IyEEEENS6_16discard_iteratorINS6_11use_defaultEEESI_PmS8_NS6_8equal_toIjEEEE10hipError_tPvRmT2_T3_mT4_T5_T6_T7_T8_P12ihipStream_tbENKUlT_T0_E_clISt17integral_constantIbLb0EES15_IbLb1EEEEDaS11_S12_EUlS11_E_NS1_11comp_targetILNS1_3genE8ELNS1_11target_archE1030ELNS1_3gpuE2ELNS1_3repE0EEENS1_30default_config_static_selectorELNS0_4arch9wavefront6targetE1EEEvT1_
	.p2align	8
	.type	_ZN7rocprim17ROCPRIM_400000_NS6detail17trampoline_kernelINS0_14default_configENS1_29reduce_by_key_config_selectorIjyN6thrust23THRUST_200600_302600_NS4plusIyEEEEZZNS1_33reduce_by_key_impl_wrapped_configILNS1_25lookback_scan_determinismE0ES3_S9_NS6_6detail15normal_iteratorINS6_10device_ptrIjEEEENSD_INSE_IyEEEENS6_16discard_iteratorINS6_11use_defaultEEESI_PmS8_NS6_8equal_toIjEEEE10hipError_tPvRmT2_T3_mT4_T5_T6_T7_T8_P12ihipStream_tbENKUlT_T0_E_clISt17integral_constantIbLb0EES15_IbLb1EEEEDaS11_S12_EUlS11_E_NS1_11comp_targetILNS1_3genE8ELNS1_11target_archE1030ELNS1_3gpuE2ELNS1_3repE0EEENS1_30default_config_static_selectorELNS0_4arch9wavefront6targetE1EEEvT1_,@function
_ZN7rocprim17ROCPRIM_400000_NS6detail17trampoline_kernelINS0_14default_configENS1_29reduce_by_key_config_selectorIjyN6thrust23THRUST_200600_302600_NS4plusIyEEEEZZNS1_33reduce_by_key_impl_wrapped_configILNS1_25lookback_scan_determinismE0ES3_S9_NS6_6detail15normal_iteratorINS6_10device_ptrIjEEEENSD_INSE_IyEEEENS6_16discard_iteratorINS6_11use_defaultEEESI_PmS8_NS6_8equal_toIjEEEE10hipError_tPvRmT2_T3_mT4_T5_T6_T7_T8_P12ihipStream_tbENKUlT_T0_E_clISt17integral_constantIbLb0EES15_IbLb1EEEEDaS11_S12_EUlS11_E_NS1_11comp_targetILNS1_3genE8ELNS1_11target_archE1030ELNS1_3gpuE2ELNS1_3repE0EEENS1_30default_config_static_selectorELNS0_4arch9wavefront6targetE1EEEvT1_: ; @_ZN7rocprim17ROCPRIM_400000_NS6detail17trampoline_kernelINS0_14default_configENS1_29reduce_by_key_config_selectorIjyN6thrust23THRUST_200600_302600_NS4plusIyEEEEZZNS1_33reduce_by_key_impl_wrapped_configILNS1_25lookback_scan_determinismE0ES3_S9_NS6_6detail15normal_iteratorINS6_10device_ptrIjEEEENSD_INSE_IyEEEENS6_16discard_iteratorINS6_11use_defaultEEESI_PmS8_NS6_8equal_toIjEEEE10hipError_tPvRmT2_T3_mT4_T5_T6_T7_T8_P12ihipStream_tbENKUlT_T0_E_clISt17integral_constantIbLb0EES15_IbLb1EEEEDaS11_S12_EUlS11_E_NS1_11comp_targetILNS1_3genE8ELNS1_11target_archE1030ELNS1_3gpuE2ELNS1_3repE0EEENS1_30default_config_static_selectorELNS0_4arch9wavefront6targetE1EEEvT1_
; %bb.0:
	.section	.rodata,"a",@progbits
	.p2align	6, 0x0
	.amdhsa_kernel _ZN7rocprim17ROCPRIM_400000_NS6detail17trampoline_kernelINS0_14default_configENS1_29reduce_by_key_config_selectorIjyN6thrust23THRUST_200600_302600_NS4plusIyEEEEZZNS1_33reduce_by_key_impl_wrapped_configILNS1_25lookback_scan_determinismE0ES3_S9_NS6_6detail15normal_iteratorINS6_10device_ptrIjEEEENSD_INSE_IyEEEENS6_16discard_iteratorINS6_11use_defaultEEESI_PmS8_NS6_8equal_toIjEEEE10hipError_tPvRmT2_T3_mT4_T5_T6_T7_T8_P12ihipStream_tbENKUlT_T0_E_clISt17integral_constantIbLb0EES15_IbLb1EEEEDaS11_S12_EUlS11_E_NS1_11comp_targetILNS1_3genE8ELNS1_11target_archE1030ELNS1_3gpuE2ELNS1_3repE0EEENS1_30default_config_static_selectorELNS0_4arch9wavefront6targetE1EEEvT1_
		.amdhsa_group_segment_fixed_size 0
		.amdhsa_private_segment_fixed_size 0
		.amdhsa_kernarg_size 144
		.amdhsa_user_sgpr_count 6
		.amdhsa_user_sgpr_private_segment_buffer 1
		.amdhsa_user_sgpr_dispatch_ptr 0
		.amdhsa_user_sgpr_queue_ptr 0
		.amdhsa_user_sgpr_kernarg_segment_ptr 1
		.amdhsa_user_sgpr_dispatch_id 0
		.amdhsa_user_sgpr_flat_scratch_init 0
		.amdhsa_user_sgpr_kernarg_preload_length 0
		.amdhsa_user_sgpr_kernarg_preload_offset 0
		.amdhsa_user_sgpr_private_segment_size 0
		.amdhsa_uses_dynamic_stack 0
		.amdhsa_system_sgpr_private_segment_wavefront_offset 0
		.amdhsa_system_sgpr_workgroup_id_x 1
		.amdhsa_system_sgpr_workgroup_id_y 0
		.amdhsa_system_sgpr_workgroup_id_z 0
		.amdhsa_system_sgpr_workgroup_info 0
		.amdhsa_system_vgpr_workitem_id 0
		.amdhsa_next_free_vgpr 1
		.amdhsa_next_free_sgpr 0
		.amdhsa_accum_offset 4
		.amdhsa_reserve_vcc 0
		.amdhsa_reserve_flat_scratch 0
		.amdhsa_float_round_mode_32 0
		.amdhsa_float_round_mode_16_64 0
		.amdhsa_float_denorm_mode_32 3
		.amdhsa_float_denorm_mode_16_64 3
		.amdhsa_dx10_clamp 1
		.amdhsa_ieee_mode 1
		.amdhsa_fp16_overflow 0
		.amdhsa_tg_split 0
		.amdhsa_exception_fp_ieee_invalid_op 0
		.amdhsa_exception_fp_denorm_src 0
		.amdhsa_exception_fp_ieee_div_zero 0
		.amdhsa_exception_fp_ieee_overflow 0
		.amdhsa_exception_fp_ieee_underflow 0
		.amdhsa_exception_fp_ieee_inexact 0
		.amdhsa_exception_int_div_zero 0
	.end_amdhsa_kernel
	.section	.text._ZN7rocprim17ROCPRIM_400000_NS6detail17trampoline_kernelINS0_14default_configENS1_29reduce_by_key_config_selectorIjyN6thrust23THRUST_200600_302600_NS4plusIyEEEEZZNS1_33reduce_by_key_impl_wrapped_configILNS1_25lookback_scan_determinismE0ES3_S9_NS6_6detail15normal_iteratorINS6_10device_ptrIjEEEENSD_INSE_IyEEEENS6_16discard_iteratorINS6_11use_defaultEEESI_PmS8_NS6_8equal_toIjEEEE10hipError_tPvRmT2_T3_mT4_T5_T6_T7_T8_P12ihipStream_tbENKUlT_T0_E_clISt17integral_constantIbLb0EES15_IbLb1EEEEDaS11_S12_EUlS11_E_NS1_11comp_targetILNS1_3genE8ELNS1_11target_archE1030ELNS1_3gpuE2ELNS1_3repE0EEENS1_30default_config_static_selectorELNS0_4arch9wavefront6targetE1EEEvT1_,"axG",@progbits,_ZN7rocprim17ROCPRIM_400000_NS6detail17trampoline_kernelINS0_14default_configENS1_29reduce_by_key_config_selectorIjyN6thrust23THRUST_200600_302600_NS4plusIyEEEEZZNS1_33reduce_by_key_impl_wrapped_configILNS1_25lookback_scan_determinismE0ES3_S9_NS6_6detail15normal_iteratorINS6_10device_ptrIjEEEENSD_INSE_IyEEEENS6_16discard_iteratorINS6_11use_defaultEEESI_PmS8_NS6_8equal_toIjEEEE10hipError_tPvRmT2_T3_mT4_T5_T6_T7_T8_P12ihipStream_tbENKUlT_T0_E_clISt17integral_constantIbLb0EES15_IbLb1EEEEDaS11_S12_EUlS11_E_NS1_11comp_targetILNS1_3genE8ELNS1_11target_archE1030ELNS1_3gpuE2ELNS1_3repE0EEENS1_30default_config_static_selectorELNS0_4arch9wavefront6targetE1EEEvT1_,comdat
.Lfunc_end912:
	.size	_ZN7rocprim17ROCPRIM_400000_NS6detail17trampoline_kernelINS0_14default_configENS1_29reduce_by_key_config_selectorIjyN6thrust23THRUST_200600_302600_NS4plusIyEEEEZZNS1_33reduce_by_key_impl_wrapped_configILNS1_25lookback_scan_determinismE0ES3_S9_NS6_6detail15normal_iteratorINS6_10device_ptrIjEEEENSD_INSE_IyEEEENS6_16discard_iteratorINS6_11use_defaultEEESI_PmS8_NS6_8equal_toIjEEEE10hipError_tPvRmT2_T3_mT4_T5_T6_T7_T8_P12ihipStream_tbENKUlT_T0_E_clISt17integral_constantIbLb0EES15_IbLb1EEEEDaS11_S12_EUlS11_E_NS1_11comp_targetILNS1_3genE8ELNS1_11target_archE1030ELNS1_3gpuE2ELNS1_3repE0EEENS1_30default_config_static_selectorELNS0_4arch9wavefront6targetE1EEEvT1_, .Lfunc_end912-_ZN7rocprim17ROCPRIM_400000_NS6detail17trampoline_kernelINS0_14default_configENS1_29reduce_by_key_config_selectorIjyN6thrust23THRUST_200600_302600_NS4plusIyEEEEZZNS1_33reduce_by_key_impl_wrapped_configILNS1_25lookback_scan_determinismE0ES3_S9_NS6_6detail15normal_iteratorINS6_10device_ptrIjEEEENSD_INSE_IyEEEENS6_16discard_iteratorINS6_11use_defaultEEESI_PmS8_NS6_8equal_toIjEEEE10hipError_tPvRmT2_T3_mT4_T5_T6_T7_T8_P12ihipStream_tbENKUlT_T0_E_clISt17integral_constantIbLb0EES15_IbLb1EEEEDaS11_S12_EUlS11_E_NS1_11comp_targetILNS1_3genE8ELNS1_11target_archE1030ELNS1_3gpuE2ELNS1_3repE0EEENS1_30default_config_static_selectorELNS0_4arch9wavefront6targetE1EEEvT1_
                                        ; -- End function
	.section	.AMDGPU.csdata,"",@progbits
; Kernel info:
; codeLenInByte = 0
; NumSgprs: 4
; NumVgprs: 0
; NumAgprs: 0
; TotalNumVgprs: 0
; ScratchSize: 0
; MemoryBound: 0
; FloatMode: 240
; IeeeMode: 1
; LDSByteSize: 0 bytes/workgroup (compile time only)
; SGPRBlocks: 0
; VGPRBlocks: 0
; NumSGPRsForWavesPerEU: 4
; NumVGPRsForWavesPerEU: 1
; AccumOffset: 4
; Occupancy: 8
; WaveLimiterHint : 0
; COMPUTE_PGM_RSRC2:SCRATCH_EN: 0
; COMPUTE_PGM_RSRC2:USER_SGPR: 6
; COMPUTE_PGM_RSRC2:TRAP_HANDLER: 0
; COMPUTE_PGM_RSRC2:TGID_X_EN: 1
; COMPUTE_PGM_RSRC2:TGID_Y_EN: 0
; COMPUTE_PGM_RSRC2:TGID_Z_EN: 0
; COMPUTE_PGM_RSRC2:TIDIG_COMP_CNT: 0
; COMPUTE_PGM_RSRC3_GFX90A:ACCUM_OFFSET: 0
; COMPUTE_PGM_RSRC3_GFX90A:TG_SPLIT: 0
	.section	.text._ZN7rocprim17ROCPRIM_400000_NS6detail17trampoline_kernelINS0_14default_configENS1_29reduce_by_key_config_selectorIjjN6thrust23THRUST_200600_302600_NS4plusIjEEEEZZNS1_33reduce_by_key_impl_wrapped_configILNS1_25lookback_scan_determinismE0ES3_S9_NS6_6detail15normal_iteratorINS6_10device_ptrIjEEEESG_NS6_16discard_iteratorINS6_11use_defaultEEESG_PmS8_NS6_8equal_toIjEEEE10hipError_tPvRmT2_T3_mT4_T5_T6_T7_T8_P12ihipStream_tbENKUlT_T0_E_clISt17integral_constantIbLb0EES14_EEDaSZ_S10_EUlSZ_E_NS1_11comp_targetILNS1_3genE0ELNS1_11target_archE4294967295ELNS1_3gpuE0ELNS1_3repE0EEENS1_30default_config_static_selectorELNS0_4arch9wavefront6targetE1EEEvT1_,"axG",@progbits,_ZN7rocprim17ROCPRIM_400000_NS6detail17trampoline_kernelINS0_14default_configENS1_29reduce_by_key_config_selectorIjjN6thrust23THRUST_200600_302600_NS4plusIjEEEEZZNS1_33reduce_by_key_impl_wrapped_configILNS1_25lookback_scan_determinismE0ES3_S9_NS6_6detail15normal_iteratorINS6_10device_ptrIjEEEESG_NS6_16discard_iteratorINS6_11use_defaultEEESG_PmS8_NS6_8equal_toIjEEEE10hipError_tPvRmT2_T3_mT4_T5_T6_T7_T8_P12ihipStream_tbENKUlT_T0_E_clISt17integral_constantIbLb0EES14_EEDaSZ_S10_EUlSZ_E_NS1_11comp_targetILNS1_3genE0ELNS1_11target_archE4294967295ELNS1_3gpuE0ELNS1_3repE0EEENS1_30default_config_static_selectorELNS0_4arch9wavefront6targetE1EEEvT1_,comdat
	.protected	_ZN7rocprim17ROCPRIM_400000_NS6detail17trampoline_kernelINS0_14default_configENS1_29reduce_by_key_config_selectorIjjN6thrust23THRUST_200600_302600_NS4plusIjEEEEZZNS1_33reduce_by_key_impl_wrapped_configILNS1_25lookback_scan_determinismE0ES3_S9_NS6_6detail15normal_iteratorINS6_10device_ptrIjEEEESG_NS6_16discard_iteratorINS6_11use_defaultEEESG_PmS8_NS6_8equal_toIjEEEE10hipError_tPvRmT2_T3_mT4_T5_T6_T7_T8_P12ihipStream_tbENKUlT_T0_E_clISt17integral_constantIbLb0EES14_EEDaSZ_S10_EUlSZ_E_NS1_11comp_targetILNS1_3genE0ELNS1_11target_archE4294967295ELNS1_3gpuE0ELNS1_3repE0EEENS1_30default_config_static_selectorELNS0_4arch9wavefront6targetE1EEEvT1_ ; -- Begin function _ZN7rocprim17ROCPRIM_400000_NS6detail17trampoline_kernelINS0_14default_configENS1_29reduce_by_key_config_selectorIjjN6thrust23THRUST_200600_302600_NS4plusIjEEEEZZNS1_33reduce_by_key_impl_wrapped_configILNS1_25lookback_scan_determinismE0ES3_S9_NS6_6detail15normal_iteratorINS6_10device_ptrIjEEEESG_NS6_16discard_iteratorINS6_11use_defaultEEESG_PmS8_NS6_8equal_toIjEEEE10hipError_tPvRmT2_T3_mT4_T5_T6_T7_T8_P12ihipStream_tbENKUlT_T0_E_clISt17integral_constantIbLb0EES14_EEDaSZ_S10_EUlSZ_E_NS1_11comp_targetILNS1_3genE0ELNS1_11target_archE4294967295ELNS1_3gpuE0ELNS1_3repE0EEENS1_30default_config_static_selectorELNS0_4arch9wavefront6targetE1EEEvT1_
	.globl	_ZN7rocprim17ROCPRIM_400000_NS6detail17trampoline_kernelINS0_14default_configENS1_29reduce_by_key_config_selectorIjjN6thrust23THRUST_200600_302600_NS4plusIjEEEEZZNS1_33reduce_by_key_impl_wrapped_configILNS1_25lookback_scan_determinismE0ES3_S9_NS6_6detail15normal_iteratorINS6_10device_ptrIjEEEESG_NS6_16discard_iteratorINS6_11use_defaultEEESG_PmS8_NS6_8equal_toIjEEEE10hipError_tPvRmT2_T3_mT4_T5_T6_T7_T8_P12ihipStream_tbENKUlT_T0_E_clISt17integral_constantIbLb0EES14_EEDaSZ_S10_EUlSZ_E_NS1_11comp_targetILNS1_3genE0ELNS1_11target_archE4294967295ELNS1_3gpuE0ELNS1_3repE0EEENS1_30default_config_static_selectorELNS0_4arch9wavefront6targetE1EEEvT1_
	.p2align	8
	.type	_ZN7rocprim17ROCPRIM_400000_NS6detail17trampoline_kernelINS0_14default_configENS1_29reduce_by_key_config_selectorIjjN6thrust23THRUST_200600_302600_NS4plusIjEEEEZZNS1_33reduce_by_key_impl_wrapped_configILNS1_25lookback_scan_determinismE0ES3_S9_NS6_6detail15normal_iteratorINS6_10device_ptrIjEEEESG_NS6_16discard_iteratorINS6_11use_defaultEEESG_PmS8_NS6_8equal_toIjEEEE10hipError_tPvRmT2_T3_mT4_T5_T6_T7_T8_P12ihipStream_tbENKUlT_T0_E_clISt17integral_constantIbLb0EES14_EEDaSZ_S10_EUlSZ_E_NS1_11comp_targetILNS1_3genE0ELNS1_11target_archE4294967295ELNS1_3gpuE0ELNS1_3repE0EEENS1_30default_config_static_selectorELNS0_4arch9wavefront6targetE1EEEvT1_,@function
_ZN7rocprim17ROCPRIM_400000_NS6detail17trampoline_kernelINS0_14default_configENS1_29reduce_by_key_config_selectorIjjN6thrust23THRUST_200600_302600_NS4plusIjEEEEZZNS1_33reduce_by_key_impl_wrapped_configILNS1_25lookback_scan_determinismE0ES3_S9_NS6_6detail15normal_iteratorINS6_10device_ptrIjEEEESG_NS6_16discard_iteratorINS6_11use_defaultEEESG_PmS8_NS6_8equal_toIjEEEE10hipError_tPvRmT2_T3_mT4_T5_T6_T7_T8_P12ihipStream_tbENKUlT_T0_E_clISt17integral_constantIbLb0EES14_EEDaSZ_S10_EUlSZ_E_NS1_11comp_targetILNS1_3genE0ELNS1_11target_archE4294967295ELNS1_3gpuE0ELNS1_3repE0EEENS1_30default_config_static_selectorELNS0_4arch9wavefront6targetE1EEEvT1_: ; @_ZN7rocprim17ROCPRIM_400000_NS6detail17trampoline_kernelINS0_14default_configENS1_29reduce_by_key_config_selectorIjjN6thrust23THRUST_200600_302600_NS4plusIjEEEEZZNS1_33reduce_by_key_impl_wrapped_configILNS1_25lookback_scan_determinismE0ES3_S9_NS6_6detail15normal_iteratorINS6_10device_ptrIjEEEESG_NS6_16discard_iteratorINS6_11use_defaultEEESG_PmS8_NS6_8equal_toIjEEEE10hipError_tPvRmT2_T3_mT4_T5_T6_T7_T8_P12ihipStream_tbENKUlT_T0_E_clISt17integral_constantIbLb0EES14_EEDaSZ_S10_EUlSZ_E_NS1_11comp_targetILNS1_3genE0ELNS1_11target_archE4294967295ELNS1_3gpuE0ELNS1_3repE0EEENS1_30default_config_static_selectorELNS0_4arch9wavefront6targetE1EEEvT1_
; %bb.0:
	.section	.rodata,"a",@progbits
	.p2align	6, 0x0
	.amdhsa_kernel _ZN7rocprim17ROCPRIM_400000_NS6detail17trampoline_kernelINS0_14default_configENS1_29reduce_by_key_config_selectorIjjN6thrust23THRUST_200600_302600_NS4plusIjEEEEZZNS1_33reduce_by_key_impl_wrapped_configILNS1_25lookback_scan_determinismE0ES3_S9_NS6_6detail15normal_iteratorINS6_10device_ptrIjEEEESG_NS6_16discard_iteratorINS6_11use_defaultEEESG_PmS8_NS6_8equal_toIjEEEE10hipError_tPvRmT2_T3_mT4_T5_T6_T7_T8_P12ihipStream_tbENKUlT_T0_E_clISt17integral_constantIbLb0EES14_EEDaSZ_S10_EUlSZ_E_NS1_11comp_targetILNS1_3genE0ELNS1_11target_archE4294967295ELNS1_3gpuE0ELNS1_3repE0EEENS1_30default_config_static_selectorELNS0_4arch9wavefront6targetE1EEEvT1_
		.amdhsa_group_segment_fixed_size 0
		.amdhsa_private_segment_fixed_size 0
		.amdhsa_kernarg_size 128
		.amdhsa_user_sgpr_count 6
		.amdhsa_user_sgpr_private_segment_buffer 1
		.amdhsa_user_sgpr_dispatch_ptr 0
		.amdhsa_user_sgpr_queue_ptr 0
		.amdhsa_user_sgpr_kernarg_segment_ptr 1
		.amdhsa_user_sgpr_dispatch_id 0
		.amdhsa_user_sgpr_flat_scratch_init 0
		.amdhsa_user_sgpr_kernarg_preload_length 0
		.amdhsa_user_sgpr_kernarg_preload_offset 0
		.amdhsa_user_sgpr_private_segment_size 0
		.amdhsa_uses_dynamic_stack 0
		.amdhsa_system_sgpr_private_segment_wavefront_offset 0
		.amdhsa_system_sgpr_workgroup_id_x 1
		.amdhsa_system_sgpr_workgroup_id_y 0
		.amdhsa_system_sgpr_workgroup_id_z 0
		.amdhsa_system_sgpr_workgroup_info 0
		.amdhsa_system_vgpr_workitem_id 0
		.amdhsa_next_free_vgpr 1
		.amdhsa_next_free_sgpr 0
		.amdhsa_accum_offset 4
		.amdhsa_reserve_vcc 0
		.amdhsa_reserve_flat_scratch 0
		.amdhsa_float_round_mode_32 0
		.amdhsa_float_round_mode_16_64 0
		.amdhsa_float_denorm_mode_32 3
		.amdhsa_float_denorm_mode_16_64 3
		.amdhsa_dx10_clamp 1
		.amdhsa_ieee_mode 1
		.amdhsa_fp16_overflow 0
		.amdhsa_tg_split 0
		.amdhsa_exception_fp_ieee_invalid_op 0
		.amdhsa_exception_fp_denorm_src 0
		.amdhsa_exception_fp_ieee_div_zero 0
		.amdhsa_exception_fp_ieee_overflow 0
		.amdhsa_exception_fp_ieee_underflow 0
		.amdhsa_exception_fp_ieee_inexact 0
		.amdhsa_exception_int_div_zero 0
	.end_amdhsa_kernel
	.section	.text._ZN7rocprim17ROCPRIM_400000_NS6detail17trampoline_kernelINS0_14default_configENS1_29reduce_by_key_config_selectorIjjN6thrust23THRUST_200600_302600_NS4plusIjEEEEZZNS1_33reduce_by_key_impl_wrapped_configILNS1_25lookback_scan_determinismE0ES3_S9_NS6_6detail15normal_iteratorINS6_10device_ptrIjEEEESG_NS6_16discard_iteratorINS6_11use_defaultEEESG_PmS8_NS6_8equal_toIjEEEE10hipError_tPvRmT2_T3_mT4_T5_T6_T7_T8_P12ihipStream_tbENKUlT_T0_E_clISt17integral_constantIbLb0EES14_EEDaSZ_S10_EUlSZ_E_NS1_11comp_targetILNS1_3genE0ELNS1_11target_archE4294967295ELNS1_3gpuE0ELNS1_3repE0EEENS1_30default_config_static_selectorELNS0_4arch9wavefront6targetE1EEEvT1_,"axG",@progbits,_ZN7rocprim17ROCPRIM_400000_NS6detail17trampoline_kernelINS0_14default_configENS1_29reduce_by_key_config_selectorIjjN6thrust23THRUST_200600_302600_NS4plusIjEEEEZZNS1_33reduce_by_key_impl_wrapped_configILNS1_25lookback_scan_determinismE0ES3_S9_NS6_6detail15normal_iteratorINS6_10device_ptrIjEEEESG_NS6_16discard_iteratorINS6_11use_defaultEEESG_PmS8_NS6_8equal_toIjEEEE10hipError_tPvRmT2_T3_mT4_T5_T6_T7_T8_P12ihipStream_tbENKUlT_T0_E_clISt17integral_constantIbLb0EES14_EEDaSZ_S10_EUlSZ_E_NS1_11comp_targetILNS1_3genE0ELNS1_11target_archE4294967295ELNS1_3gpuE0ELNS1_3repE0EEENS1_30default_config_static_selectorELNS0_4arch9wavefront6targetE1EEEvT1_,comdat
.Lfunc_end913:
	.size	_ZN7rocprim17ROCPRIM_400000_NS6detail17trampoline_kernelINS0_14default_configENS1_29reduce_by_key_config_selectorIjjN6thrust23THRUST_200600_302600_NS4plusIjEEEEZZNS1_33reduce_by_key_impl_wrapped_configILNS1_25lookback_scan_determinismE0ES3_S9_NS6_6detail15normal_iteratorINS6_10device_ptrIjEEEESG_NS6_16discard_iteratorINS6_11use_defaultEEESG_PmS8_NS6_8equal_toIjEEEE10hipError_tPvRmT2_T3_mT4_T5_T6_T7_T8_P12ihipStream_tbENKUlT_T0_E_clISt17integral_constantIbLb0EES14_EEDaSZ_S10_EUlSZ_E_NS1_11comp_targetILNS1_3genE0ELNS1_11target_archE4294967295ELNS1_3gpuE0ELNS1_3repE0EEENS1_30default_config_static_selectorELNS0_4arch9wavefront6targetE1EEEvT1_, .Lfunc_end913-_ZN7rocprim17ROCPRIM_400000_NS6detail17trampoline_kernelINS0_14default_configENS1_29reduce_by_key_config_selectorIjjN6thrust23THRUST_200600_302600_NS4plusIjEEEEZZNS1_33reduce_by_key_impl_wrapped_configILNS1_25lookback_scan_determinismE0ES3_S9_NS6_6detail15normal_iteratorINS6_10device_ptrIjEEEESG_NS6_16discard_iteratorINS6_11use_defaultEEESG_PmS8_NS6_8equal_toIjEEEE10hipError_tPvRmT2_T3_mT4_T5_T6_T7_T8_P12ihipStream_tbENKUlT_T0_E_clISt17integral_constantIbLb0EES14_EEDaSZ_S10_EUlSZ_E_NS1_11comp_targetILNS1_3genE0ELNS1_11target_archE4294967295ELNS1_3gpuE0ELNS1_3repE0EEENS1_30default_config_static_selectorELNS0_4arch9wavefront6targetE1EEEvT1_
                                        ; -- End function
	.section	.AMDGPU.csdata,"",@progbits
; Kernel info:
; codeLenInByte = 0
; NumSgprs: 4
; NumVgprs: 0
; NumAgprs: 0
; TotalNumVgprs: 0
; ScratchSize: 0
; MemoryBound: 0
; FloatMode: 240
; IeeeMode: 1
; LDSByteSize: 0 bytes/workgroup (compile time only)
; SGPRBlocks: 0
; VGPRBlocks: 0
; NumSGPRsForWavesPerEU: 4
; NumVGPRsForWavesPerEU: 1
; AccumOffset: 4
; Occupancy: 8
; WaveLimiterHint : 0
; COMPUTE_PGM_RSRC2:SCRATCH_EN: 0
; COMPUTE_PGM_RSRC2:USER_SGPR: 6
; COMPUTE_PGM_RSRC2:TRAP_HANDLER: 0
; COMPUTE_PGM_RSRC2:TGID_X_EN: 1
; COMPUTE_PGM_RSRC2:TGID_Y_EN: 0
; COMPUTE_PGM_RSRC2:TGID_Z_EN: 0
; COMPUTE_PGM_RSRC2:TIDIG_COMP_CNT: 0
; COMPUTE_PGM_RSRC3_GFX90A:ACCUM_OFFSET: 0
; COMPUTE_PGM_RSRC3_GFX90A:TG_SPLIT: 0
	.section	.text._ZN7rocprim17ROCPRIM_400000_NS6detail17trampoline_kernelINS0_14default_configENS1_29reduce_by_key_config_selectorIjjN6thrust23THRUST_200600_302600_NS4plusIjEEEEZZNS1_33reduce_by_key_impl_wrapped_configILNS1_25lookback_scan_determinismE0ES3_S9_NS6_6detail15normal_iteratorINS6_10device_ptrIjEEEESG_NS6_16discard_iteratorINS6_11use_defaultEEESG_PmS8_NS6_8equal_toIjEEEE10hipError_tPvRmT2_T3_mT4_T5_T6_T7_T8_P12ihipStream_tbENKUlT_T0_E_clISt17integral_constantIbLb0EES14_EEDaSZ_S10_EUlSZ_E_NS1_11comp_targetILNS1_3genE5ELNS1_11target_archE942ELNS1_3gpuE9ELNS1_3repE0EEENS1_30default_config_static_selectorELNS0_4arch9wavefront6targetE1EEEvT1_,"axG",@progbits,_ZN7rocprim17ROCPRIM_400000_NS6detail17trampoline_kernelINS0_14default_configENS1_29reduce_by_key_config_selectorIjjN6thrust23THRUST_200600_302600_NS4plusIjEEEEZZNS1_33reduce_by_key_impl_wrapped_configILNS1_25lookback_scan_determinismE0ES3_S9_NS6_6detail15normal_iteratorINS6_10device_ptrIjEEEESG_NS6_16discard_iteratorINS6_11use_defaultEEESG_PmS8_NS6_8equal_toIjEEEE10hipError_tPvRmT2_T3_mT4_T5_T6_T7_T8_P12ihipStream_tbENKUlT_T0_E_clISt17integral_constantIbLb0EES14_EEDaSZ_S10_EUlSZ_E_NS1_11comp_targetILNS1_3genE5ELNS1_11target_archE942ELNS1_3gpuE9ELNS1_3repE0EEENS1_30default_config_static_selectorELNS0_4arch9wavefront6targetE1EEEvT1_,comdat
	.protected	_ZN7rocprim17ROCPRIM_400000_NS6detail17trampoline_kernelINS0_14default_configENS1_29reduce_by_key_config_selectorIjjN6thrust23THRUST_200600_302600_NS4plusIjEEEEZZNS1_33reduce_by_key_impl_wrapped_configILNS1_25lookback_scan_determinismE0ES3_S9_NS6_6detail15normal_iteratorINS6_10device_ptrIjEEEESG_NS6_16discard_iteratorINS6_11use_defaultEEESG_PmS8_NS6_8equal_toIjEEEE10hipError_tPvRmT2_T3_mT4_T5_T6_T7_T8_P12ihipStream_tbENKUlT_T0_E_clISt17integral_constantIbLb0EES14_EEDaSZ_S10_EUlSZ_E_NS1_11comp_targetILNS1_3genE5ELNS1_11target_archE942ELNS1_3gpuE9ELNS1_3repE0EEENS1_30default_config_static_selectorELNS0_4arch9wavefront6targetE1EEEvT1_ ; -- Begin function _ZN7rocprim17ROCPRIM_400000_NS6detail17trampoline_kernelINS0_14default_configENS1_29reduce_by_key_config_selectorIjjN6thrust23THRUST_200600_302600_NS4plusIjEEEEZZNS1_33reduce_by_key_impl_wrapped_configILNS1_25lookback_scan_determinismE0ES3_S9_NS6_6detail15normal_iteratorINS6_10device_ptrIjEEEESG_NS6_16discard_iteratorINS6_11use_defaultEEESG_PmS8_NS6_8equal_toIjEEEE10hipError_tPvRmT2_T3_mT4_T5_T6_T7_T8_P12ihipStream_tbENKUlT_T0_E_clISt17integral_constantIbLb0EES14_EEDaSZ_S10_EUlSZ_E_NS1_11comp_targetILNS1_3genE5ELNS1_11target_archE942ELNS1_3gpuE9ELNS1_3repE0EEENS1_30default_config_static_selectorELNS0_4arch9wavefront6targetE1EEEvT1_
	.globl	_ZN7rocprim17ROCPRIM_400000_NS6detail17trampoline_kernelINS0_14default_configENS1_29reduce_by_key_config_selectorIjjN6thrust23THRUST_200600_302600_NS4plusIjEEEEZZNS1_33reduce_by_key_impl_wrapped_configILNS1_25lookback_scan_determinismE0ES3_S9_NS6_6detail15normal_iteratorINS6_10device_ptrIjEEEESG_NS6_16discard_iteratorINS6_11use_defaultEEESG_PmS8_NS6_8equal_toIjEEEE10hipError_tPvRmT2_T3_mT4_T5_T6_T7_T8_P12ihipStream_tbENKUlT_T0_E_clISt17integral_constantIbLb0EES14_EEDaSZ_S10_EUlSZ_E_NS1_11comp_targetILNS1_3genE5ELNS1_11target_archE942ELNS1_3gpuE9ELNS1_3repE0EEENS1_30default_config_static_selectorELNS0_4arch9wavefront6targetE1EEEvT1_
	.p2align	8
	.type	_ZN7rocprim17ROCPRIM_400000_NS6detail17trampoline_kernelINS0_14default_configENS1_29reduce_by_key_config_selectorIjjN6thrust23THRUST_200600_302600_NS4plusIjEEEEZZNS1_33reduce_by_key_impl_wrapped_configILNS1_25lookback_scan_determinismE0ES3_S9_NS6_6detail15normal_iteratorINS6_10device_ptrIjEEEESG_NS6_16discard_iteratorINS6_11use_defaultEEESG_PmS8_NS6_8equal_toIjEEEE10hipError_tPvRmT2_T3_mT4_T5_T6_T7_T8_P12ihipStream_tbENKUlT_T0_E_clISt17integral_constantIbLb0EES14_EEDaSZ_S10_EUlSZ_E_NS1_11comp_targetILNS1_3genE5ELNS1_11target_archE942ELNS1_3gpuE9ELNS1_3repE0EEENS1_30default_config_static_selectorELNS0_4arch9wavefront6targetE1EEEvT1_,@function
_ZN7rocprim17ROCPRIM_400000_NS6detail17trampoline_kernelINS0_14default_configENS1_29reduce_by_key_config_selectorIjjN6thrust23THRUST_200600_302600_NS4plusIjEEEEZZNS1_33reduce_by_key_impl_wrapped_configILNS1_25lookback_scan_determinismE0ES3_S9_NS6_6detail15normal_iteratorINS6_10device_ptrIjEEEESG_NS6_16discard_iteratorINS6_11use_defaultEEESG_PmS8_NS6_8equal_toIjEEEE10hipError_tPvRmT2_T3_mT4_T5_T6_T7_T8_P12ihipStream_tbENKUlT_T0_E_clISt17integral_constantIbLb0EES14_EEDaSZ_S10_EUlSZ_E_NS1_11comp_targetILNS1_3genE5ELNS1_11target_archE942ELNS1_3gpuE9ELNS1_3repE0EEENS1_30default_config_static_selectorELNS0_4arch9wavefront6targetE1EEEvT1_: ; @_ZN7rocprim17ROCPRIM_400000_NS6detail17trampoline_kernelINS0_14default_configENS1_29reduce_by_key_config_selectorIjjN6thrust23THRUST_200600_302600_NS4plusIjEEEEZZNS1_33reduce_by_key_impl_wrapped_configILNS1_25lookback_scan_determinismE0ES3_S9_NS6_6detail15normal_iteratorINS6_10device_ptrIjEEEESG_NS6_16discard_iteratorINS6_11use_defaultEEESG_PmS8_NS6_8equal_toIjEEEE10hipError_tPvRmT2_T3_mT4_T5_T6_T7_T8_P12ihipStream_tbENKUlT_T0_E_clISt17integral_constantIbLb0EES14_EEDaSZ_S10_EUlSZ_E_NS1_11comp_targetILNS1_3genE5ELNS1_11target_archE942ELNS1_3gpuE9ELNS1_3repE0EEENS1_30default_config_static_selectorELNS0_4arch9wavefront6targetE1EEEvT1_
; %bb.0:
	.section	.rodata,"a",@progbits
	.p2align	6, 0x0
	.amdhsa_kernel _ZN7rocprim17ROCPRIM_400000_NS6detail17trampoline_kernelINS0_14default_configENS1_29reduce_by_key_config_selectorIjjN6thrust23THRUST_200600_302600_NS4plusIjEEEEZZNS1_33reduce_by_key_impl_wrapped_configILNS1_25lookback_scan_determinismE0ES3_S9_NS6_6detail15normal_iteratorINS6_10device_ptrIjEEEESG_NS6_16discard_iteratorINS6_11use_defaultEEESG_PmS8_NS6_8equal_toIjEEEE10hipError_tPvRmT2_T3_mT4_T5_T6_T7_T8_P12ihipStream_tbENKUlT_T0_E_clISt17integral_constantIbLb0EES14_EEDaSZ_S10_EUlSZ_E_NS1_11comp_targetILNS1_3genE5ELNS1_11target_archE942ELNS1_3gpuE9ELNS1_3repE0EEENS1_30default_config_static_selectorELNS0_4arch9wavefront6targetE1EEEvT1_
		.amdhsa_group_segment_fixed_size 0
		.amdhsa_private_segment_fixed_size 0
		.amdhsa_kernarg_size 128
		.amdhsa_user_sgpr_count 6
		.amdhsa_user_sgpr_private_segment_buffer 1
		.amdhsa_user_sgpr_dispatch_ptr 0
		.amdhsa_user_sgpr_queue_ptr 0
		.amdhsa_user_sgpr_kernarg_segment_ptr 1
		.amdhsa_user_sgpr_dispatch_id 0
		.amdhsa_user_sgpr_flat_scratch_init 0
		.amdhsa_user_sgpr_kernarg_preload_length 0
		.amdhsa_user_sgpr_kernarg_preload_offset 0
		.amdhsa_user_sgpr_private_segment_size 0
		.amdhsa_uses_dynamic_stack 0
		.amdhsa_system_sgpr_private_segment_wavefront_offset 0
		.amdhsa_system_sgpr_workgroup_id_x 1
		.amdhsa_system_sgpr_workgroup_id_y 0
		.amdhsa_system_sgpr_workgroup_id_z 0
		.amdhsa_system_sgpr_workgroup_info 0
		.amdhsa_system_vgpr_workitem_id 0
		.amdhsa_next_free_vgpr 1
		.amdhsa_next_free_sgpr 0
		.amdhsa_accum_offset 4
		.amdhsa_reserve_vcc 0
		.amdhsa_reserve_flat_scratch 0
		.amdhsa_float_round_mode_32 0
		.amdhsa_float_round_mode_16_64 0
		.amdhsa_float_denorm_mode_32 3
		.amdhsa_float_denorm_mode_16_64 3
		.amdhsa_dx10_clamp 1
		.amdhsa_ieee_mode 1
		.amdhsa_fp16_overflow 0
		.amdhsa_tg_split 0
		.amdhsa_exception_fp_ieee_invalid_op 0
		.amdhsa_exception_fp_denorm_src 0
		.amdhsa_exception_fp_ieee_div_zero 0
		.amdhsa_exception_fp_ieee_overflow 0
		.amdhsa_exception_fp_ieee_underflow 0
		.amdhsa_exception_fp_ieee_inexact 0
		.amdhsa_exception_int_div_zero 0
	.end_amdhsa_kernel
	.section	.text._ZN7rocprim17ROCPRIM_400000_NS6detail17trampoline_kernelINS0_14default_configENS1_29reduce_by_key_config_selectorIjjN6thrust23THRUST_200600_302600_NS4plusIjEEEEZZNS1_33reduce_by_key_impl_wrapped_configILNS1_25lookback_scan_determinismE0ES3_S9_NS6_6detail15normal_iteratorINS6_10device_ptrIjEEEESG_NS6_16discard_iteratorINS6_11use_defaultEEESG_PmS8_NS6_8equal_toIjEEEE10hipError_tPvRmT2_T3_mT4_T5_T6_T7_T8_P12ihipStream_tbENKUlT_T0_E_clISt17integral_constantIbLb0EES14_EEDaSZ_S10_EUlSZ_E_NS1_11comp_targetILNS1_3genE5ELNS1_11target_archE942ELNS1_3gpuE9ELNS1_3repE0EEENS1_30default_config_static_selectorELNS0_4arch9wavefront6targetE1EEEvT1_,"axG",@progbits,_ZN7rocprim17ROCPRIM_400000_NS6detail17trampoline_kernelINS0_14default_configENS1_29reduce_by_key_config_selectorIjjN6thrust23THRUST_200600_302600_NS4plusIjEEEEZZNS1_33reduce_by_key_impl_wrapped_configILNS1_25lookback_scan_determinismE0ES3_S9_NS6_6detail15normal_iteratorINS6_10device_ptrIjEEEESG_NS6_16discard_iteratorINS6_11use_defaultEEESG_PmS8_NS6_8equal_toIjEEEE10hipError_tPvRmT2_T3_mT4_T5_T6_T7_T8_P12ihipStream_tbENKUlT_T0_E_clISt17integral_constantIbLb0EES14_EEDaSZ_S10_EUlSZ_E_NS1_11comp_targetILNS1_3genE5ELNS1_11target_archE942ELNS1_3gpuE9ELNS1_3repE0EEENS1_30default_config_static_selectorELNS0_4arch9wavefront6targetE1EEEvT1_,comdat
.Lfunc_end914:
	.size	_ZN7rocprim17ROCPRIM_400000_NS6detail17trampoline_kernelINS0_14default_configENS1_29reduce_by_key_config_selectorIjjN6thrust23THRUST_200600_302600_NS4plusIjEEEEZZNS1_33reduce_by_key_impl_wrapped_configILNS1_25lookback_scan_determinismE0ES3_S9_NS6_6detail15normal_iteratorINS6_10device_ptrIjEEEESG_NS6_16discard_iteratorINS6_11use_defaultEEESG_PmS8_NS6_8equal_toIjEEEE10hipError_tPvRmT2_T3_mT4_T5_T6_T7_T8_P12ihipStream_tbENKUlT_T0_E_clISt17integral_constantIbLb0EES14_EEDaSZ_S10_EUlSZ_E_NS1_11comp_targetILNS1_3genE5ELNS1_11target_archE942ELNS1_3gpuE9ELNS1_3repE0EEENS1_30default_config_static_selectorELNS0_4arch9wavefront6targetE1EEEvT1_, .Lfunc_end914-_ZN7rocprim17ROCPRIM_400000_NS6detail17trampoline_kernelINS0_14default_configENS1_29reduce_by_key_config_selectorIjjN6thrust23THRUST_200600_302600_NS4plusIjEEEEZZNS1_33reduce_by_key_impl_wrapped_configILNS1_25lookback_scan_determinismE0ES3_S9_NS6_6detail15normal_iteratorINS6_10device_ptrIjEEEESG_NS6_16discard_iteratorINS6_11use_defaultEEESG_PmS8_NS6_8equal_toIjEEEE10hipError_tPvRmT2_T3_mT4_T5_T6_T7_T8_P12ihipStream_tbENKUlT_T0_E_clISt17integral_constantIbLb0EES14_EEDaSZ_S10_EUlSZ_E_NS1_11comp_targetILNS1_3genE5ELNS1_11target_archE942ELNS1_3gpuE9ELNS1_3repE0EEENS1_30default_config_static_selectorELNS0_4arch9wavefront6targetE1EEEvT1_
                                        ; -- End function
	.section	.AMDGPU.csdata,"",@progbits
; Kernel info:
; codeLenInByte = 0
; NumSgprs: 4
; NumVgprs: 0
; NumAgprs: 0
; TotalNumVgprs: 0
; ScratchSize: 0
; MemoryBound: 0
; FloatMode: 240
; IeeeMode: 1
; LDSByteSize: 0 bytes/workgroup (compile time only)
; SGPRBlocks: 0
; VGPRBlocks: 0
; NumSGPRsForWavesPerEU: 4
; NumVGPRsForWavesPerEU: 1
; AccumOffset: 4
; Occupancy: 8
; WaveLimiterHint : 0
; COMPUTE_PGM_RSRC2:SCRATCH_EN: 0
; COMPUTE_PGM_RSRC2:USER_SGPR: 6
; COMPUTE_PGM_RSRC2:TRAP_HANDLER: 0
; COMPUTE_PGM_RSRC2:TGID_X_EN: 1
; COMPUTE_PGM_RSRC2:TGID_Y_EN: 0
; COMPUTE_PGM_RSRC2:TGID_Z_EN: 0
; COMPUTE_PGM_RSRC2:TIDIG_COMP_CNT: 0
; COMPUTE_PGM_RSRC3_GFX90A:ACCUM_OFFSET: 0
; COMPUTE_PGM_RSRC3_GFX90A:TG_SPLIT: 0
	.section	.text._ZN7rocprim17ROCPRIM_400000_NS6detail17trampoline_kernelINS0_14default_configENS1_29reduce_by_key_config_selectorIjjN6thrust23THRUST_200600_302600_NS4plusIjEEEEZZNS1_33reduce_by_key_impl_wrapped_configILNS1_25lookback_scan_determinismE0ES3_S9_NS6_6detail15normal_iteratorINS6_10device_ptrIjEEEESG_NS6_16discard_iteratorINS6_11use_defaultEEESG_PmS8_NS6_8equal_toIjEEEE10hipError_tPvRmT2_T3_mT4_T5_T6_T7_T8_P12ihipStream_tbENKUlT_T0_E_clISt17integral_constantIbLb0EES14_EEDaSZ_S10_EUlSZ_E_NS1_11comp_targetILNS1_3genE4ELNS1_11target_archE910ELNS1_3gpuE8ELNS1_3repE0EEENS1_30default_config_static_selectorELNS0_4arch9wavefront6targetE1EEEvT1_,"axG",@progbits,_ZN7rocprim17ROCPRIM_400000_NS6detail17trampoline_kernelINS0_14default_configENS1_29reduce_by_key_config_selectorIjjN6thrust23THRUST_200600_302600_NS4plusIjEEEEZZNS1_33reduce_by_key_impl_wrapped_configILNS1_25lookback_scan_determinismE0ES3_S9_NS6_6detail15normal_iteratorINS6_10device_ptrIjEEEESG_NS6_16discard_iteratorINS6_11use_defaultEEESG_PmS8_NS6_8equal_toIjEEEE10hipError_tPvRmT2_T3_mT4_T5_T6_T7_T8_P12ihipStream_tbENKUlT_T0_E_clISt17integral_constantIbLb0EES14_EEDaSZ_S10_EUlSZ_E_NS1_11comp_targetILNS1_3genE4ELNS1_11target_archE910ELNS1_3gpuE8ELNS1_3repE0EEENS1_30default_config_static_selectorELNS0_4arch9wavefront6targetE1EEEvT1_,comdat
	.protected	_ZN7rocprim17ROCPRIM_400000_NS6detail17trampoline_kernelINS0_14default_configENS1_29reduce_by_key_config_selectorIjjN6thrust23THRUST_200600_302600_NS4plusIjEEEEZZNS1_33reduce_by_key_impl_wrapped_configILNS1_25lookback_scan_determinismE0ES3_S9_NS6_6detail15normal_iteratorINS6_10device_ptrIjEEEESG_NS6_16discard_iteratorINS6_11use_defaultEEESG_PmS8_NS6_8equal_toIjEEEE10hipError_tPvRmT2_T3_mT4_T5_T6_T7_T8_P12ihipStream_tbENKUlT_T0_E_clISt17integral_constantIbLb0EES14_EEDaSZ_S10_EUlSZ_E_NS1_11comp_targetILNS1_3genE4ELNS1_11target_archE910ELNS1_3gpuE8ELNS1_3repE0EEENS1_30default_config_static_selectorELNS0_4arch9wavefront6targetE1EEEvT1_ ; -- Begin function _ZN7rocprim17ROCPRIM_400000_NS6detail17trampoline_kernelINS0_14default_configENS1_29reduce_by_key_config_selectorIjjN6thrust23THRUST_200600_302600_NS4plusIjEEEEZZNS1_33reduce_by_key_impl_wrapped_configILNS1_25lookback_scan_determinismE0ES3_S9_NS6_6detail15normal_iteratorINS6_10device_ptrIjEEEESG_NS6_16discard_iteratorINS6_11use_defaultEEESG_PmS8_NS6_8equal_toIjEEEE10hipError_tPvRmT2_T3_mT4_T5_T6_T7_T8_P12ihipStream_tbENKUlT_T0_E_clISt17integral_constantIbLb0EES14_EEDaSZ_S10_EUlSZ_E_NS1_11comp_targetILNS1_3genE4ELNS1_11target_archE910ELNS1_3gpuE8ELNS1_3repE0EEENS1_30default_config_static_selectorELNS0_4arch9wavefront6targetE1EEEvT1_
	.globl	_ZN7rocprim17ROCPRIM_400000_NS6detail17trampoline_kernelINS0_14default_configENS1_29reduce_by_key_config_selectorIjjN6thrust23THRUST_200600_302600_NS4plusIjEEEEZZNS1_33reduce_by_key_impl_wrapped_configILNS1_25lookback_scan_determinismE0ES3_S9_NS6_6detail15normal_iteratorINS6_10device_ptrIjEEEESG_NS6_16discard_iteratorINS6_11use_defaultEEESG_PmS8_NS6_8equal_toIjEEEE10hipError_tPvRmT2_T3_mT4_T5_T6_T7_T8_P12ihipStream_tbENKUlT_T0_E_clISt17integral_constantIbLb0EES14_EEDaSZ_S10_EUlSZ_E_NS1_11comp_targetILNS1_3genE4ELNS1_11target_archE910ELNS1_3gpuE8ELNS1_3repE0EEENS1_30default_config_static_selectorELNS0_4arch9wavefront6targetE1EEEvT1_
	.p2align	8
	.type	_ZN7rocprim17ROCPRIM_400000_NS6detail17trampoline_kernelINS0_14default_configENS1_29reduce_by_key_config_selectorIjjN6thrust23THRUST_200600_302600_NS4plusIjEEEEZZNS1_33reduce_by_key_impl_wrapped_configILNS1_25lookback_scan_determinismE0ES3_S9_NS6_6detail15normal_iteratorINS6_10device_ptrIjEEEESG_NS6_16discard_iteratorINS6_11use_defaultEEESG_PmS8_NS6_8equal_toIjEEEE10hipError_tPvRmT2_T3_mT4_T5_T6_T7_T8_P12ihipStream_tbENKUlT_T0_E_clISt17integral_constantIbLb0EES14_EEDaSZ_S10_EUlSZ_E_NS1_11comp_targetILNS1_3genE4ELNS1_11target_archE910ELNS1_3gpuE8ELNS1_3repE0EEENS1_30default_config_static_selectorELNS0_4arch9wavefront6targetE1EEEvT1_,@function
_ZN7rocprim17ROCPRIM_400000_NS6detail17trampoline_kernelINS0_14default_configENS1_29reduce_by_key_config_selectorIjjN6thrust23THRUST_200600_302600_NS4plusIjEEEEZZNS1_33reduce_by_key_impl_wrapped_configILNS1_25lookback_scan_determinismE0ES3_S9_NS6_6detail15normal_iteratorINS6_10device_ptrIjEEEESG_NS6_16discard_iteratorINS6_11use_defaultEEESG_PmS8_NS6_8equal_toIjEEEE10hipError_tPvRmT2_T3_mT4_T5_T6_T7_T8_P12ihipStream_tbENKUlT_T0_E_clISt17integral_constantIbLb0EES14_EEDaSZ_S10_EUlSZ_E_NS1_11comp_targetILNS1_3genE4ELNS1_11target_archE910ELNS1_3gpuE8ELNS1_3repE0EEENS1_30default_config_static_selectorELNS0_4arch9wavefront6targetE1EEEvT1_: ; @_ZN7rocprim17ROCPRIM_400000_NS6detail17trampoline_kernelINS0_14default_configENS1_29reduce_by_key_config_selectorIjjN6thrust23THRUST_200600_302600_NS4plusIjEEEEZZNS1_33reduce_by_key_impl_wrapped_configILNS1_25lookback_scan_determinismE0ES3_S9_NS6_6detail15normal_iteratorINS6_10device_ptrIjEEEESG_NS6_16discard_iteratorINS6_11use_defaultEEESG_PmS8_NS6_8equal_toIjEEEE10hipError_tPvRmT2_T3_mT4_T5_T6_T7_T8_P12ihipStream_tbENKUlT_T0_E_clISt17integral_constantIbLb0EES14_EEDaSZ_S10_EUlSZ_E_NS1_11comp_targetILNS1_3genE4ELNS1_11target_archE910ELNS1_3gpuE8ELNS1_3repE0EEENS1_30default_config_static_selectorELNS0_4arch9wavefront6targetE1EEEvT1_
; %bb.0:
	s_load_dwordx4 s[0:3], s[4:5], 0x0
	s_load_dwordx2 s[8:9], s[4:5], 0x10
	s_load_dwordx2 s[50:51], s[4:5], 0x70
	s_load_dwordx4 s[44:47], s[4:5], 0x60
	s_load_dwordx8 s[36:43], s[4:5], 0x40
	s_waitcnt lgkmcnt(0)
	s_lshl_b64 s[2:3], s[2:3], 2
	s_add_u32 s7, s0, s2
	s_addc_u32 s10, s1, s3
	s_add_u32 s2, s8, s2
	s_mul_i32 s0, s40, s39
	s_mul_hi_u32 s1, s40, s38
	s_addc_u32 s3, s9, s3
	s_add_i32 s0, s1, s0
	s_mul_i32 s1, s41, s38
	s_add_i32 s8, s0, s1
	s_mul_i32 s0, s6, 0xf00
	s_mov_b32 s1, 0
	s_lshl_b64 s[0:1], s[0:1], 2
	s_add_u32 s7, s7, s0
	s_addc_u32 s58, s10, s1
	s_add_u32 s56, s2, s0
	s_mul_i32 s9, s40, s38
	s_addc_u32 s57, s3, s1
	s_add_u32 s52, s9, s6
	s_addc_u32 s53, s8, 0
	s_add_u32 s2, s42, -1
	s_addc_u32 s3, s43, -1
	s_cmp_eq_u64 s[52:53], s[2:3]
	s_cselect_b64 s[48:49], -1, 0
	s_cmp_lg_u64 s[52:53], s[2:3]
	s_mov_b64 s[0:1], -1
	s_cselect_b64 s[54:55], -1, 0
	s_mul_i32 s33, s2, 0xfffff100
	s_and_b64 vcc, exec, s[48:49]
	s_cbranch_vccnz .LBB915_2
; %bb.1:
	v_lshlrev_b32_e32 v24, 2, v0
	v_mov_b32_e32 v1, s58
	v_add_co_u32_e32 v2, vcc, s7, v24
	v_addc_co_u32_e32 v3, vcc, 0, v1, vcc
	v_add_co_u32_e32 v4, vcc, 0x1000, v2
	v_addc_co_u32_e32 v5, vcc, 0, v3, vcc
	flat_load_dword v1, v[2:3]
	flat_load_dword v8, v[2:3] offset:1024
	flat_load_dword v9, v[2:3] offset:2048
	;; [unrolled: 1-line block ×3, first 2 shown]
	flat_load_dword v11, v[4:5]
	flat_load_dword v12, v[4:5] offset:1024
	flat_load_dword v13, v[4:5] offset:2048
	;; [unrolled: 1-line block ×3, first 2 shown]
	v_add_co_u32_e32 v4, vcc, 0x2000, v2
	v_addc_co_u32_e32 v5, vcc, 0, v3, vcc
	v_add_co_u32_e32 v2, vcc, 0x3000, v2
	v_addc_co_u32_e32 v3, vcc, 0, v3, vcc
	flat_load_dword v15, v[4:5]
	flat_load_dword v16, v[4:5] offset:1024
	flat_load_dword v17, v[4:5] offset:2048
	;; [unrolled: 1-line block ×3, first 2 shown]
	flat_load_dword v19, v[2:3]
	flat_load_dword v20, v[2:3] offset:1024
	flat_load_dword v21, v[2:3] offset:2048
	v_mov_b32_e32 v3, s57
	v_add_co_u32_e32 v2, vcc, s56, v24
	s_movk_i32 s0, 0x1000
	v_addc_co_u32_e32 v3, vcc, 0, v3, vcc
	v_add_co_u32_e32 v4, vcc, s0, v2
	s_movk_i32 s1, 0x2000
	v_addc_co_u32_e32 v5, vcc, 0, v3, vcc
	;; [unrolled: 3-line block ×3, first 2 shown]
	v_mad_u32_u24 v38, v0, 56, v24
	v_add_co_u32_e32 v22, vcc, s2, v2
	v_addc_co_u32_e32 v23, vcc, 0, v3, vcc
	s_waitcnt vmcnt(0) lgkmcnt(0)
	ds_write2st64_b32 v24, v1, v8 offset1:4
	ds_write2st64_b32 v24, v9, v10 offset0:8 offset1:12
	ds_write2st64_b32 v24, v11, v12 offset0:16 offset1:20
	;; [unrolled: 1-line block ×6, first 2 shown]
	ds_write_b32 v24, v21 offset:14336
	s_waitcnt lgkmcnt(0)
	s_barrier
	ds_read2_b32 v[20:21], v38 offset1:1
	ds_read2_b32 v[18:19], v38 offset0:2 offset1:3
	ds_read2_b32 v[16:17], v38 offset0:4 offset1:5
	;; [unrolled: 1-line block ×6, first 2 shown]
	ds_read_b32 v1, v38 offset:56
	s_waitcnt lgkmcnt(0)
	s_barrier
	flat_load_dword v25, v[2:3]
	flat_load_dword v26, v[2:3] offset:1024
	flat_load_dword v27, v[2:3] offset:2048
	flat_load_dword v28, v[2:3] offset:3072
	flat_load_dword v29, v[4:5]
	flat_load_dword v30, v[4:5] offset:1024
	flat_load_dword v31, v[4:5] offset:2048
	flat_load_dword v32, v[4:5] offset:3072
	;; [unrolled: 4-line block ×3, first 2 shown]
	flat_load_dword v40, v[22:23]
	flat_load_dword v41, v[22:23] offset:1024
	flat_load_dword v42, v[22:23] offset:2048
	v_mov_b32_e32 v36, v20
	v_mov_b32_e32 v37, v18
	;; [unrolled: 1-line block ×7, first 2 shown]
	s_waitcnt vmcnt(0) lgkmcnt(0)
	ds_write2st64_b32 v24, v25, v26 offset1:4
	ds_write2st64_b32 v24, v27, v28 offset0:8 offset1:12
	ds_write2st64_b32 v24, v29, v30 offset0:16 offset1:20
	;; [unrolled: 1-line block ×6, first 2 shown]
	ds_write_b32 v24, v42 offset:14336
	s_waitcnt lgkmcnt(0)
	s_barrier
	s_add_i32 s33, s33, s44
	s_cbranch_execz .LBB915_3
	s_branch .LBB915_50
.LBB915_2:
                                        ; implicit-def: $vgpr1
                                        ; implicit-def: $vgpr8
                                        ; implicit-def: $vgpr10
                                        ; implicit-def: $vgpr12
                                        ; implicit-def: $vgpr14
                                        ; implicit-def: $vgpr16
                                        ; implicit-def: $vgpr18
                                        ; implicit-def: $vgpr20
                                        ; implicit-def: $vgpr38
                                        ; implicit-def: $vgpr2_vgpr3
                                        ; implicit-def: $vgpr4_vgpr5
                                        ; implicit-def: $vgpr36_vgpr37
                                        ; implicit-def: $vgpr6_vgpr7
	s_andn2_b64 vcc, exec, s[0:1]
	s_add_i32 s33, s33, s44
	s_cbranch_vccnz .LBB915_50
.LBB915_3:
	v_cmp_gt_u32_e32 vcc, s33, v0
                                        ; implicit-def: $vgpr1
	s_and_saveexec_b64 s[2:3], vcc
	s_cbranch_execz .LBB915_5
; %bb.4:
	v_lshlrev_b32_e32 v1, 2, v0
	v_mov_b32_e32 v3, s58
	v_add_co_u32_e64 v2, s[0:1], s7, v1
	v_addc_co_u32_e64 v3, s[0:1], 0, v3, s[0:1]
	flat_load_dword v1, v[2:3]
.LBB915_5:
	s_or_b64 exec, exec, s[2:3]
	v_or_b32_e32 v2, 0x100, v0
	v_cmp_gt_u32_e64 s[0:1], s33, v2
                                        ; implicit-def: $vgpr8
	s_and_saveexec_b64 s[8:9], s[0:1]
	s_cbranch_execz .LBB915_7
; %bb.6:
	v_lshlrev_b32_e32 v2, 2, v0
	v_mov_b32_e32 v3, s58
	v_add_co_u32_e64 v2, s[2:3], s7, v2
	v_addc_co_u32_e64 v3, s[2:3], 0, v3, s[2:3]
	flat_load_dword v8, v[2:3] offset:1024
.LBB915_7:
	s_or_b64 exec, exec, s[8:9]
	v_or_b32_e32 v2, 0x200, v0
	v_cmp_gt_u32_e64 s[2:3], s33, v2
                                        ; implicit-def: $vgpr9
	s_and_saveexec_b64 s[10:11], s[2:3]
	s_cbranch_execz .LBB915_9
; %bb.8:
	v_lshlrev_b32_e32 v2, 2, v0
	v_mov_b32_e32 v3, s58
	v_add_co_u32_e64 v2, s[8:9], s7, v2
	v_addc_co_u32_e64 v3, s[8:9], 0, v3, s[8:9]
	flat_load_dword v9, v[2:3] offset:2048
.LBB915_9:
	s_or_b64 exec, exec, s[10:11]
	v_or_b32_e32 v2, 0x300, v0
	v_cmp_gt_u32_e64 s[30:31], s33, v2
                                        ; implicit-def: $vgpr10
	s_and_saveexec_b64 s[10:11], s[30:31]
	s_cbranch_execz .LBB915_11
; %bb.10:
	v_lshlrev_b32_e32 v2, 2, v0
	v_mov_b32_e32 v3, s58
	v_add_co_u32_e64 v2, s[8:9], s7, v2
	v_addc_co_u32_e64 v3, s[8:9], 0, v3, s[8:9]
	flat_load_dword v10, v[2:3] offset:3072
.LBB915_11:
	s_or_b64 exec, exec, s[10:11]
	v_or_b32_e32 v2, 0x400, v0
	v_cmp_gt_u32_e64 s[8:9], s33, v2
	v_lshlrev_b32_e32 v2, 2, v2
                                        ; implicit-def: $vgpr11
	s_and_saveexec_b64 s[12:13], s[8:9]
	s_cbranch_execz .LBB915_13
; %bb.12:
	v_mov_b32_e32 v3, s58
	v_add_co_u32_e64 v4, s[10:11], s7, v2
	v_addc_co_u32_e64 v5, s[10:11], 0, v3, s[10:11]
	flat_load_dword v11, v[4:5]
.LBB915_13:
	s_or_b64 exec, exec, s[12:13]
	v_or_b32_e32 v3, 0x500, v0
	v_cmp_gt_u32_e64 s[10:11], s33, v3
	v_lshlrev_b32_e32 v3, 2, v3
                                        ; implicit-def: $vgpr12
	s_and_saveexec_b64 s[14:15], s[10:11]
	s_cbranch_execz .LBB915_15
; %bb.14:
	v_mov_b32_e32 v5, s58
	v_add_co_u32_e64 v4, s[12:13], s7, v3
	v_addc_co_u32_e64 v5, s[12:13], 0, v5, s[12:13]
	flat_load_dword v12, v[4:5]
.LBB915_15:
	s_or_b64 exec, exec, s[14:15]
	v_or_b32_e32 v4, 0x600, v0
	v_cmp_gt_u32_e64 s[12:13], s33, v4
	v_lshlrev_b32_e32 v4, 2, v4
                                        ; implicit-def: $vgpr13
	s_and_saveexec_b64 s[16:17], s[12:13]
	s_cbranch_execz .LBB915_17
; %bb.16:
	v_mov_b32_e32 v5, s58
	v_add_co_u32_e64 v6, s[14:15], s7, v4
	v_addc_co_u32_e64 v7, s[14:15], 0, v5, s[14:15]
	flat_load_dword v13, v[6:7]
.LBB915_17:
	s_or_b64 exec, exec, s[16:17]
	v_or_b32_e32 v5, 0x700, v0
	v_cmp_gt_u32_e64 s[14:15], s33, v5
	v_lshlrev_b32_e32 v5, 2, v5
                                        ; implicit-def: $vgpr14
	s_and_saveexec_b64 s[18:19], s[14:15]
	s_cbranch_execz .LBB915_19
; %bb.18:
	v_mov_b32_e32 v7, s58
	v_add_co_u32_e64 v6, s[16:17], s7, v5
	v_addc_co_u32_e64 v7, s[16:17], 0, v7, s[16:17]
	flat_load_dword v14, v[6:7]
.LBB915_19:
	s_or_b64 exec, exec, s[18:19]
	v_or_b32_e32 v6, 0x800, v0
	v_cmp_gt_u32_e64 s[16:17], s33, v6
	v_lshlrev_b32_e32 v6, 2, v6
                                        ; implicit-def: $vgpr15
	s_and_saveexec_b64 s[20:21], s[16:17]
	s_cbranch_execz .LBB915_21
; %bb.20:
	v_mov_b32_e32 v7, s58
	v_add_co_u32_e64 v16, s[18:19], s7, v6
	v_addc_co_u32_e64 v17, s[18:19], 0, v7, s[18:19]
	flat_load_dword v15, v[16:17]
.LBB915_21:
	s_or_b64 exec, exec, s[20:21]
	v_or_b32_e32 v7, 0x900, v0
	v_cmp_gt_u32_e64 s[18:19], s33, v7
	v_lshlrev_b32_e32 v7, 2, v7
                                        ; implicit-def: $vgpr16
	s_and_saveexec_b64 s[22:23], s[18:19]
	s_cbranch_execz .LBB915_23
; %bb.22:
	v_mov_b32_e32 v17, s58
	v_add_co_u32_e64 v16, s[20:21], s7, v7
	v_addc_co_u32_e64 v17, s[20:21], 0, v17, s[20:21]
	flat_load_dword v16, v[16:17]
.LBB915_23:
	s_or_b64 exec, exec, s[22:23]
	v_or_b32_e32 v17, 0xa00, v0
	v_cmp_gt_u32_e64 s[20:21], s33, v17
	v_lshlrev_b32_e32 v22, 2, v17
                                        ; implicit-def: $vgpr17
	s_and_saveexec_b64 s[24:25], s[20:21]
	s_cbranch_execz .LBB915_25
; %bb.24:
	v_mov_b32_e32 v17, s58
	v_add_co_u32_e64 v18, s[22:23], s7, v22
	v_addc_co_u32_e64 v19, s[22:23], 0, v17, s[22:23]
	flat_load_dword v17, v[18:19]
.LBB915_25:
	s_or_b64 exec, exec, s[24:25]
	v_or_b32_e32 v18, 0xb00, v0
	v_cmp_gt_u32_e64 s[22:23], s33, v18
	v_lshlrev_b32_e32 v24, 2, v18
                                        ; implicit-def: $vgpr18
	s_and_saveexec_b64 s[26:27], s[22:23]
	s_cbranch_execz .LBB915_27
; %bb.26:
	v_mov_b32_e32 v19, s58
	v_add_co_u32_e64 v18, s[24:25], s7, v24
	v_addc_co_u32_e64 v19, s[24:25], 0, v19, s[24:25]
	flat_load_dword v18, v[18:19]
.LBB915_27:
	s_or_b64 exec, exec, s[26:27]
	v_or_b32_e32 v19, 0xc00, v0
	v_cmp_gt_u32_e64 s[24:25], s33, v19
	v_lshlrev_b32_e32 v25, 2, v19
                                        ; implicit-def: $vgpr19
	s_and_saveexec_b64 s[28:29], s[24:25]
	s_cbranch_execz .LBB915_29
; %bb.28:
	v_mov_b32_e32 v19, s58
	v_add_co_u32_e64 v20, s[26:27], s7, v25
	v_addc_co_u32_e64 v21, s[26:27], 0, v19, s[26:27]
	flat_load_dword v19, v[20:21]
.LBB915_29:
	s_or_b64 exec, exec, s[28:29]
	v_or_b32_e32 v20, 0xd00, v0
	v_cmp_gt_u32_e64 s[26:27], s33, v20
	v_lshlrev_b32_e32 v26, 2, v20
                                        ; implicit-def: $vgpr20
	s_and_saveexec_b64 s[34:35], s[26:27]
	s_cbranch_execz .LBB915_31
; %bb.30:
	v_mov_b32_e32 v21, s58
	v_add_co_u32_e64 v20, s[28:29], s7, v26
	v_addc_co_u32_e64 v21, s[28:29], 0, v21, s[28:29]
	flat_load_dword v20, v[20:21]
.LBB915_31:
	s_or_b64 exec, exec, s[34:35]
	v_or_b32_e32 v21, 0xe00, v0
	v_cmp_gt_u32_e64 s[28:29], s33, v21
	v_lshlrev_b32_e32 v27, 2, v21
                                        ; implicit-def: $vgpr21
	s_and_saveexec_b64 s[40:41], s[28:29]
	s_cbranch_execz .LBB915_33
; %bb.32:
	v_mov_b32_e32 v21, s58
	v_add_co_u32_e64 v28, s[34:35], s7, v27
	v_addc_co_u32_e64 v29, s[34:35], 0, v21, s[34:35]
	flat_load_dword v21, v[28:29]
.LBB915_33:
	s_or_b64 exec, exec, s[40:41]
	v_lshlrev_b32_e32 v23, 2, v0
	v_mad_u32_u24 v38, v0, 56, v23
	s_waitcnt vmcnt(0) lgkmcnt(0)
	ds_write2st64_b32 v23, v1, v8 offset1:4
	ds_write2st64_b32 v23, v9, v10 offset0:8 offset1:12
	ds_write2st64_b32 v23, v11, v12 offset0:16 offset1:20
	ds_write2st64_b32 v23, v13, v14 offset0:24 offset1:28
	ds_write2st64_b32 v23, v15, v16 offset0:32 offset1:36
	ds_write2st64_b32 v23, v17, v18 offset0:40 offset1:44
	ds_write2st64_b32 v23, v19, v20 offset0:48 offset1:52
	ds_write_b32 v23, v21 offset:14336
	s_waitcnt lgkmcnt(0)
	s_barrier
	ds_read2_b32 v[20:21], v38 offset1:1
	ds_read2_b32 v[18:19], v38 offset0:2 offset1:3
	ds_read2_b32 v[16:17], v38 offset0:4 offset1:5
	ds_read2_b32 v[14:15], v38 offset0:6 offset1:7
	ds_read2_b32 v[12:13], v38 offset0:8 offset1:9
	ds_read2_b32 v[10:11], v38 offset0:10 offset1:11
	ds_read2_b32 v[8:9], v38 offset0:12 offset1:13
	ds_read_b32 v1, v38 offset:56
	s_waitcnt lgkmcnt(0)
	s_barrier
	s_waitcnt lgkmcnt(0)
                                        ; implicit-def: $vgpr28
	s_and_saveexec_b64 s[34:35], vcc
	s_cbranch_execnz .LBB915_57
; %bb.34:
	s_or_b64 exec, exec, s[34:35]
                                        ; implicit-def: $vgpr29
	s_and_saveexec_b64 s[34:35], s[0:1]
	s_cbranch_execnz .LBB915_58
.LBB915_35:
	s_or_b64 exec, exec, s[34:35]
                                        ; implicit-def: $vgpr30
	s_and_saveexec_b64 s[0:1], s[2:3]
	s_cbranch_execnz .LBB915_59
.LBB915_36:
	s_or_b64 exec, exec, s[0:1]
                                        ; implicit-def: $vgpr31
	s_and_saveexec_b64 s[0:1], s[30:31]
	s_cbranch_execnz .LBB915_60
.LBB915_37:
	s_or_b64 exec, exec, s[0:1]
                                        ; implicit-def: $vgpr32
	s_and_saveexec_b64 s[0:1], s[8:9]
	s_cbranch_execnz .LBB915_61
.LBB915_38:
	s_or_b64 exec, exec, s[0:1]
                                        ; implicit-def: $vgpr2
	s_and_saveexec_b64 s[0:1], s[10:11]
	s_cbranch_execnz .LBB915_62
.LBB915_39:
	s_or_b64 exec, exec, s[0:1]
                                        ; implicit-def: $vgpr3
	s_and_saveexec_b64 s[0:1], s[12:13]
	s_cbranch_execnz .LBB915_63
.LBB915_40:
	s_or_b64 exec, exec, s[0:1]
                                        ; implicit-def: $vgpr4
	s_and_saveexec_b64 s[0:1], s[14:15]
	s_cbranch_execnz .LBB915_64
.LBB915_41:
	s_or_b64 exec, exec, s[0:1]
                                        ; implicit-def: $vgpr5
	s_and_saveexec_b64 s[0:1], s[16:17]
	s_cbranch_execnz .LBB915_65
.LBB915_42:
	s_or_b64 exec, exec, s[0:1]
                                        ; implicit-def: $vgpr6
	s_and_saveexec_b64 s[0:1], s[18:19]
	s_cbranch_execnz .LBB915_66
.LBB915_43:
	s_or_b64 exec, exec, s[0:1]
                                        ; implicit-def: $vgpr7
	s_and_saveexec_b64 s[0:1], s[20:21]
	s_cbranch_execnz .LBB915_67
.LBB915_44:
	s_or_b64 exec, exec, s[0:1]
                                        ; implicit-def: $vgpr22
	s_and_saveexec_b64 s[0:1], s[22:23]
	s_cbranch_execnz .LBB915_68
.LBB915_45:
	s_or_b64 exec, exec, s[0:1]
                                        ; implicit-def: $vgpr24
	s_and_saveexec_b64 s[0:1], s[24:25]
	s_cbranch_execnz .LBB915_69
.LBB915_46:
	s_or_b64 exec, exec, s[0:1]
                                        ; implicit-def: $vgpr25
	s_and_saveexec_b64 s[0:1], s[26:27]
	s_cbranch_execnz .LBB915_70
.LBB915_47:
	s_or_b64 exec, exec, s[0:1]
                                        ; implicit-def: $vgpr26
	s_and_saveexec_b64 s[0:1], s[28:29]
	s_cbranch_execz .LBB915_49
.LBB915_48:
	v_mov_b32_e32 v33, s57
	v_add_co_u32_e32 v26, vcc, s56, v27
	v_addc_co_u32_e32 v27, vcc, 0, v33, vcc
	flat_load_dword v26, v[26:27]
.LBB915_49:
	s_or_b64 exec, exec, s[0:1]
	s_waitcnt vmcnt(0) lgkmcnt(0)
	ds_write2st64_b32 v23, v28, v29 offset1:4
	ds_write2st64_b32 v23, v30, v31 offset0:8 offset1:12
	ds_write2st64_b32 v23, v32, v2 offset0:16 offset1:20
	;; [unrolled: 1-line block ×6, first 2 shown]
	ds_write_b32 v23, v26 offset:14336
	v_mov_b32_e32 v36, v20
	v_mov_b32_e32 v37, v18
	;; [unrolled: 1-line block ×7, first 2 shown]
	s_waitcnt lgkmcnt(0)
	s_barrier
.LBB915_50:
	ds_read2_b32 v[34:35], v38 offset1:1
	ds_read2_b32 v[32:33], v38 offset0:2 offset1:3
	ds_read2_b32 v[30:31], v38 offset0:4 offset1:5
	;; [unrolled: 1-line block ×6, first 2 shown]
	ds_read_b32 v80, v38 offset:56
	s_load_dwordx4 s[40:43], s[4:5], 0x28
	s_cmp_eq_u64 s[52:53], 0
	s_cselect_b64 s[34:35], -1, 0
	s_cmp_lg_u64 s[52:53], 0
	s_mov_b64 s[56:57], 0
	s_cselect_b64 s[2:3], -1, 0
	s_and_b64 vcc, exec, s[54:55]
	s_waitcnt lgkmcnt(0)
	s_barrier
	s_cbranch_vccz .LBB915_56
; %bb.51:
	s_and_b64 vcc, exec, s[2:3]
	s_cbranch_vccz .LBB915_71
; %bb.52:
	v_mov_b32_e32 v7, s58
	v_add_co_u32_e64 v38, vcc, -4, s7
	v_addc_co_u32_e32 v39, vcc, -1, v7, vcc
	flat_load_dword v7, v[38:39]
	v_lshlrev_b32_e32 v38, 2, v0
	v_cmp_ne_u32_e32 vcc, 0, v0
	ds_write_b32 v38, v1
	s_waitcnt lgkmcnt(0)
	s_barrier
	s_and_saveexec_b64 s[0:1], vcc
	s_cbranch_execz .LBB915_54
; %bb.53:
	s_waitcnt vmcnt(0)
	v_add_u32_e32 v7, -4, v38
	ds_read_b32 v7, v7
.LBB915_54:
	s_or_b64 exec, exec, s[0:1]
	v_cmp_ne_u32_e32 vcc, v36, v21
	v_cndmask_b32_e64 v79, 0, 1, vcc
	v_cmp_ne_u32_e32 vcc, v37, v21
	v_cndmask_b32_e64 v78, 0, 1, vcc
	;; [unrolled: 2-line block ×14, first 2 shown]
	s_waitcnt vmcnt(0) lgkmcnt(0)
	v_cmp_ne_u32_e64 s[0:1], v7, v20
	s_mov_b64 s[56:57], -1
.LBB915_55:
                                        ; implicit-def: $sgpr8
	s_branch .LBB915_83
.LBB915_56:
                                        ; implicit-def: $sgpr0_sgpr1
                                        ; implicit-def: $vgpr66
                                        ; implicit-def: $vgpr67
                                        ; implicit-def: $vgpr68
                                        ; implicit-def: $vgpr69
                                        ; implicit-def: $vgpr70
                                        ; implicit-def: $vgpr71
                                        ; implicit-def: $vgpr72
                                        ; implicit-def: $vgpr73
                                        ; implicit-def: $vgpr74
                                        ; implicit-def: $vgpr75
                                        ; implicit-def: $vgpr76
                                        ; implicit-def: $vgpr77
                                        ; implicit-def: $vgpr78
                                        ; implicit-def: $vgpr79
                                        ; implicit-def: $sgpr8
	s_cbranch_execnz .LBB915_75
	s_branch .LBB915_83
.LBB915_57:
	v_mov_b32_e32 v29, s57
	v_add_co_u32_e32 v28, vcc, s56, v23
	v_addc_co_u32_e32 v29, vcc, 0, v29, vcc
	flat_load_dword v28, v[28:29]
	s_or_b64 exec, exec, s[34:35]
                                        ; implicit-def: $vgpr29
	s_and_saveexec_b64 s[34:35], s[0:1]
	s_cbranch_execz .LBB915_35
.LBB915_58:
	v_mov_b32_e32 v29, s57
	v_add_co_u32_e32 v30, vcc, s56, v23
	v_addc_co_u32_e32 v31, vcc, 0, v29, vcc
	flat_load_dword v29, v[30:31] offset:1024
	s_or_b64 exec, exec, s[34:35]
                                        ; implicit-def: $vgpr30
	s_and_saveexec_b64 s[0:1], s[2:3]
	s_cbranch_execz .LBB915_36
.LBB915_59:
	v_mov_b32_e32 v31, s57
	v_add_co_u32_e32 v30, vcc, s56, v23
	v_addc_co_u32_e32 v31, vcc, 0, v31, vcc
	flat_load_dword v30, v[30:31] offset:2048
	s_or_b64 exec, exec, s[0:1]
                                        ; implicit-def: $vgpr31
	s_and_saveexec_b64 s[0:1], s[30:31]
	s_cbranch_execz .LBB915_37
.LBB915_60:
	v_mov_b32_e32 v31, s57
	v_add_co_u32_e32 v32, vcc, s56, v23
	v_addc_co_u32_e32 v33, vcc, 0, v31, vcc
	flat_load_dword v31, v[32:33] offset:3072
	s_or_b64 exec, exec, s[0:1]
                                        ; implicit-def: $vgpr32
	s_and_saveexec_b64 s[0:1], s[8:9]
	s_cbranch_execz .LBB915_38
.LBB915_61:
	v_mov_b32_e32 v33, s57
	v_add_co_u32_e32 v32, vcc, s56, v2
	v_addc_co_u32_e32 v33, vcc, 0, v33, vcc
	flat_load_dword v32, v[32:33]
	s_or_b64 exec, exec, s[0:1]
                                        ; implicit-def: $vgpr2
	s_and_saveexec_b64 s[0:1], s[10:11]
	s_cbranch_execz .LBB915_39
.LBB915_62:
	v_mov_b32_e32 v33, s57
	v_add_co_u32_e32 v2, vcc, s56, v3
	v_addc_co_u32_e32 v3, vcc, 0, v33, vcc
	flat_load_dword v2, v[2:3]
	s_or_b64 exec, exec, s[0:1]
                                        ; implicit-def: $vgpr3
	s_and_saveexec_b64 s[0:1], s[12:13]
	s_cbranch_execz .LBB915_40
.LBB915_63:
	v_mov_b32_e32 v3, s57
	v_add_co_u32_e32 v34, vcc, s56, v4
	v_addc_co_u32_e32 v35, vcc, 0, v3, vcc
	flat_load_dword v3, v[34:35]
	s_or_b64 exec, exec, s[0:1]
                                        ; implicit-def: $vgpr4
	s_and_saveexec_b64 s[0:1], s[14:15]
	s_cbranch_execz .LBB915_41
.LBB915_64:
	v_mov_b32_e32 v33, s57
	v_add_co_u32_e32 v4, vcc, s56, v5
	v_addc_co_u32_e32 v5, vcc, 0, v33, vcc
	flat_load_dword v4, v[4:5]
	s_or_b64 exec, exec, s[0:1]
                                        ; implicit-def: $vgpr5
	s_and_saveexec_b64 s[0:1], s[16:17]
	s_cbranch_execz .LBB915_42
.LBB915_65:
	v_mov_b32_e32 v5, s57
	v_add_co_u32_e32 v34, vcc, s56, v6
	v_addc_co_u32_e32 v35, vcc, 0, v5, vcc
	flat_load_dword v5, v[34:35]
	s_or_b64 exec, exec, s[0:1]
                                        ; implicit-def: $vgpr6
	s_and_saveexec_b64 s[0:1], s[18:19]
	s_cbranch_execz .LBB915_43
.LBB915_66:
	v_mov_b32_e32 v33, s57
	v_add_co_u32_e32 v6, vcc, s56, v7
	v_addc_co_u32_e32 v7, vcc, 0, v33, vcc
	flat_load_dword v6, v[6:7]
	s_or_b64 exec, exec, s[0:1]
                                        ; implicit-def: $vgpr7
	s_and_saveexec_b64 s[0:1], s[20:21]
	s_cbranch_execz .LBB915_44
.LBB915_67:
	v_mov_b32_e32 v7, s57
	v_add_co_u32_e32 v34, vcc, s56, v22
	v_addc_co_u32_e32 v35, vcc, 0, v7, vcc
	flat_load_dword v7, v[34:35]
	s_or_b64 exec, exec, s[0:1]
                                        ; implicit-def: $vgpr22
	s_and_saveexec_b64 s[0:1], s[22:23]
	s_cbranch_execz .LBB915_45
.LBB915_68:
	v_mov_b32_e32 v22, s57
	v_add_co_u32_e32 v34, vcc, s56, v24
	v_addc_co_u32_e32 v35, vcc, 0, v22, vcc
	flat_load_dword v22, v[34:35]
	s_or_b64 exec, exec, s[0:1]
                                        ; implicit-def: $vgpr24
	s_and_saveexec_b64 s[0:1], s[24:25]
	s_cbranch_execz .LBB915_46
.LBB915_69:
	v_mov_b32_e32 v33, s57
	v_add_co_u32_e32 v24, vcc, s56, v25
	v_addc_co_u32_e32 v25, vcc, 0, v33, vcc
	flat_load_dword v24, v[24:25]
	s_or_b64 exec, exec, s[0:1]
                                        ; implicit-def: $vgpr25
	s_and_saveexec_b64 s[0:1], s[26:27]
	s_cbranch_execz .LBB915_47
.LBB915_70:
	v_mov_b32_e32 v25, s57
	v_add_co_u32_e32 v34, vcc, s56, v26
	v_addc_co_u32_e32 v35, vcc, 0, v25, vcc
	flat_load_dword v25, v[34:35]
	s_or_b64 exec, exec, s[0:1]
                                        ; implicit-def: $vgpr26
	s_and_saveexec_b64 s[0:1], s[28:29]
	s_cbranch_execnz .LBB915_48
	s_branch .LBB915_49
.LBB915_71:
                                        ; implicit-def: $sgpr0_sgpr1
                                        ; implicit-def: $vgpr66
                                        ; implicit-def: $vgpr67
                                        ; implicit-def: $vgpr68
                                        ; implicit-def: $vgpr69
                                        ; implicit-def: $vgpr70
                                        ; implicit-def: $vgpr71
                                        ; implicit-def: $vgpr72
                                        ; implicit-def: $vgpr73
                                        ; implicit-def: $vgpr74
                                        ; implicit-def: $vgpr75
                                        ; implicit-def: $vgpr76
                                        ; implicit-def: $vgpr77
                                        ; implicit-def: $vgpr78
                                        ; implicit-def: $vgpr79
	s_cbranch_execz .LBB915_55
; %bb.72:
	v_cmp_ne_u32_e32 vcc, v21, v36
	v_cndmask_b32_e64 v79, 0, 1, vcc
	v_cmp_ne_u32_e32 vcc, v21, v37
	v_cndmask_b32_e64 v78, 0, 1, vcc
	;; [unrolled: 2-line block ×13, first 2 shown]
	v_cmp_ne_u32_e32 vcc, v9, v1
	v_lshlrev_b32_e32 v7, 2, v0
	v_cndmask_b32_e64 v66, 0, 1, vcc
	v_cmp_ne_u32_e32 vcc, 0, v0
	ds_write_b32 v7, v1
	s_waitcnt lgkmcnt(0)
	s_barrier
	s_waitcnt lgkmcnt(0)
                                        ; implicit-def: $sgpr0_sgpr1
	s_and_saveexec_b64 s[4:5], vcc
	s_xor_b64 s[4:5], exec, s[4:5]
	s_cbranch_execz .LBB915_74
; %bb.73:
	v_add_u32_e32 v2, -4, v7
	ds_read_b32 v2, v2
	s_or_b64 s[56:57], s[56:57], exec
	s_waitcnt lgkmcnt(0)
	v_cmp_ne_u32_e32 vcc, v2, v20
	s_and_b64 s[0:1], vcc, exec
.LBB915_74:
	s_or_b64 exec, exec, s[4:5]
	s_mov_b32 s8, 1
	s_branch .LBB915_83
.LBB915_75:
	s_mul_hi_u32 s1, s52, 0xfffff100
	s_mul_i32 s0, s53, 0xfffff100
	s_sub_i32 s1, s1, s52
	s_add_i32 s1, s1, s0
	s_mul_i32 s0, s52, 0xfffff100
	s_add_u32 s44, s0, s44
	s_addc_u32 s45, s1, s45
	s_and_b64 vcc, exec, s[2:3]
	v_cmp_ne_u32_e64 s[28:29], v9, v1
	v_cmp_ne_u32_e64 s[26:27], v8, v9
	;; [unrolled: 1-line block ×14, first 2 shown]
	v_mad_u32_u24 v2, v0, 15, 14
	v_mad_u32_u24 v56, v0, 15, 13
	;; [unrolled: 1-line block ×14, first 2 shown]
	v_cmp_ne_u32_e64 s[8:9], 0, v0
	s_cbranch_vccz .LBB915_80
; %bb.76:
	v_mov_b32_e32 v3, s58
	v_add_co_u32_e64 v58, vcc, -4, s7
	v_addc_co_u32_e32 v59, vcc, -1, v3, vcc
	flat_load_dword v60, v[58:59]
	v_mov_b32_e32 v3, 0
	v_cmp_gt_u64_e32 vcc, s[44:45], v[2:3]
	v_mov_b32_e32 v57, v3
	s_and_b64 s[28:29], vcc, s[28:29]
	v_cmp_gt_u64_e32 vcc, s[44:45], v[56:57]
	v_mov_b32_e32 v55, v3
	s_and_b64 s[26:27], vcc, s[26:27]
	;; [unrolled: 3-line block ×13, first 2 shown]
	v_cmp_gt_u64_e32 vcc, s[44:45], v[4:5]
	v_lshlrev_b32_e32 v59, 2, v0
	v_mul_u32_u24_e32 v58, 15, v0
	s_and_b64 s[0:1], vcc, s[0:1]
	ds_write_b32 v59, v1
	s_waitcnt lgkmcnt(0)
	s_barrier
	s_and_saveexec_b64 s[52:53], s[8:9]
	s_cbranch_execz .LBB915_78
; %bb.77:
	v_add_u32_e32 v5, -4, v59
	s_waitcnt vmcnt(0)
	ds_read_b32 v60, v5
.LBB915_78:
	s_or_b64 exec, exec, s[52:53]
	v_mov_b32_e32 v59, v3
	v_cndmask_b32_e64 v79, 0, 1, s[0:1]
	v_cmp_gt_u64_e32 vcc, s[44:45], v[58:59]
	s_waitcnt vmcnt(0) lgkmcnt(0)
	v_cmp_ne_u32_e64 s[0:1], v60, v20
	v_cndmask_b32_e64 v66, 0, 1, s[28:29]
	v_cndmask_b32_e64 v67, 0, 1, s[26:27]
	;; [unrolled: 1-line block ×13, first 2 shown]
	s_and_b64 s[0:1], vcc, s[0:1]
	s_mov_b64 s[56:57], -1
.LBB915_79:
                                        ; implicit-def: $sgpr8
	v_mov_b32_e32 v82, s8
	s_and_saveexec_b64 s[2:3], s[56:57]
	s_cbranch_execnz .LBB915_84
	s_branch .LBB915_85
.LBB915_80:
                                        ; implicit-def: $sgpr0_sgpr1
                                        ; implicit-def: $vgpr66
                                        ; implicit-def: $vgpr67
                                        ; implicit-def: $vgpr68
                                        ; implicit-def: $vgpr69
                                        ; implicit-def: $vgpr70
                                        ; implicit-def: $vgpr71
                                        ; implicit-def: $vgpr72
                                        ; implicit-def: $vgpr73
                                        ; implicit-def: $vgpr74
                                        ; implicit-def: $vgpr75
                                        ; implicit-def: $vgpr76
                                        ; implicit-def: $vgpr77
                                        ; implicit-def: $vgpr78
                                        ; implicit-def: $vgpr79
	s_cbranch_execz .LBB915_79
; %bb.81:
	v_mov_b32_e32 v3, 0
	v_cmp_gt_u64_e32 vcc, s[44:45], v[2:3]
	v_cmp_ne_u32_e64 s[0:1], v9, v1
	s_and_b64 s[0:1], vcc, s[0:1]
	v_mov_b32_e32 v57, v3
	v_cndmask_b32_e64 v66, 0, 1, s[0:1]
	v_cmp_gt_u64_e32 vcc, s[44:45], v[56:57]
	v_cmp_ne_u32_e64 s[0:1], v8, v9
	s_and_b64 s[0:1], vcc, s[0:1]
	v_mov_b32_e32 v55, v3
	v_cndmask_b32_e64 v67, 0, 1, s[0:1]
	;; [unrolled: 5-line block ×13, first 2 shown]
	v_cmp_gt_u64_e32 vcc, s[44:45], v[4:5]
	v_cmp_ne_u32_e64 s[0:1], v20, v21
	s_and_b64 s[0:1], vcc, s[0:1]
	v_lshlrev_b32_e32 v58, 2, v0
	s_mov_b32 s8, 1
	v_cndmask_b32_e64 v79, 0, 1, s[0:1]
	v_cmp_ne_u32_e32 vcc, 0, v0
	ds_write_b32 v58, v1
	s_waitcnt lgkmcnt(0)
	s_barrier
	s_waitcnt lgkmcnt(0)
                                        ; implicit-def: $sgpr0_sgpr1
	s_and_saveexec_b64 s[2:3], vcc
	s_cbranch_execz .LBB915_166
; %bb.82:
	v_add_u32_e32 v2, -4, v58
	ds_read_b32 v4, v2
	v_mul_u32_u24_e32 v2, 15, v0
	v_cmp_gt_u64_e32 vcc, s[44:45], v[2:3]
	s_or_b64 s[56:57], s[56:57], exec
	s_waitcnt lgkmcnt(0)
	v_cmp_ne_u32_e64 s[0:1], v4, v20
	s_and_b64 s[0:1], vcc, s[0:1]
	s_and_b64 s[0:1], s[0:1], exec
	s_or_b64 exec, exec, s[2:3]
.LBB915_83:
	v_mov_b32_e32 v82, s8
	s_and_saveexec_b64 s[2:3], s[56:57]
.LBB915_84:
	v_cndmask_b32_e64 v82, 0, 1, s[0:1]
.LBB915_85:
	s_or_b64 exec, exec, s[2:3]
	s_cmp_eq_u64 s[38:39], 0
	v_add3_u32 v2, v79, v82, v78
	s_cselect_b64 s[38:39], -1, 0
	s_cmp_lg_u32 s6, 0
	v_cmp_eq_u32_e64 s[24:25], 0, v79
	v_cmp_eq_u32_e64 s[22:23], 0, v78
	;; [unrolled: 1-line block ×3, first 2 shown]
	v_add3_u32 v86, v2, v77, v76
	v_cmp_eq_u32_e64 s[18:19], 0, v76
	v_cmp_eq_u32_e64 s[16:17], 0, v75
	;; [unrolled: 1-line block ×10, first 2 shown]
	v_cmp_eq_u32_e32 vcc, 0, v66
	v_mbcnt_lo_u32_b32 v85, -1, 0
	v_lshrrev_b32_e32 v83, 6, v0
	v_or_b32_e32 v84, 63, v0
	s_cbranch_scc0 .LBB915_112
; %bb.86:
	v_cndmask_b32_e64 v2, 0, v34, s[24:25]
	v_add_u32_e32 v2, v2, v35
	v_cndmask_b32_e64 v2, 0, v2, s[22:23]
	v_add_u32_e32 v2, v2, v32
	v_cndmask_b32_e64 v2, 0, v2, s[20:21]
	v_add_u32_e32 v2, v2, v33
	v_cndmask_b32_e64 v2, 0, v2, s[18:19]
	v_add_u32_e32 v2, v2, v30
	v_cndmask_b32_e64 v2, 0, v2, s[16:17]
	v_add_u32_e32 v2, v2, v31
	v_cndmask_b32_e64 v2, 0, v2, s[14:15]
	v_add_u32_e32 v2, v2, v28
	v_cndmask_b32_e64 v2, 0, v2, s[12:13]
	v_add_u32_e32 v2, v2, v29
	v_cndmask_b32_e64 v2, 0, v2, s[10:11]
	v_add_u32_e32 v2, v2, v26
	v_cndmask_b32_e64 v2, 0, v2, s[8:9]
	v_add_u32_e32 v2, v2, v27
	v_cndmask_b32_e64 v2, 0, v2, s[28:29]
	v_add_u32_e32 v2, v2, v24
	v_cndmask_b32_e64 v2, 0, v2, s[4:5]
	v_add_u32_e32 v2, v2, v25
	v_cndmask_b32_e64 v2, 0, v2, s[2:3]
	v_add3_u32 v3, v86, v75, v74
	v_add_u32_e32 v2, v2, v22
	v_add3_u32 v3, v3, v73, v72
	v_cndmask_b32_e64 v2, 0, v2, s[0:1]
	v_add3_u32 v3, v3, v71, v70
	v_add_u32_e32 v2, v2, v23
	v_add3_u32 v3, v3, v69, v68
	v_cndmask_b32_e32 v2, 0, v2, vcc
	v_add3_u32 v3, v3, v67, v66
	v_add_u32_e32 v2, v2, v80
	v_mbcnt_hi_u32_b32 v39, -1, v85
	v_and_b32_e32 v4, 15, v39
	v_mov_b32_dpp v6, v2 row_shr:1 row_mask:0xf bank_mask:0xf
	v_cmp_eq_u32_e32 vcc, 0, v3
	v_mov_b32_dpp v5, v3 row_shr:1 row_mask:0xf bank_mask:0xf
	v_cndmask_b32_e32 v6, 0, v6, vcc
	v_cmp_eq_u32_e32 vcc, 0, v4
	v_cndmask_b32_e64 v5, v5, 0, vcc
	v_add_u32_e32 v3, v5, v3
	v_cndmask_b32_e64 v5, v6, 0, vcc
	v_add_u32_e32 v2, v5, v2
	v_cmp_eq_u32_e32 vcc, 0, v3
	v_mov_b32_dpp v5, v3 row_shr:2 row_mask:0xf bank_mask:0xf
	v_cmp_lt_u32_e64 s[26:27], 1, v4
	v_mov_b32_dpp v6, v2 row_shr:2 row_mask:0xf bank_mask:0xf
	v_cndmask_b32_e64 v5, 0, v5, s[26:27]
	s_and_b64 vcc, s[26:27], vcc
	v_cndmask_b32_e32 v6, 0, v6, vcc
	v_add_u32_e32 v3, v3, v5
	v_add_u32_e32 v2, v6, v2
	v_cmp_eq_u32_e32 vcc, 0, v3
	v_mov_b32_dpp v5, v3 row_shr:4 row_mask:0xf bank_mask:0xf
	v_cmp_lt_u32_e64 s[26:27], 3, v4
	v_mov_b32_dpp v6, v2 row_shr:4 row_mask:0xf bank_mask:0xf
	v_cndmask_b32_e64 v5, 0, v5, s[26:27]
	s_and_b64 vcc, s[26:27], vcc
	v_cndmask_b32_e32 v6, 0, v6, vcc
	v_add_u32_e32 v3, v5, v3
	v_add_u32_e32 v2, v2, v6
	v_cmp_eq_u32_e32 vcc, 0, v3
	v_cmp_lt_u32_e64 s[26:27], 7, v4
	v_mov_b32_dpp v5, v3 row_shr:8 row_mask:0xf bank_mask:0xf
	v_mov_b32_dpp v6, v2 row_shr:8 row_mask:0xf bank_mask:0xf
	s_and_b64 vcc, s[26:27], vcc
	v_cndmask_b32_e64 v4, 0, v5, s[26:27]
	v_cndmask_b32_e32 v5, 0, v6, vcc
	v_add_u32_e32 v2, v5, v2
	v_add_u32_e32 v3, v4, v3
	v_bfe_i32 v6, v39, 4, 1
	v_mov_b32_dpp v5, v2 row_bcast:15 row_mask:0xf bank_mask:0xf
	v_mov_b32_dpp v4, v3 row_bcast:15 row_mask:0xf bank_mask:0xf
	v_cmp_eq_u32_e32 vcc, 0, v3
	v_cndmask_b32_e32 v5, 0, v5, vcc
	v_and_b32_e32 v4, v6, v4
	v_add_u32_e32 v3, v4, v3
	v_and_b32_e32 v4, v6, v5
	v_add_u32_e32 v4, v4, v2
	v_mov_b32_dpp v2, v3 row_bcast:31 row_mask:0xf bank_mask:0xf
	v_cmp_eq_u32_e32 vcc, 0, v3
	v_cmp_lt_u32_e64 s[26:27], 31, v39
	v_mov_b32_dpp v5, v4 row_bcast:31 row_mask:0xf bank_mask:0xf
	v_cndmask_b32_e64 v2, 0, v2, s[26:27]
	s_and_b64 vcc, s[26:27], vcc
	v_add_u32_e32 v2, v2, v3
	v_cndmask_b32_e32 v3, 0, v5, vcc
	v_add_u32_e32 v3, v3, v4
	v_cmp_eq_u32_e32 vcc, v84, v0
	v_lshlrev_b32_e32 v4, 3, v83
	s_and_saveexec_b64 s[26:27], vcc
	s_cbranch_execz .LBB915_88
; %bb.87:
	ds_write_b64 v4, v[2:3] offset:2064
.LBB915_88:
	s_or_b64 exec, exec, s[26:27]
	v_cmp_gt_u32_e32 vcc, 4, v0
	s_waitcnt lgkmcnt(0)
	s_barrier
	s_and_saveexec_b64 s[30:31], vcc
	s_cbranch_execz .LBB915_90
; %bb.89:
	v_lshlrev_b32_e32 v5, 3, v0
	ds_read_b64 v[6:7], v5 offset:2064
	v_and_b32_e32 v36, 3, v39
	v_cmp_lt_u32_e64 s[26:27], 1, v36
	s_waitcnt lgkmcnt(0)
	v_mov_b32_dpp v38, v7 row_shr:1 row_mask:0xf bank_mask:0xf
	v_cmp_eq_u32_e32 vcc, 0, v6
	v_mov_b32_dpp v37, v6 row_shr:1 row_mask:0xf bank_mask:0xf
	v_cndmask_b32_e32 v38, 0, v38, vcc
	v_cmp_eq_u32_e32 vcc, 0, v36
	v_cndmask_b32_e64 v37, v37, 0, vcc
	v_add_u32_e32 v6, v37, v6
	v_cndmask_b32_e64 v37, v38, 0, vcc
	v_add_u32_e32 v7, v37, v7
	v_cmp_eq_u32_e32 vcc, 0, v6
	v_mov_b32_dpp v37, v6 row_shr:2 row_mask:0xf bank_mask:0xf
	v_mov_b32_dpp v38, v7 row_shr:2 row_mask:0xf bank_mask:0xf
	v_cndmask_b32_e64 v36, 0, v37, s[26:27]
	s_and_b64 vcc, s[26:27], vcc
	v_add_u32_e32 v6, v36, v6
	v_cndmask_b32_e32 v36, 0, v38, vcc
	v_add_u32_e32 v7, v36, v7
	ds_write_b64 v5, v[6:7] offset:2064
.LBB915_90:
	s_or_b64 exec, exec, s[30:31]
	v_cmp_gt_u32_e32 vcc, 64, v0
	v_cmp_lt_u32_e64 s[26:27], 63, v0
	v_mov_b32_e32 v36, 0
	v_mov_b32_e32 v37, 0
	s_waitcnt lgkmcnt(0)
	s_barrier
	s_and_saveexec_b64 s[30:31], s[26:27]
	s_cbranch_execz .LBB915_92
; %bb.91:
	ds_read_b64 v[36:37], v4 offset:2056
	v_cmp_eq_u32_e64 s[26:27], 0, v2
	s_waitcnt lgkmcnt(0)
	v_add_u32_e32 v4, v36, v2
	v_cndmask_b32_e64 v2, 0, v37, s[26:27]
	v_add_u32_e32 v3, v2, v3
	v_mov_b32_e32 v2, v4
.LBB915_92:
	s_or_b64 exec, exec, s[30:31]
	v_add_u32_e32 v4, -1, v39
	v_and_b32_e32 v5, 64, v39
	v_cmp_lt_i32_e64 s[26:27], v4, v5
	v_cndmask_b32_e64 v4, v4, v39, s[26:27]
	v_lshlrev_b32_e32 v4, 2, v4
	ds_bpermute_b32 v44, v4, v2
	ds_bpermute_b32 v45, v4, v3
	v_cmp_eq_u32_e64 s[26:27], 0, v39
	s_and_saveexec_b64 s[44:45], vcc
	s_cbranch_execz .LBB915_111
; %bb.93:
	v_mov_b32_e32 v7, 0
	ds_read_b64 v[2:3], v7 offset:2088
	s_waitcnt lgkmcnt(0)
	v_readfirstlane_b32 s7, v2
	v_readfirstlane_b32 s54, v3
	s_and_saveexec_b64 s[30:31], s[26:27]
	s_cbranch_execz .LBB915_95
; %bb.94:
	s_add_i32 s52, s6, 64
	s_mov_b32 s53, 0
	s_lshl_b64 s[56:57], s[52:53], 4
	s_add_u32 s56, s36, s56
	s_addc_u32 s57, s37, s57
	s_and_b32 s59, s54, 0xff000000
	s_mov_b32 s58, s53
	s_and_b32 s61, s54, 0xff0000
	s_mov_b32 s60, s53
	s_or_b64 s[58:59], s[60:61], s[58:59]
	s_and_b32 s61, s54, 0xff00
	s_or_b64 s[58:59], s[58:59], s[60:61]
	s_and_b32 s61, s54, 0xff
	s_or_b64 s[52:53], s[58:59], s[60:61]
	v_mov_b32_e32 v4, s7
	v_mov_b32_e32 v5, s53
	;; [unrolled: 1-line block ×3, first 2 shown]
	v_pk_mov_b32 v[2:3], s[56:57], s[56:57] op_sel:[0,1]
	;;#ASMSTART
	global_store_dwordx4 v[2:3], v[4:7] off	
s_waitcnt vmcnt(0)
	;;#ASMEND
.LBB915_95:
	s_or_b64 exec, exec, s[30:31]
	v_xad_u32 v38, v39, -1, s6
	v_add_u32_e32 v6, 64, v38
	v_lshlrev_b64 v[2:3], 4, v[6:7]
	v_mov_b32_e32 v4, s37
	v_add_co_u32_e32 v40, vcc, s36, v2
	v_addc_co_u32_e32 v41, vcc, v4, v3, vcc
	;;#ASMSTART
	global_load_dwordx4 v[2:5], v[40:41] off glc	
s_waitcnt vmcnt(0)
	;;#ASMEND
	v_and_b32_e32 v5, 0xff, v3
	v_and_b32_e32 v6, 0xff00, v3
	;; [unrolled: 1-line block ×3, first 2 shown]
	v_or3_b32 v5, 0, v5, v6
	v_or3_b32 v2, v2, 0, 0
	v_and_b32_e32 v3, 0xff000000, v3
	v_or3_b32 v3, v5, v42, v3
	v_or3_b32 v2, v2, 0, 0
	v_cmp_eq_u16_sdwa s[52:53], v4, v7 src0_sel:BYTE_0 src1_sel:DWORD
	s_and_saveexec_b64 s[30:31], s[52:53]
	s_cbranch_execz .LBB915_99
; %bb.96:
	s_mov_b64 s[52:53], 0
	v_mov_b32_e32 v6, 0
.LBB915_97:                             ; =>This Inner Loop Header: Depth=1
	;;#ASMSTART
	global_load_dwordx4 v[2:5], v[40:41] off glc	
s_waitcnt vmcnt(0)
	;;#ASMEND
	v_cmp_ne_u16_sdwa s[56:57], v4, v6 src0_sel:BYTE_0 src1_sel:DWORD
	s_or_b64 s[52:53], s[56:57], s[52:53]
	s_andn2_b64 exec, exec, s[52:53]
	s_cbranch_execnz .LBB915_97
; %bb.98:
	s_or_b64 exec, exec, s[52:53]
.LBB915_99:
	s_or_b64 exec, exec, s[30:31]
	v_mov_b32_e32 v46, 2
	v_cmp_eq_u16_sdwa s[30:31], v4, v46 src0_sel:BYTE_0 src1_sel:DWORD
	v_lshlrev_b64 v[40:41], v39, -1
	v_and_b32_e32 v5, s31, v41
	v_and_b32_e32 v47, 63, v39
	v_or_b32_e32 v5, 0x80000000, v5
	v_cmp_ne_u32_e32 vcc, 63, v47
	v_and_b32_e32 v6, s30, v40
	v_ffbl_b32_e32 v5, v5
	v_addc_co_u32_e32 v7, vcc, 0, v39, vcc
	v_add_u32_e32 v5, 32, v5
	v_ffbl_b32_e32 v6, v6
	v_lshlrev_b32_e32 v48, 2, v7
	v_min_u32_e32 v5, v6, v5
	ds_bpermute_b32 v6, v48, v3
	v_cmp_eq_u32_e32 vcc, 0, v2
	v_cmp_lt_u32_e64 s[30:31], v47, v5
	ds_bpermute_b32 v7, v48, v2
	s_and_b64 vcc, s[30:31], vcc
	s_waitcnt lgkmcnt(1)
	v_cndmask_b32_e32 v6, 0, v6, vcc
	v_cmp_gt_u32_e32 vcc, 62, v47
	v_add_u32_e32 v3, v6, v3
	v_cndmask_b32_e64 v6, 0, 1, vcc
	v_lshlrev_b32_e32 v6, 1, v6
	v_add_lshl_u32 v49, v6, v39, 2
	s_waitcnt lgkmcnt(0)
	v_cndmask_b32_e64 v7, 0, v7, s[30:31]
	ds_bpermute_b32 v6, v49, v3
	v_add_u32_e32 v2, v7, v2
	ds_bpermute_b32 v7, v49, v2
	v_add_u32_e32 v50, 2, v47
	v_cmp_eq_u32_e32 vcc, 0, v2
	s_waitcnt lgkmcnt(1)
	v_cndmask_b32_e32 v6, 0, v6, vcc
	v_cmp_gt_u32_e32 vcc, v50, v5
	v_cndmask_b32_e64 v6, v6, 0, vcc
	v_add_u32_e32 v3, v6, v3
	s_waitcnt lgkmcnt(0)
	v_cndmask_b32_e64 v6, v7, 0, vcc
	v_cmp_gt_u32_e32 vcc, 60, v47
	v_cndmask_b32_e64 v7, 0, 1, vcc
	v_lshlrev_b32_e32 v7, 2, v7
	v_add_lshl_u32 v51, v7, v39, 2
	ds_bpermute_b32 v7, v51, v3
	v_add_u32_e32 v2, v2, v6
	ds_bpermute_b32 v6, v51, v2
	v_add_u32_e32 v52, 4, v47
	v_cmp_eq_u32_e32 vcc, 0, v2
	s_waitcnt lgkmcnt(1)
	v_cndmask_b32_e32 v7, 0, v7, vcc
	v_cmp_gt_u32_e32 vcc, v52, v5
	v_cndmask_b32_e64 v7, v7, 0, vcc
	s_waitcnt lgkmcnt(0)
	v_cndmask_b32_e64 v6, v6, 0, vcc
	v_cmp_gt_u32_e32 vcc, 56, v47
	v_add_u32_e32 v3, v3, v7
	v_cndmask_b32_e64 v7, 0, 1, vcc
	v_lshlrev_b32_e32 v7, 3, v7
	v_add_lshl_u32 v53, v7, v39, 2
	ds_bpermute_b32 v7, v53, v3
	v_add_u32_e32 v2, v2, v6
	ds_bpermute_b32 v6, v53, v2
	v_add_u32_e32 v54, 8, v47
	v_cmp_eq_u32_e32 vcc, 0, v2
	s_waitcnt lgkmcnt(1)
	v_cndmask_b32_e32 v7, 0, v7, vcc
	v_cmp_gt_u32_e32 vcc, v54, v5
	v_cndmask_b32_e64 v7, v7, 0, vcc
	s_waitcnt lgkmcnt(0)
	v_cndmask_b32_e64 v6, v6, 0, vcc
	v_cmp_gt_u32_e32 vcc, 48, v47
	v_add_u32_e32 v3, v3, v7
	;; [unrolled: 16-line block ×3, first 2 shown]
	v_cndmask_b32_e64 v7, 0, 1, vcc
	v_lshlrev_b32_e32 v7, 5, v7
	v_add_lshl_u32 v57, v7, v39, 2
	ds_bpermute_b32 v7, v57, v3
	v_add_u32_e32 v2, v2, v6
	ds_bpermute_b32 v6, v57, v2
	v_add_u32_e32 v58, 32, v47
	v_cmp_eq_u32_e32 vcc, 0, v2
	s_waitcnt lgkmcnt(1)
	v_cndmask_b32_e32 v7, 0, v7, vcc
	v_cmp_gt_u32_e32 vcc, v58, v5
	v_cndmask_b32_e64 v5, v7, 0, vcc
	v_add_u32_e32 v3, v5, v3
	s_waitcnt lgkmcnt(0)
	v_cndmask_b32_e64 v5, v6, 0, vcc
	v_add_u32_e32 v2, v5, v2
	v_mov_b32_e32 v39, 0
	s_branch .LBB915_101
.LBB915_100:                            ;   in Loop: Header=BB915_101 Depth=1
	s_or_b64 exec, exec, s[30:31]
	v_cmp_eq_u16_sdwa s[30:31], v4, v46 src0_sel:BYTE_0 src1_sel:DWORD
	v_and_b32_e32 v5, s31, v41
	v_or_b32_e32 v5, 0x80000000, v5
	v_and_b32_e32 v42, s30, v40
	v_ffbl_b32_e32 v5, v5
	v_add_u32_e32 v5, 32, v5
	v_ffbl_b32_e32 v42, v42
	v_min_u32_e32 v5, v42, v5
	ds_bpermute_b32 v42, v48, v3
	v_cmp_eq_u32_e32 vcc, 0, v2
	v_cmp_lt_u32_e64 s[30:31], v47, v5
	ds_bpermute_b32 v43, v48, v2
	s_and_b64 vcc, s[30:31], vcc
	s_waitcnt lgkmcnt(1)
	v_cndmask_b32_e32 v42, 0, v42, vcc
	v_add_u32_e32 v3, v42, v3
	ds_bpermute_b32 v42, v49, v3
	s_waitcnt lgkmcnt(1)
	v_cndmask_b32_e64 v43, 0, v43, s[30:31]
	v_add_u32_e32 v2, v43, v2
	v_cmp_eq_u32_e32 vcc, 0, v2
	ds_bpermute_b32 v43, v49, v2
	s_waitcnt lgkmcnt(1)
	v_cndmask_b32_e32 v42, 0, v42, vcc
	v_cmp_gt_u32_e32 vcc, v50, v5
	v_cndmask_b32_e64 v42, v42, 0, vcc
	v_add_u32_e32 v3, v42, v3
	ds_bpermute_b32 v42, v51, v3
	s_waitcnt lgkmcnt(1)
	v_cndmask_b32_e64 v43, v43, 0, vcc
	v_add_u32_e32 v2, v2, v43
	v_cmp_eq_u32_e32 vcc, 0, v2
	ds_bpermute_b32 v43, v51, v2
	s_waitcnt lgkmcnt(1)
	v_cndmask_b32_e32 v42, 0, v42, vcc
	v_cmp_gt_u32_e32 vcc, v52, v5
	v_cndmask_b32_e64 v42, v42, 0, vcc
	v_add_u32_e32 v3, v3, v42
	ds_bpermute_b32 v42, v53, v3
	s_waitcnt lgkmcnt(1)
	v_cndmask_b32_e64 v43, v43, 0, vcc
	v_add_u32_e32 v2, v2, v43
	ds_bpermute_b32 v43, v53, v2
	v_cmp_eq_u32_e32 vcc, 0, v2
	s_waitcnt lgkmcnt(1)
	v_cndmask_b32_e32 v42, 0, v42, vcc
	v_cmp_gt_u32_e32 vcc, v54, v5
	v_cndmask_b32_e64 v42, v42, 0, vcc
	v_add_u32_e32 v3, v3, v42
	ds_bpermute_b32 v42, v55, v3
	s_waitcnt lgkmcnt(1)
	v_cndmask_b32_e64 v43, v43, 0, vcc
	v_add_u32_e32 v2, v2, v43
	ds_bpermute_b32 v43, v55, v2
	v_cmp_eq_u32_e32 vcc, 0, v2
	;; [unrolled: 11-line block ×3, first 2 shown]
	s_waitcnt lgkmcnt(1)
	v_cndmask_b32_e32 v42, 0, v42, vcc
	v_cmp_gt_u32_e32 vcc, v58, v5
	v_cndmask_b32_e64 v5, v42, 0, vcc
	v_add_u32_e32 v3, v5, v3
	s_waitcnt lgkmcnt(0)
	v_cndmask_b32_e64 v5, v43, 0, vcc
	v_cmp_eq_u32_e32 vcc, 0, v6
	v_cndmask_b32_e32 v3, 0, v3, vcc
	v_subrev_u32_e32 v38, 64, v38
	v_add3_u32 v2, v2, v6, v5
	v_add_u32_e32 v3, v3, v7
.LBB915_101:                            ; =>This Loop Header: Depth=1
                                        ;     Child Loop BB915_104 Depth 2
	v_cmp_ne_u16_sdwa s[30:31], v4, v46 src0_sel:BYTE_0 src1_sel:DWORD
	v_mov_b32_e32 v7, v3
	v_cndmask_b32_e64 v3, 0, 1, s[30:31]
	;;#ASMSTART
	;;#ASMEND
	v_cmp_ne_u32_e32 vcc, 0, v3
	s_cmp_lg_u64 vcc, exec
	v_mov_b32_e32 v6, v2
	s_cbranch_scc1 .LBB915_106
; %bb.102:                              ;   in Loop: Header=BB915_101 Depth=1
	v_lshlrev_b64 v[2:3], 4, v[38:39]
	v_mov_b32_e32 v4, s37
	v_add_co_u32_e32 v42, vcc, s36, v2
	v_addc_co_u32_e32 v43, vcc, v4, v3, vcc
	;;#ASMSTART
	global_load_dwordx4 v[2:5], v[42:43] off glc	
s_waitcnt vmcnt(0)
	;;#ASMEND
	v_and_b32_e32 v5, 0xff, v3
	v_and_b32_e32 v59, 0xff00, v3
	;; [unrolled: 1-line block ×3, first 2 shown]
	v_or3_b32 v5, 0, v5, v59
	v_or3_b32 v2, v2, 0, 0
	v_and_b32_e32 v3, 0xff000000, v3
	v_or3_b32 v3, v5, v60, v3
	v_or3_b32 v2, v2, 0, 0
	v_cmp_eq_u16_sdwa s[52:53], v4, v39 src0_sel:BYTE_0 src1_sel:DWORD
	s_and_saveexec_b64 s[30:31], s[52:53]
	s_cbranch_execz .LBB915_100
; %bb.103:                              ;   in Loop: Header=BB915_101 Depth=1
	s_mov_b64 s[52:53], 0
.LBB915_104:                            ;   Parent Loop BB915_101 Depth=1
                                        ; =>  This Inner Loop Header: Depth=2
	;;#ASMSTART
	global_load_dwordx4 v[2:5], v[42:43] off glc	
s_waitcnt vmcnt(0)
	;;#ASMEND
	v_cmp_ne_u16_sdwa s[56:57], v4, v39 src0_sel:BYTE_0 src1_sel:DWORD
	s_or_b64 s[52:53], s[56:57], s[52:53]
	s_andn2_b64 exec, exec, s[52:53]
	s_cbranch_execnz .LBB915_104
; %bb.105:                              ;   in Loop: Header=BB915_101 Depth=1
	s_or_b64 exec, exec, s[52:53]
	s_branch .LBB915_100
.LBB915_106:                            ;   in Loop: Header=BB915_101 Depth=1
                                        ; implicit-def: $vgpr3
                                        ; implicit-def: $vgpr2
                                        ; implicit-def: $vgpr4
	s_cbranch_execz .LBB915_101
; %bb.107:
	s_and_saveexec_b64 s[30:31], s[26:27]
	s_cbranch_execz .LBB915_109
; %bb.108:
	s_cmp_eq_u32 s7, 0
	s_cselect_b64 vcc, -1, 0
	s_mov_b32 s53, 0
	v_cndmask_b32_e32 v2, 0, v7, vcc
	s_add_i32 s52, s6, 64
	v_add_u32_e32 v2, s54, v2
	s_lshl_b64 s[52:53], s[52:53], 4
	s_add_u32 s52, s36, s52
	v_and_b32_e32 v3, 0xff000000, v2
	v_and_b32_e32 v4, 0xff0000, v2
	s_addc_u32 s53, s37, s53
	v_or_b32_e32 v3, v4, v3
	v_and_b32_e32 v4, 0xff00, v2
	v_and_b32_e32 v2, 0xff, v2
	v_add_u32_e32 v38, s7, v6
	v_mov_b32_e32 v41, 0
	v_or3_b32 v39, v3, v4, v2
	v_mov_b32_e32 v40, 2
	v_pk_mov_b32 v[2:3], s[52:53], s[52:53] op_sel:[0,1]
	;;#ASMSTART
	global_store_dwordx4 v[2:3], v[38:41] off	
s_waitcnt vmcnt(0)
	;;#ASMEND
	v_mov_b32_e32 v4, s7
	v_mov_b32_e32 v5, s54
	ds_write_b128 v41, v[4:7] offset:2048
.LBB915_109:
	s_or_b64 exec, exec, s[30:31]
	v_cmp_eq_u32_e32 vcc, 0, v0
	s_and_b64 exec, exec, vcc
	s_cbranch_execz .LBB915_111
; %bb.110:
	v_mov_b32_e32 v2, 0
	ds_write_b64 v2, v[6:7] offset:2088
.LBB915_111:
	s_or_b64 exec, exec, s[44:45]
	v_mov_b32_e32 v4, 0
	s_waitcnt lgkmcnt(0)
	s_barrier
	ds_read_b64 v[2:3], v4 offset:2088
	v_cndmask_b32_e64 v6, v44, v36, s[26:27]
	v_cmp_eq_u32_e32 vcc, 0, v6
	v_cndmask_b32_e64 v5, v45, v37, s[26:27]
	s_waitcnt lgkmcnt(0)
	v_cndmask_b32_e32 v7, 0, v3, vcc
	v_add_u32_e32 v5, v7, v5
	v_cmp_eq_u32_e32 vcc, 0, v0
	v_cndmask_b32_e32 v65, v5, v3, vcc
	v_cndmask_b32_e64 v3, v6, 0, vcc
	v_cmp_eq_u32_e32 vcc, 0, v82
	v_add_u32_e32 v64, v2, v3
	v_cndmask_b32_e32 v2, 0, v65, vcc
	v_add_u32_e32 v63, v2, v34
	v_cndmask_b32_e64 v2, 0, v63, s[24:25]
	v_add_u32_e32 v61, v2, v35
	v_cndmask_b32_e64 v2, 0, v61, s[22:23]
	;; [unrolled: 2-line block ×8, first 2 shown]
	v_add_u32_e32 v62, v64, v82
	v_add_u32_e32 v47, v2, v26
	v_add_u32_e32 v60, v62, v79
	v_cndmask_b32_e64 v2, 0, v47, s[8:9]
	v_add_u32_e32 v58, v60, v78
	v_add_u32_e32 v45, v2, v27
	v_add_u32_e32 v56, v58, v77
	v_cndmask_b32_e64 v2, 0, v45, s[28:29]
	;; [unrolled: 4-line block ×3, first 2 shown]
	v_add_u32_e32 v50, v52, v74
	v_add_u32_e32 v41, v2, v25
	s_barrier
	ds_read_b128 v[2:5], v4 offset:2048
	v_add_u32_e32 v48, v50, v73
	v_add_u32_e32 v46, v48, v72
	;; [unrolled: 1-line block ×4, first 2 shown]
	v_cndmask_b32_e64 v6, 0, v41, s[2:3]
	v_add_u32_e32 v40, v42, v69
	v_add_u32_e32 v39, v6, v22
	s_waitcnt lgkmcnt(0)
	v_cmp_eq_u32_e32 vcc, 0, v2
	v_add_u32_e32 v38, v40, v68
	v_cndmask_b32_e64 v6, 0, v39, s[0:1]
	v_cndmask_b32_e32 v5, 0, v5, vcc
	v_add_u32_e32 v36, v38, v67
	v_add_u32_e32 v37, v6, v23
	;; [unrolled: 1-line block ×3, first 2 shown]
	s_branch .LBB915_124
.LBB915_112:
                                        ; implicit-def: $vgpr2
                                        ; implicit-def: $vgpr81
                                        ; implicit-def: $vgpr64_vgpr65
                                        ; implicit-def: $vgpr62_vgpr63
                                        ; implicit-def: $vgpr60_vgpr61
                                        ; implicit-def: $vgpr58_vgpr59
                                        ; implicit-def: $vgpr56_vgpr57
                                        ; implicit-def: $vgpr54_vgpr55
                                        ; implicit-def: $vgpr52_vgpr53
                                        ; implicit-def: $vgpr50_vgpr51
                                        ; implicit-def: $vgpr48_vgpr49
                                        ; implicit-def: $vgpr46_vgpr47
                                        ; implicit-def: $vgpr44_vgpr45
                                        ; implicit-def: $vgpr42_vgpr43
                                        ; implicit-def: $vgpr40_vgpr41
                                        ; implicit-def: $vgpr38_vgpr39
                                        ; implicit-def: $vgpr36_vgpr37
	s_cbranch_execz .LBB915_124
; %bb.113:
	s_and_b64 s[0:1], s[38:39], exec
	s_cselect_b32 s1, 0, s51
	s_cselect_b32 s0, 0, s50
	s_cmp_eq_u64 s[0:1], 0
	v_mov_b32_e32 v6, v34
	s_cbranch_scc1 .LBB915_115
; %bb.114:
	v_mov_b32_e32 v2, 0
	global_load_dword v6, v2, s[0:1]
.LBB915_115:
	v_cmp_eq_u32_e64 s[0:1], 0, v79
	v_cndmask_b32_e64 v2, 0, v34, s[0:1]
	v_add_u32_e32 v2, v2, v35
	v_cmp_eq_u32_e64 s[2:3], 0, v78
	v_cndmask_b32_e64 v2, 0, v2, s[2:3]
	v_add_u32_e32 v2, v2, v32
	;; [unrolled: 3-line block ×11, first 2 shown]
	v_cmp_eq_u32_e64 s[22:23], 0, v68
	v_cndmask_b32_e64 v2, 0, v2, s[22:23]
	v_add3_u32 v3, v86, v75, v74
	v_add_u32_e32 v2, v2, v22
	v_cmp_eq_u32_e32 vcc, 0, v67
	v_add3_u32 v3, v3, v73, v72
	v_cndmask_b32_e32 v2, 0, v2, vcc
	v_add3_u32 v3, v3, v71, v70
	v_add_u32_e32 v2, v2, v23
	v_cmp_eq_u32_e64 s[24:25], 0, v66
	v_add3_u32 v3, v3, v69, v68
	v_cndmask_b32_e64 v2, 0, v2, s[24:25]
	v_add3_u32 v3, v3, v67, v66
	v_add_u32_e32 v2, v2, v80
	v_mbcnt_hi_u32_b32 v7, -1, v85
	v_and_b32_e32 v4, 15, v7
	v_mov_b32_dpp v36, v2 row_shr:1 row_mask:0xf bank_mask:0xf
	v_cmp_eq_u32_e64 s[24:25], 0, v3
	v_mov_b32_dpp v5, v3 row_shr:1 row_mask:0xf bank_mask:0xf
	v_cndmask_b32_e64 v36, 0, v36, s[24:25]
	v_cmp_eq_u32_e64 s[24:25], 0, v4
	v_cndmask_b32_e64 v5, v5, 0, s[24:25]
	v_add_u32_e32 v3, v5, v3
	v_cndmask_b32_e64 v5, v36, 0, s[24:25]
	v_add_u32_e32 v2, v5, v2
	v_cmp_eq_u32_e64 s[24:25], 0, v3
	v_mov_b32_dpp v5, v3 row_shr:2 row_mask:0xf bank_mask:0xf
	v_cmp_lt_u32_e64 s[26:27], 1, v4
	v_mov_b32_dpp v36, v2 row_shr:2 row_mask:0xf bank_mask:0xf
	v_cndmask_b32_e64 v5, 0, v5, s[26:27]
	s_and_b64 s[24:25], s[26:27], s[24:25]
	v_cndmask_b32_e64 v36, 0, v36, s[24:25]
	v_add_u32_e32 v3, v3, v5
	v_add_u32_e32 v2, v36, v2
	v_cmp_eq_u32_e64 s[24:25], 0, v3
	v_mov_b32_dpp v5, v3 row_shr:4 row_mask:0xf bank_mask:0xf
	v_cmp_lt_u32_e64 s[26:27], 3, v4
	v_mov_b32_dpp v36, v2 row_shr:4 row_mask:0xf bank_mask:0xf
	v_cndmask_b32_e64 v5, 0, v5, s[26:27]
	s_and_b64 s[24:25], s[26:27], s[24:25]
	v_cndmask_b32_e64 v36, 0, v36, s[24:25]
	v_add_u32_e32 v3, v5, v3
	v_add_u32_e32 v2, v2, v36
	v_cmp_eq_u32_e64 s[24:25], 0, v3
	v_cmp_lt_u32_e64 s[26:27], 7, v4
	v_mov_b32_dpp v5, v3 row_shr:8 row_mask:0xf bank_mask:0xf
	v_mov_b32_dpp v36, v2 row_shr:8 row_mask:0xf bank_mask:0xf
	s_and_b64 s[24:25], s[26:27], s[24:25]
	v_cndmask_b32_e64 v4, 0, v5, s[26:27]
	v_cndmask_b32_e64 v5, 0, v36, s[24:25]
	v_add_u32_e32 v2, v5, v2
	v_add_u32_e32 v3, v4, v3
	v_bfe_i32 v36, v7, 4, 1
	v_mov_b32_dpp v5, v2 row_bcast:15 row_mask:0xf bank_mask:0xf
	v_mov_b32_dpp v4, v3 row_bcast:15 row_mask:0xf bank_mask:0xf
	v_cmp_eq_u32_e64 s[24:25], 0, v3
	v_cndmask_b32_e64 v5, 0, v5, s[24:25]
	v_and_b32_e32 v4, v36, v4
	v_add_u32_e32 v3, v4, v3
	v_and_b32_e32 v4, v36, v5
	v_add_u32_e32 v4, v4, v2
	v_mov_b32_dpp v2, v3 row_bcast:31 row_mask:0xf bank_mask:0xf
	v_cmp_eq_u32_e64 s[24:25], 0, v3
	v_cmp_lt_u32_e64 s[26:27], 31, v7
	v_mov_b32_dpp v5, v4 row_bcast:31 row_mask:0xf bank_mask:0xf
	v_cndmask_b32_e64 v2, 0, v2, s[26:27]
	s_and_b64 s[24:25], s[26:27], s[24:25]
	v_add_u32_e32 v2, v2, v3
	v_cndmask_b32_e64 v3, 0, v5, s[24:25]
	v_add_u32_e32 v3, v3, v4
	v_cmp_eq_u32_e64 s[24:25], v84, v0
	v_lshlrev_b32_e32 v5, 3, v83
	s_and_saveexec_b64 s[26:27], s[24:25]
	s_cbranch_execz .LBB915_117
; %bb.116:
	ds_write_b64 v5, v[2:3] offset:2064
.LBB915_117:
	s_or_b64 exec, exec, s[26:27]
	v_cmp_gt_u32_e64 s[24:25], 4, v0
	s_waitcnt lgkmcnt(0)
	s_barrier
	s_and_saveexec_b64 s[28:29], s[24:25]
	s_cbranch_execz .LBB915_119
; %bb.118:
	v_lshlrev_b32_e32 v4, 3, v0
	ds_read_b64 v[36:37], v4 offset:2064
	v_and_b32_e32 v38, 3, v7
	v_cmp_lt_u32_e64 s[26:27], 1, v38
	s_waitcnt lgkmcnt(0)
	v_mov_b32_dpp v40, v37 row_shr:1 row_mask:0xf bank_mask:0xf
	v_cmp_eq_u32_e64 s[24:25], 0, v36
	v_mov_b32_dpp v39, v36 row_shr:1 row_mask:0xf bank_mask:0xf
	v_cndmask_b32_e64 v40, 0, v40, s[24:25]
	v_cmp_eq_u32_e64 s[24:25], 0, v38
	v_cndmask_b32_e64 v39, v39, 0, s[24:25]
	v_add_u32_e32 v36, v39, v36
	v_cndmask_b32_e64 v39, v40, 0, s[24:25]
	v_add_u32_e32 v37, v39, v37
	v_cmp_eq_u32_e64 s[24:25], 0, v36
	v_mov_b32_dpp v39, v36 row_shr:2 row_mask:0xf bank_mask:0xf
	v_mov_b32_dpp v40, v37 row_shr:2 row_mask:0xf bank_mask:0xf
	v_cndmask_b32_e64 v38, 0, v39, s[26:27]
	s_and_b64 s[24:25], s[26:27], s[24:25]
	v_add_u32_e32 v36, v38, v36
	v_cndmask_b32_e64 v38, 0, v40, s[24:25]
	v_add_u32_e32 v37, v38, v37
	ds_write_b64 v4, v[36:37] offset:2064
.LBB915_119:
	s_or_b64 exec, exec, s[28:29]
	v_cmp_lt_u32_e64 s[24:25], 63, v0
	v_mov_b32_e32 v36, 0
	v_mov_b32_e32 v4, 0
	s_waitcnt vmcnt(0)
	v_mov_b32_e32 v37, v6
	s_waitcnt lgkmcnt(0)
	s_barrier
	s_and_saveexec_b64 s[26:27], s[24:25]
	s_cbranch_execz .LBB915_121
; %bb.120:
	ds_read_b64 v[4:5], v5 offset:2056
	s_waitcnt lgkmcnt(0)
	v_cmp_eq_u32_e64 s[24:25], 0, v4
	v_cndmask_b32_e64 v37, 0, v6, s[24:25]
	v_add_u32_e32 v37, v37, v5
.LBB915_121:
	s_or_b64 exec, exec, s[26:27]
	v_cmp_eq_u32_e64 s[24:25], 0, v2
	v_add_u32_e32 v5, v4, v2
	v_cndmask_b32_e64 v2, 0, v37, s[24:25]
	v_add_u32_e32 v2, v2, v3
	v_add_u32_e32 v3, -1, v7
	v_and_b32_e32 v38, 64, v7
	v_cmp_lt_i32_e64 s[24:25], v3, v38
	v_cndmask_b32_e64 v3, v3, v7, s[24:25]
	v_lshlrev_b32_e32 v3, 2, v3
	ds_bpermute_b32 v5, v3, v5
	ds_bpermute_b32 v2, v3, v2
	v_cmp_eq_u32_e64 s[24:25], 0, v7
	v_cmp_eq_u32_e64 s[26:27], 0, v82
	s_waitcnt lgkmcnt(1)
	v_cndmask_b32_e64 v3, v5, v4, s[24:25]
	s_waitcnt lgkmcnt(0)
	v_cndmask_b32_e64 v2, v2, v37, s[24:25]
	v_cmp_eq_u32_e64 s[24:25], 0, v0
	v_cndmask_b32_e64 v65, v2, v6, s[24:25]
	v_cndmask_b32_e64 v2, 0, v65, s[26:27]
	v_add_u32_e32 v63, v2, v34
	v_cndmask_b32_e64 v2, 0, v63, s[0:1]
	v_add_u32_e32 v61, v2, v35
	;; [unrolled: 2-line block ×8, first 2 shown]
	v_cndmask_b32_e64 v64, v3, 0, s[24:25]
	v_cndmask_b32_e64 v2, 0, v49, s[14:15]
	v_add_u32_e32 v62, v64, v82
	v_add_u32_e32 v47, v2, v26
	v_add_u32_e32 v60, v62, v79
	v_cndmask_b32_e64 v2, 0, v47, s[16:17]
	v_add_u32_e32 v58, v60, v78
	v_add_u32_e32 v45, v2, v27
	v_add_u32_e32 v56, v58, v77
	;; [unrolled: 4-line block ×3, first 2 shown]
	v_cndmask_b32_e64 v2, 0, v43, s[20:21]
	v_add_u32_e32 v50, v52, v74
	v_add_u32_e32 v41, v2, v25
	ds_read_b64 v[2:3], v36 offset:2088
	v_add_u32_e32 v48, v50, v73
	v_add_u32_e32 v46, v48, v72
	;; [unrolled: 1-line block ×3, first 2 shown]
	v_cndmask_b32_e64 v4, 0, v41, s[22:23]
	v_add_u32_e32 v42, v44, v70
	v_add_u32_e32 v39, v4, v22
	;; [unrolled: 1-line block ×3, first 2 shown]
	v_cndmask_b32_e32 v4, 0, v39, vcc
	s_waitcnt lgkmcnt(0)
	v_cmp_eq_u32_e32 vcc, 0, v2
	v_add_u32_e32 v38, v40, v68
	v_add_u32_e32 v37, v4, v23
	v_cndmask_b32_e32 v4, 0, v6, vcc
	v_add_u32_e32 v36, v38, v67
	v_add_u32_e32 v81, v4, v3
	s_and_saveexec_b64 s[0:1], s[24:25]
	s_cbranch_execz .LBB915_123
; %bb.122:
	s_add_u32 s2, s36, 0x400
	v_and_b32_e32 v3, 0xff000000, v81
	v_and_b32_e32 v4, 0xff0000, v81
	s_addc_u32 s3, s37, 0
	v_or_b32_e32 v3, v4, v3
	v_and_b32_e32 v4, 0xff00, v81
	v_and_b32_e32 v6, 0xff, v81
	v_mov_b32_e32 v5, 0
	v_or3_b32 v3, v3, v4, v6
	v_mov_b32_e32 v4, 2
	v_pk_mov_b32 v[6:7], s[2:3], s[2:3] op_sel:[0,1]
	;;#ASMSTART
	global_store_dwordx4 v[6:7], v[2:5] off	
s_waitcnt vmcnt(0)
	;;#ASMEND
.LBB915_123:
	s_or_b64 exec, exec, s[0:1]
	v_mov_b32_e32 v4, 0
.LBB915_124:
	s_and_b64 s[0:1], s[38:39], exec
	s_cselect_b32 s1, 0, s47
	s_cselect_b32 s0, 0, s46
	s_cmp_eq_u64 s[0:1], 0
	v_pk_mov_b32 v[6:7], 0, 0
	s_barrier
	s_cbranch_scc1 .LBB915_126
; %bb.125:
	v_mov_b32_e32 v3, 0
	global_load_dwordx2 v[6:7], v3, s[0:1]
.LBB915_126:
	s_movk_i32 s36, 0x100
	v_cmp_gt_u32_e32 vcc, s36, v2
	s_cbranch_vccnz .LBB915_133
; %bb.127:
	v_cmp_eq_u32_e64 s[26:27], 0, v79
	v_cndmask_b32_e64 v33, 1, 2, s[26:27]
	v_cmp_eq_u32_e64 s[26:27], 0, v82
	v_cmp_eq_u32_e64 s[24:25], 0, v78
	v_cndmask_b32_e64 v34, 1, 2, s[26:27]
	v_cmp_eq_u32_e64 s[22:23], 0, v77
	v_cndmask_b32_e64 v32, 1, 2, s[24:25]
	v_and_b32_e32 v33, v33, v34
	v_cmp_eq_u32_e64 s[20:21], 0, v76
	v_cndmask_b32_e64 v31, 1, 2, s[22:23]
	v_and_b32_e32 v32, v33, v32
	;; [unrolled: 3-line block ×11, first 2 shown]
	v_cmp_eq_u32_e32 vcc, 0, v66
	v_cndmask_b32_e64 v5, 1, 2, s[0:1]
	v_and_b32_e32 v22, v23, v22
	v_cndmask_b32_e64 v3, 1, 2, vcc
	v_and_b32_e32 v5, v22, v5
	v_and_b32_e32 v3, v5, v3
	v_cmp_ne_u32_e64 s[18:19], 0, v82
	v_cmp_ne_u32_e32 vcc, 0, v67
	v_cmp_ne_u32_e64 s[0:1], 0, v68
	v_cmp_ne_u32_e64 s[2:3], 0, v69
	v_cmp_ne_u32_e64 s[4:5], 0, v70
	v_cmp_ne_u32_e64 s[6:7], 0, v71
	v_cmp_ne_u32_e64 s[8:9], 0, v72
	v_cmp_ne_u32_e64 s[10:11], 0, v73
	v_cmp_ne_u32_e64 s[12:13], 0, v74
	v_cmp_ne_u32_e64 s[14:15], 0, v75
	v_cmp_ne_u32_e64 s[16:17], 0, v76
	v_cmp_ne_u32_e64 s[20:21], 0, v77
	v_cmp_ne_u32_e64 s[22:23], 0, v78
	v_cmp_ne_u32_e64 s[24:25], 0, v79
	v_cmp_gt_i16_e64 s[26:27], 2, v3
	s_and_saveexec_b64 s[28:29], s[26:27]
	s_cbranch_execz .LBB915_132
; %bb.128:
	v_cmp_ne_u16_e64 s[26:27], 1, v3
	s_mov_b64 s[30:31], 0
	s_and_saveexec_b64 s[38:39], s[26:27]
	s_xor_b64 s[26:27], exec, s[38:39]
	s_cbranch_execnz .LBB915_167
; %bb.129:
	s_andn2_saveexec_b64 s[0:1], s[26:27]
	s_cbranch_execnz .LBB915_183
.LBB915_130:
	s_or_b64 exec, exec, s[0:1]
	s_and_b64 exec, exec, s[30:31]
	s_cbranch_execz .LBB915_132
.LBB915_131:
	v_sub_u32_e32 v3, v36, v4
	v_lshlrev_b32_e32 v3, 2, v3
	ds_write_b32 v3, v1
.LBB915_132:
	s_or_b64 exec, exec, s[28:29]
	s_waitcnt lgkmcnt(0)
	s_barrier
.LBB915_133:
	s_cmpk_lg_i32 s33, 0xf00
	s_cselect_b64 s[0:1], -1, 0
	s_and_b64 s[0:1], s[48:49], s[0:1]
	v_cmp_eq_u32_e32 vcc, 0, v0
	v_cndmask_b32_e64 v8, 0, 1, s[0:1]
	s_and_b64 s[0:1], vcc, s[34:35]
	v_cndmask_b32_e64 v9, v82, 0, s[0:1]
	s_mul_hi_u32 s0, s33, 0x88888889
	s_lshr_b32 s0, s0, 3
	v_mad_i32_i24 v10, v0, -15, s33
	v_cmp_eq_u32_e32 vcc, s0, v0
	v_cmp_ne_u32_e64 s[0:1], 0, v10
	v_cndmask_b32_e64 v11, 1, v9, s[0:1]
	v_cmp_ne_u32_e64 s[0:1], 1, v10
	v_cndmask_b32_e64 v12, 1, v79, s[0:1]
	;; [unrolled: 2-line block ×15, first 2 shown]
	s_and_b64 vcc, s[48:49], vcc
	v_cndmask_b32_e32 v25, v66, v10, vcc
	v_cndmask_b32_e32 v29, v9, v11, vcc
	s_waitcnt vmcnt(0)
	v_lshlrev_b64 v[10:11], 2, v[6:7]
	v_mov_b32_e32 v5, 0
	v_cndmask_b32_e32 v24, v67, v24, vcc
	v_cndmask_b32_e32 v23, v68, v23, vcc
	;; [unrolled: 1-line block ×13, first 2 shown]
	v_mov_b32_e32 v9, s41
	v_add_co_u32_e32 v12, vcc, s40, v10
	v_addc_co_u32_e32 v9, vcc, v9, v11, vcc
	v_lshlrev_b64 v[10:11], 2, v[4:5]
	v_cndmask_b32_e64 v1, 0, 1, s[34:35]
	v_add_co_u32_e32 v5, vcc, v12, v10
	v_addc_co_u32_e32 v12, vcc, v9, v11, vcc
	v_lshlrev_b32_e32 v9, 2, v1
	v_add_co_u32_e32 v9, vcc, v9, v5
	v_addc_co_u32_e32 v10, vcc, 0, v12, vcc
	v_add_co_u32_e32 v13, vcc, -4, v9
	v_addc_co_u32_e32 v14, vcc, -1, v10, vcc
	v_cmp_eq_u32_e32 vcc, 0, v29
	v_cndmask_b32_e64 v10, 1, 2, vcc
	v_cmp_eq_u32_e32 vcc, 0, v28
	v_cndmask_b32_e64 v11, 1, 2, vcc
	v_cmp_eq_u32_e32 vcc, 0, v27
	v_and_b32_e32 v10, v11, v10
	v_cndmask_b32_e64 v11, 1, 2, vcc
	v_cmp_eq_u32_e32 vcc, 0, v26
	v_and_b32_e32 v10, v10, v11
	;; [unrolled: 3-line block ×11, first 2 shown]
	v_cndmask_b32_e64 v11, 1, 2, vcc
	v_cmp_eq_u32_e32 vcc, 0, v24
	v_sub_u32_e32 v3, v2, v1
	v_and_b32_e32 v10, v10, v11
	v_cndmask_b32_e64 v11, 1, 2, vcc
	v_cmp_eq_u32_e32 vcc, 0, v25
	v_add_u32_e32 v3, v3, v8
	v_and_b32_e32 v10, v10, v11
	v_cndmask_b32_e64 v11, 1, 2, vcc
	v_and_b32_e32 v10, v10, v11
	v_cmp_gt_u32_e32 vcc, s36, v3
	v_add_u32_e32 v9, v4, v1
	v_cmp_ne_u32_e64 s[28:29], 0, v29
	v_cmp_ne_u32_e64 s[26:27], 0, v28
	v_cmp_ne_u32_e64 s[24:25], 0, v27
	v_cmp_ne_u32_e64 s[22:23], 0, v26
	v_cmp_ne_u32_e64 s[20:21], 0, v15
	v_cmp_ne_u32_e64 s[18:19], 0, v16
	v_cmp_ne_u32_e64 s[16:17], 0, v17
	v_cmp_ne_u32_e64 s[14:15], 0, v18
	v_cmp_ne_u32_e64 s[12:13], 0, v19
	v_cmp_ne_u32_e64 s[10:11], 0, v20
	v_cmp_ne_u32_e64 s[8:9], 0, v21
	v_cmp_ne_u32_e64 s[6:7], 0, v22
	v_cmp_ne_u32_e64 s[4:5], 0, v23
	v_cmp_ne_u32_e64 s[2:3], 0, v24
	v_cmp_ne_u32_e64 s[0:1], 0, v25
	s_mov_b64 s[34:35], -1
	v_cmp_gt_i16_e64 s[30:31], 2, v10
	s_barrier
	s_cbranch_vccz .LBB915_140
; %bb.134:
	s_and_saveexec_b64 s[34:35], s[30:31]
	s_cbranch_execz .LBB915_139
; %bb.135:
	v_cmp_ne_u16_e32 vcc, 1, v10
	s_mov_b64 s[36:37], 0
	s_and_saveexec_b64 s[30:31], vcc
	s_xor_b64 s[30:31], exec, s[30:31]
	s_cbranch_execnz .LBB915_184
; %bb.136:
	s_andn2_saveexec_b64 s[30:31], s[30:31]
	s_cbranch_execnz .LBB915_200
.LBB915_137:
	s_or_b64 exec, exec, s[30:31]
	s_and_b64 exec, exec, s[36:37]
	s_cbranch_execz .LBB915_139
.LBB915_138:
	v_sub_u32_e32 v16, v36, v9
	v_mov_b32_e32 v17, 0
	v_lshlrev_b64 v[16:17], 2, v[16:17]
	v_add_co_u32_e32 v16, vcc, v13, v16
	v_addc_co_u32_e32 v17, vcc, v14, v17, vcc
	global_store_dword v[16:17], v37, off
.LBB915_139:
	s_or_b64 exec, exec, s[34:35]
	s_mov_b64 s[34:35], 0
.LBB915_140:
	s_and_b64 vcc, exec, s[34:35]
	s_cbranch_vccz .LBB915_162
; %bb.141:
	v_cmp_gt_i16_e32 vcc, 2, v10
	s_and_saveexec_b64 s[30:31], vcc
	s_cbranch_execz .LBB915_146
; %bb.142:
	v_cmp_ne_u16_e32 vcc, 1, v10
	s_mov_b64 s[36:37], 0
	s_and_saveexec_b64 s[34:35], vcc
	s_xor_b64 s[34:35], exec, s[34:35]
	s_cbranch_execnz .LBB915_201
; %bb.143:
	s_andn2_saveexec_b64 s[0:1], s[34:35]
	s_cbranch_execnz .LBB915_217
.LBB915_144:
	s_or_b64 exec, exec, s[0:1]
	s_and_b64 exec, exec, s[36:37]
	s_cbranch_execz .LBB915_146
.LBB915_145:
	v_sub_u32_e32 v9, v36, v9
	v_lshlrev_b32_e32 v9, 2, v9
	ds_write_b32 v9, v37
.LBB915_146:
	s_or_b64 exec, exec, s[30:31]
	v_cmp_lt_u32_e32 vcc, v0, v3
	s_waitcnt lgkmcnt(0)
	s_barrier
	s_and_saveexec_b64 s[2:3], vcc
	s_cbranch_execz .LBB915_161
; %bb.147:
	v_add_u32_e32 v10, v2, v8
	v_xad_u32 v8, v0, -1, v10
	v_sub_u32_e32 v9, v8, v1
	s_movk_i32 s0, 0x1900
	v_cmp_gt_u32_e64 s[4:5], s0, v9
	s_movk_i32 s0, 0x18ff
	v_cmp_lt_u32_e32 vcc, s0, v9
	v_mov_b32_e32 v8, v0
	s_and_saveexec_b64 s[6:7], vcc
	s_cbranch_execz .LBB915_158
; %bb.148:
	v_sub_u32_e32 v8, v0, v10
	v_add_u32_e32 v1, v8, v1
	v_or_b32_e32 v1, 0xff, v1
	v_cmp_ge_u32_e32 vcc, v1, v0
	s_mov_b64 s[0:1], -1
	v_mov_b32_e32 v8, v0
	s_and_saveexec_b64 s[8:9], vcc
	s_cbranch_execz .LBB915_157
; %bb.149:
	v_lshrrev_b32_e32 v15, 8, v9
	v_add_u32_e32 v8, -1, v15
	v_or_b32_e32 v1, 0x100, v0
	v_lshrrev_b32_e32 v9, 1, v8
	v_add_u32_e32 v17, 1, v9
	v_cmp_lt_u32_e32 vcc, 13, v8
	v_mov_b32_e32 v20, 0
	v_lshlrev_b32_e32 v16, 2, v0
	v_pk_mov_b32 v[8:9], v[0:1], v[0:1] op_sel:[0,1]
	s_and_saveexec_b64 s[10:11], vcc
	s_cbranch_execz .LBB915_153
; %bb.150:
	v_and_b32_e32 v18, -8, v17
	s_mov_b32 s14, 0
	s_mov_b64 s[12:13], 0
	v_mov_b32_e32 v11, 0
	v_mov_b32_e32 v19, v16
	v_pk_mov_b32 v[8:9], v[0:1], v[0:1] op_sel:[0,1]
.LBB915_151:                            ; =>This Inner Loop Header: Depth=1
	v_mov_b32_e32 v10, v8
	v_add_u32_e32 v18, -8, v18
	v_lshlrev_b64 v[50:51], 2, v[10:11]
	v_mov_b32_e32 v10, v9
	ds_read2st64_b32 v[22:23], v19 offset1:4
	s_add_i32 s14, s14, 16
	v_cmp_eq_u32_e32 vcc, 0, v18
	v_lshlrev_b64 v[54:55], 2, v[10:11]
	v_add_u32_e32 v10, 0x200, v8
	s_or_b64 s[12:13], vcc, s[12:13]
	v_add_co_u32_e32 v54, vcc, v13, v54
	v_add_u32_e32 v20, 0x200, v9
	v_mov_b32_e32 v21, v11
	ds_read2st64_b32 v[24:25], v19 offset0:8 offset1:12
	ds_read2st64_b32 v[28:29], v19 offset0:16 offset1:20
	v_add_co_u32_e64 v50, s[0:1], v13, v50
	v_addc_co_u32_e32 v55, vcc, v14, v55, vcc
	v_lshlrev_b64 v[56:57], 2, v[10:11]
	v_lshlrev_b64 v[52:53], 2, v[20:21]
	v_addc_co_u32_e64 v51, s[0:1], v14, v51, s[0:1]
	v_add_u32_e32 v10, 0x400, v8
	v_add_co_u32_e32 v56, vcc, v13, v56
	v_add_u32_e32 v26, 0x400, v9
	v_mov_b32_e32 v27, v11
	ds_read2st64_b32 v[32:33], v19 offset0:24 offset1:28
	v_add_co_u32_e64 v52, s[0:1], v13, v52
	v_addc_co_u32_e32 v57, vcc, v14, v57, vcc
	v_lshlrev_b64 v[58:59], 2, v[10:11]
	ds_read2st64_b32 v[36:37], v19 offset0:32 offset1:36
	ds_read2st64_b32 v[40:41], v19 offset0:40 offset1:44
	;; [unrolled: 1-line block ×4, first 2 shown]
	v_lshlrev_b64 v[26:27], 2, v[26:27]
	v_addc_co_u32_e64 v53, s[0:1], v14, v53, s[0:1]
	v_add_u32_e32 v10, 0x600, v8
	s_waitcnt lgkmcnt(7)
	global_store_dword v[50:51], v22, off
	global_store_dword v[54:55], v23, off
	s_waitcnt lgkmcnt(6)
	global_store_dword v[56:57], v24, off
	global_store_dword v[52:53], v25, off
	v_add_co_u32_e32 v22, vcc, v13, v58
	v_add_u32_e32 v30, 0x600, v9
	v_mov_b32_e32 v31, v11
	v_add_co_u32_e64 v26, s[0:1], v13, v26
	v_addc_co_u32_e32 v23, vcc, v14, v59, vcc
	v_lshlrev_b64 v[24:25], 2, v[10:11]
	v_lshlrev_b64 v[30:31], 2, v[30:31]
	v_addc_co_u32_e64 v27, s[0:1], v14, v27, s[0:1]
	v_add_u32_e32 v10, 0x800, v8
	s_waitcnt lgkmcnt(5)
	global_store_dword v[22:23], v28, off
	global_store_dword v[26:27], v29, off
	v_add_co_u32_e32 v22, vcc, v13, v24
	v_add_u32_e32 v34, 0x800, v9
	v_mov_b32_e32 v35, v11
	v_add_co_u32_e64 v30, s[0:1], v13, v30
	v_addc_co_u32_e32 v23, vcc, v14, v25, vcc
	v_lshlrev_b64 v[24:25], 2, v[10:11]
	v_lshlrev_b64 v[34:35], 2, v[34:35]
	v_addc_co_u32_e64 v31, s[0:1], v14, v31, s[0:1]
	v_add_u32_e32 v10, 0xa00, v8
	;; [unrolled: 12-line block ×4, first 2 shown]
	s_waitcnt lgkmcnt(2)
	global_store_dword v[22:23], v40, off
	global_store_dword v[38:39], v41, off
	v_add_co_u32_e32 v22, vcc, v13, v24
	v_add_u32_e32 v46, 0xe00, v9
	v_mov_b32_e32 v47, v11
	v_add_co_u32_e64 v42, s[0:1], v13, v42
	v_addc_co_u32_e32 v23, vcc, v14, v25, vcc
	v_lshlrev_b64 v[24:25], 2, v[10:11]
	v_lshlrev_b64 v[46:47], 2, v[46:47]
	v_addc_co_u32_e64 v43, s[0:1], v14, v43, s[0:1]
	s_waitcnt lgkmcnt(1)
	global_store_dword v[22:23], v44, off
	global_store_dword v[42:43], v45, off
	v_add_co_u32_e32 v22, vcc, v13, v24
	v_add_u32_e32 v19, 0x4000, v19
	v_add_u32_e32 v9, 0x1000, v9
	v_mov_b32_e32 v20, s14
	v_add_co_u32_e64 v46, s[0:1], v13, v46
	v_add_u32_e32 v8, 0x1000, v8
	v_addc_co_u32_e32 v23, vcc, v14, v25, vcc
	v_addc_co_u32_e64 v47, s[0:1], v14, v47, s[0:1]
	s_waitcnt lgkmcnt(0)
	global_store_dword v[22:23], v48, off
	global_store_dword v[46:47], v49, off
	s_andn2_b64 exec, exec, s[12:13]
	s_cbranch_execnz .LBB915_151
; %bb.152:
	s_or_b64 exec, exec, s[12:13]
.LBB915_153:
	s_or_b64 exec, exec, s[10:11]
	v_and_b32_e32 v1, 7, v17
	v_cmp_ne_u32_e32 vcc, 0, v1
	s_and_saveexec_b64 s[10:11], vcc
	s_cbranch_execz .LBB915_156
; %bb.154:
	v_lshl_or_b32 v16, v20, 10, v16
	s_mov_b64 s[12:13], 0
	v_mov_b32_e32 v11, 0
.LBB915_155:                            ; =>This Inner Loop Header: Depth=1
	ds_read2st64_b32 v[18:19], v16 offset1:4
	v_mov_b32_e32 v10, v8
	v_add_u32_e32 v1, -1, v1
	v_lshlrev_b64 v[20:21], 2, v[10:11]
	v_mov_b32_e32 v10, v9
	v_cmp_eq_u32_e32 vcc, 0, v1
	v_add_co_u32_e64 v20, s[0:1], v13, v20
	v_lshlrev_b64 v[22:23], 2, v[10:11]
	v_add_u32_e32 v8, 0x200, v8
	v_add_u32_e32 v16, 0x800, v16
	;; [unrolled: 1-line block ×3, first 2 shown]
	v_addc_co_u32_e64 v21, s[0:1], v14, v21, s[0:1]
	s_or_b64 s[12:13], vcc, s[12:13]
	v_add_co_u32_e32 v22, vcc, v13, v22
	v_addc_co_u32_e32 v23, vcc, v14, v23, vcc
	s_waitcnt lgkmcnt(0)
	global_store_dword v[20:21], v18, off
	global_store_dword v[22:23], v19, off
	s_andn2_b64 exec, exec, s[12:13]
	s_cbranch_execnz .LBB915_155
.LBB915_156:
	s_or_b64 exec, exec, s[10:11]
	v_add_u32_e32 v1, 1, v15
	v_and_b32_e32 v9, 0x1fffffe, v1
	v_cmp_ne_u32_e32 vcc, v1, v9
	v_lshl_or_b32 v8, v9, 8, v0
	s_orn2_b64 s[0:1], vcc, exec
.LBB915_157:
	s_or_b64 exec, exec, s[8:9]
	s_andn2_b64 s[4:5], s[4:5], exec
	s_and_b64 s[0:1], s[0:1], exec
	s_or_b64 s[4:5], s[4:5], s[0:1]
.LBB915_158:
	s_or_b64 exec, exec, s[6:7]
	s_and_b64 exec, exec, s[4:5]
	s_cbranch_execz .LBB915_161
; %bb.159:
	v_lshlrev_b32_e32 v1, 2, v8
	s_mov_b64 s[0:1], 0
	v_mov_b32_e32 v9, 0
.LBB915_160:                            ; =>This Inner Loop Header: Depth=1
	v_lshlrev_b64 v[10:11], 2, v[8:9]
	ds_read_b32 v15, v1
	v_add_co_u32_e32 v10, vcc, v13, v10
	v_add_u32_e32 v8, 0x100, v8
	v_addc_co_u32_e32 v11, vcc, v14, v11, vcc
	v_cmp_ge_u32_e32 vcc, v8, v3
	v_add_u32_e32 v1, 0x400, v1
	s_or_b64 s[0:1], vcc, s[0:1]
	s_waitcnt lgkmcnt(0)
	global_store_dword v[10:11], v15, off
	s_andn2_b64 exec, exec, s[0:1]
	s_cbranch_execnz .LBB915_160
.LBB915_161:
	s_or_b64 exec, exec, s[2:3]
.LBB915_162:
	s_movk_i32 s0, 0xff
	v_cmp_eq_u32_e32 vcc, s0, v0
	s_and_b64 s[0:1], vcc, s[48:49]
	s_and_saveexec_b64 s[2:3], s[0:1]
	s_cbranch_execz .LBB915_165
; %bb.163:
	v_add_co_u32_e32 v0, vcc, v2, v4
	v_addc_co_u32_e64 v1, s[0:1], 0, 0, vcc
	v_add_co_u32_e32 v0, vcc, v0, v6
	v_mov_b32_e32 v3, 0
	v_addc_co_u32_e32 v1, vcc, v1, v7, vcc
	s_cmpk_lg_i32 s33, 0xf00
	global_store_dwordx2 v3, v[0:1], s[42:43]
	s_cbranch_scc1 .LBB915_165
; %bb.164:
	v_lshlrev_b64 v[0:1], 2, v[2:3]
	v_add_co_u32_e32 v0, vcc, v5, v0
	v_addc_co_u32_e32 v1, vcc, v12, v1, vcc
	global_store_dword v[0:1], v81, off offset:-4
.LBB915_165:
	s_endpgm
.LBB915_166:
	s_or_b64 exec, exec, s[2:3]
	v_mov_b32_e32 v82, s8
	s_and_saveexec_b64 s[2:3], s[56:57]
	s_cbranch_execnz .LBB915_84
	s_branch .LBB915_85
.LBB915_167:
	s_and_saveexec_b64 s[30:31], s[18:19]
	s_cbranch_execnz .LBB915_218
; %bb.168:
	s_or_b64 exec, exec, s[30:31]
	s_and_saveexec_b64 s[18:19], s[24:25]
	s_cbranch_execnz .LBB915_219
.LBB915_169:
	s_or_b64 exec, exec, s[18:19]
	s_and_saveexec_b64 s[18:19], s[22:23]
	s_cbranch_execnz .LBB915_220
.LBB915_170:
	s_or_b64 exec, exec, s[18:19]
	s_and_saveexec_b64 s[18:19], s[20:21]
	s_cbranch_execnz .LBB915_221
.LBB915_171:
	s_or_b64 exec, exec, s[18:19]
	s_and_saveexec_b64 s[18:19], s[16:17]
	s_cbranch_execnz .LBB915_222
.LBB915_172:
	s_or_b64 exec, exec, s[18:19]
	s_and_saveexec_b64 s[16:17], s[14:15]
	s_cbranch_execnz .LBB915_223
.LBB915_173:
	s_or_b64 exec, exec, s[16:17]
	s_and_saveexec_b64 s[14:15], s[12:13]
	s_cbranch_execnz .LBB915_224
.LBB915_174:
	s_or_b64 exec, exec, s[14:15]
	s_and_saveexec_b64 s[12:13], s[10:11]
	s_cbranch_execnz .LBB915_225
.LBB915_175:
	s_or_b64 exec, exec, s[12:13]
	s_and_saveexec_b64 s[10:11], s[8:9]
	s_cbranch_execnz .LBB915_226
.LBB915_176:
	s_or_b64 exec, exec, s[10:11]
	s_and_saveexec_b64 s[8:9], s[6:7]
	s_cbranch_execnz .LBB915_227
.LBB915_177:
	s_or_b64 exec, exec, s[8:9]
	s_and_saveexec_b64 s[6:7], s[4:5]
	s_cbranch_execnz .LBB915_228
.LBB915_178:
	s_or_b64 exec, exec, s[6:7]
	s_and_saveexec_b64 s[4:5], s[2:3]
	s_cbranch_execnz .LBB915_229
.LBB915_179:
	s_or_b64 exec, exec, s[4:5]
	s_and_saveexec_b64 s[2:3], s[0:1]
	s_cbranch_execnz .LBB915_230
.LBB915_180:
	s_or_b64 exec, exec, s[2:3]
	v_cmp_ne_u32_e64 s[0:1], 0, v66
	s_and_saveexec_b64 s[2:3], vcc
	s_cbranch_execz .LBB915_182
.LBB915_181:
	v_sub_u32_e32 v3, v38, v4
	v_lshlrev_b32_e32 v3, 2, v3
	ds_write_b32 v3, v9
.LBB915_182:
	s_or_b64 exec, exec, s[2:3]
	s_and_b64 s[30:31], s[0:1], exec
                                        ; implicit-def: $vgpr8
                                        ; implicit-def: $vgpr10
                                        ; implicit-def: $vgpr12
                                        ; implicit-def: $vgpr14
                                        ; implicit-def: $vgpr16
                                        ; implicit-def: $vgpr18
                                        ; implicit-def: $vgpr20
	s_andn2_saveexec_b64 s[0:1], s[26:27]
	s_cbranch_execz .LBB915_130
.LBB915_183:
	v_sub_u32_e32 v3, v64, v4
	v_lshlrev_b32_e32 v3, 2, v3
	ds_write_b32 v3, v20
	v_sub_u32_e32 v3, v62, v4
	v_lshlrev_b32_e32 v3, 2, v3
	ds_write_b32 v3, v21
	;; [unrolled: 3-line block ×13, first 2 shown]
	v_sub_u32_e32 v3, v38, v4
	v_lshlrev_b32_e32 v3, 2, v3
	s_or_b64 s[30:31], s[30:31], exec
	ds_write_b32 v3, v9
	s_or_b64 exec, exec, s[0:1]
	s_and_b64 exec, exec, s[30:31]
	s_cbranch_execnz .LBB915_131
	s_branch .LBB915_132
.LBB915_184:
	s_and_saveexec_b64 s[36:37], s[28:29]
	s_cbranch_execnz .LBB915_231
; %bb.185:
	s_or_b64 exec, exec, s[36:37]
	s_and_saveexec_b64 s[36:37], s[26:27]
	s_cbranch_execnz .LBB915_232
.LBB915_186:
	s_or_b64 exec, exec, s[36:37]
	s_and_saveexec_b64 s[36:37], s[24:25]
	s_cbranch_execnz .LBB915_233
.LBB915_187:
	s_or_b64 exec, exec, s[36:37]
	s_and_saveexec_b64 s[36:37], s[22:23]
	s_cbranch_execnz .LBB915_234
.LBB915_188:
	s_or_b64 exec, exec, s[36:37]
	s_and_saveexec_b64 s[36:37], s[20:21]
	s_cbranch_execnz .LBB915_235
.LBB915_189:
	s_or_b64 exec, exec, s[36:37]
	s_and_saveexec_b64 s[36:37], s[18:19]
	s_cbranch_execnz .LBB915_236
.LBB915_190:
	s_or_b64 exec, exec, s[36:37]
	s_and_saveexec_b64 s[36:37], s[16:17]
	s_cbranch_execnz .LBB915_237
.LBB915_191:
	s_or_b64 exec, exec, s[36:37]
	s_and_saveexec_b64 s[36:37], s[14:15]
	s_cbranch_execnz .LBB915_238
.LBB915_192:
	s_or_b64 exec, exec, s[36:37]
	s_and_saveexec_b64 s[36:37], s[12:13]
	s_cbranch_execnz .LBB915_239
.LBB915_193:
	s_or_b64 exec, exec, s[36:37]
	s_and_saveexec_b64 s[36:37], s[10:11]
	s_cbranch_execnz .LBB915_240
.LBB915_194:
	s_or_b64 exec, exec, s[36:37]
	s_and_saveexec_b64 s[36:37], s[8:9]
	s_cbranch_execnz .LBB915_241
.LBB915_195:
	s_or_b64 exec, exec, s[36:37]
	s_and_saveexec_b64 s[36:37], s[6:7]
	s_cbranch_execnz .LBB915_242
.LBB915_196:
	s_or_b64 exec, exec, s[36:37]
	s_and_saveexec_b64 s[36:37], s[4:5]
	s_cbranch_execnz .LBB915_243
.LBB915_197:
	s_or_b64 exec, exec, s[36:37]
	s_and_saveexec_b64 s[36:37], s[2:3]
	s_cbranch_execz .LBB915_199
.LBB915_198:
	v_sub_u32_e32 v16, v38, v9
	v_mov_b32_e32 v17, 0
	v_lshlrev_b64 v[16:17], 2, v[16:17]
	v_add_co_u32_e32 v16, vcc, v13, v16
	v_addc_co_u32_e32 v17, vcc, v14, v17, vcc
	global_store_dword v[16:17], v39, off
.LBB915_199:
	s_or_b64 exec, exec, s[36:37]
	s_and_b64 s[36:37], s[0:1], exec
	s_andn2_saveexec_b64 s[30:31], s[30:31]
	s_cbranch_execz .LBB915_137
.LBB915_200:
	v_sub_u32_e32 v16, v64, v9
	v_mov_b32_e32 v17, 0
	v_lshlrev_b64 v[18:19], 2, v[16:17]
	v_add_co_u32_e32 v18, vcc, v13, v18
	v_addc_co_u32_e32 v19, vcc, v14, v19, vcc
	v_sub_u32_e32 v16, v62, v9
	global_store_dword v[18:19], v65, off
	v_lshlrev_b64 v[18:19], 2, v[16:17]
	v_add_co_u32_e32 v18, vcc, v13, v18
	v_addc_co_u32_e32 v19, vcc, v14, v19, vcc
	v_sub_u32_e32 v16, v60, v9
	global_store_dword v[18:19], v63, off
	;; [unrolled: 5-line block ×12, first 2 shown]
	v_lshlrev_b64 v[18:19], 2, v[16:17]
	v_add_co_u32_e32 v18, vcc, v13, v18
	v_sub_u32_e32 v16, v38, v9
	v_addc_co_u32_e32 v19, vcc, v14, v19, vcc
	v_lshlrev_b64 v[16:17], 2, v[16:17]
	v_add_co_u32_e32 v16, vcc, v13, v16
	v_addc_co_u32_e32 v17, vcc, v14, v17, vcc
	s_or_b64 s[36:37], s[36:37], exec
	global_store_dword v[18:19], v41, off
	global_store_dword v[16:17], v39, off
	s_or_b64 exec, exec, s[30:31]
	s_and_b64 exec, exec, s[36:37]
	s_cbranch_execnz .LBB915_138
	s_branch .LBB915_139
.LBB915_201:
	s_and_saveexec_b64 s[36:37], s[28:29]
	s_cbranch_execnz .LBB915_244
; %bb.202:
	s_or_b64 exec, exec, s[36:37]
	s_and_saveexec_b64 s[28:29], s[26:27]
	s_cbranch_execnz .LBB915_245
.LBB915_203:
	s_or_b64 exec, exec, s[28:29]
	s_and_saveexec_b64 s[26:27], s[24:25]
	s_cbranch_execnz .LBB915_246
.LBB915_204:
	s_or_b64 exec, exec, s[26:27]
	s_and_saveexec_b64 s[24:25], s[22:23]
	s_cbranch_execnz .LBB915_247
.LBB915_205:
	s_or_b64 exec, exec, s[24:25]
	s_and_saveexec_b64 s[22:23], s[20:21]
	s_cbranch_execnz .LBB915_248
.LBB915_206:
	s_or_b64 exec, exec, s[22:23]
	s_and_saveexec_b64 s[20:21], s[18:19]
	s_cbranch_execnz .LBB915_249
.LBB915_207:
	s_or_b64 exec, exec, s[20:21]
	s_and_saveexec_b64 s[18:19], s[16:17]
	s_cbranch_execnz .LBB915_250
.LBB915_208:
	s_or_b64 exec, exec, s[18:19]
	s_and_saveexec_b64 s[16:17], s[14:15]
	s_cbranch_execnz .LBB915_251
.LBB915_209:
	s_or_b64 exec, exec, s[16:17]
	s_and_saveexec_b64 s[14:15], s[12:13]
	s_cbranch_execnz .LBB915_252
.LBB915_210:
	s_or_b64 exec, exec, s[14:15]
	s_and_saveexec_b64 s[12:13], s[10:11]
	s_cbranch_execnz .LBB915_253
.LBB915_211:
	s_or_b64 exec, exec, s[12:13]
	s_and_saveexec_b64 s[10:11], s[8:9]
	s_cbranch_execnz .LBB915_254
.LBB915_212:
	s_or_b64 exec, exec, s[10:11]
	s_and_saveexec_b64 s[8:9], s[6:7]
	s_cbranch_execnz .LBB915_255
.LBB915_213:
	s_or_b64 exec, exec, s[8:9]
	s_and_saveexec_b64 s[6:7], s[4:5]
	s_cbranch_execnz .LBB915_256
.LBB915_214:
	s_or_b64 exec, exec, s[6:7]
	s_and_saveexec_b64 s[4:5], s[2:3]
	s_cbranch_execz .LBB915_216
.LBB915_215:
	v_sub_u32_e32 v10, v38, v9
	v_lshlrev_b32_e32 v10, 2, v10
	ds_write_b32 v10, v39
.LBB915_216:
	s_or_b64 exec, exec, s[4:5]
	s_and_b64 s[36:37], s[0:1], exec
                                        ; implicit-def: $vgpr64_vgpr65
                                        ; implicit-def: $vgpr62_vgpr63
                                        ; implicit-def: $vgpr60_vgpr61
                                        ; implicit-def: $vgpr58_vgpr59
                                        ; implicit-def: $vgpr56_vgpr57
                                        ; implicit-def: $vgpr54_vgpr55
                                        ; implicit-def: $vgpr52_vgpr53
                                        ; implicit-def: $vgpr50_vgpr51
                                        ; implicit-def: $vgpr48_vgpr49
                                        ; implicit-def: $vgpr46_vgpr47
                                        ; implicit-def: $vgpr44_vgpr45
                                        ; implicit-def: $vgpr42_vgpr43
                                        ; implicit-def: $vgpr40_vgpr41
                                        ; implicit-def: $vgpr38_vgpr39
	s_andn2_saveexec_b64 s[0:1], s[34:35]
	s_cbranch_execz .LBB915_144
.LBB915_217:
	v_sub_u32_e32 v10, v64, v9
	v_lshlrev_b32_e32 v10, 2, v10
	ds_write_b32 v10, v65
	v_sub_u32_e32 v10, v62, v9
	v_lshlrev_b32_e32 v10, 2, v10
	ds_write_b32 v10, v63
	;; [unrolled: 3-line block ×13, first 2 shown]
	v_sub_u32_e32 v10, v38, v9
	v_lshlrev_b32_e32 v10, 2, v10
	s_or_b64 s[36:37], s[36:37], exec
	ds_write_b32 v10, v39
	s_or_b64 exec, exec, s[0:1]
	s_and_b64 exec, exec, s[36:37]
	s_cbranch_execnz .LBB915_145
	s_branch .LBB915_146
.LBB915_218:
	v_sub_u32_e32 v3, v64, v4
	v_lshlrev_b32_e32 v3, 2, v3
	ds_write_b32 v3, v20
	s_or_b64 exec, exec, s[30:31]
	s_and_saveexec_b64 s[18:19], s[24:25]
	s_cbranch_execz .LBB915_169
.LBB915_219:
	v_sub_u32_e32 v3, v62, v4
	v_lshlrev_b32_e32 v3, 2, v3
	ds_write_b32 v3, v21
	s_or_b64 exec, exec, s[18:19]
	s_and_saveexec_b64 s[18:19], s[22:23]
	s_cbranch_execz .LBB915_170
.LBB915_220:
	v_sub_u32_e32 v3, v60, v4
	v_lshlrev_b32_e32 v3, 2, v3
	ds_write_b32 v3, v18
	s_or_b64 exec, exec, s[18:19]
	s_and_saveexec_b64 s[18:19], s[20:21]
	s_cbranch_execz .LBB915_171
.LBB915_221:
	v_sub_u32_e32 v3, v58, v4
	v_lshlrev_b32_e32 v3, 2, v3
	ds_write_b32 v3, v19
	s_or_b64 exec, exec, s[18:19]
	s_and_saveexec_b64 s[18:19], s[16:17]
	s_cbranch_execz .LBB915_172
.LBB915_222:
	v_sub_u32_e32 v3, v56, v4
	v_lshlrev_b32_e32 v3, 2, v3
	ds_write_b32 v3, v16
	s_or_b64 exec, exec, s[18:19]
	s_and_saveexec_b64 s[16:17], s[14:15]
	s_cbranch_execz .LBB915_173
.LBB915_223:
	v_sub_u32_e32 v3, v54, v4
	v_lshlrev_b32_e32 v3, 2, v3
	ds_write_b32 v3, v17
	s_or_b64 exec, exec, s[16:17]
	s_and_saveexec_b64 s[14:15], s[12:13]
	s_cbranch_execz .LBB915_174
.LBB915_224:
	v_sub_u32_e32 v3, v52, v4
	v_lshlrev_b32_e32 v3, 2, v3
	ds_write_b32 v3, v14
	s_or_b64 exec, exec, s[14:15]
	s_and_saveexec_b64 s[12:13], s[10:11]
	s_cbranch_execz .LBB915_175
.LBB915_225:
	v_sub_u32_e32 v3, v50, v4
	v_lshlrev_b32_e32 v3, 2, v3
	ds_write_b32 v3, v15
	s_or_b64 exec, exec, s[12:13]
	s_and_saveexec_b64 s[10:11], s[8:9]
	s_cbranch_execz .LBB915_176
.LBB915_226:
	v_sub_u32_e32 v3, v48, v4
	v_lshlrev_b32_e32 v3, 2, v3
	ds_write_b32 v3, v12
	s_or_b64 exec, exec, s[10:11]
	s_and_saveexec_b64 s[8:9], s[6:7]
	s_cbranch_execz .LBB915_177
.LBB915_227:
	v_sub_u32_e32 v3, v46, v4
	v_lshlrev_b32_e32 v3, 2, v3
	ds_write_b32 v3, v13
	s_or_b64 exec, exec, s[8:9]
	s_and_saveexec_b64 s[6:7], s[4:5]
	s_cbranch_execz .LBB915_178
.LBB915_228:
	v_sub_u32_e32 v3, v44, v4
	v_lshlrev_b32_e32 v3, 2, v3
	ds_write_b32 v3, v10
	s_or_b64 exec, exec, s[6:7]
	s_and_saveexec_b64 s[4:5], s[2:3]
	s_cbranch_execz .LBB915_179
.LBB915_229:
	v_sub_u32_e32 v3, v42, v4
	v_lshlrev_b32_e32 v3, 2, v3
	ds_write_b32 v3, v11
	s_or_b64 exec, exec, s[4:5]
	s_and_saveexec_b64 s[2:3], s[0:1]
	s_cbranch_execz .LBB915_180
.LBB915_230:
	v_sub_u32_e32 v3, v40, v4
	v_lshlrev_b32_e32 v3, 2, v3
	ds_write_b32 v3, v8
	s_or_b64 exec, exec, s[2:3]
	v_cmp_ne_u32_e64 s[0:1], 0, v66
	s_and_saveexec_b64 s[2:3], vcc
	s_cbranch_execnz .LBB915_181
	s_branch .LBB915_182
.LBB915_231:
	v_sub_u32_e32 v16, v64, v9
	v_mov_b32_e32 v17, 0
	v_lshlrev_b64 v[16:17], 2, v[16:17]
	v_add_co_u32_e32 v16, vcc, v13, v16
	v_addc_co_u32_e32 v17, vcc, v14, v17, vcc
	global_store_dword v[16:17], v65, off
	s_or_b64 exec, exec, s[36:37]
	s_and_saveexec_b64 s[36:37], s[26:27]
	s_cbranch_execz .LBB915_186
.LBB915_232:
	v_sub_u32_e32 v16, v62, v9
	v_mov_b32_e32 v17, 0
	v_lshlrev_b64 v[16:17], 2, v[16:17]
	v_add_co_u32_e32 v16, vcc, v13, v16
	v_addc_co_u32_e32 v17, vcc, v14, v17, vcc
	global_store_dword v[16:17], v63, off
	s_or_b64 exec, exec, s[36:37]
	s_and_saveexec_b64 s[36:37], s[24:25]
	s_cbranch_execz .LBB915_187
.LBB915_233:
	v_sub_u32_e32 v16, v60, v9
	v_mov_b32_e32 v17, 0
	v_lshlrev_b64 v[16:17], 2, v[16:17]
	v_add_co_u32_e32 v16, vcc, v13, v16
	v_addc_co_u32_e32 v17, vcc, v14, v17, vcc
	global_store_dword v[16:17], v61, off
	s_or_b64 exec, exec, s[36:37]
	s_and_saveexec_b64 s[36:37], s[22:23]
	s_cbranch_execz .LBB915_188
.LBB915_234:
	v_sub_u32_e32 v16, v58, v9
	v_mov_b32_e32 v17, 0
	v_lshlrev_b64 v[16:17], 2, v[16:17]
	v_add_co_u32_e32 v16, vcc, v13, v16
	v_addc_co_u32_e32 v17, vcc, v14, v17, vcc
	global_store_dword v[16:17], v59, off
	s_or_b64 exec, exec, s[36:37]
	s_and_saveexec_b64 s[36:37], s[20:21]
	s_cbranch_execz .LBB915_189
.LBB915_235:
	v_sub_u32_e32 v16, v56, v9
	v_mov_b32_e32 v17, 0
	v_lshlrev_b64 v[16:17], 2, v[16:17]
	v_add_co_u32_e32 v16, vcc, v13, v16
	v_addc_co_u32_e32 v17, vcc, v14, v17, vcc
	global_store_dword v[16:17], v57, off
	s_or_b64 exec, exec, s[36:37]
	s_and_saveexec_b64 s[36:37], s[18:19]
	s_cbranch_execz .LBB915_190
.LBB915_236:
	v_sub_u32_e32 v16, v54, v9
	v_mov_b32_e32 v17, 0
	v_lshlrev_b64 v[16:17], 2, v[16:17]
	v_add_co_u32_e32 v16, vcc, v13, v16
	v_addc_co_u32_e32 v17, vcc, v14, v17, vcc
	global_store_dword v[16:17], v55, off
	s_or_b64 exec, exec, s[36:37]
	s_and_saveexec_b64 s[36:37], s[16:17]
	s_cbranch_execz .LBB915_191
.LBB915_237:
	v_sub_u32_e32 v16, v52, v9
	v_mov_b32_e32 v17, 0
	v_lshlrev_b64 v[16:17], 2, v[16:17]
	v_add_co_u32_e32 v16, vcc, v13, v16
	v_addc_co_u32_e32 v17, vcc, v14, v17, vcc
	global_store_dword v[16:17], v53, off
	s_or_b64 exec, exec, s[36:37]
	s_and_saveexec_b64 s[36:37], s[14:15]
	s_cbranch_execz .LBB915_192
.LBB915_238:
	v_sub_u32_e32 v16, v50, v9
	v_mov_b32_e32 v17, 0
	v_lshlrev_b64 v[16:17], 2, v[16:17]
	v_add_co_u32_e32 v16, vcc, v13, v16
	v_addc_co_u32_e32 v17, vcc, v14, v17, vcc
	global_store_dword v[16:17], v51, off
	s_or_b64 exec, exec, s[36:37]
	s_and_saveexec_b64 s[36:37], s[12:13]
	s_cbranch_execz .LBB915_193
.LBB915_239:
	v_sub_u32_e32 v16, v48, v9
	v_mov_b32_e32 v17, 0
	v_lshlrev_b64 v[16:17], 2, v[16:17]
	v_add_co_u32_e32 v16, vcc, v13, v16
	v_addc_co_u32_e32 v17, vcc, v14, v17, vcc
	global_store_dword v[16:17], v49, off
	s_or_b64 exec, exec, s[36:37]
	s_and_saveexec_b64 s[36:37], s[10:11]
	s_cbranch_execz .LBB915_194
.LBB915_240:
	v_sub_u32_e32 v16, v46, v9
	v_mov_b32_e32 v17, 0
	v_lshlrev_b64 v[16:17], 2, v[16:17]
	v_add_co_u32_e32 v16, vcc, v13, v16
	v_addc_co_u32_e32 v17, vcc, v14, v17, vcc
	global_store_dword v[16:17], v47, off
	s_or_b64 exec, exec, s[36:37]
	s_and_saveexec_b64 s[36:37], s[8:9]
	s_cbranch_execz .LBB915_195
.LBB915_241:
	v_sub_u32_e32 v16, v44, v9
	v_mov_b32_e32 v17, 0
	v_lshlrev_b64 v[16:17], 2, v[16:17]
	v_add_co_u32_e32 v16, vcc, v13, v16
	v_addc_co_u32_e32 v17, vcc, v14, v17, vcc
	global_store_dword v[16:17], v45, off
	s_or_b64 exec, exec, s[36:37]
	s_and_saveexec_b64 s[36:37], s[6:7]
	s_cbranch_execz .LBB915_196
.LBB915_242:
	v_sub_u32_e32 v16, v42, v9
	v_mov_b32_e32 v17, 0
	v_lshlrev_b64 v[16:17], 2, v[16:17]
	v_add_co_u32_e32 v16, vcc, v13, v16
	v_addc_co_u32_e32 v17, vcc, v14, v17, vcc
	global_store_dword v[16:17], v43, off
	s_or_b64 exec, exec, s[36:37]
	s_and_saveexec_b64 s[36:37], s[4:5]
	s_cbranch_execz .LBB915_197
.LBB915_243:
	v_sub_u32_e32 v16, v40, v9
	v_mov_b32_e32 v17, 0
	v_lshlrev_b64 v[16:17], 2, v[16:17]
	v_add_co_u32_e32 v16, vcc, v13, v16
	v_addc_co_u32_e32 v17, vcc, v14, v17, vcc
	global_store_dword v[16:17], v41, off
	s_or_b64 exec, exec, s[36:37]
	s_and_saveexec_b64 s[36:37], s[2:3]
	s_cbranch_execnz .LBB915_198
	s_branch .LBB915_199
.LBB915_244:
	v_sub_u32_e32 v10, v64, v9
	v_lshlrev_b32_e32 v10, 2, v10
	ds_write_b32 v10, v65
	s_or_b64 exec, exec, s[36:37]
	s_and_saveexec_b64 s[28:29], s[26:27]
	s_cbranch_execz .LBB915_203
.LBB915_245:
	v_sub_u32_e32 v10, v62, v9
	v_lshlrev_b32_e32 v10, 2, v10
	ds_write_b32 v10, v63
	s_or_b64 exec, exec, s[28:29]
	s_and_saveexec_b64 s[26:27], s[24:25]
	s_cbranch_execz .LBB915_204
.LBB915_246:
	v_sub_u32_e32 v10, v60, v9
	v_lshlrev_b32_e32 v10, 2, v10
	ds_write_b32 v10, v61
	s_or_b64 exec, exec, s[26:27]
	s_and_saveexec_b64 s[24:25], s[22:23]
	s_cbranch_execz .LBB915_205
.LBB915_247:
	v_sub_u32_e32 v10, v58, v9
	v_lshlrev_b32_e32 v10, 2, v10
	ds_write_b32 v10, v59
	s_or_b64 exec, exec, s[24:25]
	s_and_saveexec_b64 s[22:23], s[20:21]
	s_cbranch_execz .LBB915_206
.LBB915_248:
	v_sub_u32_e32 v10, v56, v9
	v_lshlrev_b32_e32 v10, 2, v10
	ds_write_b32 v10, v57
	s_or_b64 exec, exec, s[22:23]
	s_and_saveexec_b64 s[20:21], s[18:19]
	s_cbranch_execz .LBB915_207
.LBB915_249:
	v_sub_u32_e32 v10, v54, v9
	v_lshlrev_b32_e32 v10, 2, v10
	ds_write_b32 v10, v55
	s_or_b64 exec, exec, s[20:21]
	s_and_saveexec_b64 s[18:19], s[16:17]
	s_cbranch_execz .LBB915_208
.LBB915_250:
	v_sub_u32_e32 v10, v52, v9
	v_lshlrev_b32_e32 v10, 2, v10
	ds_write_b32 v10, v53
	s_or_b64 exec, exec, s[18:19]
	s_and_saveexec_b64 s[16:17], s[14:15]
	s_cbranch_execz .LBB915_209
.LBB915_251:
	v_sub_u32_e32 v10, v50, v9
	v_lshlrev_b32_e32 v10, 2, v10
	ds_write_b32 v10, v51
	s_or_b64 exec, exec, s[16:17]
	s_and_saveexec_b64 s[14:15], s[12:13]
	s_cbranch_execz .LBB915_210
.LBB915_252:
	v_sub_u32_e32 v10, v48, v9
	v_lshlrev_b32_e32 v10, 2, v10
	ds_write_b32 v10, v49
	s_or_b64 exec, exec, s[14:15]
	s_and_saveexec_b64 s[12:13], s[10:11]
	s_cbranch_execz .LBB915_211
.LBB915_253:
	v_sub_u32_e32 v10, v46, v9
	v_lshlrev_b32_e32 v10, 2, v10
	ds_write_b32 v10, v47
	s_or_b64 exec, exec, s[12:13]
	s_and_saveexec_b64 s[10:11], s[8:9]
	s_cbranch_execz .LBB915_212
.LBB915_254:
	v_sub_u32_e32 v10, v44, v9
	v_lshlrev_b32_e32 v10, 2, v10
	ds_write_b32 v10, v45
	s_or_b64 exec, exec, s[10:11]
	s_and_saveexec_b64 s[8:9], s[6:7]
	s_cbranch_execz .LBB915_213
.LBB915_255:
	v_sub_u32_e32 v10, v42, v9
	v_lshlrev_b32_e32 v10, 2, v10
	ds_write_b32 v10, v43
	s_or_b64 exec, exec, s[8:9]
	s_and_saveexec_b64 s[6:7], s[4:5]
	s_cbranch_execz .LBB915_214
.LBB915_256:
	v_sub_u32_e32 v10, v40, v9
	v_lshlrev_b32_e32 v10, 2, v10
	ds_write_b32 v10, v41
	s_or_b64 exec, exec, s[6:7]
	s_and_saveexec_b64 s[4:5], s[2:3]
	s_cbranch_execnz .LBB915_215
	s_branch .LBB915_216
	.section	.rodata,"a",@progbits
	.p2align	6, 0x0
	.amdhsa_kernel _ZN7rocprim17ROCPRIM_400000_NS6detail17trampoline_kernelINS0_14default_configENS1_29reduce_by_key_config_selectorIjjN6thrust23THRUST_200600_302600_NS4plusIjEEEEZZNS1_33reduce_by_key_impl_wrapped_configILNS1_25lookback_scan_determinismE0ES3_S9_NS6_6detail15normal_iteratorINS6_10device_ptrIjEEEESG_NS6_16discard_iteratorINS6_11use_defaultEEESG_PmS8_NS6_8equal_toIjEEEE10hipError_tPvRmT2_T3_mT4_T5_T6_T7_T8_P12ihipStream_tbENKUlT_T0_E_clISt17integral_constantIbLb0EES14_EEDaSZ_S10_EUlSZ_E_NS1_11comp_targetILNS1_3genE4ELNS1_11target_archE910ELNS1_3gpuE8ELNS1_3repE0EEENS1_30default_config_static_selectorELNS0_4arch9wavefront6targetE1EEEvT1_
		.amdhsa_group_segment_fixed_size 15360
		.amdhsa_private_segment_fixed_size 0
		.amdhsa_kernarg_size 128
		.amdhsa_user_sgpr_count 6
		.amdhsa_user_sgpr_private_segment_buffer 1
		.amdhsa_user_sgpr_dispatch_ptr 0
		.amdhsa_user_sgpr_queue_ptr 0
		.amdhsa_user_sgpr_kernarg_segment_ptr 1
		.amdhsa_user_sgpr_dispatch_id 0
		.amdhsa_user_sgpr_flat_scratch_init 0
		.amdhsa_user_sgpr_kernarg_preload_length 0
		.amdhsa_user_sgpr_kernarg_preload_offset 0
		.amdhsa_user_sgpr_private_segment_size 0
		.amdhsa_uses_dynamic_stack 0
		.amdhsa_system_sgpr_private_segment_wavefront_offset 0
		.amdhsa_system_sgpr_workgroup_id_x 1
		.amdhsa_system_sgpr_workgroup_id_y 0
		.amdhsa_system_sgpr_workgroup_id_z 0
		.amdhsa_system_sgpr_workgroup_info 0
		.amdhsa_system_vgpr_workitem_id 0
		.amdhsa_next_free_vgpr 87
		.amdhsa_next_free_sgpr 62
		.amdhsa_accum_offset 88
		.amdhsa_reserve_vcc 1
		.amdhsa_reserve_flat_scratch 0
		.amdhsa_float_round_mode_32 0
		.amdhsa_float_round_mode_16_64 0
		.amdhsa_float_denorm_mode_32 3
		.amdhsa_float_denorm_mode_16_64 3
		.amdhsa_dx10_clamp 1
		.amdhsa_ieee_mode 1
		.amdhsa_fp16_overflow 0
		.amdhsa_tg_split 0
		.amdhsa_exception_fp_ieee_invalid_op 0
		.amdhsa_exception_fp_denorm_src 0
		.amdhsa_exception_fp_ieee_div_zero 0
		.amdhsa_exception_fp_ieee_overflow 0
		.amdhsa_exception_fp_ieee_underflow 0
		.amdhsa_exception_fp_ieee_inexact 0
		.amdhsa_exception_int_div_zero 0
	.end_amdhsa_kernel
	.section	.text._ZN7rocprim17ROCPRIM_400000_NS6detail17trampoline_kernelINS0_14default_configENS1_29reduce_by_key_config_selectorIjjN6thrust23THRUST_200600_302600_NS4plusIjEEEEZZNS1_33reduce_by_key_impl_wrapped_configILNS1_25lookback_scan_determinismE0ES3_S9_NS6_6detail15normal_iteratorINS6_10device_ptrIjEEEESG_NS6_16discard_iteratorINS6_11use_defaultEEESG_PmS8_NS6_8equal_toIjEEEE10hipError_tPvRmT2_T3_mT4_T5_T6_T7_T8_P12ihipStream_tbENKUlT_T0_E_clISt17integral_constantIbLb0EES14_EEDaSZ_S10_EUlSZ_E_NS1_11comp_targetILNS1_3genE4ELNS1_11target_archE910ELNS1_3gpuE8ELNS1_3repE0EEENS1_30default_config_static_selectorELNS0_4arch9wavefront6targetE1EEEvT1_,"axG",@progbits,_ZN7rocprim17ROCPRIM_400000_NS6detail17trampoline_kernelINS0_14default_configENS1_29reduce_by_key_config_selectorIjjN6thrust23THRUST_200600_302600_NS4plusIjEEEEZZNS1_33reduce_by_key_impl_wrapped_configILNS1_25lookback_scan_determinismE0ES3_S9_NS6_6detail15normal_iteratorINS6_10device_ptrIjEEEESG_NS6_16discard_iteratorINS6_11use_defaultEEESG_PmS8_NS6_8equal_toIjEEEE10hipError_tPvRmT2_T3_mT4_T5_T6_T7_T8_P12ihipStream_tbENKUlT_T0_E_clISt17integral_constantIbLb0EES14_EEDaSZ_S10_EUlSZ_E_NS1_11comp_targetILNS1_3genE4ELNS1_11target_archE910ELNS1_3gpuE8ELNS1_3repE0EEENS1_30default_config_static_selectorELNS0_4arch9wavefront6targetE1EEEvT1_,comdat
.Lfunc_end915:
	.size	_ZN7rocprim17ROCPRIM_400000_NS6detail17trampoline_kernelINS0_14default_configENS1_29reduce_by_key_config_selectorIjjN6thrust23THRUST_200600_302600_NS4plusIjEEEEZZNS1_33reduce_by_key_impl_wrapped_configILNS1_25lookback_scan_determinismE0ES3_S9_NS6_6detail15normal_iteratorINS6_10device_ptrIjEEEESG_NS6_16discard_iteratorINS6_11use_defaultEEESG_PmS8_NS6_8equal_toIjEEEE10hipError_tPvRmT2_T3_mT4_T5_T6_T7_T8_P12ihipStream_tbENKUlT_T0_E_clISt17integral_constantIbLb0EES14_EEDaSZ_S10_EUlSZ_E_NS1_11comp_targetILNS1_3genE4ELNS1_11target_archE910ELNS1_3gpuE8ELNS1_3repE0EEENS1_30default_config_static_selectorELNS0_4arch9wavefront6targetE1EEEvT1_, .Lfunc_end915-_ZN7rocprim17ROCPRIM_400000_NS6detail17trampoline_kernelINS0_14default_configENS1_29reduce_by_key_config_selectorIjjN6thrust23THRUST_200600_302600_NS4plusIjEEEEZZNS1_33reduce_by_key_impl_wrapped_configILNS1_25lookback_scan_determinismE0ES3_S9_NS6_6detail15normal_iteratorINS6_10device_ptrIjEEEESG_NS6_16discard_iteratorINS6_11use_defaultEEESG_PmS8_NS6_8equal_toIjEEEE10hipError_tPvRmT2_T3_mT4_T5_T6_T7_T8_P12ihipStream_tbENKUlT_T0_E_clISt17integral_constantIbLb0EES14_EEDaSZ_S10_EUlSZ_E_NS1_11comp_targetILNS1_3genE4ELNS1_11target_archE910ELNS1_3gpuE8ELNS1_3repE0EEENS1_30default_config_static_selectorELNS0_4arch9wavefront6targetE1EEEvT1_
                                        ; -- End function
	.section	.AMDGPU.csdata,"",@progbits
; Kernel info:
; codeLenInByte = 14668
; NumSgprs: 66
; NumVgprs: 87
; NumAgprs: 0
; TotalNumVgprs: 87
; ScratchSize: 0
; MemoryBound: 0
; FloatMode: 240
; IeeeMode: 1
; LDSByteSize: 15360 bytes/workgroup (compile time only)
; SGPRBlocks: 8
; VGPRBlocks: 10
; NumSGPRsForWavesPerEU: 66
; NumVGPRsForWavesPerEU: 87
; AccumOffset: 88
; Occupancy: 4
; WaveLimiterHint : 1
; COMPUTE_PGM_RSRC2:SCRATCH_EN: 0
; COMPUTE_PGM_RSRC2:USER_SGPR: 6
; COMPUTE_PGM_RSRC2:TRAP_HANDLER: 0
; COMPUTE_PGM_RSRC2:TGID_X_EN: 1
; COMPUTE_PGM_RSRC2:TGID_Y_EN: 0
; COMPUTE_PGM_RSRC2:TGID_Z_EN: 0
; COMPUTE_PGM_RSRC2:TIDIG_COMP_CNT: 0
; COMPUTE_PGM_RSRC3_GFX90A:ACCUM_OFFSET: 21
; COMPUTE_PGM_RSRC3_GFX90A:TG_SPLIT: 0
	.section	.text._ZN7rocprim17ROCPRIM_400000_NS6detail17trampoline_kernelINS0_14default_configENS1_29reduce_by_key_config_selectorIjjN6thrust23THRUST_200600_302600_NS4plusIjEEEEZZNS1_33reduce_by_key_impl_wrapped_configILNS1_25lookback_scan_determinismE0ES3_S9_NS6_6detail15normal_iteratorINS6_10device_ptrIjEEEESG_NS6_16discard_iteratorINS6_11use_defaultEEESG_PmS8_NS6_8equal_toIjEEEE10hipError_tPvRmT2_T3_mT4_T5_T6_T7_T8_P12ihipStream_tbENKUlT_T0_E_clISt17integral_constantIbLb0EES14_EEDaSZ_S10_EUlSZ_E_NS1_11comp_targetILNS1_3genE3ELNS1_11target_archE908ELNS1_3gpuE7ELNS1_3repE0EEENS1_30default_config_static_selectorELNS0_4arch9wavefront6targetE1EEEvT1_,"axG",@progbits,_ZN7rocprim17ROCPRIM_400000_NS6detail17trampoline_kernelINS0_14default_configENS1_29reduce_by_key_config_selectorIjjN6thrust23THRUST_200600_302600_NS4plusIjEEEEZZNS1_33reduce_by_key_impl_wrapped_configILNS1_25lookback_scan_determinismE0ES3_S9_NS6_6detail15normal_iteratorINS6_10device_ptrIjEEEESG_NS6_16discard_iteratorINS6_11use_defaultEEESG_PmS8_NS6_8equal_toIjEEEE10hipError_tPvRmT2_T3_mT4_T5_T6_T7_T8_P12ihipStream_tbENKUlT_T0_E_clISt17integral_constantIbLb0EES14_EEDaSZ_S10_EUlSZ_E_NS1_11comp_targetILNS1_3genE3ELNS1_11target_archE908ELNS1_3gpuE7ELNS1_3repE0EEENS1_30default_config_static_selectorELNS0_4arch9wavefront6targetE1EEEvT1_,comdat
	.protected	_ZN7rocprim17ROCPRIM_400000_NS6detail17trampoline_kernelINS0_14default_configENS1_29reduce_by_key_config_selectorIjjN6thrust23THRUST_200600_302600_NS4plusIjEEEEZZNS1_33reduce_by_key_impl_wrapped_configILNS1_25lookback_scan_determinismE0ES3_S9_NS6_6detail15normal_iteratorINS6_10device_ptrIjEEEESG_NS6_16discard_iteratorINS6_11use_defaultEEESG_PmS8_NS6_8equal_toIjEEEE10hipError_tPvRmT2_T3_mT4_T5_T6_T7_T8_P12ihipStream_tbENKUlT_T0_E_clISt17integral_constantIbLb0EES14_EEDaSZ_S10_EUlSZ_E_NS1_11comp_targetILNS1_3genE3ELNS1_11target_archE908ELNS1_3gpuE7ELNS1_3repE0EEENS1_30default_config_static_selectorELNS0_4arch9wavefront6targetE1EEEvT1_ ; -- Begin function _ZN7rocprim17ROCPRIM_400000_NS6detail17trampoline_kernelINS0_14default_configENS1_29reduce_by_key_config_selectorIjjN6thrust23THRUST_200600_302600_NS4plusIjEEEEZZNS1_33reduce_by_key_impl_wrapped_configILNS1_25lookback_scan_determinismE0ES3_S9_NS6_6detail15normal_iteratorINS6_10device_ptrIjEEEESG_NS6_16discard_iteratorINS6_11use_defaultEEESG_PmS8_NS6_8equal_toIjEEEE10hipError_tPvRmT2_T3_mT4_T5_T6_T7_T8_P12ihipStream_tbENKUlT_T0_E_clISt17integral_constantIbLb0EES14_EEDaSZ_S10_EUlSZ_E_NS1_11comp_targetILNS1_3genE3ELNS1_11target_archE908ELNS1_3gpuE7ELNS1_3repE0EEENS1_30default_config_static_selectorELNS0_4arch9wavefront6targetE1EEEvT1_
	.globl	_ZN7rocprim17ROCPRIM_400000_NS6detail17trampoline_kernelINS0_14default_configENS1_29reduce_by_key_config_selectorIjjN6thrust23THRUST_200600_302600_NS4plusIjEEEEZZNS1_33reduce_by_key_impl_wrapped_configILNS1_25lookback_scan_determinismE0ES3_S9_NS6_6detail15normal_iteratorINS6_10device_ptrIjEEEESG_NS6_16discard_iteratorINS6_11use_defaultEEESG_PmS8_NS6_8equal_toIjEEEE10hipError_tPvRmT2_T3_mT4_T5_T6_T7_T8_P12ihipStream_tbENKUlT_T0_E_clISt17integral_constantIbLb0EES14_EEDaSZ_S10_EUlSZ_E_NS1_11comp_targetILNS1_3genE3ELNS1_11target_archE908ELNS1_3gpuE7ELNS1_3repE0EEENS1_30default_config_static_selectorELNS0_4arch9wavefront6targetE1EEEvT1_
	.p2align	8
	.type	_ZN7rocprim17ROCPRIM_400000_NS6detail17trampoline_kernelINS0_14default_configENS1_29reduce_by_key_config_selectorIjjN6thrust23THRUST_200600_302600_NS4plusIjEEEEZZNS1_33reduce_by_key_impl_wrapped_configILNS1_25lookback_scan_determinismE0ES3_S9_NS6_6detail15normal_iteratorINS6_10device_ptrIjEEEESG_NS6_16discard_iteratorINS6_11use_defaultEEESG_PmS8_NS6_8equal_toIjEEEE10hipError_tPvRmT2_T3_mT4_T5_T6_T7_T8_P12ihipStream_tbENKUlT_T0_E_clISt17integral_constantIbLb0EES14_EEDaSZ_S10_EUlSZ_E_NS1_11comp_targetILNS1_3genE3ELNS1_11target_archE908ELNS1_3gpuE7ELNS1_3repE0EEENS1_30default_config_static_selectorELNS0_4arch9wavefront6targetE1EEEvT1_,@function
_ZN7rocprim17ROCPRIM_400000_NS6detail17trampoline_kernelINS0_14default_configENS1_29reduce_by_key_config_selectorIjjN6thrust23THRUST_200600_302600_NS4plusIjEEEEZZNS1_33reduce_by_key_impl_wrapped_configILNS1_25lookback_scan_determinismE0ES3_S9_NS6_6detail15normal_iteratorINS6_10device_ptrIjEEEESG_NS6_16discard_iteratorINS6_11use_defaultEEESG_PmS8_NS6_8equal_toIjEEEE10hipError_tPvRmT2_T3_mT4_T5_T6_T7_T8_P12ihipStream_tbENKUlT_T0_E_clISt17integral_constantIbLb0EES14_EEDaSZ_S10_EUlSZ_E_NS1_11comp_targetILNS1_3genE3ELNS1_11target_archE908ELNS1_3gpuE7ELNS1_3repE0EEENS1_30default_config_static_selectorELNS0_4arch9wavefront6targetE1EEEvT1_: ; @_ZN7rocprim17ROCPRIM_400000_NS6detail17trampoline_kernelINS0_14default_configENS1_29reduce_by_key_config_selectorIjjN6thrust23THRUST_200600_302600_NS4plusIjEEEEZZNS1_33reduce_by_key_impl_wrapped_configILNS1_25lookback_scan_determinismE0ES3_S9_NS6_6detail15normal_iteratorINS6_10device_ptrIjEEEESG_NS6_16discard_iteratorINS6_11use_defaultEEESG_PmS8_NS6_8equal_toIjEEEE10hipError_tPvRmT2_T3_mT4_T5_T6_T7_T8_P12ihipStream_tbENKUlT_T0_E_clISt17integral_constantIbLb0EES14_EEDaSZ_S10_EUlSZ_E_NS1_11comp_targetILNS1_3genE3ELNS1_11target_archE908ELNS1_3gpuE7ELNS1_3repE0EEENS1_30default_config_static_selectorELNS0_4arch9wavefront6targetE1EEEvT1_
; %bb.0:
	.section	.rodata,"a",@progbits
	.p2align	6, 0x0
	.amdhsa_kernel _ZN7rocprim17ROCPRIM_400000_NS6detail17trampoline_kernelINS0_14default_configENS1_29reduce_by_key_config_selectorIjjN6thrust23THRUST_200600_302600_NS4plusIjEEEEZZNS1_33reduce_by_key_impl_wrapped_configILNS1_25lookback_scan_determinismE0ES3_S9_NS6_6detail15normal_iteratorINS6_10device_ptrIjEEEESG_NS6_16discard_iteratorINS6_11use_defaultEEESG_PmS8_NS6_8equal_toIjEEEE10hipError_tPvRmT2_T3_mT4_T5_T6_T7_T8_P12ihipStream_tbENKUlT_T0_E_clISt17integral_constantIbLb0EES14_EEDaSZ_S10_EUlSZ_E_NS1_11comp_targetILNS1_3genE3ELNS1_11target_archE908ELNS1_3gpuE7ELNS1_3repE0EEENS1_30default_config_static_selectorELNS0_4arch9wavefront6targetE1EEEvT1_
		.amdhsa_group_segment_fixed_size 0
		.amdhsa_private_segment_fixed_size 0
		.amdhsa_kernarg_size 128
		.amdhsa_user_sgpr_count 6
		.amdhsa_user_sgpr_private_segment_buffer 1
		.amdhsa_user_sgpr_dispatch_ptr 0
		.amdhsa_user_sgpr_queue_ptr 0
		.amdhsa_user_sgpr_kernarg_segment_ptr 1
		.amdhsa_user_sgpr_dispatch_id 0
		.amdhsa_user_sgpr_flat_scratch_init 0
		.amdhsa_user_sgpr_kernarg_preload_length 0
		.amdhsa_user_sgpr_kernarg_preload_offset 0
		.amdhsa_user_sgpr_private_segment_size 0
		.amdhsa_uses_dynamic_stack 0
		.amdhsa_system_sgpr_private_segment_wavefront_offset 0
		.amdhsa_system_sgpr_workgroup_id_x 1
		.amdhsa_system_sgpr_workgroup_id_y 0
		.amdhsa_system_sgpr_workgroup_id_z 0
		.amdhsa_system_sgpr_workgroup_info 0
		.amdhsa_system_vgpr_workitem_id 0
		.amdhsa_next_free_vgpr 1
		.amdhsa_next_free_sgpr 0
		.amdhsa_accum_offset 4
		.amdhsa_reserve_vcc 0
		.amdhsa_reserve_flat_scratch 0
		.amdhsa_float_round_mode_32 0
		.amdhsa_float_round_mode_16_64 0
		.amdhsa_float_denorm_mode_32 3
		.amdhsa_float_denorm_mode_16_64 3
		.amdhsa_dx10_clamp 1
		.amdhsa_ieee_mode 1
		.amdhsa_fp16_overflow 0
		.amdhsa_tg_split 0
		.amdhsa_exception_fp_ieee_invalid_op 0
		.amdhsa_exception_fp_denorm_src 0
		.amdhsa_exception_fp_ieee_div_zero 0
		.amdhsa_exception_fp_ieee_overflow 0
		.amdhsa_exception_fp_ieee_underflow 0
		.amdhsa_exception_fp_ieee_inexact 0
		.amdhsa_exception_int_div_zero 0
	.end_amdhsa_kernel
	.section	.text._ZN7rocprim17ROCPRIM_400000_NS6detail17trampoline_kernelINS0_14default_configENS1_29reduce_by_key_config_selectorIjjN6thrust23THRUST_200600_302600_NS4plusIjEEEEZZNS1_33reduce_by_key_impl_wrapped_configILNS1_25lookback_scan_determinismE0ES3_S9_NS6_6detail15normal_iteratorINS6_10device_ptrIjEEEESG_NS6_16discard_iteratorINS6_11use_defaultEEESG_PmS8_NS6_8equal_toIjEEEE10hipError_tPvRmT2_T3_mT4_T5_T6_T7_T8_P12ihipStream_tbENKUlT_T0_E_clISt17integral_constantIbLb0EES14_EEDaSZ_S10_EUlSZ_E_NS1_11comp_targetILNS1_3genE3ELNS1_11target_archE908ELNS1_3gpuE7ELNS1_3repE0EEENS1_30default_config_static_selectorELNS0_4arch9wavefront6targetE1EEEvT1_,"axG",@progbits,_ZN7rocprim17ROCPRIM_400000_NS6detail17trampoline_kernelINS0_14default_configENS1_29reduce_by_key_config_selectorIjjN6thrust23THRUST_200600_302600_NS4plusIjEEEEZZNS1_33reduce_by_key_impl_wrapped_configILNS1_25lookback_scan_determinismE0ES3_S9_NS6_6detail15normal_iteratorINS6_10device_ptrIjEEEESG_NS6_16discard_iteratorINS6_11use_defaultEEESG_PmS8_NS6_8equal_toIjEEEE10hipError_tPvRmT2_T3_mT4_T5_T6_T7_T8_P12ihipStream_tbENKUlT_T0_E_clISt17integral_constantIbLb0EES14_EEDaSZ_S10_EUlSZ_E_NS1_11comp_targetILNS1_3genE3ELNS1_11target_archE908ELNS1_3gpuE7ELNS1_3repE0EEENS1_30default_config_static_selectorELNS0_4arch9wavefront6targetE1EEEvT1_,comdat
.Lfunc_end916:
	.size	_ZN7rocprim17ROCPRIM_400000_NS6detail17trampoline_kernelINS0_14default_configENS1_29reduce_by_key_config_selectorIjjN6thrust23THRUST_200600_302600_NS4plusIjEEEEZZNS1_33reduce_by_key_impl_wrapped_configILNS1_25lookback_scan_determinismE0ES3_S9_NS6_6detail15normal_iteratorINS6_10device_ptrIjEEEESG_NS6_16discard_iteratorINS6_11use_defaultEEESG_PmS8_NS6_8equal_toIjEEEE10hipError_tPvRmT2_T3_mT4_T5_T6_T7_T8_P12ihipStream_tbENKUlT_T0_E_clISt17integral_constantIbLb0EES14_EEDaSZ_S10_EUlSZ_E_NS1_11comp_targetILNS1_3genE3ELNS1_11target_archE908ELNS1_3gpuE7ELNS1_3repE0EEENS1_30default_config_static_selectorELNS0_4arch9wavefront6targetE1EEEvT1_, .Lfunc_end916-_ZN7rocprim17ROCPRIM_400000_NS6detail17trampoline_kernelINS0_14default_configENS1_29reduce_by_key_config_selectorIjjN6thrust23THRUST_200600_302600_NS4plusIjEEEEZZNS1_33reduce_by_key_impl_wrapped_configILNS1_25lookback_scan_determinismE0ES3_S9_NS6_6detail15normal_iteratorINS6_10device_ptrIjEEEESG_NS6_16discard_iteratorINS6_11use_defaultEEESG_PmS8_NS6_8equal_toIjEEEE10hipError_tPvRmT2_T3_mT4_T5_T6_T7_T8_P12ihipStream_tbENKUlT_T0_E_clISt17integral_constantIbLb0EES14_EEDaSZ_S10_EUlSZ_E_NS1_11comp_targetILNS1_3genE3ELNS1_11target_archE908ELNS1_3gpuE7ELNS1_3repE0EEENS1_30default_config_static_selectorELNS0_4arch9wavefront6targetE1EEEvT1_
                                        ; -- End function
	.section	.AMDGPU.csdata,"",@progbits
; Kernel info:
; codeLenInByte = 0
; NumSgprs: 4
; NumVgprs: 0
; NumAgprs: 0
; TotalNumVgprs: 0
; ScratchSize: 0
; MemoryBound: 0
; FloatMode: 240
; IeeeMode: 1
; LDSByteSize: 0 bytes/workgroup (compile time only)
; SGPRBlocks: 0
; VGPRBlocks: 0
; NumSGPRsForWavesPerEU: 4
; NumVGPRsForWavesPerEU: 1
; AccumOffset: 4
; Occupancy: 8
; WaveLimiterHint : 0
; COMPUTE_PGM_RSRC2:SCRATCH_EN: 0
; COMPUTE_PGM_RSRC2:USER_SGPR: 6
; COMPUTE_PGM_RSRC2:TRAP_HANDLER: 0
; COMPUTE_PGM_RSRC2:TGID_X_EN: 1
; COMPUTE_PGM_RSRC2:TGID_Y_EN: 0
; COMPUTE_PGM_RSRC2:TGID_Z_EN: 0
; COMPUTE_PGM_RSRC2:TIDIG_COMP_CNT: 0
; COMPUTE_PGM_RSRC3_GFX90A:ACCUM_OFFSET: 0
; COMPUTE_PGM_RSRC3_GFX90A:TG_SPLIT: 0
	.section	.text._ZN7rocprim17ROCPRIM_400000_NS6detail17trampoline_kernelINS0_14default_configENS1_29reduce_by_key_config_selectorIjjN6thrust23THRUST_200600_302600_NS4plusIjEEEEZZNS1_33reduce_by_key_impl_wrapped_configILNS1_25lookback_scan_determinismE0ES3_S9_NS6_6detail15normal_iteratorINS6_10device_ptrIjEEEESG_NS6_16discard_iteratorINS6_11use_defaultEEESG_PmS8_NS6_8equal_toIjEEEE10hipError_tPvRmT2_T3_mT4_T5_T6_T7_T8_P12ihipStream_tbENKUlT_T0_E_clISt17integral_constantIbLb0EES14_EEDaSZ_S10_EUlSZ_E_NS1_11comp_targetILNS1_3genE2ELNS1_11target_archE906ELNS1_3gpuE6ELNS1_3repE0EEENS1_30default_config_static_selectorELNS0_4arch9wavefront6targetE1EEEvT1_,"axG",@progbits,_ZN7rocprim17ROCPRIM_400000_NS6detail17trampoline_kernelINS0_14default_configENS1_29reduce_by_key_config_selectorIjjN6thrust23THRUST_200600_302600_NS4plusIjEEEEZZNS1_33reduce_by_key_impl_wrapped_configILNS1_25lookback_scan_determinismE0ES3_S9_NS6_6detail15normal_iteratorINS6_10device_ptrIjEEEESG_NS6_16discard_iteratorINS6_11use_defaultEEESG_PmS8_NS6_8equal_toIjEEEE10hipError_tPvRmT2_T3_mT4_T5_T6_T7_T8_P12ihipStream_tbENKUlT_T0_E_clISt17integral_constantIbLb0EES14_EEDaSZ_S10_EUlSZ_E_NS1_11comp_targetILNS1_3genE2ELNS1_11target_archE906ELNS1_3gpuE6ELNS1_3repE0EEENS1_30default_config_static_selectorELNS0_4arch9wavefront6targetE1EEEvT1_,comdat
	.protected	_ZN7rocprim17ROCPRIM_400000_NS6detail17trampoline_kernelINS0_14default_configENS1_29reduce_by_key_config_selectorIjjN6thrust23THRUST_200600_302600_NS4plusIjEEEEZZNS1_33reduce_by_key_impl_wrapped_configILNS1_25lookback_scan_determinismE0ES3_S9_NS6_6detail15normal_iteratorINS6_10device_ptrIjEEEESG_NS6_16discard_iteratorINS6_11use_defaultEEESG_PmS8_NS6_8equal_toIjEEEE10hipError_tPvRmT2_T3_mT4_T5_T6_T7_T8_P12ihipStream_tbENKUlT_T0_E_clISt17integral_constantIbLb0EES14_EEDaSZ_S10_EUlSZ_E_NS1_11comp_targetILNS1_3genE2ELNS1_11target_archE906ELNS1_3gpuE6ELNS1_3repE0EEENS1_30default_config_static_selectorELNS0_4arch9wavefront6targetE1EEEvT1_ ; -- Begin function _ZN7rocprim17ROCPRIM_400000_NS6detail17trampoline_kernelINS0_14default_configENS1_29reduce_by_key_config_selectorIjjN6thrust23THRUST_200600_302600_NS4plusIjEEEEZZNS1_33reduce_by_key_impl_wrapped_configILNS1_25lookback_scan_determinismE0ES3_S9_NS6_6detail15normal_iteratorINS6_10device_ptrIjEEEESG_NS6_16discard_iteratorINS6_11use_defaultEEESG_PmS8_NS6_8equal_toIjEEEE10hipError_tPvRmT2_T3_mT4_T5_T6_T7_T8_P12ihipStream_tbENKUlT_T0_E_clISt17integral_constantIbLb0EES14_EEDaSZ_S10_EUlSZ_E_NS1_11comp_targetILNS1_3genE2ELNS1_11target_archE906ELNS1_3gpuE6ELNS1_3repE0EEENS1_30default_config_static_selectorELNS0_4arch9wavefront6targetE1EEEvT1_
	.globl	_ZN7rocprim17ROCPRIM_400000_NS6detail17trampoline_kernelINS0_14default_configENS1_29reduce_by_key_config_selectorIjjN6thrust23THRUST_200600_302600_NS4plusIjEEEEZZNS1_33reduce_by_key_impl_wrapped_configILNS1_25lookback_scan_determinismE0ES3_S9_NS6_6detail15normal_iteratorINS6_10device_ptrIjEEEESG_NS6_16discard_iteratorINS6_11use_defaultEEESG_PmS8_NS6_8equal_toIjEEEE10hipError_tPvRmT2_T3_mT4_T5_T6_T7_T8_P12ihipStream_tbENKUlT_T0_E_clISt17integral_constantIbLb0EES14_EEDaSZ_S10_EUlSZ_E_NS1_11comp_targetILNS1_3genE2ELNS1_11target_archE906ELNS1_3gpuE6ELNS1_3repE0EEENS1_30default_config_static_selectorELNS0_4arch9wavefront6targetE1EEEvT1_
	.p2align	8
	.type	_ZN7rocprim17ROCPRIM_400000_NS6detail17trampoline_kernelINS0_14default_configENS1_29reduce_by_key_config_selectorIjjN6thrust23THRUST_200600_302600_NS4plusIjEEEEZZNS1_33reduce_by_key_impl_wrapped_configILNS1_25lookback_scan_determinismE0ES3_S9_NS6_6detail15normal_iteratorINS6_10device_ptrIjEEEESG_NS6_16discard_iteratorINS6_11use_defaultEEESG_PmS8_NS6_8equal_toIjEEEE10hipError_tPvRmT2_T3_mT4_T5_T6_T7_T8_P12ihipStream_tbENKUlT_T0_E_clISt17integral_constantIbLb0EES14_EEDaSZ_S10_EUlSZ_E_NS1_11comp_targetILNS1_3genE2ELNS1_11target_archE906ELNS1_3gpuE6ELNS1_3repE0EEENS1_30default_config_static_selectorELNS0_4arch9wavefront6targetE1EEEvT1_,@function
_ZN7rocprim17ROCPRIM_400000_NS6detail17trampoline_kernelINS0_14default_configENS1_29reduce_by_key_config_selectorIjjN6thrust23THRUST_200600_302600_NS4plusIjEEEEZZNS1_33reduce_by_key_impl_wrapped_configILNS1_25lookback_scan_determinismE0ES3_S9_NS6_6detail15normal_iteratorINS6_10device_ptrIjEEEESG_NS6_16discard_iteratorINS6_11use_defaultEEESG_PmS8_NS6_8equal_toIjEEEE10hipError_tPvRmT2_T3_mT4_T5_T6_T7_T8_P12ihipStream_tbENKUlT_T0_E_clISt17integral_constantIbLb0EES14_EEDaSZ_S10_EUlSZ_E_NS1_11comp_targetILNS1_3genE2ELNS1_11target_archE906ELNS1_3gpuE6ELNS1_3repE0EEENS1_30default_config_static_selectorELNS0_4arch9wavefront6targetE1EEEvT1_: ; @_ZN7rocprim17ROCPRIM_400000_NS6detail17trampoline_kernelINS0_14default_configENS1_29reduce_by_key_config_selectorIjjN6thrust23THRUST_200600_302600_NS4plusIjEEEEZZNS1_33reduce_by_key_impl_wrapped_configILNS1_25lookback_scan_determinismE0ES3_S9_NS6_6detail15normal_iteratorINS6_10device_ptrIjEEEESG_NS6_16discard_iteratorINS6_11use_defaultEEESG_PmS8_NS6_8equal_toIjEEEE10hipError_tPvRmT2_T3_mT4_T5_T6_T7_T8_P12ihipStream_tbENKUlT_T0_E_clISt17integral_constantIbLb0EES14_EEDaSZ_S10_EUlSZ_E_NS1_11comp_targetILNS1_3genE2ELNS1_11target_archE906ELNS1_3gpuE6ELNS1_3repE0EEENS1_30default_config_static_selectorELNS0_4arch9wavefront6targetE1EEEvT1_
; %bb.0:
	.section	.rodata,"a",@progbits
	.p2align	6, 0x0
	.amdhsa_kernel _ZN7rocprim17ROCPRIM_400000_NS6detail17trampoline_kernelINS0_14default_configENS1_29reduce_by_key_config_selectorIjjN6thrust23THRUST_200600_302600_NS4plusIjEEEEZZNS1_33reduce_by_key_impl_wrapped_configILNS1_25lookback_scan_determinismE0ES3_S9_NS6_6detail15normal_iteratorINS6_10device_ptrIjEEEESG_NS6_16discard_iteratorINS6_11use_defaultEEESG_PmS8_NS6_8equal_toIjEEEE10hipError_tPvRmT2_T3_mT4_T5_T6_T7_T8_P12ihipStream_tbENKUlT_T0_E_clISt17integral_constantIbLb0EES14_EEDaSZ_S10_EUlSZ_E_NS1_11comp_targetILNS1_3genE2ELNS1_11target_archE906ELNS1_3gpuE6ELNS1_3repE0EEENS1_30default_config_static_selectorELNS0_4arch9wavefront6targetE1EEEvT1_
		.amdhsa_group_segment_fixed_size 0
		.amdhsa_private_segment_fixed_size 0
		.amdhsa_kernarg_size 128
		.amdhsa_user_sgpr_count 6
		.amdhsa_user_sgpr_private_segment_buffer 1
		.amdhsa_user_sgpr_dispatch_ptr 0
		.amdhsa_user_sgpr_queue_ptr 0
		.amdhsa_user_sgpr_kernarg_segment_ptr 1
		.amdhsa_user_sgpr_dispatch_id 0
		.amdhsa_user_sgpr_flat_scratch_init 0
		.amdhsa_user_sgpr_kernarg_preload_length 0
		.amdhsa_user_sgpr_kernarg_preload_offset 0
		.amdhsa_user_sgpr_private_segment_size 0
		.amdhsa_uses_dynamic_stack 0
		.amdhsa_system_sgpr_private_segment_wavefront_offset 0
		.amdhsa_system_sgpr_workgroup_id_x 1
		.amdhsa_system_sgpr_workgroup_id_y 0
		.amdhsa_system_sgpr_workgroup_id_z 0
		.amdhsa_system_sgpr_workgroup_info 0
		.amdhsa_system_vgpr_workitem_id 0
		.amdhsa_next_free_vgpr 1
		.amdhsa_next_free_sgpr 0
		.amdhsa_accum_offset 4
		.amdhsa_reserve_vcc 0
		.amdhsa_reserve_flat_scratch 0
		.amdhsa_float_round_mode_32 0
		.amdhsa_float_round_mode_16_64 0
		.amdhsa_float_denorm_mode_32 3
		.amdhsa_float_denorm_mode_16_64 3
		.amdhsa_dx10_clamp 1
		.amdhsa_ieee_mode 1
		.amdhsa_fp16_overflow 0
		.amdhsa_tg_split 0
		.amdhsa_exception_fp_ieee_invalid_op 0
		.amdhsa_exception_fp_denorm_src 0
		.amdhsa_exception_fp_ieee_div_zero 0
		.amdhsa_exception_fp_ieee_overflow 0
		.amdhsa_exception_fp_ieee_underflow 0
		.amdhsa_exception_fp_ieee_inexact 0
		.amdhsa_exception_int_div_zero 0
	.end_amdhsa_kernel
	.section	.text._ZN7rocprim17ROCPRIM_400000_NS6detail17trampoline_kernelINS0_14default_configENS1_29reduce_by_key_config_selectorIjjN6thrust23THRUST_200600_302600_NS4plusIjEEEEZZNS1_33reduce_by_key_impl_wrapped_configILNS1_25lookback_scan_determinismE0ES3_S9_NS6_6detail15normal_iteratorINS6_10device_ptrIjEEEESG_NS6_16discard_iteratorINS6_11use_defaultEEESG_PmS8_NS6_8equal_toIjEEEE10hipError_tPvRmT2_T3_mT4_T5_T6_T7_T8_P12ihipStream_tbENKUlT_T0_E_clISt17integral_constantIbLb0EES14_EEDaSZ_S10_EUlSZ_E_NS1_11comp_targetILNS1_3genE2ELNS1_11target_archE906ELNS1_3gpuE6ELNS1_3repE0EEENS1_30default_config_static_selectorELNS0_4arch9wavefront6targetE1EEEvT1_,"axG",@progbits,_ZN7rocprim17ROCPRIM_400000_NS6detail17trampoline_kernelINS0_14default_configENS1_29reduce_by_key_config_selectorIjjN6thrust23THRUST_200600_302600_NS4plusIjEEEEZZNS1_33reduce_by_key_impl_wrapped_configILNS1_25lookback_scan_determinismE0ES3_S9_NS6_6detail15normal_iteratorINS6_10device_ptrIjEEEESG_NS6_16discard_iteratorINS6_11use_defaultEEESG_PmS8_NS6_8equal_toIjEEEE10hipError_tPvRmT2_T3_mT4_T5_T6_T7_T8_P12ihipStream_tbENKUlT_T0_E_clISt17integral_constantIbLb0EES14_EEDaSZ_S10_EUlSZ_E_NS1_11comp_targetILNS1_3genE2ELNS1_11target_archE906ELNS1_3gpuE6ELNS1_3repE0EEENS1_30default_config_static_selectorELNS0_4arch9wavefront6targetE1EEEvT1_,comdat
.Lfunc_end917:
	.size	_ZN7rocprim17ROCPRIM_400000_NS6detail17trampoline_kernelINS0_14default_configENS1_29reduce_by_key_config_selectorIjjN6thrust23THRUST_200600_302600_NS4plusIjEEEEZZNS1_33reduce_by_key_impl_wrapped_configILNS1_25lookback_scan_determinismE0ES3_S9_NS6_6detail15normal_iteratorINS6_10device_ptrIjEEEESG_NS6_16discard_iteratorINS6_11use_defaultEEESG_PmS8_NS6_8equal_toIjEEEE10hipError_tPvRmT2_T3_mT4_T5_T6_T7_T8_P12ihipStream_tbENKUlT_T0_E_clISt17integral_constantIbLb0EES14_EEDaSZ_S10_EUlSZ_E_NS1_11comp_targetILNS1_3genE2ELNS1_11target_archE906ELNS1_3gpuE6ELNS1_3repE0EEENS1_30default_config_static_selectorELNS0_4arch9wavefront6targetE1EEEvT1_, .Lfunc_end917-_ZN7rocprim17ROCPRIM_400000_NS6detail17trampoline_kernelINS0_14default_configENS1_29reduce_by_key_config_selectorIjjN6thrust23THRUST_200600_302600_NS4plusIjEEEEZZNS1_33reduce_by_key_impl_wrapped_configILNS1_25lookback_scan_determinismE0ES3_S9_NS6_6detail15normal_iteratorINS6_10device_ptrIjEEEESG_NS6_16discard_iteratorINS6_11use_defaultEEESG_PmS8_NS6_8equal_toIjEEEE10hipError_tPvRmT2_T3_mT4_T5_T6_T7_T8_P12ihipStream_tbENKUlT_T0_E_clISt17integral_constantIbLb0EES14_EEDaSZ_S10_EUlSZ_E_NS1_11comp_targetILNS1_3genE2ELNS1_11target_archE906ELNS1_3gpuE6ELNS1_3repE0EEENS1_30default_config_static_selectorELNS0_4arch9wavefront6targetE1EEEvT1_
                                        ; -- End function
	.section	.AMDGPU.csdata,"",@progbits
; Kernel info:
; codeLenInByte = 0
; NumSgprs: 4
; NumVgprs: 0
; NumAgprs: 0
; TotalNumVgprs: 0
; ScratchSize: 0
; MemoryBound: 0
; FloatMode: 240
; IeeeMode: 1
; LDSByteSize: 0 bytes/workgroup (compile time only)
; SGPRBlocks: 0
; VGPRBlocks: 0
; NumSGPRsForWavesPerEU: 4
; NumVGPRsForWavesPerEU: 1
; AccumOffset: 4
; Occupancy: 8
; WaveLimiterHint : 0
; COMPUTE_PGM_RSRC2:SCRATCH_EN: 0
; COMPUTE_PGM_RSRC2:USER_SGPR: 6
; COMPUTE_PGM_RSRC2:TRAP_HANDLER: 0
; COMPUTE_PGM_RSRC2:TGID_X_EN: 1
; COMPUTE_PGM_RSRC2:TGID_Y_EN: 0
; COMPUTE_PGM_RSRC2:TGID_Z_EN: 0
; COMPUTE_PGM_RSRC2:TIDIG_COMP_CNT: 0
; COMPUTE_PGM_RSRC3_GFX90A:ACCUM_OFFSET: 0
; COMPUTE_PGM_RSRC3_GFX90A:TG_SPLIT: 0
	.section	.text._ZN7rocprim17ROCPRIM_400000_NS6detail17trampoline_kernelINS0_14default_configENS1_29reduce_by_key_config_selectorIjjN6thrust23THRUST_200600_302600_NS4plusIjEEEEZZNS1_33reduce_by_key_impl_wrapped_configILNS1_25lookback_scan_determinismE0ES3_S9_NS6_6detail15normal_iteratorINS6_10device_ptrIjEEEESG_NS6_16discard_iteratorINS6_11use_defaultEEESG_PmS8_NS6_8equal_toIjEEEE10hipError_tPvRmT2_T3_mT4_T5_T6_T7_T8_P12ihipStream_tbENKUlT_T0_E_clISt17integral_constantIbLb0EES14_EEDaSZ_S10_EUlSZ_E_NS1_11comp_targetILNS1_3genE10ELNS1_11target_archE1201ELNS1_3gpuE5ELNS1_3repE0EEENS1_30default_config_static_selectorELNS0_4arch9wavefront6targetE1EEEvT1_,"axG",@progbits,_ZN7rocprim17ROCPRIM_400000_NS6detail17trampoline_kernelINS0_14default_configENS1_29reduce_by_key_config_selectorIjjN6thrust23THRUST_200600_302600_NS4plusIjEEEEZZNS1_33reduce_by_key_impl_wrapped_configILNS1_25lookback_scan_determinismE0ES3_S9_NS6_6detail15normal_iteratorINS6_10device_ptrIjEEEESG_NS6_16discard_iteratorINS6_11use_defaultEEESG_PmS8_NS6_8equal_toIjEEEE10hipError_tPvRmT2_T3_mT4_T5_T6_T7_T8_P12ihipStream_tbENKUlT_T0_E_clISt17integral_constantIbLb0EES14_EEDaSZ_S10_EUlSZ_E_NS1_11comp_targetILNS1_3genE10ELNS1_11target_archE1201ELNS1_3gpuE5ELNS1_3repE0EEENS1_30default_config_static_selectorELNS0_4arch9wavefront6targetE1EEEvT1_,comdat
	.protected	_ZN7rocprim17ROCPRIM_400000_NS6detail17trampoline_kernelINS0_14default_configENS1_29reduce_by_key_config_selectorIjjN6thrust23THRUST_200600_302600_NS4plusIjEEEEZZNS1_33reduce_by_key_impl_wrapped_configILNS1_25lookback_scan_determinismE0ES3_S9_NS6_6detail15normal_iteratorINS6_10device_ptrIjEEEESG_NS6_16discard_iteratorINS6_11use_defaultEEESG_PmS8_NS6_8equal_toIjEEEE10hipError_tPvRmT2_T3_mT4_T5_T6_T7_T8_P12ihipStream_tbENKUlT_T0_E_clISt17integral_constantIbLb0EES14_EEDaSZ_S10_EUlSZ_E_NS1_11comp_targetILNS1_3genE10ELNS1_11target_archE1201ELNS1_3gpuE5ELNS1_3repE0EEENS1_30default_config_static_selectorELNS0_4arch9wavefront6targetE1EEEvT1_ ; -- Begin function _ZN7rocprim17ROCPRIM_400000_NS6detail17trampoline_kernelINS0_14default_configENS1_29reduce_by_key_config_selectorIjjN6thrust23THRUST_200600_302600_NS4plusIjEEEEZZNS1_33reduce_by_key_impl_wrapped_configILNS1_25lookback_scan_determinismE0ES3_S9_NS6_6detail15normal_iteratorINS6_10device_ptrIjEEEESG_NS6_16discard_iteratorINS6_11use_defaultEEESG_PmS8_NS6_8equal_toIjEEEE10hipError_tPvRmT2_T3_mT4_T5_T6_T7_T8_P12ihipStream_tbENKUlT_T0_E_clISt17integral_constantIbLb0EES14_EEDaSZ_S10_EUlSZ_E_NS1_11comp_targetILNS1_3genE10ELNS1_11target_archE1201ELNS1_3gpuE5ELNS1_3repE0EEENS1_30default_config_static_selectorELNS0_4arch9wavefront6targetE1EEEvT1_
	.globl	_ZN7rocprim17ROCPRIM_400000_NS6detail17trampoline_kernelINS0_14default_configENS1_29reduce_by_key_config_selectorIjjN6thrust23THRUST_200600_302600_NS4plusIjEEEEZZNS1_33reduce_by_key_impl_wrapped_configILNS1_25lookback_scan_determinismE0ES3_S9_NS6_6detail15normal_iteratorINS6_10device_ptrIjEEEESG_NS6_16discard_iteratorINS6_11use_defaultEEESG_PmS8_NS6_8equal_toIjEEEE10hipError_tPvRmT2_T3_mT4_T5_T6_T7_T8_P12ihipStream_tbENKUlT_T0_E_clISt17integral_constantIbLb0EES14_EEDaSZ_S10_EUlSZ_E_NS1_11comp_targetILNS1_3genE10ELNS1_11target_archE1201ELNS1_3gpuE5ELNS1_3repE0EEENS1_30default_config_static_selectorELNS0_4arch9wavefront6targetE1EEEvT1_
	.p2align	8
	.type	_ZN7rocprim17ROCPRIM_400000_NS6detail17trampoline_kernelINS0_14default_configENS1_29reduce_by_key_config_selectorIjjN6thrust23THRUST_200600_302600_NS4plusIjEEEEZZNS1_33reduce_by_key_impl_wrapped_configILNS1_25lookback_scan_determinismE0ES3_S9_NS6_6detail15normal_iteratorINS6_10device_ptrIjEEEESG_NS6_16discard_iteratorINS6_11use_defaultEEESG_PmS8_NS6_8equal_toIjEEEE10hipError_tPvRmT2_T3_mT4_T5_T6_T7_T8_P12ihipStream_tbENKUlT_T0_E_clISt17integral_constantIbLb0EES14_EEDaSZ_S10_EUlSZ_E_NS1_11comp_targetILNS1_3genE10ELNS1_11target_archE1201ELNS1_3gpuE5ELNS1_3repE0EEENS1_30default_config_static_selectorELNS0_4arch9wavefront6targetE1EEEvT1_,@function
_ZN7rocprim17ROCPRIM_400000_NS6detail17trampoline_kernelINS0_14default_configENS1_29reduce_by_key_config_selectorIjjN6thrust23THRUST_200600_302600_NS4plusIjEEEEZZNS1_33reduce_by_key_impl_wrapped_configILNS1_25lookback_scan_determinismE0ES3_S9_NS6_6detail15normal_iteratorINS6_10device_ptrIjEEEESG_NS6_16discard_iteratorINS6_11use_defaultEEESG_PmS8_NS6_8equal_toIjEEEE10hipError_tPvRmT2_T3_mT4_T5_T6_T7_T8_P12ihipStream_tbENKUlT_T0_E_clISt17integral_constantIbLb0EES14_EEDaSZ_S10_EUlSZ_E_NS1_11comp_targetILNS1_3genE10ELNS1_11target_archE1201ELNS1_3gpuE5ELNS1_3repE0EEENS1_30default_config_static_selectorELNS0_4arch9wavefront6targetE1EEEvT1_: ; @_ZN7rocprim17ROCPRIM_400000_NS6detail17trampoline_kernelINS0_14default_configENS1_29reduce_by_key_config_selectorIjjN6thrust23THRUST_200600_302600_NS4plusIjEEEEZZNS1_33reduce_by_key_impl_wrapped_configILNS1_25lookback_scan_determinismE0ES3_S9_NS6_6detail15normal_iteratorINS6_10device_ptrIjEEEESG_NS6_16discard_iteratorINS6_11use_defaultEEESG_PmS8_NS6_8equal_toIjEEEE10hipError_tPvRmT2_T3_mT4_T5_T6_T7_T8_P12ihipStream_tbENKUlT_T0_E_clISt17integral_constantIbLb0EES14_EEDaSZ_S10_EUlSZ_E_NS1_11comp_targetILNS1_3genE10ELNS1_11target_archE1201ELNS1_3gpuE5ELNS1_3repE0EEENS1_30default_config_static_selectorELNS0_4arch9wavefront6targetE1EEEvT1_
; %bb.0:
	.section	.rodata,"a",@progbits
	.p2align	6, 0x0
	.amdhsa_kernel _ZN7rocprim17ROCPRIM_400000_NS6detail17trampoline_kernelINS0_14default_configENS1_29reduce_by_key_config_selectorIjjN6thrust23THRUST_200600_302600_NS4plusIjEEEEZZNS1_33reduce_by_key_impl_wrapped_configILNS1_25lookback_scan_determinismE0ES3_S9_NS6_6detail15normal_iteratorINS6_10device_ptrIjEEEESG_NS6_16discard_iteratorINS6_11use_defaultEEESG_PmS8_NS6_8equal_toIjEEEE10hipError_tPvRmT2_T3_mT4_T5_T6_T7_T8_P12ihipStream_tbENKUlT_T0_E_clISt17integral_constantIbLb0EES14_EEDaSZ_S10_EUlSZ_E_NS1_11comp_targetILNS1_3genE10ELNS1_11target_archE1201ELNS1_3gpuE5ELNS1_3repE0EEENS1_30default_config_static_selectorELNS0_4arch9wavefront6targetE1EEEvT1_
		.amdhsa_group_segment_fixed_size 0
		.amdhsa_private_segment_fixed_size 0
		.amdhsa_kernarg_size 128
		.amdhsa_user_sgpr_count 6
		.amdhsa_user_sgpr_private_segment_buffer 1
		.amdhsa_user_sgpr_dispatch_ptr 0
		.amdhsa_user_sgpr_queue_ptr 0
		.amdhsa_user_sgpr_kernarg_segment_ptr 1
		.amdhsa_user_sgpr_dispatch_id 0
		.amdhsa_user_sgpr_flat_scratch_init 0
		.amdhsa_user_sgpr_kernarg_preload_length 0
		.amdhsa_user_sgpr_kernarg_preload_offset 0
		.amdhsa_user_sgpr_private_segment_size 0
		.amdhsa_uses_dynamic_stack 0
		.amdhsa_system_sgpr_private_segment_wavefront_offset 0
		.amdhsa_system_sgpr_workgroup_id_x 1
		.amdhsa_system_sgpr_workgroup_id_y 0
		.amdhsa_system_sgpr_workgroup_id_z 0
		.amdhsa_system_sgpr_workgroup_info 0
		.amdhsa_system_vgpr_workitem_id 0
		.amdhsa_next_free_vgpr 1
		.amdhsa_next_free_sgpr 0
		.amdhsa_accum_offset 4
		.amdhsa_reserve_vcc 0
		.amdhsa_reserve_flat_scratch 0
		.amdhsa_float_round_mode_32 0
		.amdhsa_float_round_mode_16_64 0
		.amdhsa_float_denorm_mode_32 3
		.amdhsa_float_denorm_mode_16_64 3
		.amdhsa_dx10_clamp 1
		.amdhsa_ieee_mode 1
		.amdhsa_fp16_overflow 0
		.amdhsa_tg_split 0
		.amdhsa_exception_fp_ieee_invalid_op 0
		.amdhsa_exception_fp_denorm_src 0
		.amdhsa_exception_fp_ieee_div_zero 0
		.amdhsa_exception_fp_ieee_overflow 0
		.amdhsa_exception_fp_ieee_underflow 0
		.amdhsa_exception_fp_ieee_inexact 0
		.amdhsa_exception_int_div_zero 0
	.end_amdhsa_kernel
	.section	.text._ZN7rocprim17ROCPRIM_400000_NS6detail17trampoline_kernelINS0_14default_configENS1_29reduce_by_key_config_selectorIjjN6thrust23THRUST_200600_302600_NS4plusIjEEEEZZNS1_33reduce_by_key_impl_wrapped_configILNS1_25lookback_scan_determinismE0ES3_S9_NS6_6detail15normal_iteratorINS6_10device_ptrIjEEEESG_NS6_16discard_iteratorINS6_11use_defaultEEESG_PmS8_NS6_8equal_toIjEEEE10hipError_tPvRmT2_T3_mT4_T5_T6_T7_T8_P12ihipStream_tbENKUlT_T0_E_clISt17integral_constantIbLb0EES14_EEDaSZ_S10_EUlSZ_E_NS1_11comp_targetILNS1_3genE10ELNS1_11target_archE1201ELNS1_3gpuE5ELNS1_3repE0EEENS1_30default_config_static_selectorELNS0_4arch9wavefront6targetE1EEEvT1_,"axG",@progbits,_ZN7rocprim17ROCPRIM_400000_NS6detail17trampoline_kernelINS0_14default_configENS1_29reduce_by_key_config_selectorIjjN6thrust23THRUST_200600_302600_NS4plusIjEEEEZZNS1_33reduce_by_key_impl_wrapped_configILNS1_25lookback_scan_determinismE0ES3_S9_NS6_6detail15normal_iteratorINS6_10device_ptrIjEEEESG_NS6_16discard_iteratorINS6_11use_defaultEEESG_PmS8_NS6_8equal_toIjEEEE10hipError_tPvRmT2_T3_mT4_T5_T6_T7_T8_P12ihipStream_tbENKUlT_T0_E_clISt17integral_constantIbLb0EES14_EEDaSZ_S10_EUlSZ_E_NS1_11comp_targetILNS1_3genE10ELNS1_11target_archE1201ELNS1_3gpuE5ELNS1_3repE0EEENS1_30default_config_static_selectorELNS0_4arch9wavefront6targetE1EEEvT1_,comdat
.Lfunc_end918:
	.size	_ZN7rocprim17ROCPRIM_400000_NS6detail17trampoline_kernelINS0_14default_configENS1_29reduce_by_key_config_selectorIjjN6thrust23THRUST_200600_302600_NS4plusIjEEEEZZNS1_33reduce_by_key_impl_wrapped_configILNS1_25lookback_scan_determinismE0ES3_S9_NS6_6detail15normal_iteratorINS6_10device_ptrIjEEEESG_NS6_16discard_iteratorINS6_11use_defaultEEESG_PmS8_NS6_8equal_toIjEEEE10hipError_tPvRmT2_T3_mT4_T5_T6_T7_T8_P12ihipStream_tbENKUlT_T0_E_clISt17integral_constantIbLb0EES14_EEDaSZ_S10_EUlSZ_E_NS1_11comp_targetILNS1_3genE10ELNS1_11target_archE1201ELNS1_3gpuE5ELNS1_3repE0EEENS1_30default_config_static_selectorELNS0_4arch9wavefront6targetE1EEEvT1_, .Lfunc_end918-_ZN7rocprim17ROCPRIM_400000_NS6detail17trampoline_kernelINS0_14default_configENS1_29reduce_by_key_config_selectorIjjN6thrust23THRUST_200600_302600_NS4plusIjEEEEZZNS1_33reduce_by_key_impl_wrapped_configILNS1_25lookback_scan_determinismE0ES3_S9_NS6_6detail15normal_iteratorINS6_10device_ptrIjEEEESG_NS6_16discard_iteratorINS6_11use_defaultEEESG_PmS8_NS6_8equal_toIjEEEE10hipError_tPvRmT2_T3_mT4_T5_T6_T7_T8_P12ihipStream_tbENKUlT_T0_E_clISt17integral_constantIbLb0EES14_EEDaSZ_S10_EUlSZ_E_NS1_11comp_targetILNS1_3genE10ELNS1_11target_archE1201ELNS1_3gpuE5ELNS1_3repE0EEENS1_30default_config_static_selectorELNS0_4arch9wavefront6targetE1EEEvT1_
                                        ; -- End function
	.section	.AMDGPU.csdata,"",@progbits
; Kernel info:
; codeLenInByte = 0
; NumSgprs: 4
; NumVgprs: 0
; NumAgprs: 0
; TotalNumVgprs: 0
; ScratchSize: 0
; MemoryBound: 0
; FloatMode: 240
; IeeeMode: 1
; LDSByteSize: 0 bytes/workgroup (compile time only)
; SGPRBlocks: 0
; VGPRBlocks: 0
; NumSGPRsForWavesPerEU: 4
; NumVGPRsForWavesPerEU: 1
; AccumOffset: 4
; Occupancy: 8
; WaveLimiterHint : 0
; COMPUTE_PGM_RSRC2:SCRATCH_EN: 0
; COMPUTE_PGM_RSRC2:USER_SGPR: 6
; COMPUTE_PGM_RSRC2:TRAP_HANDLER: 0
; COMPUTE_PGM_RSRC2:TGID_X_EN: 1
; COMPUTE_PGM_RSRC2:TGID_Y_EN: 0
; COMPUTE_PGM_RSRC2:TGID_Z_EN: 0
; COMPUTE_PGM_RSRC2:TIDIG_COMP_CNT: 0
; COMPUTE_PGM_RSRC3_GFX90A:ACCUM_OFFSET: 0
; COMPUTE_PGM_RSRC3_GFX90A:TG_SPLIT: 0
	.section	.text._ZN7rocprim17ROCPRIM_400000_NS6detail17trampoline_kernelINS0_14default_configENS1_29reduce_by_key_config_selectorIjjN6thrust23THRUST_200600_302600_NS4plusIjEEEEZZNS1_33reduce_by_key_impl_wrapped_configILNS1_25lookback_scan_determinismE0ES3_S9_NS6_6detail15normal_iteratorINS6_10device_ptrIjEEEESG_NS6_16discard_iteratorINS6_11use_defaultEEESG_PmS8_NS6_8equal_toIjEEEE10hipError_tPvRmT2_T3_mT4_T5_T6_T7_T8_P12ihipStream_tbENKUlT_T0_E_clISt17integral_constantIbLb0EES14_EEDaSZ_S10_EUlSZ_E_NS1_11comp_targetILNS1_3genE10ELNS1_11target_archE1200ELNS1_3gpuE4ELNS1_3repE0EEENS1_30default_config_static_selectorELNS0_4arch9wavefront6targetE1EEEvT1_,"axG",@progbits,_ZN7rocprim17ROCPRIM_400000_NS6detail17trampoline_kernelINS0_14default_configENS1_29reduce_by_key_config_selectorIjjN6thrust23THRUST_200600_302600_NS4plusIjEEEEZZNS1_33reduce_by_key_impl_wrapped_configILNS1_25lookback_scan_determinismE0ES3_S9_NS6_6detail15normal_iteratorINS6_10device_ptrIjEEEESG_NS6_16discard_iteratorINS6_11use_defaultEEESG_PmS8_NS6_8equal_toIjEEEE10hipError_tPvRmT2_T3_mT4_T5_T6_T7_T8_P12ihipStream_tbENKUlT_T0_E_clISt17integral_constantIbLb0EES14_EEDaSZ_S10_EUlSZ_E_NS1_11comp_targetILNS1_3genE10ELNS1_11target_archE1200ELNS1_3gpuE4ELNS1_3repE0EEENS1_30default_config_static_selectorELNS0_4arch9wavefront6targetE1EEEvT1_,comdat
	.protected	_ZN7rocprim17ROCPRIM_400000_NS6detail17trampoline_kernelINS0_14default_configENS1_29reduce_by_key_config_selectorIjjN6thrust23THRUST_200600_302600_NS4plusIjEEEEZZNS1_33reduce_by_key_impl_wrapped_configILNS1_25lookback_scan_determinismE0ES3_S9_NS6_6detail15normal_iteratorINS6_10device_ptrIjEEEESG_NS6_16discard_iteratorINS6_11use_defaultEEESG_PmS8_NS6_8equal_toIjEEEE10hipError_tPvRmT2_T3_mT4_T5_T6_T7_T8_P12ihipStream_tbENKUlT_T0_E_clISt17integral_constantIbLb0EES14_EEDaSZ_S10_EUlSZ_E_NS1_11comp_targetILNS1_3genE10ELNS1_11target_archE1200ELNS1_3gpuE4ELNS1_3repE0EEENS1_30default_config_static_selectorELNS0_4arch9wavefront6targetE1EEEvT1_ ; -- Begin function _ZN7rocprim17ROCPRIM_400000_NS6detail17trampoline_kernelINS0_14default_configENS1_29reduce_by_key_config_selectorIjjN6thrust23THRUST_200600_302600_NS4plusIjEEEEZZNS1_33reduce_by_key_impl_wrapped_configILNS1_25lookback_scan_determinismE0ES3_S9_NS6_6detail15normal_iteratorINS6_10device_ptrIjEEEESG_NS6_16discard_iteratorINS6_11use_defaultEEESG_PmS8_NS6_8equal_toIjEEEE10hipError_tPvRmT2_T3_mT4_T5_T6_T7_T8_P12ihipStream_tbENKUlT_T0_E_clISt17integral_constantIbLb0EES14_EEDaSZ_S10_EUlSZ_E_NS1_11comp_targetILNS1_3genE10ELNS1_11target_archE1200ELNS1_3gpuE4ELNS1_3repE0EEENS1_30default_config_static_selectorELNS0_4arch9wavefront6targetE1EEEvT1_
	.globl	_ZN7rocprim17ROCPRIM_400000_NS6detail17trampoline_kernelINS0_14default_configENS1_29reduce_by_key_config_selectorIjjN6thrust23THRUST_200600_302600_NS4plusIjEEEEZZNS1_33reduce_by_key_impl_wrapped_configILNS1_25lookback_scan_determinismE0ES3_S9_NS6_6detail15normal_iteratorINS6_10device_ptrIjEEEESG_NS6_16discard_iteratorINS6_11use_defaultEEESG_PmS8_NS6_8equal_toIjEEEE10hipError_tPvRmT2_T3_mT4_T5_T6_T7_T8_P12ihipStream_tbENKUlT_T0_E_clISt17integral_constantIbLb0EES14_EEDaSZ_S10_EUlSZ_E_NS1_11comp_targetILNS1_3genE10ELNS1_11target_archE1200ELNS1_3gpuE4ELNS1_3repE0EEENS1_30default_config_static_selectorELNS0_4arch9wavefront6targetE1EEEvT1_
	.p2align	8
	.type	_ZN7rocprim17ROCPRIM_400000_NS6detail17trampoline_kernelINS0_14default_configENS1_29reduce_by_key_config_selectorIjjN6thrust23THRUST_200600_302600_NS4plusIjEEEEZZNS1_33reduce_by_key_impl_wrapped_configILNS1_25lookback_scan_determinismE0ES3_S9_NS6_6detail15normal_iteratorINS6_10device_ptrIjEEEESG_NS6_16discard_iteratorINS6_11use_defaultEEESG_PmS8_NS6_8equal_toIjEEEE10hipError_tPvRmT2_T3_mT4_T5_T6_T7_T8_P12ihipStream_tbENKUlT_T0_E_clISt17integral_constantIbLb0EES14_EEDaSZ_S10_EUlSZ_E_NS1_11comp_targetILNS1_3genE10ELNS1_11target_archE1200ELNS1_3gpuE4ELNS1_3repE0EEENS1_30default_config_static_selectorELNS0_4arch9wavefront6targetE1EEEvT1_,@function
_ZN7rocprim17ROCPRIM_400000_NS6detail17trampoline_kernelINS0_14default_configENS1_29reduce_by_key_config_selectorIjjN6thrust23THRUST_200600_302600_NS4plusIjEEEEZZNS1_33reduce_by_key_impl_wrapped_configILNS1_25lookback_scan_determinismE0ES3_S9_NS6_6detail15normal_iteratorINS6_10device_ptrIjEEEESG_NS6_16discard_iteratorINS6_11use_defaultEEESG_PmS8_NS6_8equal_toIjEEEE10hipError_tPvRmT2_T3_mT4_T5_T6_T7_T8_P12ihipStream_tbENKUlT_T0_E_clISt17integral_constantIbLb0EES14_EEDaSZ_S10_EUlSZ_E_NS1_11comp_targetILNS1_3genE10ELNS1_11target_archE1200ELNS1_3gpuE4ELNS1_3repE0EEENS1_30default_config_static_selectorELNS0_4arch9wavefront6targetE1EEEvT1_: ; @_ZN7rocprim17ROCPRIM_400000_NS6detail17trampoline_kernelINS0_14default_configENS1_29reduce_by_key_config_selectorIjjN6thrust23THRUST_200600_302600_NS4plusIjEEEEZZNS1_33reduce_by_key_impl_wrapped_configILNS1_25lookback_scan_determinismE0ES3_S9_NS6_6detail15normal_iteratorINS6_10device_ptrIjEEEESG_NS6_16discard_iteratorINS6_11use_defaultEEESG_PmS8_NS6_8equal_toIjEEEE10hipError_tPvRmT2_T3_mT4_T5_T6_T7_T8_P12ihipStream_tbENKUlT_T0_E_clISt17integral_constantIbLb0EES14_EEDaSZ_S10_EUlSZ_E_NS1_11comp_targetILNS1_3genE10ELNS1_11target_archE1200ELNS1_3gpuE4ELNS1_3repE0EEENS1_30default_config_static_selectorELNS0_4arch9wavefront6targetE1EEEvT1_
; %bb.0:
	.section	.rodata,"a",@progbits
	.p2align	6, 0x0
	.amdhsa_kernel _ZN7rocprim17ROCPRIM_400000_NS6detail17trampoline_kernelINS0_14default_configENS1_29reduce_by_key_config_selectorIjjN6thrust23THRUST_200600_302600_NS4plusIjEEEEZZNS1_33reduce_by_key_impl_wrapped_configILNS1_25lookback_scan_determinismE0ES3_S9_NS6_6detail15normal_iteratorINS6_10device_ptrIjEEEESG_NS6_16discard_iteratorINS6_11use_defaultEEESG_PmS8_NS6_8equal_toIjEEEE10hipError_tPvRmT2_T3_mT4_T5_T6_T7_T8_P12ihipStream_tbENKUlT_T0_E_clISt17integral_constantIbLb0EES14_EEDaSZ_S10_EUlSZ_E_NS1_11comp_targetILNS1_3genE10ELNS1_11target_archE1200ELNS1_3gpuE4ELNS1_3repE0EEENS1_30default_config_static_selectorELNS0_4arch9wavefront6targetE1EEEvT1_
		.amdhsa_group_segment_fixed_size 0
		.amdhsa_private_segment_fixed_size 0
		.amdhsa_kernarg_size 128
		.amdhsa_user_sgpr_count 6
		.amdhsa_user_sgpr_private_segment_buffer 1
		.amdhsa_user_sgpr_dispatch_ptr 0
		.amdhsa_user_sgpr_queue_ptr 0
		.amdhsa_user_sgpr_kernarg_segment_ptr 1
		.amdhsa_user_sgpr_dispatch_id 0
		.amdhsa_user_sgpr_flat_scratch_init 0
		.amdhsa_user_sgpr_kernarg_preload_length 0
		.amdhsa_user_sgpr_kernarg_preload_offset 0
		.amdhsa_user_sgpr_private_segment_size 0
		.amdhsa_uses_dynamic_stack 0
		.amdhsa_system_sgpr_private_segment_wavefront_offset 0
		.amdhsa_system_sgpr_workgroup_id_x 1
		.amdhsa_system_sgpr_workgroup_id_y 0
		.amdhsa_system_sgpr_workgroup_id_z 0
		.amdhsa_system_sgpr_workgroup_info 0
		.amdhsa_system_vgpr_workitem_id 0
		.amdhsa_next_free_vgpr 1
		.amdhsa_next_free_sgpr 0
		.amdhsa_accum_offset 4
		.amdhsa_reserve_vcc 0
		.amdhsa_reserve_flat_scratch 0
		.amdhsa_float_round_mode_32 0
		.amdhsa_float_round_mode_16_64 0
		.amdhsa_float_denorm_mode_32 3
		.amdhsa_float_denorm_mode_16_64 3
		.amdhsa_dx10_clamp 1
		.amdhsa_ieee_mode 1
		.amdhsa_fp16_overflow 0
		.amdhsa_tg_split 0
		.amdhsa_exception_fp_ieee_invalid_op 0
		.amdhsa_exception_fp_denorm_src 0
		.amdhsa_exception_fp_ieee_div_zero 0
		.amdhsa_exception_fp_ieee_overflow 0
		.amdhsa_exception_fp_ieee_underflow 0
		.amdhsa_exception_fp_ieee_inexact 0
		.amdhsa_exception_int_div_zero 0
	.end_amdhsa_kernel
	.section	.text._ZN7rocprim17ROCPRIM_400000_NS6detail17trampoline_kernelINS0_14default_configENS1_29reduce_by_key_config_selectorIjjN6thrust23THRUST_200600_302600_NS4plusIjEEEEZZNS1_33reduce_by_key_impl_wrapped_configILNS1_25lookback_scan_determinismE0ES3_S9_NS6_6detail15normal_iteratorINS6_10device_ptrIjEEEESG_NS6_16discard_iteratorINS6_11use_defaultEEESG_PmS8_NS6_8equal_toIjEEEE10hipError_tPvRmT2_T3_mT4_T5_T6_T7_T8_P12ihipStream_tbENKUlT_T0_E_clISt17integral_constantIbLb0EES14_EEDaSZ_S10_EUlSZ_E_NS1_11comp_targetILNS1_3genE10ELNS1_11target_archE1200ELNS1_3gpuE4ELNS1_3repE0EEENS1_30default_config_static_selectorELNS0_4arch9wavefront6targetE1EEEvT1_,"axG",@progbits,_ZN7rocprim17ROCPRIM_400000_NS6detail17trampoline_kernelINS0_14default_configENS1_29reduce_by_key_config_selectorIjjN6thrust23THRUST_200600_302600_NS4plusIjEEEEZZNS1_33reduce_by_key_impl_wrapped_configILNS1_25lookback_scan_determinismE0ES3_S9_NS6_6detail15normal_iteratorINS6_10device_ptrIjEEEESG_NS6_16discard_iteratorINS6_11use_defaultEEESG_PmS8_NS6_8equal_toIjEEEE10hipError_tPvRmT2_T3_mT4_T5_T6_T7_T8_P12ihipStream_tbENKUlT_T0_E_clISt17integral_constantIbLb0EES14_EEDaSZ_S10_EUlSZ_E_NS1_11comp_targetILNS1_3genE10ELNS1_11target_archE1200ELNS1_3gpuE4ELNS1_3repE0EEENS1_30default_config_static_selectorELNS0_4arch9wavefront6targetE1EEEvT1_,comdat
.Lfunc_end919:
	.size	_ZN7rocprim17ROCPRIM_400000_NS6detail17trampoline_kernelINS0_14default_configENS1_29reduce_by_key_config_selectorIjjN6thrust23THRUST_200600_302600_NS4plusIjEEEEZZNS1_33reduce_by_key_impl_wrapped_configILNS1_25lookback_scan_determinismE0ES3_S9_NS6_6detail15normal_iteratorINS6_10device_ptrIjEEEESG_NS6_16discard_iteratorINS6_11use_defaultEEESG_PmS8_NS6_8equal_toIjEEEE10hipError_tPvRmT2_T3_mT4_T5_T6_T7_T8_P12ihipStream_tbENKUlT_T0_E_clISt17integral_constantIbLb0EES14_EEDaSZ_S10_EUlSZ_E_NS1_11comp_targetILNS1_3genE10ELNS1_11target_archE1200ELNS1_3gpuE4ELNS1_3repE0EEENS1_30default_config_static_selectorELNS0_4arch9wavefront6targetE1EEEvT1_, .Lfunc_end919-_ZN7rocprim17ROCPRIM_400000_NS6detail17trampoline_kernelINS0_14default_configENS1_29reduce_by_key_config_selectorIjjN6thrust23THRUST_200600_302600_NS4plusIjEEEEZZNS1_33reduce_by_key_impl_wrapped_configILNS1_25lookback_scan_determinismE0ES3_S9_NS6_6detail15normal_iteratorINS6_10device_ptrIjEEEESG_NS6_16discard_iteratorINS6_11use_defaultEEESG_PmS8_NS6_8equal_toIjEEEE10hipError_tPvRmT2_T3_mT4_T5_T6_T7_T8_P12ihipStream_tbENKUlT_T0_E_clISt17integral_constantIbLb0EES14_EEDaSZ_S10_EUlSZ_E_NS1_11comp_targetILNS1_3genE10ELNS1_11target_archE1200ELNS1_3gpuE4ELNS1_3repE0EEENS1_30default_config_static_selectorELNS0_4arch9wavefront6targetE1EEEvT1_
                                        ; -- End function
	.section	.AMDGPU.csdata,"",@progbits
; Kernel info:
; codeLenInByte = 0
; NumSgprs: 4
; NumVgprs: 0
; NumAgprs: 0
; TotalNumVgprs: 0
; ScratchSize: 0
; MemoryBound: 0
; FloatMode: 240
; IeeeMode: 1
; LDSByteSize: 0 bytes/workgroup (compile time only)
; SGPRBlocks: 0
; VGPRBlocks: 0
; NumSGPRsForWavesPerEU: 4
; NumVGPRsForWavesPerEU: 1
; AccumOffset: 4
; Occupancy: 8
; WaveLimiterHint : 0
; COMPUTE_PGM_RSRC2:SCRATCH_EN: 0
; COMPUTE_PGM_RSRC2:USER_SGPR: 6
; COMPUTE_PGM_RSRC2:TRAP_HANDLER: 0
; COMPUTE_PGM_RSRC2:TGID_X_EN: 1
; COMPUTE_PGM_RSRC2:TGID_Y_EN: 0
; COMPUTE_PGM_RSRC2:TGID_Z_EN: 0
; COMPUTE_PGM_RSRC2:TIDIG_COMP_CNT: 0
; COMPUTE_PGM_RSRC3_GFX90A:ACCUM_OFFSET: 0
; COMPUTE_PGM_RSRC3_GFX90A:TG_SPLIT: 0
	.section	.text._ZN7rocprim17ROCPRIM_400000_NS6detail17trampoline_kernelINS0_14default_configENS1_29reduce_by_key_config_selectorIjjN6thrust23THRUST_200600_302600_NS4plusIjEEEEZZNS1_33reduce_by_key_impl_wrapped_configILNS1_25lookback_scan_determinismE0ES3_S9_NS6_6detail15normal_iteratorINS6_10device_ptrIjEEEESG_NS6_16discard_iteratorINS6_11use_defaultEEESG_PmS8_NS6_8equal_toIjEEEE10hipError_tPvRmT2_T3_mT4_T5_T6_T7_T8_P12ihipStream_tbENKUlT_T0_E_clISt17integral_constantIbLb0EES14_EEDaSZ_S10_EUlSZ_E_NS1_11comp_targetILNS1_3genE9ELNS1_11target_archE1100ELNS1_3gpuE3ELNS1_3repE0EEENS1_30default_config_static_selectorELNS0_4arch9wavefront6targetE1EEEvT1_,"axG",@progbits,_ZN7rocprim17ROCPRIM_400000_NS6detail17trampoline_kernelINS0_14default_configENS1_29reduce_by_key_config_selectorIjjN6thrust23THRUST_200600_302600_NS4plusIjEEEEZZNS1_33reduce_by_key_impl_wrapped_configILNS1_25lookback_scan_determinismE0ES3_S9_NS6_6detail15normal_iteratorINS6_10device_ptrIjEEEESG_NS6_16discard_iteratorINS6_11use_defaultEEESG_PmS8_NS6_8equal_toIjEEEE10hipError_tPvRmT2_T3_mT4_T5_T6_T7_T8_P12ihipStream_tbENKUlT_T0_E_clISt17integral_constantIbLb0EES14_EEDaSZ_S10_EUlSZ_E_NS1_11comp_targetILNS1_3genE9ELNS1_11target_archE1100ELNS1_3gpuE3ELNS1_3repE0EEENS1_30default_config_static_selectorELNS0_4arch9wavefront6targetE1EEEvT1_,comdat
	.protected	_ZN7rocprim17ROCPRIM_400000_NS6detail17trampoline_kernelINS0_14default_configENS1_29reduce_by_key_config_selectorIjjN6thrust23THRUST_200600_302600_NS4plusIjEEEEZZNS1_33reduce_by_key_impl_wrapped_configILNS1_25lookback_scan_determinismE0ES3_S9_NS6_6detail15normal_iteratorINS6_10device_ptrIjEEEESG_NS6_16discard_iteratorINS6_11use_defaultEEESG_PmS8_NS6_8equal_toIjEEEE10hipError_tPvRmT2_T3_mT4_T5_T6_T7_T8_P12ihipStream_tbENKUlT_T0_E_clISt17integral_constantIbLb0EES14_EEDaSZ_S10_EUlSZ_E_NS1_11comp_targetILNS1_3genE9ELNS1_11target_archE1100ELNS1_3gpuE3ELNS1_3repE0EEENS1_30default_config_static_selectorELNS0_4arch9wavefront6targetE1EEEvT1_ ; -- Begin function _ZN7rocprim17ROCPRIM_400000_NS6detail17trampoline_kernelINS0_14default_configENS1_29reduce_by_key_config_selectorIjjN6thrust23THRUST_200600_302600_NS4plusIjEEEEZZNS1_33reduce_by_key_impl_wrapped_configILNS1_25lookback_scan_determinismE0ES3_S9_NS6_6detail15normal_iteratorINS6_10device_ptrIjEEEESG_NS6_16discard_iteratorINS6_11use_defaultEEESG_PmS8_NS6_8equal_toIjEEEE10hipError_tPvRmT2_T3_mT4_T5_T6_T7_T8_P12ihipStream_tbENKUlT_T0_E_clISt17integral_constantIbLb0EES14_EEDaSZ_S10_EUlSZ_E_NS1_11comp_targetILNS1_3genE9ELNS1_11target_archE1100ELNS1_3gpuE3ELNS1_3repE0EEENS1_30default_config_static_selectorELNS0_4arch9wavefront6targetE1EEEvT1_
	.globl	_ZN7rocprim17ROCPRIM_400000_NS6detail17trampoline_kernelINS0_14default_configENS1_29reduce_by_key_config_selectorIjjN6thrust23THRUST_200600_302600_NS4plusIjEEEEZZNS1_33reduce_by_key_impl_wrapped_configILNS1_25lookback_scan_determinismE0ES3_S9_NS6_6detail15normal_iteratorINS6_10device_ptrIjEEEESG_NS6_16discard_iteratorINS6_11use_defaultEEESG_PmS8_NS6_8equal_toIjEEEE10hipError_tPvRmT2_T3_mT4_T5_T6_T7_T8_P12ihipStream_tbENKUlT_T0_E_clISt17integral_constantIbLb0EES14_EEDaSZ_S10_EUlSZ_E_NS1_11comp_targetILNS1_3genE9ELNS1_11target_archE1100ELNS1_3gpuE3ELNS1_3repE0EEENS1_30default_config_static_selectorELNS0_4arch9wavefront6targetE1EEEvT1_
	.p2align	8
	.type	_ZN7rocprim17ROCPRIM_400000_NS6detail17trampoline_kernelINS0_14default_configENS1_29reduce_by_key_config_selectorIjjN6thrust23THRUST_200600_302600_NS4plusIjEEEEZZNS1_33reduce_by_key_impl_wrapped_configILNS1_25lookback_scan_determinismE0ES3_S9_NS6_6detail15normal_iteratorINS6_10device_ptrIjEEEESG_NS6_16discard_iteratorINS6_11use_defaultEEESG_PmS8_NS6_8equal_toIjEEEE10hipError_tPvRmT2_T3_mT4_T5_T6_T7_T8_P12ihipStream_tbENKUlT_T0_E_clISt17integral_constantIbLb0EES14_EEDaSZ_S10_EUlSZ_E_NS1_11comp_targetILNS1_3genE9ELNS1_11target_archE1100ELNS1_3gpuE3ELNS1_3repE0EEENS1_30default_config_static_selectorELNS0_4arch9wavefront6targetE1EEEvT1_,@function
_ZN7rocprim17ROCPRIM_400000_NS6detail17trampoline_kernelINS0_14default_configENS1_29reduce_by_key_config_selectorIjjN6thrust23THRUST_200600_302600_NS4plusIjEEEEZZNS1_33reduce_by_key_impl_wrapped_configILNS1_25lookback_scan_determinismE0ES3_S9_NS6_6detail15normal_iteratorINS6_10device_ptrIjEEEESG_NS6_16discard_iteratorINS6_11use_defaultEEESG_PmS8_NS6_8equal_toIjEEEE10hipError_tPvRmT2_T3_mT4_T5_T6_T7_T8_P12ihipStream_tbENKUlT_T0_E_clISt17integral_constantIbLb0EES14_EEDaSZ_S10_EUlSZ_E_NS1_11comp_targetILNS1_3genE9ELNS1_11target_archE1100ELNS1_3gpuE3ELNS1_3repE0EEENS1_30default_config_static_selectorELNS0_4arch9wavefront6targetE1EEEvT1_: ; @_ZN7rocprim17ROCPRIM_400000_NS6detail17trampoline_kernelINS0_14default_configENS1_29reduce_by_key_config_selectorIjjN6thrust23THRUST_200600_302600_NS4plusIjEEEEZZNS1_33reduce_by_key_impl_wrapped_configILNS1_25lookback_scan_determinismE0ES3_S9_NS6_6detail15normal_iteratorINS6_10device_ptrIjEEEESG_NS6_16discard_iteratorINS6_11use_defaultEEESG_PmS8_NS6_8equal_toIjEEEE10hipError_tPvRmT2_T3_mT4_T5_T6_T7_T8_P12ihipStream_tbENKUlT_T0_E_clISt17integral_constantIbLb0EES14_EEDaSZ_S10_EUlSZ_E_NS1_11comp_targetILNS1_3genE9ELNS1_11target_archE1100ELNS1_3gpuE3ELNS1_3repE0EEENS1_30default_config_static_selectorELNS0_4arch9wavefront6targetE1EEEvT1_
; %bb.0:
	.section	.rodata,"a",@progbits
	.p2align	6, 0x0
	.amdhsa_kernel _ZN7rocprim17ROCPRIM_400000_NS6detail17trampoline_kernelINS0_14default_configENS1_29reduce_by_key_config_selectorIjjN6thrust23THRUST_200600_302600_NS4plusIjEEEEZZNS1_33reduce_by_key_impl_wrapped_configILNS1_25lookback_scan_determinismE0ES3_S9_NS6_6detail15normal_iteratorINS6_10device_ptrIjEEEESG_NS6_16discard_iteratorINS6_11use_defaultEEESG_PmS8_NS6_8equal_toIjEEEE10hipError_tPvRmT2_T3_mT4_T5_T6_T7_T8_P12ihipStream_tbENKUlT_T0_E_clISt17integral_constantIbLb0EES14_EEDaSZ_S10_EUlSZ_E_NS1_11comp_targetILNS1_3genE9ELNS1_11target_archE1100ELNS1_3gpuE3ELNS1_3repE0EEENS1_30default_config_static_selectorELNS0_4arch9wavefront6targetE1EEEvT1_
		.amdhsa_group_segment_fixed_size 0
		.amdhsa_private_segment_fixed_size 0
		.amdhsa_kernarg_size 128
		.amdhsa_user_sgpr_count 6
		.amdhsa_user_sgpr_private_segment_buffer 1
		.amdhsa_user_sgpr_dispatch_ptr 0
		.amdhsa_user_sgpr_queue_ptr 0
		.amdhsa_user_sgpr_kernarg_segment_ptr 1
		.amdhsa_user_sgpr_dispatch_id 0
		.amdhsa_user_sgpr_flat_scratch_init 0
		.amdhsa_user_sgpr_kernarg_preload_length 0
		.amdhsa_user_sgpr_kernarg_preload_offset 0
		.amdhsa_user_sgpr_private_segment_size 0
		.amdhsa_uses_dynamic_stack 0
		.amdhsa_system_sgpr_private_segment_wavefront_offset 0
		.amdhsa_system_sgpr_workgroup_id_x 1
		.amdhsa_system_sgpr_workgroup_id_y 0
		.amdhsa_system_sgpr_workgroup_id_z 0
		.amdhsa_system_sgpr_workgroup_info 0
		.amdhsa_system_vgpr_workitem_id 0
		.amdhsa_next_free_vgpr 1
		.amdhsa_next_free_sgpr 0
		.amdhsa_accum_offset 4
		.amdhsa_reserve_vcc 0
		.amdhsa_reserve_flat_scratch 0
		.amdhsa_float_round_mode_32 0
		.amdhsa_float_round_mode_16_64 0
		.amdhsa_float_denorm_mode_32 3
		.amdhsa_float_denorm_mode_16_64 3
		.amdhsa_dx10_clamp 1
		.amdhsa_ieee_mode 1
		.amdhsa_fp16_overflow 0
		.amdhsa_tg_split 0
		.amdhsa_exception_fp_ieee_invalid_op 0
		.amdhsa_exception_fp_denorm_src 0
		.amdhsa_exception_fp_ieee_div_zero 0
		.amdhsa_exception_fp_ieee_overflow 0
		.amdhsa_exception_fp_ieee_underflow 0
		.amdhsa_exception_fp_ieee_inexact 0
		.amdhsa_exception_int_div_zero 0
	.end_amdhsa_kernel
	.section	.text._ZN7rocprim17ROCPRIM_400000_NS6detail17trampoline_kernelINS0_14default_configENS1_29reduce_by_key_config_selectorIjjN6thrust23THRUST_200600_302600_NS4plusIjEEEEZZNS1_33reduce_by_key_impl_wrapped_configILNS1_25lookback_scan_determinismE0ES3_S9_NS6_6detail15normal_iteratorINS6_10device_ptrIjEEEESG_NS6_16discard_iteratorINS6_11use_defaultEEESG_PmS8_NS6_8equal_toIjEEEE10hipError_tPvRmT2_T3_mT4_T5_T6_T7_T8_P12ihipStream_tbENKUlT_T0_E_clISt17integral_constantIbLb0EES14_EEDaSZ_S10_EUlSZ_E_NS1_11comp_targetILNS1_3genE9ELNS1_11target_archE1100ELNS1_3gpuE3ELNS1_3repE0EEENS1_30default_config_static_selectorELNS0_4arch9wavefront6targetE1EEEvT1_,"axG",@progbits,_ZN7rocprim17ROCPRIM_400000_NS6detail17trampoline_kernelINS0_14default_configENS1_29reduce_by_key_config_selectorIjjN6thrust23THRUST_200600_302600_NS4plusIjEEEEZZNS1_33reduce_by_key_impl_wrapped_configILNS1_25lookback_scan_determinismE0ES3_S9_NS6_6detail15normal_iteratorINS6_10device_ptrIjEEEESG_NS6_16discard_iteratorINS6_11use_defaultEEESG_PmS8_NS6_8equal_toIjEEEE10hipError_tPvRmT2_T3_mT4_T5_T6_T7_T8_P12ihipStream_tbENKUlT_T0_E_clISt17integral_constantIbLb0EES14_EEDaSZ_S10_EUlSZ_E_NS1_11comp_targetILNS1_3genE9ELNS1_11target_archE1100ELNS1_3gpuE3ELNS1_3repE0EEENS1_30default_config_static_selectorELNS0_4arch9wavefront6targetE1EEEvT1_,comdat
.Lfunc_end920:
	.size	_ZN7rocprim17ROCPRIM_400000_NS6detail17trampoline_kernelINS0_14default_configENS1_29reduce_by_key_config_selectorIjjN6thrust23THRUST_200600_302600_NS4plusIjEEEEZZNS1_33reduce_by_key_impl_wrapped_configILNS1_25lookback_scan_determinismE0ES3_S9_NS6_6detail15normal_iteratorINS6_10device_ptrIjEEEESG_NS6_16discard_iteratorINS6_11use_defaultEEESG_PmS8_NS6_8equal_toIjEEEE10hipError_tPvRmT2_T3_mT4_T5_T6_T7_T8_P12ihipStream_tbENKUlT_T0_E_clISt17integral_constantIbLb0EES14_EEDaSZ_S10_EUlSZ_E_NS1_11comp_targetILNS1_3genE9ELNS1_11target_archE1100ELNS1_3gpuE3ELNS1_3repE0EEENS1_30default_config_static_selectorELNS0_4arch9wavefront6targetE1EEEvT1_, .Lfunc_end920-_ZN7rocprim17ROCPRIM_400000_NS6detail17trampoline_kernelINS0_14default_configENS1_29reduce_by_key_config_selectorIjjN6thrust23THRUST_200600_302600_NS4plusIjEEEEZZNS1_33reduce_by_key_impl_wrapped_configILNS1_25lookback_scan_determinismE0ES3_S9_NS6_6detail15normal_iteratorINS6_10device_ptrIjEEEESG_NS6_16discard_iteratorINS6_11use_defaultEEESG_PmS8_NS6_8equal_toIjEEEE10hipError_tPvRmT2_T3_mT4_T5_T6_T7_T8_P12ihipStream_tbENKUlT_T0_E_clISt17integral_constantIbLb0EES14_EEDaSZ_S10_EUlSZ_E_NS1_11comp_targetILNS1_3genE9ELNS1_11target_archE1100ELNS1_3gpuE3ELNS1_3repE0EEENS1_30default_config_static_selectorELNS0_4arch9wavefront6targetE1EEEvT1_
                                        ; -- End function
	.section	.AMDGPU.csdata,"",@progbits
; Kernel info:
; codeLenInByte = 0
; NumSgprs: 4
; NumVgprs: 0
; NumAgprs: 0
; TotalNumVgprs: 0
; ScratchSize: 0
; MemoryBound: 0
; FloatMode: 240
; IeeeMode: 1
; LDSByteSize: 0 bytes/workgroup (compile time only)
; SGPRBlocks: 0
; VGPRBlocks: 0
; NumSGPRsForWavesPerEU: 4
; NumVGPRsForWavesPerEU: 1
; AccumOffset: 4
; Occupancy: 8
; WaveLimiterHint : 0
; COMPUTE_PGM_RSRC2:SCRATCH_EN: 0
; COMPUTE_PGM_RSRC2:USER_SGPR: 6
; COMPUTE_PGM_RSRC2:TRAP_HANDLER: 0
; COMPUTE_PGM_RSRC2:TGID_X_EN: 1
; COMPUTE_PGM_RSRC2:TGID_Y_EN: 0
; COMPUTE_PGM_RSRC2:TGID_Z_EN: 0
; COMPUTE_PGM_RSRC2:TIDIG_COMP_CNT: 0
; COMPUTE_PGM_RSRC3_GFX90A:ACCUM_OFFSET: 0
; COMPUTE_PGM_RSRC3_GFX90A:TG_SPLIT: 0
	.section	.text._ZN7rocprim17ROCPRIM_400000_NS6detail17trampoline_kernelINS0_14default_configENS1_29reduce_by_key_config_selectorIjjN6thrust23THRUST_200600_302600_NS4plusIjEEEEZZNS1_33reduce_by_key_impl_wrapped_configILNS1_25lookback_scan_determinismE0ES3_S9_NS6_6detail15normal_iteratorINS6_10device_ptrIjEEEESG_NS6_16discard_iteratorINS6_11use_defaultEEESG_PmS8_NS6_8equal_toIjEEEE10hipError_tPvRmT2_T3_mT4_T5_T6_T7_T8_P12ihipStream_tbENKUlT_T0_E_clISt17integral_constantIbLb0EES14_EEDaSZ_S10_EUlSZ_E_NS1_11comp_targetILNS1_3genE8ELNS1_11target_archE1030ELNS1_3gpuE2ELNS1_3repE0EEENS1_30default_config_static_selectorELNS0_4arch9wavefront6targetE1EEEvT1_,"axG",@progbits,_ZN7rocprim17ROCPRIM_400000_NS6detail17trampoline_kernelINS0_14default_configENS1_29reduce_by_key_config_selectorIjjN6thrust23THRUST_200600_302600_NS4plusIjEEEEZZNS1_33reduce_by_key_impl_wrapped_configILNS1_25lookback_scan_determinismE0ES3_S9_NS6_6detail15normal_iteratorINS6_10device_ptrIjEEEESG_NS6_16discard_iteratorINS6_11use_defaultEEESG_PmS8_NS6_8equal_toIjEEEE10hipError_tPvRmT2_T3_mT4_T5_T6_T7_T8_P12ihipStream_tbENKUlT_T0_E_clISt17integral_constantIbLb0EES14_EEDaSZ_S10_EUlSZ_E_NS1_11comp_targetILNS1_3genE8ELNS1_11target_archE1030ELNS1_3gpuE2ELNS1_3repE0EEENS1_30default_config_static_selectorELNS0_4arch9wavefront6targetE1EEEvT1_,comdat
	.protected	_ZN7rocprim17ROCPRIM_400000_NS6detail17trampoline_kernelINS0_14default_configENS1_29reduce_by_key_config_selectorIjjN6thrust23THRUST_200600_302600_NS4plusIjEEEEZZNS1_33reduce_by_key_impl_wrapped_configILNS1_25lookback_scan_determinismE0ES3_S9_NS6_6detail15normal_iteratorINS6_10device_ptrIjEEEESG_NS6_16discard_iteratorINS6_11use_defaultEEESG_PmS8_NS6_8equal_toIjEEEE10hipError_tPvRmT2_T3_mT4_T5_T6_T7_T8_P12ihipStream_tbENKUlT_T0_E_clISt17integral_constantIbLb0EES14_EEDaSZ_S10_EUlSZ_E_NS1_11comp_targetILNS1_3genE8ELNS1_11target_archE1030ELNS1_3gpuE2ELNS1_3repE0EEENS1_30default_config_static_selectorELNS0_4arch9wavefront6targetE1EEEvT1_ ; -- Begin function _ZN7rocprim17ROCPRIM_400000_NS6detail17trampoline_kernelINS0_14default_configENS1_29reduce_by_key_config_selectorIjjN6thrust23THRUST_200600_302600_NS4plusIjEEEEZZNS1_33reduce_by_key_impl_wrapped_configILNS1_25lookback_scan_determinismE0ES3_S9_NS6_6detail15normal_iteratorINS6_10device_ptrIjEEEESG_NS6_16discard_iteratorINS6_11use_defaultEEESG_PmS8_NS6_8equal_toIjEEEE10hipError_tPvRmT2_T3_mT4_T5_T6_T7_T8_P12ihipStream_tbENKUlT_T0_E_clISt17integral_constantIbLb0EES14_EEDaSZ_S10_EUlSZ_E_NS1_11comp_targetILNS1_3genE8ELNS1_11target_archE1030ELNS1_3gpuE2ELNS1_3repE0EEENS1_30default_config_static_selectorELNS0_4arch9wavefront6targetE1EEEvT1_
	.globl	_ZN7rocprim17ROCPRIM_400000_NS6detail17trampoline_kernelINS0_14default_configENS1_29reduce_by_key_config_selectorIjjN6thrust23THRUST_200600_302600_NS4plusIjEEEEZZNS1_33reduce_by_key_impl_wrapped_configILNS1_25lookback_scan_determinismE0ES3_S9_NS6_6detail15normal_iteratorINS6_10device_ptrIjEEEESG_NS6_16discard_iteratorINS6_11use_defaultEEESG_PmS8_NS6_8equal_toIjEEEE10hipError_tPvRmT2_T3_mT4_T5_T6_T7_T8_P12ihipStream_tbENKUlT_T0_E_clISt17integral_constantIbLb0EES14_EEDaSZ_S10_EUlSZ_E_NS1_11comp_targetILNS1_3genE8ELNS1_11target_archE1030ELNS1_3gpuE2ELNS1_3repE0EEENS1_30default_config_static_selectorELNS0_4arch9wavefront6targetE1EEEvT1_
	.p2align	8
	.type	_ZN7rocprim17ROCPRIM_400000_NS6detail17trampoline_kernelINS0_14default_configENS1_29reduce_by_key_config_selectorIjjN6thrust23THRUST_200600_302600_NS4plusIjEEEEZZNS1_33reduce_by_key_impl_wrapped_configILNS1_25lookback_scan_determinismE0ES3_S9_NS6_6detail15normal_iteratorINS6_10device_ptrIjEEEESG_NS6_16discard_iteratorINS6_11use_defaultEEESG_PmS8_NS6_8equal_toIjEEEE10hipError_tPvRmT2_T3_mT4_T5_T6_T7_T8_P12ihipStream_tbENKUlT_T0_E_clISt17integral_constantIbLb0EES14_EEDaSZ_S10_EUlSZ_E_NS1_11comp_targetILNS1_3genE8ELNS1_11target_archE1030ELNS1_3gpuE2ELNS1_3repE0EEENS1_30default_config_static_selectorELNS0_4arch9wavefront6targetE1EEEvT1_,@function
_ZN7rocprim17ROCPRIM_400000_NS6detail17trampoline_kernelINS0_14default_configENS1_29reduce_by_key_config_selectorIjjN6thrust23THRUST_200600_302600_NS4plusIjEEEEZZNS1_33reduce_by_key_impl_wrapped_configILNS1_25lookback_scan_determinismE0ES3_S9_NS6_6detail15normal_iteratorINS6_10device_ptrIjEEEESG_NS6_16discard_iteratorINS6_11use_defaultEEESG_PmS8_NS6_8equal_toIjEEEE10hipError_tPvRmT2_T3_mT4_T5_T6_T7_T8_P12ihipStream_tbENKUlT_T0_E_clISt17integral_constantIbLb0EES14_EEDaSZ_S10_EUlSZ_E_NS1_11comp_targetILNS1_3genE8ELNS1_11target_archE1030ELNS1_3gpuE2ELNS1_3repE0EEENS1_30default_config_static_selectorELNS0_4arch9wavefront6targetE1EEEvT1_: ; @_ZN7rocprim17ROCPRIM_400000_NS6detail17trampoline_kernelINS0_14default_configENS1_29reduce_by_key_config_selectorIjjN6thrust23THRUST_200600_302600_NS4plusIjEEEEZZNS1_33reduce_by_key_impl_wrapped_configILNS1_25lookback_scan_determinismE0ES3_S9_NS6_6detail15normal_iteratorINS6_10device_ptrIjEEEESG_NS6_16discard_iteratorINS6_11use_defaultEEESG_PmS8_NS6_8equal_toIjEEEE10hipError_tPvRmT2_T3_mT4_T5_T6_T7_T8_P12ihipStream_tbENKUlT_T0_E_clISt17integral_constantIbLb0EES14_EEDaSZ_S10_EUlSZ_E_NS1_11comp_targetILNS1_3genE8ELNS1_11target_archE1030ELNS1_3gpuE2ELNS1_3repE0EEENS1_30default_config_static_selectorELNS0_4arch9wavefront6targetE1EEEvT1_
; %bb.0:
	.section	.rodata,"a",@progbits
	.p2align	6, 0x0
	.amdhsa_kernel _ZN7rocprim17ROCPRIM_400000_NS6detail17trampoline_kernelINS0_14default_configENS1_29reduce_by_key_config_selectorIjjN6thrust23THRUST_200600_302600_NS4plusIjEEEEZZNS1_33reduce_by_key_impl_wrapped_configILNS1_25lookback_scan_determinismE0ES3_S9_NS6_6detail15normal_iteratorINS6_10device_ptrIjEEEESG_NS6_16discard_iteratorINS6_11use_defaultEEESG_PmS8_NS6_8equal_toIjEEEE10hipError_tPvRmT2_T3_mT4_T5_T6_T7_T8_P12ihipStream_tbENKUlT_T0_E_clISt17integral_constantIbLb0EES14_EEDaSZ_S10_EUlSZ_E_NS1_11comp_targetILNS1_3genE8ELNS1_11target_archE1030ELNS1_3gpuE2ELNS1_3repE0EEENS1_30default_config_static_selectorELNS0_4arch9wavefront6targetE1EEEvT1_
		.amdhsa_group_segment_fixed_size 0
		.amdhsa_private_segment_fixed_size 0
		.amdhsa_kernarg_size 128
		.amdhsa_user_sgpr_count 6
		.amdhsa_user_sgpr_private_segment_buffer 1
		.amdhsa_user_sgpr_dispatch_ptr 0
		.amdhsa_user_sgpr_queue_ptr 0
		.amdhsa_user_sgpr_kernarg_segment_ptr 1
		.amdhsa_user_sgpr_dispatch_id 0
		.amdhsa_user_sgpr_flat_scratch_init 0
		.amdhsa_user_sgpr_kernarg_preload_length 0
		.amdhsa_user_sgpr_kernarg_preload_offset 0
		.amdhsa_user_sgpr_private_segment_size 0
		.amdhsa_uses_dynamic_stack 0
		.amdhsa_system_sgpr_private_segment_wavefront_offset 0
		.amdhsa_system_sgpr_workgroup_id_x 1
		.amdhsa_system_sgpr_workgroup_id_y 0
		.amdhsa_system_sgpr_workgroup_id_z 0
		.amdhsa_system_sgpr_workgroup_info 0
		.amdhsa_system_vgpr_workitem_id 0
		.amdhsa_next_free_vgpr 1
		.amdhsa_next_free_sgpr 0
		.amdhsa_accum_offset 4
		.amdhsa_reserve_vcc 0
		.amdhsa_reserve_flat_scratch 0
		.amdhsa_float_round_mode_32 0
		.amdhsa_float_round_mode_16_64 0
		.amdhsa_float_denorm_mode_32 3
		.amdhsa_float_denorm_mode_16_64 3
		.amdhsa_dx10_clamp 1
		.amdhsa_ieee_mode 1
		.amdhsa_fp16_overflow 0
		.amdhsa_tg_split 0
		.amdhsa_exception_fp_ieee_invalid_op 0
		.amdhsa_exception_fp_denorm_src 0
		.amdhsa_exception_fp_ieee_div_zero 0
		.amdhsa_exception_fp_ieee_overflow 0
		.amdhsa_exception_fp_ieee_underflow 0
		.amdhsa_exception_fp_ieee_inexact 0
		.amdhsa_exception_int_div_zero 0
	.end_amdhsa_kernel
	.section	.text._ZN7rocprim17ROCPRIM_400000_NS6detail17trampoline_kernelINS0_14default_configENS1_29reduce_by_key_config_selectorIjjN6thrust23THRUST_200600_302600_NS4plusIjEEEEZZNS1_33reduce_by_key_impl_wrapped_configILNS1_25lookback_scan_determinismE0ES3_S9_NS6_6detail15normal_iteratorINS6_10device_ptrIjEEEESG_NS6_16discard_iteratorINS6_11use_defaultEEESG_PmS8_NS6_8equal_toIjEEEE10hipError_tPvRmT2_T3_mT4_T5_T6_T7_T8_P12ihipStream_tbENKUlT_T0_E_clISt17integral_constantIbLb0EES14_EEDaSZ_S10_EUlSZ_E_NS1_11comp_targetILNS1_3genE8ELNS1_11target_archE1030ELNS1_3gpuE2ELNS1_3repE0EEENS1_30default_config_static_selectorELNS0_4arch9wavefront6targetE1EEEvT1_,"axG",@progbits,_ZN7rocprim17ROCPRIM_400000_NS6detail17trampoline_kernelINS0_14default_configENS1_29reduce_by_key_config_selectorIjjN6thrust23THRUST_200600_302600_NS4plusIjEEEEZZNS1_33reduce_by_key_impl_wrapped_configILNS1_25lookback_scan_determinismE0ES3_S9_NS6_6detail15normal_iteratorINS6_10device_ptrIjEEEESG_NS6_16discard_iteratorINS6_11use_defaultEEESG_PmS8_NS6_8equal_toIjEEEE10hipError_tPvRmT2_T3_mT4_T5_T6_T7_T8_P12ihipStream_tbENKUlT_T0_E_clISt17integral_constantIbLb0EES14_EEDaSZ_S10_EUlSZ_E_NS1_11comp_targetILNS1_3genE8ELNS1_11target_archE1030ELNS1_3gpuE2ELNS1_3repE0EEENS1_30default_config_static_selectorELNS0_4arch9wavefront6targetE1EEEvT1_,comdat
.Lfunc_end921:
	.size	_ZN7rocprim17ROCPRIM_400000_NS6detail17trampoline_kernelINS0_14default_configENS1_29reduce_by_key_config_selectorIjjN6thrust23THRUST_200600_302600_NS4plusIjEEEEZZNS1_33reduce_by_key_impl_wrapped_configILNS1_25lookback_scan_determinismE0ES3_S9_NS6_6detail15normal_iteratorINS6_10device_ptrIjEEEESG_NS6_16discard_iteratorINS6_11use_defaultEEESG_PmS8_NS6_8equal_toIjEEEE10hipError_tPvRmT2_T3_mT4_T5_T6_T7_T8_P12ihipStream_tbENKUlT_T0_E_clISt17integral_constantIbLb0EES14_EEDaSZ_S10_EUlSZ_E_NS1_11comp_targetILNS1_3genE8ELNS1_11target_archE1030ELNS1_3gpuE2ELNS1_3repE0EEENS1_30default_config_static_selectorELNS0_4arch9wavefront6targetE1EEEvT1_, .Lfunc_end921-_ZN7rocprim17ROCPRIM_400000_NS6detail17trampoline_kernelINS0_14default_configENS1_29reduce_by_key_config_selectorIjjN6thrust23THRUST_200600_302600_NS4plusIjEEEEZZNS1_33reduce_by_key_impl_wrapped_configILNS1_25lookback_scan_determinismE0ES3_S9_NS6_6detail15normal_iteratorINS6_10device_ptrIjEEEESG_NS6_16discard_iteratorINS6_11use_defaultEEESG_PmS8_NS6_8equal_toIjEEEE10hipError_tPvRmT2_T3_mT4_T5_T6_T7_T8_P12ihipStream_tbENKUlT_T0_E_clISt17integral_constantIbLb0EES14_EEDaSZ_S10_EUlSZ_E_NS1_11comp_targetILNS1_3genE8ELNS1_11target_archE1030ELNS1_3gpuE2ELNS1_3repE0EEENS1_30default_config_static_selectorELNS0_4arch9wavefront6targetE1EEEvT1_
                                        ; -- End function
	.section	.AMDGPU.csdata,"",@progbits
; Kernel info:
; codeLenInByte = 0
; NumSgprs: 4
; NumVgprs: 0
; NumAgprs: 0
; TotalNumVgprs: 0
; ScratchSize: 0
; MemoryBound: 0
; FloatMode: 240
; IeeeMode: 1
; LDSByteSize: 0 bytes/workgroup (compile time only)
; SGPRBlocks: 0
; VGPRBlocks: 0
; NumSGPRsForWavesPerEU: 4
; NumVGPRsForWavesPerEU: 1
; AccumOffset: 4
; Occupancy: 8
; WaveLimiterHint : 0
; COMPUTE_PGM_RSRC2:SCRATCH_EN: 0
; COMPUTE_PGM_RSRC2:USER_SGPR: 6
; COMPUTE_PGM_RSRC2:TRAP_HANDLER: 0
; COMPUTE_PGM_RSRC2:TGID_X_EN: 1
; COMPUTE_PGM_RSRC2:TGID_Y_EN: 0
; COMPUTE_PGM_RSRC2:TGID_Z_EN: 0
; COMPUTE_PGM_RSRC2:TIDIG_COMP_CNT: 0
; COMPUTE_PGM_RSRC3_GFX90A:ACCUM_OFFSET: 0
; COMPUTE_PGM_RSRC3_GFX90A:TG_SPLIT: 0
	.section	.text._ZN7rocprim17ROCPRIM_400000_NS6detail17trampoline_kernelINS0_14default_configENS1_29reduce_by_key_config_selectorIjjN6thrust23THRUST_200600_302600_NS4plusIjEEEEZZNS1_33reduce_by_key_impl_wrapped_configILNS1_25lookback_scan_determinismE0ES3_S9_NS6_6detail15normal_iteratorINS6_10device_ptrIjEEEESG_NS6_16discard_iteratorINS6_11use_defaultEEESG_PmS8_NS6_8equal_toIjEEEE10hipError_tPvRmT2_T3_mT4_T5_T6_T7_T8_P12ihipStream_tbENKUlT_T0_E_clISt17integral_constantIbLb1EES14_EEDaSZ_S10_EUlSZ_E_NS1_11comp_targetILNS1_3genE0ELNS1_11target_archE4294967295ELNS1_3gpuE0ELNS1_3repE0EEENS1_30default_config_static_selectorELNS0_4arch9wavefront6targetE1EEEvT1_,"axG",@progbits,_ZN7rocprim17ROCPRIM_400000_NS6detail17trampoline_kernelINS0_14default_configENS1_29reduce_by_key_config_selectorIjjN6thrust23THRUST_200600_302600_NS4plusIjEEEEZZNS1_33reduce_by_key_impl_wrapped_configILNS1_25lookback_scan_determinismE0ES3_S9_NS6_6detail15normal_iteratorINS6_10device_ptrIjEEEESG_NS6_16discard_iteratorINS6_11use_defaultEEESG_PmS8_NS6_8equal_toIjEEEE10hipError_tPvRmT2_T3_mT4_T5_T6_T7_T8_P12ihipStream_tbENKUlT_T0_E_clISt17integral_constantIbLb1EES14_EEDaSZ_S10_EUlSZ_E_NS1_11comp_targetILNS1_3genE0ELNS1_11target_archE4294967295ELNS1_3gpuE0ELNS1_3repE0EEENS1_30default_config_static_selectorELNS0_4arch9wavefront6targetE1EEEvT1_,comdat
	.protected	_ZN7rocprim17ROCPRIM_400000_NS6detail17trampoline_kernelINS0_14default_configENS1_29reduce_by_key_config_selectorIjjN6thrust23THRUST_200600_302600_NS4plusIjEEEEZZNS1_33reduce_by_key_impl_wrapped_configILNS1_25lookback_scan_determinismE0ES3_S9_NS6_6detail15normal_iteratorINS6_10device_ptrIjEEEESG_NS6_16discard_iteratorINS6_11use_defaultEEESG_PmS8_NS6_8equal_toIjEEEE10hipError_tPvRmT2_T3_mT4_T5_T6_T7_T8_P12ihipStream_tbENKUlT_T0_E_clISt17integral_constantIbLb1EES14_EEDaSZ_S10_EUlSZ_E_NS1_11comp_targetILNS1_3genE0ELNS1_11target_archE4294967295ELNS1_3gpuE0ELNS1_3repE0EEENS1_30default_config_static_selectorELNS0_4arch9wavefront6targetE1EEEvT1_ ; -- Begin function _ZN7rocprim17ROCPRIM_400000_NS6detail17trampoline_kernelINS0_14default_configENS1_29reduce_by_key_config_selectorIjjN6thrust23THRUST_200600_302600_NS4plusIjEEEEZZNS1_33reduce_by_key_impl_wrapped_configILNS1_25lookback_scan_determinismE0ES3_S9_NS6_6detail15normal_iteratorINS6_10device_ptrIjEEEESG_NS6_16discard_iteratorINS6_11use_defaultEEESG_PmS8_NS6_8equal_toIjEEEE10hipError_tPvRmT2_T3_mT4_T5_T6_T7_T8_P12ihipStream_tbENKUlT_T0_E_clISt17integral_constantIbLb1EES14_EEDaSZ_S10_EUlSZ_E_NS1_11comp_targetILNS1_3genE0ELNS1_11target_archE4294967295ELNS1_3gpuE0ELNS1_3repE0EEENS1_30default_config_static_selectorELNS0_4arch9wavefront6targetE1EEEvT1_
	.globl	_ZN7rocprim17ROCPRIM_400000_NS6detail17trampoline_kernelINS0_14default_configENS1_29reduce_by_key_config_selectorIjjN6thrust23THRUST_200600_302600_NS4plusIjEEEEZZNS1_33reduce_by_key_impl_wrapped_configILNS1_25lookback_scan_determinismE0ES3_S9_NS6_6detail15normal_iteratorINS6_10device_ptrIjEEEESG_NS6_16discard_iteratorINS6_11use_defaultEEESG_PmS8_NS6_8equal_toIjEEEE10hipError_tPvRmT2_T3_mT4_T5_T6_T7_T8_P12ihipStream_tbENKUlT_T0_E_clISt17integral_constantIbLb1EES14_EEDaSZ_S10_EUlSZ_E_NS1_11comp_targetILNS1_3genE0ELNS1_11target_archE4294967295ELNS1_3gpuE0ELNS1_3repE0EEENS1_30default_config_static_selectorELNS0_4arch9wavefront6targetE1EEEvT1_
	.p2align	8
	.type	_ZN7rocprim17ROCPRIM_400000_NS6detail17trampoline_kernelINS0_14default_configENS1_29reduce_by_key_config_selectorIjjN6thrust23THRUST_200600_302600_NS4plusIjEEEEZZNS1_33reduce_by_key_impl_wrapped_configILNS1_25lookback_scan_determinismE0ES3_S9_NS6_6detail15normal_iteratorINS6_10device_ptrIjEEEESG_NS6_16discard_iteratorINS6_11use_defaultEEESG_PmS8_NS6_8equal_toIjEEEE10hipError_tPvRmT2_T3_mT4_T5_T6_T7_T8_P12ihipStream_tbENKUlT_T0_E_clISt17integral_constantIbLb1EES14_EEDaSZ_S10_EUlSZ_E_NS1_11comp_targetILNS1_3genE0ELNS1_11target_archE4294967295ELNS1_3gpuE0ELNS1_3repE0EEENS1_30default_config_static_selectorELNS0_4arch9wavefront6targetE1EEEvT1_,@function
_ZN7rocprim17ROCPRIM_400000_NS6detail17trampoline_kernelINS0_14default_configENS1_29reduce_by_key_config_selectorIjjN6thrust23THRUST_200600_302600_NS4plusIjEEEEZZNS1_33reduce_by_key_impl_wrapped_configILNS1_25lookback_scan_determinismE0ES3_S9_NS6_6detail15normal_iteratorINS6_10device_ptrIjEEEESG_NS6_16discard_iteratorINS6_11use_defaultEEESG_PmS8_NS6_8equal_toIjEEEE10hipError_tPvRmT2_T3_mT4_T5_T6_T7_T8_P12ihipStream_tbENKUlT_T0_E_clISt17integral_constantIbLb1EES14_EEDaSZ_S10_EUlSZ_E_NS1_11comp_targetILNS1_3genE0ELNS1_11target_archE4294967295ELNS1_3gpuE0ELNS1_3repE0EEENS1_30default_config_static_selectorELNS0_4arch9wavefront6targetE1EEEvT1_: ; @_ZN7rocprim17ROCPRIM_400000_NS6detail17trampoline_kernelINS0_14default_configENS1_29reduce_by_key_config_selectorIjjN6thrust23THRUST_200600_302600_NS4plusIjEEEEZZNS1_33reduce_by_key_impl_wrapped_configILNS1_25lookback_scan_determinismE0ES3_S9_NS6_6detail15normal_iteratorINS6_10device_ptrIjEEEESG_NS6_16discard_iteratorINS6_11use_defaultEEESG_PmS8_NS6_8equal_toIjEEEE10hipError_tPvRmT2_T3_mT4_T5_T6_T7_T8_P12ihipStream_tbENKUlT_T0_E_clISt17integral_constantIbLb1EES14_EEDaSZ_S10_EUlSZ_E_NS1_11comp_targetILNS1_3genE0ELNS1_11target_archE4294967295ELNS1_3gpuE0ELNS1_3repE0EEENS1_30default_config_static_selectorELNS0_4arch9wavefront6targetE1EEEvT1_
; %bb.0:
	.section	.rodata,"a",@progbits
	.p2align	6, 0x0
	.amdhsa_kernel _ZN7rocprim17ROCPRIM_400000_NS6detail17trampoline_kernelINS0_14default_configENS1_29reduce_by_key_config_selectorIjjN6thrust23THRUST_200600_302600_NS4plusIjEEEEZZNS1_33reduce_by_key_impl_wrapped_configILNS1_25lookback_scan_determinismE0ES3_S9_NS6_6detail15normal_iteratorINS6_10device_ptrIjEEEESG_NS6_16discard_iteratorINS6_11use_defaultEEESG_PmS8_NS6_8equal_toIjEEEE10hipError_tPvRmT2_T3_mT4_T5_T6_T7_T8_P12ihipStream_tbENKUlT_T0_E_clISt17integral_constantIbLb1EES14_EEDaSZ_S10_EUlSZ_E_NS1_11comp_targetILNS1_3genE0ELNS1_11target_archE4294967295ELNS1_3gpuE0ELNS1_3repE0EEENS1_30default_config_static_selectorELNS0_4arch9wavefront6targetE1EEEvT1_
		.amdhsa_group_segment_fixed_size 0
		.amdhsa_private_segment_fixed_size 0
		.amdhsa_kernarg_size 128
		.amdhsa_user_sgpr_count 6
		.amdhsa_user_sgpr_private_segment_buffer 1
		.amdhsa_user_sgpr_dispatch_ptr 0
		.amdhsa_user_sgpr_queue_ptr 0
		.amdhsa_user_sgpr_kernarg_segment_ptr 1
		.amdhsa_user_sgpr_dispatch_id 0
		.amdhsa_user_sgpr_flat_scratch_init 0
		.amdhsa_user_sgpr_kernarg_preload_length 0
		.amdhsa_user_sgpr_kernarg_preload_offset 0
		.amdhsa_user_sgpr_private_segment_size 0
		.amdhsa_uses_dynamic_stack 0
		.amdhsa_system_sgpr_private_segment_wavefront_offset 0
		.amdhsa_system_sgpr_workgroup_id_x 1
		.amdhsa_system_sgpr_workgroup_id_y 0
		.amdhsa_system_sgpr_workgroup_id_z 0
		.amdhsa_system_sgpr_workgroup_info 0
		.amdhsa_system_vgpr_workitem_id 0
		.amdhsa_next_free_vgpr 1
		.amdhsa_next_free_sgpr 0
		.amdhsa_accum_offset 4
		.amdhsa_reserve_vcc 0
		.amdhsa_reserve_flat_scratch 0
		.amdhsa_float_round_mode_32 0
		.amdhsa_float_round_mode_16_64 0
		.amdhsa_float_denorm_mode_32 3
		.amdhsa_float_denorm_mode_16_64 3
		.amdhsa_dx10_clamp 1
		.amdhsa_ieee_mode 1
		.amdhsa_fp16_overflow 0
		.amdhsa_tg_split 0
		.amdhsa_exception_fp_ieee_invalid_op 0
		.amdhsa_exception_fp_denorm_src 0
		.amdhsa_exception_fp_ieee_div_zero 0
		.amdhsa_exception_fp_ieee_overflow 0
		.amdhsa_exception_fp_ieee_underflow 0
		.amdhsa_exception_fp_ieee_inexact 0
		.amdhsa_exception_int_div_zero 0
	.end_amdhsa_kernel
	.section	.text._ZN7rocprim17ROCPRIM_400000_NS6detail17trampoline_kernelINS0_14default_configENS1_29reduce_by_key_config_selectorIjjN6thrust23THRUST_200600_302600_NS4plusIjEEEEZZNS1_33reduce_by_key_impl_wrapped_configILNS1_25lookback_scan_determinismE0ES3_S9_NS6_6detail15normal_iteratorINS6_10device_ptrIjEEEESG_NS6_16discard_iteratorINS6_11use_defaultEEESG_PmS8_NS6_8equal_toIjEEEE10hipError_tPvRmT2_T3_mT4_T5_T6_T7_T8_P12ihipStream_tbENKUlT_T0_E_clISt17integral_constantIbLb1EES14_EEDaSZ_S10_EUlSZ_E_NS1_11comp_targetILNS1_3genE0ELNS1_11target_archE4294967295ELNS1_3gpuE0ELNS1_3repE0EEENS1_30default_config_static_selectorELNS0_4arch9wavefront6targetE1EEEvT1_,"axG",@progbits,_ZN7rocprim17ROCPRIM_400000_NS6detail17trampoline_kernelINS0_14default_configENS1_29reduce_by_key_config_selectorIjjN6thrust23THRUST_200600_302600_NS4plusIjEEEEZZNS1_33reduce_by_key_impl_wrapped_configILNS1_25lookback_scan_determinismE0ES3_S9_NS6_6detail15normal_iteratorINS6_10device_ptrIjEEEESG_NS6_16discard_iteratorINS6_11use_defaultEEESG_PmS8_NS6_8equal_toIjEEEE10hipError_tPvRmT2_T3_mT4_T5_T6_T7_T8_P12ihipStream_tbENKUlT_T0_E_clISt17integral_constantIbLb1EES14_EEDaSZ_S10_EUlSZ_E_NS1_11comp_targetILNS1_3genE0ELNS1_11target_archE4294967295ELNS1_3gpuE0ELNS1_3repE0EEENS1_30default_config_static_selectorELNS0_4arch9wavefront6targetE1EEEvT1_,comdat
.Lfunc_end922:
	.size	_ZN7rocprim17ROCPRIM_400000_NS6detail17trampoline_kernelINS0_14default_configENS1_29reduce_by_key_config_selectorIjjN6thrust23THRUST_200600_302600_NS4plusIjEEEEZZNS1_33reduce_by_key_impl_wrapped_configILNS1_25lookback_scan_determinismE0ES3_S9_NS6_6detail15normal_iteratorINS6_10device_ptrIjEEEESG_NS6_16discard_iteratorINS6_11use_defaultEEESG_PmS8_NS6_8equal_toIjEEEE10hipError_tPvRmT2_T3_mT4_T5_T6_T7_T8_P12ihipStream_tbENKUlT_T0_E_clISt17integral_constantIbLb1EES14_EEDaSZ_S10_EUlSZ_E_NS1_11comp_targetILNS1_3genE0ELNS1_11target_archE4294967295ELNS1_3gpuE0ELNS1_3repE0EEENS1_30default_config_static_selectorELNS0_4arch9wavefront6targetE1EEEvT1_, .Lfunc_end922-_ZN7rocprim17ROCPRIM_400000_NS6detail17trampoline_kernelINS0_14default_configENS1_29reduce_by_key_config_selectorIjjN6thrust23THRUST_200600_302600_NS4plusIjEEEEZZNS1_33reduce_by_key_impl_wrapped_configILNS1_25lookback_scan_determinismE0ES3_S9_NS6_6detail15normal_iteratorINS6_10device_ptrIjEEEESG_NS6_16discard_iteratorINS6_11use_defaultEEESG_PmS8_NS6_8equal_toIjEEEE10hipError_tPvRmT2_T3_mT4_T5_T6_T7_T8_P12ihipStream_tbENKUlT_T0_E_clISt17integral_constantIbLb1EES14_EEDaSZ_S10_EUlSZ_E_NS1_11comp_targetILNS1_3genE0ELNS1_11target_archE4294967295ELNS1_3gpuE0ELNS1_3repE0EEENS1_30default_config_static_selectorELNS0_4arch9wavefront6targetE1EEEvT1_
                                        ; -- End function
	.section	.AMDGPU.csdata,"",@progbits
; Kernel info:
; codeLenInByte = 0
; NumSgprs: 4
; NumVgprs: 0
; NumAgprs: 0
; TotalNumVgprs: 0
; ScratchSize: 0
; MemoryBound: 0
; FloatMode: 240
; IeeeMode: 1
; LDSByteSize: 0 bytes/workgroup (compile time only)
; SGPRBlocks: 0
; VGPRBlocks: 0
; NumSGPRsForWavesPerEU: 4
; NumVGPRsForWavesPerEU: 1
; AccumOffset: 4
; Occupancy: 8
; WaveLimiterHint : 0
; COMPUTE_PGM_RSRC2:SCRATCH_EN: 0
; COMPUTE_PGM_RSRC2:USER_SGPR: 6
; COMPUTE_PGM_RSRC2:TRAP_HANDLER: 0
; COMPUTE_PGM_RSRC2:TGID_X_EN: 1
; COMPUTE_PGM_RSRC2:TGID_Y_EN: 0
; COMPUTE_PGM_RSRC2:TGID_Z_EN: 0
; COMPUTE_PGM_RSRC2:TIDIG_COMP_CNT: 0
; COMPUTE_PGM_RSRC3_GFX90A:ACCUM_OFFSET: 0
; COMPUTE_PGM_RSRC3_GFX90A:TG_SPLIT: 0
	.section	.text._ZN7rocprim17ROCPRIM_400000_NS6detail17trampoline_kernelINS0_14default_configENS1_29reduce_by_key_config_selectorIjjN6thrust23THRUST_200600_302600_NS4plusIjEEEEZZNS1_33reduce_by_key_impl_wrapped_configILNS1_25lookback_scan_determinismE0ES3_S9_NS6_6detail15normal_iteratorINS6_10device_ptrIjEEEESG_NS6_16discard_iteratorINS6_11use_defaultEEESG_PmS8_NS6_8equal_toIjEEEE10hipError_tPvRmT2_T3_mT4_T5_T6_T7_T8_P12ihipStream_tbENKUlT_T0_E_clISt17integral_constantIbLb1EES14_EEDaSZ_S10_EUlSZ_E_NS1_11comp_targetILNS1_3genE5ELNS1_11target_archE942ELNS1_3gpuE9ELNS1_3repE0EEENS1_30default_config_static_selectorELNS0_4arch9wavefront6targetE1EEEvT1_,"axG",@progbits,_ZN7rocprim17ROCPRIM_400000_NS6detail17trampoline_kernelINS0_14default_configENS1_29reduce_by_key_config_selectorIjjN6thrust23THRUST_200600_302600_NS4plusIjEEEEZZNS1_33reduce_by_key_impl_wrapped_configILNS1_25lookback_scan_determinismE0ES3_S9_NS6_6detail15normal_iteratorINS6_10device_ptrIjEEEESG_NS6_16discard_iteratorINS6_11use_defaultEEESG_PmS8_NS6_8equal_toIjEEEE10hipError_tPvRmT2_T3_mT4_T5_T6_T7_T8_P12ihipStream_tbENKUlT_T0_E_clISt17integral_constantIbLb1EES14_EEDaSZ_S10_EUlSZ_E_NS1_11comp_targetILNS1_3genE5ELNS1_11target_archE942ELNS1_3gpuE9ELNS1_3repE0EEENS1_30default_config_static_selectorELNS0_4arch9wavefront6targetE1EEEvT1_,comdat
	.protected	_ZN7rocprim17ROCPRIM_400000_NS6detail17trampoline_kernelINS0_14default_configENS1_29reduce_by_key_config_selectorIjjN6thrust23THRUST_200600_302600_NS4plusIjEEEEZZNS1_33reduce_by_key_impl_wrapped_configILNS1_25lookback_scan_determinismE0ES3_S9_NS6_6detail15normal_iteratorINS6_10device_ptrIjEEEESG_NS6_16discard_iteratorINS6_11use_defaultEEESG_PmS8_NS6_8equal_toIjEEEE10hipError_tPvRmT2_T3_mT4_T5_T6_T7_T8_P12ihipStream_tbENKUlT_T0_E_clISt17integral_constantIbLb1EES14_EEDaSZ_S10_EUlSZ_E_NS1_11comp_targetILNS1_3genE5ELNS1_11target_archE942ELNS1_3gpuE9ELNS1_3repE0EEENS1_30default_config_static_selectorELNS0_4arch9wavefront6targetE1EEEvT1_ ; -- Begin function _ZN7rocprim17ROCPRIM_400000_NS6detail17trampoline_kernelINS0_14default_configENS1_29reduce_by_key_config_selectorIjjN6thrust23THRUST_200600_302600_NS4plusIjEEEEZZNS1_33reduce_by_key_impl_wrapped_configILNS1_25lookback_scan_determinismE0ES3_S9_NS6_6detail15normal_iteratorINS6_10device_ptrIjEEEESG_NS6_16discard_iteratorINS6_11use_defaultEEESG_PmS8_NS6_8equal_toIjEEEE10hipError_tPvRmT2_T3_mT4_T5_T6_T7_T8_P12ihipStream_tbENKUlT_T0_E_clISt17integral_constantIbLb1EES14_EEDaSZ_S10_EUlSZ_E_NS1_11comp_targetILNS1_3genE5ELNS1_11target_archE942ELNS1_3gpuE9ELNS1_3repE0EEENS1_30default_config_static_selectorELNS0_4arch9wavefront6targetE1EEEvT1_
	.globl	_ZN7rocprim17ROCPRIM_400000_NS6detail17trampoline_kernelINS0_14default_configENS1_29reduce_by_key_config_selectorIjjN6thrust23THRUST_200600_302600_NS4plusIjEEEEZZNS1_33reduce_by_key_impl_wrapped_configILNS1_25lookback_scan_determinismE0ES3_S9_NS6_6detail15normal_iteratorINS6_10device_ptrIjEEEESG_NS6_16discard_iteratorINS6_11use_defaultEEESG_PmS8_NS6_8equal_toIjEEEE10hipError_tPvRmT2_T3_mT4_T5_T6_T7_T8_P12ihipStream_tbENKUlT_T0_E_clISt17integral_constantIbLb1EES14_EEDaSZ_S10_EUlSZ_E_NS1_11comp_targetILNS1_3genE5ELNS1_11target_archE942ELNS1_3gpuE9ELNS1_3repE0EEENS1_30default_config_static_selectorELNS0_4arch9wavefront6targetE1EEEvT1_
	.p2align	8
	.type	_ZN7rocprim17ROCPRIM_400000_NS6detail17trampoline_kernelINS0_14default_configENS1_29reduce_by_key_config_selectorIjjN6thrust23THRUST_200600_302600_NS4plusIjEEEEZZNS1_33reduce_by_key_impl_wrapped_configILNS1_25lookback_scan_determinismE0ES3_S9_NS6_6detail15normal_iteratorINS6_10device_ptrIjEEEESG_NS6_16discard_iteratorINS6_11use_defaultEEESG_PmS8_NS6_8equal_toIjEEEE10hipError_tPvRmT2_T3_mT4_T5_T6_T7_T8_P12ihipStream_tbENKUlT_T0_E_clISt17integral_constantIbLb1EES14_EEDaSZ_S10_EUlSZ_E_NS1_11comp_targetILNS1_3genE5ELNS1_11target_archE942ELNS1_3gpuE9ELNS1_3repE0EEENS1_30default_config_static_selectorELNS0_4arch9wavefront6targetE1EEEvT1_,@function
_ZN7rocprim17ROCPRIM_400000_NS6detail17trampoline_kernelINS0_14default_configENS1_29reduce_by_key_config_selectorIjjN6thrust23THRUST_200600_302600_NS4plusIjEEEEZZNS1_33reduce_by_key_impl_wrapped_configILNS1_25lookback_scan_determinismE0ES3_S9_NS6_6detail15normal_iteratorINS6_10device_ptrIjEEEESG_NS6_16discard_iteratorINS6_11use_defaultEEESG_PmS8_NS6_8equal_toIjEEEE10hipError_tPvRmT2_T3_mT4_T5_T6_T7_T8_P12ihipStream_tbENKUlT_T0_E_clISt17integral_constantIbLb1EES14_EEDaSZ_S10_EUlSZ_E_NS1_11comp_targetILNS1_3genE5ELNS1_11target_archE942ELNS1_3gpuE9ELNS1_3repE0EEENS1_30default_config_static_selectorELNS0_4arch9wavefront6targetE1EEEvT1_: ; @_ZN7rocprim17ROCPRIM_400000_NS6detail17trampoline_kernelINS0_14default_configENS1_29reduce_by_key_config_selectorIjjN6thrust23THRUST_200600_302600_NS4plusIjEEEEZZNS1_33reduce_by_key_impl_wrapped_configILNS1_25lookback_scan_determinismE0ES3_S9_NS6_6detail15normal_iteratorINS6_10device_ptrIjEEEESG_NS6_16discard_iteratorINS6_11use_defaultEEESG_PmS8_NS6_8equal_toIjEEEE10hipError_tPvRmT2_T3_mT4_T5_T6_T7_T8_P12ihipStream_tbENKUlT_T0_E_clISt17integral_constantIbLb1EES14_EEDaSZ_S10_EUlSZ_E_NS1_11comp_targetILNS1_3genE5ELNS1_11target_archE942ELNS1_3gpuE9ELNS1_3repE0EEENS1_30default_config_static_selectorELNS0_4arch9wavefront6targetE1EEEvT1_
; %bb.0:
	.section	.rodata,"a",@progbits
	.p2align	6, 0x0
	.amdhsa_kernel _ZN7rocprim17ROCPRIM_400000_NS6detail17trampoline_kernelINS0_14default_configENS1_29reduce_by_key_config_selectorIjjN6thrust23THRUST_200600_302600_NS4plusIjEEEEZZNS1_33reduce_by_key_impl_wrapped_configILNS1_25lookback_scan_determinismE0ES3_S9_NS6_6detail15normal_iteratorINS6_10device_ptrIjEEEESG_NS6_16discard_iteratorINS6_11use_defaultEEESG_PmS8_NS6_8equal_toIjEEEE10hipError_tPvRmT2_T3_mT4_T5_T6_T7_T8_P12ihipStream_tbENKUlT_T0_E_clISt17integral_constantIbLb1EES14_EEDaSZ_S10_EUlSZ_E_NS1_11comp_targetILNS1_3genE5ELNS1_11target_archE942ELNS1_3gpuE9ELNS1_3repE0EEENS1_30default_config_static_selectorELNS0_4arch9wavefront6targetE1EEEvT1_
		.amdhsa_group_segment_fixed_size 0
		.amdhsa_private_segment_fixed_size 0
		.amdhsa_kernarg_size 128
		.amdhsa_user_sgpr_count 6
		.amdhsa_user_sgpr_private_segment_buffer 1
		.amdhsa_user_sgpr_dispatch_ptr 0
		.amdhsa_user_sgpr_queue_ptr 0
		.amdhsa_user_sgpr_kernarg_segment_ptr 1
		.amdhsa_user_sgpr_dispatch_id 0
		.amdhsa_user_sgpr_flat_scratch_init 0
		.amdhsa_user_sgpr_kernarg_preload_length 0
		.amdhsa_user_sgpr_kernarg_preload_offset 0
		.amdhsa_user_sgpr_private_segment_size 0
		.amdhsa_uses_dynamic_stack 0
		.amdhsa_system_sgpr_private_segment_wavefront_offset 0
		.amdhsa_system_sgpr_workgroup_id_x 1
		.amdhsa_system_sgpr_workgroup_id_y 0
		.amdhsa_system_sgpr_workgroup_id_z 0
		.amdhsa_system_sgpr_workgroup_info 0
		.amdhsa_system_vgpr_workitem_id 0
		.amdhsa_next_free_vgpr 1
		.amdhsa_next_free_sgpr 0
		.amdhsa_accum_offset 4
		.amdhsa_reserve_vcc 0
		.amdhsa_reserve_flat_scratch 0
		.amdhsa_float_round_mode_32 0
		.amdhsa_float_round_mode_16_64 0
		.amdhsa_float_denorm_mode_32 3
		.amdhsa_float_denorm_mode_16_64 3
		.amdhsa_dx10_clamp 1
		.amdhsa_ieee_mode 1
		.amdhsa_fp16_overflow 0
		.amdhsa_tg_split 0
		.amdhsa_exception_fp_ieee_invalid_op 0
		.amdhsa_exception_fp_denorm_src 0
		.amdhsa_exception_fp_ieee_div_zero 0
		.amdhsa_exception_fp_ieee_overflow 0
		.amdhsa_exception_fp_ieee_underflow 0
		.amdhsa_exception_fp_ieee_inexact 0
		.amdhsa_exception_int_div_zero 0
	.end_amdhsa_kernel
	.section	.text._ZN7rocprim17ROCPRIM_400000_NS6detail17trampoline_kernelINS0_14default_configENS1_29reduce_by_key_config_selectorIjjN6thrust23THRUST_200600_302600_NS4plusIjEEEEZZNS1_33reduce_by_key_impl_wrapped_configILNS1_25lookback_scan_determinismE0ES3_S9_NS6_6detail15normal_iteratorINS6_10device_ptrIjEEEESG_NS6_16discard_iteratorINS6_11use_defaultEEESG_PmS8_NS6_8equal_toIjEEEE10hipError_tPvRmT2_T3_mT4_T5_T6_T7_T8_P12ihipStream_tbENKUlT_T0_E_clISt17integral_constantIbLb1EES14_EEDaSZ_S10_EUlSZ_E_NS1_11comp_targetILNS1_3genE5ELNS1_11target_archE942ELNS1_3gpuE9ELNS1_3repE0EEENS1_30default_config_static_selectorELNS0_4arch9wavefront6targetE1EEEvT1_,"axG",@progbits,_ZN7rocprim17ROCPRIM_400000_NS6detail17trampoline_kernelINS0_14default_configENS1_29reduce_by_key_config_selectorIjjN6thrust23THRUST_200600_302600_NS4plusIjEEEEZZNS1_33reduce_by_key_impl_wrapped_configILNS1_25lookback_scan_determinismE0ES3_S9_NS6_6detail15normal_iteratorINS6_10device_ptrIjEEEESG_NS6_16discard_iteratorINS6_11use_defaultEEESG_PmS8_NS6_8equal_toIjEEEE10hipError_tPvRmT2_T3_mT4_T5_T6_T7_T8_P12ihipStream_tbENKUlT_T0_E_clISt17integral_constantIbLb1EES14_EEDaSZ_S10_EUlSZ_E_NS1_11comp_targetILNS1_3genE5ELNS1_11target_archE942ELNS1_3gpuE9ELNS1_3repE0EEENS1_30default_config_static_selectorELNS0_4arch9wavefront6targetE1EEEvT1_,comdat
.Lfunc_end923:
	.size	_ZN7rocprim17ROCPRIM_400000_NS6detail17trampoline_kernelINS0_14default_configENS1_29reduce_by_key_config_selectorIjjN6thrust23THRUST_200600_302600_NS4plusIjEEEEZZNS1_33reduce_by_key_impl_wrapped_configILNS1_25lookback_scan_determinismE0ES3_S9_NS6_6detail15normal_iteratorINS6_10device_ptrIjEEEESG_NS6_16discard_iteratorINS6_11use_defaultEEESG_PmS8_NS6_8equal_toIjEEEE10hipError_tPvRmT2_T3_mT4_T5_T6_T7_T8_P12ihipStream_tbENKUlT_T0_E_clISt17integral_constantIbLb1EES14_EEDaSZ_S10_EUlSZ_E_NS1_11comp_targetILNS1_3genE5ELNS1_11target_archE942ELNS1_3gpuE9ELNS1_3repE0EEENS1_30default_config_static_selectorELNS0_4arch9wavefront6targetE1EEEvT1_, .Lfunc_end923-_ZN7rocprim17ROCPRIM_400000_NS6detail17trampoline_kernelINS0_14default_configENS1_29reduce_by_key_config_selectorIjjN6thrust23THRUST_200600_302600_NS4plusIjEEEEZZNS1_33reduce_by_key_impl_wrapped_configILNS1_25lookback_scan_determinismE0ES3_S9_NS6_6detail15normal_iteratorINS6_10device_ptrIjEEEESG_NS6_16discard_iteratorINS6_11use_defaultEEESG_PmS8_NS6_8equal_toIjEEEE10hipError_tPvRmT2_T3_mT4_T5_T6_T7_T8_P12ihipStream_tbENKUlT_T0_E_clISt17integral_constantIbLb1EES14_EEDaSZ_S10_EUlSZ_E_NS1_11comp_targetILNS1_3genE5ELNS1_11target_archE942ELNS1_3gpuE9ELNS1_3repE0EEENS1_30default_config_static_selectorELNS0_4arch9wavefront6targetE1EEEvT1_
                                        ; -- End function
	.section	.AMDGPU.csdata,"",@progbits
; Kernel info:
; codeLenInByte = 0
; NumSgprs: 4
; NumVgprs: 0
; NumAgprs: 0
; TotalNumVgprs: 0
; ScratchSize: 0
; MemoryBound: 0
; FloatMode: 240
; IeeeMode: 1
; LDSByteSize: 0 bytes/workgroup (compile time only)
; SGPRBlocks: 0
; VGPRBlocks: 0
; NumSGPRsForWavesPerEU: 4
; NumVGPRsForWavesPerEU: 1
; AccumOffset: 4
; Occupancy: 8
; WaveLimiterHint : 0
; COMPUTE_PGM_RSRC2:SCRATCH_EN: 0
; COMPUTE_PGM_RSRC2:USER_SGPR: 6
; COMPUTE_PGM_RSRC2:TRAP_HANDLER: 0
; COMPUTE_PGM_RSRC2:TGID_X_EN: 1
; COMPUTE_PGM_RSRC2:TGID_Y_EN: 0
; COMPUTE_PGM_RSRC2:TGID_Z_EN: 0
; COMPUTE_PGM_RSRC2:TIDIG_COMP_CNT: 0
; COMPUTE_PGM_RSRC3_GFX90A:ACCUM_OFFSET: 0
; COMPUTE_PGM_RSRC3_GFX90A:TG_SPLIT: 0
	.section	.text._ZN7rocprim17ROCPRIM_400000_NS6detail17trampoline_kernelINS0_14default_configENS1_29reduce_by_key_config_selectorIjjN6thrust23THRUST_200600_302600_NS4plusIjEEEEZZNS1_33reduce_by_key_impl_wrapped_configILNS1_25lookback_scan_determinismE0ES3_S9_NS6_6detail15normal_iteratorINS6_10device_ptrIjEEEESG_NS6_16discard_iteratorINS6_11use_defaultEEESG_PmS8_NS6_8equal_toIjEEEE10hipError_tPvRmT2_T3_mT4_T5_T6_T7_T8_P12ihipStream_tbENKUlT_T0_E_clISt17integral_constantIbLb1EES14_EEDaSZ_S10_EUlSZ_E_NS1_11comp_targetILNS1_3genE4ELNS1_11target_archE910ELNS1_3gpuE8ELNS1_3repE0EEENS1_30default_config_static_selectorELNS0_4arch9wavefront6targetE1EEEvT1_,"axG",@progbits,_ZN7rocprim17ROCPRIM_400000_NS6detail17trampoline_kernelINS0_14default_configENS1_29reduce_by_key_config_selectorIjjN6thrust23THRUST_200600_302600_NS4plusIjEEEEZZNS1_33reduce_by_key_impl_wrapped_configILNS1_25lookback_scan_determinismE0ES3_S9_NS6_6detail15normal_iteratorINS6_10device_ptrIjEEEESG_NS6_16discard_iteratorINS6_11use_defaultEEESG_PmS8_NS6_8equal_toIjEEEE10hipError_tPvRmT2_T3_mT4_T5_T6_T7_T8_P12ihipStream_tbENKUlT_T0_E_clISt17integral_constantIbLb1EES14_EEDaSZ_S10_EUlSZ_E_NS1_11comp_targetILNS1_3genE4ELNS1_11target_archE910ELNS1_3gpuE8ELNS1_3repE0EEENS1_30default_config_static_selectorELNS0_4arch9wavefront6targetE1EEEvT1_,comdat
	.protected	_ZN7rocprim17ROCPRIM_400000_NS6detail17trampoline_kernelINS0_14default_configENS1_29reduce_by_key_config_selectorIjjN6thrust23THRUST_200600_302600_NS4plusIjEEEEZZNS1_33reduce_by_key_impl_wrapped_configILNS1_25lookback_scan_determinismE0ES3_S9_NS6_6detail15normal_iteratorINS6_10device_ptrIjEEEESG_NS6_16discard_iteratorINS6_11use_defaultEEESG_PmS8_NS6_8equal_toIjEEEE10hipError_tPvRmT2_T3_mT4_T5_T6_T7_T8_P12ihipStream_tbENKUlT_T0_E_clISt17integral_constantIbLb1EES14_EEDaSZ_S10_EUlSZ_E_NS1_11comp_targetILNS1_3genE4ELNS1_11target_archE910ELNS1_3gpuE8ELNS1_3repE0EEENS1_30default_config_static_selectorELNS0_4arch9wavefront6targetE1EEEvT1_ ; -- Begin function _ZN7rocprim17ROCPRIM_400000_NS6detail17trampoline_kernelINS0_14default_configENS1_29reduce_by_key_config_selectorIjjN6thrust23THRUST_200600_302600_NS4plusIjEEEEZZNS1_33reduce_by_key_impl_wrapped_configILNS1_25lookback_scan_determinismE0ES3_S9_NS6_6detail15normal_iteratorINS6_10device_ptrIjEEEESG_NS6_16discard_iteratorINS6_11use_defaultEEESG_PmS8_NS6_8equal_toIjEEEE10hipError_tPvRmT2_T3_mT4_T5_T6_T7_T8_P12ihipStream_tbENKUlT_T0_E_clISt17integral_constantIbLb1EES14_EEDaSZ_S10_EUlSZ_E_NS1_11comp_targetILNS1_3genE4ELNS1_11target_archE910ELNS1_3gpuE8ELNS1_3repE0EEENS1_30default_config_static_selectorELNS0_4arch9wavefront6targetE1EEEvT1_
	.globl	_ZN7rocprim17ROCPRIM_400000_NS6detail17trampoline_kernelINS0_14default_configENS1_29reduce_by_key_config_selectorIjjN6thrust23THRUST_200600_302600_NS4plusIjEEEEZZNS1_33reduce_by_key_impl_wrapped_configILNS1_25lookback_scan_determinismE0ES3_S9_NS6_6detail15normal_iteratorINS6_10device_ptrIjEEEESG_NS6_16discard_iteratorINS6_11use_defaultEEESG_PmS8_NS6_8equal_toIjEEEE10hipError_tPvRmT2_T3_mT4_T5_T6_T7_T8_P12ihipStream_tbENKUlT_T0_E_clISt17integral_constantIbLb1EES14_EEDaSZ_S10_EUlSZ_E_NS1_11comp_targetILNS1_3genE4ELNS1_11target_archE910ELNS1_3gpuE8ELNS1_3repE0EEENS1_30default_config_static_selectorELNS0_4arch9wavefront6targetE1EEEvT1_
	.p2align	8
	.type	_ZN7rocprim17ROCPRIM_400000_NS6detail17trampoline_kernelINS0_14default_configENS1_29reduce_by_key_config_selectorIjjN6thrust23THRUST_200600_302600_NS4plusIjEEEEZZNS1_33reduce_by_key_impl_wrapped_configILNS1_25lookback_scan_determinismE0ES3_S9_NS6_6detail15normal_iteratorINS6_10device_ptrIjEEEESG_NS6_16discard_iteratorINS6_11use_defaultEEESG_PmS8_NS6_8equal_toIjEEEE10hipError_tPvRmT2_T3_mT4_T5_T6_T7_T8_P12ihipStream_tbENKUlT_T0_E_clISt17integral_constantIbLb1EES14_EEDaSZ_S10_EUlSZ_E_NS1_11comp_targetILNS1_3genE4ELNS1_11target_archE910ELNS1_3gpuE8ELNS1_3repE0EEENS1_30default_config_static_selectorELNS0_4arch9wavefront6targetE1EEEvT1_,@function
_ZN7rocprim17ROCPRIM_400000_NS6detail17trampoline_kernelINS0_14default_configENS1_29reduce_by_key_config_selectorIjjN6thrust23THRUST_200600_302600_NS4plusIjEEEEZZNS1_33reduce_by_key_impl_wrapped_configILNS1_25lookback_scan_determinismE0ES3_S9_NS6_6detail15normal_iteratorINS6_10device_ptrIjEEEESG_NS6_16discard_iteratorINS6_11use_defaultEEESG_PmS8_NS6_8equal_toIjEEEE10hipError_tPvRmT2_T3_mT4_T5_T6_T7_T8_P12ihipStream_tbENKUlT_T0_E_clISt17integral_constantIbLb1EES14_EEDaSZ_S10_EUlSZ_E_NS1_11comp_targetILNS1_3genE4ELNS1_11target_archE910ELNS1_3gpuE8ELNS1_3repE0EEENS1_30default_config_static_selectorELNS0_4arch9wavefront6targetE1EEEvT1_: ; @_ZN7rocprim17ROCPRIM_400000_NS6detail17trampoline_kernelINS0_14default_configENS1_29reduce_by_key_config_selectorIjjN6thrust23THRUST_200600_302600_NS4plusIjEEEEZZNS1_33reduce_by_key_impl_wrapped_configILNS1_25lookback_scan_determinismE0ES3_S9_NS6_6detail15normal_iteratorINS6_10device_ptrIjEEEESG_NS6_16discard_iteratorINS6_11use_defaultEEESG_PmS8_NS6_8equal_toIjEEEE10hipError_tPvRmT2_T3_mT4_T5_T6_T7_T8_P12ihipStream_tbENKUlT_T0_E_clISt17integral_constantIbLb1EES14_EEDaSZ_S10_EUlSZ_E_NS1_11comp_targetILNS1_3genE4ELNS1_11target_archE910ELNS1_3gpuE8ELNS1_3repE0EEENS1_30default_config_static_selectorELNS0_4arch9wavefront6targetE1EEEvT1_
; %bb.0:
	s_load_dwordx4 s[8:11], s[4:5], 0x0
	s_load_dwordx2 s[6:7], s[4:5], 0x10
	s_load_dwordx2 s[52:53], s[4:5], 0x70
	s_load_dwordx4 s[48:51], s[4:5], 0x60
	s_load_dwordx8 s[36:43], s[4:5], 0x40
	v_cmp_ne_u32_e64 s[2:3], 0, v0
	v_cmp_eq_u32_e64 s[0:1], 0, v0
	s_and_saveexec_b64 s[12:13], s[0:1]
	s_cbranch_execz .LBB924_4
; %bb.1:
	s_mov_b64 s[16:17], exec
	v_mbcnt_lo_u32_b32 v1, s16, 0
	v_mbcnt_hi_u32_b32 v1, s17, v1
	v_cmp_eq_u32_e32 vcc, 0, v1
                                        ; implicit-def: $vgpr2
	s_and_saveexec_b64 s[14:15], vcc
	s_cbranch_execz .LBB924_3
; %bb.2:
	s_load_dwordx2 s[18:19], s[4:5], 0x78
	s_bcnt1_i32_b64 s16, s[16:17]
	v_mov_b32_e32 v2, 0
	v_mov_b32_e32 v3, s16
	s_waitcnt lgkmcnt(0)
	global_atomic_add v2, v2, v3, s[18:19] glc
.LBB924_3:
	s_or_b64 exec, exec, s[14:15]
	s_waitcnt vmcnt(0)
	v_readfirstlane_b32 s14, v2
	v_add_u32_e32 v1, s14, v1
	v_mov_b32_e32 v2, 0
	ds_write_b32 v2, v1
.LBB924_4:
	s_or_b64 exec, exec, s[12:13]
	s_load_dwordx4 s[44:47], s[4:5], 0x28
	s_waitcnt lgkmcnt(0)
	s_lshl_b64 s[4:5], s[10:11], 2
	v_mov_b32_e32 v3, 0
	s_add_u32 s8, s8, s4
	s_barrier
	ds_read_b32 v1, v3
	s_addc_u32 s9, s9, s5
	s_add_u32 s4, s6, s4
	s_addc_u32 s5, s7, s5
	s_mul_i32 s6, s40, s39
	s_mul_hi_u32 s7, s40, s38
	s_add_i32 s6, s7, s6
	s_mul_i32 s7, s41, s38
	s_add_i32 s6, s6, s7
	s_mul_i32 s7, s40, s38
	s_waitcnt lgkmcnt(0)
	v_readfirstlane_b32 s58, v1
	s_movk_i32 s10, 0xf00
	v_mul_lo_u32 v2, v1, s10
	s_add_u32 s54, s7, s58
	v_lshlrev_b64 v[2:3], 2, v[2:3]
	s_addc_u32 s55, s6, 0
	v_mov_b32_e32 v1, s9
	v_add_co_u32_e32 v38, vcc, s8, v2
	s_add_u32 s6, s42, -1
	v_addc_co_u32_e32 v39, vcc, v1, v3, vcc
	s_addc_u32 s7, s43, -1
	v_mov_b32_e32 v1, s5
	v_add_co_u32_e32 v22, vcc, s4, v2
	s_cmp_eq_u64 s[54:55], s[6:7]
	v_addc_co_u32_e32 v23, vcc, v1, v3, vcc
	s_cselect_b64 s[40:41], -1, 0
	s_cmp_lg_u64 s[54:55], s[6:7]
	s_mov_b64 s[4:5], -1
	s_cselect_b64 s[42:43], -1, 0
	s_mul_i32 s33, s6, 0xfffff100
	s_and_b64 vcc, exec, s[40:41]
	s_barrier
	s_cbranch_vccnz .LBB924_6
; %bb.5:
	v_lshlrev_b32_e32 v26, 2, v0
	v_add_co_u32_e32 v2, vcc, v38, v26
	v_addc_co_u32_e32 v3, vcc, 0, v39, vcc
	v_add_co_u32_e32 v4, vcc, 0x1000, v2
	v_addc_co_u32_e32 v5, vcc, 0, v3, vcc
	flat_load_dword v1, v[2:3]
	flat_load_dword v8, v[2:3] offset:1024
	flat_load_dword v9, v[2:3] offset:2048
	;; [unrolled: 1-line block ×3, first 2 shown]
	flat_load_dword v11, v[4:5]
	flat_load_dword v12, v[4:5] offset:1024
	flat_load_dword v13, v[4:5] offset:2048
	;; [unrolled: 1-line block ×3, first 2 shown]
	v_add_co_u32_e32 v4, vcc, 0x2000, v2
	v_addc_co_u32_e32 v5, vcc, 0, v3, vcc
	v_add_co_u32_e32 v2, vcc, 0x3000, v2
	v_addc_co_u32_e32 v3, vcc, 0, v3, vcc
	flat_load_dword v15, v[4:5]
	flat_load_dword v16, v[4:5] offset:1024
	flat_load_dword v17, v[4:5] offset:2048
	;; [unrolled: 1-line block ×3, first 2 shown]
	flat_load_dword v19, v[2:3]
	flat_load_dword v20, v[2:3] offset:1024
	flat_load_dword v21, v[2:3] offset:2048
	v_add_co_u32_e32 v2, vcc, v22, v26
	s_movk_i32 s4, 0x1000
	v_addc_co_u32_e32 v3, vcc, 0, v23, vcc
	v_add_co_u32_e32 v4, vcc, s4, v2
	s_movk_i32 s5, 0x2000
	v_addc_co_u32_e32 v5, vcc, 0, v3, vcc
	;; [unrolled: 3-line block ×3, first 2 shown]
	v_mad_u32_u24 v40, v0, 56, v26
	v_add_co_u32_e32 v24, vcc, s6, v2
	v_addc_co_u32_e32 v25, vcc, 0, v3, vcc
	s_waitcnt vmcnt(0) lgkmcnt(0)
	ds_write2st64_b32 v26, v1, v8 offset1:4
	ds_write2st64_b32 v26, v9, v10 offset0:8 offset1:12
	ds_write2st64_b32 v26, v11, v12 offset0:16 offset1:20
	;; [unrolled: 1-line block ×6, first 2 shown]
	ds_write_b32 v26, v21 offset:14336
	s_waitcnt lgkmcnt(0)
	s_barrier
	ds_read2_b32 v[20:21], v40 offset1:1
	ds_read2_b32 v[18:19], v40 offset0:2 offset1:3
	ds_read2_b32 v[16:17], v40 offset0:4 offset1:5
	;; [unrolled: 1-line block ×6, first 2 shown]
	ds_read_b32 v1, v40 offset:56
	s_waitcnt lgkmcnt(0)
	s_barrier
	flat_load_dword v27, v[2:3]
	flat_load_dword v28, v[2:3] offset:1024
	flat_load_dword v29, v[2:3] offset:2048
	flat_load_dword v30, v[2:3] offset:3072
	flat_load_dword v31, v[4:5]
	flat_load_dword v32, v[4:5] offset:1024
	flat_load_dword v33, v[4:5] offset:2048
	flat_load_dword v34, v[4:5] offset:3072
	;; [unrolled: 4-line block ×3, first 2 shown]
	flat_load_dword v44, v[24:25]
	flat_load_dword v45, v[24:25] offset:1024
	flat_load_dword v46, v[24:25] offset:2048
	v_mov_b32_e32 v36, v20
	v_mov_b32_e32 v37, v18
	;; [unrolled: 1-line block ×7, first 2 shown]
	s_waitcnt vmcnt(0) lgkmcnt(0)
	ds_write2st64_b32 v26, v27, v28 offset1:4
	ds_write2st64_b32 v26, v29, v30 offset0:8 offset1:12
	ds_write2st64_b32 v26, v31, v32 offset0:16 offset1:20
	ds_write2st64_b32 v26, v33, v34 offset0:24 offset1:28
	ds_write2st64_b32 v26, v35, v41 offset0:32 offset1:36
	ds_write2st64_b32 v26, v42, v43 offset0:40 offset1:44
	ds_write2st64_b32 v26, v44, v45 offset0:48 offset1:52
	ds_write_b32 v26, v46 offset:14336
	s_waitcnt lgkmcnt(0)
	s_barrier
	s_add_i32 s33, s33, s48
	s_cbranch_execz .LBB924_7
	s_branch .LBB924_54
.LBB924_6:
                                        ; implicit-def: $vgpr1
                                        ; implicit-def: $vgpr8
                                        ; implicit-def: $vgpr10
                                        ; implicit-def: $vgpr12
                                        ; implicit-def: $vgpr14
                                        ; implicit-def: $vgpr16
                                        ; implicit-def: $vgpr18
                                        ; implicit-def: $vgpr20
                                        ; implicit-def: $vgpr40
                                        ; implicit-def: $vgpr2_vgpr3
                                        ; implicit-def: $vgpr4_vgpr5
                                        ; implicit-def: $vgpr36_vgpr37
                                        ; implicit-def: $vgpr6_vgpr7
	s_andn2_b64 vcc, exec, s[4:5]
	s_add_i32 s33, s33, s48
	s_cbranch_vccnz .LBB924_54
.LBB924_7:
	v_cmp_gt_u32_e32 vcc, s33, v0
                                        ; implicit-def: $vgpr1
	s_and_saveexec_b64 s[6:7], vcc
	s_cbranch_execz .LBB924_9
; %bb.8:
	v_lshlrev_b32_e32 v1, 2, v0
	v_add_co_u32_e64 v2, s[4:5], v38, v1
	v_addc_co_u32_e64 v3, s[4:5], 0, v39, s[4:5]
	flat_load_dword v1, v[2:3]
.LBB924_9:
	s_or_b64 exec, exec, s[6:7]
	v_or_b32_e32 v2, 0x100, v0
	v_cmp_gt_u32_e64 s[4:5], s33, v2
                                        ; implicit-def: $vgpr8
	s_and_saveexec_b64 s[8:9], s[4:5]
	s_cbranch_execz .LBB924_11
; %bb.10:
	v_lshlrev_b32_e32 v2, 2, v0
	v_add_co_u32_e64 v2, s[6:7], v38, v2
	v_addc_co_u32_e64 v3, s[6:7], 0, v39, s[6:7]
	flat_load_dword v8, v[2:3] offset:1024
.LBB924_11:
	s_or_b64 exec, exec, s[8:9]
	v_or_b32_e32 v2, 0x200, v0
	v_cmp_gt_u32_e64 s[6:7], s33, v2
                                        ; implicit-def: $vgpr9
	s_and_saveexec_b64 s[10:11], s[6:7]
	s_cbranch_execz .LBB924_13
; %bb.12:
	v_lshlrev_b32_e32 v2, 2, v0
	v_add_co_u32_e64 v2, s[8:9], v38, v2
	v_addc_co_u32_e64 v3, s[8:9], 0, v39, s[8:9]
	flat_load_dword v9, v[2:3] offset:2048
.LBB924_13:
	s_or_b64 exec, exec, s[10:11]
	v_or_b32_e32 v2, 0x300, v0
	v_cmp_gt_u32_e64 s[8:9], s33, v2
                                        ; implicit-def: $vgpr10
	s_and_saveexec_b64 s[12:13], s[8:9]
	s_cbranch_execz .LBB924_15
; %bb.14:
	v_lshlrev_b32_e32 v2, 2, v0
	v_add_co_u32_e64 v2, s[10:11], v38, v2
	v_addc_co_u32_e64 v3, s[10:11], 0, v39, s[10:11]
	flat_load_dword v10, v[2:3] offset:3072
.LBB924_15:
	s_or_b64 exec, exec, s[12:13]
	v_or_b32_e32 v2, 0x400, v0
	v_cmp_gt_u32_e64 s[10:11], s33, v2
                                        ; implicit-def: $vgpr11
	s_and_saveexec_b64 s[14:15], s[10:11]
	s_cbranch_execz .LBB924_17
; %bb.16:
	v_lshlrev_b32_e32 v3, 2, v2
	v_add_co_u32_e64 v4, s[12:13], v38, v3
	v_addc_co_u32_e64 v5, s[12:13], 0, v39, s[12:13]
	flat_load_dword v11, v[4:5]
.LBB924_17:
	s_or_b64 exec, exec, s[14:15]
	v_or_b32_e32 v3, 0x500, v0
	v_cmp_gt_u32_e64 s[12:13], s33, v3
                                        ; implicit-def: $vgpr12
	s_and_saveexec_b64 s[16:17], s[12:13]
	s_cbranch_execz .LBB924_19
; %bb.18:
	v_lshlrev_b32_e32 v4, 2, v3
	v_add_co_u32_e64 v4, s[14:15], v38, v4
	v_addc_co_u32_e64 v5, s[14:15], 0, v39, s[14:15]
	flat_load_dword v12, v[4:5]
.LBB924_19:
	s_or_b64 exec, exec, s[16:17]
	v_or_b32_e32 v4, 0x600, v0
	v_cmp_gt_u32_e64 s[14:15], s33, v4
                                        ; implicit-def: $vgpr13
	s_and_saveexec_b64 s[18:19], s[14:15]
	s_cbranch_execz .LBB924_21
; %bb.20:
	v_lshlrev_b32_e32 v5, 2, v4
	v_add_co_u32_e64 v6, s[16:17], v38, v5
	v_addc_co_u32_e64 v7, s[16:17], 0, v39, s[16:17]
	flat_load_dword v13, v[6:7]
.LBB924_21:
	s_or_b64 exec, exec, s[18:19]
	v_or_b32_e32 v5, 0x700, v0
	v_cmp_gt_u32_e64 s[16:17], s33, v5
                                        ; implicit-def: $vgpr14
	s_and_saveexec_b64 s[20:21], s[16:17]
	s_cbranch_execz .LBB924_23
; %bb.22:
	v_lshlrev_b32_e32 v6, 2, v5
	v_add_co_u32_e64 v6, s[18:19], v38, v6
	v_addc_co_u32_e64 v7, s[18:19], 0, v39, s[18:19]
	flat_load_dword v14, v[6:7]
.LBB924_23:
	s_or_b64 exec, exec, s[20:21]
	v_or_b32_e32 v6, 0x800, v0
	v_cmp_gt_u32_e64 s[18:19], s33, v6
                                        ; implicit-def: $vgpr15
	s_and_saveexec_b64 s[22:23], s[18:19]
	s_cbranch_execz .LBB924_25
; %bb.24:
	v_lshlrev_b32_e32 v7, 2, v6
	v_add_co_u32_e64 v16, s[20:21], v38, v7
	v_addc_co_u32_e64 v17, s[20:21], 0, v39, s[20:21]
	flat_load_dword v15, v[16:17]
.LBB924_25:
	s_or_b64 exec, exec, s[22:23]
	v_or_b32_e32 v24, 0x900, v0
	v_cmp_gt_u32_e64 s[20:21], s33, v24
                                        ; implicit-def: $vgpr16
	s_and_saveexec_b64 s[24:25], s[20:21]
	s_cbranch_execz .LBB924_27
; %bb.26:
	v_lshlrev_b32_e32 v7, 2, v24
	v_add_co_u32_e64 v16, s[22:23], v38, v7
	v_addc_co_u32_e64 v17, s[22:23], 0, v39, s[22:23]
	flat_load_dword v16, v[16:17]
.LBB924_27:
	s_or_b64 exec, exec, s[24:25]
	v_or_b32_e32 v25, 0xa00, v0
	v_cmp_gt_u32_e64 s[22:23], s33, v25
                                        ; implicit-def: $vgpr17
	s_and_saveexec_b64 s[26:27], s[22:23]
	s_cbranch_execz .LBB924_29
; %bb.28:
	v_lshlrev_b32_e32 v7, 2, v25
	v_add_co_u32_e64 v18, s[24:25], v38, v7
	v_addc_co_u32_e64 v19, s[24:25], 0, v39, s[24:25]
	flat_load_dword v17, v[18:19]
.LBB924_29:
	s_or_b64 exec, exec, s[26:27]
	v_or_b32_e32 v26, 0xb00, v0
	v_cmp_gt_u32_e64 s[24:25], s33, v26
                                        ; implicit-def: $vgpr18
	s_and_saveexec_b64 s[28:29], s[24:25]
	s_cbranch_execz .LBB924_31
; %bb.30:
	v_lshlrev_b32_e32 v7, 2, v26
	v_add_co_u32_e64 v18, s[26:27], v38, v7
	v_addc_co_u32_e64 v19, s[26:27], 0, v39, s[26:27]
	flat_load_dword v18, v[18:19]
.LBB924_31:
	s_or_b64 exec, exec, s[28:29]
	v_or_b32_e32 v27, 0xc00, v0
	v_cmp_gt_u32_e64 s[26:27], s33, v27
                                        ; implicit-def: $vgpr19
	s_and_saveexec_b64 s[30:31], s[26:27]
	s_cbranch_execz .LBB924_33
; %bb.32:
	v_lshlrev_b32_e32 v7, 2, v27
	v_add_co_u32_e64 v20, s[28:29], v38, v7
	v_addc_co_u32_e64 v21, s[28:29], 0, v39, s[28:29]
	flat_load_dword v19, v[20:21]
.LBB924_33:
	s_or_b64 exec, exec, s[30:31]
	v_or_b32_e32 v28, 0xd00, v0
	v_cmp_gt_u32_e64 s[28:29], s33, v28
                                        ; implicit-def: $vgpr20
	s_and_saveexec_b64 s[34:35], s[28:29]
	s_cbranch_execz .LBB924_35
; %bb.34:
	v_lshlrev_b32_e32 v7, 2, v28
	v_add_co_u32_e64 v20, s[30:31], v38, v7
	v_addc_co_u32_e64 v21, s[30:31], 0, v39, s[30:31]
	flat_load_dword v20, v[20:21]
.LBB924_35:
	s_or_b64 exec, exec, s[34:35]
	v_or_b32_e32 v29, 0xe00, v0
	v_cmp_gt_u32_e64 s[30:31], s33, v29
                                        ; implicit-def: $vgpr21
	s_and_saveexec_b64 s[56:57], s[30:31]
	s_cbranch_execz .LBB924_37
; %bb.36:
	v_lshlrev_b32_e32 v7, 2, v29
	v_add_co_u32_e64 v30, s[34:35], v38, v7
	v_addc_co_u32_e64 v31, s[34:35], 0, v39, s[34:35]
	flat_load_dword v21, v[30:31]
.LBB924_37:
	s_or_b64 exec, exec, s[56:57]
	v_lshlrev_b32_e32 v7, 2, v0
	v_mad_u32_u24 v40, v0, 56, v7
	s_waitcnt vmcnt(0) lgkmcnt(0)
	ds_write2st64_b32 v7, v1, v8 offset1:4
	ds_write2st64_b32 v7, v9, v10 offset0:8 offset1:12
	ds_write2st64_b32 v7, v11, v12 offset0:16 offset1:20
	;; [unrolled: 1-line block ×6, first 2 shown]
	ds_write_b32 v7, v21 offset:14336
	s_waitcnt lgkmcnt(0)
	s_barrier
	ds_read2_b32 v[20:21], v40 offset1:1
	ds_read2_b32 v[18:19], v40 offset0:2 offset1:3
	ds_read2_b32 v[16:17], v40 offset0:4 offset1:5
	;; [unrolled: 1-line block ×6, first 2 shown]
	ds_read_b32 v1, v40 offset:56
	s_waitcnt lgkmcnt(0)
	s_barrier
	s_waitcnt lgkmcnt(0)
                                        ; implicit-def: $vgpr30
	s_and_saveexec_b64 s[34:35], vcc
	s_cbranch_execnz .LBB924_61
; %bb.38:
	s_or_b64 exec, exec, s[34:35]
                                        ; implicit-def: $vgpr31
	s_and_saveexec_b64 s[34:35], s[4:5]
	s_cbranch_execnz .LBB924_62
.LBB924_39:
	s_or_b64 exec, exec, s[34:35]
                                        ; implicit-def: $vgpr32
	s_and_saveexec_b64 s[4:5], s[6:7]
	s_cbranch_execnz .LBB924_63
.LBB924_40:
	s_or_b64 exec, exec, s[4:5]
                                        ; implicit-def: $vgpr33
	s_and_saveexec_b64 s[4:5], s[8:9]
	s_cbranch_execnz .LBB924_64
.LBB924_41:
	s_or_b64 exec, exec, s[4:5]
                                        ; implicit-def: $vgpr34
	s_and_saveexec_b64 s[4:5], s[10:11]
	s_cbranch_execnz .LBB924_65
.LBB924_42:
	s_or_b64 exec, exec, s[4:5]
                                        ; implicit-def: $vgpr2
	s_and_saveexec_b64 s[4:5], s[12:13]
	s_cbranch_execnz .LBB924_66
.LBB924_43:
	s_or_b64 exec, exec, s[4:5]
                                        ; implicit-def: $vgpr3
	s_and_saveexec_b64 s[4:5], s[14:15]
	s_cbranch_execnz .LBB924_67
.LBB924_44:
	s_or_b64 exec, exec, s[4:5]
                                        ; implicit-def: $vgpr4
	s_and_saveexec_b64 s[4:5], s[16:17]
	s_cbranch_execnz .LBB924_68
.LBB924_45:
	s_or_b64 exec, exec, s[4:5]
                                        ; implicit-def: $vgpr5
	s_and_saveexec_b64 s[4:5], s[18:19]
	s_cbranch_execnz .LBB924_69
.LBB924_46:
	s_or_b64 exec, exec, s[4:5]
                                        ; implicit-def: $vgpr6
	s_and_saveexec_b64 s[4:5], s[20:21]
	s_cbranch_execnz .LBB924_70
.LBB924_47:
	s_or_b64 exec, exec, s[4:5]
                                        ; implicit-def: $vgpr24
	s_and_saveexec_b64 s[4:5], s[22:23]
	s_cbranch_execnz .LBB924_71
.LBB924_48:
	s_or_b64 exec, exec, s[4:5]
                                        ; implicit-def: $vgpr25
	s_and_saveexec_b64 s[4:5], s[24:25]
	s_cbranch_execnz .LBB924_72
.LBB924_49:
	s_or_b64 exec, exec, s[4:5]
                                        ; implicit-def: $vgpr26
	s_and_saveexec_b64 s[4:5], s[26:27]
	s_cbranch_execnz .LBB924_73
.LBB924_50:
	s_or_b64 exec, exec, s[4:5]
                                        ; implicit-def: $vgpr27
	s_and_saveexec_b64 s[4:5], s[28:29]
	s_cbranch_execnz .LBB924_74
.LBB924_51:
	s_or_b64 exec, exec, s[4:5]
                                        ; implicit-def: $vgpr28
	s_and_saveexec_b64 s[4:5], s[30:31]
	s_cbranch_execz .LBB924_53
.LBB924_52:
	v_lshlrev_b32_e32 v28, 2, v29
	v_add_co_u32_e32 v22, vcc, v22, v28
	v_addc_co_u32_e32 v23, vcc, 0, v23, vcc
	flat_load_dword v28, v[22:23]
.LBB924_53:
	s_or_b64 exec, exec, s[4:5]
	s_waitcnt vmcnt(0) lgkmcnt(0)
	ds_write2st64_b32 v7, v30, v31 offset1:4
	ds_write2st64_b32 v7, v32, v33 offset0:8 offset1:12
	ds_write2st64_b32 v7, v34, v2 offset0:16 offset1:20
	;; [unrolled: 1-line block ×6, first 2 shown]
	ds_write_b32 v7, v28 offset:14336
	v_mov_b32_e32 v36, v20
	v_mov_b32_e32 v37, v18
	;; [unrolled: 1-line block ×7, first 2 shown]
	s_waitcnt lgkmcnt(0)
	s_barrier
.LBB924_54:
	ds_read2_b32 v[34:35], v40 offset1:1
	ds_read2_b32 v[32:33], v40 offset0:2 offset1:3
	ds_read2_b32 v[30:31], v40 offset0:4 offset1:5
	;; [unrolled: 1-line block ×6, first 2 shown]
	ds_read_b32 v80, v40 offset:56
	s_cmp_eq_u64 s[54:55], 0
	s_cselect_b64 s[34:35], -1, 0
	s_cmp_lg_u64 s[54:55], 0
	s_mov_b64 s[6:7], 0
	s_cselect_b64 s[8:9], -1, 0
	s_and_b64 vcc, exec, s[42:43]
	s_waitcnt lgkmcnt(0)
	s_barrier
	s_cbranch_vccz .LBB924_60
; %bb.55:
	s_and_b64 vcc, exec, s[8:9]
	s_cbranch_vccz .LBB924_75
; %bb.56:
	v_add_co_u32_e32 v40, vcc, -4, v38
	v_addc_co_u32_e32 v41, vcc, -1, v39, vcc
	flat_load_dword v7, v[40:41]
	v_lshlrev_b32_e32 v40, 2, v0
	ds_write_b32 v40, v1
	s_waitcnt lgkmcnt(0)
	s_barrier
	s_and_saveexec_b64 s[4:5], s[2:3]
	s_cbranch_execz .LBB924_58
; %bb.57:
	s_waitcnt vmcnt(0)
	v_add_u32_e32 v7, -4, v40
	ds_read_b32 v7, v7
.LBB924_58:
	s_or_b64 exec, exec, s[4:5]
	v_cmp_ne_u32_e32 vcc, v36, v21
	v_cndmask_b32_e64 v79, 0, 1, vcc
	v_cmp_ne_u32_e32 vcc, v37, v21
	v_cndmask_b32_e64 v78, 0, 1, vcc
	;; [unrolled: 2-line block ×14, first 2 shown]
	s_waitcnt vmcnt(0) lgkmcnt(0)
	v_cmp_ne_u32_e64 s[4:5], v7, v20
	s_mov_b64 s[6:7], -1
.LBB924_59:
                                        ; implicit-def: $sgpr12
	s_branch .LBB924_87
.LBB924_60:
                                        ; implicit-def: $sgpr4_sgpr5
                                        ; implicit-def: $vgpr66
                                        ; implicit-def: $vgpr67
                                        ; implicit-def: $vgpr68
                                        ; implicit-def: $vgpr69
                                        ; implicit-def: $vgpr70
                                        ; implicit-def: $vgpr71
                                        ; implicit-def: $vgpr72
                                        ; implicit-def: $vgpr73
                                        ; implicit-def: $vgpr74
                                        ; implicit-def: $vgpr75
                                        ; implicit-def: $vgpr76
                                        ; implicit-def: $vgpr77
                                        ; implicit-def: $vgpr78
                                        ; implicit-def: $vgpr79
                                        ; implicit-def: $sgpr12
	s_cbranch_execnz .LBB924_79
	s_branch .LBB924_87
.LBB924_61:
	v_add_co_u32_e32 v30, vcc, v22, v7
	v_addc_co_u32_e32 v31, vcc, 0, v23, vcc
	flat_load_dword v30, v[30:31]
	s_or_b64 exec, exec, s[34:35]
                                        ; implicit-def: $vgpr31
	s_and_saveexec_b64 s[34:35], s[4:5]
	s_cbranch_execz .LBB924_39
.LBB924_62:
	v_add_co_u32_e32 v32, vcc, v22, v7
	v_addc_co_u32_e32 v33, vcc, 0, v23, vcc
	flat_load_dword v31, v[32:33] offset:1024
	s_or_b64 exec, exec, s[34:35]
                                        ; implicit-def: $vgpr32
	s_and_saveexec_b64 s[4:5], s[6:7]
	s_cbranch_execz .LBB924_40
.LBB924_63:
	v_add_co_u32_e32 v32, vcc, v22, v7
	v_addc_co_u32_e32 v33, vcc, 0, v23, vcc
	flat_load_dword v32, v[32:33] offset:2048
	s_or_b64 exec, exec, s[4:5]
                                        ; implicit-def: $vgpr33
	s_and_saveexec_b64 s[4:5], s[8:9]
	s_cbranch_execz .LBB924_41
.LBB924_64:
	v_add_co_u32_e32 v34, vcc, v22, v7
	v_addc_co_u32_e32 v35, vcc, 0, v23, vcc
	flat_load_dword v33, v[34:35] offset:3072
	s_or_b64 exec, exec, s[4:5]
                                        ; implicit-def: $vgpr34
	s_and_saveexec_b64 s[4:5], s[10:11]
	s_cbranch_execz .LBB924_42
.LBB924_65:
	v_lshlrev_b32_e32 v2, 2, v2
	v_add_co_u32_e32 v34, vcc, v22, v2
	v_addc_co_u32_e32 v35, vcc, 0, v23, vcc
	flat_load_dword v34, v[34:35]
	s_or_b64 exec, exec, s[4:5]
                                        ; implicit-def: $vgpr2
	s_and_saveexec_b64 s[4:5], s[12:13]
	s_cbranch_execz .LBB924_43
.LBB924_66:
	v_lshlrev_b32_e32 v2, 2, v3
	v_add_co_u32_e32 v2, vcc, v22, v2
	v_addc_co_u32_e32 v3, vcc, 0, v23, vcc
	flat_load_dword v2, v[2:3]
	s_or_b64 exec, exec, s[4:5]
                                        ; implicit-def: $vgpr3
	s_and_saveexec_b64 s[4:5], s[14:15]
	s_cbranch_execz .LBB924_44
.LBB924_67:
	v_lshlrev_b32_e32 v3, 2, v4
	v_add_co_u32_e32 v36, vcc, v22, v3
	v_addc_co_u32_e32 v37, vcc, 0, v23, vcc
	flat_load_dword v3, v[36:37]
	s_or_b64 exec, exec, s[4:5]
                                        ; implicit-def: $vgpr4
	s_and_saveexec_b64 s[4:5], s[16:17]
	s_cbranch_execz .LBB924_45
.LBB924_68:
	v_lshlrev_b32_e32 v4, 2, v5
	v_add_co_u32_e32 v4, vcc, v22, v4
	v_addc_co_u32_e32 v5, vcc, 0, v23, vcc
	flat_load_dword v4, v[4:5]
	s_or_b64 exec, exec, s[4:5]
                                        ; implicit-def: $vgpr5
	s_and_saveexec_b64 s[4:5], s[18:19]
	s_cbranch_execz .LBB924_46
.LBB924_69:
	v_lshlrev_b32_e32 v5, 2, v6
	v_add_co_u32_e32 v36, vcc, v22, v5
	v_addc_co_u32_e32 v37, vcc, 0, v23, vcc
	flat_load_dword v5, v[36:37]
	s_or_b64 exec, exec, s[4:5]
                                        ; implicit-def: $vgpr6
	s_and_saveexec_b64 s[4:5], s[20:21]
	s_cbranch_execz .LBB924_47
.LBB924_70:
	v_lshlrev_b32_e32 v6, 2, v24
	v_add_co_u32_e32 v36, vcc, v22, v6
	v_addc_co_u32_e32 v37, vcc, 0, v23, vcc
	flat_load_dword v6, v[36:37]
	s_or_b64 exec, exec, s[4:5]
                                        ; implicit-def: $vgpr24
	s_and_saveexec_b64 s[4:5], s[22:23]
	s_cbranch_execz .LBB924_48
.LBB924_71:
	v_lshlrev_b32_e32 v24, 2, v25
	v_add_co_u32_e32 v24, vcc, v22, v24
	v_addc_co_u32_e32 v25, vcc, 0, v23, vcc
	flat_load_dword v24, v[24:25]
	s_or_b64 exec, exec, s[4:5]
                                        ; implicit-def: $vgpr25
	s_and_saveexec_b64 s[4:5], s[24:25]
	s_cbranch_execz .LBB924_49
.LBB924_72:
	v_lshlrev_b32_e32 v25, 2, v26
	v_add_co_u32_e32 v36, vcc, v22, v25
	v_addc_co_u32_e32 v37, vcc, 0, v23, vcc
	flat_load_dword v25, v[36:37]
	s_or_b64 exec, exec, s[4:5]
                                        ; implicit-def: $vgpr26
	s_and_saveexec_b64 s[4:5], s[26:27]
	s_cbranch_execz .LBB924_50
.LBB924_73:
	v_lshlrev_b32_e32 v26, 2, v27
	v_add_co_u32_e32 v26, vcc, v22, v26
	v_addc_co_u32_e32 v27, vcc, 0, v23, vcc
	flat_load_dword v26, v[26:27]
	s_or_b64 exec, exec, s[4:5]
                                        ; implicit-def: $vgpr27
	s_and_saveexec_b64 s[4:5], s[28:29]
	s_cbranch_execz .LBB924_51
.LBB924_74:
	v_lshlrev_b32_e32 v27, 2, v28
	v_add_co_u32_e32 v36, vcc, v22, v27
	v_addc_co_u32_e32 v37, vcc, 0, v23, vcc
	flat_load_dword v27, v[36:37]
	s_or_b64 exec, exec, s[4:5]
                                        ; implicit-def: $vgpr28
	s_and_saveexec_b64 s[4:5], s[30:31]
	s_cbranch_execnz .LBB924_52
	s_branch .LBB924_53
.LBB924_75:
                                        ; implicit-def: $sgpr4_sgpr5
                                        ; implicit-def: $vgpr66
                                        ; implicit-def: $vgpr67
                                        ; implicit-def: $vgpr68
                                        ; implicit-def: $vgpr69
                                        ; implicit-def: $vgpr70
                                        ; implicit-def: $vgpr71
                                        ; implicit-def: $vgpr72
                                        ; implicit-def: $vgpr73
                                        ; implicit-def: $vgpr74
                                        ; implicit-def: $vgpr75
                                        ; implicit-def: $vgpr76
                                        ; implicit-def: $vgpr77
                                        ; implicit-def: $vgpr78
                                        ; implicit-def: $vgpr79
	s_cbranch_execz .LBB924_59
; %bb.76:
	v_cmp_ne_u32_e32 vcc, v21, v36
	v_cndmask_b32_e64 v79, 0, 1, vcc
	v_cmp_ne_u32_e32 vcc, v21, v37
	v_cndmask_b32_e64 v78, 0, 1, vcc
	;; [unrolled: 2-line block ×13, first 2 shown]
	v_cmp_ne_u32_e32 vcc, v9, v1
	v_lshlrev_b32_e32 v7, 2, v0
	v_cndmask_b32_e64 v66, 0, 1, vcc
	ds_write_b32 v7, v1
	s_waitcnt lgkmcnt(0)
	s_barrier
	s_waitcnt lgkmcnt(0)
                                        ; implicit-def: $sgpr4_sgpr5
	s_and_saveexec_b64 s[10:11], s[2:3]
	s_xor_b64 s[10:11], exec, s[10:11]
	s_cbranch_execz .LBB924_78
; %bb.77:
	v_add_u32_e32 v2, -4, v7
	ds_read_b32 v2, v2
	s_or_b64 s[6:7], s[6:7], exec
	s_waitcnt lgkmcnt(0)
	v_cmp_ne_u32_e32 vcc, v2, v20
	s_and_b64 s[4:5], vcc, exec
.LBB924_78:
	s_or_b64 exec, exec, s[10:11]
	s_mov_b32 s12, 1
	s_branch .LBB924_87
.LBB924_79:
	s_mul_hi_u32 s5, s54, 0xfffff100
	s_mul_i32 s4, s55, 0xfffff100
	s_sub_i32 s5, s5, s54
	s_add_i32 s5, s5, s4
	s_mul_i32 s4, s54, 0xfffff100
	s_add_u32 s10, s4, s48
	s_addc_u32 s11, s5, s49
	s_and_b64 vcc, exec, s[8:9]
	s_cbranch_vccz .LBB924_84
; %bb.80:
	v_add_co_u32_e32 v2, vcc, -4, v38
	v_addc_co_u32_e32 v3, vcc, -1, v39, vcc
	flat_load_dword v6, v[2:3]
	v_mad_u32_u24 v4, v0, 15, 14
	v_mov_b32_e32 v5, 0
	v_cmp_gt_u64_e32 vcc, s[10:11], v[4:5]
	v_cmp_ne_u32_e64 s[4:5], v9, v1
	v_mad_u32_u24 v4, v0, 15, 13
	s_and_b64 s[6:7], vcc, s[4:5]
	v_cmp_gt_u64_e32 vcc, s[10:11], v[4:5]
	v_cmp_ne_u32_e64 s[4:5], v8, v9
	v_mad_u32_u24 v4, v0, 15, 12
	s_and_b64 s[8:9], vcc, s[4:5]
	;; [unrolled: 4-line block ×13, first 2 shown]
	v_cmp_gt_u64_e32 vcc, s[10:11], v[4:5]
	v_cmp_ne_u32_e64 s[4:5], v20, v21
	v_lshlrev_b32_e32 v3, 2, v0
	v_mul_u32_u24_e32 v2, 15, v0
	s_and_b64 s[4:5], vcc, s[4:5]
	ds_write_b32 v3, v1
	s_waitcnt lgkmcnt(0)
	s_barrier
	s_and_saveexec_b64 s[48:49], s[2:3]
	s_cbranch_execz .LBB924_82
; %bb.81:
	v_add_u32_e32 v3, -4, v3
	s_waitcnt vmcnt(0)
	ds_read_b32 v6, v3
.LBB924_82:
	s_or_b64 exec, exec, s[48:49]
	v_mov_b32_e32 v3, v5
	v_cndmask_b32_e64 v79, 0, 1, s[4:5]
	v_cmp_gt_u64_e32 vcc, s[10:11], v[2:3]
	s_waitcnt vmcnt(0) lgkmcnt(0)
	v_cmp_ne_u32_e64 s[4:5], v6, v20
	v_cndmask_b32_e64 v66, 0, 1, s[6:7]
	v_cndmask_b32_e64 v67, 0, 1, s[8:9]
	;; [unrolled: 1-line block ×13, first 2 shown]
	s_and_b64 s[4:5], vcc, s[4:5]
	s_mov_b64 s[6:7], -1
.LBB924_83:
                                        ; implicit-def: $sgpr12
	v_mov_b32_e32 v82, s12
	s_and_saveexec_b64 s[2:3], s[6:7]
	s_cbranch_execnz .LBB924_88
	s_branch .LBB924_89
.LBB924_84:
                                        ; implicit-def: $sgpr4_sgpr5
                                        ; implicit-def: $vgpr66
                                        ; implicit-def: $vgpr67
                                        ; implicit-def: $vgpr68
                                        ; implicit-def: $vgpr69
                                        ; implicit-def: $vgpr70
                                        ; implicit-def: $vgpr71
                                        ; implicit-def: $vgpr72
                                        ; implicit-def: $vgpr73
                                        ; implicit-def: $vgpr74
                                        ; implicit-def: $vgpr75
                                        ; implicit-def: $vgpr76
                                        ; implicit-def: $vgpr77
                                        ; implicit-def: $vgpr78
                                        ; implicit-def: $vgpr79
	s_cbranch_execz .LBB924_83
; %bb.85:
	v_mad_u32_u24 v2, v0, 15, 14
	v_mov_b32_e32 v3, 0
	v_cmp_gt_u64_e32 vcc, s[10:11], v[2:3]
	v_cmp_ne_u32_e64 s[4:5], v9, v1
	s_and_b64 s[4:5], vcc, s[4:5]
	v_mad_u32_u24 v2, v0, 15, 13
	v_cndmask_b32_e64 v66, 0, 1, s[4:5]
	v_cmp_gt_u64_e32 vcc, s[10:11], v[2:3]
	v_cmp_ne_u32_e64 s[4:5], v8, v9
	s_and_b64 s[4:5], vcc, s[4:5]
	v_mad_u32_u24 v2, v0, 15, 12
	v_cndmask_b32_e64 v67, 0, 1, s[4:5]
	;; [unrolled: 5-line block ×13, first 2 shown]
	v_cmp_gt_u64_e32 vcc, s[10:11], v[2:3]
	v_cmp_ne_u32_e64 s[4:5], v20, v21
	s_and_b64 s[4:5], vcc, s[4:5]
	v_lshlrev_b32_e32 v4, 2, v0
	s_mov_b32 s12, 1
	v_cndmask_b32_e64 v79, 0, 1, s[4:5]
	ds_write_b32 v4, v1
	s_waitcnt lgkmcnt(0)
	s_barrier
	s_waitcnt lgkmcnt(0)
                                        ; implicit-def: $sgpr4_sgpr5
	s_and_saveexec_b64 s[8:9], s[2:3]
	s_cbranch_execz .LBB924_174
; %bb.86:
	v_add_u32_e32 v2, -4, v4
	ds_read_b32 v4, v2
	v_mul_u32_u24_e32 v2, 15, v0
	v_cmp_gt_u64_e32 vcc, s[10:11], v[2:3]
	s_or_b64 s[6:7], s[6:7], exec
	s_waitcnt lgkmcnt(0)
	v_cmp_ne_u32_e64 s[2:3], v4, v20
	s_and_b64 s[2:3], vcc, s[2:3]
	s_and_b64 s[4:5], s[2:3], exec
	s_or_b64 exec, exec, s[8:9]
.LBB924_87:
	v_mov_b32_e32 v82, s12
	s_and_saveexec_b64 s[2:3], s[6:7]
.LBB924_88:
	v_cndmask_b32_e64 v82, 0, 1, s[4:5]
.LBB924_89:
	s_or_b64 exec, exec, s[2:3]
	s_cmp_eq_u64 s[38:39], 0
	v_add3_u32 v2, v79, v82, v78
	s_cselect_b64 s[38:39], -1, 0
	s_cmp_lg_u32 s58, 0
	v_cmp_eq_u32_e64 s[26:27], 0, v79
	v_cmp_eq_u32_e64 s[24:25], 0, v78
	;; [unrolled: 1-line block ×3, first 2 shown]
	v_add3_u32 v86, v2, v77, v76
	v_cmp_eq_u32_e64 s[20:21], 0, v76
	v_cmp_eq_u32_e64 s[18:19], 0, v75
	v_cmp_eq_u32_e64 s[16:17], 0, v74
	v_cmp_eq_u32_e64 s[14:15], 0, v73
	v_cmp_eq_u32_e64 s[12:13], 0, v72
	v_cmp_eq_u32_e64 s[10:11], 0, v71
	v_cmp_eq_u32_e64 s[8:9], 0, v70
	v_cmp_eq_u32_e64 s[6:7], 0, v69
	v_cmp_eq_u32_e64 s[4:5], 0, v68
	v_cmp_eq_u32_e64 s[2:3], 0, v67
	v_cmp_eq_u32_e32 vcc, 0, v66
	v_mbcnt_lo_u32_b32 v85, -1, 0
	v_lshrrev_b32_e32 v83, 6, v0
	v_or_b32_e32 v84, 63, v0
	s_cbranch_scc0 .LBB924_120
; %bb.90:
	v_cndmask_b32_e64 v2, 0, v34, s[26:27]
	v_add_u32_e32 v2, v2, v35
	v_cndmask_b32_e64 v2, 0, v2, s[24:25]
	v_add_u32_e32 v2, v2, v32
	;; [unrolled: 2-line block ×11, first 2 shown]
	v_cndmask_b32_e64 v2, 0, v2, s[4:5]
	v_add3_u32 v3, v86, v75, v74
	v_add_u32_e32 v2, v2, v22
	v_add3_u32 v3, v3, v73, v72
	v_cndmask_b32_e64 v2, 0, v2, s[2:3]
	v_add3_u32 v3, v3, v71, v70
	v_add_u32_e32 v2, v2, v23
	v_add3_u32 v3, v3, v69, v68
	v_cndmask_b32_e32 v2, 0, v2, vcc
	v_add3_u32 v3, v3, v67, v66
	v_add_u32_e32 v2, v2, v80
	v_mbcnt_hi_u32_b32 v39, -1, v85
	v_and_b32_e32 v4, 15, v39
	v_mov_b32_dpp v6, v2 row_shr:1 row_mask:0xf bank_mask:0xf
	v_cmp_eq_u32_e32 vcc, 0, v3
	v_mov_b32_dpp v5, v3 row_shr:1 row_mask:0xf bank_mask:0xf
	v_cndmask_b32_e32 v6, 0, v6, vcc
	v_cmp_eq_u32_e32 vcc, 0, v4
	v_cndmask_b32_e64 v5, v5, 0, vcc
	v_add_u32_e32 v3, v5, v3
	v_cndmask_b32_e64 v5, v6, 0, vcc
	v_add_u32_e32 v2, v5, v2
	v_cmp_eq_u32_e32 vcc, 0, v3
	v_mov_b32_dpp v5, v3 row_shr:2 row_mask:0xf bank_mask:0xf
	v_cmp_lt_u32_e64 s[28:29], 1, v4
	v_mov_b32_dpp v6, v2 row_shr:2 row_mask:0xf bank_mask:0xf
	v_cndmask_b32_e64 v5, 0, v5, s[28:29]
	s_and_b64 vcc, s[28:29], vcc
	v_cndmask_b32_e32 v6, 0, v6, vcc
	v_add_u32_e32 v3, v3, v5
	v_add_u32_e32 v2, v6, v2
	v_cmp_eq_u32_e32 vcc, 0, v3
	v_mov_b32_dpp v5, v3 row_shr:4 row_mask:0xf bank_mask:0xf
	v_cmp_lt_u32_e64 s[28:29], 3, v4
	v_mov_b32_dpp v6, v2 row_shr:4 row_mask:0xf bank_mask:0xf
	v_cndmask_b32_e64 v5, 0, v5, s[28:29]
	s_and_b64 vcc, s[28:29], vcc
	v_cndmask_b32_e32 v6, 0, v6, vcc
	v_add_u32_e32 v3, v5, v3
	v_add_u32_e32 v2, v2, v6
	v_cmp_eq_u32_e32 vcc, 0, v3
	v_cmp_lt_u32_e64 s[28:29], 7, v4
	v_mov_b32_dpp v5, v3 row_shr:8 row_mask:0xf bank_mask:0xf
	v_mov_b32_dpp v6, v2 row_shr:8 row_mask:0xf bank_mask:0xf
	s_and_b64 vcc, s[28:29], vcc
	v_cndmask_b32_e64 v4, 0, v5, s[28:29]
	v_cndmask_b32_e32 v5, 0, v6, vcc
	v_add_u32_e32 v2, v5, v2
	v_add_u32_e32 v3, v4, v3
	v_bfe_i32 v6, v39, 4, 1
	v_mov_b32_dpp v5, v2 row_bcast:15 row_mask:0xf bank_mask:0xf
	v_mov_b32_dpp v4, v3 row_bcast:15 row_mask:0xf bank_mask:0xf
	v_cmp_eq_u32_e32 vcc, 0, v3
	v_cndmask_b32_e32 v5, 0, v5, vcc
	v_and_b32_e32 v4, v6, v4
	v_add_u32_e32 v3, v4, v3
	v_and_b32_e32 v4, v6, v5
	v_add_u32_e32 v4, v4, v2
	v_mov_b32_dpp v2, v3 row_bcast:31 row_mask:0xf bank_mask:0xf
	v_cmp_eq_u32_e32 vcc, 0, v3
	v_cmp_lt_u32_e64 s[28:29], 31, v39
	v_mov_b32_dpp v5, v4 row_bcast:31 row_mask:0xf bank_mask:0xf
	v_cndmask_b32_e64 v2, 0, v2, s[28:29]
	s_and_b64 vcc, s[28:29], vcc
	v_add_u32_e32 v2, v2, v3
	v_cndmask_b32_e32 v3, 0, v5, vcc
	v_add_u32_e32 v3, v3, v4
	v_cmp_eq_u32_e32 vcc, v84, v0
	v_lshlrev_b32_e32 v4, 3, v83
	s_and_saveexec_b64 s[28:29], vcc
	s_cbranch_execz .LBB924_92
; %bb.91:
	ds_write_b64 v4, v[2:3] offset:2064
.LBB924_92:
	s_or_b64 exec, exec, s[28:29]
	v_cmp_gt_u32_e32 vcc, 4, v0
	s_waitcnt lgkmcnt(0)
	s_barrier
	s_and_saveexec_b64 s[30:31], vcc
	s_cbranch_execz .LBB924_94
; %bb.93:
	v_lshlrev_b32_e32 v5, 3, v0
	ds_read_b64 v[6:7], v5 offset:2064
	v_and_b32_e32 v36, 3, v39
	v_cmp_lt_u32_e64 s[28:29], 1, v36
	s_waitcnt lgkmcnt(0)
	v_mov_b32_dpp v38, v7 row_shr:1 row_mask:0xf bank_mask:0xf
	v_cmp_eq_u32_e32 vcc, 0, v6
	v_mov_b32_dpp v37, v6 row_shr:1 row_mask:0xf bank_mask:0xf
	v_cndmask_b32_e32 v38, 0, v38, vcc
	v_cmp_eq_u32_e32 vcc, 0, v36
	v_cndmask_b32_e64 v37, v37, 0, vcc
	v_add_u32_e32 v6, v37, v6
	v_cndmask_b32_e64 v37, v38, 0, vcc
	v_add_u32_e32 v7, v37, v7
	v_cmp_eq_u32_e32 vcc, 0, v6
	v_mov_b32_dpp v37, v6 row_shr:2 row_mask:0xf bank_mask:0xf
	v_mov_b32_dpp v38, v7 row_shr:2 row_mask:0xf bank_mask:0xf
	v_cndmask_b32_e64 v36, 0, v37, s[28:29]
	s_and_b64 vcc, s[28:29], vcc
	v_add_u32_e32 v6, v36, v6
	v_cndmask_b32_e32 v36, 0, v38, vcc
	v_add_u32_e32 v7, v36, v7
	ds_write_b64 v5, v[6:7] offset:2064
.LBB924_94:
	s_or_b64 exec, exec, s[30:31]
	v_cmp_gt_u32_e32 vcc, 64, v0
	v_cmp_lt_u32_e64 s[28:29], 63, v0
	v_mov_b32_e32 v36, 0
	v_mov_b32_e32 v37, 0
	s_waitcnt lgkmcnt(0)
	s_barrier
	s_and_saveexec_b64 s[30:31], s[28:29]
	s_cbranch_execz .LBB924_96
; %bb.95:
	ds_read_b64 v[36:37], v4 offset:2056
	v_cmp_eq_u32_e64 s[28:29], 0, v2
	s_waitcnt lgkmcnt(0)
	v_add_u32_e32 v4, v36, v2
	v_cndmask_b32_e64 v2, 0, v37, s[28:29]
	v_add_u32_e32 v3, v2, v3
	v_mov_b32_e32 v2, v4
.LBB924_96:
	s_or_b64 exec, exec, s[30:31]
	v_add_u32_e32 v4, -1, v39
	v_and_b32_e32 v5, 64, v39
	v_cmp_lt_i32_e64 s[28:29], v4, v5
	v_cndmask_b32_e64 v4, v4, v39, s[28:29]
	v_lshlrev_b32_e32 v4, 2, v4
	ds_bpermute_b32 v44, v4, v2
	ds_bpermute_b32 v45, v4, v3
	v_cmp_eq_u32_e64 s[28:29], 0, v39
	s_and_saveexec_b64 s[42:43], vcc
	s_cbranch_execz .LBB924_119
; %bb.97:
	v_mov_b32_e32 v7, 0
	ds_read_b64 v[2:3], v7 offset:2088
	s_waitcnt lgkmcnt(0)
	v_readfirstlane_b32 s54, v2
	v_readfirstlane_b32 s55, v3
	s_and_saveexec_b64 s[30:31], s[28:29]
	s_cbranch_execz .LBB924_99
; %bb.98:
	s_add_i32 s48, s58, 64
	s_mov_b32 s49, 0
	s_lshl_b64 s[56:57], s[48:49], 4
	s_add_u32 s56, s36, s56
	s_addc_u32 s57, s37, s57
	s_and_b32 s61, s55, 0xff000000
	s_mov_b32 s60, s49
	s_and_b32 s63, s55, 0xff0000
	s_mov_b32 s62, s49
	s_or_b64 s[60:61], s[62:63], s[60:61]
	s_and_b32 s63, s55, 0xff00
	s_or_b64 s[60:61], s[60:61], s[62:63]
	s_and_b32 s63, s55, 0xff
	s_or_b64 s[48:49], s[60:61], s[62:63]
	v_mov_b32_e32 v4, s54
	v_mov_b32_e32 v5, s49
	;; [unrolled: 1-line block ×3, first 2 shown]
	v_pk_mov_b32 v[2:3], s[56:57], s[56:57] op_sel:[0,1]
	;;#ASMSTART
	global_store_dwordx4 v[2:3], v[4:7] off	
s_waitcnt vmcnt(0)
	;;#ASMEND
.LBB924_99:
	s_or_b64 exec, exec, s[30:31]
	v_xad_u32 v38, v39, -1, s58
	v_add_u32_e32 v6, 64, v38
	v_lshlrev_b64 v[2:3], 4, v[6:7]
	v_mov_b32_e32 v4, s37
	v_add_co_u32_e32 v40, vcc, s36, v2
	v_addc_co_u32_e32 v41, vcc, v4, v3, vcc
	;;#ASMSTART
	global_load_dwordx4 v[2:5], v[40:41] off glc	
s_waitcnt vmcnt(0)
	;;#ASMEND
	v_and_b32_e32 v5, 0xff, v3
	v_and_b32_e32 v6, 0xff00, v3
	;; [unrolled: 1-line block ×3, first 2 shown]
	v_or3_b32 v5, 0, v5, v6
	v_or3_b32 v2, v2, 0, 0
	v_and_b32_e32 v3, 0xff000000, v3
	v_or3_b32 v3, v5, v42, v3
	v_or3_b32 v2, v2, 0, 0
	v_cmp_eq_u16_sdwa s[48:49], v4, v7 src0_sel:BYTE_0 src1_sel:DWORD
	s_and_saveexec_b64 s[30:31], s[48:49]
	s_cbranch_execz .LBB924_105
; %bb.100:
	s_mov_b32 s56, 1
	s_mov_b64 s[48:49], 0
	v_mov_b32_e32 v6, 0
.LBB924_101:                            ; =>This Loop Header: Depth=1
                                        ;     Child Loop BB924_102 Depth 2
	s_max_u32 s57, s56, 1
.LBB924_102:                            ;   Parent Loop BB924_101 Depth=1
                                        ; =>  This Inner Loop Header: Depth=2
	s_add_i32 s57, s57, -1
	s_cmp_eq_u32 s57, 0
	s_sleep 1
	s_cbranch_scc0 .LBB924_102
; %bb.103:                              ;   in Loop: Header=BB924_101 Depth=1
	s_cmp_lt_u32 s56, 32
	s_cselect_b64 s[60:61], -1, 0
	s_cmp_lg_u64 s[60:61], 0
	s_addc_u32 s56, s56, 0
	;;#ASMSTART
	global_load_dwordx4 v[2:5], v[40:41] off glc	
s_waitcnt vmcnt(0)
	;;#ASMEND
	v_cmp_ne_u16_sdwa s[60:61], v4, v6 src0_sel:BYTE_0 src1_sel:DWORD
	s_or_b64 s[48:49], s[60:61], s[48:49]
	s_andn2_b64 exec, exec, s[48:49]
	s_cbranch_execnz .LBB924_101
; %bb.104:
	s_or_b64 exec, exec, s[48:49]
.LBB924_105:
	s_or_b64 exec, exec, s[30:31]
	v_mov_b32_e32 v46, 2
	v_cmp_eq_u16_sdwa s[30:31], v4, v46 src0_sel:BYTE_0 src1_sel:DWORD
	v_lshlrev_b64 v[40:41], v39, -1
	v_and_b32_e32 v5, s31, v41
	v_and_b32_e32 v47, 63, v39
	v_or_b32_e32 v5, 0x80000000, v5
	v_cmp_ne_u32_e32 vcc, 63, v47
	v_and_b32_e32 v6, s30, v40
	v_ffbl_b32_e32 v5, v5
	v_addc_co_u32_e32 v7, vcc, 0, v39, vcc
	v_add_u32_e32 v5, 32, v5
	v_ffbl_b32_e32 v6, v6
	v_lshlrev_b32_e32 v48, 2, v7
	v_min_u32_e32 v5, v6, v5
	ds_bpermute_b32 v6, v48, v3
	v_cmp_eq_u32_e32 vcc, 0, v2
	v_cmp_lt_u32_e64 s[30:31], v47, v5
	ds_bpermute_b32 v7, v48, v2
	s_and_b64 vcc, s[30:31], vcc
	s_waitcnt lgkmcnt(1)
	v_cndmask_b32_e32 v6, 0, v6, vcc
	v_cmp_gt_u32_e32 vcc, 62, v47
	v_add_u32_e32 v3, v6, v3
	v_cndmask_b32_e64 v6, 0, 1, vcc
	v_lshlrev_b32_e32 v6, 1, v6
	v_add_lshl_u32 v49, v6, v39, 2
	s_waitcnt lgkmcnt(0)
	v_cndmask_b32_e64 v7, 0, v7, s[30:31]
	ds_bpermute_b32 v6, v49, v3
	v_add_u32_e32 v2, v7, v2
	ds_bpermute_b32 v7, v49, v2
	v_add_u32_e32 v50, 2, v47
	v_cmp_eq_u32_e32 vcc, 0, v2
	s_waitcnt lgkmcnt(1)
	v_cndmask_b32_e32 v6, 0, v6, vcc
	v_cmp_gt_u32_e32 vcc, v50, v5
	v_cndmask_b32_e64 v6, v6, 0, vcc
	v_add_u32_e32 v3, v6, v3
	s_waitcnt lgkmcnt(0)
	v_cndmask_b32_e64 v6, v7, 0, vcc
	v_cmp_gt_u32_e32 vcc, 60, v47
	v_cndmask_b32_e64 v7, 0, 1, vcc
	v_lshlrev_b32_e32 v7, 2, v7
	v_add_lshl_u32 v51, v7, v39, 2
	ds_bpermute_b32 v7, v51, v3
	v_add_u32_e32 v2, v2, v6
	ds_bpermute_b32 v6, v51, v2
	v_add_u32_e32 v52, 4, v47
	v_cmp_eq_u32_e32 vcc, 0, v2
	s_waitcnt lgkmcnt(1)
	v_cndmask_b32_e32 v7, 0, v7, vcc
	v_cmp_gt_u32_e32 vcc, v52, v5
	v_cndmask_b32_e64 v7, v7, 0, vcc
	s_waitcnt lgkmcnt(0)
	v_cndmask_b32_e64 v6, v6, 0, vcc
	v_cmp_gt_u32_e32 vcc, 56, v47
	v_add_u32_e32 v3, v3, v7
	v_cndmask_b32_e64 v7, 0, 1, vcc
	v_lshlrev_b32_e32 v7, 3, v7
	v_add_lshl_u32 v53, v7, v39, 2
	ds_bpermute_b32 v7, v53, v3
	v_add_u32_e32 v2, v2, v6
	ds_bpermute_b32 v6, v53, v2
	v_add_u32_e32 v54, 8, v47
	v_cmp_eq_u32_e32 vcc, 0, v2
	s_waitcnt lgkmcnt(1)
	v_cndmask_b32_e32 v7, 0, v7, vcc
	v_cmp_gt_u32_e32 vcc, v54, v5
	v_cndmask_b32_e64 v7, v7, 0, vcc
	s_waitcnt lgkmcnt(0)
	v_cndmask_b32_e64 v6, v6, 0, vcc
	v_cmp_gt_u32_e32 vcc, 48, v47
	v_add_u32_e32 v3, v3, v7
	;; [unrolled: 16-line block ×3, first 2 shown]
	v_cndmask_b32_e64 v7, 0, 1, vcc
	v_lshlrev_b32_e32 v7, 5, v7
	v_add_lshl_u32 v57, v7, v39, 2
	ds_bpermute_b32 v7, v57, v3
	v_add_u32_e32 v2, v2, v6
	ds_bpermute_b32 v6, v57, v2
	v_add_u32_e32 v58, 32, v47
	v_cmp_eq_u32_e32 vcc, 0, v2
	s_waitcnt lgkmcnt(1)
	v_cndmask_b32_e32 v7, 0, v7, vcc
	v_cmp_gt_u32_e32 vcc, v58, v5
	v_cndmask_b32_e64 v5, v7, 0, vcc
	v_add_u32_e32 v3, v5, v3
	s_waitcnt lgkmcnt(0)
	v_cndmask_b32_e64 v5, v6, 0, vcc
	v_add_u32_e32 v2, v5, v2
	v_mov_b32_e32 v39, 0
	s_branch .LBB924_107
.LBB924_106:                            ;   in Loop: Header=BB924_107 Depth=1
	s_or_b64 exec, exec, s[30:31]
	v_cmp_eq_u16_sdwa s[30:31], v4, v46 src0_sel:BYTE_0 src1_sel:DWORD
	v_and_b32_e32 v5, s31, v41
	v_or_b32_e32 v5, 0x80000000, v5
	v_and_b32_e32 v42, s30, v40
	v_ffbl_b32_e32 v5, v5
	v_add_u32_e32 v5, 32, v5
	v_ffbl_b32_e32 v42, v42
	v_min_u32_e32 v5, v42, v5
	ds_bpermute_b32 v42, v48, v3
	v_cmp_eq_u32_e32 vcc, 0, v2
	v_cmp_lt_u32_e64 s[30:31], v47, v5
	ds_bpermute_b32 v43, v48, v2
	s_and_b64 vcc, s[30:31], vcc
	s_waitcnt lgkmcnt(1)
	v_cndmask_b32_e32 v42, 0, v42, vcc
	v_add_u32_e32 v3, v42, v3
	ds_bpermute_b32 v42, v49, v3
	s_waitcnt lgkmcnt(1)
	v_cndmask_b32_e64 v43, 0, v43, s[30:31]
	v_add_u32_e32 v2, v43, v2
	v_cmp_eq_u32_e32 vcc, 0, v2
	ds_bpermute_b32 v43, v49, v2
	s_waitcnt lgkmcnt(1)
	v_cndmask_b32_e32 v42, 0, v42, vcc
	v_cmp_gt_u32_e32 vcc, v50, v5
	v_cndmask_b32_e64 v42, v42, 0, vcc
	v_add_u32_e32 v3, v42, v3
	ds_bpermute_b32 v42, v51, v3
	s_waitcnt lgkmcnt(1)
	v_cndmask_b32_e64 v43, v43, 0, vcc
	v_add_u32_e32 v2, v2, v43
	v_cmp_eq_u32_e32 vcc, 0, v2
	ds_bpermute_b32 v43, v51, v2
	s_waitcnt lgkmcnt(1)
	v_cndmask_b32_e32 v42, 0, v42, vcc
	v_cmp_gt_u32_e32 vcc, v52, v5
	v_cndmask_b32_e64 v42, v42, 0, vcc
	v_add_u32_e32 v3, v3, v42
	ds_bpermute_b32 v42, v53, v3
	s_waitcnt lgkmcnt(1)
	v_cndmask_b32_e64 v43, v43, 0, vcc
	v_add_u32_e32 v2, v2, v43
	ds_bpermute_b32 v43, v53, v2
	v_cmp_eq_u32_e32 vcc, 0, v2
	s_waitcnt lgkmcnt(1)
	v_cndmask_b32_e32 v42, 0, v42, vcc
	v_cmp_gt_u32_e32 vcc, v54, v5
	v_cndmask_b32_e64 v42, v42, 0, vcc
	v_add_u32_e32 v3, v3, v42
	ds_bpermute_b32 v42, v55, v3
	s_waitcnt lgkmcnt(1)
	v_cndmask_b32_e64 v43, v43, 0, vcc
	v_add_u32_e32 v2, v2, v43
	ds_bpermute_b32 v43, v55, v2
	v_cmp_eq_u32_e32 vcc, 0, v2
	;; [unrolled: 11-line block ×3, first 2 shown]
	s_waitcnt lgkmcnt(1)
	v_cndmask_b32_e32 v42, 0, v42, vcc
	v_cmp_gt_u32_e32 vcc, v58, v5
	v_cndmask_b32_e64 v5, v42, 0, vcc
	v_add_u32_e32 v3, v5, v3
	s_waitcnt lgkmcnt(0)
	v_cndmask_b32_e64 v5, v43, 0, vcc
	v_cmp_eq_u32_e32 vcc, 0, v6
	v_cndmask_b32_e32 v3, 0, v3, vcc
	v_subrev_u32_e32 v38, 64, v38
	v_add3_u32 v2, v2, v6, v5
	v_add_u32_e32 v3, v3, v7
.LBB924_107:                            ; =>This Loop Header: Depth=1
                                        ;     Child Loop BB924_110 Depth 2
                                        ;       Child Loop BB924_111 Depth 3
	v_cmp_ne_u16_sdwa s[30:31], v4, v46 src0_sel:BYTE_0 src1_sel:DWORD
	v_mov_b32_e32 v7, v3
	v_cndmask_b32_e64 v3, 0, 1, s[30:31]
	;;#ASMSTART
	;;#ASMEND
	v_cmp_ne_u32_e32 vcc, 0, v3
	s_cmp_lg_u64 vcc, exec
	v_mov_b32_e32 v6, v2
	s_cbranch_scc1 .LBB924_114
; %bb.108:                              ;   in Loop: Header=BB924_107 Depth=1
	v_lshlrev_b64 v[2:3], 4, v[38:39]
	v_mov_b32_e32 v4, s37
	v_add_co_u32_e32 v42, vcc, s36, v2
	v_addc_co_u32_e32 v43, vcc, v4, v3, vcc
	;;#ASMSTART
	global_load_dwordx4 v[2:5], v[42:43] off glc	
s_waitcnt vmcnt(0)
	;;#ASMEND
	v_and_b32_e32 v5, 0xff, v3
	v_and_b32_e32 v59, 0xff00, v3
	;; [unrolled: 1-line block ×3, first 2 shown]
	v_or3_b32 v5, 0, v5, v59
	v_or3_b32 v2, v2, 0, 0
	v_and_b32_e32 v3, 0xff000000, v3
	v_or3_b32 v3, v5, v60, v3
	v_or3_b32 v2, v2, 0, 0
	v_cmp_eq_u16_sdwa s[48:49], v4, v39 src0_sel:BYTE_0 src1_sel:DWORD
	s_and_saveexec_b64 s[30:31], s[48:49]
	s_cbranch_execz .LBB924_106
; %bb.109:                              ;   in Loop: Header=BB924_107 Depth=1
	s_mov_b32 s56, 1
	s_mov_b64 s[48:49], 0
.LBB924_110:                            ;   Parent Loop BB924_107 Depth=1
                                        ; =>  This Loop Header: Depth=2
                                        ;       Child Loop BB924_111 Depth 3
	s_max_u32 s57, s56, 1
.LBB924_111:                            ;   Parent Loop BB924_107 Depth=1
                                        ;     Parent Loop BB924_110 Depth=2
                                        ; =>    This Inner Loop Header: Depth=3
	s_add_i32 s57, s57, -1
	s_cmp_eq_u32 s57, 0
	s_sleep 1
	s_cbranch_scc0 .LBB924_111
; %bb.112:                              ;   in Loop: Header=BB924_110 Depth=2
	s_cmp_lt_u32 s56, 32
	s_cselect_b64 s[60:61], -1, 0
	s_cmp_lg_u64 s[60:61], 0
	s_addc_u32 s56, s56, 0
	;;#ASMSTART
	global_load_dwordx4 v[2:5], v[42:43] off glc	
s_waitcnt vmcnt(0)
	;;#ASMEND
	v_cmp_ne_u16_sdwa s[60:61], v4, v39 src0_sel:BYTE_0 src1_sel:DWORD
	s_or_b64 s[48:49], s[60:61], s[48:49]
	s_andn2_b64 exec, exec, s[48:49]
	s_cbranch_execnz .LBB924_110
; %bb.113:                              ;   in Loop: Header=BB924_107 Depth=1
	s_or_b64 exec, exec, s[48:49]
	s_branch .LBB924_106
.LBB924_114:                            ;   in Loop: Header=BB924_107 Depth=1
                                        ; implicit-def: $vgpr3
                                        ; implicit-def: $vgpr2
                                        ; implicit-def: $vgpr4
	s_cbranch_execz .LBB924_107
; %bb.115:
	s_and_saveexec_b64 s[30:31], s[28:29]
	s_cbranch_execz .LBB924_117
; %bb.116:
	s_cmp_eq_u32 s54, 0
	s_cselect_b64 vcc, -1, 0
	s_mov_b32 s49, 0
	v_cndmask_b32_e32 v2, 0, v7, vcc
	s_add_i32 s48, s58, 64
	v_add_u32_e32 v2, s55, v2
	s_lshl_b64 s[48:49], s[48:49], 4
	s_add_u32 s48, s36, s48
	v_and_b32_e32 v3, 0xff000000, v2
	v_and_b32_e32 v4, 0xff0000, v2
	s_addc_u32 s49, s37, s49
	v_or_b32_e32 v3, v4, v3
	v_and_b32_e32 v4, 0xff00, v2
	v_and_b32_e32 v2, 0xff, v2
	v_add_u32_e32 v38, s54, v6
	v_mov_b32_e32 v41, 0
	v_or3_b32 v39, v3, v4, v2
	v_mov_b32_e32 v40, 2
	v_pk_mov_b32 v[2:3], s[48:49], s[48:49] op_sel:[0,1]
	;;#ASMSTART
	global_store_dwordx4 v[2:3], v[38:41] off	
s_waitcnt vmcnt(0)
	;;#ASMEND
	v_mov_b32_e32 v4, s54
	v_mov_b32_e32 v5, s55
	ds_write_b128 v41, v[4:7] offset:2048
.LBB924_117:
	s_or_b64 exec, exec, s[30:31]
	s_and_b64 exec, exec, s[0:1]
	s_cbranch_execz .LBB924_119
; %bb.118:
	v_mov_b32_e32 v2, 0
	ds_write_b64 v2, v[6:7] offset:2088
.LBB924_119:
	s_or_b64 exec, exec, s[42:43]
	v_mov_b32_e32 v4, 0
	s_waitcnt lgkmcnt(0)
	s_barrier
	ds_read_b64 v[2:3], v4 offset:2088
	v_cndmask_b32_e64 v6, v44, v36, s[28:29]
	v_cmp_eq_u32_e32 vcc, 0, v6
	v_cndmask_b32_e64 v5, v45, v37, s[28:29]
	s_waitcnt lgkmcnt(0)
	v_cndmask_b32_e32 v7, 0, v3, vcc
	v_add_u32_e32 v5, v7, v5
	v_cndmask_b32_e64 v65, v5, v3, s[0:1]
	v_cndmask_b32_e64 v3, v6, 0, s[0:1]
	v_cmp_eq_u32_e32 vcc, 0, v82
	v_add_u32_e32 v64, v2, v3
	v_cndmask_b32_e32 v2, 0, v65, vcc
	v_add_u32_e32 v63, v2, v34
	v_cndmask_b32_e64 v2, 0, v63, s[26:27]
	v_add_u32_e32 v61, v2, v35
	v_cndmask_b32_e64 v2, 0, v61, s[24:25]
	;; [unrolled: 2-line block ×8, first 2 shown]
	v_add_u32_e32 v62, v64, v82
	v_add_u32_e32 v47, v2, v26
	v_add_u32_e32 v60, v62, v79
	v_cndmask_b32_e64 v2, 0, v47, s[10:11]
	v_add_u32_e32 v58, v60, v78
	v_add_u32_e32 v45, v2, v27
	v_add_u32_e32 v56, v58, v77
	v_cndmask_b32_e64 v2, 0, v45, s[8:9]
	;; [unrolled: 4-line block ×3, first 2 shown]
	v_add_u32_e32 v50, v52, v74
	v_add_u32_e32 v41, v2, v25
	s_barrier
	ds_read_b128 v[2:5], v4 offset:2048
	v_add_u32_e32 v48, v50, v73
	v_add_u32_e32 v46, v48, v72
	;; [unrolled: 1-line block ×4, first 2 shown]
	v_cndmask_b32_e64 v6, 0, v41, s[4:5]
	v_add_u32_e32 v40, v42, v69
	v_add_u32_e32 v39, v6, v22
	s_waitcnt lgkmcnt(0)
	v_cmp_eq_u32_e32 vcc, 0, v2
	v_add_u32_e32 v38, v40, v68
	v_cndmask_b32_e64 v6, 0, v39, s[2:3]
	v_cndmask_b32_e32 v5, 0, v5, vcc
	v_add_u32_e32 v36, v38, v67
	v_add_u32_e32 v37, v6, v23
	;; [unrolled: 1-line block ×3, first 2 shown]
	s_branch .LBB924_132
.LBB924_120:
                                        ; implicit-def: $vgpr2
                                        ; implicit-def: $vgpr81
                                        ; implicit-def: $vgpr64_vgpr65
                                        ; implicit-def: $vgpr62_vgpr63
                                        ; implicit-def: $vgpr60_vgpr61
                                        ; implicit-def: $vgpr58_vgpr59
                                        ; implicit-def: $vgpr56_vgpr57
                                        ; implicit-def: $vgpr54_vgpr55
                                        ; implicit-def: $vgpr52_vgpr53
                                        ; implicit-def: $vgpr50_vgpr51
                                        ; implicit-def: $vgpr48_vgpr49
                                        ; implicit-def: $vgpr46_vgpr47
                                        ; implicit-def: $vgpr44_vgpr45
                                        ; implicit-def: $vgpr42_vgpr43
                                        ; implicit-def: $vgpr40_vgpr41
                                        ; implicit-def: $vgpr38_vgpr39
                                        ; implicit-def: $vgpr36_vgpr37
	s_cbranch_execz .LBB924_132
; %bb.121:
	s_and_b64 s[2:3], s[38:39], exec
	s_cselect_b32 s3, 0, s53
	s_cselect_b32 s2, 0, s52
	s_cmp_eq_u64 s[2:3], 0
	v_mov_b32_e32 v6, v34
	s_cbranch_scc1 .LBB924_123
; %bb.122:
	v_mov_b32_e32 v2, 0
	global_load_dword v6, v2, s[2:3]
.LBB924_123:
	v_cmp_eq_u32_e64 s[2:3], 0, v79
	v_cndmask_b32_e64 v2, 0, v34, s[2:3]
	v_add_u32_e32 v2, v2, v35
	v_cmp_eq_u32_e64 s[4:5], 0, v78
	v_cndmask_b32_e64 v2, 0, v2, s[4:5]
	v_add_u32_e32 v2, v2, v32
	;; [unrolled: 3-line block ×11, first 2 shown]
	v_cmp_eq_u32_e64 s[24:25], 0, v68
	v_cndmask_b32_e64 v2, 0, v2, s[24:25]
	v_add3_u32 v3, v86, v75, v74
	v_add_u32_e32 v2, v2, v22
	v_cmp_eq_u32_e32 vcc, 0, v67
	v_add3_u32 v3, v3, v73, v72
	v_cndmask_b32_e32 v2, 0, v2, vcc
	v_add3_u32 v3, v3, v71, v70
	v_add_u32_e32 v2, v2, v23
	v_cmp_eq_u32_e64 s[26:27], 0, v66
	v_add3_u32 v3, v3, v69, v68
	v_cndmask_b32_e64 v2, 0, v2, s[26:27]
	v_add3_u32 v3, v3, v67, v66
	v_add_u32_e32 v2, v2, v80
	v_mbcnt_hi_u32_b32 v7, -1, v85
	v_and_b32_e32 v4, 15, v7
	v_mov_b32_dpp v36, v2 row_shr:1 row_mask:0xf bank_mask:0xf
	v_cmp_eq_u32_e64 s[26:27], 0, v3
	v_mov_b32_dpp v5, v3 row_shr:1 row_mask:0xf bank_mask:0xf
	v_cndmask_b32_e64 v36, 0, v36, s[26:27]
	v_cmp_eq_u32_e64 s[26:27], 0, v4
	v_cndmask_b32_e64 v5, v5, 0, s[26:27]
	v_add_u32_e32 v3, v5, v3
	v_cndmask_b32_e64 v5, v36, 0, s[26:27]
	v_add_u32_e32 v2, v5, v2
	v_cmp_eq_u32_e64 s[26:27], 0, v3
	v_mov_b32_dpp v5, v3 row_shr:2 row_mask:0xf bank_mask:0xf
	v_cmp_lt_u32_e64 s[28:29], 1, v4
	v_mov_b32_dpp v36, v2 row_shr:2 row_mask:0xf bank_mask:0xf
	v_cndmask_b32_e64 v5, 0, v5, s[28:29]
	s_and_b64 s[26:27], s[28:29], s[26:27]
	v_cndmask_b32_e64 v36, 0, v36, s[26:27]
	v_add_u32_e32 v3, v3, v5
	v_add_u32_e32 v2, v36, v2
	v_cmp_eq_u32_e64 s[26:27], 0, v3
	v_mov_b32_dpp v5, v3 row_shr:4 row_mask:0xf bank_mask:0xf
	v_cmp_lt_u32_e64 s[28:29], 3, v4
	v_mov_b32_dpp v36, v2 row_shr:4 row_mask:0xf bank_mask:0xf
	v_cndmask_b32_e64 v5, 0, v5, s[28:29]
	s_and_b64 s[26:27], s[28:29], s[26:27]
	v_cndmask_b32_e64 v36, 0, v36, s[26:27]
	v_add_u32_e32 v3, v5, v3
	v_add_u32_e32 v2, v2, v36
	v_cmp_eq_u32_e64 s[26:27], 0, v3
	v_cmp_lt_u32_e64 s[28:29], 7, v4
	v_mov_b32_dpp v5, v3 row_shr:8 row_mask:0xf bank_mask:0xf
	v_mov_b32_dpp v36, v2 row_shr:8 row_mask:0xf bank_mask:0xf
	s_and_b64 s[26:27], s[28:29], s[26:27]
	v_cndmask_b32_e64 v4, 0, v5, s[28:29]
	v_cndmask_b32_e64 v5, 0, v36, s[26:27]
	v_add_u32_e32 v2, v5, v2
	v_add_u32_e32 v3, v4, v3
	v_bfe_i32 v36, v7, 4, 1
	v_mov_b32_dpp v5, v2 row_bcast:15 row_mask:0xf bank_mask:0xf
	v_mov_b32_dpp v4, v3 row_bcast:15 row_mask:0xf bank_mask:0xf
	v_cmp_eq_u32_e64 s[26:27], 0, v3
	v_cndmask_b32_e64 v5, 0, v5, s[26:27]
	v_and_b32_e32 v4, v36, v4
	v_add_u32_e32 v3, v4, v3
	v_and_b32_e32 v4, v36, v5
	v_add_u32_e32 v4, v4, v2
	v_mov_b32_dpp v2, v3 row_bcast:31 row_mask:0xf bank_mask:0xf
	v_cmp_eq_u32_e64 s[26:27], 0, v3
	v_cmp_lt_u32_e64 s[28:29], 31, v7
	v_mov_b32_dpp v5, v4 row_bcast:31 row_mask:0xf bank_mask:0xf
	v_cndmask_b32_e64 v2, 0, v2, s[28:29]
	s_and_b64 s[26:27], s[28:29], s[26:27]
	v_add_u32_e32 v2, v2, v3
	v_cndmask_b32_e64 v3, 0, v5, s[26:27]
	v_add_u32_e32 v3, v3, v4
	v_cmp_eq_u32_e64 s[26:27], v84, v0
	s_and_saveexec_b64 s[28:29], s[26:27]
	s_cbranch_execz .LBB924_125
; %bb.124:
	v_lshlrev_b32_e32 v4, 3, v83
	ds_write_b64 v4, v[2:3] offset:2064
.LBB924_125:
	s_or_b64 exec, exec, s[28:29]
	v_cmp_gt_u32_e64 s[26:27], 4, v0
	s_waitcnt lgkmcnt(0)
	s_barrier
	s_and_saveexec_b64 s[30:31], s[26:27]
	s_cbranch_execz .LBB924_127
; %bb.126:
	v_lshlrev_b32_e32 v36, 3, v0
	ds_read_b64 v[4:5], v36 offset:2064
	v_and_b32_e32 v37, 3, v7
	v_cmp_lt_u32_e64 s[28:29], 1, v37
	s_waitcnt lgkmcnt(0)
	v_mov_b32_dpp v39, v5 row_shr:1 row_mask:0xf bank_mask:0xf
	v_cmp_eq_u32_e64 s[26:27], 0, v4
	v_mov_b32_dpp v38, v4 row_shr:1 row_mask:0xf bank_mask:0xf
	v_cndmask_b32_e64 v39, 0, v39, s[26:27]
	v_cmp_eq_u32_e64 s[26:27], 0, v37
	v_cndmask_b32_e64 v38, v38, 0, s[26:27]
	v_add_u32_e32 v4, v38, v4
	v_cndmask_b32_e64 v38, v39, 0, s[26:27]
	v_add_u32_e32 v5, v38, v5
	v_cmp_eq_u32_e64 s[26:27], 0, v4
	v_mov_b32_dpp v38, v4 row_shr:2 row_mask:0xf bank_mask:0xf
	v_mov_b32_dpp v39, v5 row_shr:2 row_mask:0xf bank_mask:0xf
	v_cndmask_b32_e64 v37, 0, v38, s[28:29]
	s_and_b64 s[26:27], s[28:29], s[26:27]
	v_add_u32_e32 v4, v37, v4
	v_cndmask_b32_e64 v37, 0, v39, s[26:27]
	v_add_u32_e32 v5, v37, v5
	ds_write_b64 v36, v[4:5] offset:2064
.LBB924_127:
	s_or_b64 exec, exec, s[30:31]
	v_cmp_lt_u32_e64 s[26:27], 63, v0
	v_mov_b32_e32 v36, 0
	v_mov_b32_e32 v4, 0
	s_waitcnt vmcnt(0)
	v_mov_b32_e32 v5, v6
	s_waitcnt lgkmcnt(0)
	s_barrier
	s_and_saveexec_b64 s[28:29], s[26:27]
	s_cbranch_execz .LBB924_129
; %bb.128:
	v_lshlrev_b32_e32 v4, 3, v83
	ds_read_b64 v[4:5], v4 offset:2056
	s_waitcnt lgkmcnt(0)
	v_cmp_eq_u32_e64 s[26:27], 0, v4
	v_cndmask_b32_e64 v37, 0, v6, s[26:27]
	v_add_u32_e32 v5, v37, v5
.LBB924_129:
	s_or_b64 exec, exec, s[28:29]
	v_cmp_eq_u32_e64 s[26:27], 0, v2
	v_add_u32_e32 v37, v4, v2
	v_cndmask_b32_e64 v2, 0, v5, s[26:27]
	v_add_u32_e32 v2, v2, v3
	v_add_u32_e32 v3, -1, v7
	v_and_b32_e32 v38, 64, v7
	v_cmp_lt_i32_e64 s[26:27], v3, v38
	v_cndmask_b32_e64 v3, v3, v7, s[26:27]
	v_lshlrev_b32_e32 v3, 2, v3
	ds_bpermute_b32 v2, v3, v2
	ds_bpermute_b32 v37, v3, v37
	v_cmp_eq_u32_e64 s[26:27], 0, v7
	s_waitcnt lgkmcnt(1)
	v_cndmask_b32_e64 v2, v2, v5, s[26:27]
	s_waitcnt lgkmcnt(0)
	v_cndmask_b32_e64 v3, v37, v4, s[26:27]
	v_cndmask_b32_e64 v65, v2, v6, s[0:1]
	v_cmp_eq_u32_e64 s[26:27], 0, v82
	v_cndmask_b32_e64 v2, 0, v65, s[26:27]
	v_add_u32_e32 v63, v2, v34
	v_cndmask_b32_e64 v2, 0, v63, s[2:3]
	v_add_u32_e32 v61, v2, v35
	;; [unrolled: 2-line block ×8, first 2 shown]
	v_cndmask_b32_e64 v64, v3, 0, s[0:1]
	v_cndmask_b32_e64 v2, 0, v49, s[16:17]
	v_add_u32_e32 v62, v64, v82
	v_add_u32_e32 v47, v2, v26
	v_add_u32_e32 v60, v62, v79
	v_cndmask_b32_e64 v2, 0, v47, s[18:19]
	v_add_u32_e32 v58, v60, v78
	v_add_u32_e32 v45, v2, v27
	v_add_u32_e32 v56, v58, v77
	;; [unrolled: 4-line block ×3, first 2 shown]
	v_cndmask_b32_e64 v2, 0, v43, s[22:23]
	v_add_u32_e32 v50, v52, v74
	v_add_u32_e32 v41, v2, v25
	ds_read_b64 v[2:3], v36 offset:2088
	v_add_u32_e32 v48, v50, v73
	v_add_u32_e32 v46, v48, v72
	;; [unrolled: 1-line block ×3, first 2 shown]
	v_cndmask_b32_e64 v4, 0, v41, s[24:25]
	v_add_u32_e32 v42, v44, v70
	v_add_u32_e32 v39, v4, v22
	;; [unrolled: 1-line block ×3, first 2 shown]
	v_cndmask_b32_e32 v4, 0, v39, vcc
	s_waitcnt lgkmcnt(0)
	v_cmp_eq_u32_e32 vcc, 0, v2
	v_add_u32_e32 v38, v40, v68
	v_add_u32_e32 v37, v4, v23
	v_cndmask_b32_e32 v4, 0, v6, vcc
	v_add_u32_e32 v36, v38, v67
	v_add_u32_e32 v81, v4, v3
	s_and_saveexec_b64 s[2:3], s[0:1]
	s_cbranch_execz .LBB924_131
; %bb.130:
	s_add_u32 s4, s36, 0x400
	v_and_b32_e32 v3, 0xff000000, v81
	v_and_b32_e32 v4, 0xff0000, v81
	s_addc_u32 s5, s37, 0
	v_or_b32_e32 v3, v4, v3
	v_and_b32_e32 v4, 0xff00, v81
	v_and_b32_e32 v6, 0xff, v81
	v_mov_b32_e32 v5, 0
	v_or3_b32 v3, v3, v4, v6
	v_mov_b32_e32 v4, 2
	v_pk_mov_b32 v[6:7], s[4:5], s[4:5] op_sel:[0,1]
	;;#ASMSTART
	global_store_dwordx4 v[6:7], v[2:5] off	
s_waitcnt vmcnt(0)
	;;#ASMEND
.LBB924_131:
	s_or_b64 exec, exec, s[2:3]
	v_mov_b32_e32 v4, 0
.LBB924_132:
	s_and_b64 s[2:3], s[38:39], exec
	s_cselect_b32 s3, 0, s51
	s_cselect_b32 s2, 0, s50
	s_cmp_eq_u64 s[2:3], 0
	v_pk_mov_b32 v[6:7], 0, 0
	s_barrier
	s_cbranch_scc1 .LBB924_134
; %bb.133:
	v_mov_b32_e32 v3, 0
	global_load_dwordx2 v[6:7], v3, s[2:3]
.LBB924_134:
	s_movk_i32 s38, 0x100
	v_cmp_gt_u32_e32 vcc, s38, v2
	s_cbranch_vccnz .LBB924_141
; %bb.135:
	v_cmp_eq_u32_e64 s[28:29], 0, v79
	v_cndmask_b32_e64 v33, 1, 2, s[28:29]
	v_cmp_eq_u32_e64 s[28:29], 0, v82
	v_cmp_eq_u32_e64 s[26:27], 0, v78
	v_cndmask_b32_e64 v34, 1, 2, s[28:29]
	v_cmp_eq_u32_e64 s[24:25], 0, v77
	v_cndmask_b32_e64 v32, 1, 2, s[26:27]
	v_and_b32_e32 v33, v33, v34
	v_cmp_eq_u32_e64 s[22:23], 0, v76
	v_cndmask_b32_e64 v31, 1, 2, s[24:25]
	v_and_b32_e32 v32, v33, v32
	v_cmp_eq_u32_e64 s[18:19], 0, v75
	v_cndmask_b32_e64 v30, 1, 2, s[22:23]
	v_and_b32_e32 v31, v32, v31
	v_cmp_eq_u32_e64 s[16:17], 0, v74
	v_cndmask_b32_e64 v29, 1, 2, s[18:19]
	v_and_b32_e32 v30, v31, v30
	v_cmp_eq_u32_e64 s[14:15], 0, v73
	v_cndmask_b32_e64 v28, 1, 2, s[16:17]
	v_and_b32_e32 v29, v30, v29
	v_cmp_eq_u32_e64 s[12:13], 0, v72
	v_cndmask_b32_e64 v27, 1, 2, s[14:15]
	v_and_b32_e32 v28, v29, v28
	v_cmp_eq_u32_e64 s[10:11], 0, v71
	v_cndmask_b32_e64 v26, 1, 2, s[12:13]
	v_and_b32_e32 v27, v28, v27
	v_cmp_eq_u32_e64 s[8:9], 0, v70
	v_cndmask_b32_e64 v25, 1, 2, s[10:11]
	v_and_b32_e32 v26, v27, v26
	v_cmp_eq_u32_e64 s[6:7], 0, v69
	v_cndmask_b32_e64 v24, 1, 2, s[8:9]
	v_and_b32_e32 v25, v26, v25
	v_cmp_eq_u32_e64 s[4:5], 0, v68
	v_cndmask_b32_e64 v23, 1, 2, s[6:7]
	v_and_b32_e32 v24, v25, v24
	v_cmp_eq_u32_e64 s[2:3], 0, v67
	v_cndmask_b32_e64 v22, 1, 2, s[4:5]
	v_and_b32_e32 v23, v24, v23
	v_cmp_eq_u32_e32 vcc, 0, v66
	v_cndmask_b32_e64 v5, 1, 2, s[2:3]
	v_and_b32_e32 v22, v23, v22
	v_cndmask_b32_e64 v3, 1, 2, vcc
	v_and_b32_e32 v5, v22, v5
	v_and_b32_e32 v3, v5, v3
	v_cmp_ne_u32_e64 s[20:21], 0, v82
	v_cmp_ne_u32_e32 vcc, 0, v67
	v_cmp_ne_u32_e64 s[2:3], 0, v68
	v_cmp_ne_u32_e64 s[4:5], 0, v69
	;; [unrolled: 1-line block ×12, first 2 shown]
	v_cmp_gt_i16_e64 s[28:29], 2, v3
	s_and_saveexec_b64 s[30:31], s[28:29]
	s_cbranch_execz .LBB924_140
; %bb.136:
	v_cmp_ne_u16_e64 s[28:29], 1, v3
	s_mov_b64 s[36:37], 0
	s_and_saveexec_b64 s[42:43], s[28:29]
	s_xor_b64 s[28:29], exec, s[42:43]
	s_cbranch_execnz .LBB924_175
; %bb.137:
	s_andn2_saveexec_b64 s[2:3], s[28:29]
	s_cbranch_execnz .LBB924_191
.LBB924_138:
	s_or_b64 exec, exec, s[2:3]
	s_and_b64 exec, exec, s[36:37]
	s_cbranch_execz .LBB924_140
.LBB924_139:
	v_sub_u32_e32 v3, v36, v4
	v_lshlrev_b32_e32 v3, 2, v3
	ds_write_b32 v3, v1
.LBB924_140:
	s_or_b64 exec, exec, s[30:31]
	s_waitcnt lgkmcnt(0)
	s_barrier
.LBB924_141:
	s_cmpk_lg_i32 s33, 0xf00
	s_cselect_b64 s[2:3], -1, 0
	s_and_b64 s[0:1], s[0:1], s[34:35]
	v_cndmask_b32_e64 v9, v82, 0, s[0:1]
	s_mul_hi_u32 s0, s33, 0x88888889
	s_lshr_b32 s0, s0, 3
	v_mad_i32_i24 v10, v0, -15, s33
	v_cmp_eq_u32_e32 vcc, s0, v0
	v_cmp_ne_u32_e64 s[0:1], 0, v10
	v_cndmask_b32_e64 v11, 1, v9, s[0:1]
	v_cmp_ne_u32_e64 s[0:1], 1, v10
	v_cndmask_b32_e64 v12, 1, v79, s[0:1]
	;; [unrolled: 2-line block ×15, first 2 shown]
	s_and_b64 vcc, vcc, s[40:41]
	v_cndmask_b32_e32 v25, v66, v10, vcc
	v_cndmask_b32_e32 v29, v9, v11, vcc
	s_waitcnt vmcnt(0)
	v_lshlrev_b64 v[10:11], 2, v[6:7]
	v_mov_b32_e32 v5, 0
	v_cndmask_b32_e32 v24, v67, v24, vcc
	v_cndmask_b32_e32 v23, v68, v23, vcc
	v_cndmask_b32_e32 v22, v69, v22, vcc
	v_cndmask_b32_e32 v21, v70, v21, vcc
	v_cndmask_b32_e32 v20, v71, v20, vcc
	v_cndmask_b32_e32 v19, v72, v19, vcc
	v_cndmask_b32_e32 v18, v73, v18, vcc
	v_cndmask_b32_e32 v17, v74, v17, vcc
	v_cndmask_b32_e32 v16, v75, v16, vcc
	v_cndmask_b32_e32 v15, v76, v15, vcc
	v_cndmask_b32_e32 v26, v77, v14, vcc
	v_cndmask_b32_e32 v27, v78, v13, vcc
	v_cndmask_b32_e32 v28, v79, v12, vcc
	v_mov_b32_e32 v9, s45
	v_add_co_u32_e32 v12, vcc, s44, v10
	v_addc_co_u32_e32 v9, vcc, v9, v11, vcc
	v_lshlrev_b64 v[10:11], 2, v[4:5]
	v_cndmask_b32_e64 v1, 0, 1, s[34:35]
	v_add_co_u32_e32 v5, vcc, v12, v10
	v_addc_co_u32_e32 v12, vcc, v9, v11, vcc
	v_lshlrev_b32_e32 v9, 2, v1
	v_add_co_u32_e32 v9, vcc, v9, v5
	v_addc_co_u32_e32 v10, vcc, 0, v12, vcc
	v_add_co_u32_e32 v13, vcc, -4, v9
	v_addc_co_u32_e32 v14, vcc, -1, v10, vcc
	v_cmp_eq_u32_e32 vcc, 0, v29
	v_cndmask_b32_e64 v10, 1, 2, vcc
	v_cmp_eq_u32_e32 vcc, 0, v28
	v_cndmask_b32_e64 v11, 1, 2, vcc
	v_cmp_eq_u32_e32 vcc, 0, v27
	v_and_b32_e32 v10, v11, v10
	v_cndmask_b32_e64 v11, 1, 2, vcc
	v_cmp_eq_u32_e32 vcc, 0, v26
	v_and_b32_e32 v10, v10, v11
	;; [unrolled: 3-line block ×10, first 2 shown]
	v_cndmask_b32_e64 v11, 1, 2, vcc
	v_cmp_eq_u32_e32 vcc, 0, v23
	s_and_b64 s[2:3], s[2:3], s[40:41]
	v_and_b32_e32 v10, v10, v11
	v_cndmask_b32_e64 v11, 1, 2, vcc
	v_cmp_eq_u32_e32 vcc, 0, v24
	v_sub_u32_e32 v3, v2, v1
	v_cndmask_b32_e64 v8, 0, 1, s[2:3]
	v_and_b32_e32 v10, v10, v11
	v_cndmask_b32_e64 v11, 1, 2, vcc
	v_cmp_eq_u32_e32 vcc, 0, v25
	v_add_u32_e32 v3, v3, v8
	v_and_b32_e32 v10, v10, v11
	v_cndmask_b32_e64 v11, 1, 2, vcc
	v_and_b32_e32 v10, v10, v11
	v_cmp_gt_u32_e32 vcc, s38, v3
	v_add_u32_e32 v9, v4, v1
	v_cmp_ne_u32_e64 s[28:29], 0, v29
	v_cmp_ne_u32_e64 s[26:27], 0, v28
	;; [unrolled: 1-line block ×15, first 2 shown]
	s_mov_b64 s[34:35], -1
	v_cmp_gt_i16_e64 s[30:31], 2, v10
	s_barrier
	s_cbranch_vccz .LBB924_148
; %bb.142:
	s_and_saveexec_b64 s[34:35], s[30:31]
	s_cbranch_execz .LBB924_147
; %bb.143:
	v_cmp_ne_u16_e32 vcc, 1, v10
	s_mov_b64 s[36:37], 0
	s_and_saveexec_b64 s[30:31], vcc
	s_xor_b64 s[30:31], exec, s[30:31]
	s_cbranch_execnz .LBB924_192
; %bb.144:
	s_andn2_saveexec_b64 s[30:31], s[30:31]
	s_cbranch_execnz .LBB924_208
.LBB924_145:
	s_or_b64 exec, exec, s[30:31]
	s_and_b64 exec, exec, s[36:37]
	s_cbranch_execz .LBB924_147
.LBB924_146:
	v_sub_u32_e32 v16, v36, v9
	v_mov_b32_e32 v17, 0
	v_lshlrev_b64 v[16:17], 2, v[16:17]
	v_add_co_u32_e32 v16, vcc, v13, v16
	v_addc_co_u32_e32 v17, vcc, v14, v17, vcc
	global_store_dword v[16:17], v37, off
.LBB924_147:
	s_or_b64 exec, exec, s[34:35]
	s_mov_b64 s[34:35], 0
.LBB924_148:
	s_and_b64 vcc, exec, s[34:35]
	s_cbranch_vccz .LBB924_170
; %bb.149:
	v_cmp_gt_i16_e32 vcc, 2, v10
	s_and_saveexec_b64 s[30:31], vcc
	s_cbranch_execz .LBB924_154
; %bb.150:
	v_cmp_ne_u16_e32 vcc, 1, v10
	s_mov_b64 s[36:37], 0
	s_and_saveexec_b64 s[34:35], vcc
	s_xor_b64 s[34:35], exec, s[34:35]
	s_cbranch_execnz .LBB924_209
; %bb.151:
	s_andn2_saveexec_b64 s[0:1], s[34:35]
	s_cbranch_execnz .LBB924_225
.LBB924_152:
	s_or_b64 exec, exec, s[0:1]
	s_and_b64 exec, exec, s[36:37]
	s_cbranch_execz .LBB924_154
.LBB924_153:
	v_sub_u32_e32 v9, v36, v9
	v_lshlrev_b32_e32 v9, 2, v9
	ds_write_b32 v9, v37
.LBB924_154:
	s_or_b64 exec, exec, s[30:31]
	v_cmp_lt_u32_e32 vcc, v0, v3
	s_waitcnt lgkmcnt(0)
	s_barrier
	s_and_saveexec_b64 s[2:3], vcc
	s_cbranch_execz .LBB924_169
; %bb.155:
	v_add_u32_e32 v10, v2, v8
	v_xad_u32 v8, v0, -1, v10
	v_sub_u32_e32 v9, v8, v1
	s_movk_i32 s0, 0x1900
	v_cmp_gt_u32_e64 s[4:5], s0, v9
	s_movk_i32 s0, 0x18ff
	v_cmp_lt_u32_e32 vcc, s0, v9
	v_mov_b32_e32 v8, v0
	s_and_saveexec_b64 s[6:7], vcc
	s_cbranch_execz .LBB924_166
; %bb.156:
	v_sub_u32_e32 v8, v0, v10
	v_add_u32_e32 v1, v8, v1
	v_or_b32_e32 v1, 0xff, v1
	v_cmp_ge_u32_e32 vcc, v1, v0
	s_mov_b64 s[0:1], -1
	v_mov_b32_e32 v8, v0
	s_and_saveexec_b64 s[8:9], vcc
	s_cbranch_execz .LBB924_165
; %bb.157:
	v_lshrrev_b32_e32 v15, 8, v9
	v_add_u32_e32 v8, -1, v15
	v_or_b32_e32 v1, 0x100, v0
	v_lshrrev_b32_e32 v9, 1, v8
	v_add_u32_e32 v17, 1, v9
	v_cmp_lt_u32_e32 vcc, 13, v8
	v_mov_b32_e32 v20, 0
	v_lshlrev_b32_e32 v16, 2, v0
	v_pk_mov_b32 v[8:9], v[0:1], v[0:1] op_sel:[0,1]
	s_and_saveexec_b64 s[10:11], vcc
	s_cbranch_execz .LBB924_161
; %bb.158:
	v_and_b32_e32 v18, -8, v17
	s_mov_b32 s14, 0
	s_mov_b64 s[12:13], 0
	v_mov_b32_e32 v11, 0
	v_mov_b32_e32 v19, v16
	v_pk_mov_b32 v[8:9], v[0:1], v[0:1] op_sel:[0,1]
.LBB924_159:                            ; =>This Inner Loop Header: Depth=1
	v_mov_b32_e32 v10, v8
	v_add_u32_e32 v18, -8, v18
	v_lshlrev_b64 v[50:51], 2, v[10:11]
	v_mov_b32_e32 v10, v9
	ds_read2st64_b32 v[22:23], v19 offset1:4
	s_add_i32 s14, s14, 16
	v_cmp_eq_u32_e32 vcc, 0, v18
	v_lshlrev_b64 v[54:55], 2, v[10:11]
	v_add_u32_e32 v10, 0x200, v8
	s_or_b64 s[12:13], vcc, s[12:13]
	v_add_co_u32_e32 v54, vcc, v13, v54
	v_add_u32_e32 v20, 0x200, v9
	v_mov_b32_e32 v21, v11
	ds_read2st64_b32 v[24:25], v19 offset0:8 offset1:12
	ds_read2st64_b32 v[28:29], v19 offset0:16 offset1:20
	v_add_co_u32_e64 v50, s[0:1], v13, v50
	v_addc_co_u32_e32 v55, vcc, v14, v55, vcc
	v_lshlrev_b64 v[56:57], 2, v[10:11]
	v_lshlrev_b64 v[52:53], 2, v[20:21]
	v_addc_co_u32_e64 v51, s[0:1], v14, v51, s[0:1]
	v_add_u32_e32 v10, 0x400, v8
	v_add_co_u32_e32 v56, vcc, v13, v56
	v_add_u32_e32 v26, 0x400, v9
	v_mov_b32_e32 v27, v11
	ds_read2st64_b32 v[32:33], v19 offset0:24 offset1:28
	v_add_co_u32_e64 v52, s[0:1], v13, v52
	v_addc_co_u32_e32 v57, vcc, v14, v57, vcc
	v_lshlrev_b64 v[58:59], 2, v[10:11]
	ds_read2st64_b32 v[36:37], v19 offset0:32 offset1:36
	ds_read2st64_b32 v[40:41], v19 offset0:40 offset1:44
	ds_read2st64_b32 v[44:45], v19 offset0:48 offset1:52
	ds_read2st64_b32 v[48:49], v19 offset0:56 offset1:60
	v_lshlrev_b64 v[26:27], 2, v[26:27]
	v_addc_co_u32_e64 v53, s[0:1], v14, v53, s[0:1]
	v_add_u32_e32 v10, 0x600, v8
	s_waitcnt lgkmcnt(7)
	global_store_dword v[50:51], v22, off
	global_store_dword v[54:55], v23, off
	s_waitcnt lgkmcnt(6)
	global_store_dword v[56:57], v24, off
	global_store_dword v[52:53], v25, off
	v_add_co_u32_e32 v22, vcc, v13, v58
	v_add_u32_e32 v30, 0x600, v9
	v_mov_b32_e32 v31, v11
	v_add_co_u32_e64 v26, s[0:1], v13, v26
	v_addc_co_u32_e32 v23, vcc, v14, v59, vcc
	v_lshlrev_b64 v[24:25], 2, v[10:11]
	v_lshlrev_b64 v[30:31], 2, v[30:31]
	v_addc_co_u32_e64 v27, s[0:1], v14, v27, s[0:1]
	v_add_u32_e32 v10, 0x800, v8
	s_waitcnt lgkmcnt(5)
	global_store_dword v[22:23], v28, off
	global_store_dword v[26:27], v29, off
	v_add_co_u32_e32 v22, vcc, v13, v24
	v_add_u32_e32 v34, 0x800, v9
	v_mov_b32_e32 v35, v11
	v_add_co_u32_e64 v30, s[0:1], v13, v30
	v_addc_co_u32_e32 v23, vcc, v14, v25, vcc
	v_lshlrev_b64 v[24:25], 2, v[10:11]
	v_lshlrev_b64 v[34:35], 2, v[34:35]
	v_addc_co_u32_e64 v31, s[0:1], v14, v31, s[0:1]
	v_add_u32_e32 v10, 0xa00, v8
	;; [unrolled: 12-line block ×4, first 2 shown]
	s_waitcnt lgkmcnt(2)
	global_store_dword v[22:23], v40, off
	global_store_dword v[38:39], v41, off
	v_add_co_u32_e32 v22, vcc, v13, v24
	v_add_u32_e32 v46, 0xe00, v9
	v_mov_b32_e32 v47, v11
	v_add_co_u32_e64 v42, s[0:1], v13, v42
	v_addc_co_u32_e32 v23, vcc, v14, v25, vcc
	v_lshlrev_b64 v[24:25], 2, v[10:11]
	v_lshlrev_b64 v[46:47], 2, v[46:47]
	v_addc_co_u32_e64 v43, s[0:1], v14, v43, s[0:1]
	s_waitcnt lgkmcnt(1)
	global_store_dword v[22:23], v44, off
	global_store_dword v[42:43], v45, off
	v_add_co_u32_e32 v22, vcc, v13, v24
	v_add_u32_e32 v19, 0x4000, v19
	v_add_u32_e32 v9, 0x1000, v9
	v_mov_b32_e32 v20, s14
	v_add_co_u32_e64 v46, s[0:1], v13, v46
	v_add_u32_e32 v8, 0x1000, v8
	v_addc_co_u32_e32 v23, vcc, v14, v25, vcc
	v_addc_co_u32_e64 v47, s[0:1], v14, v47, s[0:1]
	s_waitcnt lgkmcnt(0)
	global_store_dword v[22:23], v48, off
	global_store_dword v[46:47], v49, off
	s_andn2_b64 exec, exec, s[12:13]
	s_cbranch_execnz .LBB924_159
; %bb.160:
	s_or_b64 exec, exec, s[12:13]
.LBB924_161:
	s_or_b64 exec, exec, s[10:11]
	v_and_b32_e32 v1, 7, v17
	v_cmp_ne_u32_e32 vcc, 0, v1
	s_and_saveexec_b64 s[10:11], vcc
	s_cbranch_execz .LBB924_164
; %bb.162:
	v_lshl_or_b32 v16, v20, 10, v16
	s_mov_b64 s[12:13], 0
	v_mov_b32_e32 v11, 0
.LBB924_163:                            ; =>This Inner Loop Header: Depth=1
	ds_read2st64_b32 v[18:19], v16 offset1:4
	v_mov_b32_e32 v10, v8
	v_add_u32_e32 v1, -1, v1
	v_lshlrev_b64 v[20:21], 2, v[10:11]
	v_mov_b32_e32 v10, v9
	v_cmp_eq_u32_e32 vcc, 0, v1
	v_add_co_u32_e64 v20, s[0:1], v13, v20
	v_lshlrev_b64 v[22:23], 2, v[10:11]
	v_add_u32_e32 v8, 0x200, v8
	v_add_u32_e32 v16, 0x800, v16
	v_add_u32_e32 v9, 0x200, v9
	v_addc_co_u32_e64 v21, s[0:1], v14, v21, s[0:1]
	s_or_b64 s[12:13], vcc, s[12:13]
	v_add_co_u32_e32 v22, vcc, v13, v22
	v_addc_co_u32_e32 v23, vcc, v14, v23, vcc
	s_waitcnt lgkmcnt(0)
	global_store_dword v[20:21], v18, off
	global_store_dword v[22:23], v19, off
	s_andn2_b64 exec, exec, s[12:13]
	s_cbranch_execnz .LBB924_163
.LBB924_164:
	s_or_b64 exec, exec, s[10:11]
	v_add_u32_e32 v1, 1, v15
	v_and_b32_e32 v9, 0x1fffffe, v1
	v_cmp_ne_u32_e32 vcc, v1, v9
	v_lshl_or_b32 v8, v9, 8, v0
	s_orn2_b64 s[0:1], vcc, exec
.LBB924_165:
	s_or_b64 exec, exec, s[8:9]
	s_andn2_b64 s[4:5], s[4:5], exec
	s_and_b64 s[0:1], s[0:1], exec
	s_or_b64 s[4:5], s[4:5], s[0:1]
.LBB924_166:
	s_or_b64 exec, exec, s[6:7]
	s_and_b64 exec, exec, s[4:5]
	s_cbranch_execz .LBB924_169
; %bb.167:
	v_lshlrev_b32_e32 v1, 2, v8
	s_mov_b64 s[0:1], 0
	v_mov_b32_e32 v9, 0
.LBB924_168:                            ; =>This Inner Loop Header: Depth=1
	v_lshlrev_b64 v[10:11], 2, v[8:9]
	ds_read_b32 v15, v1
	v_add_co_u32_e32 v10, vcc, v13, v10
	v_add_u32_e32 v8, 0x100, v8
	v_addc_co_u32_e32 v11, vcc, v14, v11, vcc
	v_cmp_ge_u32_e32 vcc, v8, v3
	v_add_u32_e32 v1, 0x400, v1
	s_or_b64 s[0:1], vcc, s[0:1]
	s_waitcnt lgkmcnt(0)
	global_store_dword v[10:11], v15, off
	s_andn2_b64 exec, exec, s[0:1]
	s_cbranch_execnz .LBB924_168
.LBB924_169:
	s_or_b64 exec, exec, s[2:3]
.LBB924_170:
	s_movk_i32 s0, 0xff
	v_cmp_eq_u32_e32 vcc, s0, v0
	s_and_b64 s[0:1], vcc, s[40:41]
	s_and_saveexec_b64 s[2:3], s[0:1]
	s_cbranch_execz .LBB924_173
; %bb.171:
	v_add_co_u32_e32 v0, vcc, v2, v4
	v_addc_co_u32_e64 v1, s[0:1], 0, 0, vcc
	v_add_co_u32_e32 v0, vcc, v0, v6
	v_mov_b32_e32 v3, 0
	v_addc_co_u32_e32 v1, vcc, v1, v7, vcc
	s_cmpk_lg_i32 s33, 0xf00
	global_store_dwordx2 v3, v[0:1], s[46:47]
	s_cbranch_scc1 .LBB924_173
; %bb.172:
	v_lshlrev_b64 v[0:1], 2, v[2:3]
	v_add_co_u32_e32 v0, vcc, v5, v0
	v_addc_co_u32_e32 v1, vcc, v12, v1, vcc
	global_store_dword v[0:1], v81, off offset:-4
.LBB924_173:
	s_endpgm
.LBB924_174:
	s_or_b64 exec, exec, s[8:9]
	v_mov_b32_e32 v82, s12
	s_and_saveexec_b64 s[2:3], s[6:7]
	s_cbranch_execnz .LBB924_88
	s_branch .LBB924_89
.LBB924_175:
	s_and_saveexec_b64 s[36:37], s[20:21]
	s_cbranch_execnz .LBB924_226
; %bb.176:
	s_or_b64 exec, exec, s[36:37]
	s_and_saveexec_b64 s[20:21], s[26:27]
	s_cbranch_execnz .LBB924_227
.LBB924_177:
	s_or_b64 exec, exec, s[20:21]
	s_and_saveexec_b64 s[20:21], s[24:25]
	s_cbranch_execnz .LBB924_228
.LBB924_178:
	s_or_b64 exec, exec, s[20:21]
	s_and_saveexec_b64 s[20:21], s[22:23]
	s_cbranch_execnz .LBB924_229
.LBB924_179:
	s_or_b64 exec, exec, s[20:21]
	s_and_saveexec_b64 s[20:21], s[18:19]
	s_cbranch_execnz .LBB924_230
.LBB924_180:
	s_or_b64 exec, exec, s[20:21]
	s_and_saveexec_b64 s[18:19], s[16:17]
	s_cbranch_execnz .LBB924_231
.LBB924_181:
	s_or_b64 exec, exec, s[18:19]
	s_and_saveexec_b64 s[16:17], s[14:15]
	s_cbranch_execnz .LBB924_232
.LBB924_182:
	s_or_b64 exec, exec, s[16:17]
	s_and_saveexec_b64 s[14:15], s[12:13]
	s_cbranch_execnz .LBB924_233
.LBB924_183:
	s_or_b64 exec, exec, s[14:15]
	s_and_saveexec_b64 s[12:13], s[10:11]
	s_cbranch_execnz .LBB924_234
.LBB924_184:
	s_or_b64 exec, exec, s[12:13]
	s_and_saveexec_b64 s[10:11], s[8:9]
	s_cbranch_execnz .LBB924_235
.LBB924_185:
	s_or_b64 exec, exec, s[10:11]
	s_and_saveexec_b64 s[8:9], s[6:7]
	s_cbranch_execnz .LBB924_236
.LBB924_186:
	s_or_b64 exec, exec, s[8:9]
	s_and_saveexec_b64 s[6:7], s[4:5]
	s_cbranch_execnz .LBB924_237
.LBB924_187:
	s_or_b64 exec, exec, s[6:7]
	s_and_saveexec_b64 s[4:5], s[2:3]
	s_cbranch_execnz .LBB924_238
.LBB924_188:
	s_or_b64 exec, exec, s[4:5]
	v_cmp_ne_u32_e64 s[2:3], 0, v66
	s_and_saveexec_b64 s[4:5], vcc
	s_cbranch_execz .LBB924_190
.LBB924_189:
	v_sub_u32_e32 v3, v38, v4
	v_lshlrev_b32_e32 v3, 2, v3
	ds_write_b32 v3, v9
.LBB924_190:
	s_or_b64 exec, exec, s[4:5]
	s_and_b64 s[36:37], s[2:3], exec
                                        ; implicit-def: $vgpr8
                                        ; implicit-def: $vgpr10
                                        ; implicit-def: $vgpr12
                                        ; implicit-def: $vgpr14
                                        ; implicit-def: $vgpr16
                                        ; implicit-def: $vgpr18
                                        ; implicit-def: $vgpr20
	s_andn2_saveexec_b64 s[2:3], s[28:29]
	s_cbranch_execz .LBB924_138
.LBB924_191:
	v_sub_u32_e32 v3, v64, v4
	v_lshlrev_b32_e32 v3, 2, v3
	ds_write_b32 v3, v20
	v_sub_u32_e32 v3, v62, v4
	v_lshlrev_b32_e32 v3, 2, v3
	ds_write_b32 v3, v21
	;; [unrolled: 3-line block ×13, first 2 shown]
	v_sub_u32_e32 v3, v38, v4
	v_lshlrev_b32_e32 v3, 2, v3
	s_or_b64 s[36:37], s[36:37], exec
	ds_write_b32 v3, v9
	s_or_b64 exec, exec, s[2:3]
	s_and_b64 exec, exec, s[36:37]
	s_cbranch_execnz .LBB924_139
	s_branch .LBB924_140
.LBB924_192:
	s_and_saveexec_b64 s[36:37], s[28:29]
	s_cbranch_execnz .LBB924_239
; %bb.193:
	s_or_b64 exec, exec, s[36:37]
	s_and_saveexec_b64 s[36:37], s[26:27]
	s_cbranch_execnz .LBB924_240
.LBB924_194:
	s_or_b64 exec, exec, s[36:37]
	s_and_saveexec_b64 s[36:37], s[24:25]
	s_cbranch_execnz .LBB924_241
.LBB924_195:
	s_or_b64 exec, exec, s[36:37]
	s_and_saveexec_b64 s[36:37], s[22:23]
	s_cbranch_execnz .LBB924_242
.LBB924_196:
	s_or_b64 exec, exec, s[36:37]
	s_and_saveexec_b64 s[36:37], s[20:21]
	s_cbranch_execnz .LBB924_243
.LBB924_197:
	s_or_b64 exec, exec, s[36:37]
	s_and_saveexec_b64 s[36:37], s[18:19]
	s_cbranch_execnz .LBB924_244
.LBB924_198:
	s_or_b64 exec, exec, s[36:37]
	s_and_saveexec_b64 s[36:37], s[16:17]
	s_cbranch_execnz .LBB924_245
.LBB924_199:
	s_or_b64 exec, exec, s[36:37]
	s_and_saveexec_b64 s[36:37], s[14:15]
	s_cbranch_execnz .LBB924_246
.LBB924_200:
	s_or_b64 exec, exec, s[36:37]
	s_and_saveexec_b64 s[36:37], s[12:13]
	s_cbranch_execnz .LBB924_247
.LBB924_201:
	s_or_b64 exec, exec, s[36:37]
	s_and_saveexec_b64 s[36:37], s[10:11]
	s_cbranch_execnz .LBB924_248
.LBB924_202:
	s_or_b64 exec, exec, s[36:37]
	s_and_saveexec_b64 s[36:37], s[8:9]
	s_cbranch_execnz .LBB924_249
.LBB924_203:
	s_or_b64 exec, exec, s[36:37]
	s_and_saveexec_b64 s[36:37], s[6:7]
	s_cbranch_execnz .LBB924_250
.LBB924_204:
	s_or_b64 exec, exec, s[36:37]
	s_and_saveexec_b64 s[36:37], s[4:5]
	s_cbranch_execnz .LBB924_251
.LBB924_205:
	s_or_b64 exec, exec, s[36:37]
	s_and_saveexec_b64 s[36:37], s[2:3]
	s_cbranch_execz .LBB924_207
.LBB924_206:
	v_sub_u32_e32 v16, v38, v9
	v_mov_b32_e32 v17, 0
	v_lshlrev_b64 v[16:17], 2, v[16:17]
	v_add_co_u32_e32 v16, vcc, v13, v16
	v_addc_co_u32_e32 v17, vcc, v14, v17, vcc
	global_store_dword v[16:17], v39, off
.LBB924_207:
	s_or_b64 exec, exec, s[36:37]
	s_and_b64 s[36:37], s[0:1], exec
	s_andn2_saveexec_b64 s[30:31], s[30:31]
	s_cbranch_execz .LBB924_145
.LBB924_208:
	v_sub_u32_e32 v16, v64, v9
	v_mov_b32_e32 v17, 0
	v_lshlrev_b64 v[18:19], 2, v[16:17]
	v_add_co_u32_e32 v18, vcc, v13, v18
	v_addc_co_u32_e32 v19, vcc, v14, v19, vcc
	v_sub_u32_e32 v16, v62, v9
	global_store_dword v[18:19], v65, off
	v_lshlrev_b64 v[18:19], 2, v[16:17]
	v_add_co_u32_e32 v18, vcc, v13, v18
	v_addc_co_u32_e32 v19, vcc, v14, v19, vcc
	v_sub_u32_e32 v16, v60, v9
	global_store_dword v[18:19], v63, off
	;; [unrolled: 5-line block ×12, first 2 shown]
	v_lshlrev_b64 v[18:19], 2, v[16:17]
	v_add_co_u32_e32 v18, vcc, v13, v18
	v_sub_u32_e32 v16, v38, v9
	v_addc_co_u32_e32 v19, vcc, v14, v19, vcc
	v_lshlrev_b64 v[16:17], 2, v[16:17]
	v_add_co_u32_e32 v16, vcc, v13, v16
	v_addc_co_u32_e32 v17, vcc, v14, v17, vcc
	s_or_b64 s[36:37], s[36:37], exec
	global_store_dword v[18:19], v41, off
	global_store_dword v[16:17], v39, off
	s_or_b64 exec, exec, s[30:31]
	s_and_b64 exec, exec, s[36:37]
	s_cbranch_execnz .LBB924_146
	s_branch .LBB924_147
.LBB924_209:
	s_and_saveexec_b64 s[36:37], s[28:29]
	s_cbranch_execnz .LBB924_252
; %bb.210:
	s_or_b64 exec, exec, s[36:37]
	s_and_saveexec_b64 s[28:29], s[26:27]
	s_cbranch_execnz .LBB924_253
.LBB924_211:
	s_or_b64 exec, exec, s[28:29]
	s_and_saveexec_b64 s[26:27], s[24:25]
	s_cbranch_execnz .LBB924_254
.LBB924_212:
	s_or_b64 exec, exec, s[26:27]
	s_and_saveexec_b64 s[24:25], s[22:23]
	s_cbranch_execnz .LBB924_255
.LBB924_213:
	s_or_b64 exec, exec, s[24:25]
	s_and_saveexec_b64 s[22:23], s[20:21]
	s_cbranch_execnz .LBB924_256
.LBB924_214:
	s_or_b64 exec, exec, s[22:23]
	s_and_saveexec_b64 s[20:21], s[18:19]
	s_cbranch_execnz .LBB924_257
.LBB924_215:
	s_or_b64 exec, exec, s[20:21]
	s_and_saveexec_b64 s[18:19], s[16:17]
	s_cbranch_execnz .LBB924_258
.LBB924_216:
	s_or_b64 exec, exec, s[18:19]
	s_and_saveexec_b64 s[16:17], s[14:15]
	s_cbranch_execnz .LBB924_259
.LBB924_217:
	s_or_b64 exec, exec, s[16:17]
	s_and_saveexec_b64 s[14:15], s[12:13]
	s_cbranch_execnz .LBB924_260
.LBB924_218:
	s_or_b64 exec, exec, s[14:15]
	s_and_saveexec_b64 s[12:13], s[10:11]
	s_cbranch_execnz .LBB924_261
.LBB924_219:
	s_or_b64 exec, exec, s[12:13]
	s_and_saveexec_b64 s[10:11], s[8:9]
	s_cbranch_execnz .LBB924_262
.LBB924_220:
	s_or_b64 exec, exec, s[10:11]
	s_and_saveexec_b64 s[8:9], s[6:7]
	s_cbranch_execnz .LBB924_263
.LBB924_221:
	s_or_b64 exec, exec, s[8:9]
	s_and_saveexec_b64 s[6:7], s[4:5]
	s_cbranch_execnz .LBB924_264
.LBB924_222:
	s_or_b64 exec, exec, s[6:7]
	s_and_saveexec_b64 s[4:5], s[2:3]
	s_cbranch_execz .LBB924_224
.LBB924_223:
	v_sub_u32_e32 v10, v38, v9
	v_lshlrev_b32_e32 v10, 2, v10
	ds_write_b32 v10, v39
.LBB924_224:
	s_or_b64 exec, exec, s[4:5]
	s_and_b64 s[36:37], s[0:1], exec
                                        ; implicit-def: $vgpr64_vgpr65
                                        ; implicit-def: $vgpr62_vgpr63
                                        ; implicit-def: $vgpr60_vgpr61
                                        ; implicit-def: $vgpr58_vgpr59
                                        ; implicit-def: $vgpr56_vgpr57
                                        ; implicit-def: $vgpr54_vgpr55
                                        ; implicit-def: $vgpr52_vgpr53
                                        ; implicit-def: $vgpr50_vgpr51
                                        ; implicit-def: $vgpr48_vgpr49
                                        ; implicit-def: $vgpr46_vgpr47
                                        ; implicit-def: $vgpr44_vgpr45
                                        ; implicit-def: $vgpr42_vgpr43
                                        ; implicit-def: $vgpr40_vgpr41
                                        ; implicit-def: $vgpr38_vgpr39
	s_andn2_saveexec_b64 s[0:1], s[34:35]
	s_cbranch_execz .LBB924_152
.LBB924_225:
	v_sub_u32_e32 v10, v64, v9
	v_lshlrev_b32_e32 v10, 2, v10
	ds_write_b32 v10, v65
	v_sub_u32_e32 v10, v62, v9
	v_lshlrev_b32_e32 v10, 2, v10
	ds_write_b32 v10, v63
	;; [unrolled: 3-line block ×13, first 2 shown]
	v_sub_u32_e32 v10, v38, v9
	v_lshlrev_b32_e32 v10, 2, v10
	s_or_b64 s[36:37], s[36:37], exec
	ds_write_b32 v10, v39
	s_or_b64 exec, exec, s[0:1]
	s_and_b64 exec, exec, s[36:37]
	s_cbranch_execnz .LBB924_153
	s_branch .LBB924_154
.LBB924_226:
	v_sub_u32_e32 v3, v64, v4
	v_lshlrev_b32_e32 v3, 2, v3
	ds_write_b32 v3, v20
	s_or_b64 exec, exec, s[36:37]
	s_and_saveexec_b64 s[20:21], s[26:27]
	s_cbranch_execz .LBB924_177
.LBB924_227:
	v_sub_u32_e32 v3, v62, v4
	v_lshlrev_b32_e32 v3, 2, v3
	ds_write_b32 v3, v21
	s_or_b64 exec, exec, s[20:21]
	s_and_saveexec_b64 s[20:21], s[24:25]
	s_cbranch_execz .LBB924_178
.LBB924_228:
	v_sub_u32_e32 v3, v60, v4
	v_lshlrev_b32_e32 v3, 2, v3
	ds_write_b32 v3, v18
	s_or_b64 exec, exec, s[20:21]
	s_and_saveexec_b64 s[20:21], s[22:23]
	s_cbranch_execz .LBB924_179
.LBB924_229:
	v_sub_u32_e32 v3, v58, v4
	v_lshlrev_b32_e32 v3, 2, v3
	ds_write_b32 v3, v19
	s_or_b64 exec, exec, s[20:21]
	s_and_saveexec_b64 s[20:21], s[18:19]
	s_cbranch_execz .LBB924_180
.LBB924_230:
	v_sub_u32_e32 v3, v56, v4
	v_lshlrev_b32_e32 v3, 2, v3
	ds_write_b32 v3, v16
	s_or_b64 exec, exec, s[20:21]
	s_and_saveexec_b64 s[18:19], s[16:17]
	s_cbranch_execz .LBB924_181
.LBB924_231:
	v_sub_u32_e32 v3, v54, v4
	v_lshlrev_b32_e32 v3, 2, v3
	ds_write_b32 v3, v17
	s_or_b64 exec, exec, s[18:19]
	s_and_saveexec_b64 s[16:17], s[14:15]
	s_cbranch_execz .LBB924_182
.LBB924_232:
	v_sub_u32_e32 v3, v52, v4
	v_lshlrev_b32_e32 v3, 2, v3
	ds_write_b32 v3, v14
	s_or_b64 exec, exec, s[16:17]
	s_and_saveexec_b64 s[14:15], s[12:13]
	s_cbranch_execz .LBB924_183
.LBB924_233:
	v_sub_u32_e32 v3, v50, v4
	v_lshlrev_b32_e32 v3, 2, v3
	ds_write_b32 v3, v15
	s_or_b64 exec, exec, s[14:15]
	s_and_saveexec_b64 s[12:13], s[10:11]
	s_cbranch_execz .LBB924_184
.LBB924_234:
	v_sub_u32_e32 v3, v48, v4
	v_lshlrev_b32_e32 v3, 2, v3
	ds_write_b32 v3, v12
	s_or_b64 exec, exec, s[12:13]
	s_and_saveexec_b64 s[10:11], s[8:9]
	s_cbranch_execz .LBB924_185
.LBB924_235:
	v_sub_u32_e32 v3, v46, v4
	v_lshlrev_b32_e32 v3, 2, v3
	ds_write_b32 v3, v13
	s_or_b64 exec, exec, s[10:11]
	s_and_saveexec_b64 s[8:9], s[6:7]
	s_cbranch_execz .LBB924_186
.LBB924_236:
	v_sub_u32_e32 v3, v44, v4
	v_lshlrev_b32_e32 v3, 2, v3
	ds_write_b32 v3, v10
	s_or_b64 exec, exec, s[8:9]
	s_and_saveexec_b64 s[6:7], s[4:5]
	s_cbranch_execz .LBB924_187
.LBB924_237:
	v_sub_u32_e32 v3, v42, v4
	v_lshlrev_b32_e32 v3, 2, v3
	ds_write_b32 v3, v11
	s_or_b64 exec, exec, s[6:7]
	s_and_saveexec_b64 s[4:5], s[2:3]
	s_cbranch_execz .LBB924_188
.LBB924_238:
	v_sub_u32_e32 v3, v40, v4
	v_lshlrev_b32_e32 v3, 2, v3
	ds_write_b32 v3, v8
	s_or_b64 exec, exec, s[4:5]
	v_cmp_ne_u32_e64 s[2:3], 0, v66
	s_and_saveexec_b64 s[4:5], vcc
	s_cbranch_execnz .LBB924_189
	s_branch .LBB924_190
.LBB924_239:
	v_sub_u32_e32 v16, v64, v9
	v_mov_b32_e32 v17, 0
	v_lshlrev_b64 v[16:17], 2, v[16:17]
	v_add_co_u32_e32 v16, vcc, v13, v16
	v_addc_co_u32_e32 v17, vcc, v14, v17, vcc
	global_store_dword v[16:17], v65, off
	s_or_b64 exec, exec, s[36:37]
	s_and_saveexec_b64 s[36:37], s[26:27]
	s_cbranch_execz .LBB924_194
.LBB924_240:
	v_sub_u32_e32 v16, v62, v9
	v_mov_b32_e32 v17, 0
	v_lshlrev_b64 v[16:17], 2, v[16:17]
	v_add_co_u32_e32 v16, vcc, v13, v16
	v_addc_co_u32_e32 v17, vcc, v14, v17, vcc
	global_store_dword v[16:17], v63, off
	s_or_b64 exec, exec, s[36:37]
	s_and_saveexec_b64 s[36:37], s[24:25]
	s_cbranch_execz .LBB924_195
.LBB924_241:
	v_sub_u32_e32 v16, v60, v9
	v_mov_b32_e32 v17, 0
	v_lshlrev_b64 v[16:17], 2, v[16:17]
	v_add_co_u32_e32 v16, vcc, v13, v16
	v_addc_co_u32_e32 v17, vcc, v14, v17, vcc
	global_store_dword v[16:17], v61, off
	s_or_b64 exec, exec, s[36:37]
	s_and_saveexec_b64 s[36:37], s[22:23]
	s_cbranch_execz .LBB924_196
.LBB924_242:
	v_sub_u32_e32 v16, v58, v9
	v_mov_b32_e32 v17, 0
	v_lshlrev_b64 v[16:17], 2, v[16:17]
	v_add_co_u32_e32 v16, vcc, v13, v16
	v_addc_co_u32_e32 v17, vcc, v14, v17, vcc
	global_store_dword v[16:17], v59, off
	s_or_b64 exec, exec, s[36:37]
	s_and_saveexec_b64 s[36:37], s[20:21]
	s_cbranch_execz .LBB924_197
.LBB924_243:
	v_sub_u32_e32 v16, v56, v9
	v_mov_b32_e32 v17, 0
	v_lshlrev_b64 v[16:17], 2, v[16:17]
	v_add_co_u32_e32 v16, vcc, v13, v16
	v_addc_co_u32_e32 v17, vcc, v14, v17, vcc
	global_store_dword v[16:17], v57, off
	s_or_b64 exec, exec, s[36:37]
	s_and_saveexec_b64 s[36:37], s[18:19]
	s_cbranch_execz .LBB924_198
.LBB924_244:
	v_sub_u32_e32 v16, v54, v9
	v_mov_b32_e32 v17, 0
	v_lshlrev_b64 v[16:17], 2, v[16:17]
	v_add_co_u32_e32 v16, vcc, v13, v16
	v_addc_co_u32_e32 v17, vcc, v14, v17, vcc
	global_store_dword v[16:17], v55, off
	s_or_b64 exec, exec, s[36:37]
	s_and_saveexec_b64 s[36:37], s[16:17]
	s_cbranch_execz .LBB924_199
.LBB924_245:
	v_sub_u32_e32 v16, v52, v9
	v_mov_b32_e32 v17, 0
	v_lshlrev_b64 v[16:17], 2, v[16:17]
	v_add_co_u32_e32 v16, vcc, v13, v16
	v_addc_co_u32_e32 v17, vcc, v14, v17, vcc
	global_store_dword v[16:17], v53, off
	s_or_b64 exec, exec, s[36:37]
	s_and_saveexec_b64 s[36:37], s[14:15]
	s_cbranch_execz .LBB924_200
.LBB924_246:
	v_sub_u32_e32 v16, v50, v9
	v_mov_b32_e32 v17, 0
	v_lshlrev_b64 v[16:17], 2, v[16:17]
	v_add_co_u32_e32 v16, vcc, v13, v16
	v_addc_co_u32_e32 v17, vcc, v14, v17, vcc
	global_store_dword v[16:17], v51, off
	s_or_b64 exec, exec, s[36:37]
	s_and_saveexec_b64 s[36:37], s[12:13]
	s_cbranch_execz .LBB924_201
.LBB924_247:
	v_sub_u32_e32 v16, v48, v9
	v_mov_b32_e32 v17, 0
	v_lshlrev_b64 v[16:17], 2, v[16:17]
	v_add_co_u32_e32 v16, vcc, v13, v16
	v_addc_co_u32_e32 v17, vcc, v14, v17, vcc
	global_store_dword v[16:17], v49, off
	s_or_b64 exec, exec, s[36:37]
	s_and_saveexec_b64 s[36:37], s[10:11]
	s_cbranch_execz .LBB924_202
.LBB924_248:
	v_sub_u32_e32 v16, v46, v9
	v_mov_b32_e32 v17, 0
	v_lshlrev_b64 v[16:17], 2, v[16:17]
	v_add_co_u32_e32 v16, vcc, v13, v16
	v_addc_co_u32_e32 v17, vcc, v14, v17, vcc
	global_store_dword v[16:17], v47, off
	s_or_b64 exec, exec, s[36:37]
	s_and_saveexec_b64 s[36:37], s[8:9]
	s_cbranch_execz .LBB924_203
.LBB924_249:
	v_sub_u32_e32 v16, v44, v9
	v_mov_b32_e32 v17, 0
	v_lshlrev_b64 v[16:17], 2, v[16:17]
	v_add_co_u32_e32 v16, vcc, v13, v16
	v_addc_co_u32_e32 v17, vcc, v14, v17, vcc
	global_store_dword v[16:17], v45, off
	s_or_b64 exec, exec, s[36:37]
	s_and_saveexec_b64 s[36:37], s[6:7]
	s_cbranch_execz .LBB924_204
.LBB924_250:
	v_sub_u32_e32 v16, v42, v9
	v_mov_b32_e32 v17, 0
	v_lshlrev_b64 v[16:17], 2, v[16:17]
	v_add_co_u32_e32 v16, vcc, v13, v16
	v_addc_co_u32_e32 v17, vcc, v14, v17, vcc
	global_store_dword v[16:17], v43, off
	s_or_b64 exec, exec, s[36:37]
	s_and_saveexec_b64 s[36:37], s[4:5]
	s_cbranch_execz .LBB924_205
.LBB924_251:
	v_sub_u32_e32 v16, v40, v9
	v_mov_b32_e32 v17, 0
	v_lshlrev_b64 v[16:17], 2, v[16:17]
	v_add_co_u32_e32 v16, vcc, v13, v16
	v_addc_co_u32_e32 v17, vcc, v14, v17, vcc
	global_store_dword v[16:17], v41, off
	s_or_b64 exec, exec, s[36:37]
	s_and_saveexec_b64 s[36:37], s[2:3]
	s_cbranch_execnz .LBB924_206
	s_branch .LBB924_207
.LBB924_252:
	v_sub_u32_e32 v10, v64, v9
	v_lshlrev_b32_e32 v10, 2, v10
	ds_write_b32 v10, v65
	s_or_b64 exec, exec, s[36:37]
	s_and_saveexec_b64 s[28:29], s[26:27]
	s_cbranch_execz .LBB924_211
.LBB924_253:
	v_sub_u32_e32 v10, v62, v9
	v_lshlrev_b32_e32 v10, 2, v10
	ds_write_b32 v10, v63
	s_or_b64 exec, exec, s[28:29]
	s_and_saveexec_b64 s[26:27], s[24:25]
	s_cbranch_execz .LBB924_212
.LBB924_254:
	v_sub_u32_e32 v10, v60, v9
	v_lshlrev_b32_e32 v10, 2, v10
	ds_write_b32 v10, v61
	s_or_b64 exec, exec, s[26:27]
	s_and_saveexec_b64 s[24:25], s[22:23]
	s_cbranch_execz .LBB924_213
.LBB924_255:
	v_sub_u32_e32 v10, v58, v9
	v_lshlrev_b32_e32 v10, 2, v10
	ds_write_b32 v10, v59
	s_or_b64 exec, exec, s[24:25]
	s_and_saveexec_b64 s[22:23], s[20:21]
	s_cbranch_execz .LBB924_214
.LBB924_256:
	v_sub_u32_e32 v10, v56, v9
	v_lshlrev_b32_e32 v10, 2, v10
	ds_write_b32 v10, v57
	s_or_b64 exec, exec, s[22:23]
	s_and_saveexec_b64 s[20:21], s[18:19]
	s_cbranch_execz .LBB924_215
.LBB924_257:
	v_sub_u32_e32 v10, v54, v9
	v_lshlrev_b32_e32 v10, 2, v10
	ds_write_b32 v10, v55
	s_or_b64 exec, exec, s[20:21]
	s_and_saveexec_b64 s[18:19], s[16:17]
	s_cbranch_execz .LBB924_216
.LBB924_258:
	v_sub_u32_e32 v10, v52, v9
	v_lshlrev_b32_e32 v10, 2, v10
	ds_write_b32 v10, v53
	s_or_b64 exec, exec, s[18:19]
	s_and_saveexec_b64 s[16:17], s[14:15]
	s_cbranch_execz .LBB924_217
.LBB924_259:
	v_sub_u32_e32 v10, v50, v9
	v_lshlrev_b32_e32 v10, 2, v10
	ds_write_b32 v10, v51
	s_or_b64 exec, exec, s[16:17]
	s_and_saveexec_b64 s[14:15], s[12:13]
	s_cbranch_execz .LBB924_218
.LBB924_260:
	v_sub_u32_e32 v10, v48, v9
	v_lshlrev_b32_e32 v10, 2, v10
	ds_write_b32 v10, v49
	s_or_b64 exec, exec, s[14:15]
	s_and_saveexec_b64 s[12:13], s[10:11]
	s_cbranch_execz .LBB924_219
.LBB924_261:
	v_sub_u32_e32 v10, v46, v9
	v_lshlrev_b32_e32 v10, 2, v10
	ds_write_b32 v10, v47
	s_or_b64 exec, exec, s[12:13]
	s_and_saveexec_b64 s[10:11], s[8:9]
	s_cbranch_execz .LBB924_220
.LBB924_262:
	v_sub_u32_e32 v10, v44, v9
	v_lshlrev_b32_e32 v10, 2, v10
	ds_write_b32 v10, v45
	s_or_b64 exec, exec, s[10:11]
	s_and_saveexec_b64 s[8:9], s[6:7]
	s_cbranch_execz .LBB924_221
.LBB924_263:
	v_sub_u32_e32 v10, v42, v9
	v_lshlrev_b32_e32 v10, 2, v10
	ds_write_b32 v10, v43
	s_or_b64 exec, exec, s[8:9]
	s_and_saveexec_b64 s[6:7], s[4:5]
	s_cbranch_execz .LBB924_222
.LBB924_264:
	v_sub_u32_e32 v10, v40, v9
	v_lshlrev_b32_e32 v10, 2, v10
	ds_write_b32 v10, v41
	s_or_b64 exec, exec, s[6:7]
	s_and_saveexec_b64 s[4:5], s[2:3]
	s_cbranch_execnz .LBB924_223
	s_branch .LBB924_224
	.section	.rodata,"a",@progbits
	.p2align	6, 0x0
	.amdhsa_kernel _ZN7rocprim17ROCPRIM_400000_NS6detail17trampoline_kernelINS0_14default_configENS1_29reduce_by_key_config_selectorIjjN6thrust23THRUST_200600_302600_NS4plusIjEEEEZZNS1_33reduce_by_key_impl_wrapped_configILNS1_25lookback_scan_determinismE0ES3_S9_NS6_6detail15normal_iteratorINS6_10device_ptrIjEEEESG_NS6_16discard_iteratorINS6_11use_defaultEEESG_PmS8_NS6_8equal_toIjEEEE10hipError_tPvRmT2_T3_mT4_T5_T6_T7_T8_P12ihipStream_tbENKUlT_T0_E_clISt17integral_constantIbLb1EES14_EEDaSZ_S10_EUlSZ_E_NS1_11comp_targetILNS1_3genE4ELNS1_11target_archE910ELNS1_3gpuE8ELNS1_3repE0EEENS1_30default_config_static_selectorELNS0_4arch9wavefront6targetE1EEEvT1_
		.amdhsa_group_segment_fixed_size 15360
		.amdhsa_private_segment_fixed_size 0
		.amdhsa_kernarg_size 128
		.amdhsa_user_sgpr_count 6
		.amdhsa_user_sgpr_private_segment_buffer 1
		.amdhsa_user_sgpr_dispatch_ptr 0
		.amdhsa_user_sgpr_queue_ptr 0
		.amdhsa_user_sgpr_kernarg_segment_ptr 1
		.amdhsa_user_sgpr_dispatch_id 0
		.amdhsa_user_sgpr_flat_scratch_init 0
		.amdhsa_user_sgpr_kernarg_preload_length 0
		.amdhsa_user_sgpr_kernarg_preload_offset 0
		.amdhsa_user_sgpr_private_segment_size 0
		.amdhsa_uses_dynamic_stack 0
		.amdhsa_system_sgpr_private_segment_wavefront_offset 0
		.amdhsa_system_sgpr_workgroup_id_x 1
		.amdhsa_system_sgpr_workgroup_id_y 0
		.amdhsa_system_sgpr_workgroup_id_z 0
		.amdhsa_system_sgpr_workgroup_info 0
		.amdhsa_system_vgpr_workitem_id 0
		.amdhsa_next_free_vgpr 87
		.amdhsa_next_free_sgpr 64
		.amdhsa_accum_offset 88
		.amdhsa_reserve_vcc 1
		.amdhsa_reserve_flat_scratch 0
		.amdhsa_float_round_mode_32 0
		.amdhsa_float_round_mode_16_64 0
		.amdhsa_float_denorm_mode_32 3
		.amdhsa_float_denorm_mode_16_64 3
		.amdhsa_dx10_clamp 1
		.amdhsa_ieee_mode 1
		.amdhsa_fp16_overflow 0
		.amdhsa_tg_split 0
		.amdhsa_exception_fp_ieee_invalid_op 0
		.amdhsa_exception_fp_denorm_src 0
		.amdhsa_exception_fp_ieee_div_zero 0
		.amdhsa_exception_fp_ieee_overflow 0
		.amdhsa_exception_fp_ieee_underflow 0
		.amdhsa_exception_fp_ieee_inexact 0
		.amdhsa_exception_int_div_zero 0
	.end_amdhsa_kernel
	.section	.text._ZN7rocprim17ROCPRIM_400000_NS6detail17trampoline_kernelINS0_14default_configENS1_29reduce_by_key_config_selectorIjjN6thrust23THRUST_200600_302600_NS4plusIjEEEEZZNS1_33reduce_by_key_impl_wrapped_configILNS1_25lookback_scan_determinismE0ES3_S9_NS6_6detail15normal_iteratorINS6_10device_ptrIjEEEESG_NS6_16discard_iteratorINS6_11use_defaultEEESG_PmS8_NS6_8equal_toIjEEEE10hipError_tPvRmT2_T3_mT4_T5_T6_T7_T8_P12ihipStream_tbENKUlT_T0_E_clISt17integral_constantIbLb1EES14_EEDaSZ_S10_EUlSZ_E_NS1_11comp_targetILNS1_3genE4ELNS1_11target_archE910ELNS1_3gpuE8ELNS1_3repE0EEENS1_30default_config_static_selectorELNS0_4arch9wavefront6targetE1EEEvT1_,"axG",@progbits,_ZN7rocprim17ROCPRIM_400000_NS6detail17trampoline_kernelINS0_14default_configENS1_29reduce_by_key_config_selectorIjjN6thrust23THRUST_200600_302600_NS4plusIjEEEEZZNS1_33reduce_by_key_impl_wrapped_configILNS1_25lookback_scan_determinismE0ES3_S9_NS6_6detail15normal_iteratorINS6_10device_ptrIjEEEESG_NS6_16discard_iteratorINS6_11use_defaultEEESG_PmS8_NS6_8equal_toIjEEEE10hipError_tPvRmT2_T3_mT4_T5_T6_T7_T8_P12ihipStream_tbENKUlT_T0_E_clISt17integral_constantIbLb1EES14_EEDaSZ_S10_EUlSZ_E_NS1_11comp_targetILNS1_3genE4ELNS1_11target_archE910ELNS1_3gpuE8ELNS1_3repE0EEENS1_30default_config_static_selectorELNS0_4arch9wavefront6targetE1EEEvT1_,comdat
.Lfunc_end924:
	.size	_ZN7rocprim17ROCPRIM_400000_NS6detail17trampoline_kernelINS0_14default_configENS1_29reduce_by_key_config_selectorIjjN6thrust23THRUST_200600_302600_NS4plusIjEEEEZZNS1_33reduce_by_key_impl_wrapped_configILNS1_25lookback_scan_determinismE0ES3_S9_NS6_6detail15normal_iteratorINS6_10device_ptrIjEEEESG_NS6_16discard_iteratorINS6_11use_defaultEEESG_PmS8_NS6_8equal_toIjEEEE10hipError_tPvRmT2_T3_mT4_T5_T6_T7_T8_P12ihipStream_tbENKUlT_T0_E_clISt17integral_constantIbLb1EES14_EEDaSZ_S10_EUlSZ_E_NS1_11comp_targetILNS1_3genE4ELNS1_11target_archE910ELNS1_3gpuE8ELNS1_3repE0EEENS1_30default_config_static_selectorELNS0_4arch9wavefront6targetE1EEEvT1_, .Lfunc_end924-_ZN7rocprim17ROCPRIM_400000_NS6detail17trampoline_kernelINS0_14default_configENS1_29reduce_by_key_config_selectorIjjN6thrust23THRUST_200600_302600_NS4plusIjEEEEZZNS1_33reduce_by_key_impl_wrapped_configILNS1_25lookback_scan_determinismE0ES3_S9_NS6_6detail15normal_iteratorINS6_10device_ptrIjEEEESG_NS6_16discard_iteratorINS6_11use_defaultEEESG_PmS8_NS6_8equal_toIjEEEE10hipError_tPvRmT2_T3_mT4_T5_T6_T7_T8_P12ihipStream_tbENKUlT_T0_E_clISt17integral_constantIbLb1EES14_EEDaSZ_S10_EUlSZ_E_NS1_11comp_targetILNS1_3genE4ELNS1_11target_archE910ELNS1_3gpuE8ELNS1_3repE0EEENS1_30default_config_static_selectorELNS0_4arch9wavefront6targetE1EEEvT1_
                                        ; -- End function
	.section	.AMDGPU.csdata,"",@progbits
; Kernel info:
; codeLenInByte = 14784
; NumSgprs: 68
; NumVgprs: 87
; NumAgprs: 0
; TotalNumVgprs: 87
; ScratchSize: 0
; MemoryBound: 0
; FloatMode: 240
; IeeeMode: 1
; LDSByteSize: 15360 bytes/workgroup (compile time only)
; SGPRBlocks: 8
; VGPRBlocks: 10
; NumSGPRsForWavesPerEU: 68
; NumVGPRsForWavesPerEU: 87
; AccumOffset: 88
; Occupancy: 4
; WaveLimiterHint : 1
; COMPUTE_PGM_RSRC2:SCRATCH_EN: 0
; COMPUTE_PGM_RSRC2:USER_SGPR: 6
; COMPUTE_PGM_RSRC2:TRAP_HANDLER: 0
; COMPUTE_PGM_RSRC2:TGID_X_EN: 1
; COMPUTE_PGM_RSRC2:TGID_Y_EN: 0
; COMPUTE_PGM_RSRC2:TGID_Z_EN: 0
; COMPUTE_PGM_RSRC2:TIDIG_COMP_CNT: 0
; COMPUTE_PGM_RSRC3_GFX90A:ACCUM_OFFSET: 21
; COMPUTE_PGM_RSRC3_GFX90A:TG_SPLIT: 0
	.section	.text._ZN7rocprim17ROCPRIM_400000_NS6detail17trampoline_kernelINS0_14default_configENS1_29reduce_by_key_config_selectorIjjN6thrust23THRUST_200600_302600_NS4plusIjEEEEZZNS1_33reduce_by_key_impl_wrapped_configILNS1_25lookback_scan_determinismE0ES3_S9_NS6_6detail15normal_iteratorINS6_10device_ptrIjEEEESG_NS6_16discard_iteratorINS6_11use_defaultEEESG_PmS8_NS6_8equal_toIjEEEE10hipError_tPvRmT2_T3_mT4_T5_T6_T7_T8_P12ihipStream_tbENKUlT_T0_E_clISt17integral_constantIbLb1EES14_EEDaSZ_S10_EUlSZ_E_NS1_11comp_targetILNS1_3genE3ELNS1_11target_archE908ELNS1_3gpuE7ELNS1_3repE0EEENS1_30default_config_static_selectorELNS0_4arch9wavefront6targetE1EEEvT1_,"axG",@progbits,_ZN7rocprim17ROCPRIM_400000_NS6detail17trampoline_kernelINS0_14default_configENS1_29reduce_by_key_config_selectorIjjN6thrust23THRUST_200600_302600_NS4plusIjEEEEZZNS1_33reduce_by_key_impl_wrapped_configILNS1_25lookback_scan_determinismE0ES3_S9_NS6_6detail15normal_iteratorINS6_10device_ptrIjEEEESG_NS6_16discard_iteratorINS6_11use_defaultEEESG_PmS8_NS6_8equal_toIjEEEE10hipError_tPvRmT2_T3_mT4_T5_T6_T7_T8_P12ihipStream_tbENKUlT_T0_E_clISt17integral_constantIbLb1EES14_EEDaSZ_S10_EUlSZ_E_NS1_11comp_targetILNS1_3genE3ELNS1_11target_archE908ELNS1_3gpuE7ELNS1_3repE0EEENS1_30default_config_static_selectorELNS0_4arch9wavefront6targetE1EEEvT1_,comdat
	.protected	_ZN7rocprim17ROCPRIM_400000_NS6detail17trampoline_kernelINS0_14default_configENS1_29reduce_by_key_config_selectorIjjN6thrust23THRUST_200600_302600_NS4plusIjEEEEZZNS1_33reduce_by_key_impl_wrapped_configILNS1_25lookback_scan_determinismE0ES3_S9_NS6_6detail15normal_iteratorINS6_10device_ptrIjEEEESG_NS6_16discard_iteratorINS6_11use_defaultEEESG_PmS8_NS6_8equal_toIjEEEE10hipError_tPvRmT2_T3_mT4_T5_T6_T7_T8_P12ihipStream_tbENKUlT_T0_E_clISt17integral_constantIbLb1EES14_EEDaSZ_S10_EUlSZ_E_NS1_11comp_targetILNS1_3genE3ELNS1_11target_archE908ELNS1_3gpuE7ELNS1_3repE0EEENS1_30default_config_static_selectorELNS0_4arch9wavefront6targetE1EEEvT1_ ; -- Begin function _ZN7rocprim17ROCPRIM_400000_NS6detail17trampoline_kernelINS0_14default_configENS1_29reduce_by_key_config_selectorIjjN6thrust23THRUST_200600_302600_NS4plusIjEEEEZZNS1_33reduce_by_key_impl_wrapped_configILNS1_25lookback_scan_determinismE0ES3_S9_NS6_6detail15normal_iteratorINS6_10device_ptrIjEEEESG_NS6_16discard_iteratorINS6_11use_defaultEEESG_PmS8_NS6_8equal_toIjEEEE10hipError_tPvRmT2_T3_mT4_T5_T6_T7_T8_P12ihipStream_tbENKUlT_T0_E_clISt17integral_constantIbLb1EES14_EEDaSZ_S10_EUlSZ_E_NS1_11comp_targetILNS1_3genE3ELNS1_11target_archE908ELNS1_3gpuE7ELNS1_3repE0EEENS1_30default_config_static_selectorELNS0_4arch9wavefront6targetE1EEEvT1_
	.globl	_ZN7rocprim17ROCPRIM_400000_NS6detail17trampoline_kernelINS0_14default_configENS1_29reduce_by_key_config_selectorIjjN6thrust23THRUST_200600_302600_NS4plusIjEEEEZZNS1_33reduce_by_key_impl_wrapped_configILNS1_25lookback_scan_determinismE0ES3_S9_NS6_6detail15normal_iteratorINS6_10device_ptrIjEEEESG_NS6_16discard_iteratorINS6_11use_defaultEEESG_PmS8_NS6_8equal_toIjEEEE10hipError_tPvRmT2_T3_mT4_T5_T6_T7_T8_P12ihipStream_tbENKUlT_T0_E_clISt17integral_constantIbLb1EES14_EEDaSZ_S10_EUlSZ_E_NS1_11comp_targetILNS1_3genE3ELNS1_11target_archE908ELNS1_3gpuE7ELNS1_3repE0EEENS1_30default_config_static_selectorELNS0_4arch9wavefront6targetE1EEEvT1_
	.p2align	8
	.type	_ZN7rocprim17ROCPRIM_400000_NS6detail17trampoline_kernelINS0_14default_configENS1_29reduce_by_key_config_selectorIjjN6thrust23THRUST_200600_302600_NS4plusIjEEEEZZNS1_33reduce_by_key_impl_wrapped_configILNS1_25lookback_scan_determinismE0ES3_S9_NS6_6detail15normal_iteratorINS6_10device_ptrIjEEEESG_NS6_16discard_iteratorINS6_11use_defaultEEESG_PmS8_NS6_8equal_toIjEEEE10hipError_tPvRmT2_T3_mT4_T5_T6_T7_T8_P12ihipStream_tbENKUlT_T0_E_clISt17integral_constantIbLb1EES14_EEDaSZ_S10_EUlSZ_E_NS1_11comp_targetILNS1_3genE3ELNS1_11target_archE908ELNS1_3gpuE7ELNS1_3repE0EEENS1_30default_config_static_selectorELNS0_4arch9wavefront6targetE1EEEvT1_,@function
_ZN7rocprim17ROCPRIM_400000_NS6detail17trampoline_kernelINS0_14default_configENS1_29reduce_by_key_config_selectorIjjN6thrust23THRUST_200600_302600_NS4plusIjEEEEZZNS1_33reduce_by_key_impl_wrapped_configILNS1_25lookback_scan_determinismE0ES3_S9_NS6_6detail15normal_iteratorINS6_10device_ptrIjEEEESG_NS6_16discard_iteratorINS6_11use_defaultEEESG_PmS8_NS6_8equal_toIjEEEE10hipError_tPvRmT2_T3_mT4_T5_T6_T7_T8_P12ihipStream_tbENKUlT_T0_E_clISt17integral_constantIbLb1EES14_EEDaSZ_S10_EUlSZ_E_NS1_11comp_targetILNS1_3genE3ELNS1_11target_archE908ELNS1_3gpuE7ELNS1_3repE0EEENS1_30default_config_static_selectorELNS0_4arch9wavefront6targetE1EEEvT1_: ; @_ZN7rocprim17ROCPRIM_400000_NS6detail17trampoline_kernelINS0_14default_configENS1_29reduce_by_key_config_selectorIjjN6thrust23THRUST_200600_302600_NS4plusIjEEEEZZNS1_33reduce_by_key_impl_wrapped_configILNS1_25lookback_scan_determinismE0ES3_S9_NS6_6detail15normal_iteratorINS6_10device_ptrIjEEEESG_NS6_16discard_iteratorINS6_11use_defaultEEESG_PmS8_NS6_8equal_toIjEEEE10hipError_tPvRmT2_T3_mT4_T5_T6_T7_T8_P12ihipStream_tbENKUlT_T0_E_clISt17integral_constantIbLb1EES14_EEDaSZ_S10_EUlSZ_E_NS1_11comp_targetILNS1_3genE3ELNS1_11target_archE908ELNS1_3gpuE7ELNS1_3repE0EEENS1_30default_config_static_selectorELNS0_4arch9wavefront6targetE1EEEvT1_
; %bb.0:
	.section	.rodata,"a",@progbits
	.p2align	6, 0x0
	.amdhsa_kernel _ZN7rocprim17ROCPRIM_400000_NS6detail17trampoline_kernelINS0_14default_configENS1_29reduce_by_key_config_selectorIjjN6thrust23THRUST_200600_302600_NS4plusIjEEEEZZNS1_33reduce_by_key_impl_wrapped_configILNS1_25lookback_scan_determinismE0ES3_S9_NS6_6detail15normal_iteratorINS6_10device_ptrIjEEEESG_NS6_16discard_iteratorINS6_11use_defaultEEESG_PmS8_NS6_8equal_toIjEEEE10hipError_tPvRmT2_T3_mT4_T5_T6_T7_T8_P12ihipStream_tbENKUlT_T0_E_clISt17integral_constantIbLb1EES14_EEDaSZ_S10_EUlSZ_E_NS1_11comp_targetILNS1_3genE3ELNS1_11target_archE908ELNS1_3gpuE7ELNS1_3repE0EEENS1_30default_config_static_selectorELNS0_4arch9wavefront6targetE1EEEvT1_
		.amdhsa_group_segment_fixed_size 0
		.amdhsa_private_segment_fixed_size 0
		.amdhsa_kernarg_size 128
		.amdhsa_user_sgpr_count 6
		.amdhsa_user_sgpr_private_segment_buffer 1
		.amdhsa_user_sgpr_dispatch_ptr 0
		.amdhsa_user_sgpr_queue_ptr 0
		.amdhsa_user_sgpr_kernarg_segment_ptr 1
		.amdhsa_user_sgpr_dispatch_id 0
		.amdhsa_user_sgpr_flat_scratch_init 0
		.amdhsa_user_sgpr_kernarg_preload_length 0
		.amdhsa_user_sgpr_kernarg_preload_offset 0
		.amdhsa_user_sgpr_private_segment_size 0
		.amdhsa_uses_dynamic_stack 0
		.amdhsa_system_sgpr_private_segment_wavefront_offset 0
		.amdhsa_system_sgpr_workgroup_id_x 1
		.amdhsa_system_sgpr_workgroup_id_y 0
		.amdhsa_system_sgpr_workgroup_id_z 0
		.amdhsa_system_sgpr_workgroup_info 0
		.amdhsa_system_vgpr_workitem_id 0
		.amdhsa_next_free_vgpr 1
		.amdhsa_next_free_sgpr 0
		.amdhsa_accum_offset 4
		.amdhsa_reserve_vcc 0
		.amdhsa_reserve_flat_scratch 0
		.amdhsa_float_round_mode_32 0
		.amdhsa_float_round_mode_16_64 0
		.amdhsa_float_denorm_mode_32 3
		.amdhsa_float_denorm_mode_16_64 3
		.amdhsa_dx10_clamp 1
		.amdhsa_ieee_mode 1
		.amdhsa_fp16_overflow 0
		.amdhsa_tg_split 0
		.amdhsa_exception_fp_ieee_invalid_op 0
		.amdhsa_exception_fp_denorm_src 0
		.amdhsa_exception_fp_ieee_div_zero 0
		.amdhsa_exception_fp_ieee_overflow 0
		.amdhsa_exception_fp_ieee_underflow 0
		.amdhsa_exception_fp_ieee_inexact 0
		.amdhsa_exception_int_div_zero 0
	.end_amdhsa_kernel
	.section	.text._ZN7rocprim17ROCPRIM_400000_NS6detail17trampoline_kernelINS0_14default_configENS1_29reduce_by_key_config_selectorIjjN6thrust23THRUST_200600_302600_NS4plusIjEEEEZZNS1_33reduce_by_key_impl_wrapped_configILNS1_25lookback_scan_determinismE0ES3_S9_NS6_6detail15normal_iteratorINS6_10device_ptrIjEEEESG_NS6_16discard_iteratorINS6_11use_defaultEEESG_PmS8_NS6_8equal_toIjEEEE10hipError_tPvRmT2_T3_mT4_T5_T6_T7_T8_P12ihipStream_tbENKUlT_T0_E_clISt17integral_constantIbLb1EES14_EEDaSZ_S10_EUlSZ_E_NS1_11comp_targetILNS1_3genE3ELNS1_11target_archE908ELNS1_3gpuE7ELNS1_3repE0EEENS1_30default_config_static_selectorELNS0_4arch9wavefront6targetE1EEEvT1_,"axG",@progbits,_ZN7rocprim17ROCPRIM_400000_NS6detail17trampoline_kernelINS0_14default_configENS1_29reduce_by_key_config_selectorIjjN6thrust23THRUST_200600_302600_NS4plusIjEEEEZZNS1_33reduce_by_key_impl_wrapped_configILNS1_25lookback_scan_determinismE0ES3_S9_NS6_6detail15normal_iteratorINS6_10device_ptrIjEEEESG_NS6_16discard_iteratorINS6_11use_defaultEEESG_PmS8_NS6_8equal_toIjEEEE10hipError_tPvRmT2_T3_mT4_T5_T6_T7_T8_P12ihipStream_tbENKUlT_T0_E_clISt17integral_constantIbLb1EES14_EEDaSZ_S10_EUlSZ_E_NS1_11comp_targetILNS1_3genE3ELNS1_11target_archE908ELNS1_3gpuE7ELNS1_3repE0EEENS1_30default_config_static_selectorELNS0_4arch9wavefront6targetE1EEEvT1_,comdat
.Lfunc_end925:
	.size	_ZN7rocprim17ROCPRIM_400000_NS6detail17trampoline_kernelINS0_14default_configENS1_29reduce_by_key_config_selectorIjjN6thrust23THRUST_200600_302600_NS4plusIjEEEEZZNS1_33reduce_by_key_impl_wrapped_configILNS1_25lookback_scan_determinismE0ES3_S9_NS6_6detail15normal_iteratorINS6_10device_ptrIjEEEESG_NS6_16discard_iteratorINS6_11use_defaultEEESG_PmS8_NS6_8equal_toIjEEEE10hipError_tPvRmT2_T3_mT4_T5_T6_T7_T8_P12ihipStream_tbENKUlT_T0_E_clISt17integral_constantIbLb1EES14_EEDaSZ_S10_EUlSZ_E_NS1_11comp_targetILNS1_3genE3ELNS1_11target_archE908ELNS1_3gpuE7ELNS1_3repE0EEENS1_30default_config_static_selectorELNS0_4arch9wavefront6targetE1EEEvT1_, .Lfunc_end925-_ZN7rocprim17ROCPRIM_400000_NS6detail17trampoline_kernelINS0_14default_configENS1_29reduce_by_key_config_selectorIjjN6thrust23THRUST_200600_302600_NS4plusIjEEEEZZNS1_33reduce_by_key_impl_wrapped_configILNS1_25lookback_scan_determinismE0ES3_S9_NS6_6detail15normal_iteratorINS6_10device_ptrIjEEEESG_NS6_16discard_iteratorINS6_11use_defaultEEESG_PmS8_NS6_8equal_toIjEEEE10hipError_tPvRmT2_T3_mT4_T5_T6_T7_T8_P12ihipStream_tbENKUlT_T0_E_clISt17integral_constantIbLb1EES14_EEDaSZ_S10_EUlSZ_E_NS1_11comp_targetILNS1_3genE3ELNS1_11target_archE908ELNS1_3gpuE7ELNS1_3repE0EEENS1_30default_config_static_selectorELNS0_4arch9wavefront6targetE1EEEvT1_
                                        ; -- End function
	.section	.AMDGPU.csdata,"",@progbits
; Kernel info:
; codeLenInByte = 0
; NumSgprs: 4
; NumVgprs: 0
; NumAgprs: 0
; TotalNumVgprs: 0
; ScratchSize: 0
; MemoryBound: 0
; FloatMode: 240
; IeeeMode: 1
; LDSByteSize: 0 bytes/workgroup (compile time only)
; SGPRBlocks: 0
; VGPRBlocks: 0
; NumSGPRsForWavesPerEU: 4
; NumVGPRsForWavesPerEU: 1
; AccumOffset: 4
; Occupancy: 8
; WaveLimiterHint : 0
; COMPUTE_PGM_RSRC2:SCRATCH_EN: 0
; COMPUTE_PGM_RSRC2:USER_SGPR: 6
; COMPUTE_PGM_RSRC2:TRAP_HANDLER: 0
; COMPUTE_PGM_RSRC2:TGID_X_EN: 1
; COMPUTE_PGM_RSRC2:TGID_Y_EN: 0
; COMPUTE_PGM_RSRC2:TGID_Z_EN: 0
; COMPUTE_PGM_RSRC2:TIDIG_COMP_CNT: 0
; COMPUTE_PGM_RSRC3_GFX90A:ACCUM_OFFSET: 0
; COMPUTE_PGM_RSRC3_GFX90A:TG_SPLIT: 0
	.section	.text._ZN7rocprim17ROCPRIM_400000_NS6detail17trampoline_kernelINS0_14default_configENS1_29reduce_by_key_config_selectorIjjN6thrust23THRUST_200600_302600_NS4plusIjEEEEZZNS1_33reduce_by_key_impl_wrapped_configILNS1_25lookback_scan_determinismE0ES3_S9_NS6_6detail15normal_iteratorINS6_10device_ptrIjEEEESG_NS6_16discard_iteratorINS6_11use_defaultEEESG_PmS8_NS6_8equal_toIjEEEE10hipError_tPvRmT2_T3_mT4_T5_T6_T7_T8_P12ihipStream_tbENKUlT_T0_E_clISt17integral_constantIbLb1EES14_EEDaSZ_S10_EUlSZ_E_NS1_11comp_targetILNS1_3genE2ELNS1_11target_archE906ELNS1_3gpuE6ELNS1_3repE0EEENS1_30default_config_static_selectorELNS0_4arch9wavefront6targetE1EEEvT1_,"axG",@progbits,_ZN7rocprim17ROCPRIM_400000_NS6detail17trampoline_kernelINS0_14default_configENS1_29reduce_by_key_config_selectorIjjN6thrust23THRUST_200600_302600_NS4plusIjEEEEZZNS1_33reduce_by_key_impl_wrapped_configILNS1_25lookback_scan_determinismE0ES3_S9_NS6_6detail15normal_iteratorINS6_10device_ptrIjEEEESG_NS6_16discard_iteratorINS6_11use_defaultEEESG_PmS8_NS6_8equal_toIjEEEE10hipError_tPvRmT2_T3_mT4_T5_T6_T7_T8_P12ihipStream_tbENKUlT_T0_E_clISt17integral_constantIbLb1EES14_EEDaSZ_S10_EUlSZ_E_NS1_11comp_targetILNS1_3genE2ELNS1_11target_archE906ELNS1_3gpuE6ELNS1_3repE0EEENS1_30default_config_static_selectorELNS0_4arch9wavefront6targetE1EEEvT1_,comdat
	.protected	_ZN7rocprim17ROCPRIM_400000_NS6detail17trampoline_kernelINS0_14default_configENS1_29reduce_by_key_config_selectorIjjN6thrust23THRUST_200600_302600_NS4plusIjEEEEZZNS1_33reduce_by_key_impl_wrapped_configILNS1_25lookback_scan_determinismE0ES3_S9_NS6_6detail15normal_iteratorINS6_10device_ptrIjEEEESG_NS6_16discard_iteratorINS6_11use_defaultEEESG_PmS8_NS6_8equal_toIjEEEE10hipError_tPvRmT2_T3_mT4_T5_T6_T7_T8_P12ihipStream_tbENKUlT_T0_E_clISt17integral_constantIbLb1EES14_EEDaSZ_S10_EUlSZ_E_NS1_11comp_targetILNS1_3genE2ELNS1_11target_archE906ELNS1_3gpuE6ELNS1_3repE0EEENS1_30default_config_static_selectorELNS0_4arch9wavefront6targetE1EEEvT1_ ; -- Begin function _ZN7rocprim17ROCPRIM_400000_NS6detail17trampoline_kernelINS0_14default_configENS1_29reduce_by_key_config_selectorIjjN6thrust23THRUST_200600_302600_NS4plusIjEEEEZZNS1_33reduce_by_key_impl_wrapped_configILNS1_25lookback_scan_determinismE0ES3_S9_NS6_6detail15normal_iteratorINS6_10device_ptrIjEEEESG_NS6_16discard_iteratorINS6_11use_defaultEEESG_PmS8_NS6_8equal_toIjEEEE10hipError_tPvRmT2_T3_mT4_T5_T6_T7_T8_P12ihipStream_tbENKUlT_T0_E_clISt17integral_constantIbLb1EES14_EEDaSZ_S10_EUlSZ_E_NS1_11comp_targetILNS1_3genE2ELNS1_11target_archE906ELNS1_3gpuE6ELNS1_3repE0EEENS1_30default_config_static_selectorELNS0_4arch9wavefront6targetE1EEEvT1_
	.globl	_ZN7rocprim17ROCPRIM_400000_NS6detail17trampoline_kernelINS0_14default_configENS1_29reduce_by_key_config_selectorIjjN6thrust23THRUST_200600_302600_NS4plusIjEEEEZZNS1_33reduce_by_key_impl_wrapped_configILNS1_25lookback_scan_determinismE0ES3_S9_NS6_6detail15normal_iteratorINS6_10device_ptrIjEEEESG_NS6_16discard_iteratorINS6_11use_defaultEEESG_PmS8_NS6_8equal_toIjEEEE10hipError_tPvRmT2_T3_mT4_T5_T6_T7_T8_P12ihipStream_tbENKUlT_T0_E_clISt17integral_constantIbLb1EES14_EEDaSZ_S10_EUlSZ_E_NS1_11comp_targetILNS1_3genE2ELNS1_11target_archE906ELNS1_3gpuE6ELNS1_3repE0EEENS1_30default_config_static_selectorELNS0_4arch9wavefront6targetE1EEEvT1_
	.p2align	8
	.type	_ZN7rocprim17ROCPRIM_400000_NS6detail17trampoline_kernelINS0_14default_configENS1_29reduce_by_key_config_selectorIjjN6thrust23THRUST_200600_302600_NS4plusIjEEEEZZNS1_33reduce_by_key_impl_wrapped_configILNS1_25lookback_scan_determinismE0ES3_S9_NS6_6detail15normal_iteratorINS6_10device_ptrIjEEEESG_NS6_16discard_iteratorINS6_11use_defaultEEESG_PmS8_NS6_8equal_toIjEEEE10hipError_tPvRmT2_T3_mT4_T5_T6_T7_T8_P12ihipStream_tbENKUlT_T0_E_clISt17integral_constantIbLb1EES14_EEDaSZ_S10_EUlSZ_E_NS1_11comp_targetILNS1_3genE2ELNS1_11target_archE906ELNS1_3gpuE6ELNS1_3repE0EEENS1_30default_config_static_selectorELNS0_4arch9wavefront6targetE1EEEvT1_,@function
_ZN7rocprim17ROCPRIM_400000_NS6detail17trampoline_kernelINS0_14default_configENS1_29reduce_by_key_config_selectorIjjN6thrust23THRUST_200600_302600_NS4plusIjEEEEZZNS1_33reduce_by_key_impl_wrapped_configILNS1_25lookback_scan_determinismE0ES3_S9_NS6_6detail15normal_iteratorINS6_10device_ptrIjEEEESG_NS6_16discard_iteratorINS6_11use_defaultEEESG_PmS8_NS6_8equal_toIjEEEE10hipError_tPvRmT2_T3_mT4_T5_T6_T7_T8_P12ihipStream_tbENKUlT_T0_E_clISt17integral_constantIbLb1EES14_EEDaSZ_S10_EUlSZ_E_NS1_11comp_targetILNS1_3genE2ELNS1_11target_archE906ELNS1_3gpuE6ELNS1_3repE0EEENS1_30default_config_static_selectorELNS0_4arch9wavefront6targetE1EEEvT1_: ; @_ZN7rocprim17ROCPRIM_400000_NS6detail17trampoline_kernelINS0_14default_configENS1_29reduce_by_key_config_selectorIjjN6thrust23THRUST_200600_302600_NS4plusIjEEEEZZNS1_33reduce_by_key_impl_wrapped_configILNS1_25lookback_scan_determinismE0ES3_S9_NS6_6detail15normal_iteratorINS6_10device_ptrIjEEEESG_NS6_16discard_iteratorINS6_11use_defaultEEESG_PmS8_NS6_8equal_toIjEEEE10hipError_tPvRmT2_T3_mT4_T5_T6_T7_T8_P12ihipStream_tbENKUlT_T0_E_clISt17integral_constantIbLb1EES14_EEDaSZ_S10_EUlSZ_E_NS1_11comp_targetILNS1_3genE2ELNS1_11target_archE906ELNS1_3gpuE6ELNS1_3repE0EEENS1_30default_config_static_selectorELNS0_4arch9wavefront6targetE1EEEvT1_
; %bb.0:
	.section	.rodata,"a",@progbits
	.p2align	6, 0x0
	.amdhsa_kernel _ZN7rocprim17ROCPRIM_400000_NS6detail17trampoline_kernelINS0_14default_configENS1_29reduce_by_key_config_selectorIjjN6thrust23THRUST_200600_302600_NS4plusIjEEEEZZNS1_33reduce_by_key_impl_wrapped_configILNS1_25lookback_scan_determinismE0ES3_S9_NS6_6detail15normal_iteratorINS6_10device_ptrIjEEEESG_NS6_16discard_iteratorINS6_11use_defaultEEESG_PmS8_NS6_8equal_toIjEEEE10hipError_tPvRmT2_T3_mT4_T5_T6_T7_T8_P12ihipStream_tbENKUlT_T0_E_clISt17integral_constantIbLb1EES14_EEDaSZ_S10_EUlSZ_E_NS1_11comp_targetILNS1_3genE2ELNS1_11target_archE906ELNS1_3gpuE6ELNS1_3repE0EEENS1_30default_config_static_selectorELNS0_4arch9wavefront6targetE1EEEvT1_
		.amdhsa_group_segment_fixed_size 0
		.amdhsa_private_segment_fixed_size 0
		.amdhsa_kernarg_size 128
		.amdhsa_user_sgpr_count 6
		.amdhsa_user_sgpr_private_segment_buffer 1
		.amdhsa_user_sgpr_dispatch_ptr 0
		.amdhsa_user_sgpr_queue_ptr 0
		.amdhsa_user_sgpr_kernarg_segment_ptr 1
		.amdhsa_user_sgpr_dispatch_id 0
		.amdhsa_user_sgpr_flat_scratch_init 0
		.amdhsa_user_sgpr_kernarg_preload_length 0
		.amdhsa_user_sgpr_kernarg_preload_offset 0
		.amdhsa_user_sgpr_private_segment_size 0
		.amdhsa_uses_dynamic_stack 0
		.amdhsa_system_sgpr_private_segment_wavefront_offset 0
		.amdhsa_system_sgpr_workgroup_id_x 1
		.amdhsa_system_sgpr_workgroup_id_y 0
		.amdhsa_system_sgpr_workgroup_id_z 0
		.amdhsa_system_sgpr_workgroup_info 0
		.amdhsa_system_vgpr_workitem_id 0
		.amdhsa_next_free_vgpr 1
		.amdhsa_next_free_sgpr 0
		.amdhsa_accum_offset 4
		.amdhsa_reserve_vcc 0
		.amdhsa_reserve_flat_scratch 0
		.amdhsa_float_round_mode_32 0
		.amdhsa_float_round_mode_16_64 0
		.amdhsa_float_denorm_mode_32 3
		.amdhsa_float_denorm_mode_16_64 3
		.amdhsa_dx10_clamp 1
		.amdhsa_ieee_mode 1
		.amdhsa_fp16_overflow 0
		.amdhsa_tg_split 0
		.amdhsa_exception_fp_ieee_invalid_op 0
		.amdhsa_exception_fp_denorm_src 0
		.amdhsa_exception_fp_ieee_div_zero 0
		.amdhsa_exception_fp_ieee_overflow 0
		.amdhsa_exception_fp_ieee_underflow 0
		.amdhsa_exception_fp_ieee_inexact 0
		.amdhsa_exception_int_div_zero 0
	.end_amdhsa_kernel
	.section	.text._ZN7rocprim17ROCPRIM_400000_NS6detail17trampoline_kernelINS0_14default_configENS1_29reduce_by_key_config_selectorIjjN6thrust23THRUST_200600_302600_NS4plusIjEEEEZZNS1_33reduce_by_key_impl_wrapped_configILNS1_25lookback_scan_determinismE0ES3_S9_NS6_6detail15normal_iteratorINS6_10device_ptrIjEEEESG_NS6_16discard_iteratorINS6_11use_defaultEEESG_PmS8_NS6_8equal_toIjEEEE10hipError_tPvRmT2_T3_mT4_T5_T6_T7_T8_P12ihipStream_tbENKUlT_T0_E_clISt17integral_constantIbLb1EES14_EEDaSZ_S10_EUlSZ_E_NS1_11comp_targetILNS1_3genE2ELNS1_11target_archE906ELNS1_3gpuE6ELNS1_3repE0EEENS1_30default_config_static_selectorELNS0_4arch9wavefront6targetE1EEEvT1_,"axG",@progbits,_ZN7rocprim17ROCPRIM_400000_NS6detail17trampoline_kernelINS0_14default_configENS1_29reduce_by_key_config_selectorIjjN6thrust23THRUST_200600_302600_NS4plusIjEEEEZZNS1_33reduce_by_key_impl_wrapped_configILNS1_25lookback_scan_determinismE0ES3_S9_NS6_6detail15normal_iteratorINS6_10device_ptrIjEEEESG_NS6_16discard_iteratorINS6_11use_defaultEEESG_PmS8_NS6_8equal_toIjEEEE10hipError_tPvRmT2_T3_mT4_T5_T6_T7_T8_P12ihipStream_tbENKUlT_T0_E_clISt17integral_constantIbLb1EES14_EEDaSZ_S10_EUlSZ_E_NS1_11comp_targetILNS1_3genE2ELNS1_11target_archE906ELNS1_3gpuE6ELNS1_3repE0EEENS1_30default_config_static_selectorELNS0_4arch9wavefront6targetE1EEEvT1_,comdat
.Lfunc_end926:
	.size	_ZN7rocprim17ROCPRIM_400000_NS6detail17trampoline_kernelINS0_14default_configENS1_29reduce_by_key_config_selectorIjjN6thrust23THRUST_200600_302600_NS4plusIjEEEEZZNS1_33reduce_by_key_impl_wrapped_configILNS1_25lookback_scan_determinismE0ES3_S9_NS6_6detail15normal_iteratorINS6_10device_ptrIjEEEESG_NS6_16discard_iteratorINS6_11use_defaultEEESG_PmS8_NS6_8equal_toIjEEEE10hipError_tPvRmT2_T3_mT4_T5_T6_T7_T8_P12ihipStream_tbENKUlT_T0_E_clISt17integral_constantIbLb1EES14_EEDaSZ_S10_EUlSZ_E_NS1_11comp_targetILNS1_3genE2ELNS1_11target_archE906ELNS1_3gpuE6ELNS1_3repE0EEENS1_30default_config_static_selectorELNS0_4arch9wavefront6targetE1EEEvT1_, .Lfunc_end926-_ZN7rocprim17ROCPRIM_400000_NS6detail17trampoline_kernelINS0_14default_configENS1_29reduce_by_key_config_selectorIjjN6thrust23THRUST_200600_302600_NS4plusIjEEEEZZNS1_33reduce_by_key_impl_wrapped_configILNS1_25lookback_scan_determinismE0ES3_S9_NS6_6detail15normal_iteratorINS6_10device_ptrIjEEEESG_NS6_16discard_iteratorINS6_11use_defaultEEESG_PmS8_NS6_8equal_toIjEEEE10hipError_tPvRmT2_T3_mT4_T5_T6_T7_T8_P12ihipStream_tbENKUlT_T0_E_clISt17integral_constantIbLb1EES14_EEDaSZ_S10_EUlSZ_E_NS1_11comp_targetILNS1_3genE2ELNS1_11target_archE906ELNS1_3gpuE6ELNS1_3repE0EEENS1_30default_config_static_selectorELNS0_4arch9wavefront6targetE1EEEvT1_
                                        ; -- End function
	.section	.AMDGPU.csdata,"",@progbits
; Kernel info:
; codeLenInByte = 0
; NumSgprs: 4
; NumVgprs: 0
; NumAgprs: 0
; TotalNumVgprs: 0
; ScratchSize: 0
; MemoryBound: 0
; FloatMode: 240
; IeeeMode: 1
; LDSByteSize: 0 bytes/workgroup (compile time only)
; SGPRBlocks: 0
; VGPRBlocks: 0
; NumSGPRsForWavesPerEU: 4
; NumVGPRsForWavesPerEU: 1
; AccumOffset: 4
; Occupancy: 8
; WaveLimiterHint : 0
; COMPUTE_PGM_RSRC2:SCRATCH_EN: 0
; COMPUTE_PGM_RSRC2:USER_SGPR: 6
; COMPUTE_PGM_RSRC2:TRAP_HANDLER: 0
; COMPUTE_PGM_RSRC2:TGID_X_EN: 1
; COMPUTE_PGM_RSRC2:TGID_Y_EN: 0
; COMPUTE_PGM_RSRC2:TGID_Z_EN: 0
; COMPUTE_PGM_RSRC2:TIDIG_COMP_CNT: 0
; COMPUTE_PGM_RSRC3_GFX90A:ACCUM_OFFSET: 0
; COMPUTE_PGM_RSRC3_GFX90A:TG_SPLIT: 0
	.section	.text._ZN7rocprim17ROCPRIM_400000_NS6detail17trampoline_kernelINS0_14default_configENS1_29reduce_by_key_config_selectorIjjN6thrust23THRUST_200600_302600_NS4plusIjEEEEZZNS1_33reduce_by_key_impl_wrapped_configILNS1_25lookback_scan_determinismE0ES3_S9_NS6_6detail15normal_iteratorINS6_10device_ptrIjEEEESG_NS6_16discard_iteratorINS6_11use_defaultEEESG_PmS8_NS6_8equal_toIjEEEE10hipError_tPvRmT2_T3_mT4_T5_T6_T7_T8_P12ihipStream_tbENKUlT_T0_E_clISt17integral_constantIbLb1EES14_EEDaSZ_S10_EUlSZ_E_NS1_11comp_targetILNS1_3genE10ELNS1_11target_archE1201ELNS1_3gpuE5ELNS1_3repE0EEENS1_30default_config_static_selectorELNS0_4arch9wavefront6targetE1EEEvT1_,"axG",@progbits,_ZN7rocprim17ROCPRIM_400000_NS6detail17trampoline_kernelINS0_14default_configENS1_29reduce_by_key_config_selectorIjjN6thrust23THRUST_200600_302600_NS4plusIjEEEEZZNS1_33reduce_by_key_impl_wrapped_configILNS1_25lookback_scan_determinismE0ES3_S9_NS6_6detail15normal_iteratorINS6_10device_ptrIjEEEESG_NS6_16discard_iteratorINS6_11use_defaultEEESG_PmS8_NS6_8equal_toIjEEEE10hipError_tPvRmT2_T3_mT4_T5_T6_T7_T8_P12ihipStream_tbENKUlT_T0_E_clISt17integral_constantIbLb1EES14_EEDaSZ_S10_EUlSZ_E_NS1_11comp_targetILNS1_3genE10ELNS1_11target_archE1201ELNS1_3gpuE5ELNS1_3repE0EEENS1_30default_config_static_selectorELNS0_4arch9wavefront6targetE1EEEvT1_,comdat
	.protected	_ZN7rocprim17ROCPRIM_400000_NS6detail17trampoline_kernelINS0_14default_configENS1_29reduce_by_key_config_selectorIjjN6thrust23THRUST_200600_302600_NS4plusIjEEEEZZNS1_33reduce_by_key_impl_wrapped_configILNS1_25lookback_scan_determinismE0ES3_S9_NS6_6detail15normal_iteratorINS6_10device_ptrIjEEEESG_NS6_16discard_iteratorINS6_11use_defaultEEESG_PmS8_NS6_8equal_toIjEEEE10hipError_tPvRmT2_T3_mT4_T5_T6_T7_T8_P12ihipStream_tbENKUlT_T0_E_clISt17integral_constantIbLb1EES14_EEDaSZ_S10_EUlSZ_E_NS1_11comp_targetILNS1_3genE10ELNS1_11target_archE1201ELNS1_3gpuE5ELNS1_3repE0EEENS1_30default_config_static_selectorELNS0_4arch9wavefront6targetE1EEEvT1_ ; -- Begin function _ZN7rocprim17ROCPRIM_400000_NS6detail17trampoline_kernelINS0_14default_configENS1_29reduce_by_key_config_selectorIjjN6thrust23THRUST_200600_302600_NS4plusIjEEEEZZNS1_33reduce_by_key_impl_wrapped_configILNS1_25lookback_scan_determinismE0ES3_S9_NS6_6detail15normal_iteratorINS6_10device_ptrIjEEEESG_NS6_16discard_iteratorINS6_11use_defaultEEESG_PmS8_NS6_8equal_toIjEEEE10hipError_tPvRmT2_T3_mT4_T5_T6_T7_T8_P12ihipStream_tbENKUlT_T0_E_clISt17integral_constantIbLb1EES14_EEDaSZ_S10_EUlSZ_E_NS1_11comp_targetILNS1_3genE10ELNS1_11target_archE1201ELNS1_3gpuE5ELNS1_3repE0EEENS1_30default_config_static_selectorELNS0_4arch9wavefront6targetE1EEEvT1_
	.globl	_ZN7rocprim17ROCPRIM_400000_NS6detail17trampoline_kernelINS0_14default_configENS1_29reduce_by_key_config_selectorIjjN6thrust23THRUST_200600_302600_NS4plusIjEEEEZZNS1_33reduce_by_key_impl_wrapped_configILNS1_25lookback_scan_determinismE0ES3_S9_NS6_6detail15normal_iteratorINS6_10device_ptrIjEEEESG_NS6_16discard_iteratorINS6_11use_defaultEEESG_PmS8_NS6_8equal_toIjEEEE10hipError_tPvRmT2_T3_mT4_T5_T6_T7_T8_P12ihipStream_tbENKUlT_T0_E_clISt17integral_constantIbLb1EES14_EEDaSZ_S10_EUlSZ_E_NS1_11comp_targetILNS1_3genE10ELNS1_11target_archE1201ELNS1_3gpuE5ELNS1_3repE0EEENS1_30default_config_static_selectorELNS0_4arch9wavefront6targetE1EEEvT1_
	.p2align	8
	.type	_ZN7rocprim17ROCPRIM_400000_NS6detail17trampoline_kernelINS0_14default_configENS1_29reduce_by_key_config_selectorIjjN6thrust23THRUST_200600_302600_NS4plusIjEEEEZZNS1_33reduce_by_key_impl_wrapped_configILNS1_25lookback_scan_determinismE0ES3_S9_NS6_6detail15normal_iteratorINS6_10device_ptrIjEEEESG_NS6_16discard_iteratorINS6_11use_defaultEEESG_PmS8_NS6_8equal_toIjEEEE10hipError_tPvRmT2_T3_mT4_T5_T6_T7_T8_P12ihipStream_tbENKUlT_T0_E_clISt17integral_constantIbLb1EES14_EEDaSZ_S10_EUlSZ_E_NS1_11comp_targetILNS1_3genE10ELNS1_11target_archE1201ELNS1_3gpuE5ELNS1_3repE0EEENS1_30default_config_static_selectorELNS0_4arch9wavefront6targetE1EEEvT1_,@function
_ZN7rocprim17ROCPRIM_400000_NS6detail17trampoline_kernelINS0_14default_configENS1_29reduce_by_key_config_selectorIjjN6thrust23THRUST_200600_302600_NS4plusIjEEEEZZNS1_33reduce_by_key_impl_wrapped_configILNS1_25lookback_scan_determinismE0ES3_S9_NS6_6detail15normal_iteratorINS6_10device_ptrIjEEEESG_NS6_16discard_iteratorINS6_11use_defaultEEESG_PmS8_NS6_8equal_toIjEEEE10hipError_tPvRmT2_T3_mT4_T5_T6_T7_T8_P12ihipStream_tbENKUlT_T0_E_clISt17integral_constantIbLb1EES14_EEDaSZ_S10_EUlSZ_E_NS1_11comp_targetILNS1_3genE10ELNS1_11target_archE1201ELNS1_3gpuE5ELNS1_3repE0EEENS1_30default_config_static_selectorELNS0_4arch9wavefront6targetE1EEEvT1_: ; @_ZN7rocprim17ROCPRIM_400000_NS6detail17trampoline_kernelINS0_14default_configENS1_29reduce_by_key_config_selectorIjjN6thrust23THRUST_200600_302600_NS4plusIjEEEEZZNS1_33reduce_by_key_impl_wrapped_configILNS1_25lookback_scan_determinismE0ES3_S9_NS6_6detail15normal_iteratorINS6_10device_ptrIjEEEESG_NS6_16discard_iteratorINS6_11use_defaultEEESG_PmS8_NS6_8equal_toIjEEEE10hipError_tPvRmT2_T3_mT4_T5_T6_T7_T8_P12ihipStream_tbENKUlT_T0_E_clISt17integral_constantIbLb1EES14_EEDaSZ_S10_EUlSZ_E_NS1_11comp_targetILNS1_3genE10ELNS1_11target_archE1201ELNS1_3gpuE5ELNS1_3repE0EEENS1_30default_config_static_selectorELNS0_4arch9wavefront6targetE1EEEvT1_
; %bb.0:
	.section	.rodata,"a",@progbits
	.p2align	6, 0x0
	.amdhsa_kernel _ZN7rocprim17ROCPRIM_400000_NS6detail17trampoline_kernelINS0_14default_configENS1_29reduce_by_key_config_selectorIjjN6thrust23THRUST_200600_302600_NS4plusIjEEEEZZNS1_33reduce_by_key_impl_wrapped_configILNS1_25lookback_scan_determinismE0ES3_S9_NS6_6detail15normal_iteratorINS6_10device_ptrIjEEEESG_NS6_16discard_iteratorINS6_11use_defaultEEESG_PmS8_NS6_8equal_toIjEEEE10hipError_tPvRmT2_T3_mT4_T5_T6_T7_T8_P12ihipStream_tbENKUlT_T0_E_clISt17integral_constantIbLb1EES14_EEDaSZ_S10_EUlSZ_E_NS1_11comp_targetILNS1_3genE10ELNS1_11target_archE1201ELNS1_3gpuE5ELNS1_3repE0EEENS1_30default_config_static_selectorELNS0_4arch9wavefront6targetE1EEEvT1_
		.amdhsa_group_segment_fixed_size 0
		.amdhsa_private_segment_fixed_size 0
		.amdhsa_kernarg_size 128
		.amdhsa_user_sgpr_count 6
		.amdhsa_user_sgpr_private_segment_buffer 1
		.amdhsa_user_sgpr_dispatch_ptr 0
		.amdhsa_user_sgpr_queue_ptr 0
		.amdhsa_user_sgpr_kernarg_segment_ptr 1
		.amdhsa_user_sgpr_dispatch_id 0
		.amdhsa_user_sgpr_flat_scratch_init 0
		.amdhsa_user_sgpr_kernarg_preload_length 0
		.amdhsa_user_sgpr_kernarg_preload_offset 0
		.amdhsa_user_sgpr_private_segment_size 0
		.amdhsa_uses_dynamic_stack 0
		.amdhsa_system_sgpr_private_segment_wavefront_offset 0
		.amdhsa_system_sgpr_workgroup_id_x 1
		.amdhsa_system_sgpr_workgroup_id_y 0
		.amdhsa_system_sgpr_workgroup_id_z 0
		.amdhsa_system_sgpr_workgroup_info 0
		.amdhsa_system_vgpr_workitem_id 0
		.amdhsa_next_free_vgpr 1
		.amdhsa_next_free_sgpr 0
		.amdhsa_accum_offset 4
		.amdhsa_reserve_vcc 0
		.amdhsa_reserve_flat_scratch 0
		.amdhsa_float_round_mode_32 0
		.amdhsa_float_round_mode_16_64 0
		.amdhsa_float_denorm_mode_32 3
		.amdhsa_float_denorm_mode_16_64 3
		.amdhsa_dx10_clamp 1
		.amdhsa_ieee_mode 1
		.amdhsa_fp16_overflow 0
		.amdhsa_tg_split 0
		.amdhsa_exception_fp_ieee_invalid_op 0
		.amdhsa_exception_fp_denorm_src 0
		.amdhsa_exception_fp_ieee_div_zero 0
		.amdhsa_exception_fp_ieee_overflow 0
		.amdhsa_exception_fp_ieee_underflow 0
		.amdhsa_exception_fp_ieee_inexact 0
		.amdhsa_exception_int_div_zero 0
	.end_amdhsa_kernel
	.section	.text._ZN7rocprim17ROCPRIM_400000_NS6detail17trampoline_kernelINS0_14default_configENS1_29reduce_by_key_config_selectorIjjN6thrust23THRUST_200600_302600_NS4plusIjEEEEZZNS1_33reduce_by_key_impl_wrapped_configILNS1_25lookback_scan_determinismE0ES3_S9_NS6_6detail15normal_iteratorINS6_10device_ptrIjEEEESG_NS6_16discard_iteratorINS6_11use_defaultEEESG_PmS8_NS6_8equal_toIjEEEE10hipError_tPvRmT2_T3_mT4_T5_T6_T7_T8_P12ihipStream_tbENKUlT_T0_E_clISt17integral_constantIbLb1EES14_EEDaSZ_S10_EUlSZ_E_NS1_11comp_targetILNS1_3genE10ELNS1_11target_archE1201ELNS1_3gpuE5ELNS1_3repE0EEENS1_30default_config_static_selectorELNS0_4arch9wavefront6targetE1EEEvT1_,"axG",@progbits,_ZN7rocprim17ROCPRIM_400000_NS6detail17trampoline_kernelINS0_14default_configENS1_29reduce_by_key_config_selectorIjjN6thrust23THRUST_200600_302600_NS4plusIjEEEEZZNS1_33reduce_by_key_impl_wrapped_configILNS1_25lookback_scan_determinismE0ES3_S9_NS6_6detail15normal_iteratorINS6_10device_ptrIjEEEESG_NS6_16discard_iteratorINS6_11use_defaultEEESG_PmS8_NS6_8equal_toIjEEEE10hipError_tPvRmT2_T3_mT4_T5_T6_T7_T8_P12ihipStream_tbENKUlT_T0_E_clISt17integral_constantIbLb1EES14_EEDaSZ_S10_EUlSZ_E_NS1_11comp_targetILNS1_3genE10ELNS1_11target_archE1201ELNS1_3gpuE5ELNS1_3repE0EEENS1_30default_config_static_selectorELNS0_4arch9wavefront6targetE1EEEvT1_,comdat
.Lfunc_end927:
	.size	_ZN7rocprim17ROCPRIM_400000_NS6detail17trampoline_kernelINS0_14default_configENS1_29reduce_by_key_config_selectorIjjN6thrust23THRUST_200600_302600_NS4plusIjEEEEZZNS1_33reduce_by_key_impl_wrapped_configILNS1_25lookback_scan_determinismE0ES3_S9_NS6_6detail15normal_iteratorINS6_10device_ptrIjEEEESG_NS6_16discard_iteratorINS6_11use_defaultEEESG_PmS8_NS6_8equal_toIjEEEE10hipError_tPvRmT2_T3_mT4_T5_T6_T7_T8_P12ihipStream_tbENKUlT_T0_E_clISt17integral_constantIbLb1EES14_EEDaSZ_S10_EUlSZ_E_NS1_11comp_targetILNS1_3genE10ELNS1_11target_archE1201ELNS1_3gpuE5ELNS1_3repE0EEENS1_30default_config_static_selectorELNS0_4arch9wavefront6targetE1EEEvT1_, .Lfunc_end927-_ZN7rocprim17ROCPRIM_400000_NS6detail17trampoline_kernelINS0_14default_configENS1_29reduce_by_key_config_selectorIjjN6thrust23THRUST_200600_302600_NS4plusIjEEEEZZNS1_33reduce_by_key_impl_wrapped_configILNS1_25lookback_scan_determinismE0ES3_S9_NS6_6detail15normal_iteratorINS6_10device_ptrIjEEEESG_NS6_16discard_iteratorINS6_11use_defaultEEESG_PmS8_NS6_8equal_toIjEEEE10hipError_tPvRmT2_T3_mT4_T5_T6_T7_T8_P12ihipStream_tbENKUlT_T0_E_clISt17integral_constantIbLb1EES14_EEDaSZ_S10_EUlSZ_E_NS1_11comp_targetILNS1_3genE10ELNS1_11target_archE1201ELNS1_3gpuE5ELNS1_3repE0EEENS1_30default_config_static_selectorELNS0_4arch9wavefront6targetE1EEEvT1_
                                        ; -- End function
	.section	.AMDGPU.csdata,"",@progbits
; Kernel info:
; codeLenInByte = 0
; NumSgprs: 4
; NumVgprs: 0
; NumAgprs: 0
; TotalNumVgprs: 0
; ScratchSize: 0
; MemoryBound: 0
; FloatMode: 240
; IeeeMode: 1
; LDSByteSize: 0 bytes/workgroup (compile time only)
; SGPRBlocks: 0
; VGPRBlocks: 0
; NumSGPRsForWavesPerEU: 4
; NumVGPRsForWavesPerEU: 1
; AccumOffset: 4
; Occupancy: 8
; WaveLimiterHint : 0
; COMPUTE_PGM_RSRC2:SCRATCH_EN: 0
; COMPUTE_PGM_RSRC2:USER_SGPR: 6
; COMPUTE_PGM_RSRC2:TRAP_HANDLER: 0
; COMPUTE_PGM_RSRC2:TGID_X_EN: 1
; COMPUTE_PGM_RSRC2:TGID_Y_EN: 0
; COMPUTE_PGM_RSRC2:TGID_Z_EN: 0
; COMPUTE_PGM_RSRC2:TIDIG_COMP_CNT: 0
; COMPUTE_PGM_RSRC3_GFX90A:ACCUM_OFFSET: 0
; COMPUTE_PGM_RSRC3_GFX90A:TG_SPLIT: 0
	.section	.text._ZN7rocprim17ROCPRIM_400000_NS6detail17trampoline_kernelINS0_14default_configENS1_29reduce_by_key_config_selectorIjjN6thrust23THRUST_200600_302600_NS4plusIjEEEEZZNS1_33reduce_by_key_impl_wrapped_configILNS1_25lookback_scan_determinismE0ES3_S9_NS6_6detail15normal_iteratorINS6_10device_ptrIjEEEESG_NS6_16discard_iteratorINS6_11use_defaultEEESG_PmS8_NS6_8equal_toIjEEEE10hipError_tPvRmT2_T3_mT4_T5_T6_T7_T8_P12ihipStream_tbENKUlT_T0_E_clISt17integral_constantIbLb1EES14_EEDaSZ_S10_EUlSZ_E_NS1_11comp_targetILNS1_3genE10ELNS1_11target_archE1200ELNS1_3gpuE4ELNS1_3repE0EEENS1_30default_config_static_selectorELNS0_4arch9wavefront6targetE1EEEvT1_,"axG",@progbits,_ZN7rocprim17ROCPRIM_400000_NS6detail17trampoline_kernelINS0_14default_configENS1_29reduce_by_key_config_selectorIjjN6thrust23THRUST_200600_302600_NS4plusIjEEEEZZNS1_33reduce_by_key_impl_wrapped_configILNS1_25lookback_scan_determinismE0ES3_S9_NS6_6detail15normal_iteratorINS6_10device_ptrIjEEEESG_NS6_16discard_iteratorINS6_11use_defaultEEESG_PmS8_NS6_8equal_toIjEEEE10hipError_tPvRmT2_T3_mT4_T5_T6_T7_T8_P12ihipStream_tbENKUlT_T0_E_clISt17integral_constantIbLb1EES14_EEDaSZ_S10_EUlSZ_E_NS1_11comp_targetILNS1_3genE10ELNS1_11target_archE1200ELNS1_3gpuE4ELNS1_3repE0EEENS1_30default_config_static_selectorELNS0_4arch9wavefront6targetE1EEEvT1_,comdat
	.protected	_ZN7rocprim17ROCPRIM_400000_NS6detail17trampoline_kernelINS0_14default_configENS1_29reduce_by_key_config_selectorIjjN6thrust23THRUST_200600_302600_NS4plusIjEEEEZZNS1_33reduce_by_key_impl_wrapped_configILNS1_25lookback_scan_determinismE0ES3_S9_NS6_6detail15normal_iteratorINS6_10device_ptrIjEEEESG_NS6_16discard_iteratorINS6_11use_defaultEEESG_PmS8_NS6_8equal_toIjEEEE10hipError_tPvRmT2_T3_mT4_T5_T6_T7_T8_P12ihipStream_tbENKUlT_T0_E_clISt17integral_constantIbLb1EES14_EEDaSZ_S10_EUlSZ_E_NS1_11comp_targetILNS1_3genE10ELNS1_11target_archE1200ELNS1_3gpuE4ELNS1_3repE0EEENS1_30default_config_static_selectorELNS0_4arch9wavefront6targetE1EEEvT1_ ; -- Begin function _ZN7rocprim17ROCPRIM_400000_NS6detail17trampoline_kernelINS0_14default_configENS1_29reduce_by_key_config_selectorIjjN6thrust23THRUST_200600_302600_NS4plusIjEEEEZZNS1_33reduce_by_key_impl_wrapped_configILNS1_25lookback_scan_determinismE0ES3_S9_NS6_6detail15normal_iteratorINS6_10device_ptrIjEEEESG_NS6_16discard_iteratorINS6_11use_defaultEEESG_PmS8_NS6_8equal_toIjEEEE10hipError_tPvRmT2_T3_mT4_T5_T6_T7_T8_P12ihipStream_tbENKUlT_T0_E_clISt17integral_constantIbLb1EES14_EEDaSZ_S10_EUlSZ_E_NS1_11comp_targetILNS1_3genE10ELNS1_11target_archE1200ELNS1_3gpuE4ELNS1_3repE0EEENS1_30default_config_static_selectorELNS0_4arch9wavefront6targetE1EEEvT1_
	.globl	_ZN7rocprim17ROCPRIM_400000_NS6detail17trampoline_kernelINS0_14default_configENS1_29reduce_by_key_config_selectorIjjN6thrust23THRUST_200600_302600_NS4plusIjEEEEZZNS1_33reduce_by_key_impl_wrapped_configILNS1_25lookback_scan_determinismE0ES3_S9_NS6_6detail15normal_iteratorINS6_10device_ptrIjEEEESG_NS6_16discard_iteratorINS6_11use_defaultEEESG_PmS8_NS6_8equal_toIjEEEE10hipError_tPvRmT2_T3_mT4_T5_T6_T7_T8_P12ihipStream_tbENKUlT_T0_E_clISt17integral_constantIbLb1EES14_EEDaSZ_S10_EUlSZ_E_NS1_11comp_targetILNS1_3genE10ELNS1_11target_archE1200ELNS1_3gpuE4ELNS1_3repE0EEENS1_30default_config_static_selectorELNS0_4arch9wavefront6targetE1EEEvT1_
	.p2align	8
	.type	_ZN7rocprim17ROCPRIM_400000_NS6detail17trampoline_kernelINS0_14default_configENS1_29reduce_by_key_config_selectorIjjN6thrust23THRUST_200600_302600_NS4plusIjEEEEZZNS1_33reduce_by_key_impl_wrapped_configILNS1_25lookback_scan_determinismE0ES3_S9_NS6_6detail15normal_iteratorINS6_10device_ptrIjEEEESG_NS6_16discard_iteratorINS6_11use_defaultEEESG_PmS8_NS6_8equal_toIjEEEE10hipError_tPvRmT2_T3_mT4_T5_T6_T7_T8_P12ihipStream_tbENKUlT_T0_E_clISt17integral_constantIbLb1EES14_EEDaSZ_S10_EUlSZ_E_NS1_11comp_targetILNS1_3genE10ELNS1_11target_archE1200ELNS1_3gpuE4ELNS1_3repE0EEENS1_30default_config_static_selectorELNS0_4arch9wavefront6targetE1EEEvT1_,@function
_ZN7rocprim17ROCPRIM_400000_NS6detail17trampoline_kernelINS0_14default_configENS1_29reduce_by_key_config_selectorIjjN6thrust23THRUST_200600_302600_NS4plusIjEEEEZZNS1_33reduce_by_key_impl_wrapped_configILNS1_25lookback_scan_determinismE0ES3_S9_NS6_6detail15normal_iteratorINS6_10device_ptrIjEEEESG_NS6_16discard_iteratorINS6_11use_defaultEEESG_PmS8_NS6_8equal_toIjEEEE10hipError_tPvRmT2_T3_mT4_T5_T6_T7_T8_P12ihipStream_tbENKUlT_T0_E_clISt17integral_constantIbLb1EES14_EEDaSZ_S10_EUlSZ_E_NS1_11comp_targetILNS1_3genE10ELNS1_11target_archE1200ELNS1_3gpuE4ELNS1_3repE0EEENS1_30default_config_static_selectorELNS0_4arch9wavefront6targetE1EEEvT1_: ; @_ZN7rocprim17ROCPRIM_400000_NS6detail17trampoline_kernelINS0_14default_configENS1_29reduce_by_key_config_selectorIjjN6thrust23THRUST_200600_302600_NS4plusIjEEEEZZNS1_33reduce_by_key_impl_wrapped_configILNS1_25lookback_scan_determinismE0ES3_S9_NS6_6detail15normal_iteratorINS6_10device_ptrIjEEEESG_NS6_16discard_iteratorINS6_11use_defaultEEESG_PmS8_NS6_8equal_toIjEEEE10hipError_tPvRmT2_T3_mT4_T5_T6_T7_T8_P12ihipStream_tbENKUlT_T0_E_clISt17integral_constantIbLb1EES14_EEDaSZ_S10_EUlSZ_E_NS1_11comp_targetILNS1_3genE10ELNS1_11target_archE1200ELNS1_3gpuE4ELNS1_3repE0EEENS1_30default_config_static_selectorELNS0_4arch9wavefront6targetE1EEEvT1_
; %bb.0:
	.section	.rodata,"a",@progbits
	.p2align	6, 0x0
	.amdhsa_kernel _ZN7rocprim17ROCPRIM_400000_NS6detail17trampoline_kernelINS0_14default_configENS1_29reduce_by_key_config_selectorIjjN6thrust23THRUST_200600_302600_NS4plusIjEEEEZZNS1_33reduce_by_key_impl_wrapped_configILNS1_25lookback_scan_determinismE0ES3_S9_NS6_6detail15normal_iteratorINS6_10device_ptrIjEEEESG_NS6_16discard_iteratorINS6_11use_defaultEEESG_PmS8_NS6_8equal_toIjEEEE10hipError_tPvRmT2_T3_mT4_T5_T6_T7_T8_P12ihipStream_tbENKUlT_T0_E_clISt17integral_constantIbLb1EES14_EEDaSZ_S10_EUlSZ_E_NS1_11comp_targetILNS1_3genE10ELNS1_11target_archE1200ELNS1_3gpuE4ELNS1_3repE0EEENS1_30default_config_static_selectorELNS0_4arch9wavefront6targetE1EEEvT1_
		.amdhsa_group_segment_fixed_size 0
		.amdhsa_private_segment_fixed_size 0
		.amdhsa_kernarg_size 128
		.amdhsa_user_sgpr_count 6
		.amdhsa_user_sgpr_private_segment_buffer 1
		.amdhsa_user_sgpr_dispatch_ptr 0
		.amdhsa_user_sgpr_queue_ptr 0
		.amdhsa_user_sgpr_kernarg_segment_ptr 1
		.amdhsa_user_sgpr_dispatch_id 0
		.amdhsa_user_sgpr_flat_scratch_init 0
		.amdhsa_user_sgpr_kernarg_preload_length 0
		.amdhsa_user_sgpr_kernarg_preload_offset 0
		.amdhsa_user_sgpr_private_segment_size 0
		.amdhsa_uses_dynamic_stack 0
		.amdhsa_system_sgpr_private_segment_wavefront_offset 0
		.amdhsa_system_sgpr_workgroup_id_x 1
		.amdhsa_system_sgpr_workgroup_id_y 0
		.amdhsa_system_sgpr_workgroup_id_z 0
		.amdhsa_system_sgpr_workgroup_info 0
		.amdhsa_system_vgpr_workitem_id 0
		.amdhsa_next_free_vgpr 1
		.amdhsa_next_free_sgpr 0
		.amdhsa_accum_offset 4
		.amdhsa_reserve_vcc 0
		.amdhsa_reserve_flat_scratch 0
		.amdhsa_float_round_mode_32 0
		.amdhsa_float_round_mode_16_64 0
		.amdhsa_float_denorm_mode_32 3
		.amdhsa_float_denorm_mode_16_64 3
		.amdhsa_dx10_clamp 1
		.amdhsa_ieee_mode 1
		.amdhsa_fp16_overflow 0
		.amdhsa_tg_split 0
		.amdhsa_exception_fp_ieee_invalid_op 0
		.amdhsa_exception_fp_denorm_src 0
		.amdhsa_exception_fp_ieee_div_zero 0
		.amdhsa_exception_fp_ieee_overflow 0
		.amdhsa_exception_fp_ieee_underflow 0
		.amdhsa_exception_fp_ieee_inexact 0
		.amdhsa_exception_int_div_zero 0
	.end_amdhsa_kernel
	.section	.text._ZN7rocprim17ROCPRIM_400000_NS6detail17trampoline_kernelINS0_14default_configENS1_29reduce_by_key_config_selectorIjjN6thrust23THRUST_200600_302600_NS4plusIjEEEEZZNS1_33reduce_by_key_impl_wrapped_configILNS1_25lookback_scan_determinismE0ES3_S9_NS6_6detail15normal_iteratorINS6_10device_ptrIjEEEESG_NS6_16discard_iteratorINS6_11use_defaultEEESG_PmS8_NS6_8equal_toIjEEEE10hipError_tPvRmT2_T3_mT4_T5_T6_T7_T8_P12ihipStream_tbENKUlT_T0_E_clISt17integral_constantIbLb1EES14_EEDaSZ_S10_EUlSZ_E_NS1_11comp_targetILNS1_3genE10ELNS1_11target_archE1200ELNS1_3gpuE4ELNS1_3repE0EEENS1_30default_config_static_selectorELNS0_4arch9wavefront6targetE1EEEvT1_,"axG",@progbits,_ZN7rocprim17ROCPRIM_400000_NS6detail17trampoline_kernelINS0_14default_configENS1_29reduce_by_key_config_selectorIjjN6thrust23THRUST_200600_302600_NS4plusIjEEEEZZNS1_33reduce_by_key_impl_wrapped_configILNS1_25lookback_scan_determinismE0ES3_S9_NS6_6detail15normal_iteratorINS6_10device_ptrIjEEEESG_NS6_16discard_iteratorINS6_11use_defaultEEESG_PmS8_NS6_8equal_toIjEEEE10hipError_tPvRmT2_T3_mT4_T5_T6_T7_T8_P12ihipStream_tbENKUlT_T0_E_clISt17integral_constantIbLb1EES14_EEDaSZ_S10_EUlSZ_E_NS1_11comp_targetILNS1_3genE10ELNS1_11target_archE1200ELNS1_3gpuE4ELNS1_3repE0EEENS1_30default_config_static_selectorELNS0_4arch9wavefront6targetE1EEEvT1_,comdat
.Lfunc_end928:
	.size	_ZN7rocprim17ROCPRIM_400000_NS6detail17trampoline_kernelINS0_14default_configENS1_29reduce_by_key_config_selectorIjjN6thrust23THRUST_200600_302600_NS4plusIjEEEEZZNS1_33reduce_by_key_impl_wrapped_configILNS1_25lookback_scan_determinismE0ES3_S9_NS6_6detail15normal_iteratorINS6_10device_ptrIjEEEESG_NS6_16discard_iteratorINS6_11use_defaultEEESG_PmS8_NS6_8equal_toIjEEEE10hipError_tPvRmT2_T3_mT4_T5_T6_T7_T8_P12ihipStream_tbENKUlT_T0_E_clISt17integral_constantIbLb1EES14_EEDaSZ_S10_EUlSZ_E_NS1_11comp_targetILNS1_3genE10ELNS1_11target_archE1200ELNS1_3gpuE4ELNS1_3repE0EEENS1_30default_config_static_selectorELNS0_4arch9wavefront6targetE1EEEvT1_, .Lfunc_end928-_ZN7rocprim17ROCPRIM_400000_NS6detail17trampoline_kernelINS0_14default_configENS1_29reduce_by_key_config_selectorIjjN6thrust23THRUST_200600_302600_NS4plusIjEEEEZZNS1_33reduce_by_key_impl_wrapped_configILNS1_25lookback_scan_determinismE0ES3_S9_NS6_6detail15normal_iteratorINS6_10device_ptrIjEEEESG_NS6_16discard_iteratorINS6_11use_defaultEEESG_PmS8_NS6_8equal_toIjEEEE10hipError_tPvRmT2_T3_mT4_T5_T6_T7_T8_P12ihipStream_tbENKUlT_T0_E_clISt17integral_constantIbLb1EES14_EEDaSZ_S10_EUlSZ_E_NS1_11comp_targetILNS1_3genE10ELNS1_11target_archE1200ELNS1_3gpuE4ELNS1_3repE0EEENS1_30default_config_static_selectorELNS0_4arch9wavefront6targetE1EEEvT1_
                                        ; -- End function
	.section	.AMDGPU.csdata,"",@progbits
; Kernel info:
; codeLenInByte = 0
; NumSgprs: 4
; NumVgprs: 0
; NumAgprs: 0
; TotalNumVgprs: 0
; ScratchSize: 0
; MemoryBound: 0
; FloatMode: 240
; IeeeMode: 1
; LDSByteSize: 0 bytes/workgroup (compile time only)
; SGPRBlocks: 0
; VGPRBlocks: 0
; NumSGPRsForWavesPerEU: 4
; NumVGPRsForWavesPerEU: 1
; AccumOffset: 4
; Occupancy: 8
; WaveLimiterHint : 0
; COMPUTE_PGM_RSRC2:SCRATCH_EN: 0
; COMPUTE_PGM_RSRC2:USER_SGPR: 6
; COMPUTE_PGM_RSRC2:TRAP_HANDLER: 0
; COMPUTE_PGM_RSRC2:TGID_X_EN: 1
; COMPUTE_PGM_RSRC2:TGID_Y_EN: 0
; COMPUTE_PGM_RSRC2:TGID_Z_EN: 0
; COMPUTE_PGM_RSRC2:TIDIG_COMP_CNT: 0
; COMPUTE_PGM_RSRC3_GFX90A:ACCUM_OFFSET: 0
; COMPUTE_PGM_RSRC3_GFX90A:TG_SPLIT: 0
	.section	.text._ZN7rocprim17ROCPRIM_400000_NS6detail17trampoline_kernelINS0_14default_configENS1_29reduce_by_key_config_selectorIjjN6thrust23THRUST_200600_302600_NS4plusIjEEEEZZNS1_33reduce_by_key_impl_wrapped_configILNS1_25lookback_scan_determinismE0ES3_S9_NS6_6detail15normal_iteratorINS6_10device_ptrIjEEEESG_NS6_16discard_iteratorINS6_11use_defaultEEESG_PmS8_NS6_8equal_toIjEEEE10hipError_tPvRmT2_T3_mT4_T5_T6_T7_T8_P12ihipStream_tbENKUlT_T0_E_clISt17integral_constantIbLb1EES14_EEDaSZ_S10_EUlSZ_E_NS1_11comp_targetILNS1_3genE9ELNS1_11target_archE1100ELNS1_3gpuE3ELNS1_3repE0EEENS1_30default_config_static_selectorELNS0_4arch9wavefront6targetE1EEEvT1_,"axG",@progbits,_ZN7rocprim17ROCPRIM_400000_NS6detail17trampoline_kernelINS0_14default_configENS1_29reduce_by_key_config_selectorIjjN6thrust23THRUST_200600_302600_NS4plusIjEEEEZZNS1_33reduce_by_key_impl_wrapped_configILNS1_25lookback_scan_determinismE0ES3_S9_NS6_6detail15normal_iteratorINS6_10device_ptrIjEEEESG_NS6_16discard_iteratorINS6_11use_defaultEEESG_PmS8_NS6_8equal_toIjEEEE10hipError_tPvRmT2_T3_mT4_T5_T6_T7_T8_P12ihipStream_tbENKUlT_T0_E_clISt17integral_constantIbLb1EES14_EEDaSZ_S10_EUlSZ_E_NS1_11comp_targetILNS1_3genE9ELNS1_11target_archE1100ELNS1_3gpuE3ELNS1_3repE0EEENS1_30default_config_static_selectorELNS0_4arch9wavefront6targetE1EEEvT1_,comdat
	.protected	_ZN7rocprim17ROCPRIM_400000_NS6detail17trampoline_kernelINS0_14default_configENS1_29reduce_by_key_config_selectorIjjN6thrust23THRUST_200600_302600_NS4plusIjEEEEZZNS1_33reduce_by_key_impl_wrapped_configILNS1_25lookback_scan_determinismE0ES3_S9_NS6_6detail15normal_iteratorINS6_10device_ptrIjEEEESG_NS6_16discard_iteratorINS6_11use_defaultEEESG_PmS8_NS6_8equal_toIjEEEE10hipError_tPvRmT2_T3_mT4_T5_T6_T7_T8_P12ihipStream_tbENKUlT_T0_E_clISt17integral_constantIbLb1EES14_EEDaSZ_S10_EUlSZ_E_NS1_11comp_targetILNS1_3genE9ELNS1_11target_archE1100ELNS1_3gpuE3ELNS1_3repE0EEENS1_30default_config_static_selectorELNS0_4arch9wavefront6targetE1EEEvT1_ ; -- Begin function _ZN7rocprim17ROCPRIM_400000_NS6detail17trampoline_kernelINS0_14default_configENS1_29reduce_by_key_config_selectorIjjN6thrust23THRUST_200600_302600_NS4plusIjEEEEZZNS1_33reduce_by_key_impl_wrapped_configILNS1_25lookback_scan_determinismE0ES3_S9_NS6_6detail15normal_iteratorINS6_10device_ptrIjEEEESG_NS6_16discard_iteratorINS6_11use_defaultEEESG_PmS8_NS6_8equal_toIjEEEE10hipError_tPvRmT2_T3_mT4_T5_T6_T7_T8_P12ihipStream_tbENKUlT_T0_E_clISt17integral_constantIbLb1EES14_EEDaSZ_S10_EUlSZ_E_NS1_11comp_targetILNS1_3genE9ELNS1_11target_archE1100ELNS1_3gpuE3ELNS1_3repE0EEENS1_30default_config_static_selectorELNS0_4arch9wavefront6targetE1EEEvT1_
	.globl	_ZN7rocprim17ROCPRIM_400000_NS6detail17trampoline_kernelINS0_14default_configENS1_29reduce_by_key_config_selectorIjjN6thrust23THRUST_200600_302600_NS4plusIjEEEEZZNS1_33reduce_by_key_impl_wrapped_configILNS1_25lookback_scan_determinismE0ES3_S9_NS6_6detail15normal_iteratorINS6_10device_ptrIjEEEESG_NS6_16discard_iteratorINS6_11use_defaultEEESG_PmS8_NS6_8equal_toIjEEEE10hipError_tPvRmT2_T3_mT4_T5_T6_T7_T8_P12ihipStream_tbENKUlT_T0_E_clISt17integral_constantIbLb1EES14_EEDaSZ_S10_EUlSZ_E_NS1_11comp_targetILNS1_3genE9ELNS1_11target_archE1100ELNS1_3gpuE3ELNS1_3repE0EEENS1_30default_config_static_selectorELNS0_4arch9wavefront6targetE1EEEvT1_
	.p2align	8
	.type	_ZN7rocprim17ROCPRIM_400000_NS6detail17trampoline_kernelINS0_14default_configENS1_29reduce_by_key_config_selectorIjjN6thrust23THRUST_200600_302600_NS4plusIjEEEEZZNS1_33reduce_by_key_impl_wrapped_configILNS1_25lookback_scan_determinismE0ES3_S9_NS6_6detail15normal_iteratorINS6_10device_ptrIjEEEESG_NS6_16discard_iteratorINS6_11use_defaultEEESG_PmS8_NS6_8equal_toIjEEEE10hipError_tPvRmT2_T3_mT4_T5_T6_T7_T8_P12ihipStream_tbENKUlT_T0_E_clISt17integral_constantIbLb1EES14_EEDaSZ_S10_EUlSZ_E_NS1_11comp_targetILNS1_3genE9ELNS1_11target_archE1100ELNS1_3gpuE3ELNS1_3repE0EEENS1_30default_config_static_selectorELNS0_4arch9wavefront6targetE1EEEvT1_,@function
_ZN7rocprim17ROCPRIM_400000_NS6detail17trampoline_kernelINS0_14default_configENS1_29reduce_by_key_config_selectorIjjN6thrust23THRUST_200600_302600_NS4plusIjEEEEZZNS1_33reduce_by_key_impl_wrapped_configILNS1_25lookback_scan_determinismE0ES3_S9_NS6_6detail15normal_iteratorINS6_10device_ptrIjEEEESG_NS6_16discard_iteratorINS6_11use_defaultEEESG_PmS8_NS6_8equal_toIjEEEE10hipError_tPvRmT2_T3_mT4_T5_T6_T7_T8_P12ihipStream_tbENKUlT_T0_E_clISt17integral_constantIbLb1EES14_EEDaSZ_S10_EUlSZ_E_NS1_11comp_targetILNS1_3genE9ELNS1_11target_archE1100ELNS1_3gpuE3ELNS1_3repE0EEENS1_30default_config_static_selectorELNS0_4arch9wavefront6targetE1EEEvT1_: ; @_ZN7rocprim17ROCPRIM_400000_NS6detail17trampoline_kernelINS0_14default_configENS1_29reduce_by_key_config_selectorIjjN6thrust23THRUST_200600_302600_NS4plusIjEEEEZZNS1_33reduce_by_key_impl_wrapped_configILNS1_25lookback_scan_determinismE0ES3_S9_NS6_6detail15normal_iteratorINS6_10device_ptrIjEEEESG_NS6_16discard_iteratorINS6_11use_defaultEEESG_PmS8_NS6_8equal_toIjEEEE10hipError_tPvRmT2_T3_mT4_T5_T6_T7_T8_P12ihipStream_tbENKUlT_T0_E_clISt17integral_constantIbLb1EES14_EEDaSZ_S10_EUlSZ_E_NS1_11comp_targetILNS1_3genE9ELNS1_11target_archE1100ELNS1_3gpuE3ELNS1_3repE0EEENS1_30default_config_static_selectorELNS0_4arch9wavefront6targetE1EEEvT1_
; %bb.0:
	.section	.rodata,"a",@progbits
	.p2align	6, 0x0
	.amdhsa_kernel _ZN7rocprim17ROCPRIM_400000_NS6detail17trampoline_kernelINS0_14default_configENS1_29reduce_by_key_config_selectorIjjN6thrust23THRUST_200600_302600_NS4plusIjEEEEZZNS1_33reduce_by_key_impl_wrapped_configILNS1_25lookback_scan_determinismE0ES3_S9_NS6_6detail15normal_iteratorINS6_10device_ptrIjEEEESG_NS6_16discard_iteratorINS6_11use_defaultEEESG_PmS8_NS6_8equal_toIjEEEE10hipError_tPvRmT2_T3_mT4_T5_T6_T7_T8_P12ihipStream_tbENKUlT_T0_E_clISt17integral_constantIbLb1EES14_EEDaSZ_S10_EUlSZ_E_NS1_11comp_targetILNS1_3genE9ELNS1_11target_archE1100ELNS1_3gpuE3ELNS1_3repE0EEENS1_30default_config_static_selectorELNS0_4arch9wavefront6targetE1EEEvT1_
		.amdhsa_group_segment_fixed_size 0
		.amdhsa_private_segment_fixed_size 0
		.amdhsa_kernarg_size 128
		.amdhsa_user_sgpr_count 6
		.amdhsa_user_sgpr_private_segment_buffer 1
		.amdhsa_user_sgpr_dispatch_ptr 0
		.amdhsa_user_sgpr_queue_ptr 0
		.amdhsa_user_sgpr_kernarg_segment_ptr 1
		.amdhsa_user_sgpr_dispatch_id 0
		.amdhsa_user_sgpr_flat_scratch_init 0
		.amdhsa_user_sgpr_kernarg_preload_length 0
		.amdhsa_user_sgpr_kernarg_preload_offset 0
		.amdhsa_user_sgpr_private_segment_size 0
		.amdhsa_uses_dynamic_stack 0
		.amdhsa_system_sgpr_private_segment_wavefront_offset 0
		.amdhsa_system_sgpr_workgroup_id_x 1
		.amdhsa_system_sgpr_workgroup_id_y 0
		.amdhsa_system_sgpr_workgroup_id_z 0
		.amdhsa_system_sgpr_workgroup_info 0
		.amdhsa_system_vgpr_workitem_id 0
		.amdhsa_next_free_vgpr 1
		.amdhsa_next_free_sgpr 0
		.amdhsa_accum_offset 4
		.amdhsa_reserve_vcc 0
		.amdhsa_reserve_flat_scratch 0
		.amdhsa_float_round_mode_32 0
		.amdhsa_float_round_mode_16_64 0
		.amdhsa_float_denorm_mode_32 3
		.amdhsa_float_denorm_mode_16_64 3
		.amdhsa_dx10_clamp 1
		.amdhsa_ieee_mode 1
		.amdhsa_fp16_overflow 0
		.amdhsa_tg_split 0
		.amdhsa_exception_fp_ieee_invalid_op 0
		.amdhsa_exception_fp_denorm_src 0
		.amdhsa_exception_fp_ieee_div_zero 0
		.amdhsa_exception_fp_ieee_overflow 0
		.amdhsa_exception_fp_ieee_underflow 0
		.amdhsa_exception_fp_ieee_inexact 0
		.amdhsa_exception_int_div_zero 0
	.end_amdhsa_kernel
	.section	.text._ZN7rocprim17ROCPRIM_400000_NS6detail17trampoline_kernelINS0_14default_configENS1_29reduce_by_key_config_selectorIjjN6thrust23THRUST_200600_302600_NS4plusIjEEEEZZNS1_33reduce_by_key_impl_wrapped_configILNS1_25lookback_scan_determinismE0ES3_S9_NS6_6detail15normal_iteratorINS6_10device_ptrIjEEEESG_NS6_16discard_iteratorINS6_11use_defaultEEESG_PmS8_NS6_8equal_toIjEEEE10hipError_tPvRmT2_T3_mT4_T5_T6_T7_T8_P12ihipStream_tbENKUlT_T0_E_clISt17integral_constantIbLb1EES14_EEDaSZ_S10_EUlSZ_E_NS1_11comp_targetILNS1_3genE9ELNS1_11target_archE1100ELNS1_3gpuE3ELNS1_3repE0EEENS1_30default_config_static_selectorELNS0_4arch9wavefront6targetE1EEEvT1_,"axG",@progbits,_ZN7rocprim17ROCPRIM_400000_NS6detail17trampoline_kernelINS0_14default_configENS1_29reduce_by_key_config_selectorIjjN6thrust23THRUST_200600_302600_NS4plusIjEEEEZZNS1_33reduce_by_key_impl_wrapped_configILNS1_25lookback_scan_determinismE0ES3_S9_NS6_6detail15normal_iteratorINS6_10device_ptrIjEEEESG_NS6_16discard_iteratorINS6_11use_defaultEEESG_PmS8_NS6_8equal_toIjEEEE10hipError_tPvRmT2_T3_mT4_T5_T6_T7_T8_P12ihipStream_tbENKUlT_T0_E_clISt17integral_constantIbLb1EES14_EEDaSZ_S10_EUlSZ_E_NS1_11comp_targetILNS1_3genE9ELNS1_11target_archE1100ELNS1_3gpuE3ELNS1_3repE0EEENS1_30default_config_static_selectorELNS0_4arch9wavefront6targetE1EEEvT1_,comdat
.Lfunc_end929:
	.size	_ZN7rocprim17ROCPRIM_400000_NS6detail17trampoline_kernelINS0_14default_configENS1_29reduce_by_key_config_selectorIjjN6thrust23THRUST_200600_302600_NS4plusIjEEEEZZNS1_33reduce_by_key_impl_wrapped_configILNS1_25lookback_scan_determinismE0ES3_S9_NS6_6detail15normal_iteratorINS6_10device_ptrIjEEEESG_NS6_16discard_iteratorINS6_11use_defaultEEESG_PmS8_NS6_8equal_toIjEEEE10hipError_tPvRmT2_T3_mT4_T5_T6_T7_T8_P12ihipStream_tbENKUlT_T0_E_clISt17integral_constantIbLb1EES14_EEDaSZ_S10_EUlSZ_E_NS1_11comp_targetILNS1_3genE9ELNS1_11target_archE1100ELNS1_3gpuE3ELNS1_3repE0EEENS1_30default_config_static_selectorELNS0_4arch9wavefront6targetE1EEEvT1_, .Lfunc_end929-_ZN7rocprim17ROCPRIM_400000_NS6detail17trampoline_kernelINS0_14default_configENS1_29reduce_by_key_config_selectorIjjN6thrust23THRUST_200600_302600_NS4plusIjEEEEZZNS1_33reduce_by_key_impl_wrapped_configILNS1_25lookback_scan_determinismE0ES3_S9_NS6_6detail15normal_iteratorINS6_10device_ptrIjEEEESG_NS6_16discard_iteratorINS6_11use_defaultEEESG_PmS8_NS6_8equal_toIjEEEE10hipError_tPvRmT2_T3_mT4_T5_T6_T7_T8_P12ihipStream_tbENKUlT_T0_E_clISt17integral_constantIbLb1EES14_EEDaSZ_S10_EUlSZ_E_NS1_11comp_targetILNS1_3genE9ELNS1_11target_archE1100ELNS1_3gpuE3ELNS1_3repE0EEENS1_30default_config_static_selectorELNS0_4arch9wavefront6targetE1EEEvT1_
                                        ; -- End function
	.section	.AMDGPU.csdata,"",@progbits
; Kernel info:
; codeLenInByte = 0
; NumSgprs: 4
; NumVgprs: 0
; NumAgprs: 0
; TotalNumVgprs: 0
; ScratchSize: 0
; MemoryBound: 0
; FloatMode: 240
; IeeeMode: 1
; LDSByteSize: 0 bytes/workgroup (compile time only)
; SGPRBlocks: 0
; VGPRBlocks: 0
; NumSGPRsForWavesPerEU: 4
; NumVGPRsForWavesPerEU: 1
; AccumOffset: 4
; Occupancy: 8
; WaveLimiterHint : 0
; COMPUTE_PGM_RSRC2:SCRATCH_EN: 0
; COMPUTE_PGM_RSRC2:USER_SGPR: 6
; COMPUTE_PGM_RSRC2:TRAP_HANDLER: 0
; COMPUTE_PGM_RSRC2:TGID_X_EN: 1
; COMPUTE_PGM_RSRC2:TGID_Y_EN: 0
; COMPUTE_PGM_RSRC2:TGID_Z_EN: 0
; COMPUTE_PGM_RSRC2:TIDIG_COMP_CNT: 0
; COMPUTE_PGM_RSRC3_GFX90A:ACCUM_OFFSET: 0
; COMPUTE_PGM_RSRC3_GFX90A:TG_SPLIT: 0
	.section	.text._ZN7rocprim17ROCPRIM_400000_NS6detail17trampoline_kernelINS0_14default_configENS1_29reduce_by_key_config_selectorIjjN6thrust23THRUST_200600_302600_NS4plusIjEEEEZZNS1_33reduce_by_key_impl_wrapped_configILNS1_25lookback_scan_determinismE0ES3_S9_NS6_6detail15normal_iteratorINS6_10device_ptrIjEEEESG_NS6_16discard_iteratorINS6_11use_defaultEEESG_PmS8_NS6_8equal_toIjEEEE10hipError_tPvRmT2_T3_mT4_T5_T6_T7_T8_P12ihipStream_tbENKUlT_T0_E_clISt17integral_constantIbLb1EES14_EEDaSZ_S10_EUlSZ_E_NS1_11comp_targetILNS1_3genE8ELNS1_11target_archE1030ELNS1_3gpuE2ELNS1_3repE0EEENS1_30default_config_static_selectorELNS0_4arch9wavefront6targetE1EEEvT1_,"axG",@progbits,_ZN7rocprim17ROCPRIM_400000_NS6detail17trampoline_kernelINS0_14default_configENS1_29reduce_by_key_config_selectorIjjN6thrust23THRUST_200600_302600_NS4plusIjEEEEZZNS1_33reduce_by_key_impl_wrapped_configILNS1_25lookback_scan_determinismE0ES3_S9_NS6_6detail15normal_iteratorINS6_10device_ptrIjEEEESG_NS6_16discard_iteratorINS6_11use_defaultEEESG_PmS8_NS6_8equal_toIjEEEE10hipError_tPvRmT2_T3_mT4_T5_T6_T7_T8_P12ihipStream_tbENKUlT_T0_E_clISt17integral_constantIbLb1EES14_EEDaSZ_S10_EUlSZ_E_NS1_11comp_targetILNS1_3genE8ELNS1_11target_archE1030ELNS1_3gpuE2ELNS1_3repE0EEENS1_30default_config_static_selectorELNS0_4arch9wavefront6targetE1EEEvT1_,comdat
	.protected	_ZN7rocprim17ROCPRIM_400000_NS6detail17trampoline_kernelINS0_14default_configENS1_29reduce_by_key_config_selectorIjjN6thrust23THRUST_200600_302600_NS4plusIjEEEEZZNS1_33reduce_by_key_impl_wrapped_configILNS1_25lookback_scan_determinismE0ES3_S9_NS6_6detail15normal_iteratorINS6_10device_ptrIjEEEESG_NS6_16discard_iteratorINS6_11use_defaultEEESG_PmS8_NS6_8equal_toIjEEEE10hipError_tPvRmT2_T3_mT4_T5_T6_T7_T8_P12ihipStream_tbENKUlT_T0_E_clISt17integral_constantIbLb1EES14_EEDaSZ_S10_EUlSZ_E_NS1_11comp_targetILNS1_3genE8ELNS1_11target_archE1030ELNS1_3gpuE2ELNS1_3repE0EEENS1_30default_config_static_selectorELNS0_4arch9wavefront6targetE1EEEvT1_ ; -- Begin function _ZN7rocprim17ROCPRIM_400000_NS6detail17trampoline_kernelINS0_14default_configENS1_29reduce_by_key_config_selectorIjjN6thrust23THRUST_200600_302600_NS4plusIjEEEEZZNS1_33reduce_by_key_impl_wrapped_configILNS1_25lookback_scan_determinismE0ES3_S9_NS6_6detail15normal_iteratorINS6_10device_ptrIjEEEESG_NS6_16discard_iteratorINS6_11use_defaultEEESG_PmS8_NS6_8equal_toIjEEEE10hipError_tPvRmT2_T3_mT4_T5_T6_T7_T8_P12ihipStream_tbENKUlT_T0_E_clISt17integral_constantIbLb1EES14_EEDaSZ_S10_EUlSZ_E_NS1_11comp_targetILNS1_3genE8ELNS1_11target_archE1030ELNS1_3gpuE2ELNS1_3repE0EEENS1_30default_config_static_selectorELNS0_4arch9wavefront6targetE1EEEvT1_
	.globl	_ZN7rocprim17ROCPRIM_400000_NS6detail17trampoline_kernelINS0_14default_configENS1_29reduce_by_key_config_selectorIjjN6thrust23THRUST_200600_302600_NS4plusIjEEEEZZNS1_33reduce_by_key_impl_wrapped_configILNS1_25lookback_scan_determinismE0ES3_S9_NS6_6detail15normal_iteratorINS6_10device_ptrIjEEEESG_NS6_16discard_iteratorINS6_11use_defaultEEESG_PmS8_NS6_8equal_toIjEEEE10hipError_tPvRmT2_T3_mT4_T5_T6_T7_T8_P12ihipStream_tbENKUlT_T0_E_clISt17integral_constantIbLb1EES14_EEDaSZ_S10_EUlSZ_E_NS1_11comp_targetILNS1_3genE8ELNS1_11target_archE1030ELNS1_3gpuE2ELNS1_3repE0EEENS1_30default_config_static_selectorELNS0_4arch9wavefront6targetE1EEEvT1_
	.p2align	8
	.type	_ZN7rocprim17ROCPRIM_400000_NS6detail17trampoline_kernelINS0_14default_configENS1_29reduce_by_key_config_selectorIjjN6thrust23THRUST_200600_302600_NS4plusIjEEEEZZNS1_33reduce_by_key_impl_wrapped_configILNS1_25lookback_scan_determinismE0ES3_S9_NS6_6detail15normal_iteratorINS6_10device_ptrIjEEEESG_NS6_16discard_iteratorINS6_11use_defaultEEESG_PmS8_NS6_8equal_toIjEEEE10hipError_tPvRmT2_T3_mT4_T5_T6_T7_T8_P12ihipStream_tbENKUlT_T0_E_clISt17integral_constantIbLb1EES14_EEDaSZ_S10_EUlSZ_E_NS1_11comp_targetILNS1_3genE8ELNS1_11target_archE1030ELNS1_3gpuE2ELNS1_3repE0EEENS1_30default_config_static_selectorELNS0_4arch9wavefront6targetE1EEEvT1_,@function
_ZN7rocprim17ROCPRIM_400000_NS6detail17trampoline_kernelINS0_14default_configENS1_29reduce_by_key_config_selectorIjjN6thrust23THRUST_200600_302600_NS4plusIjEEEEZZNS1_33reduce_by_key_impl_wrapped_configILNS1_25lookback_scan_determinismE0ES3_S9_NS6_6detail15normal_iteratorINS6_10device_ptrIjEEEESG_NS6_16discard_iteratorINS6_11use_defaultEEESG_PmS8_NS6_8equal_toIjEEEE10hipError_tPvRmT2_T3_mT4_T5_T6_T7_T8_P12ihipStream_tbENKUlT_T0_E_clISt17integral_constantIbLb1EES14_EEDaSZ_S10_EUlSZ_E_NS1_11comp_targetILNS1_3genE8ELNS1_11target_archE1030ELNS1_3gpuE2ELNS1_3repE0EEENS1_30default_config_static_selectorELNS0_4arch9wavefront6targetE1EEEvT1_: ; @_ZN7rocprim17ROCPRIM_400000_NS6detail17trampoline_kernelINS0_14default_configENS1_29reduce_by_key_config_selectorIjjN6thrust23THRUST_200600_302600_NS4plusIjEEEEZZNS1_33reduce_by_key_impl_wrapped_configILNS1_25lookback_scan_determinismE0ES3_S9_NS6_6detail15normal_iteratorINS6_10device_ptrIjEEEESG_NS6_16discard_iteratorINS6_11use_defaultEEESG_PmS8_NS6_8equal_toIjEEEE10hipError_tPvRmT2_T3_mT4_T5_T6_T7_T8_P12ihipStream_tbENKUlT_T0_E_clISt17integral_constantIbLb1EES14_EEDaSZ_S10_EUlSZ_E_NS1_11comp_targetILNS1_3genE8ELNS1_11target_archE1030ELNS1_3gpuE2ELNS1_3repE0EEENS1_30default_config_static_selectorELNS0_4arch9wavefront6targetE1EEEvT1_
; %bb.0:
	.section	.rodata,"a",@progbits
	.p2align	6, 0x0
	.amdhsa_kernel _ZN7rocprim17ROCPRIM_400000_NS6detail17trampoline_kernelINS0_14default_configENS1_29reduce_by_key_config_selectorIjjN6thrust23THRUST_200600_302600_NS4plusIjEEEEZZNS1_33reduce_by_key_impl_wrapped_configILNS1_25lookback_scan_determinismE0ES3_S9_NS6_6detail15normal_iteratorINS6_10device_ptrIjEEEESG_NS6_16discard_iteratorINS6_11use_defaultEEESG_PmS8_NS6_8equal_toIjEEEE10hipError_tPvRmT2_T3_mT4_T5_T6_T7_T8_P12ihipStream_tbENKUlT_T0_E_clISt17integral_constantIbLb1EES14_EEDaSZ_S10_EUlSZ_E_NS1_11comp_targetILNS1_3genE8ELNS1_11target_archE1030ELNS1_3gpuE2ELNS1_3repE0EEENS1_30default_config_static_selectorELNS0_4arch9wavefront6targetE1EEEvT1_
		.amdhsa_group_segment_fixed_size 0
		.amdhsa_private_segment_fixed_size 0
		.amdhsa_kernarg_size 128
		.amdhsa_user_sgpr_count 6
		.amdhsa_user_sgpr_private_segment_buffer 1
		.amdhsa_user_sgpr_dispatch_ptr 0
		.amdhsa_user_sgpr_queue_ptr 0
		.amdhsa_user_sgpr_kernarg_segment_ptr 1
		.amdhsa_user_sgpr_dispatch_id 0
		.amdhsa_user_sgpr_flat_scratch_init 0
		.amdhsa_user_sgpr_kernarg_preload_length 0
		.amdhsa_user_sgpr_kernarg_preload_offset 0
		.amdhsa_user_sgpr_private_segment_size 0
		.amdhsa_uses_dynamic_stack 0
		.amdhsa_system_sgpr_private_segment_wavefront_offset 0
		.amdhsa_system_sgpr_workgroup_id_x 1
		.amdhsa_system_sgpr_workgroup_id_y 0
		.amdhsa_system_sgpr_workgroup_id_z 0
		.amdhsa_system_sgpr_workgroup_info 0
		.amdhsa_system_vgpr_workitem_id 0
		.amdhsa_next_free_vgpr 1
		.amdhsa_next_free_sgpr 0
		.amdhsa_accum_offset 4
		.amdhsa_reserve_vcc 0
		.amdhsa_reserve_flat_scratch 0
		.amdhsa_float_round_mode_32 0
		.amdhsa_float_round_mode_16_64 0
		.amdhsa_float_denorm_mode_32 3
		.amdhsa_float_denorm_mode_16_64 3
		.amdhsa_dx10_clamp 1
		.amdhsa_ieee_mode 1
		.amdhsa_fp16_overflow 0
		.amdhsa_tg_split 0
		.amdhsa_exception_fp_ieee_invalid_op 0
		.amdhsa_exception_fp_denorm_src 0
		.amdhsa_exception_fp_ieee_div_zero 0
		.amdhsa_exception_fp_ieee_overflow 0
		.amdhsa_exception_fp_ieee_underflow 0
		.amdhsa_exception_fp_ieee_inexact 0
		.amdhsa_exception_int_div_zero 0
	.end_amdhsa_kernel
	.section	.text._ZN7rocprim17ROCPRIM_400000_NS6detail17trampoline_kernelINS0_14default_configENS1_29reduce_by_key_config_selectorIjjN6thrust23THRUST_200600_302600_NS4plusIjEEEEZZNS1_33reduce_by_key_impl_wrapped_configILNS1_25lookback_scan_determinismE0ES3_S9_NS6_6detail15normal_iteratorINS6_10device_ptrIjEEEESG_NS6_16discard_iteratorINS6_11use_defaultEEESG_PmS8_NS6_8equal_toIjEEEE10hipError_tPvRmT2_T3_mT4_T5_T6_T7_T8_P12ihipStream_tbENKUlT_T0_E_clISt17integral_constantIbLb1EES14_EEDaSZ_S10_EUlSZ_E_NS1_11comp_targetILNS1_3genE8ELNS1_11target_archE1030ELNS1_3gpuE2ELNS1_3repE0EEENS1_30default_config_static_selectorELNS0_4arch9wavefront6targetE1EEEvT1_,"axG",@progbits,_ZN7rocprim17ROCPRIM_400000_NS6detail17trampoline_kernelINS0_14default_configENS1_29reduce_by_key_config_selectorIjjN6thrust23THRUST_200600_302600_NS4plusIjEEEEZZNS1_33reduce_by_key_impl_wrapped_configILNS1_25lookback_scan_determinismE0ES3_S9_NS6_6detail15normal_iteratorINS6_10device_ptrIjEEEESG_NS6_16discard_iteratorINS6_11use_defaultEEESG_PmS8_NS6_8equal_toIjEEEE10hipError_tPvRmT2_T3_mT4_T5_T6_T7_T8_P12ihipStream_tbENKUlT_T0_E_clISt17integral_constantIbLb1EES14_EEDaSZ_S10_EUlSZ_E_NS1_11comp_targetILNS1_3genE8ELNS1_11target_archE1030ELNS1_3gpuE2ELNS1_3repE0EEENS1_30default_config_static_selectorELNS0_4arch9wavefront6targetE1EEEvT1_,comdat
.Lfunc_end930:
	.size	_ZN7rocprim17ROCPRIM_400000_NS6detail17trampoline_kernelINS0_14default_configENS1_29reduce_by_key_config_selectorIjjN6thrust23THRUST_200600_302600_NS4plusIjEEEEZZNS1_33reduce_by_key_impl_wrapped_configILNS1_25lookback_scan_determinismE0ES3_S9_NS6_6detail15normal_iteratorINS6_10device_ptrIjEEEESG_NS6_16discard_iteratorINS6_11use_defaultEEESG_PmS8_NS6_8equal_toIjEEEE10hipError_tPvRmT2_T3_mT4_T5_T6_T7_T8_P12ihipStream_tbENKUlT_T0_E_clISt17integral_constantIbLb1EES14_EEDaSZ_S10_EUlSZ_E_NS1_11comp_targetILNS1_3genE8ELNS1_11target_archE1030ELNS1_3gpuE2ELNS1_3repE0EEENS1_30default_config_static_selectorELNS0_4arch9wavefront6targetE1EEEvT1_, .Lfunc_end930-_ZN7rocprim17ROCPRIM_400000_NS6detail17trampoline_kernelINS0_14default_configENS1_29reduce_by_key_config_selectorIjjN6thrust23THRUST_200600_302600_NS4plusIjEEEEZZNS1_33reduce_by_key_impl_wrapped_configILNS1_25lookback_scan_determinismE0ES3_S9_NS6_6detail15normal_iteratorINS6_10device_ptrIjEEEESG_NS6_16discard_iteratorINS6_11use_defaultEEESG_PmS8_NS6_8equal_toIjEEEE10hipError_tPvRmT2_T3_mT4_T5_T6_T7_T8_P12ihipStream_tbENKUlT_T0_E_clISt17integral_constantIbLb1EES14_EEDaSZ_S10_EUlSZ_E_NS1_11comp_targetILNS1_3genE8ELNS1_11target_archE1030ELNS1_3gpuE2ELNS1_3repE0EEENS1_30default_config_static_selectorELNS0_4arch9wavefront6targetE1EEEvT1_
                                        ; -- End function
	.section	.AMDGPU.csdata,"",@progbits
; Kernel info:
; codeLenInByte = 0
; NumSgprs: 4
; NumVgprs: 0
; NumAgprs: 0
; TotalNumVgprs: 0
; ScratchSize: 0
; MemoryBound: 0
; FloatMode: 240
; IeeeMode: 1
; LDSByteSize: 0 bytes/workgroup (compile time only)
; SGPRBlocks: 0
; VGPRBlocks: 0
; NumSGPRsForWavesPerEU: 4
; NumVGPRsForWavesPerEU: 1
; AccumOffset: 4
; Occupancy: 8
; WaveLimiterHint : 0
; COMPUTE_PGM_RSRC2:SCRATCH_EN: 0
; COMPUTE_PGM_RSRC2:USER_SGPR: 6
; COMPUTE_PGM_RSRC2:TRAP_HANDLER: 0
; COMPUTE_PGM_RSRC2:TGID_X_EN: 1
; COMPUTE_PGM_RSRC2:TGID_Y_EN: 0
; COMPUTE_PGM_RSRC2:TGID_Z_EN: 0
; COMPUTE_PGM_RSRC2:TIDIG_COMP_CNT: 0
; COMPUTE_PGM_RSRC3_GFX90A:ACCUM_OFFSET: 0
; COMPUTE_PGM_RSRC3_GFX90A:TG_SPLIT: 0
	.section	.text._ZN7rocprim17ROCPRIM_400000_NS6detail17trampoline_kernelINS0_14default_configENS1_29reduce_by_key_config_selectorIjjN6thrust23THRUST_200600_302600_NS4plusIjEEEEZZNS1_33reduce_by_key_impl_wrapped_configILNS1_25lookback_scan_determinismE0ES3_S9_NS6_6detail15normal_iteratorINS6_10device_ptrIjEEEESG_NS6_16discard_iteratorINS6_11use_defaultEEESG_PmS8_NS6_8equal_toIjEEEE10hipError_tPvRmT2_T3_mT4_T5_T6_T7_T8_P12ihipStream_tbENKUlT_T0_E_clISt17integral_constantIbLb1EES13_IbLb0EEEEDaSZ_S10_EUlSZ_E_NS1_11comp_targetILNS1_3genE0ELNS1_11target_archE4294967295ELNS1_3gpuE0ELNS1_3repE0EEENS1_30default_config_static_selectorELNS0_4arch9wavefront6targetE1EEEvT1_,"axG",@progbits,_ZN7rocprim17ROCPRIM_400000_NS6detail17trampoline_kernelINS0_14default_configENS1_29reduce_by_key_config_selectorIjjN6thrust23THRUST_200600_302600_NS4plusIjEEEEZZNS1_33reduce_by_key_impl_wrapped_configILNS1_25lookback_scan_determinismE0ES3_S9_NS6_6detail15normal_iteratorINS6_10device_ptrIjEEEESG_NS6_16discard_iteratorINS6_11use_defaultEEESG_PmS8_NS6_8equal_toIjEEEE10hipError_tPvRmT2_T3_mT4_T5_T6_T7_T8_P12ihipStream_tbENKUlT_T0_E_clISt17integral_constantIbLb1EES13_IbLb0EEEEDaSZ_S10_EUlSZ_E_NS1_11comp_targetILNS1_3genE0ELNS1_11target_archE4294967295ELNS1_3gpuE0ELNS1_3repE0EEENS1_30default_config_static_selectorELNS0_4arch9wavefront6targetE1EEEvT1_,comdat
	.protected	_ZN7rocprim17ROCPRIM_400000_NS6detail17trampoline_kernelINS0_14default_configENS1_29reduce_by_key_config_selectorIjjN6thrust23THRUST_200600_302600_NS4plusIjEEEEZZNS1_33reduce_by_key_impl_wrapped_configILNS1_25lookback_scan_determinismE0ES3_S9_NS6_6detail15normal_iteratorINS6_10device_ptrIjEEEESG_NS6_16discard_iteratorINS6_11use_defaultEEESG_PmS8_NS6_8equal_toIjEEEE10hipError_tPvRmT2_T3_mT4_T5_T6_T7_T8_P12ihipStream_tbENKUlT_T0_E_clISt17integral_constantIbLb1EES13_IbLb0EEEEDaSZ_S10_EUlSZ_E_NS1_11comp_targetILNS1_3genE0ELNS1_11target_archE4294967295ELNS1_3gpuE0ELNS1_3repE0EEENS1_30default_config_static_selectorELNS0_4arch9wavefront6targetE1EEEvT1_ ; -- Begin function _ZN7rocprim17ROCPRIM_400000_NS6detail17trampoline_kernelINS0_14default_configENS1_29reduce_by_key_config_selectorIjjN6thrust23THRUST_200600_302600_NS4plusIjEEEEZZNS1_33reduce_by_key_impl_wrapped_configILNS1_25lookback_scan_determinismE0ES3_S9_NS6_6detail15normal_iteratorINS6_10device_ptrIjEEEESG_NS6_16discard_iteratorINS6_11use_defaultEEESG_PmS8_NS6_8equal_toIjEEEE10hipError_tPvRmT2_T3_mT4_T5_T6_T7_T8_P12ihipStream_tbENKUlT_T0_E_clISt17integral_constantIbLb1EES13_IbLb0EEEEDaSZ_S10_EUlSZ_E_NS1_11comp_targetILNS1_3genE0ELNS1_11target_archE4294967295ELNS1_3gpuE0ELNS1_3repE0EEENS1_30default_config_static_selectorELNS0_4arch9wavefront6targetE1EEEvT1_
	.globl	_ZN7rocprim17ROCPRIM_400000_NS6detail17trampoline_kernelINS0_14default_configENS1_29reduce_by_key_config_selectorIjjN6thrust23THRUST_200600_302600_NS4plusIjEEEEZZNS1_33reduce_by_key_impl_wrapped_configILNS1_25lookback_scan_determinismE0ES3_S9_NS6_6detail15normal_iteratorINS6_10device_ptrIjEEEESG_NS6_16discard_iteratorINS6_11use_defaultEEESG_PmS8_NS6_8equal_toIjEEEE10hipError_tPvRmT2_T3_mT4_T5_T6_T7_T8_P12ihipStream_tbENKUlT_T0_E_clISt17integral_constantIbLb1EES13_IbLb0EEEEDaSZ_S10_EUlSZ_E_NS1_11comp_targetILNS1_3genE0ELNS1_11target_archE4294967295ELNS1_3gpuE0ELNS1_3repE0EEENS1_30default_config_static_selectorELNS0_4arch9wavefront6targetE1EEEvT1_
	.p2align	8
	.type	_ZN7rocprim17ROCPRIM_400000_NS6detail17trampoline_kernelINS0_14default_configENS1_29reduce_by_key_config_selectorIjjN6thrust23THRUST_200600_302600_NS4plusIjEEEEZZNS1_33reduce_by_key_impl_wrapped_configILNS1_25lookback_scan_determinismE0ES3_S9_NS6_6detail15normal_iteratorINS6_10device_ptrIjEEEESG_NS6_16discard_iteratorINS6_11use_defaultEEESG_PmS8_NS6_8equal_toIjEEEE10hipError_tPvRmT2_T3_mT4_T5_T6_T7_T8_P12ihipStream_tbENKUlT_T0_E_clISt17integral_constantIbLb1EES13_IbLb0EEEEDaSZ_S10_EUlSZ_E_NS1_11comp_targetILNS1_3genE0ELNS1_11target_archE4294967295ELNS1_3gpuE0ELNS1_3repE0EEENS1_30default_config_static_selectorELNS0_4arch9wavefront6targetE1EEEvT1_,@function
_ZN7rocprim17ROCPRIM_400000_NS6detail17trampoline_kernelINS0_14default_configENS1_29reduce_by_key_config_selectorIjjN6thrust23THRUST_200600_302600_NS4plusIjEEEEZZNS1_33reduce_by_key_impl_wrapped_configILNS1_25lookback_scan_determinismE0ES3_S9_NS6_6detail15normal_iteratorINS6_10device_ptrIjEEEESG_NS6_16discard_iteratorINS6_11use_defaultEEESG_PmS8_NS6_8equal_toIjEEEE10hipError_tPvRmT2_T3_mT4_T5_T6_T7_T8_P12ihipStream_tbENKUlT_T0_E_clISt17integral_constantIbLb1EES13_IbLb0EEEEDaSZ_S10_EUlSZ_E_NS1_11comp_targetILNS1_3genE0ELNS1_11target_archE4294967295ELNS1_3gpuE0ELNS1_3repE0EEENS1_30default_config_static_selectorELNS0_4arch9wavefront6targetE1EEEvT1_: ; @_ZN7rocprim17ROCPRIM_400000_NS6detail17trampoline_kernelINS0_14default_configENS1_29reduce_by_key_config_selectorIjjN6thrust23THRUST_200600_302600_NS4plusIjEEEEZZNS1_33reduce_by_key_impl_wrapped_configILNS1_25lookback_scan_determinismE0ES3_S9_NS6_6detail15normal_iteratorINS6_10device_ptrIjEEEESG_NS6_16discard_iteratorINS6_11use_defaultEEESG_PmS8_NS6_8equal_toIjEEEE10hipError_tPvRmT2_T3_mT4_T5_T6_T7_T8_P12ihipStream_tbENKUlT_T0_E_clISt17integral_constantIbLb1EES13_IbLb0EEEEDaSZ_S10_EUlSZ_E_NS1_11comp_targetILNS1_3genE0ELNS1_11target_archE4294967295ELNS1_3gpuE0ELNS1_3repE0EEENS1_30default_config_static_selectorELNS0_4arch9wavefront6targetE1EEEvT1_
; %bb.0:
	.section	.rodata,"a",@progbits
	.p2align	6, 0x0
	.amdhsa_kernel _ZN7rocprim17ROCPRIM_400000_NS6detail17trampoline_kernelINS0_14default_configENS1_29reduce_by_key_config_selectorIjjN6thrust23THRUST_200600_302600_NS4plusIjEEEEZZNS1_33reduce_by_key_impl_wrapped_configILNS1_25lookback_scan_determinismE0ES3_S9_NS6_6detail15normal_iteratorINS6_10device_ptrIjEEEESG_NS6_16discard_iteratorINS6_11use_defaultEEESG_PmS8_NS6_8equal_toIjEEEE10hipError_tPvRmT2_T3_mT4_T5_T6_T7_T8_P12ihipStream_tbENKUlT_T0_E_clISt17integral_constantIbLb1EES13_IbLb0EEEEDaSZ_S10_EUlSZ_E_NS1_11comp_targetILNS1_3genE0ELNS1_11target_archE4294967295ELNS1_3gpuE0ELNS1_3repE0EEENS1_30default_config_static_selectorELNS0_4arch9wavefront6targetE1EEEvT1_
		.amdhsa_group_segment_fixed_size 0
		.amdhsa_private_segment_fixed_size 0
		.amdhsa_kernarg_size 128
		.amdhsa_user_sgpr_count 6
		.amdhsa_user_sgpr_private_segment_buffer 1
		.amdhsa_user_sgpr_dispatch_ptr 0
		.amdhsa_user_sgpr_queue_ptr 0
		.amdhsa_user_sgpr_kernarg_segment_ptr 1
		.amdhsa_user_sgpr_dispatch_id 0
		.amdhsa_user_sgpr_flat_scratch_init 0
		.amdhsa_user_sgpr_kernarg_preload_length 0
		.amdhsa_user_sgpr_kernarg_preload_offset 0
		.amdhsa_user_sgpr_private_segment_size 0
		.amdhsa_uses_dynamic_stack 0
		.amdhsa_system_sgpr_private_segment_wavefront_offset 0
		.amdhsa_system_sgpr_workgroup_id_x 1
		.amdhsa_system_sgpr_workgroup_id_y 0
		.amdhsa_system_sgpr_workgroup_id_z 0
		.amdhsa_system_sgpr_workgroup_info 0
		.amdhsa_system_vgpr_workitem_id 0
		.amdhsa_next_free_vgpr 1
		.amdhsa_next_free_sgpr 0
		.amdhsa_accum_offset 4
		.amdhsa_reserve_vcc 0
		.amdhsa_reserve_flat_scratch 0
		.amdhsa_float_round_mode_32 0
		.amdhsa_float_round_mode_16_64 0
		.amdhsa_float_denorm_mode_32 3
		.amdhsa_float_denorm_mode_16_64 3
		.amdhsa_dx10_clamp 1
		.amdhsa_ieee_mode 1
		.amdhsa_fp16_overflow 0
		.amdhsa_tg_split 0
		.amdhsa_exception_fp_ieee_invalid_op 0
		.amdhsa_exception_fp_denorm_src 0
		.amdhsa_exception_fp_ieee_div_zero 0
		.amdhsa_exception_fp_ieee_overflow 0
		.amdhsa_exception_fp_ieee_underflow 0
		.amdhsa_exception_fp_ieee_inexact 0
		.amdhsa_exception_int_div_zero 0
	.end_amdhsa_kernel
	.section	.text._ZN7rocprim17ROCPRIM_400000_NS6detail17trampoline_kernelINS0_14default_configENS1_29reduce_by_key_config_selectorIjjN6thrust23THRUST_200600_302600_NS4plusIjEEEEZZNS1_33reduce_by_key_impl_wrapped_configILNS1_25lookback_scan_determinismE0ES3_S9_NS6_6detail15normal_iteratorINS6_10device_ptrIjEEEESG_NS6_16discard_iteratorINS6_11use_defaultEEESG_PmS8_NS6_8equal_toIjEEEE10hipError_tPvRmT2_T3_mT4_T5_T6_T7_T8_P12ihipStream_tbENKUlT_T0_E_clISt17integral_constantIbLb1EES13_IbLb0EEEEDaSZ_S10_EUlSZ_E_NS1_11comp_targetILNS1_3genE0ELNS1_11target_archE4294967295ELNS1_3gpuE0ELNS1_3repE0EEENS1_30default_config_static_selectorELNS0_4arch9wavefront6targetE1EEEvT1_,"axG",@progbits,_ZN7rocprim17ROCPRIM_400000_NS6detail17trampoline_kernelINS0_14default_configENS1_29reduce_by_key_config_selectorIjjN6thrust23THRUST_200600_302600_NS4plusIjEEEEZZNS1_33reduce_by_key_impl_wrapped_configILNS1_25lookback_scan_determinismE0ES3_S9_NS6_6detail15normal_iteratorINS6_10device_ptrIjEEEESG_NS6_16discard_iteratorINS6_11use_defaultEEESG_PmS8_NS6_8equal_toIjEEEE10hipError_tPvRmT2_T3_mT4_T5_T6_T7_T8_P12ihipStream_tbENKUlT_T0_E_clISt17integral_constantIbLb1EES13_IbLb0EEEEDaSZ_S10_EUlSZ_E_NS1_11comp_targetILNS1_3genE0ELNS1_11target_archE4294967295ELNS1_3gpuE0ELNS1_3repE0EEENS1_30default_config_static_selectorELNS0_4arch9wavefront6targetE1EEEvT1_,comdat
.Lfunc_end931:
	.size	_ZN7rocprim17ROCPRIM_400000_NS6detail17trampoline_kernelINS0_14default_configENS1_29reduce_by_key_config_selectorIjjN6thrust23THRUST_200600_302600_NS4plusIjEEEEZZNS1_33reduce_by_key_impl_wrapped_configILNS1_25lookback_scan_determinismE0ES3_S9_NS6_6detail15normal_iteratorINS6_10device_ptrIjEEEESG_NS6_16discard_iteratorINS6_11use_defaultEEESG_PmS8_NS6_8equal_toIjEEEE10hipError_tPvRmT2_T3_mT4_T5_T6_T7_T8_P12ihipStream_tbENKUlT_T0_E_clISt17integral_constantIbLb1EES13_IbLb0EEEEDaSZ_S10_EUlSZ_E_NS1_11comp_targetILNS1_3genE0ELNS1_11target_archE4294967295ELNS1_3gpuE0ELNS1_3repE0EEENS1_30default_config_static_selectorELNS0_4arch9wavefront6targetE1EEEvT1_, .Lfunc_end931-_ZN7rocprim17ROCPRIM_400000_NS6detail17trampoline_kernelINS0_14default_configENS1_29reduce_by_key_config_selectorIjjN6thrust23THRUST_200600_302600_NS4plusIjEEEEZZNS1_33reduce_by_key_impl_wrapped_configILNS1_25lookback_scan_determinismE0ES3_S9_NS6_6detail15normal_iteratorINS6_10device_ptrIjEEEESG_NS6_16discard_iteratorINS6_11use_defaultEEESG_PmS8_NS6_8equal_toIjEEEE10hipError_tPvRmT2_T3_mT4_T5_T6_T7_T8_P12ihipStream_tbENKUlT_T0_E_clISt17integral_constantIbLb1EES13_IbLb0EEEEDaSZ_S10_EUlSZ_E_NS1_11comp_targetILNS1_3genE0ELNS1_11target_archE4294967295ELNS1_3gpuE0ELNS1_3repE0EEENS1_30default_config_static_selectorELNS0_4arch9wavefront6targetE1EEEvT1_
                                        ; -- End function
	.section	.AMDGPU.csdata,"",@progbits
; Kernel info:
; codeLenInByte = 0
; NumSgprs: 4
; NumVgprs: 0
; NumAgprs: 0
; TotalNumVgprs: 0
; ScratchSize: 0
; MemoryBound: 0
; FloatMode: 240
; IeeeMode: 1
; LDSByteSize: 0 bytes/workgroup (compile time only)
; SGPRBlocks: 0
; VGPRBlocks: 0
; NumSGPRsForWavesPerEU: 4
; NumVGPRsForWavesPerEU: 1
; AccumOffset: 4
; Occupancy: 8
; WaveLimiterHint : 0
; COMPUTE_PGM_RSRC2:SCRATCH_EN: 0
; COMPUTE_PGM_RSRC2:USER_SGPR: 6
; COMPUTE_PGM_RSRC2:TRAP_HANDLER: 0
; COMPUTE_PGM_RSRC2:TGID_X_EN: 1
; COMPUTE_PGM_RSRC2:TGID_Y_EN: 0
; COMPUTE_PGM_RSRC2:TGID_Z_EN: 0
; COMPUTE_PGM_RSRC2:TIDIG_COMP_CNT: 0
; COMPUTE_PGM_RSRC3_GFX90A:ACCUM_OFFSET: 0
; COMPUTE_PGM_RSRC3_GFX90A:TG_SPLIT: 0
	.section	.text._ZN7rocprim17ROCPRIM_400000_NS6detail17trampoline_kernelINS0_14default_configENS1_29reduce_by_key_config_selectorIjjN6thrust23THRUST_200600_302600_NS4plusIjEEEEZZNS1_33reduce_by_key_impl_wrapped_configILNS1_25lookback_scan_determinismE0ES3_S9_NS6_6detail15normal_iteratorINS6_10device_ptrIjEEEESG_NS6_16discard_iteratorINS6_11use_defaultEEESG_PmS8_NS6_8equal_toIjEEEE10hipError_tPvRmT2_T3_mT4_T5_T6_T7_T8_P12ihipStream_tbENKUlT_T0_E_clISt17integral_constantIbLb1EES13_IbLb0EEEEDaSZ_S10_EUlSZ_E_NS1_11comp_targetILNS1_3genE5ELNS1_11target_archE942ELNS1_3gpuE9ELNS1_3repE0EEENS1_30default_config_static_selectorELNS0_4arch9wavefront6targetE1EEEvT1_,"axG",@progbits,_ZN7rocprim17ROCPRIM_400000_NS6detail17trampoline_kernelINS0_14default_configENS1_29reduce_by_key_config_selectorIjjN6thrust23THRUST_200600_302600_NS4plusIjEEEEZZNS1_33reduce_by_key_impl_wrapped_configILNS1_25lookback_scan_determinismE0ES3_S9_NS6_6detail15normal_iteratorINS6_10device_ptrIjEEEESG_NS6_16discard_iteratorINS6_11use_defaultEEESG_PmS8_NS6_8equal_toIjEEEE10hipError_tPvRmT2_T3_mT4_T5_T6_T7_T8_P12ihipStream_tbENKUlT_T0_E_clISt17integral_constantIbLb1EES13_IbLb0EEEEDaSZ_S10_EUlSZ_E_NS1_11comp_targetILNS1_3genE5ELNS1_11target_archE942ELNS1_3gpuE9ELNS1_3repE0EEENS1_30default_config_static_selectorELNS0_4arch9wavefront6targetE1EEEvT1_,comdat
	.protected	_ZN7rocprim17ROCPRIM_400000_NS6detail17trampoline_kernelINS0_14default_configENS1_29reduce_by_key_config_selectorIjjN6thrust23THRUST_200600_302600_NS4plusIjEEEEZZNS1_33reduce_by_key_impl_wrapped_configILNS1_25lookback_scan_determinismE0ES3_S9_NS6_6detail15normal_iteratorINS6_10device_ptrIjEEEESG_NS6_16discard_iteratorINS6_11use_defaultEEESG_PmS8_NS6_8equal_toIjEEEE10hipError_tPvRmT2_T3_mT4_T5_T6_T7_T8_P12ihipStream_tbENKUlT_T0_E_clISt17integral_constantIbLb1EES13_IbLb0EEEEDaSZ_S10_EUlSZ_E_NS1_11comp_targetILNS1_3genE5ELNS1_11target_archE942ELNS1_3gpuE9ELNS1_3repE0EEENS1_30default_config_static_selectorELNS0_4arch9wavefront6targetE1EEEvT1_ ; -- Begin function _ZN7rocprim17ROCPRIM_400000_NS6detail17trampoline_kernelINS0_14default_configENS1_29reduce_by_key_config_selectorIjjN6thrust23THRUST_200600_302600_NS4plusIjEEEEZZNS1_33reduce_by_key_impl_wrapped_configILNS1_25lookback_scan_determinismE0ES3_S9_NS6_6detail15normal_iteratorINS6_10device_ptrIjEEEESG_NS6_16discard_iteratorINS6_11use_defaultEEESG_PmS8_NS6_8equal_toIjEEEE10hipError_tPvRmT2_T3_mT4_T5_T6_T7_T8_P12ihipStream_tbENKUlT_T0_E_clISt17integral_constantIbLb1EES13_IbLb0EEEEDaSZ_S10_EUlSZ_E_NS1_11comp_targetILNS1_3genE5ELNS1_11target_archE942ELNS1_3gpuE9ELNS1_3repE0EEENS1_30default_config_static_selectorELNS0_4arch9wavefront6targetE1EEEvT1_
	.globl	_ZN7rocprim17ROCPRIM_400000_NS6detail17trampoline_kernelINS0_14default_configENS1_29reduce_by_key_config_selectorIjjN6thrust23THRUST_200600_302600_NS4plusIjEEEEZZNS1_33reduce_by_key_impl_wrapped_configILNS1_25lookback_scan_determinismE0ES3_S9_NS6_6detail15normal_iteratorINS6_10device_ptrIjEEEESG_NS6_16discard_iteratorINS6_11use_defaultEEESG_PmS8_NS6_8equal_toIjEEEE10hipError_tPvRmT2_T3_mT4_T5_T6_T7_T8_P12ihipStream_tbENKUlT_T0_E_clISt17integral_constantIbLb1EES13_IbLb0EEEEDaSZ_S10_EUlSZ_E_NS1_11comp_targetILNS1_3genE5ELNS1_11target_archE942ELNS1_3gpuE9ELNS1_3repE0EEENS1_30default_config_static_selectorELNS0_4arch9wavefront6targetE1EEEvT1_
	.p2align	8
	.type	_ZN7rocprim17ROCPRIM_400000_NS6detail17trampoline_kernelINS0_14default_configENS1_29reduce_by_key_config_selectorIjjN6thrust23THRUST_200600_302600_NS4plusIjEEEEZZNS1_33reduce_by_key_impl_wrapped_configILNS1_25lookback_scan_determinismE0ES3_S9_NS6_6detail15normal_iteratorINS6_10device_ptrIjEEEESG_NS6_16discard_iteratorINS6_11use_defaultEEESG_PmS8_NS6_8equal_toIjEEEE10hipError_tPvRmT2_T3_mT4_T5_T6_T7_T8_P12ihipStream_tbENKUlT_T0_E_clISt17integral_constantIbLb1EES13_IbLb0EEEEDaSZ_S10_EUlSZ_E_NS1_11comp_targetILNS1_3genE5ELNS1_11target_archE942ELNS1_3gpuE9ELNS1_3repE0EEENS1_30default_config_static_selectorELNS0_4arch9wavefront6targetE1EEEvT1_,@function
_ZN7rocprim17ROCPRIM_400000_NS6detail17trampoline_kernelINS0_14default_configENS1_29reduce_by_key_config_selectorIjjN6thrust23THRUST_200600_302600_NS4plusIjEEEEZZNS1_33reduce_by_key_impl_wrapped_configILNS1_25lookback_scan_determinismE0ES3_S9_NS6_6detail15normal_iteratorINS6_10device_ptrIjEEEESG_NS6_16discard_iteratorINS6_11use_defaultEEESG_PmS8_NS6_8equal_toIjEEEE10hipError_tPvRmT2_T3_mT4_T5_T6_T7_T8_P12ihipStream_tbENKUlT_T0_E_clISt17integral_constantIbLb1EES13_IbLb0EEEEDaSZ_S10_EUlSZ_E_NS1_11comp_targetILNS1_3genE5ELNS1_11target_archE942ELNS1_3gpuE9ELNS1_3repE0EEENS1_30default_config_static_selectorELNS0_4arch9wavefront6targetE1EEEvT1_: ; @_ZN7rocprim17ROCPRIM_400000_NS6detail17trampoline_kernelINS0_14default_configENS1_29reduce_by_key_config_selectorIjjN6thrust23THRUST_200600_302600_NS4plusIjEEEEZZNS1_33reduce_by_key_impl_wrapped_configILNS1_25lookback_scan_determinismE0ES3_S9_NS6_6detail15normal_iteratorINS6_10device_ptrIjEEEESG_NS6_16discard_iteratorINS6_11use_defaultEEESG_PmS8_NS6_8equal_toIjEEEE10hipError_tPvRmT2_T3_mT4_T5_T6_T7_T8_P12ihipStream_tbENKUlT_T0_E_clISt17integral_constantIbLb1EES13_IbLb0EEEEDaSZ_S10_EUlSZ_E_NS1_11comp_targetILNS1_3genE5ELNS1_11target_archE942ELNS1_3gpuE9ELNS1_3repE0EEENS1_30default_config_static_selectorELNS0_4arch9wavefront6targetE1EEEvT1_
; %bb.0:
	.section	.rodata,"a",@progbits
	.p2align	6, 0x0
	.amdhsa_kernel _ZN7rocprim17ROCPRIM_400000_NS6detail17trampoline_kernelINS0_14default_configENS1_29reduce_by_key_config_selectorIjjN6thrust23THRUST_200600_302600_NS4plusIjEEEEZZNS1_33reduce_by_key_impl_wrapped_configILNS1_25lookback_scan_determinismE0ES3_S9_NS6_6detail15normal_iteratorINS6_10device_ptrIjEEEESG_NS6_16discard_iteratorINS6_11use_defaultEEESG_PmS8_NS6_8equal_toIjEEEE10hipError_tPvRmT2_T3_mT4_T5_T6_T7_T8_P12ihipStream_tbENKUlT_T0_E_clISt17integral_constantIbLb1EES13_IbLb0EEEEDaSZ_S10_EUlSZ_E_NS1_11comp_targetILNS1_3genE5ELNS1_11target_archE942ELNS1_3gpuE9ELNS1_3repE0EEENS1_30default_config_static_selectorELNS0_4arch9wavefront6targetE1EEEvT1_
		.amdhsa_group_segment_fixed_size 0
		.amdhsa_private_segment_fixed_size 0
		.amdhsa_kernarg_size 128
		.amdhsa_user_sgpr_count 6
		.amdhsa_user_sgpr_private_segment_buffer 1
		.amdhsa_user_sgpr_dispatch_ptr 0
		.amdhsa_user_sgpr_queue_ptr 0
		.amdhsa_user_sgpr_kernarg_segment_ptr 1
		.amdhsa_user_sgpr_dispatch_id 0
		.amdhsa_user_sgpr_flat_scratch_init 0
		.amdhsa_user_sgpr_kernarg_preload_length 0
		.amdhsa_user_sgpr_kernarg_preload_offset 0
		.amdhsa_user_sgpr_private_segment_size 0
		.amdhsa_uses_dynamic_stack 0
		.amdhsa_system_sgpr_private_segment_wavefront_offset 0
		.amdhsa_system_sgpr_workgroup_id_x 1
		.amdhsa_system_sgpr_workgroup_id_y 0
		.amdhsa_system_sgpr_workgroup_id_z 0
		.amdhsa_system_sgpr_workgroup_info 0
		.amdhsa_system_vgpr_workitem_id 0
		.amdhsa_next_free_vgpr 1
		.amdhsa_next_free_sgpr 0
		.amdhsa_accum_offset 4
		.amdhsa_reserve_vcc 0
		.amdhsa_reserve_flat_scratch 0
		.amdhsa_float_round_mode_32 0
		.amdhsa_float_round_mode_16_64 0
		.amdhsa_float_denorm_mode_32 3
		.amdhsa_float_denorm_mode_16_64 3
		.amdhsa_dx10_clamp 1
		.amdhsa_ieee_mode 1
		.amdhsa_fp16_overflow 0
		.amdhsa_tg_split 0
		.amdhsa_exception_fp_ieee_invalid_op 0
		.amdhsa_exception_fp_denorm_src 0
		.amdhsa_exception_fp_ieee_div_zero 0
		.amdhsa_exception_fp_ieee_overflow 0
		.amdhsa_exception_fp_ieee_underflow 0
		.amdhsa_exception_fp_ieee_inexact 0
		.amdhsa_exception_int_div_zero 0
	.end_amdhsa_kernel
	.section	.text._ZN7rocprim17ROCPRIM_400000_NS6detail17trampoline_kernelINS0_14default_configENS1_29reduce_by_key_config_selectorIjjN6thrust23THRUST_200600_302600_NS4plusIjEEEEZZNS1_33reduce_by_key_impl_wrapped_configILNS1_25lookback_scan_determinismE0ES3_S9_NS6_6detail15normal_iteratorINS6_10device_ptrIjEEEESG_NS6_16discard_iteratorINS6_11use_defaultEEESG_PmS8_NS6_8equal_toIjEEEE10hipError_tPvRmT2_T3_mT4_T5_T6_T7_T8_P12ihipStream_tbENKUlT_T0_E_clISt17integral_constantIbLb1EES13_IbLb0EEEEDaSZ_S10_EUlSZ_E_NS1_11comp_targetILNS1_3genE5ELNS1_11target_archE942ELNS1_3gpuE9ELNS1_3repE0EEENS1_30default_config_static_selectorELNS0_4arch9wavefront6targetE1EEEvT1_,"axG",@progbits,_ZN7rocprim17ROCPRIM_400000_NS6detail17trampoline_kernelINS0_14default_configENS1_29reduce_by_key_config_selectorIjjN6thrust23THRUST_200600_302600_NS4plusIjEEEEZZNS1_33reduce_by_key_impl_wrapped_configILNS1_25lookback_scan_determinismE0ES3_S9_NS6_6detail15normal_iteratorINS6_10device_ptrIjEEEESG_NS6_16discard_iteratorINS6_11use_defaultEEESG_PmS8_NS6_8equal_toIjEEEE10hipError_tPvRmT2_T3_mT4_T5_T6_T7_T8_P12ihipStream_tbENKUlT_T0_E_clISt17integral_constantIbLb1EES13_IbLb0EEEEDaSZ_S10_EUlSZ_E_NS1_11comp_targetILNS1_3genE5ELNS1_11target_archE942ELNS1_3gpuE9ELNS1_3repE0EEENS1_30default_config_static_selectorELNS0_4arch9wavefront6targetE1EEEvT1_,comdat
.Lfunc_end932:
	.size	_ZN7rocprim17ROCPRIM_400000_NS6detail17trampoline_kernelINS0_14default_configENS1_29reduce_by_key_config_selectorIjjN6thrust23THRUST_200600_302600_NS4plusIjEEEEZZNS1_33reduce_by_key_impl_wrapped_configILNS1_25lookback_scan_determinismE0ES3_S9_NS6_6detail15normal_iteratorINS6_10device_ptrIjEEEESG_NS6_16discard_iteratorINS6_11use_defaultEEESG_PmS8_NS6_8equal_toIjEEEE10hipError_tPvRmT2_T3_mT4_T5_T6_T7_T8_P12ihipStream_tbENKUlT_T0_E_clISt17integral_constantIbLb1EES13_IbLb0EEEEDaSZ_S10_EUlSZ_E_NS1_11comp_targetILNS1_3genE5ELNS1_11target_archE942ELNS1_3gpuE9ELNS1_3repE0EEENS1_30default_config_static_selectorELNS0_4arch9wavefront6targetE1EEEvT1_, .Lfunc_end932-_ZN7rocprim17ROCPRIM_400000_NS6detail17trampoline_kernelINS0_14default_configENS1_29reduce_by_key_config_selectorIjjN6thrust23THRUST_200600_302600_NS4plusIjEEEEZZNS1_33reduce_by_key_impl_wrapped_configILNS1_25lookback_scan_determinismE0ES3_S9_NS6_6detail15normal_iteratorINS6_10device_ptrIjEEEESG_NS6_16discard_iteratorINS6_11use_defaultEEESG_PmS8_NS6_8equal_toIjEEEE10hipError_tPvRmT2_T3_mT4_T5_T6_T7_T8_P12ihipStream_tbENKUlT_T0_E_clISt17integral_constantIbLb1EES13_IbLb0EEEEDaSZ_S10_EUlSZ_E_NS1_11comp_targetILNS1_3genE5ELNS1_11target_archE942ELNS1_3gpuE9ELNS1_3repE0EEENS1_30default_config_static_selectorELNS0_4arch9wavefront6targetE1EEEvT1_
                                        ; -- End function
	.section	.AMDGPU.csdata,"",@progbits
; Kernel info:
; codeLenInByte = 0
; NumSgprs: 4
; NumVgprs: 0
; NumAgprs: 0
; TotalNumVgprs: 0
; ScratchSize: 0
; MemoryBound: 0
; FloatMode: 240
; IeeeMode: 1
; LDSByteSize: 0 bytes/workgroup (compile time only)
; SGPRBlocks: 0
; VGPRBlocks: 0
; NumSGPRsForWavesPerEU: 4
; NumVGPRsForWavesPerEU: 1
; AccumOffset: 4
; Occupancy: 8
; WaveLimiterHint : 0
; COMPUTE_PGM_RSRC2:SCRATCH_EN: 0
; COMPUTE_PGM_RSRC2:USER_SGPR: 6
; COMPUTE_PGM_RSRC2:TRAP_HANDLER: 0
; COMPUTE_PGM_RSRC2:TGID_X_EN: 1
; COMPUTE_PGM_RSRC2:TGID_Y_EN: 0
; COMPUTE_PGM_RSRC2:TGID_Z_EN: 0
; COMPUTE_PGM_RSRC2:TIDIG_COMP_CNT: 0
; COMPUTE_PGM_RSRC3_GFX90A:ACCUM_OFFSET: 0
; COMPUTE_PGM_RSRC3_GFX90A:TG_SPLIT: 0
	.section	.text._ZN7rocprim17ROCPRIM_400000_NS6detail17trampoline_kernelINS0_14default_configENS1_29reduce_by_key_config_selectorIjjN6thrust23THRUST_200600_302600_NS4plusIjEEEEZZNS1_33reduce_by_key_impl_wrapped_configILNS1_25lookback_scan_determinismE0ES3_S9_NS6_6detail15normal_iteratorINS6_10device_ptrIjEEEESG_NS6_16discard_iteratorINS6_11use_defaultEEESG_PmS8_NS6_8equal_toIjEEEE10hipError_tPvRmT2_T3_mT4_T5_T6_T7_T8_P12ihipStream_tbENKUlT_T0_E_clISt17integral_constantIbLb1EES13_IbLb0EEEEDaSZ_S10_EUlSZ_E_NS1_11comp_targetILNS1_3genE4ELNS1_11target_archE910ELNS1_3gpuE8ELNS1_3repE0EEENS1_30default_config_static_selectorELNS0_4arch9wavefront6targetE1EEEvT1_,"axG",@progbits,_ZN7rocprim17ROCPRIM_400000_NS6detail17trampoline_kernelINS0_14default_configENS1_29reduce_by_key_config_selectorIjjN6thrust23THRUST_200600_302600_NS4plusIjEEEEZZNS1_33reduce_by_key_impl_wrapped_configILNS1_25lookback_scan_determinismE0ES3_S9_NS6_6detail15normal_iteratorINS6_10device_ptrIjEEEESG_NS6_16discard_iteratorINS6_11use_defaultEEESG_PmS8_NS6_8equal_toIjEEEE10hipError_tPvRmT2_T3_mT4_T5_T6_T7_T8_P12ihipStream_tbENKUlT_T0_E_clISt17integral_constantIbLb1EES13_IbLb0EEEEDaSZ_S10_EUlSZ_E_NS1_11comp_targetILNS1_3genE4ELNS1_11target_archE910ELNS1_3gpuE8ELNS1_3repE0EEENS1_30default_config_static_selectorELNS0_4arch9wavefront6targetE1EEEvT1_,comdat
	.protected	_ZN7rocprim17ROCPRIM_400000_NS6detail17trampoline_kernelINS0_14default_configENS1_29reduce_by_key_config_selectorIjjN6thrust23THRUST_200600_302600_NS4plusIjEEEEZZNS1_33reduce_by_key_impl_wrapped_configILNS1_25lookback_scan_determinismE0ES3_S9_NS6_6detail15normal_iteratorINS6_10device_ptrIjEEEESG_NS6_16discard_iteratorINS6_11use_defaultEEESG_PmS8_NS6_8equal_toIjEEEE10hipError_tPvRmT2_T3_mT4_T5_T6_T7_T8_P12ihipStream_tbENKUlT_T0_E_clISt17integral_constantIbLb1EES13_IbLb0EEEEDaSZ_S10_EUlSZ_E_NS1_11comp_targetILNS1_3genE4ELNS1_11target_archE910ELNS1_3gpuE8ELNS1_3repE0EEENS1_30default_config_static_selectorELNS0_4arch9wavefront6targetE1EEEvT1_ ; -- Begin function _ZN7rocprim17ROCPRIM_400000_NS6detail17trampoline_kernelINS0_14default_configENS1_29reduce_by_key_config_selectorIjjN6thrust23THRUST_200600_302600_NS4plusIjEEEEZZNS1_33reduce_by_key_impl_wrapped_configILNS1_25lookback_scan_determinismE0ES3_S9_NS6_6detail15normal_iteratorINS6_10device_ptrIjEEEESG_NS6_16discard_iteratorINS6_11use_defaultEEESG_PmS8_NS6_8equal_toIjEEEE10hipError_tPvRmT2_T3_mT4_T5_T6_T7_T8_P12ihipStream_tbENKUlT_T0_E_clISt17integral_constantIbLb1EES13_IbLb0EEEEDaSZ_S10_EUlSZ_E_NS1_11comp_targetILNS1_3genE4ELNS1_11target_archE910ELNS1_3gpuE8ELNS1_3repE0EEENS1_30default_config_static_selectorELNS0_4arch9wavefront6targetE1EEEvT1_
	.globl	_ZN7rocprim17ROCPRIM_400000_NS6detail17trampoline_kernelINS0_14default_configENS1_29reduce_by_key_config_selectorIjjN6thrust23THRUST_200600_302600_NS4plusIjEEEEZZNS1_33reduce_by_key_impl_wrapped_configILNS1_25lookback_scan_determinismE0ES3_S9_NS6_6detail15normal_iteratorINS6_10device_ptrIjEEEESG_NS6_16discard_iteratorINS6_11use_defaultEEESG_PmS8_NS6_8equal_toIjEEEE10hipError_tPvRmT2_T3_mT4_T5_T6_T7_T8_P12ihipStream_tbENKUlT_T0_E_clISt17integral_constantIbLb1EES13_IbLb0EEEEDaSZ_S10_EUlSZ_E_NS1_11comp_targetILNS1_3genE4ELNS1_11target_archE910ELNS1_3gpuE8ELNS1_3repE0EEENS1_30default_config_static_selectorELNS0_4arch9wavefront6targetE1EEEvT1_
	.p2align	8
	.type	_ZN7rocprim17ROCPRIM_400000_NS6detail17trampoline_kernelINS0_14default_configENS1_29reduce_by_key_config_selectorIjjN6thrust23THRUST_200600_302600_NS4plusIjEEEEZZNS1_33reduce_by_key_impl_wrapped_configILNS1_25lookback_scan_determinismE0ES3_S9_NS6_6detail15normal_iteratorINS6_10device_ptrIjEEEESG_NS6_16discard_iteratorINS6_11use_defaultEEESG_PmS8_NS6_8equal_toIjEEEE10hipError_tPvRmT2_T3_mT4_T5_T6_T7_T8_P12ihipStream_tbENKUlT_T0_E_clISt17integral_constantIbLb1EES13_IbLb0EEEEDaSZ_S10_EUlSZ_E_NS1_11comp_targetILNS1_3genE4ELNS1_11target_archE910ELNS1_3gpuE8ELNS1_3repE0EEENS1_30default_config_static_selectorELNS0_4arch9wavefront6targetE1EEEvT1_,@function
_ZN7rocprim17ROCPRIM_400000_NS6detail17trampoline_kernelINS0_14default_configENS1_29reduce_by_key_config_selectorIjjN6thrust23THRUST_200600_302600_NS4plusIjEEEEZZNS1_33reduce_by_key_impl_wrapped_configILNS1_25lookback_scan_determinismE0ES3_S9_NS6_6detail15normal_iteratorINS6_10device_ptrIjEEEESG_NS6_16discard_iteratorINS6_11use_defaultEEESG_PmS8_NS6_8equal_toIjEEEE10hipError_tPvRmT2_T3_mT4_T5_T6_T7_T8_P12ihipStream_tbENKUlT_T0_E_clISt17integral_constantIbLb1EES13_IbLb0EEEEDaSZ_S10_EUlSZ_E_NS1_11comp_targetILNS1_3genE4ELNS1_11target_archE910ELNS1_3gpuE8ELNS1_3repE0EEENS1_30default_config_static_selectorELNS0_4arch9wavefront6targetE1EEEvT1_: ; @_ZN7rocprim17ROCPRIM_400000_NS6detail17trampoline_kernelINS0_14default_configENS1_29reduce_by_key_config_selectorIjjN6thrust23THRUST_200600_302600_NS4plusIjEEEEZZNS1_33reduce_by_key_impl_wrapped_configILNS1_25lookback_scan_determinismE0ES3_S9_NS6_6detail15normal_iteratorINS6_10device_ptrIjEEEESG_NS6_16discard_iteratorINS6_11use_defaultEEESG_PmS8_NS6_8equal_toIjEEEE10hipError_tPvRmT2_T3_mT4_T5_T6_T7_T8_P12ihipStream_tbENKUlT_T0_E_clISt17integral_constantIbLb1EES13_IbLb0EEEEDaSZ_S10_EUlSZ_E_NS1_11comp_targetILNS1_3genE4ELNS1_11target_archE910ELNS1_3gpuE8ELNS1_3repE0EEENS1_30default_config_static_selectorELNS0_4arch9wavefront6targetE1EEEvT1_
; %bb.0:
	s_load_dwordx4 s[0:3], s[4:5], 0x0
	s_load_dwordx2 s[8:9], s[4:5], 0x10
	s_load_dwordx2 s[50:51], s[4:5], 0x70
	s_load_dwordx4 s[44:47], s[4:5], 0x60
	s_load_dwordx8 s[36:43], s[4:5], 0x40
	s_waitcnt lgkmcnt(0)
	s_lshl_b64 s[2:3], s[2:3], 2
	s_add_u32 s7, s0, s2
	s_addc_u32 s10, s1, s3
	s_add_u32 s2, s8, s2
	s_mul_i32 s0, s40, s39
	s_mul_hi_u32 s1, s40, s38
	s_addc_u32 s3, s9, s3
	s_add_i32 s0, s1, s0
	s_mul_i32 s1, s41, s38
	s_add_i32 s8, s0, s1
	s_mul_i32 s0, s6, 0xf00
	s_mov_b32 s1, 0
	s_lshl_b64 s[0:1], s[0:1], 2
	s_add_u32 s7, s7, s0
	s_addc_u32 s56, s10, s1
	s_add_u32 s57, s2, s0
	s_mul_i32 s9, s40, s38
	s_addc_u32 s58, s3, s1
	s_add_u32 s52, s9, s6
	s_addc_u32 s53, s8, 0
	s_add_u32 s2, s42, -1
	s_addc_u32 s3, s43, -1
	s_cmp_eq_u64 s[52:53], s[2:3]
	s_cselect_b64 s[48:49], -1, 0
	s_cmp_lg_u64 s[52:53], s[2:3]
	s_mov_b64 s[0:1], -1
	s_cselect_b64 s[54:55], -1, 0
	s_mul_i32 s33, s2, 0xfffff100
	s_and_b64 vcc, exec, s[48:49]
	s_cbranch_vccnz .LBB933_2
; %bb.1:
	v_lshlrev_b32_e32 v24, 2, v0
	v_mov_b32_e32 v1, s56
	v_add_co_u32_e32 v2, vcc, s7, v24
	v_addc_co_u32_e32 v3, vcc, 0, v1, vcc
	v_add_co_u32_e32 v4, vcc, 0x1000, v2
	v_addc_co_u32_e32 v5, vcc, 0, v3, vcc
	flat_load_dword v1, v[2:3]
	flat_load_dword v8, v[2:3] offset:1024
	flat_load_dword v9, v[2:3] offset:2048
	;; [unrolled: 1-line block ×3, first 2 shown]
	flat_load_dword v11, v[4:5]
	flat_load_dword v12, v[4:5] offset:1024
	flat_load_dword v13, v[4:5] offset:2048
	;; [unrolled: 1-line block ×3, first 2 shown]
	v_add_co_u32_e32 v4, vcc, 0x2000, v2
	v_addc_co_u32_e32 v5, vcc, 0, v3, vcc
	v_add_co_u32_e32 v2, vcc, 0x3000, v2
	v_addc_co_u32_e32 v3, vcc, 0, v3, vcc
	flat_load_dword v15, v[4:5]
	flat_load_dword v16, v[4:5] offset:1024
	flat_load_dword v17, v[4:5] offset:2048
	;; [unrolled: 1-line block ×3, first 2 shown]
	flat_load_dword v19, v[2:3]
	flat_load_dword v20, v[2:3] offset:1024
	flat_load_dword v21, v[2:3] offset:2048
	v_mov_b32_e32 v3, s58
	v_add_co_u32_e32 v2, vcc, s57, v24
	s_movk_i32 s0, 0x1000
	v_addc_co_u32_e32 v3, vcc, 0, v3, vcc
	v_add_co_u32_e32 v4, vcc, s0, v2
	s_movk_i32 s1, 0x2000
	v_addc_co_u32_e32 v5, vcc, 0, v3, vcc
	;; [unrolled: 3-line block ×3, first 2 shown]
	v_mad_u32_u24 v38, v0, 56, v24
	v_add_co_u32_e32 v22, vcc, s2, v2
	v_addc_co_u32_e32 v23, vcc, 0, v3, vcc
	s_waitcnt vmcnt(0) lgkmcnt(0)
	ds_write2st64_b32 v24, v1, v8 offset1:4
	ds_write2st64_b32 v24, v9, v10 offset0:8 offset1:12
	ds_write2st64_b32 v24, v11, v12 offset0:16 offset1:20
	;; [unrolled: 1-line block ×6, first 2 shown]
	ds_write_b32 v24, v21 offset:14336
	s_waitcnt lgkmcnt(0)
	s_barrier
	ds_read2_b32 v[20:21], v38 offset1:1
	ds_read2_b32 v[18:19], v38 offset0:2 offset1:3
	ds_read2_b32 v[16:17], v38 offset0:4 offset1:5
	;; [unrolled: 1-line block ×6, first 2 shown]
	ds_read_b32 v1, v38 offset:56
	s_waitcnt lgkmcnt(0)
	s_barrier
	flat_load_dword v25, v[2:3]
	flat_load_dword v26, v[2:3] offset:1024
	flat_load_dword v27, v[2:3] offset:2048
	flat_load_dword v28, v[2:3] offset:3072
	flat_load_dword v29, v[4:5]
	flat_load_dword v30, v[4:5] offset:1024
	flat_load_dword v31, v[4:5] offset:2048
	flat_load_dword v32, v[4:5] offset:3072
	;; [unrolled: 4-line block ×3, first 2 shown]
	flat_load_dword v40, v[22:23]
	flat_load_dword v41, v[22:23] offset:1024
	flat_load_dword v42, v[22:23] offset:2048
	v_mov_b32_e32 v36, v20
	v_mov_b32_e32 v37, v18
	;; [unrolled: 1-line block ×7, first 2 shown]
	s_waitcnt vmcnt(0) lgkmcnt(0)
	ds_write2st64_b32 v24, v25, v26 offset1:4
	ds_write2st64_b32 v24, v27, v28 offset0:8 offset1:12
	ds_write2st64_b32 v24, v29, v30 offset0:16 offset1:20
	;; [unrolled: 1-line block ×6, first 2 shown]
	ds_write_b32 v24, v42 offset:14336
	s_waitcnt lgkmcnt(0)
	s_barrier
	s_add_i32 s33, s33, s44
	s_cbranch_execz .LBB933_3
	s_branch .LBB933_50
.LBB933_2:
                                        ; implicit-def: $vgpr1
                                        ; implicit-def: $vgpr8
                                        ; implicit-def: $vgpr10
                                        ; implicit-def: $vgpr12
                                        ; implicit-def: $vgpr14
                                        ; implicit-def: $vgpr16
                                        ; implicit-def: $vgpr18
                                        ; implicit-def: $vgpr20
                                        ; implicit-def: $vgpr38
                                        ; implicit-def: $vgpr2_vgpr3
                                        ; implicit-def: $vgpr4_vgpr5
                                        ; implicit-def: $vgpr36_vgpr37
                                        ; implicit-def: $vgpr6_vgpr7
	s_andn2_b64 vcc, exec, s[0:1]
	s_add_i32 s33, s33, s44
	s_cbranch_vccnz .LBB933_50
.LBB933_3:
	v_cmp_gt_u32_e32 vcc, s33, v0
                                        ; implicit-def: $vgpr1
	s_and_saveexec_b64 s[2:3], vcc
	s_cbranch_execz .LBB933_5
; %bb.4:
	v_lshlrev_b32_e32 v1, 2, v0
	v_mov_b32_e32 v3, s56
	v_add_co_u32_e64 v2, s[0:1], s7, v1
	v_addc_co_u32_e64 v3, s[0:1], 0, v3, s[0:1]
	flat_load_dword v1, v[2:3]
.LBB933_5:
	s_or_b64 exec, exec, s[2:3]
	v_or_b32_e32 v2, 0x100, v0
	v_cmp_gt_u32_e64 s[0:1], s33, v2
                                        ; implicit-def: $vgpr8
	s_and_saveexec_b64 s[8:9], s[0:1]
	s_cbranch_execz .LBB933_7
; %bb.6:
	v_lshlrev_b32_e32 v2, 2, v0
	v_mov_b32_e32 v3, s56
	v_add_co_u32_e64 v2, s[2:3], s7, v2
	v_addc_co_u32_e64 v3, s[2:3], 0, v3, s[2:3]
	flat_load_dword v8, v[2:3] offset:1024
.LBB933_7:
	s_or_b64 exec, exec, s[8:9]
	v_or_b32_e32 v2, 0x200, v0
	v_cmp_gt_u32_e64 s[2:3], s33, v2
                                        ; implicit-def: $vgpr9
	s_and_saveexec_b64 s[10:11], s[2:3]
	s_cbranch_execz .LBB933_9
; %bb.8:
	v_lshlrev_b32_e32 v2, 2, v0
	v_mov_b32_e32 v3, s56
	v_add_co_u32_e64 v2, s[8:9], s7, v2
	v_addc_co_u32_e64 v3, s[8:9], 0, v3, s[8:9]
	flat_load_dword v9, v[2:3] offset:2048
.LBB933_9:
	s_or_b64 exec, exec, s[10:11]
	v_or_b32_e32 v2, 0x300, v0
	v_cmp_gt_u32_e64 s[30:31], s33, v2
                                        ; implicit-def: $vgpr10
	s_and_saveexec_b64 s[10:11], s[30:31]
	s_cbranch_execz .LBB933_11
; %bb.10:
	v_lshlrev_b32_e32 v2, 2, v0
	v_mov_b32_e32 v3, s56
	v_add_co_u32_e64 v2, s[8:9], s7, v2
	v_addc_co_u32_e64 v3, s[8:9], 0, v3, s[8:9]
	flat_load_dword v10, v[2:3] offset:3072
.LBB933_11:
	s_or_b64 exec, exec, s[10:11]
	v_or_b32_e32 v2, 0x400, v0
	v_cmp_gt_u32_e64 s[8:9], s33, v2
                                        ; implicit-def: $vgpr11
	s_and_saveexec_b64 s[12:13], s[8:9]
	s_cbranch_execz .LBB933_13
; %bb.12:
	v_lshlrev_b32_e32 v3, 2, v2
	v_mov_b32_e32 v5, s56
	v_add_co_u32_e64 v4, s[10:11], s7, v3
	v_addc_co_u32_e64 v5, s[10:11], 0, v5, s[10:11]
	flat_load_dword v11, v[4:5]
.LBB933_13:
	s_or_b64 exec, exec, s[12:13]
	v_or_b32_e32 v3, 0x500, v0
	v_cmp_gt_u32_e64 s[10:11], s33, v3
                                        ; implicit-def: $vgpr12
	s_and_saveexec_b64 s[14:15], s[10:11]
	s_cbranch_execz .LBB933_15
; %bb.14:
	v_lshlrev_b32_e32 v4, 2, v3
	v_mov_b32_e32 v5, s56
	v_add_co_u32_e64 v4, s[12:13], s7, v4
	v_addc_co_u32_e64 v5, s[12:13], 0, v5, s[12:13]
	flat_load_dword v12, v[4:5]
.LBB933_15:
	s_or_b64 exec, exec, s[14:15]
	v_or_b32_e32 v4, 0x600, v0
	v_cmp_gt_u32_e64 s[12:13], s33, v4
                                        ; implicit-def: $vgpr13
	s_and_saveexec_b64 s[16:17], s[12:13]
	s_cbranch_execz .LBB933_17
; %bb.16:
	v_lshlrev_b32_e32 v5, 2, v4
	v_mov_b32_e32 v7, s56
	v_add_co_u32_e64 v6, s[14:15], s7, v5
	v_addc_co_u32_e64 v7, s[14:15], 0, v7, s[14:15]
	flat_load_dword v13, v[6:7]
.LBB933_17:
	s_or_b64 exec, exec, s[16:17]
	v_or_b32_e32 v5, 0x700, v0
	v_cmp_gt_u32_e64 s[14:15], s33, v5
                                        ; implicit-def: $vgpr14
	s_and_saveexec_b64 s[18:19], s[14:15]
	s_cbranch_execz .LBB933_19
; %bb.18:
	v_lshlrev_b32_e32 v6, 2, v5
	v_mov_b32_e32 v7, s56
	v_add_co_u32_e64 v6, s[16:17], s7, v6
	v_addc_co_u32_e64 v7, s[16:17], 0, v7, s[16:17]
	flat_load_dword v14, v[6:7]
.LBB933_19:
	s_or_b64 exec, exec, s[18:19]
	v_or_b32_e32 v6, 0x800, v0
	v_cmp_gt_u32_e64 s[16:17], s33, v6
                                        ; implicit-def: $vgpr15
	s_and_saveexec_b64 s[20:21], s[16:17]
	s_cbranch_execz .LBB933_21
; %bb.20:
	v_lshlrev_b32_e32 v7, 2, v6
	v_mov_b32_e32 v15, s56
	v_add_co_u32_e64 v16, s[18:19], s7, v7
	v_addc_co_u32_e64 v17, s[18:19], 0, v15, s[18:19]
	flat_load_dword v15, v[16:17]
.LBB933_21:
	s_or_b64 exec, exec, s[20:21]
	v_or_b32_e32 v22, 0x900, v0
	v_cmp_gt_u32_e64 s[18:19], s33, v22
                                        ; implicit-def: $vgpr16
	s_and_saveexec_b64 s[22:23], s[18:19]
	s_cbranch_execz .LBB933_23
; %bb.22:
	v_lshlrev_b32_e32 v7, 2, v22
	v_mov_b32_e32 v17, s56
	v_add_co_u32_e64 v16, s[20:21], s7, v7
	v_addc_co_u32_e64 v17, s[20:21], 0, v17, s[20:21]
	flat_load_dword v16, v[16:17]
.LBB933_23:
	s_or_b64 exec, exec, s[22:23]
	v_or_b32_e32 v23, 0xa00, v0
	v_cmp_gt_u32_e64 s[20:21], s33, v23
                                        ; implicit-def: $vgpr17
	s_and_saveexec_b64 s[24:25], s[20:21]
	s_cbranch_execz .LBB933_25
; %bb.24:
	v_lshlrev_b32_e32 v7, 2, v23
	v_mov_b32_e32 v17, s56
	v_add_co_u32_e64 v18, s[22:23], s7, v7
	v_addc_co_u32_e64 v19, s[22:23], 0, v17, s[22:23]
	flat_load_dword v17, v[18:19]
.LBB933_25:
	s_or_b64 exec, exec, s[24:25]
	v_or_b32_e32 v24, 0xb00, v0
	v_cmp_gt_u32_e64 s[22:23], s33, v24
                                        ; implicit-def: $vgpr18
	s_and_saveexec_b64 s[26:27], s[22:23]
	s_cbranch_execz .LBB933_27
; %bb.26:
	v_lshlrev_b32_e32 v7, 2, v24
	v_mov_b32_e32 v19, s56
	v_add_co_u32_e64 v18, s[24:25], s7, v7
	v_addc_co_u32_e64 v19, s[24:25], 0, v19, s[24:25]
	flat_load_dword v18, v[18:19]
.LBB933_27:
	s_or_b64 exec, exec, s[26:27]
	v_or_b32_e32 v25, 0xc00, v0
	v_cmp_gt_u32_e64 s[24:25], s33, v25
                                        ; implicit-def: $vgpr19
	s_and_saveexec_b64 s[28:29], s[24:25]
	s_cbranch_execz .LBB933_29
; %bb.28:
	v_lshlrev_b32_e32 v7, 2, v25
	v_mov_b32_e32 v19, s56
	v_add_co_u32_e64 v20, s[26:27], s7, v7
	v_addc_co_u32_e64 v21, s[26:27], 0, v19, s[26:27]
	flat_load_dword v19, v[20:21]
.LBB933_29:
	s_or_b64 exec, exec, s[28:29]
	v_or_b32_e32 v26, 0xd00, v0
	v_cmp_gt_u32_e64 s[26:27], s33, v26
                                        ; implicit-def: $vgpr20
	s_and_saveexec_b64 s[34:35], s[26:27]
	s_cbranch_execz .LBB933_31
; %bb.30:
	v_lshlrev_b32_e32 v7, 2, v26
	v_mov_b32_e32 v21, s56
	v_add_co_u32_e64 v20, s[28:29], s7, v7
	v_addc_co_u32_e64 v21, s[28:29], 0, v21, s[28:29]
	flat_load_dword v20, v[20:21]
.LBB933_31:
	s_or_b64 exec, exec, s[34:35]
	v_or_b32_e32 v27, 0xe00, v0
	v_cmp_gt_u32_e64 s[28:29], s33, v27
                                        ; implicit-def: $vgpr21
	s_and_saveexec_b64 s[40:41], s[28:29]
	s_cbranch_execz .LBB933_33
; %bb.32:
	v_lshlrev_b32_e32 v7, 2, v27
	v_mov_b32_e32 v21, s56
	v_add_co_u32_e64 v28, s[34:35], s7, v7
	v_addc_co_u32_e64 v29, s[34:35], 0, v21, s[34:35]
	flat_load_dword v21, v[28:29]
.LBB933_33:
	s_or_b64 exec, exec, s[40:41]
	v_lshlrev_b32_e32 v7, 2, v0
	v_mad_u32_u24 v38, v0, 56, v7
	s_waitcnt vmcnt(0) lgkmcnt(0)
	ds_write2st64_b32 v7, v1, v8 offset1:4
	ds_write2st64_b32 v7, v9, v10 offset0:8 offset1:12
	ds_write2st64_b32 v7, v11, v12 offset0:16 offset1:20
	;; [unrolled: 1-line block ×6, first 2 shown]
	ds_write_b32 v7, v21 offset:14336
	s_waitcnt lgkmcnt(0)
	s_barrier
	ds_read2_b32 v[20:21], v38 offset1:1
	ds_read2_b32 v[18:19], v38 offset0:2 offset1:3
	ds_read2_b32 v[16:17], v38 offset0:4 offset1:5
	;; [unrolled: 1-line block ×6, first 2 shown]
	ds_read_b32 v1, v38 offset:56
	s_waitcnt lgkmcnt(0)
	s_barrier
	s_waitcnt lgkmcnt(0)
                                        ; implicit-def: $vgpr28
	s_and_saveexec_b64 s[34:35], vcc
	s_cbranch_execnz .LBB933_57
; %bb.34:
	s_or_b64 exec, exec, s[34:35]
                                        ; implicit-def: $vgpr29
	s_and_saveexec_b64 s[34:35], s[0:1]
	s_cbranch_execnz .LBB933_58
.LBB933_35:
	s_or_b64 exec, exec, s[34:35]
                                        ; implicit-def: $vgpr30
	s_and_saveexec_b64 s[0:1], s[2:3]
	s_cbranch_execnz .LBB933_59
.LBB933_36:
	s_or_b64 exec, exec, s[0:1]
                                        ; implicit-def: $vgpr31
	s_and_saveexec_b64 s[0:1], s[30:31]
	s_cbranch_execnz .LBB933_60
.LBB933_37:
	s_or_b64 exec, exec, s[0:1]
                                        ; implicit-def: $vgpr32
	s_and_saveexec_b64 s[0:1], s[8:9]
	s_cbranch_execnz .LBB933_61
.LBB933_38:
	s_or_b64 exec, exec, s[0:1]
                                        ; implicit-def: $vgpr2
	s_and_saveexec_b64 s[0:1], s[10:11]
	s_cbranch_execnz .LBB933_62
.LBB933_39:
	s_or_b64 exec, exec, s[0:1]
                                        ; implicit-def: $vgpr3
	s_and_saveexec_b64 s[0:1], s[12:13]
	s_cbranch_execnz .LBB933_63
.LBB933_40:
	s_or_b64 exec, exec, s[0:1]
                                        ; implicit-def: $vgpr4
	s_and_saveexec_b64 s[0:1], s[14:15]
	s_cbranch_execnz .LBB933_64
.LBB933_41:
	s_or_b64 exec, exec, s[0:1]
                                        ; implicit-def: $vgpr5
	s_and_saveexec_b64 s[0:1], s[16:17]
	s_cbranch_execnz .LBB933_65
.LBB933_42:
	s_or_b64 exec, exec, s[0:1]
                                        ; implicit-def: $vgpr6
	s_and_saveexec_b64 s[0:1], s[18:19]
	s_cbranch_execnz .LBB933_66
.LBB933_43:
	s_or_b64 exec, exec, s[0:1]
                                        ; implicit-def: $vgpr22
	s_and_saveexec_b64 s[0:1], s[20:21]
	s_cbranch_execnz .LBB933_67
.LBB933_44:
	s_or_b64 exec, exec, s[0:1]
                                        ; implicit-def: $vgpr23
	s_and_saveexec_b64 s[0:1], s[22:23]
	s_cbranch_execnz .LBB933_68
.LBB933_45:
	s_or_b64 exec, exec, s[0:1]
                                        ; implicit-def: $vgpr24
	s_and_saveexec_b64 s[0:1], s[24:25]
	s_cbranch_execnz .LBB933_69
.LBB933_46:
	s_or_b64 exec, exec, s[0:1]
                                        ; implicit-def: $vgpr25
	s_and_saveexec_b64 s[0:1], s[26:27]
	s_cbranch_execnz .LBB933_70
.LBB933_47:
	s_or_b64 exec, exec, s[0:1]
                                        ; implicit-def: $vgpr26
	s_and_saveexec_b64 s[0:1], s[28:29]
	s_cbranch_execz .LBB933_49
.LBB933_48:
	v_lshlrev_b32_e32 v26, 2, v27
	v_mov_b32_e32 v27, s58
	v_add_co_u32_e32 v26, vcc, s57, v26
	v_addc_co_u32_e32 v27, vcc, 0, v27, vcc
	flat_load_dword v26, v[26:27]
.LBB933_49:
	s_or_b64 exec, exec, s[0:1]
	s_waitcnt vmcnt(0) lgkmcnt(0)
	ds_write2st64_b32 v7, v28, v29 offset1:4
	ds_write2st64_b32 v7, v30, v31 offset0:8 offset1:12
	ds_write2st64_b32 v7, v32, v2 offset0:16 offset1:20
	;; [unrolled: 1-line block ×6, first 2 shown]
	ds_write_b32 v7, v26 offset:14336
	v_mov_b32_e32 v36, v20
	v_mov_b32_e32 v37, v18
	;; [unrolled: 1-line block ×7, first 2 shown]
	s_waitcnt lgkmcnt(0)
	s_barrier
.LBB933_50:
	ds_read2_b32 v[34:35], v38 offset1:1
	ds_read2_b32 v[32:33], v38 offset0:2 offset1:3
	ds_read2_b32 v[30:31], v38 offset0:4 offset1:5
	;; [unrolled: 1-line block ×6, first 2 shown]
	ds_read_b32 v80, v38 offset:56
	s_load_dwordx4 s[40:43], s[4:5], 0x28
	s_cmp_eq_u64 s[52:53], 0
	s_cselect_b64 s[34:35], -1, 0
	s_cmp_lg_u64 s[52:53], 0
	s_mov_b64 s[2:3], 0
	s_cselect_b64 s[4:5], -1, 0
	s_and_b64 vcc, exec, s[54:55]
	s_waitcnt lgkmcnt(0)
	s_barrier
	s_cbranch_vccz .LBB933_56
; %bb.51:
	s_and_b64 vcc, exec, s[4:5]
	s_cbranch_vccz .LBB933_71
; %bb.52:
	v_mov_b32_e32 v7, s56
	v_add_co_u32_e64 v38, vcc, -4, s7
	v_addc_co_u32_e32 v39, vcc, -1, v7, vcc
	flat_load_dword v7, v[38:39]
	v_lshlrev_b32_e32 v38, 2, v0
	v_cmp_ne_u32_e32 vcc, 0, v0
	ds_write_b32 v38, v1
	s_waitcnt lgkmcnt(0)
	s_barrier
	s_and_saveexec_b64 s[0:1], vcc
	s_cbranch_execz .LBB933_54
; %bb.53:
	s_waitcnt vmcnt(0)
	v_add_u32_e32 v7, -4, v38
	ds_read_b32 v7, v7
.LBB933_54:
	s_or_b64 exec, exec, s[0:1]
	v_cmp_ne_u32_e32 vcc, v36, v21
	v_cndmask_b32_e64 v79, 0, 1, vcc
	v_cmp_ne_u32_e32 vcc, v37, v21
	v_cndmask_b32_e64 v78, 0, 1, vcc
	;; [unrolled: 2-line block ×14, first 2 shown]
	s_waitcnt vmcnt(0) lgkmcnt(0)
	v_cmp_ne_u32_e64 s[0:1], v7, v20
	s_mov_b64 s[2:3], -1
.LBB933_55:
                                        ; implicit-def: $sgpr10
	s_branch .LBB933_83
.LBB933_56:
                                        ; implicit-def: $sgpr0_sgpr1
                                        ; implicit-def: $vgpr66
                                        ; implicit-def: $vgpr67
                                        ; implicit-def: $vgpr68
                                        ; implicit-def: $vgpr69
                                        ; implicit-def: $vgpr70
                                        ; implicit-def: $vgpr71
                                        ; implicit-def: $vgpr72
                                        ; implicit-def: $vgpr73
                                        ; implicit-def: $vgpr74
                                        ; implicit-def: $vgpr75
                                        ; implicit-def: $vgpr76
                                        ; implicit-def: $vgpr77
                                        ; implicit-def: $vgpr78
                                        ; implicit-def: $vgpr79
                                        ; implicit-def: $sgpr10
	s_cbranch_execnz .LBB933_75
	s_branch .LBB933_83
.LBB933_57:
	v_mov_b32_e32 v29, s58
	v_add_co_u32_e32 v28, vcc, s57, v7
	v_addc_co_u32_e32 v29, vcc, 0, v29, vcc
	flat_load_dword v28, v[28:29]
	s_or_b64 exec, exec, s[34:35]
                                        ; implicit-def: $vgpr29
	s_and_saveexec_b64 s[34:35], s[0:1]
	s_cbranch_execz .LBB933_35
.LBB933_58:
	v_mov_b32_e32 v29, s58
	v_add_co_u32_e32 v30, vcc, s57, v7
	v_addc_co_u32_e32 v31, vcc, 0, v29, vcc
	flat_load_dword v29, v[30:31] offset:1024
	s_or_b64 exec, exec, s[34:35]
                                        ; implicit-def: $vgpr30
	s_and_saveexec_b64 s[0:1], s[2:3]
	s_cbranch_execz .LBB933_36
.LBB933_59:
	v_mov_b32_e32 v31, s58
	v_add_co_u32_e32 v30, vcc, s57, v7
	v_addc_co_u32_e32 v31, vcc, 0, v31, vcc
	flat_load_dword v30, v[30:31] offset:2048
	s_or_b64 exec, exec, s[0:1]
                                        ; implicit-def: $vgpr31
	s_and_saveexec_b64 s[0:1], s[30:31]
	s_cbranch_execz .LBB933_37
.LBB933_60:
	v_mov_b32_e32 v31, s58
	v_add_co_u32_e32 v32, vcc, s57, v7
	v_addc_co_u32_e32 v33, vcc, 0, v31, vcc
	flat_load_dword v31, v[32:33] offset:3072
	s_or_b64 exec, exec, s[0:1]
                                        ; implicit-def: $vgpr32
	s_and_saveexec_b64 s[0:1], s[8:9]
	s_cbranch_execz .LBB933_38
.LBB933_61:
	v_lshlrev_b32_e32 v2, 2, v2
	v_mov_b32_e32 v33, s58
	v_add_co_u32_e32 v32, vcc, s57, v2
	v_addc_co_u32_e32 v33, vcc, 0, v33, vcc
	flat_load_dword v32, v[32:33]
	s_or_b64 exec, exec, s[0:1]
                                        ; implicit-def: $vgpr2
	s_and_saveexec_b64 s[0:1], s[10:11]
	s_cbranch_execz .LBB933_39
.LBB933_62:
	v_lshlrev_b32_e32 v2, 2, v3
	v_mov_b32_e32 v3, s58
	v_add_co_u32_e32 v2, vcc, s57, v2
	v_addc_co_u32_e32 v3, vcc, 0, v3, vcc
	flat_load_dword v2, v[2:3]
	s_or_b64 exec, exec, s[0:1]
                                        ; implicit-def: $vgpr3
	s_and_saveexec_b64 s[0:1], s[12:13]
	s_cbranch_execz .LBB933_40
.LBB933_63:
	v_lshlrev_b32_e32 v3, 2, v4
	v_mov_b32_e32 v4, s58
	v_add_co_u32_e32 v34, vcc, s57, v3
	v_addc_co_u32_e32 v35, vcc, 0, v4, vcc
	flat_load_dword v3, v[34:35]
	s_or_b64 exec, exec, s[0:1]
                                        ; implicit-def: $vgpr4
	s_and_saveexec_b64 s[0:1], s[14:15]
	s_cbranch_execz .LBB933_41
.LBB933_64:
	v_lshlrev_b32_e32 v4, 2, v5
	v_mov_b32_e32 v5, s58
	v_add_co_u32_e32 v4, vcc, s57, v4
	v_addc_co_u32_e32 v5, vcc, 0, v5, vcc
	flat_load_dword v4, v[4:5]
	s_or_b64 exec, exec, s[0:1]
                                        ; implicit-def: $vgpr5
	s_and_saveexec_b64 s[0:1], s[16:17]
	s_cbranch_execz .LBB933_42
.LBB933_65:
	v_lshlrev_b32_e32 v5, 2, v6
	v_mov_b32_e32 v6, s58
	v_add_co_u32_e32 v34, vcc, s57, v5
	v_addc_co_u32_e32 v35, vcc, 0, v6, vcc
	flat_load_dword v5, v[34:35]
	s_or_b64 exec, exec, s[0:1]
                                        ; implicit-def: $vgpr6
	s_and_saveexec_b64 s[0:1], s[18:19]
	s_cbranch_execz .LBB933_43
.LBB933_66:
	v_lshlrev_b32_e32 v6, 2, v22
	v_mov_b32_e32 v22, s58
	v_add_co_u32_e32 v34, vcc, s57, v6
	v_addc_co_u32_e32 v35, vcc, 0, v22, vcc
	flat_load_dword v6, v[34:35]
	s_or_b64 exec, exec, s[0:1]
                                        ; implicit-def: $vgpr22
	s_and_saveexec_b64 s[0:1], s[20:21]
	s_cbranch_execz .LBB933_44
.LBB933_67:
	v_lshlrev_b32_e32 v22, 2, v23
	v_mov_b32_e32 v23, s58
	v_add_co_u32_e32 v22, vcc, s57, v22
	v_addc_co_u32_e32 v23, vcc, 0, v23, vcc
	flat_load_dword v22, v[22:23]
	s_or_b64 exec, exec, s[0:1]
                                        ; implicit-def: $vgpr23
	s_and_saveexec_b64 s[0:1], s[22:23]
	s_cbranch_execz .LBB933_45
.LBB933_68:
	v_lshlrev_b32_e32 v23, 2, v24
	v_mov_b32_e32 v24, s58
	v_add_co_u32_e32 v34, vcc, s57, v23
	v_addc_co_u32_e32 v35, vcc, 0, v24, vcc
	flat_load_dword v23, v[34:35]
	s_or_b64 exec, exec, s[0:1]
                                        ; implicit-def: $vgpr24
	s_and_saveexec_b64 s[0:1], s[24:25]
	s_cbranch_execz .LBB933_46
.LBB933_69:
	v_lshlrev_b32_e32 v24, 2, v25
	v_mov_b32_e32 v25, s58
	v_add_co_u32_e32 v24, vcc, s57, v24
	v_addc_co_u32_e32 v25, vcc, 0, v25, vcc
	flat_load_dword v24, v[24:25]
	s_or_b64 exec, exec, s[0:1]
                                        ; implicit-def: $vgpr25
	s_and_saveexec_b64 s[0:1], s[26:27]
	s_cbranch_execz .LBB933_47
.LBB933_70:
	v_lshlrev_b32_e32 v25, 2, v26
	v_mov_b32_e32 v26, s58
	v_add_co_u32_e32 v34, vcc, s57, v25
	v_addc_co_u32_e32 v35, vcc, 0, v26, vcc
	flat_load_dword v25, v[34:35]
	s_or_b64 exec, exec, s[0:1]
                                        ; implicit-def: $vgpr26
	s_and_saveexec_b64 s[0:1], s[28:29]
	s_cbranch_execnz .LBB933_48
	s_branch .LBB933_49
.LBB933_71:
                                        ; implicit-def: $sgpr0_sgpr1
                                        ; implicit-def: $vgpr66
                                        ; implicit-def: $vgpr67
                                        ; implicit-def: $vgpr68
                                        ; implicit-def: $vgpr69
                                        ; implicit-def: $vgpr70
                                        ; implicit-def: $vgpr71
                                        ; implicit-def: $vgpr72
                                        ; implicit-def: $vgpr73
                                        ; implicit-def: $vgpr74
                                        ; implicit-def: $vgpr75
                                        ; implicit-def: $vgpr76
                                        ; implicit-def: $vgpr77
                                        ; implicit-def: $vgpr78
                                        ; implicit-def: $vgpr79
	s_cbranch_execz .LBB933_55
; %bb.72:
	v_cmp_ne_u32_e32 vcc, v21, v36
	v_cndmask_b32_e64 v79, 0, 1, vcc
	v_cmp_ne_u32_e32 vcc, v21, v37
	v_cndmask_b32_e64 v78, 0, 1, vcc
	;; [unrolled: 2-line block ×13, first 2 shown]
	v_cmp_ne_u32_e32 vcc, v9, v1
	v_lshlrev_b32_e32 v7, 2, v0
	v_cndmask_b32_e64 v66, 0, 1, vcc
	v_cmp_ne_u32_e32 vcc, 0, v0
	ds_write_b32 v7, v1
	s_waitcnt lgkmcnt(0)
	s_barrier
	s_waitcnt lgkmcnt(0)
                                        ; implicit-def: $sgpr0_sgpr1
	s_and_saveexec_b64 s[8:9], vcc
	s_xor_b64 s[8:9], exec, s[8:9]
	s_cbranch_execz .LBB933_74
; %bb.73:
	v_add_u32_e32 v2, -4, v7
	ds_read_b32 v2, v2
	s_or_b64 s[2:3], s[2:3], exec
	s_waitcnt lgkmcnt(0)
	v_cmp_ne_u32_e32 vcc, v2, v20
	s_and_b64 s[0:1], vcc, exec
.LBB933_74:
	s_or_b64 exec, exec, s[8:9]
	s_mov_b32 s10, 1
	s_branch .LBB933_83
.LBB933_75:
	s_mul_hi_u32 s1, s52, 0xfffff100
	s_mul_i32 s0, s53, 0xfffff100
	s_sub_i32 s1, s1, s52
	s_add_i32 s1, s1, s0
	s_mul_i32 s0, s52, 0xfffff100
	s_add_u32 s8, s0, s44
	s_addc_u32 s9, s1, s45
	s_and_b64 vcc, exec, s[4:5]
	s_cbranch_vccz .LBB933_80
; %bb.76:
	v_mov_b32_e32 v3, s56
	v_add_co_u32_e64 v2, vcc, -4, s7
	v_addc_co_u32_e32 v3, vcc, -1, v3, vcc
	flat_load_dword v6, v[2:3]
	v_mad_u32_u24 v4, v0, 15, 14
	v_mov_b32_e32 v5, 0
	v_cmp_gt_u64_e32 vcc, s[8:9], v[4:5]
	v_cmp_ne_u32_e64 s[0:1], v9, v1
	v_mad_u32_u24 v4, v0, 15, 13
	s_and_b64 s[2:3], vcc, s[0:1]
	v_cmp_gt_u64_e32 vcc, s[8:9], v[4:5]
	v_cmp_ne_u32_e64 s[0:1], v8, v9
	v_mad_u32_u24 v4, v0, 15, 12
	s_and_b64 s[4:5], vcc, s[0:1]
	;; [unrolled: 4-line block ×13, first 2 shown]
	v_cmp_gt_u64_e32 vcc, s[8:9], v[4:5]
	v_cmp_ne_u32_e64 s[0:1], v20, v21
	v_lshlrev_b32_e32 v3, 2, v0
	v_mul_u32_u24_e32 v2, 15, v0
	s_and_b64 s[0:1], vcc, s[0:1]
	v_cmp_ne_u32_e32 vcc, 0, v0
	ds_write_b32 v3, v1
	s_waitcnt lgkmcnt(0)
	s_barrier
	s_and_saveexec_b64 s[44:45], vcc
	s_cbranch_execz .LBB933_78
; %bb.77:
	v_add_u32_e32 v3, -4, v3
	s_waitcnt vmcnt(0)
	ds_read_b32 v6, v3
.LBB933_78:
	s_or_b64 exec, exec, s[44:45]
	v_mov_b32_e32 v3, v5
	v_cndmask_b32_e64 v79, 0, 1, s[0:1]
	v_cmp_gt_u64_e32 vcc, s[8:9], v[2:3]
	s_waitcnt vmcnt(0) lgkmcnt(0)
	v_cmp_ne_u32_e64 s[0:1], v6, v20
	v_cndmask_b32_e64 v66, 0, 1, s[2:3]
	v_cndmask_b32_e64 v67, 0, 1, s[4:5]
	;; [unrolled: 1-line block ×13, first 2 shown]
	s_and_b64 s[0:1], vcc, s[0:1]
	s_mov_b64 s[2:3], -1
.LBB933_79:
                                        ; implicit-def: $sgpr10
	v_mov_b32_e32 v82, s10
	s_and_saveexec_b64 s[4:5], s[2:3]
	s_cbranch_execnz .LBB933_84
	s_branch .LBB933_85
.LBB933_80:
                                        ; implicit-def: $sgpr0_sgpr1
                                        ; implicit-def: $vgpr66
                                        ; implicit-def: $vgpr67
                                        ; implicit-def: $vgpr68
                                        ; implicit-def: $vgpr69
                                        ; implicit-def: $vgpr70
                                        ; implicit-def: $vgpr71
                                        ; implicit-def: $vgpr72
                                        ; implicit-def: $vgpr73
                                        ; implicit-def: $vgpr74
                                        ; implicit-def: $vgpr75
                                        ; implicit-def: $vgpr76
                                        ; implicit-def: $vgpr77
                                        ; implicit-def: $vgpr78
                                        ; implicit-def: $vgpr79
	s_cbranch_execz .LBB933_79
; %bb.81:
	v_mad_u32_u24 v2, v0, 15, 14
	v_mov_b32_e32 v3, 0
	v_cmp_gt_u64_e32 vcc, s[8:9], v[2:3]
	v_cmp_ne_u32_e64 s[0:1], v9, v1
	s_and_b64 s[0:1], vcc, s[0:1]
	v_mad_u32_u24 v2, v0, 15, 13
	v_cndmask_b32_e64 v66, 0, 1, s[0:1]
	v_cmp_gt_u64_e32 vcc, s[8:9], v[2:3]
	v_cmp_ne_u32_e64 s[0:1], v8, v9
	s_and_b64 s[0:1], vcc, s[0:1]
	v_mad_u32_u24 v2, v0, 15, 12
	v_cndmask_b32_e64 v67, 0, 1, s[0:1]
	v_cmp_gt_u64_e32 vcc, s[8:9], v[2:3]
	v_cmp_ne_u32_e64 s[0:1], v11, v8
	s_and_b64 s[0:1], vcc, s[0:1]
	v_mad_u32_u24 v2, v0, 15, 11
	v_cndmask_b32_e64 v68, 0, 1, s[0:1]
	v_cmp_gt_u64_e32 vcc, s[8:9], v[2:3]
	v_cmp_ne_u32_e64 s[0:1], v10, v11
	s_and_b64 s[0:1], vcc, s[0:1]
	v_mad_u32_u24 v2, v0, 15, 10
	v_cndmask_b32_e64 v69, 0, 1, s[0:1]
	v_cmp_gt_u64_e32 vcc, s[8:9], v[2:3]
	v_cmp_ne_u32_e64 s[0:1], v13, v10
	s_and_b64 s[0:1], vcc, s[0:1]
	v_mad_u32_u24 v2, v0, 15, 9
	v_cndmask_b32_e64 v70, 0, 1, s[0:1]
	v_cmp_gt_u64_e32 vcc, s[8:9], v[2:3]
	v_cmp_ne_u32_e64 s[0:1], v12, v13
	s_and_b64 s[0:1], vcc, s[0:1]
	v_mad_u32_u24 v2, v0, 15, 8
	v_cndmask_b32_e64 v71, 0, 1, s[0:1]
	v_cmp_gt_u64_e32 vcc, s[8:9], v[2:3]
	v_cmp_ne_u32_e64 s[0:1], v15, v12
	s_and_b64 s[0:1], vcc, s[0:1]
	v_mad_u32_u24 v2, v0, 15, 7
	v_cndmask_b32_e64 v72, 0, 1, s[0:1]
	v_cmp_gt_u64_e32 vcc, s[8:9], v[2:3]
	v_cmp_ne_u32_e64 s[0:1], v14, v15
	s_and_b64 s[0:1], vcc, s[0:1]
	v_mad_u32_u24 v2, v0, 15, 6
	v_cndmask_b32_e64 v73, 0, 1, s[0:1]
	v_cmp_gt_u64_e32 vcc, s[8:9], v[2:3]
	v_cmp_ne_u32_e64 s[0:1], v17, v14
	s_and_b64 s[0:1], vcc, s[0:1]
	v_mad_u32_u24 v2, v0, 15, 5
	v_cndmask_b32_e64 v74, 0, 1, s[0:1]
	v_cmp_gt_u64_e32 vcc, s[8:9], v[2:3]
	v_cmp_ne_u32_e64 s[0:1], v16, v17
	s_and_b64 s[0:1], vcc, s[0:1]
	v_mad_u32_u24 v2, v0, 15, 4
	v_cndmask_b32_e64 v75, 0, 1, s[0:1]
	v_cmp_gt_u64_e32 vcc, s[8:9], v[2:3]
	v_cmp_ne_u32_e64 s[0:1], v19, v16
	s_and_b64 s[0:1], vcc, s[0:1]
	v_mad_u32_u24 v2, v0, 15, 3
	v_cndmask_b32_e64 v76, 0, 1, s[0:1]
	v_cmp_gt_u64_e32 vcc, s[8:9], v[2:3]
	v_cmp_ne_u32_e64 s[0:1], v18, v19
	s_and_b64 s[0:1], vcc, s[0:1]
	v_mad_u32_u24 v2, v0, 15, 2
	v_cndmask_b32_e64 v77, 0, 1, s[0:1]
	v_cmp_gt_u64_e32 vcc, s[8:9], v[2:3]
	v_cmp_ne_u32_e64 s[0:1], v21, v18
	s_and_b64 s[0:1], vcc, s[0:1]
	v_mad_u32_u24 v2, v0, 15, 1
	v_cndmask_b32_e64 v78, 0, 1, s[0:1]
	v_cmp_gt_u64_e32 vcc, s[8:9], v[2:3]
	v_cmp_ne_u32_e64 s[0:1], v20, v21
	s_and_b64 s[0:1], vcc, s[0:1]
	v_lshlrev_b32_e32 v4, 2, v0
	s_mov_b32 s10, 1
	v_cndmask_b32_e64 v79, 0, 1, s[0:1]
	v_cmp_ne_u32_e32 vcc, 0, v0
	ds_write_b32 v4, v1
	s_waitcnt lgkmcnt(0)
	s_barrier
	s_waitcnt lgkmcnt(0)
                                        ; implicit-def: $sgpr0_sgpr1
	s_and_saveexec_b64 s[4:5], vcc
	s_cbranch_execz .LBB933_170
; %bb.82:
	v_add_u32_e32 v2, -4, v4
	ds_read_b32 v4, v2
	v_mul_u32_u24_e32 v2, 15, v0
	v_cmp_gt_u64_e32 vcc, s[8:9], v[2:3]
	s_or_b64 s[2:3], s[2:3], exec
	s_waitcnt lgkmcnt(0)
	v_cmp_ne_u32_e64 s[0:1], v4, v20
	s_and_b64 s[0:1], vcc, s[0:1]
	s_and_b64 s[0:1], s[0:1], exec
	s_or_b64 exec, exec, s[4:5]
.LBB933_83:
	v_mov_b32_e32 v82, s10
	s_and_saveexec_b64 s[4:5], s[2:3]
.LBB933_84:
	v_cndmask_b32_e64 v82, 0, 1, s[0:1]
.LBB933_85:
	s_or_b64 exec, exec, s[4:5]
	s_cmp_eq_u64 s[38:39], 0
	v_add3_u32 v2, v79, v82, v78
	s_cselect_b64 s[38:39], -1, 0
	s_cmp_lg_u32 s6, 0
	v_cmp_eq_u32_e64 s[24:25], 0, v79
	v_cmp_eq_u32_e64 s[22:23], 0, v78
	;; [unrolled: 1-line block ×3, first 2 shown]
	v_add3_u32 v86, v2, v77, v76
	v_cmp_eq_u32_e64 s[18:19], 0, v76
	v_cmp_eq_u32_e64 s[16:17], 0, v75
	;; [unrolled: 1-line block ×10, first 2 shown]
	v_cmp_eq_u32_e32 vcc, 0, v66
	v_mbcnt_lo_u32_b32 v85, -1, 0
	v_lshrrev_b32_e32 v83, 6, v0
	v_or_b32_e32 v84, 63, v0
	s_cbranch_scc0 .LBB933_116
; %bb.86:
	v_cndmask_b32_e64 v2, 0, v34, s[24:25]
	v_add_u32_e32 v2, v2, v35
	v_cndmask_b32_e64 v2, 0, v2, s[22:23]
	v_add_u32_e32 v2, v2, v32
	;; [unrolled: 2-line block ×11, first 2 shown]
	v_cndmask_b32_e64 v2, 0, v2, s[2:3]
	v_add3_u32 v3, v86, v75, v74
	v_add_u32_e32 v2, v2, v22
	v_add3_u32 v3, v3, v73, v72
	v_cndmask_b32_e64 v2, 0, v2, s[0:1]
	v_add3_u32 v3, v3, v71, v70
	v_add_u32_e32 v2, v2, v23
	v_add3_u32 v3, v3, v69, v68
	v_cndmask_b32_e32 v2, 0, v2, vcc
	v_add3_u32 v3, v3, v67, v66
	v_add_u32_e32 v2, v2, v80
	v_mbcnt_hi_u32_b32 v39, -1, v85
	v_and_b32_e32 v4, 15, v39
	v_mov_b32_dpp v6, v2 row_shr:1 row_mask:0xf bank_mask:0xf
	v_cmp_eq_u32_e32 vcc, 0, v3
	v_mov_b32_dpp v5, v3 row_shr:1 row_mask:0xf bank_mask:0xf
	v_cndmask_b32_e32 v6, 0, v6, vcc
	v_cmp_eq_u32_e32 vcc, 0, v4
	v_cndmask_b32_e64 v5, v5, 0, vcc
	v_add_u32_e32 v3, v5, v3
	v_cndmask_b32_e64 v5, v6, 0, vcc
	v_add_u32_e32 v2, v5, v2
	v_cmp_eq_u32_e32 vcc, 0, v3
	v_mov_b32_dpp v5, v3 row_shr:2 row_mask:0xf bank_mask:0xf
	v_cmp_lt_u32_e64 s[26:27], 1, v4
	v_mov_b32_dpp v6, v2 row_shr:2 row_mask:0xf bank_mask:0xf
	v_cndmask_b32_e64 v5, 0, v5, s[26:27]
	s_and_b64 vcc, s[26:27], vcc
	v_cndmask_b32_e32 v6, 0, v6, vcc
	v_add_u32_e32 v3, v3, v5
	v_add_u32_e32 v2, v6, v2
	v_cmp_eq_u32_e32 vcc, 0, v3
	v_mov_b32_dpp v5, v3 row_shr:4 row_mask:0xf bank_mask:0xf
	v_cmp_lt_u32_e64 s[26:27], 3, v4
	v_mov_b32_dpp v6, v2 row_shr:4 row_mask:0xf bank_mask:0xf
	v_cndmask_b32_e64 v5, 0, v5, s[26:27]
	s_and_b64 vcc, s[26:27], vcc
	v_cndmask_b32_e32 v6, 0, v6, vcc
	v_add_u32_e32 v3, v5, v3
	v_add_u32_e32 v2, v2, v6
	v_cmp_eq_u32_e32 vcc, 0, v3
	v_cmp_lt_u32_e64 s[26:27], 7, v4
	v_mov_b32_dpp v5, v3 row_shr:8 row_mask:0xf bank_mask:0xf
	v_mov_b32_dpp v6, v2 row_shr:8 row_mask:0xf bank_mask:0xf
	s_and_b64 vcc, s[26:27], vcc
	v_cndmask_b32_e64 v4, 0, v5, s[26:27]
	v_cndmask_b32_e32 v5, 0, v6, vcc
	v_add_u32_e32 v2, v5, v2
	v_add_u32_e32 v3, v4, v3
	v_bfe_i32 v6, v39, 4, 1
	v_mov_b32_dpp v5, v2 row_bcast:15 row_mask:0xf bank_mask:0xf
	v_mov_b32_dpp v4, v3 row_bcast:15 row_mask:0xf bank_mask:0xf
	v_cmp_eq_u32_e32 vcc, 0, v3
	v_cndmask_b32_e32 v5, 0, v5, vcc
	v_and_b32_e32 v4, v6, v4
	v_add_u32_e32 v3, v4, v3
	v_and_b32_e32 v4, v6, v5
	v_add_u32_e32 v4, v4, v2
	v_mov_b32_dpp v2, v3 row_bcast:31 row_mask:0xf bank_mask:0xf
	v_cmp_eq_u32_e32 vcc, 0, v3
	v_cmp_lt_u32_e64 s[26:27], 31, v39
	v_mov_b32_dpp v5, v4 row_bcast:31 row_mask:0xf bank_mask:0xf
	v_cndmask_b32_e64 v2, 0, v2, s[26:27]
	s_and_b64 vcc, s[26:27], vcc
	v_add_u32_e32 v2, v2, v3
	v_cndmask_b32_e32 v3, 0, v5, vcc
	v_add_u32_e32 v3, v3, v4
	v_cmp_eq_u32_e32 vcc, v84, v0
	v_lshlrev_b32_e32 v4, 3, v83
	s_and_saveexec_b64 s[26:27], vcc
	s_cbranch_execz .LBB933_88
; %bb.87:
	ds_write_b64 v4, v[2:3] offset:2064
.LBB933_88:
	s_or_b64 exec, exec, s[26:27]
	v_cmp_gt_u32_e32 vcc, 4, v0
	s_waitcnt lgkmcnt(0)
	s_barrier
	s_and_saveexec_b64 s[30:31], vcc
	s_cbranch_execz .LBB933_90
; %bb.89:
	v_lshlrev_b32_e32 v5, 3, v0
	ds_read_b64 v[6:7], v5 offset:2064
	v_and_b32_e32 v36, 3, v39
	v_cmp_lt_u32_e64 s[26:27], 1, v36
	s_waitcnt lgkmcnt(0)
	v_mov_b32_dpp v38, v7 row_shr:1 row_mask:0xf bank_mask:0xf
	v_cmp_eq_u32_e32 vcc, 0, v6
	v_mov_b32_dpp v37, v6 row_shr:1 row_mask:0xf bank_mask:0xf
	v_cndmask_b32_e32 v38, 0, v38, vcc
	v_cmp_eq_u32_e32 vcc, 0, v36
	v_cndmask_b32_e64 v37, v37, 0, vcc
	v_add_u32_e32 v6, v37, v6
	v_cndmask_b32_e64 v37, v38, 0, vcc
	v_add_u32_e32 v7, v37, v7
	v_cmp_eq_u32_e32 vcc, 0, v6
	v_mov_b32_dpp v37, v6 row_shr:2 row_mask:0xf bank_mask:0xf
	v_mov_b32_dpp v38, v7 row_shr:2 row_mask:0xf bank_mask:0xf
	v_cndmask_b32_e64 v36, 0, v37, s[26:27]
	s_and_b64 vcc, s[26:27], vcc
	v_add_u32_e32 v6, v36, v6
	v_cndmask_b32_e32 v36, 0, v38, vcc
	v_add_u32_e32 v7, v36, v7
	ds_write_b64 v5, v[6:7] offset:2064
.LBB933_90:
	s_or_b64 exec, exec, s[30:31]
	v_cmp_gt_u32_e32 vcc, 64, v0
	v_cmp_lt_u32_e64 s[26:27], 63, v0
	v_mov_b32_e32 v36, 0
	v_mov_b32_e32 v37, 0
	s_waitcnt lgkmcnt(0)
	s_barrier
	s_and_saveexec_b64 s[30:31], s[26:27]
	s_cbranch_execz .LBB933_92
; %bb.91:
	ds_read_b64 v[36:37], v4 offset:2056
	v_cmp_eq_u32_e64 s[26:27], 0, v2
	s_waitcnt lgkmcnt(0)
	v_add_u32_e32 v4, v36, v2
	v_cndmask_b32_e64 v2, 0, v37, s[26:27]
	v_add_u32_e32 v3, v2, v3
	v_mov_b32_e32 v2, v4
.LBB933_92:
	s_or_b64 exec, exec, s[30:31]
	v_add_u32_e32 v4, -1, v39
	v_and_b32_e32 v5, 64, v39
	v_cmp_lt_i32_e64 s[26:27], v4, v5
	v_cndmask_b32_e64 v4, v4, v39, s[26:27]
	v_lshlrev_b32_e32 v4, 2, v4
	ds_bpermute_b32 v44, v4, v2
	ds_bpermute_b32 v45, v4, v3
	v_cmp_eq_u32_e64 s[26:27], 0, v39
	s_and_saveexec_b64 s[44:45], vcc
	s_cbranch_execz .LBB933_115
; %bb.93:
	v_mov_b32_e32 v7, 0
	ds_read_b64 v[2:3], v7 offset:2088
	s_waitcnt lgkmcnt(0)
	v_readfirstlane_b32 s7, v2
	v_readfirstlane_b32 s54, v3
	s_and_saveexec_b64 s[30:31], s[26:27]
	s_cbranch_execz .LBB933_95
; %bb.94:
	s_add_i32 s52, s6, 64
	s_mov_b32 s53, 0
	s_lshl_b64 s[56:57], s[52:53], 4
	s_add_u32 s56, s36, s56
	s_addc_u32 s57, s37, s57
	s_and_b32 s59, s54, 0xff000000
	s_mov_b32 s58, s53
	s_and_b32 s61, s54, 0xff0000
	s_mov_b32 s60, s53
	s_or_b64 s[58:59], s[60:61], s[58:59]
	s_and_b32 s61, s54, 0xff00
	s_or_b64 s[58:59], s[58:59], s[60:61]
	s_and_b32 s61, s54, 0xff
	s_or_b64 s[52:53], s[58:59], s[60:61]
	v_mov_b32_e32 v4, s7
	v_mov_b32_e32 v5, s53
	;; [unrolled: 1-line block ×3, first 2 shown]
	v_pk_mov_b32 v[2:3], s[56:57], s[56:57] op_sel:[0,1]
	;;#ASMSTART
	global_store_dwordx4 v[2:3], v[4:7] off	
s_waitcnt vmcnt(0)
	;;#ASMEND
.LBB933_95:
	s_or_b64 exec, exec, s[30:31]
	v_xad_u32 v38, v39, -1, s6
	v_add_u32_e32 v6, 64, v38
	v_lshlrev_b64 v[2:3], 4, v[6:7]
	v_mov_b32_e32 v4, s37
	v_add_co_u32_e32 v40, vcc, s36, v2
	v_addc_co_u32_e32 v41, vcc, v4, v3, vcc
	;;#ASMSTART
	global_load_dwordx4 v[2:5], v[40:41] off glc	
s_waitcnt vmcnt(0)
	;;#ASMEND
	v_and_b32_e32 v5, 0xff, v3
	v_and_b32_e32 v6, 0xff00, v3
	;; [unrolled: 1-line block ×3, first 2 shown]
	v_or3_b32 v5, 0, v5, v6
	v_or3_b32 v2, v2, 0, 0
	v_and_b32_e32 v3, 0xff000000, v3
	v_or3_b32 v3, v5, v42, v3
	v_or3_b32 v2, v2, 0, 0
	v_cmp_eq_u16_sdwa s[52:53], v4, v7 src0_sel:BYTE_0 src1_sel:DWORD
	s_and_saveexec_b64 s[30:31], s[52:53]
	s_cbranch_execz .LBB933_101
; %bb.96:
	s_mov_b32 s55, 1
	s_mov_b64 s[52:53], 0
	v_mov_b32_e32 v6, 0
.LBB933_97:                             ; =>This Loop Header: Depth=1
                                        ;     Child Loop BB933_98 Depth 2
	s_max_u32 s56, s55, 1
.LBB933_98:                             ;   Parent Loop BB933_97 Depth=1
                                        ; =>  This Inner Loop Header: Depth=2
	s_add_i32 s56, s56, -1
	s_cmp_eq_u32 s56, 0
	s_sleep 1
	s_cbranch_scc0 .LBB933_98
; %bb.99:                               ;   in Loop: Header=BB933_97 Depth=1
	s_cmp_lt_u32 s55, 32
	s_cselect_b64 s[56:57], -1, 0
	s_cmp_lg_u64 s[56:57], 0
	s_addc_u32 s55, s55, 0
	;;#ASMSTART
	global_load_dwordx4 v[2:5], v[40:41] off glc	
s_waitcnt vmcnt(0)
	;;#ASMEND
	v_cmp_ne_u16_sdwa s[56:57], v4, v6 src0_sel:BYTE_0 src1_sel:DWORD
	s_or_b64 s[52:53], s[56:57], s[52:53]
	s_andn2_b64 exec, exec, s[52:53]
	s_cbranch_execnz .LBB933_97
; %bb.100:
	s_or_b64 exec, exec, s[52:53]
.LBB933_101:
	s_or_b64 exec, exec, s[30:31]
	v_mov_b32_e32 v46, 2
	v_cmp_eq_u16_sdwa s[30:31], v4, v46 src0_sel:BYTE_0 src1_sel:DWORD
	v_lshlrev_b64 v[40:41], v39, -1
	v_and_b32_e32 v5, s31, v41
	v_and_b32_e32 v47, 63, v39
	v_or_b32_e32 v5, 0x80000000, v5
	v_cmp_ne_u32_e32 vcc, 63, v47
	v_and_b32_e32 v6, s30, v40
	v_ffbl_b32_e32 v5, v5
	v_addc_co_u32_e32 v7, vcc, 0, v39, vcc
	v_add_u32_e32 v5, 32, v5
	v_ffbl_b32_e32 v6, v6
	v_lshlrev_b32_e32 v48, 2, v7
	v_min_u32_e32 v5, v6, v5
	ds_bpermute_b32 v6, v48, v3
	v_cmp_eq_u32_e32 vcc, 0, v2
	v_cmp_lt_u32_e64 s[30:31], v47, v5
	ds_bpermute_b32 v7, v48, v2
	s_and_b64 vcc, s[30:31], vcc
	s_waitcnt lgkmcnt(1)
	v_cndmask_b32_e32 v6, 0, v6, vcc
	v_cmp_gt_u32_e32 vcc, 62, v47
	v_add_u32_e32 v3, v6, v3
	v_cndmask_b32_e64 v6, 0, 1, vcc
	v_lshlrev_b32_e32 v6, 1, v6
	v_add_lshl_u32 v49, v6, v39, 2
	s_waitcnt lgkmcnt(0)
	v_cndmask_b32_e64 v7, 0, v7, s[30:31]
	ds_bpermute_b32 v6, v49, v3
	v_add_u32_e32 v2, v7, v2
	ds_bpermute_b32 v7, v49, v2
	v_add_u32_e32 v50, 2, v47
	v_cmp_eq_u32_e32 vcc, 0, v2
	s_waitcnt lgkmcnt(1)
	v_cndmask_b32_e32 v6, 0, v6, vcc
	v_cmp_gt_u32_e32 vcc, v50, v5
	v_cndmask_b32_e64 v6, v6, 0, vcc
	v_add_u32_e32 v3, v6, v3
	s_waitcnt lgkmcnt(0)
	v_cndmask_b32_e64 v6, v7, 0, vcc
	v_cmp_gt_u32_e32 vcc, 60, v47
	v_cndmask_b32_e64 v7, 0, 1, vcc
	v_lshlrev_b32_e32 v7, 2, v7
	v_add_lshl_u32 v51, v7, v39, 2
	ds_bpermute_b32 v7, v51, v3
	v_add_u32_e32 v2, v2, v6
	ds_bpermute_b32 v6, v51, v2
	v_add_u32_e32 v52, 4, v47
	v_cmp_eq_u32_e32 vcc, 0, v2
	s_waitcnt lgkmcnt(1)
	v_cndmask_b32_e32 v7, 0, v7, vcc
	v_cmp_gt_u32_e32 vcc, v52, v5
	v_cndmask_b32_e64 v7, v7, 0, vcc
	s_waitcnt lgkmcnt(0)
	v_cndmask_b32_e64 v6, v6, 0, vcc
	v_cmp_gt_u32_e32 vcc, 56, v47
	v_add_u32_e32 v3, v3, v7
	v_cndmask_b32_e64 v7, 0, 1, vcc
	v_lshlrev_b32_e32 v7, 3, v7
	v_add_lshl_u32 v53, v7, v39, 2
	ds_bpermute_b32 v7, v53, v3
	v_add_u32_e32 v2, v2, v6
	ds_bpermute_b32 v6, v53, v2
	v_add_u32_e32 v54, 8, v47
	v_cmp_eq_u32_e32 vcc, 0, v2
	s_waitcnt lgkmcnt(1)
	v_cndmask_b32_e32 v7, 0, v7, vcc
	v_cmp_gt_u32_e32 vcc, v54, v5
	v_cndmask_b32_e64 v7, v7, 0, vcc
	s_waitcnt lgkmcnt(0)
	v_cndmask_b32_e64 v6, v6, 0, vcc
	v_cmp_gt_u32_e32 vcc, 48, v47
	v_add_u32_e32 v3, v3, v7
	;; [unrolled: 16-line block ×3, first 2 shown]
	v_cndmask_b32_e64 v7, 0, 1, vcc
	v_lshlrev_b32_e32 v7, 5, v7
	v_add_lshl_u32 v57, v7, v39, 2
	ds_bpermute_b32 v7, v57, v3
	v_add_u32_e32 v2, v2, v6
	ds_bpermute_b32 v6, v57, v2
	v_add_u32_e32 v58, 32, v47
	v_cmp_eq_u32_e32 vcc, 0, v2
	s_waitcnt lgkmcnt(1)
	v_cndmask_b32_e32 v7, 0, v7, vcc
	v_cmp_gt_u32_e32 vcc, v58, v5
	v_cndmask_b32_e64 v5, v7, 0, vcc
	v_add_u32_e32 v3, v5, v3
	s_waitcnt lgkmcnt(0)
	v_cndmask_b32_e64 v5, v6, 0, vcc
	v_add_u32_e32 v2, v5, v2
	v_mov_b32_e32 v39, 0
	s_branch .LBB933_103
.LBB933_102:                            ;   in Loop: Header=BB933_103 Depth=1
	s_or_b64 exec, exec, s[30:31]
	v_cmp_eq_u16_sdwa s[30:31], v4, v46 src0_sel:BYTE_0 src1_sel:DWORD
	v_and_b32_e32 v5, s31, v41
	v_or_b32_e32 v5, 0x80000000, v5
	v_and_b32_e32 v42, s30, v40
	v_ffbl_b32_e32 v5, v5
	v_add_u32_e32 v5, 32, v5
	v_ffbl_b32_e32 v42, v42
	v_min_u32_e32 v5, v42, v5
	ds_bpermute_b32 v42, v48, v3
	v_cmp_eq_u32_e32 vcc, 0, v2
	v_cmp_lt_u32_e64 s[30:31], v47, v5
	ds_bpermute_b32 v43, v48, v2
	s_and_b64 vcc, s[30:31], vcc
	s_waitcnt lgkmcnt(1)
	v_cndmask_b32_e32 v42, 0, v42, vcc
	v_add_u32_e32 v3, v42, v3
	ds_bpermute_b32 v42, v49, v3
	s_waitcnt lgkmcnt(1)
	v_cndmask_b32_e64 v43, 0, v43, s[30:31]
	v_add_u32_e32 v2, v43, v2
	v_cmp_eq_u32_e32 vcc, 0, v2
	ds_bpermute_b32 v43, v49, v2
	s_waitcnt lgkmcnt(1)
	v_cndmask_b32_e32 v42, 0, v42, vcc
	v_cmp_gt_u32_e32 vcc, v50, v5
	v_cndmask_b32_e64 v42, v42, 0, vcc
	v_add_u32_e32 v3, v42, v3
	ds_bpermute_b32 v42, v51, v3
	s_waitcnt lgkmcnt(1)
	v_cndmask_b32_e64 v43, v43, 0, vcc
	v_add_u32_e32 v2, v2, v43
	v_cmp_eq_u32_e32 vcc, 0, v2
	ds_bpermute_b32 v43, v51, v2
	s_waitcnt lgkmcnt(1)
	v_cndmask_b32_e32 v42, 0, v42, vcc
	v_cmp_gt_u32_e32 vcc, v52, v5
	v_cndmask_b32_e64 v42, v42, 0, vcc
	v_add_u32_e32 v3, v3, v42
	ds_bpermute_b32 v42, v53, v3
	s_waitcnt lgkmcnt(1)
	v_cndmask_b32_e64 v43, v43, 0, vcc
	v_add_u32_e32 v2, v2, v43
	ds_bpermute_b32 v43, v53, v2
	v_cmp_eq_u32_e32 vcc, 0, v2
	s_waitcnt lgkmcnt(1)
	v_cndmask_b32_e32 v42, 0, v42, vcc
	v_cmp_gt_u32_e32 vcc, v54, v5
	v_cndmask_b32_e64 v42, v42, 0, vcc
	v_add_u32_e32 v3, v3, v42
	ds_bpermute_b32 v42, v55, v3
	s_waitcnt lgkmcnt(1)
	v_cndmask_b32_e64 v43, v43, 0, vcc
	v_add_u32_e32 v2, v2, v43
	ds_bpermute_b32 v43, v55, v2
	v_cmp_eq_u32_e32 vcc, 0, v2
	;; [unrolled: 11-line block ×3, first 2 shown]
	s_waitcnt lgkmcnt(1)
	v_cndmask_b32_e32 v42, 0, v42, vcc
	v_cmp_gt_u32_e32 vcc, v58, v5
	v_cndmask_b32_e64 v5, v42, 0, vcc
	v_add_u32_e32 v3, v5, v3
	s_waitcnt lgkmcnt(0)
	v_cndmask_b32_e64 v5, v43, 0, vcc
	v_cmp_eq_u32_e32 vcc, 0, v6
	v_cndmask_b32_e32 v3, 0, v3, vcc
	v_subrev_u32_e32 v38, 64, v38
	v_add3_u32 v2, v2, v6, v5
	v_add_u32_e32 v3, v3, v7
.LBB933_103:                            ; =>This Loop Header: Depth=1
                                        ;     Child Loop BB933_106 Depth 2
                                        ;       Child Loop BB933_107 Depth 3
	v_cmp_ne_u16_sdwa s[30:31], v4, v46 src0_sel:BYTE_0 src1_sel:DWORD
	v_mov_b32_e32 v7, v3
	v_cndmask_b32_e64 v3, 0, 1, s[30:31]
	;;#ASMSTART
	;;#ASMEND
	v_cmp_ne_u32_e32 vcc, 0, v3
	s_cmp_lg_u64 vcc, exec
	v_mov_b32_e32 v6, v2
	s_cbranch_scc1 .LBB933_110
; %bb.104:                              ;   in Loop: Header=BB933_103 Depth=1
	v_lshlrev_b64 v[2:3], 4, v[38:39]
	v_mov_b32_e32 v4, s37
	v_add_co_u32_e32 v42, vcc, s36, v2
	v_addc_co_u32_e32 v43, vcc, v4, v3, vcc
	;;#ASMSTART
	global_load_dwordx4 v[2:5], v[42:43] off glc	
s_waitcnt vmcnt(0)
	;;#ASMEND
	v_and_b32_e32 v5, 0xff, v3
	v_and_b32_e32 v59, 0xff00, v3
	;; [unrolled: 1-line block ×3, first 2 shown]
	v_or3_b32 v5, 0, v5, v59
	v_or3_b32 v2, v2, 0, 0
	v_and_b32_e32 v3, 0xff000000, v3
	v_or3_b32 v3, v5, v60, v3
	v_or3_b32 v2, v2, 0, 0
	v_cmp_eq_u16_sdwa s[52:53], v4, v39 src0_sel:BYTE_0 src1_sel:DWORD
	s_and_saveexec_b64 s[30:31], s[52:53]
	s_cbranch_execz .LBB933_102
; %bb.105:                              ;   in Loop: Header=BB933_103 Depth=1
	s_mov_b32 s55, 1
	s_mov_b64 s[52:53], 0
.LBB933_106:                            ;   Parent Loop BB933_103 Depth=1
                                        ; =>  This Loop Header: Depth=2
                                        ;       Child Loop BB933_107 Depth 3
	s_max_u32 s56, s55, 1
.LBB933_107:                            ;   Parent Loop BB933_103 Depth=1
                                        ;     Parent Loop BB933_106 Depth=2
                                        ; =>    This Inner Loop Header: Depth=3
	s_add_i32 s56, s56, -1
	s_cmp_eq_u32 s56, 0
	s_sleep 1
	s_cbranch_scc0 .LBB933_107
; %bb.108:                              ;   in Loop: Header=BB933_106 Depth=2
	s_cmp_lt_u32 s55, 32
	s_cselect_b64 s[56:57], -1, 0
	s_cmp_lg_u64 s[56:57], 0
	s_addc_u32 s55, s55, 0
	;;#ASMSTART
	global_load_dwordx4 v[2:5], v[42:43] off glc	
s_waitcnt vmcnt(0)
	;;#ASMEND
	v_cmp_ne_u16_sdwa s[56:57], v4, v39 src0_sel:BYTE_0 src1_sel:DWORD
	s_or_b64 s[52:53], s[56:57], s[52:53]
	s_andn2_b64 exec, exec, s[52:53]
	s_cbranch_execnz .LBB933_106
; %bb.109:                              ;   in Loop: Header=BB933_103 Depth=1
	s_or_b64 exec, exec, s[52:53]
	s_branch .LBB933_102
.LBB933_110:                            ;   in Loop: Header=BB933_103 Depth=1
                                        ; implicit-def: $vgpr3
                                        ; implicit-def: $vgpr2
                                        ; implicit-def: $vgpr4
	s_cbranch_execz .LBB933_103
; %bb.111:
	s_and_saveexec_b64 s[30:31], s[26:27]
	s_cbranch_execz .LBB933_113
; %bb.112:
	s_cmp_eq_u32 s7, 0
	s_cselect_b64 vcc, -1, 0
	s_mov_b32 s53, 0
	v_cndmask_b32_e32 v2, 0, v7, vcc
	s_add_i32 s52, s6, 64
	v_add_u32_e32 v2, s54, v2
	s_lshl_b64 s[52:53], s[52:53], 4
	s_add_u32 s52, s36, s52
	v_and_b32_e32 v3, 0xff000000, v2
	v_and_b32_e32 v4, 0xff0000, v2
	s_addc_u32 s53, s37, s53
	v_or_b32_e32 v3, v4, v3
	v_and_b32_e32 v4, 0xff00, v2
	v_and_b32_e32 v2, 0xff, v2
	v_add_u32_e32 v38, s7, v6
	v_mov_b32_e32 v41, 0
	v_or3_b32 v39, v3, v4, v2
	v_mov_b32_e32 v40, 2
	v_pk_mov_b32 v[2:3], s[52:53], s[52:53] op_sel:[0,1]
	;;#ASMSTART
	global_store_dwordx4 v[2:3], v[38:41] off	
s_waitcnt vmcnt(0)
	;;#ASMEND
	v_mov_b32_e32 v4, s7
	v_mov_b32_e32 v5, s54
	ds_write_b128 v41, v[4:7] offset:2048
.LBB933_113:
	s_or_b64 exec, exec, s[30:31]
	v_cmp_eq_u32_e32 vcc, 0, v0
	s_and_b64 exec, exec, vcc
	s_cbranch_execz .LBB933_115
; %bb.114:
	v_mov_b32_e32 v2, 0
	ds_write_b64 v2, v[6:7] offset:2088
.LBB933_115:
	s_or_b64 exec, exec, s[44:45]
	v_mov_b32_e32 v4, 0
	s_waitcnt lgkmcnt(0)
	s_barrier
	ds_read_b64 v[2:3], v4 offset:2088
	v_cndmask_b32_e64 v6, v44, v36, s[26:27]
	v_cmp_eq_u32_e32 vcc, 0, v6
	v_cndmask_b32_e64 v5, v45, v37, s[26:27]
	s_waitcnt lgkmcnt(0)
	v_cndmask_b32_e32 v7, 0, v3, vcc
	v_add_u32_e32 v5, v7, v5
	v_cmp_eq_u32_e32 vcc, 0, v0
	v_cndmask_b32_e32 v65, v5, v3, vcc
	v_cndmask_b32_e64 v3, v6, 0, vcc
	v_cmp_eq_u32_e32 vcc, 0, v82
	v_add_u32_e32 v64, v2, v3
	v_cndmask_b32_e32 v2, 0, v65, vcc
	v_add_u32_e32 v63, v2, v34
	v_cndmask_b32_e64 v2, 0, v63, s[24:25]
	v_add_u32_e32 v61, v2, v35
	v_cndmask_b32_e64 v2, 0, v61, s[22:23]
	v_add_u32_e32 v59, v2, v32
	v_cndmask_b32_e64 v2, 0, v59, s[20:21]
	v_add_u32_e32 v57, v2, v33
	v_cndmask_b32_e64 v2, 0, v57, s[18:19]
	v_add_u32_e32 v55, v2, v30
	v_cndmask_b32_e64 v2, 0, v55, s[16:17]
	v_add_u32_e32 v53, v2, v31
	v_cndmask_b32_e64 v2, 0, v53, s[14:15]
	v_add_u32_e32 v51, v2, v28
	v_cndmask_b32_e64 v2, 0, v51, s[12:13]
	v_add_u32_e32 v49, v2, v29
	v_cndmask_b32_e64 v2, 0, v49, s[10:11]
	v_add_u32_e32 v62, v64, v82
	v_add_u32_e32 v47, v2, v26
	v_add_u32_e32 v60, v62, v79
	v_cndmask_b32_e64 v2, 0, v47, s[8:9]
	v_add_u32_e32 v58, v60, v78
	v_add_u32_e32 v45, v2, v27
	v_add_u32_e32 v56, v58, v77
	v_cndmask_b32_e64 v2, 0, v45, s[28:29]
	;; [unrolled: 4-line block ×3, first 2 shown]
	v_add_u32_e32 v50, v52, v74
	v_add_u32_e32 v41, v2, v25
	s_barrier
	ds_read_b128 v[2:5], v4 offset:2048
	v_add_u32_e32 v48, v50, v73
	v_add_u32_e32 v46, v48, v72
	;; [unrolled: 1-line block ×4, first 2 shown]
	v_cndmask_b32_e64 v6, 0, v41, s[2:3]
	v_add_u32_e32 v40, v42, v69
	v_add_u32_e32 v39, v6, v22
	s_waitcnt lgkmcnt(0)
	v_cmp_eq_u32_e32 vcc, 0, v2
	v_add_u32_e32 v38, v40, v68
	v_cndmask_b32_e64 v6, 0, v39, s[0:1]
	v_cndmask_b32_e32 v5, 0, v5, vcc
	v_add_u32_e32 v36, v38, v67
	v_add_u32_e32 v37, v6, v23
	;; [unrolled: 1-line block ×3, first 2 shown]
	s_branch .LBB933_128
.LBB933_116:
                                        ; implicit-def: $vgpr2
                                        ; implicit-def: $vgpr81
                                        ; implicit-def: $vgpr64_vgpr65
                                        ; implicit-def: $vgpr62_vgpr63
                                        ; implicit-def: $vgpr60_vgpr61
                                        ; implicit-def: $vgpr58_vgpr59
                                        ; implicit-def: $vgpr56_vgpr57
                                        ; implicit-def: $vgpr54_vgpr55
                                        ; implicit-def: $vgpr52_vgpr53
                                        ; implicit-def: $vgpr50_vgpr51
                                        ; implicit-def: $vgpr48_vgpr49
                                        ; implicit-def: $vgpr46_vgpr47
                                        ; implicit-def: $vgpr44_vgpr45
                                        ; implicit-def: $vgpr42_vgpr43
                                        ; implicit-def: $vgpr40_vgpr41
                                        ; implicit-def: $vgpr38_vgpr39
                                        ; implicit-def: $vgpr36_vgpr37
	s_cbranch_execz .LBB933_128
; %bb.117:
	s_and_b64 s[0:1], s[38:39], exec
	s_cselect_b32 s1, 0, s51
	s_cselect_b32 s0, 0, s50
	s_cmp_eq_u64 s[0:1], 0
	v_mov_b32_e32 v6, v34
	s_cbranch_scc1 .LBB933_119
; %bb.118:
	v_mov_b32_e32 v2, 0
	global_load_dword v6, v2, s[0:1]
.LBB933_119:
	v_cmp_eq_u32_e64 s[0:1], 0, v79
	v_cndmask_b32_e64 v2, 0, v34, s[0:1]
	v_add_u32_e32 v2, v2, v35
	v_cmp_eq_u32_e64 s[2:3], 0, v78
	v_cndmask_b32_e64 v2, 0, v2, s[2:3]
	v_add_u32_e32 v2, v2, v32
	;; [unrolled: 3-line block ×11, first 2 shown]
	v_cmp_eq_u32_e64 s[22:23], 0, v68
	v_cndmask_b32_e64 v2, 0, v2, s[22:23]
	v_add3_u32 v3, v86, v75, v74
	v_add_u32_e32 v2, v2, v22
	v_cmp_eq_u32_e32 vcc, 0, v67
	v_add3_u32 v3, v3, v73, v72
	v_cndmask_b32_e32 v2, 0, v2, vcc
	v_add3_u32 v3, v3, v71, v70
	v_add_u32_e32 v2, v2, v23
	v_cmp_eq_u32_e64 s[24:25], 0, v66
	v_add3_u32 v3, v3, v69, v68
	v_cndmask_b32_e64 v2, 0, v2, s[24:25]
	v_add3_u32 v3, v3, v67, v66
	v_add_u32_e32 v2, v2, v80
	v_mbcnt_hi_u32_b32 v7, -1, v85
	v_and_b32_e32 v4, 15, v7
	v_mov_b32_dpp v36, v2 row_shr:1 row_mask:0xf bank_mask:0xf
	v_cmp_eq_u32_e64 s[24:25], 0, v3
	v_mov_b32_dpp v5, v3 row_shr:1 row_mask:0xf bank_mask:0xf
	v_cndmask_b32_e64 v36, 0, v36, s[24:25]
	v_cmp_eq_u32_e64 s[24:25], 0, v4
	v_cndmask_b32_e64 v5, v5, 0, s[24:25]
	v_add_u32_e32 v3, v5, v3
	v_cndmask_b32_e64 v5, v36, 0, s[24:25]
	v_add_u32_e32 v2, v5, v2
	v_cmp_eq_u32_e64 s[24:25], 0, v3
	v_mov_b32_dpp v5, v3 row_shr:2 row_mask:0xf bank_mask:0xf
	v_cmp_lt_u32_e64 s[26:27], 1, v4
	v_mov_b32_dpp v36, v2 row_shr:2 row_mask:0xf bank_mask:0xf
	v_cndmask_b32_e64 v5, 0, v5, s[26:27]
	s_and_b64 s[24:25], s[26:27], s[24:25]
	v_cndmask_b32_e64 v36, 0, v36, s[24:25]
	v_add_u32_e32 v3, v3, v5
	v_add_u32_e32 v2, v36, v2
	v_cmp_eq_u32_e64 s[24:25], 0, v3
	v_mov_b32_dpp v5, v3 row_shr:4 row_mask:0xf bank_mask:0xf
	v_cmp_lt_u32_e64 s[26:27], 3, v4
	v_mov_b32_dpp v36, v2 row_shr:4 row_mask:0xf bank_mask:0xf
	v_cndmask_b32_e64 v5, 0, v5, s[26:27]
	s_and_b64 s[24:25], s[26:27], s[24:25]
	v_cndmask_b32_e64 v36, 0, v36, s[24:25]
	v_add_u32_e32 v3, v5, v3
	v_add_u32_e32 v2, v2, v36
	v_cmp_eq_u32_e64 s[24:25], 0, v3
	v_cmp_lt_u32_e64 s[26:27], 7, v4
	v_mov_b32_dpp v5, v3 row_shr:8 row_mask:0xf bank_mask:0xf
	v_mov_b32_dpp v36, v2 row_shr:8 row_mask:0xf bank_mask:0xf
	s_and_b64 s[24:25], s[26:27], s[24:25]
	v_cndmask_b32_e64 v4, 0, v5, s[26:27]
	v_cndmask_b32_e64 v5, 0, v36, s[24:25]
	v_add_u32_e32 v2, v5, v2
	v_add_u32_e32 v3, v4, v3
	v_bfe_i32 v36, v7, 4, 1
	v_mov_b32_dpp v5, v2 row_bcast:15 row_mask:0xf bank_mask:0xf
	v_mov_b32_dpp v4, v3 row_bcast:15 row_mask:0xf bank_mask:0xf
	v_cmp_eq_u32_e64 s[24:25], 0, v3
	v_cndmask_b32_e64 v5, 0, v5, s[24:25]
	v_and_b32_e32 v4, v36, v4
	v_add_u32_e32 v3, v4, v3
	v_and_b32_e32 v4, v36, v5
	v_add_u32_e32 v4, v4, v2
	v_mov_b32_dpp v2, v3 row_bcast:31 row_mask:0xf bank_mask:0xf
	v_cmp_eq_u32_e64 s[24:25], 0, v3
	v_cmp_lt_u32_e64 s[26:27], 31, v7
	v_mov_b32_dpp v5, v4 row_bcast:31 row_mask:0xf bank_mask:0xf
	v_cndmask_b32_e64 v2, 0, v2, s[26:27]
	s_and_b64 s[24:25], s[26:27], s[24:25]
	v_add_u32_e32 v2, v2, v3
	v_cndmask_b32_e64 v3, 0, v5, s[24:25]
	v_add_u32_e32 v3, v3, v4
	v_cmp_eq_u32_e64 s[24:25], v84, v0
	s_and_saveexec_b64 s[26:27], s[24:25]
	s_cbranch_execz .LBB933_121
; %bb.120:
	v_lshlrev_b32_e32 v4, 3, v83
	ds_write_b64 v4, v[2:3] offset:2064
.LBB933_121:
	s_or_b64 exec, exec, s[26:27]
	v_cmp_gt_u32_e64 s[24:25], 4, v0
	s_waitcnt lgkmcnt(0)
	s_barrier
	s_and_saveexec_b64 s[28:29], s[24:25]
	s_cbranch_execz .LBB933_123
; %bb.122:
	v_lshlrev_b32_e32 v36, 3, v0
	ds_read_b64 v[4:5], v36 offset:2064
	v_and_b32_e32 v37, 3, v7
	v_cmp_lt_u32_e64 s[26:27], 1, v37
	s_waitcnt lgkmcnt(0)
	v_mov_b32_dpp v39, v5 row_shr:1 row_mask:0xf bank_mask:0xf
	v_cmp_eq_u32_e64 s[24:25], 0, v4
	v_mov_b32_dpp v38, v4 row_shr:1 row_mask:0xf bank_mask:0xf
	v_cndmask_b32_e64 v39, 0, v39, s[24:25]
	v_cmp_eq_u32_e64 s[24:25], 0, v37
	v_cndmask_b32_e64 v38, v38, 0, s[24:25]
	v_add_u32_e32 v4, v38, v4
	v_cndmask_b32_e64 v38, v39, 0, s[24:25]
	v_add_u32_e32 v5, v38, v5
	v_cmp_eq_u32_e64 s[24:25], 0, v4
	v_mov_b32_dpp v38, v4 row_shr:2 row_mask:0xf bank_mask:0xf
	v_mov_b32_dpp v39, v5 row_shr:2 row_mask:0xf bank_mask:0xf
	v_cndmask_b32_e64 v37, 0, v38, s[26:27]
	s_and_b64 s[24:25], s[26:27], s[24:25]
	v_add_u32_e32 v4, v37, v4
	v_cndmask_b32_e64 v37, 0, v39, s[24:25]
	v_add_u32_e32 v5, v37, v5
	ds_write_b64 v36, v[4:5] offset:2064
.LBB933_123:
	s_or_b64 exec, exec, s[28:29]
	v_cmp_lt_u32_e64 s[24:25], 63, v0
	v_mov_b32_e32 v36, 0
	v_mov_b32_e32 v4, 0
	s_waitcnt vmcnt(0)
	v_mov_b32_e32 v5, v6
	s_waitcnt lgkmcnt(0)
	s_barrier
	s_and_saveexec_b64 s[26:27], s[24:25]
	s_cbranch_execz .LBB933_125
; %bb.124:
	v_lshlrev_b32_e32 v4, 3, v83
	ds_read_b64 v[4:5], v4 offset:2056
	s_waitcnt lgkmcnt(0)
	v_cmp_eq_u32_e64 s[24:25], 0, v4
	v_cndmask_b32_e64 v37, 0, v6, s[24:25]
	v_add_u32_e32 v5, v37, v5
.LBB933_125:
	s_or_b64 exec, exec, s[26:27]
	v_cmp_eq_u32_e64 s[24:25], 0, v2
	v_add_u32_e32 v37, v4, v2
	v_cndmask_b32_e64 v2, 0, v5, s[24:25]
	v_add_u32_e32 v2, v2, v3
	v_add_u32_e32 v3, -1, v7
	v_and_b32_e32 v38, 64, v7
	v_cmp_lt_i32_e64 s[24:25], v3, v38
	v_cndmask_b32_e64 v3, v3, v7, s[24:25]
	v_lshlrev_b32_e32 v3, 2, v3
	ds_bpermute_b32 v37, v3, v37
	ds_bpermute_b32 v2, v3, v2
	v_cmp_eq_u32_e64 s[24:25], 0, v7
	v_cmp_eq_u32_e64 s[26:27], 0, v82
	s_waitcnt lgkmcnt(1)
	v_cndmask_b32_e64 v3, v37, v4, s[24:25]
	s_waitcnt lgkmcnt(0)
	v_cndmask_b32_e64 v2, v2, v5, s[24:25]
	v_cmp_eq_u32_e64 s[24:25], 0, v0
	v_cndmask_b32_e64 v65, v2, v6, s[24:25]
	v_cndmask_b32_e64 v2, 0, v65, s[26:27]
	v_add_u32_e32 v63, v2, v34
	v_cndmask_b32_e64 v2, 0, v63, s[0:1]
	v_add_u32_e32 v61, v2, v35
	;; [unrolled: 2-line block ×8, first 2 shown]
	v_cndmask_b32_e64 v64, v3, 0, s[24:25]
	v_cndmask_b32_e64 v2, 0, v49, s[14:15]
	v_add_u32_e32 v62, v64, v82
	v_add_u32_e32 v47, v2, v26
	v_add_u32_e32 v60, v62, v79
	v_cndmask_b32_e64 v2, 0, v47, s[16:17]
	v_add_u32_e32 v58, v60, v78
	v_add_u32_e32 v45, v2, v27
	v_add_u32_e32 v56, v58, v77
	;; [unrolled: 4-line block ×3, first 2 shown]
	v_cndmask_b32_e64 v2, 0, v43, s[20:21]
	v_add_u32_e32 v50, v52, v74
	v_add_u32_e32 v41, v2, v25
	ds_read_b64 v[2:3], v36 offset:2088
	v_add_u32_e32 v48, v50, v73
	v_add_u32_e32 v46, v48, v72
	;; [unrolled: 1-line block ×3, first 2 shown]
	v_cndmask_b32_e64 v4, 0, v41, s[22:23]
	v_add_u32_e32 v42, v44, v70
	v_add_u32_e32 v39, v4, v22
	;; [unrolled: 1-line block ×3, first 2 shown]
	v_cndmask_b32_e32 v4, 0, v39, vcc
	s_waitcnt lgkmcnt(0)
	v_cmp_eq_u32_e32 vcc, 0, v2
	v_add_u32_e32 v38, v40, v68
	v_add_u32_e32 v37, v4, v23
	v_cndmask_b32_e32 v4, 0, v6, vcc
	v_add_u32_e32 v36, v38, v67
	v_add_u32_e32 v81, v4, v3
	s_and_saveexec_b64 s[0:1], s[24:25]
	s_cbranch_execz .LBB933_127
; %bb.126:
	s_add_u32 s2, s36, 0x400
	v_and_b32_e32 v3, 0xff000000, v81
	v_and_b32_e32 v4, 0xff0000, v81
	s_addc_u32 s3, s37, 0
	v_or_b32_e32 v3, v4, v3
	v_and_b32_e32 v4, 0xff00, v81
	v_and_b32_e32 v6, 0xff, v81
	v_mov_b32_e32 v5, 0
	v_or3_b32 v3, v3, v4, v6
	v_mov_b32_e32 v4, 2
	v_pk_mov_b32 v[6:7], s[2:3], s[2:3] op_sel:[0,1]
	;;#ASMSTART
	global_store_dwordx4 v[6:7], v[2:5] off	
s_waitcnt vmcnt(0)
	;;#ASMEND
.LBB933_127:
	s_or_b64 exec, exec, s[0:1]
	v_mov_b32_e32 v4, 0
.LBB933_128:
	s_and_b64 s[0:1], s[38:39], exec
	s_cselect_b32 s1, 0, s47
	s_cselect_b32 s0, 0, s46
	s_cmp_eq_u64 s[0:1], 0
	v_pk_mov_b32 v[6:7], 0, 0
	s_barrier
	s_cbranch_scc1 .LBB933_130
; %bb.129:
	v_mov_b32_e32 v3, 0
	global_load_dwordx2 v[6:7], v3, s[0:1]
.LBB933_130:
	s_movk_i32 s36, 0x100
	v_cmp_gt_u32_e32 vcc, s36, v2
	s_cbranch_vccnz .LBB933_137
; %bb.131:
	v_cmp_eq_u32_e64 s[26:27], 0, v79
	v_cndmask_b32_e64 v33, 1, 2, s[26:27]
	v_cmp_eq_u32_e64 s[26:27], 0, v82
	v_cmp_eq_u32_e64 s[24:25], 0, v78
	v_cndmask_b32_e64 v34, 1, 2, s[26:27]
	v_cmp_eq_u32_e64 s[22:23], 0, v77
	v_cndmask_b32_e64 v32, 1, 2, s[24:25]
	v_and_b32_e32 v33, v33, v34
	v_cmp_eq_u32_e64 s[20:21], 0, v76
	v_cndmask_b32_e64 v31, 1, 2, s[22:23]
	v_and_b32_e32 v32, v33, v32
	;; [unrolled: 3-line block ×11, first 2 shown]
	v_cmp_eq_u32_e32 vcc, 0, v66
	v_cndmask_b32_e64 v5, 1, 2, s[0:1]
	v_and_b32_e32 v22, v23, v22
	v_cndmask_b32_e64 v3, 1, 2, vcc
	v_and_b32_e32 v5, v22, v5
	v_and_b32_e32 v3, v5, v3
	v_cmp_ne_u32_e64 s[18:19], 0, v82
	v_cmp_ne_u32_e32 vcc, 0, v67
	v_cmp_ne_u32_e64 s[0:1], 0, v68
	v_cmp_ne_u32_e64 s[2:3], 0, v69
	;; [unrolled: 1-line block ×12, first 2 shown]
	v_cmp_gt_i16_e64 s[26:27], 2, v3
	s_and_saveexec_b64 s[28:29], s[26:27]
	s_cbranch_execz .LBB933_136
; %bb.132:
	v_cmp_ne_u16_e64 s[26:27], 1, v3
	s_mov_b64 s[30:31], 0
	s_and_saveexec_b64 s[38:39], s[26:27]
	s_xor_b64 s[26:27], exec, s[38:39]
	s_cbranch_execnz .LBB933_171
; %bb.133:
	s_andn2_saveexec_b64 s[0:1], s[26:27]
	s_cbranch_execnz .LBB933_187
.LBB933_134:
	s_or_b64 exec, exec, s[0:1]
	s_and_b64 exec, exec, s[30:31]
	s_cbranch_execz .LBB933_136
.LBB933_135:
	v_sub_u32_e32 v3, v36, v4
	v_lshlrev_b32_e32 v3, 2, v3
	ds_write_b32 v3, v1
.LBB933_136:
	s_or_b64 exec, exec, s[28:29]
	s_waitcnt lgkmcnt(0)
	s_barrier
.LBB933_137:
	s_cmpk_lg_i32 s33, 0xf00
	s_cselect_b64 s[0:1], -1, 0
	s_and_b64 s[0:1], s[48:49], s[0:1]
	v_cmp_eq_u32_e32 vcc, 0, v0
	v_cndmask_b32_e64 v8, 0, 1, s[0:1]
	s_and_b64 s[0:1], vcc, s[34:35]
	v_cndmask_b32_e64 v9, v82, 0, s[0:1]
	s_mul_hi_u32 s0, s33, 0x88888889
	s_lshr_b32 s0, s0, 3
	v_mad_i32_i24 v10, v0, -15, s33
	v_cmp_eq_u32_e32 vcc, s0, v0
	v_cmp_ne_u32_e64 s[0:1], 0, v10
	v_cndmask_b32_e64 v11, 1, v9, s[0:1]
	v_cmp_ne_u32_e64 s[0:1], 1, v10
	v_cndmask_b32_e64 v12, 1, v79, s[0:1]
	;; [unrolled: 2-line block ×15, first 2 shown]
	s_and_b64 vcc, s[48:49], vcc
	v_cndmask_b32_e32 v25, v66, v10, vcc
	v_cndmask_b32_e32 v29, v9, v11, vcc
	s_waitcnt vmcnt(0)
	v_lshlrev_b64 v[10:11], 2, v[6:7]
	v_mov_b32_e32 v5, 0
	v_cndmask_b32_e32 v24, v67, v24, vcc
	v_cndmask_b32_e32 v23, v68, v23, vcc
	;; [unrolled: 1-line block ×13, first 2 shown]
	v_mov_b32_e32 v9, s41
	v_add_co_u32_e32 v12, vcc, s40, v10
	v_addc_co_u32_e32 v9, vcc, v9, v11, vcc
	v_lshlrev_b64 v[10:11], 2, v[4:5]
	v_cndmask_b32_e64 v1, 0, 1, s[34:35]
	v_add_co_u32_e32 v5, vcc, v12, v10
	v_addc_co_u32_e32 v12, vcc, v9, v11, vcc
	v_lshlrev_b32_e32 v9, 2, v1
	v_add_co_u32_e32 v9, vcc, v9, v5
	v_addc_co_u32_e32 v10, vcc, 0, v12, vcc
	v_add_co_u32_e32 v13, vcc, -4, v9
	v_addc_co_u32_e32 v14, vcc, -1, v10, vcc
	v_cmp_eq_u32_e32 vcc, 0, v29
	v_cndmask_b32_e64 v10, 1, 2, vcc
	v_cmp_eq_u32_e32 vcc, 0, v28
	v_cndmask_b32_e64 v11, 1, 2, vcc
	v_cmp_eq_u32_e32 vcc, 0, v27
	v_and_b32_e32 v10, v11, v10
	v_cndmask_b32_e64 v11, 1, 2, vcc
	v_cmp_eq_u32_e32 vcc, 0, v26
	v_and_b32_e32 v10, v10, v11
	;; [unrolled: 3-line block ×11, first 2 shown]
	v_cndmask_b32_e64 v11, 1, 2, vcc
	v_cmp_eq_u32_e32 vcc, 0, v24
	v_sub_u32_e32 v3, v2, v1
	v_and_b32_e32 v10, v10, v11
	v_cndmask_b32_e64 v11, 1, 2, vcc
	v_cmp_eq_u32_e32 vcc, 0, v25
	v_add_u32_e32 v3, v3, v8
	v_and_b32_e32 v10, v10, v11
	v_cndmask_b32_e64 v11, 1, 2, vcc
	v_and_b32_e32 v10, v10, v11
	v_cmp_gt_u32_e32 vcc, s36, v3
	v_add_u32_e32 v9, v4, v1
	v_cmp_ne_u32_e64 s[28:29], 0, v29
	v_cmp_ne_u32_e64 s[26:27], 0, v28
	;; [unrolled: 1-line block ×15, first 2 shown]
	s_mov_b64 s[34:35], -1
	v_cmp_gt_i16_e64 s[30:31], 2, v10
	s_barrier
	s_cbranch_vccz .LBB933_144
; %bb.138:
	s_and_saveexec_b64 s[34:35], s[30:31]
	s_cbranch_execz .LBB933_143
; %bb.139:
	v_cmp_ne_u16_e32 vcc, 1, v10
	s_mov_b64 s[36:37], 0
	s_and_saveexec_b64 s[30:31], vcc
	s_xor_b64 s[30:31], exec, s[30:31]
	s_cbranch_execnz .LBB933_188
; %bb.140:
	s_andn2_saveexec_b64 s[30:31], s[30:31]
	s_cbranch_execnz .LBB933_204
.LBB933_141:
	s_or_b64 exec, exec, s[30:31]
	s_and_b64 exec, exec, s[36:37]
	s_cbranch_execz .LBB933_143
.LBB933_142:
	v_sub_u32_e32 v16, v36, v9
	v_mov_b32_e32 v17, 0
	v_lshlrev_b64 v[16:17], 2, v[16:17]
	v_add_co_u32_e32 v16, vcc, v13, v16
	v_addc_co_u32_e32 v17, vcc, v14, v17, vcc
	global_store_dword v[16:17], v37, off
.LBB933_143:
	s_or_b64 exec, exec, s[34:35]
	s_mov_b64 s[34:35], 0
.LBB933_144:
	s_and_b64 vcc, exec, s[34:35]
	s_cbranch_vccz .LBB933_166
; %bb.145:
	v_cmp_gt_i16_e32 vcc, 2, v10
	s_and_saveexec_b64 s[30:31], vcc
	s_cbranch_execz .LBB933_150
; %bb.146:
	v_cmp_ne_u16_e32 vcc, 1, v10
	s_mov_b64 s[36:37], 0
	s_and_saveexec_b64 s[34:35], vcc
	s_xor_b64 s[34:35], exec, s[34:35]
	s_cbranch_execnz .LBB933_205
; %bb.147:
	s_andn2_saveexec_b64 s[0:1], s[34:35]
	s_cbranch_execnz .LBB933_221
.LBB933_148:
	s_or_b64 exec, exec, s[0:1]
	s_and_b64 exec, exec, s[36:37]
	s_cbranch_execz .LBB933_150
.LBB933_149:
	v_sub_u32_e32 v9, v36, v9
	v_lshlrev_b32_e32 v9, 2, v9
	ds_write_b32 v9, v37
.LBB933_150:
	s_or_b64 exec, exec, s[30:31]
	v_cmp_lt_u32_e32 vcc, v0, v3
	s_waitcnt lgkmcnt(0)
	s_barrier
	s_and_saveexec_b64 s[2:3], vcc
	s_cbranch_execz .LBB933_165
; %bb.151:
	v_add_u32_e32 v10, v2, v8
	v_xad_u32 v8, v0, -1, v10
	v_sub_u32_e32 v9, v8, v1
	s_movk_i32 s0, 0x1900
	v_cmp_gt_u32_e64 s[4:5], s0, v9
	s_movk_i32 s0, 0x18ff
	v_cmp_lt_u32_e32 vcc, s0, v9
	v_mov_b32_e32 v8, v0
	s_and_saveexec_b64 s[6:7], vcc
	s_cbranch_execz .LBB933_162
; %bb.152:
	v_sub_u32_e32 v8, v0, v10
	v_add_u32_e32 v1, v8, v1
	v_or_b32_e32 v1, 0xff, v1
	v_cmp_ge_u32_e32 vcc, v1, v0
	s_mov_b64 s[0:1], -1
	v_mov_b32_e32 v8, v0
	s_and_saveexec_b64 s[8:9], vcc
	s_cbranch_execz .LBB933_161
; %bb.153:
	v_lshrrev_b32_e32 v15, 8, v9
	v_add_u32_e32 v8, -1, v15
	v_or_b32_e32 v1, 0x100, v0
	v_lshrrev_b32_e32 v9, 1, v8
	v_add_u32_e32 v17, 1, v9
	v_cmp_lt_u32_e32 vcc, 13, v8
	v_mov_b32_e32 v20, 0
	v_lshlrev_b32_e32 v16, 2, v0
	v_pk_mov_b32 v[8:9], v[0:1], v[0:1] op_sel:[0,1]
	s_and_saveexec_b64 s[10:11], vcc
	s_cbranch_execz .LBB933_157
; %bb.154:
	v_and_b32_e32 v18, -8, v17
	s_mov_b32 s14, 0
	s_mov_b64 s[12:13], 0
	v_mov_b32_e32 v11, 0
	v_mov_b32_e32 v19, v16
	v_pk_mov_b32 v[8:9], v[0:1], v[0:1] op_sel:[0,1]
.LBB933_155:                            ; =>This Inner Loop Header: Depth=1
	v_mov_b32_e32 v10, v8
	v_add_u32_e32 v18, -8, v18
	v_lshlrev_b64 v[50:51], 2, v[10:11]
	v_mov_b32_e32 v10, v9
	ds_read2st64_b32 v[22:23], v19 offset1:4
	s_add_i32 s14, s14, 16
	v_cmp_eq_u32_e32 vcc, 0, v18
	v_lshlrev_b64 v[54:55], 2, v[10:11]
	v_add_u32_e32 v10, 0x200, v8
	s_or_b64 s[12:13], vcc, s[12:13]
	v_add_co_u32_e32 v54, vcc, v13, v54
	v_add_u32_e32 v20, 0x200, v9
	v_mov_b32_e32 v21, v11
	ds_read2st64_b32 v[24:25], v19 offset0:8 offset1:12
	ds_read2st64_b32 v[28:29], v19 offset0:16 offset1:20
	v_add_co_u32_e64 v50, s[0:1], v13, v50
	v_addc_co_u32_e32 v55, vcc, v14, v55, vcc
	v_lshlrev_b64 v[56:57], 2, v[10:11]
	v_lshlrev_b64 v[52:53], 2, v[20:21]
	v_addc_co_u32_e64 v51, s[0:1], v14, v51, s[0:1]
	v_add_u32_e32 v10, 0x400, v8
	v_add_co_u32_e32 v56, vcc, v13, v56
	v_add_u32_e32 v26, 0x400, v9
	v_mov_b32_e32 v27, v11
	ds_read2st64_b32 v[32:33], v19 offset0:24 offset1:28
	v_add_co_u32_e64 v52, s[0:1], v13, v52
	v_addc_co_u32_e32 v57, vcc, v14, v57, vcc
	v_lshlrev_b64 v[58:59], 2, v[10:11]
	ds_read2st64_b32 v[36:37], v19 offset0:32 offset1:36
	ds_read2st64_b32 v[40:41], v19 offset0:40 offset1:44
	;; [unrolled: 1-line block ×4, first 2 shown]
	v_lshlrev_b64 v[26:27], 2, v[26:27]
	v_addc_co_u32_e64 v53, s[0:1], v14, v53, s[0:1]
	v_add_u32_e32 v10, 0x600, v8
	s_waitcnt lgkmcnt(7)
	global_store_dword v[50:51], v22, off
	global_store_dword v[54:55], v23, off
	s_waitcnt lgkmcnt(6)
	global_store_dword v[56:57], v24, off
	global_store_dword v[52:53], v25, off
	v_add_co_u32_e32 v22, vcc, v13, v58
	v_add_u32_e32 v30, 0x600, v9
	v_mov_b32_e32 v31, v11
	v_add_co_u32_e64 v26, s[0:1], v13, v26
	v_addc_co_u32_e32 v23, vcc, v14, v59, vcc
	v_lshlrev_b64 v[24:25], 2, v[10:11]
	v_lshlrev_b64 v[30:31], 2, v[30:31]
	v_addc_co_u32_e64 v27, s[0:1], v14, v27, s[0:1]
	v_add_u32_e32 v10, 0x800, v8
	s_waitcnt lgkmcnt(5)
	global_store_dword v[22:23], v28, off
	global_store_dword v[26:27], v29, off
	v_add_co_u32_e32 v22, vcc, v13, v24
	v_add_u32_e32 v34, 0x800, v9
	v_mov_b32_e32 v35, v11
	v_add_co_u32_e64 v30, s[0:1], v13, v30
	v_addc_co_u32_e32 v23, vcc, v14, v25, vcc
	v_lshlrev_b64 v[24:25], 2, v[10:11]
	v_lshlrev_b64 v[34:35], 2, v[34:35]
	v_addc_co_u32_e64 v31, s[0:1], v14, v31, s[0:1]
	v_add_u32_e32 v10, 0xa00, v8
	;; [unrolled: 12-line block ×4, first 2 shown]
	s_waitcnt lgkmcnt(2)
	global_store_dword v[22:23], v40, off
	global_store_dword v[38:39], v41, off
	v_add_co_u32_e32 v22, vcc, v13, v24
	v_add_u32_e32 v46, 0xe00, v9
	v_mov_b32_e32 v47, v11
	v_add_co_u32_e64 v42, s[0:1], v13, v42
	v_addc_co_u32_e32 v23, vcc, v14, v25, vcc
	v_lshlrev_b64 v[24:25], 2, v[10:11]
	v_lshlrev_b64 v[46:47], 2, v[46:47]
	v_addc_co_u32_e64 v43, s[0:1], v14, v43, s[0:1]
	s_waitcnt lgkmcnt(1)
	global_store_dword v[22:23], v44, off
	global_store_dword v[42:43], v45, off
	v_add_co_u32_e32 v22, vcc, v13, v24
	v_add_u32_e32 v19, 0x4000, v19
	v_add_u32_e32 v9, 0x1000, v9
	v_mov_b32_e32 v20, s14
	v_add_co_u32_e64 v46, s[0:1], v13, v46
	v_add_u32_e32 v8, 0x1000, v8
	v_addc_co_u32_e32 v23, vcc, v14, v25, vcc
	v_addc_co_u32_e64 v47, s[0:1], v14, v47, s[0:1]
	s_waitcnt lgkmcnt(0)
	global_store_dword v[22:23], v48, off
	global_store_dword v[46:47], v49, off
	s_andn2_b64 exec, exec, s[12:13]
	s_cbranch_execnz .LBB933_155
; %bb.156:
	s_or_b64 exec, exec, s[12:13]
.LBB933_157:
	s_or_b64 exec, exec, s[10:11]
	v_and_b32_e32 v1, 7, v17
	v_cmp_ne_u32_e32 vcc, 0, v1
	s_and_saveexec_b64 s[10:11], vcc
	s_cbranch_execz .LBB933_160
; %bb.158:
	v_lshl_or_b32 v16, v20, 10, v16
	s_mov_b64 s[12:13], 0
	v_mov_b32_e32 v11, 0
.LBB933_159:                            ; =>This Inner Loop Header: Depth=1
	ds_read2st64_b32 v[18:19], v16 offset1:4
	v_mov_b32_e32 v10, v8
	v_add_u32_e32 v1, -1, v1
	v_lshlrev_b64 v[20:21], 2, v[10:11]
	v_mov_b32_e32 v10, v9
	v_cmp_eq_u32_e32 vcc, 0, v1
	v_add_co_u32_e64 v20, s[0:1], v13, v20
	v_lshlrev_b64 v[22:23], 2, v[10:11]
	v_add_u32_e32 v8, 0x200, v8
	v_add_u32_e32 v16, 0x800, v16
	;; [unrolled: 1-line block ×3, first 2 shown]
	v_addc_co_u32_e64 v21, s[0:1], v14, v21, s[0:1]
	s_or_b64 s[12:13], vcc, s[12:13]
	v_add_co_u32_e32 v22, vcc, v13, v22
	v_addc_co_u32_e32 v23, vcc, v14, v23, vcc
	s_waitcnt lgkmcnt(0)
	global_store_dword v[20:21], v18, off
	global_store_dword v[22:23], v19, off
	s_andn2_b64 exec, exec, s[12:13]
	s_cbranch_execnz .LBB933_159
.LBB933_160:
	s_or_b64 exec, exec, s[10:11]
	v_add_u32_e32 v1, 1, v15
	v_and_b32_e32 v9, 0x1fffffe, v1
	v_cmp_ne_u32_e32 vcc, v1, v9
	v_lshl_or_b32 v8, v9, 8, v0
	s_orn2_b64 s[0:1], vcc, exec
.LBB933_161:
	s_or_b64 exec, exec, s[8:9]
	s_andn2_b64 s[4:5], s[4:5], exec
	s_and_b64 s[0:1], s[0:1], exec
	s_or_b64 s[4:5], s[4:5], s[0:1]
.LBB933_162:
	s_or_b64 exec, exec, s[6:7]
	s_and_b64 exec, exec, s[4:5]
	s_cbranch_execz .LBB933_165
; %bb.163:
	v_lshlrev_b32_e32 v1, 2, v8
	s_mov_b64 s[0:1], 0
	v_mov_b32_e32 v9, 0
.LBB933_164:                            ; =>This Inner Loop Header: Depth=1
	v_lshlrev_b64 v[10:11], 2, v[8:9]
	ds_read_b32 v15, v1
	v_add_co_u32_e32 v10, vcc, v13, v10
	v_add_u32_e32 v8, 0x100, v8
	v_addc_co_u32_e32 v11, vcc, v14, v11, vcc
	v_cmp_ge_u32_e32 vcc, v8, v3
	v_add_u32_e32 v1, 0x400, v1
	s_or_b64 s[0:1], vcc, s[0:1]
	s_waitcnt lgkmcnt(0)
	global_store_dword v[10:11], v15, off
	s_andn2_b64 exec, exec, s[0:1]
	s_cbranch_execnz .LBB933_164
.LBB933_165:
	s_or_b64 exec, exec, s[2:3]
.LBB933_166:
	s_movk_i32 s0, 0xff
	v_cmp_eq_u32_e32 vcc, s0, v0
	s_and_b64 s[0:1], vcc, s[48:49]
	s_and_saveexec_b64 s[2:3], s[0:1]
	s_cbranch_execz .LBB933_169
; %bb.167:
	v_add_co_u32_e32 v0, vcc, v2, v4
	v_addc_co_u32_e64 v1, s[0:1], 0, 0, vcc
	v_add_co_u32_e32 v0, vcc, v0, v6
	v_mov_b32_e32 v3, 0
	v_addc_co_u32_e32 v1, vcc, v1, v7, vcc
	s_cmpk_lg_i32 s33, 0xf00
	global_store_dwordx2 v3, v[0:1], s[42:43]
	s_cbranch_scc1 .LBB933_169
; %bb.168:
	v_lshlrev_b64 v[0:1], 2, v[2:3]
	v_add_co_u32_e32 v0, vcc, v5, v0
	v_addc_co_u32_e32 v1, vcc, v12, v1, vcc
	global_store_dword v[0:1], v81, off offset:-4
.LBB933_169:
	s_endpgm
.LBB933_170:
	s_or_b64 exec, exec, s[4:5]
	v_mov_b32_e32 v82, s10
	s_and_saveexec_b64 s[4:5], s[2:3]
	s_cbranch_execnz .LBB933_84
	s_branch .LBB933_85
.LBB933_171:
	s_and_saveexec_b64 s[30:31], s[18:19]
	s_cbranch_execnz .LBB933_222
; %bb.172:
	s_or_b64 exec, exec, s[30:31]
	s_and_saveexec_b64 s[18:19], s[24:25]
	s_cbranch_execnz .LBB933_223
.LBB933_173:
	s_or_b64 exec, exec, s[18:19]
	s_and_saveexec_b64 s[18:19], s[22:23]
	s_cbranch_execnz .LBB933_224
.LBB933_174:
	s_or_b64 exec, exec, s[18:19]
	s_and_saveexec_b64 s[18:19], s[20:21]
	s_cbranch_execnz .LBB933_225
.LBB933_175:
	s_or_b64 exec, exec, s[18:19]
	s_and_saveexec_b64 s[18:19], s[16:17]
	s_cbranch_execnz .LBB933_226
.LBB933_176:
	s_or_b64 exec, exec, s[18:19]
	s_and_saveexec_b64 s[16:17], s[14:15]
	s_cbranch_execnz .LBB933_227
.LBB933_177:
	s_or_b64 exec, exec, s[16:17]
	s_and_saveexec_b64 s[14:15], s[12:13]
	s_cbranch_execnz .LBB933_228
.LBB933_178:
	s_or_b64 exec, exec, s[14:15]
	s_and_saveexec_b64 s[12:13], s[10:11]
	s_cbranch_execnz .LBB933_229
.LBB933_179:
	s_or_b64 exec, exec, s[12:13]
	s_and_saveexec_b64 s[10:11], s[8:9]
	s_cbranch_execnz .LBB933_230
.LBB933_180:
	s_or_b64 exec, exec, s[10:11]
	s_and_saveexec_b64 s[8:9], s[6:7]
	s_cbranch_execnz .LBB933_231
.LBB933_181:
	s_or_b64 exec, exec, s[8:9]
	s_and_saveexec_b64 s[6:7], s[4:5]
	s_cbranch_execnz .LBB933_232
.LBB933_182:
	s_or_b64 exec, exec, s[6:7]
	s_and_saveexec_b64 s[4:5], s[2:3]
	s_cbranch_execnz .LBB933_233
.LBB933_183:
	s_or_b64 exec, exec, s[4:5]
	s_and_saveexec_b64 s[2:3], s[0:1]
	s_cbranch_execnz .LBB933_234
.LBB933_184:
	s_or_b64 exec, exec, s[2:3]
	v_cmp_ne_u32_e64 s[0:1], 0, v66
	s_and_saveexec_b64 s[2:3], vcc
	s_cbranch_execz .LBB933_186
.LBB933_185:
	v_sub_u32_e32 v3, v38, v4
	v_lshlrev_b32_e32 v3, 2, v3
	ds_write_b32 v3, v9
.LBB933_186:
	s_or_b64 exec, exec, s[2:3]
	s_and_b64 s[30:31], s[0:1], exec
                                        ; implicit-def: $vgpr8
                                        ; implicit-def: $vgpr10
                                        ; implicit-def: $vgpr12
                                        ; implicit-def: $vgpr14
                                        ; implicit-def: $vgpr16
                                        ; implicit-def: $vgpr18
                                        ; implicit-def: $vgpr20
	s_andn2_saveexec_b64 s[0:1], s[26:27]
	s_cbranch_execz .LBB933_134
.LBB933_187:
	v_sub_u32_e32 v3, v64, v4
	v_lshlrev_b32_e32 v3, 2, v3
	ds_write_b32 v3, v20
	v_sub_u32_e32 v3, v62, v4
	v_lshlrev_b32_e32 v3, 2, v3
	ds_write_b32 v3, v21
	;; [unrolled: 3-line block ×13, first 2 shown]
	v_sub_u32_e32 v3, v38, v4
	v_lshlrev_b32_e32 v3, 2, v3
	s_or_b64 s[30:31], s[30:31], exec
	ds_write_b32 v3, v9
	s_or_b64 exec, exec, s[0:1]
	s_and_b64 exec, exec, s[30:31]
	s_cbranch_execnz .LBB933_135
	s_branch .LBB933_136
.LBB933_188:
	s_and_saveexec_b64 s[36:37], s[28:29]
	s_cbranch_execnz .LBB933_235
; %bb.189:
	s_or_b64 exec, exec, s[36:37]
	s_and_saveexec_b64 s[36:37], s[26:27]
	s_cbranch_execnz .LBB933_236
.LBB933_190:
	s_or_b64 exec, exec, s[36:37]
	s_and_saveexec_b64 s[36:37], s[24:25]
	s_cbranch_execnz .LBB933_237
.LBB933_191:
	s_or_b64 exec, exec, s[36:37]
	s_and_saveexec_b64 s[36:37], s[22:23]
	s_cbranch_execnz .LBB933_238
.LBB933_192:
	s_or_b64 exec, exec, s[36:37]
	s_and_saveexec_b64 s[36:37], s[20:21]
	s_cbranch_execnz .LBB933_239
.LBB933_193:
	s_or_b64 exec, exec, s[36:37]
	s_and_saveexec_b64 s[36:37], s[18:19]
	s_cbranch_execnz .LBB933_240
.LBB933_194:
	s_or_b64 exec, exec, s[36:37]
	s_and_saveexec_b64 s[36:37], s[16:17]
	s_cbranch_execnz .LBB933_241
.LBB933_195:
	s_or_b64 exec, exec, s[36:37]
	s_and_saveexec_b64 s[36:37], s[14:15]
	s_cbranch_execnz .LBB933_242
.LBB933_196:
	s_or_b64 exec, exec, s[36:37]
	s_and_saveexec_b64 s[36:37], s[12:13]
	s_cbranch_execnz .LBB933_243
.LBB933_197:
	s_or_b64 exec, exec, s[36:37]
	s_and_saveexec_b64 s[36:37], s[10:11]
	s_cbranch_execnz .LBB933_244
.LBB933_198:
	s_or_b64 exec, exec, s[36:37]
	s_and_saveexec_b64 s[36:37], s[8:9]
	s_cbranch_execnz .LBB933_245
.LBB933_199:
	s_or_b64 exec, exec, s[36:37]
	s_and_saveexec_b64 s[36:37], s[6:7]
	s_cbranch_execnz .LBB933_246
.LBB933_200:
	s_or_b64 exec, exec, s[36:37]
	s_and_saveexec_b64 s[36:37], s[4:5]
	s_cbranch_execnz .LBB933_247
.LBB933_201:
	s_or_b64 exec, exec, s[36:37]
	s_and_saveexec_b64 s[36:37], s[2:3]
	s_cbranch_execz .LBB933_203
.LBB933_202:
	v_sub_u32_e32 v16, v38, v9
	v_mov_b32_e32 v17, 0
	v_lshlrev_b64 v[16:17], 2, v[16:17]
	v_add_co_u32_e32 v16, vcc, v13, v16
	v_addc_co_u32_e32 v17, vcc, v14, v17, vcc
	global_store_dword v[16:17], v39, off
.LBB933_203:
	s_or_b64 exec, exec, s[36:37]
	s_and_b64 s[36:37], s[0:1], exec
	s_andn2_saveexec_b64 s[30:31], s[30:31]
	s_cbranch_execz .LBB933_141
.LBB933_204:
	v_sub_u32_e32 v16, v64, v9
	v_mov_b32_e32 v17, 0
	v_lshlrev_b64 v[18:19], 2, v[16:17]
	v_add_co_u32_e32 v18, vcc, v13, v18
	v_addc_co_u32_e32 v19, vcc, v14, v19, vcc
	v_sub_u32_e32 v16, v62, v9
	global_store_dword v[18:19], v65, off
	v_lshlrev_b64 v[18:19], 2, v[16:17]
	v_add_co_u32_e32 v18, vcc, v13, v18
	v_addc_co_u32_e32 v19, vcc, v14, v19, vcc
	v_sub_u32_e32 v16, v60, v9
	global_store_dword v[18:19], v63, off
	;; [unrolled: 5-line block ×12, first 2 shown]
	v_lshlrev_b64 v[18:19], 2, v[16:17]
	v_add_co_u32_e32 v18, vcc, v13, v18
	v_sub_u32_e32 v16, v38, v9
	v_addc_co_u32_e32 v19, vcc, v14, v19, vcc
	v_lshlrev_b64 v[16:17], 2, v[16:17]
	v_add_co_u32_e32 v16, vcc, v13, v16
	v_addc_co_u32_e32 v17, vcc, v14, v17, vcc
	s_or_b64 s[36:37], s[36:37], exec
	global_store_dword v[18:19], v41, off
	global_store_dword v[16:17], v39, off
	s_or_b64 exec, exec, s[30:31]
	s_and_b64 exec, exec, s[36:37]
	s_cbranch_execnz .LBB933_142
	s_branch .LBB933_143
.LBB933_205:
	s_and_saveexec_b64 s[36:37], s[28:29]
	s_cbranch_execnz .LBB933_248
; %bb.206:
	s_or_b64 exec, exec, s[36:37]
	s_and_saveexec_b64 s[28:29], s[26:27]
	s_cbranch_execnz .LBB933_249
.LBB933_207:
	s_or_b64 exec, exec, s[28:29]
	s_and_saveexec_b64 s[26:27], s[24:25]
	s_cbranch_execnz .LBB933_250
.LBB933_208:
	s_or_b64 exec, exec, s[26:27]
	s_and_saveexec_b64 s[24:25], s[22:23]
	s_cbranch_execnz .LBB933_251
.LBB933_209:
	s_or_b64 exec, exec, s[24:25]
	s_and_saveexec_b64 s[22:23], s[20:21]
	s_cbranch_execnz .LBB933_252
.LBB933_210:
	s_or_b64 exec, exec, s[22:23]
	s_and_saveexec_b64 s[20:21], s[18:19]
	s_cbranch_execnz .LBB933_253
.LBB933_211:
	s_or_b64 exec, exec, s[20:21]
	s_and_saveexec_b64 s[18:19], s[16:17]
	s_cbranch_execnz .LBB933_254
.LBB933_212:
	s_or_b64 exec, exec, s[18:19]
	s_and_saveexec_b64 s[16:17], s[14:15]
	s_cbranch_execnz .LBB933_255
.LBB933_213:
	s_or_b64 exec, exec, s[16:17]
	s_and_saveexec_b64 s[14:15], s[12:13]
	s_cbranch_execnz .LBB933_256
.LBB933_214:
	s_or_b64 exec, exec, s[14:15]
	s_and_saveexec_b64 s[12:13], s[10:11]
	s_cbranch_execnz .LBB933_257
.LBB933_215:
	s_or_b64 exec, exec, s[12:13]
	s_and_saveexec_b64 s[10:11], s[8:9]
	s_cbranch_execnz .LBB933_258
.LBB933_216:
	s_or_b64 exec, exec, s[10:11]
	s_and_saveexec_b64 s[8:9], s[6:7]
	s_cbranch_execnz .LBB933_259
.LBB933_217:
	s_or_b64 exec, exec, s[8:9]
	s_and_saveexec_b64 s[6:7], s[4:5]
	s_cbranch_execnz .LBB933_260
.LBB933_218:
	s_or_b64 exec, exec, s[6:7]
	s_and_saveexec_b64 s[4:5], s[2:3]
	s_cbranch_execz .LBB933_220
.LBB933_219:
	v_sub_u32_e32 v10, v38, v9
	v_lshlrev_b32_e32 v10, 2, v10
	ds_write_b32 v10, v39
.LBB933_220:
	s_or_b64 exec, exec, s[4:5]
	s_and_b64 s[36:37], s[0:1], exec
                                        ; implicit-def: $vgpr64_vgpr65
                                        ; implicit-def: $vgpr62_vgpr63
                                        ; implicit-def: $vgpr60_vgpr61
                                        ; implicit-def: $vgpr58_vgpr59
                                        ; implicit-def: $vgpr56_vgpr57
                                        ; implicit-def: $vgpr54_vgpr55
                                        ; implicit-def: $vgpr52_vgpr53
                                        ; implicit-def: $vgpr50_vgpr51
                                        ; implicit-def: $vgpr48_vgpr49
                                        ; implicit-def: $vgpr46_vgpr47
                                        ; implicit-def: $vgpr44_vgpr45
                                        ; implicit-def: $vgpr42_vgpr43
                                        ; implicit-def: $vgpr40_vgpr41
                                        ; implicit-def: $vgpr38_vgpr39
	s_andn2_saveexec_b64 s[0:1], s[34:35]
	s_cbranch_execz .LBB933_148
.LBB933_221:
	v_sub_u32_e32 v10, v64, v9
	v_lshlrev_b32_e32 v10, 2, v10
	ds_write_b32 v10, v65
	v_sub_u32_e32 v10, v62, v9
	v_lshlrev_b32_e32 v10, 2, v10
	ds_write_b32 v10, v63
	;; [unrolled: 3-line block ×13, first 2 shown]
	v_sub_u32_e32 v10, v38, v9
	v_lshlrev_b32_e32 v10, 2, v10
	s_or_b64 s[36:37], s[36:37], exec
	ds_write_b32 v10, v39
	s_or_b64 exec, exec, s[0:1]
	s_and_b64 exec, exec, s[36:37]
	s_cbranch_execnz .LBB933_149
	s_branch .LBB933_150
.LBB933_222:
	v_sub_u32_e32 v3, v64, v4
	v_lshlrev_b32_e32 v3, 2, v3
	ds_write_b32 v3, v20
	s_or_b64 exec, exec, s[30:31]
	s_and_saveexec_b64 s[18:19], s[24:25]
	s_cbranch_execz .LBB933_173
.LBB933_223:
	v_sub_u32_e32 v3, v62, v4
	v_lshlrev_b32_e32 v3, 2, v3
	ds_write_b32 v3, v21
	s_or_b64 exec, exec, s[18:19]
	s_and_saveexec_b64 s[18:19], s[22:23]
	s_cbranch_execz .LBB933_174
.LBB933_224:
	v_sub_u32_e32 v3, v60, v4
	v_lshlrev_b32_e32 v3, 2, v3
	ds_write_b32 v3, v18
	s_or_b64 exec, exec, s[18:19]
	s_and_saveexec_b64 s[18:19], s[20:21]
	s_cbranch_execz .LBB933_175
.LBB933_225:
	v_sub_u32_e32 v3, v58, v4
	v_lshlrev_b32_e32 v3, 2, v3
	ds_write_b32 v3, v19
	s_or_b64 exec, exec, s[18:19]
	s_and_saveexec_b64 s[18:19], s[16:17]
	s_cbranch_execz .LBB933_176
.LBB933_226:
	v_sub_u32_e32 v3, v56, v4
	v_lshlrev_b32_e32 v3, 2, v3
	ds_write_b32 v3, v16
	s_or_b64 exec, exec, s[18:19]
	s_and_saveexec_b64 s[16:17], s[14:15]
	s_cbranch_execz .LBB933_177
.LBB933_227:
	v_sub_u32_e32 v3, v54, v4
	v_lshlrev_b32_e32 v3, 2, v3
	ds_write_b32 v3, v17
	s_or_b64 exec, exec, s[16:17]
	s_and_saveexec_b64 s[14:15], s[12:13]
	s_cbranch_execz .LBB933_178
.LBB933_228:
	v_sub_u32_e32 v3, v52, v4
	v_lshlrev_b32_e32 v3, 2, v3
	ds_write_b32 v3, v14
	s_or_b64 exec, exec, s[14:15]
	s_and_saveexec_b64 s[12:13], s[10:11]
	s_cbranch_execz .LBB933_179
.LBB933_229:
	v_sub_u32_e32 v3, v50, v4
	v_lshlrev_b32_e32 v3, 2, v3
	ds_write_b32 v3, v15
	s_or_b64 exec, exec, s[12:13]
	s_and_saveexec_b64 s[10:11], s[8:9]
	s_cbranch_execz .LBB933_180
.LBB933_230:
	v_sub_u32_e32 v3, v48, v4
	v_lshlrev_b32_e32 v3, 2, v3
	ds_write_b32 v3, v12
	s_or_b64 exec, exec, s[10:11]
	s_and_saveexec_b64 s[8:9], s[6:7]
	s_cbranch_execz .LBB933_181
.LBB933_231:
	v_sub_u32_e32 v3, v46, v4
	v_lshlrev_b32_e32 v3, 2, v3
	ds_write_b32 v3, v13
	s_or_b64 exec, exec, s[8:9]
	s_and_saveexec_b64 s[6:7], s[4:5]
	s_cbranch_execz .LBB933_182
.LBB933_232:
	v_sub_u32_e32 v3, v44, v4
	v_lshlrev_b32_e32 v3, 2, v3
	ds_write_b32 v3, v10
	s_or_b64 exec, exec, s[6:7]
	s_and_saveexec_b64 s[4:5], s[2:3]
	s_cbranch_execz .LBB933_183
.LBB933_233:
	v_sub_u32_e32 v3, v42, v4
	v_lshlrev_b32_e32 v3, 2, v3
	ds_write_b32 v3, v11
	s_or_b64 exec, exec, s[4:5]
	s_and_saveexec_b64 s[2:3], s[0:1]
	s_cbranch_execz .LBB933_184
.LBB933_234:
	v_sub_u32_e32 v3, v40, v4
	v_lshlrev_b32_e32 v3, 2, v3
	ds_write_b32 v3, v8
	s_or_b64 exec, exec, s[2:3]
	v_cmp_ne_u32_e64 s[0:1], 0, v66
	s_and_saveexec_b64 s[2:3], vcc
	s_cbranch_execnz .LBB933_185
	s_branch .LBB933_186
.LBB933_235:
	v_sub_u32_e32 v16, v64, v9
	v_mov_b32_e32 v17, 0
	v_lshlrev_b64 v[16:17], 2, v[16:17]
	v_add_co_u32_e32 v16, vcc, v13, v16
	v_addc_co_u32_e32 v17, vcc, v14, v17, vcc
	global_store_dword v[16:17], v65, off
	s_or_b64 exec, exec, s[36:37]
	s_and_saveexec_b64 s[36:37], s[26:27]
	s_cbranch_execz .LBB933_190
.LBB933_236:
	v_sub_u32_e32 v16, v62, v9
	v_mov_b32_e32 v17, 0
	v_lshlrev_b64 v[16:17], 2, v[16:17]
	v_add_co_u32_e32 v16, vcc, v13, v16
	v_addc_co_u32_e32 v17, vcc, v14, v17, vcc
	global_store_dword v[16:17], v63, off
	s_or_b64 exec, exec, s[36:37]
	s_and_saveexec_b64 s[36:37], s[24:25]
	s_cbranch_execz .LBB933_191
.LBB933_237:
	v_sub_u32_e32 v16, v60, v9
	v_mov_b32_e32 v17, 0
	v_lshlrev_b64 v[16:17], 2, v[16:17]
	v_add_co_u32_e32 v16, vcc, v13, v16
	v_addc_co_u32_e32 v17, vcc, v14, v17, vcc
	global_store_dword v[16:17], v61, off
	s_or_b64 exec, exec, s[36:37]
	s_and_saveexec_b64 s[36:37], s[22:23]
	s_cbranch_execz .LBB933_192
.LBB933_238:
	v_sub_u32_e32 v16, v58, v9
	v_mov_b32_e32 v17, 0
	v_lshlrev_b64 v[16:17], 2, v[16:17]
	v_add_co_u32_e32 v16, vcc, v13, v16
	v_addc_co_u32_e32 v17, vcc, v14, v17, vcc
	global_store_dword v[16:17], v59, off
	s_or_b64 exec, exec, s[36:37]
	s_and_saveexec_b64 s[36:37], s[20:21]
	s_cbranch_execz .LBB933_193
.LBB933_239:
	v_sub_u32_e32 v16, v56, v9
	v_mov_b32_e32 v17, 0
	v_lshlrev_b64 v[16:17], 2, v[16:17]
	v_add_co_u32_e32 v16, vcc, v13, v16
	v_addc_co_u32_e32 v17, vcc, v14, v17, vcc
	global_store_dword v[16:17], v57, off
	s_or_b64 exec, exec, s[36:37]
	s_and_saveexec_b64 s[36:37], s[18:19]
	s_cbranch_execz .LBB933_194
.LBB933_240:
	v_sub_u32_e32 v16, v54, v9
	v_mov_b32_e32 v17, 0
	v_lshlrev_b64 v[16:17], 2, v[16:17]
	v_add_co_u32_e32 v16, vcc, v13, v16
	v_addc_co_u32_e32 v17, vcc, v14, v17, vcc
	global_store_dword v[16:17], v55, off
	s_or_b64 exec, exec, s[36:37]
	s_and_saveexec_b64 s[36:37], s[16:17]
	s_cbranch_execz .LBB933_195
.LBB933_241:
	v_sub_u32_e32 v16, v52, v9
	v_mov_b32_e32 v17, 0
	v_lshlrev_b64 v[16:17], 2, v[16:17]
	v_add_co_u32_e32 v16, vcc, v13, v16
	v_addc_co_u32_e32 v17, vcc, v14, v17, vcc
	global_store_dword v[16:17], v53, off
	s_or_b64 exec, exec, s[36:37]
	s_and_saveexec_b64 s[36:37], s[14:15]
	s_cbranch_execz .LBB933_196
.LBB933_242:
	v_sub_u32_e32 v16, v50, v9
	v_mov_b32_e32 v17, 0
	v_lshlrev_b64 v[16:17], 2, v[16:17]
	v_add_co_u32_e32 v16, vcc, v13, v16
	v_addc_co_u32_e32 v17, vcc, v14, v17, vcc
	global_store_dword v[16:17], v51, off
	s_or_b64 exec, exec, s[36:37]
	s_and_saveexec_b64 s[36:37], s[12:13]
	s_cbranch_execz .LBB933_197
.LBB933_243:
	v_sub_u32_e32 v16, v48, v9
	v_mov_b32_e32 v17, 0
	v_lshlrev_b64 v[16:17], 2, v[16:17]
	v_add_co_u32_e32 v16, vcc, v13, v16
	v_addc_co_u32_e32 v17, vcc, v14, v17, vcc
	global_store_dword v[16:17], v49, off
	s_or_b64 exec, exec, s[36:37]
	s_and_saveexec_b64 s[36:37], s[10:11]
	s_cbranch_execz .LBB933_198
.LBB933_244:
	v_sub_u32_e32 v16, v46, v9
	v_mov_b32_e32 v17, 0
	v_lshlrev_b64 v[16:17], 2, v[16:17]
	v_add_co_u32_e32 v16, vcc, v13, v16
	v_addc_co_u32_e32 v17, vcc, v14, v17, vcc
	global_store_dword v[16:17], v47, off
	s_or_b64 exec, exec, s[36:37]
	s_and_saveexec_b64 s[36:37], s[8:9]
	s_cbranch_execz .LBB933_199
.LBB933_245:
	v_sub_u32_e32 v16, v44, v9
	v_mov_b32_e32 v17, 0
	v_lshlrev_b64 v[16:17], 2, v[16:17]
	v_add_co_u32_e32 v16, vcc, v13, v16
	v_addc_co_u32_e32 v17, vcc, v14, v17, vcc
	global_store_dword v[16:17], v45, off
	s_or_b64 exec, exec, s[36:37]
	s_and_saveexec_b64 s[36:37], s[6:7]
	s_cbranch_execz .LBB933_200
.LBB933_246:
	v_sub_u32_e32 v16, v42, v9
	v_mov_b32_e32 v17, 0
	v_lshlrev_b64 v[16:17], 2, v[16:17]
	v_add_co_u32_e32 v16, vcc, v13, v16
	v_addc_co_u32_e32 v17, vcc, v14, v17, vcc
	global_store_dword v[16:17], v43, off
	s_or_b64 exec, exec, s[36:37]
	s_and_saveexec_b64 s[36:37], s[4:5]
	s_cbranch_execz .LBB933_201
.LBB933_247:
	v_sub_u32_e32 v16, v40, v9
	v_mov_b32_e32 v17, 0
	v_lshlrev_b64 v[16:17], 2, v[16:17]
	v_add_co_u32_e32 v16, vcc, v13, v16
	v_addc_co_u32_e32 v17, vcc, v14, v17, vcc
	global_store_dword v[16:17], v41, off
	s_or_b64 exec, exec, s[36:37]
	s_and_saveexec_b64 s[36:37], s[2:3]
	s_cbranch_execnz .LBB933_202
	s_branch .LBB933_203
.LBB933_248:
	v_sub_u32_e32 v10, v64, v9
	v_lshlrev_b32_e32 v10, 2, v10
	ds_write_b32 v10, v65
	s_or_b64 exec, exec, s[36:37]
	s_and_saveexec_b64 s[28:29], s[26:27]
	s_cbranch_execz .LBB933_207
.LBB933_249:
	v_sub_u32_e32 v10, v62, v9
	v_lshlrev_b32_e32 v10, 2, v10
	ds_write_b32 v10, v63
	s_or_b64 exec, exec, s[28:29]
	s_and_saveexec_b64 s[26:27], s[24:25]
	s_cbranch_execz .LBB933_208
.LBB933_250:
	v_sub_u32_e32 v10, v60, v9
	v_lshlrev_b32_e32 v10, 2, v10
	ds_write_b32 v10, v61
	s_or_b64 exec, exec, s[26:27]
	s_and_saveexec_b64 s[24:25], s[22:23]
	s_cbranch_execz .LBB933_209
.LBB933_251:
	v_sub_u32_e32 v10, v58, v9
	v_lshlrev_b32_e32 v10, 2, v10
	ds_write_b32 v10, v59
	s_or_b64 exec, exec, s[24:25]
	s_and_saveexec_b64 s[22:23], s[20:21]
	s_cbranch_execz .LBB933_210
.LBB933_252:
	v_sub_u32_e32 v10, v56, v9
	v_lshlrev_b32_e32 v10, 2, v10
	ds_write_b32 v10, v57
	s_or_b64 exec, exec, s[22:23]
	s_and_saveexec_b64 s[20:21], s[18:19]
	s_cbranch_execz .LBB933_211
.LBB933_253:
	v_sub_u32_e32 v10, v54, v9
	v_lshlrev_b32_e32 v10, 2, v10
	ds_write_b32 v10, v55
	s_or_b64 exec, exec, s[20:21]
	s_and_saveexec_b64 s[18:19], s[16:17]
	s_cbranch_execz .LBB933_212
.LBB933_254:
	v_sub_u32_e32 v10, v52, v9
	v_lshlrev_b32_e32 v10, 2, v10
	ds_write_b32 v10, v53
	s_or_b64 exec, exec, s[18:19]
	s_and_saveexec_b64 s[16:17], s[14:15]
	s_cbranch_execz .LBB933_213
.LBB933_255:
	v_sub_u32_e32 v10, v50, v9
	v_lshlrev_b32_e32 v10, 2, v10
	ds_write_b32 v10, v51
	s_or_b64 exec, exec, s[16:17]
	s_and_saveexec_b64 s[14:15], s[12:13]
	s_cbranch_execz .LBB933_214
.LBB933_256:
	v_sub_u32_e32 v10, v48, v9
	v_lshlrev_b32_e32 v10, 2, v10
	ds_write_b32 v10, v49
	s_or_b64 exec, exec, s[14:15]
	s_and_saveexec_b64 s[12:13], s[10:11]
	s_cbranch_execz .LBB933_215
.LBB933_257:
	v_sub_u32_e32 v10, v46, v9
	v_lshlrev_b32_e32 v10, 2, v10
	ds_write_b32 v10, v47
	s_or_b64 exec, exec, s[12:13]
	s_and_saveexec_b64 s[10:11], s[8:9]
	s_cbranch_execz .LBB933_216
.LBB933_258:
	v_sub_u32_e32 v10, v44, v9
	v_lshlrev_b32_e32 v10, 2, v10
	ds_write_b32 v10, v45
	s_or_b64 exec, exec, s[10:11]
	s_and_saveexec_b64 s[8:9], s[6:7]
	s_cbranch_execz .LBB933_217
.LBB933_259:
	v_sub_u32_e32 v10, v42, v9
	v_lshlrev_b32_e32 v10, 2, v10
	ds_write_b32 v10, v43
	s_or_b64 exec, exec, s[8:9]
	s_and_saveexec_b64 s[6:7], s[4:5]
	s_cbranch_execz .LBB933_218
.LBB933_260:
	v_sub_u32_e32 v10, v40, v9
	v_lshlrev_b32_e32 v10, 2, v10
	ds_write_b32 v10, v41
	s_or_b64 exec, exec, s[6:7]
	s_and_saveexec_b64 s[4:5], s[2:3]
	s_cbranch_execnz .LBB933_219
	s_branch .LBB933_220
	.section	.rodata,"a",@progbits
	.p2align	6, 0x0
	.amdhsa_kernel _ZN7rocprim17ROCPRIM_400000_NS6detail17trampoline_kernelINS0_14default_configENS1_29reduce_by_key_config_selectorIjjN6thrust23THRUST_200600_302600_NS4plusIjEEEEZZNS1_33reduce_by_key_impl_wrapped_configILNS1_25lookback_scan_determinismE0ES3_S9_NS6_6detail15normal_iteratorINS6_10device_ptrIjEEEESG_NS6_16discard_iteratorINS6_11use_defaultEEESG_PmS8_NS6_8equal_toIjEEEE10hipError_tPvRmT2_T3_mT4_T5_T6_T7_T8_P12ihipStream_tbENKUlT_T0_E_clISt17integral_constantIbLb1EES13_IbLb0EEEEDaSZ_S10_EUlSZ_E_NS1_11comp_targetILNS1_3genE4ELNS1_11target_archE910ELNS1_3gpuE8ELNS1_3repE0EEENS1_30default_config_static_selectorELNS0_4arch9wavefront6targetE1EEEvT1_
		.amdhsa_group_segment_fixed_size 15360
		.amdhsa_private_segment_fixed_size 0
		.amdhsa_kernarg_size 128
		.amdhsa_user_sgpr_count 6
		.amdhsa_user_sgpr_private_segment_buffer 1
		.amdhsa_user_sgpr_dispatch_ptr 0
		.amdhsa_user_sgpr_queue_ptr 0
		.amdhsa_user_sgpr_kernarg_segment_ptr 1
		.amdhsa_user_sgpr_dispatch_id 0
		.amdhsa_user_sgpr_flat_scratch_init 0
		.amdhsa_user_sgpr_kernarg_preload_length 0
		.amdhsa_user_sgpr_kernarg_preload_offset 0
		.amdhsa_user_sgpr_private_segment_size 0
		.amdhsa_uses_dynamic_stack 0
		.amdhsa_system_sgpr_private_segment_wavefront_offset 0
		.amdhsa_system_sgpr_workgroup_id_x 1
		.amdhsa_system_sgpr_workgroup_id_y 0
		.amdhsa_system_sgpr_workgroup_id_z 0
		.amdhsa_system_sgpr_workgroup_info 0
		.amdhsa_system_vgpr_workitem_id 0
		.amdhsa_next_free_vgpr 87
		.amdhsa_next_free_sgpr 62
		.amdhsa_accum_offset 88
		.amdhsa_reserve_vcc 1
		.amdhsa_reserve_flat_scratch 0
		.amdhsa_float_round_mode_32 0
		.amdhsa_float_round_mode_16_64 0
		.amdhsa_float_denorm_mode_32 3
		.amdhsa_float_denorm_mode_16_64 3
		.amdhsa_dx10_clamp 1
		.amdhsa_ieee_mode 1
		.amdhsa_fp16_overflow 0
		.amdhsa_tg_split 0
		.amdhsa_exception_fp_ieee_invalid_op 0
		.amdhsa_exception_fp_denorm_src 0
		.amdhsa_exception_fp_ieee_div_zero 0
		.amdhsa_exception_fp_ieee_overflow 0
		.amdhsa_exception_fp_ieee_underflow 0
		.amdhsa_exception_fp_ieee_inexact 0
		.amdhsa_exception_int_div_zero 0
	.end_amdhsa_kernel
	.section	.text._ZN7rocprim17ROCPRIM_400000_NS6detail17trampoline_kernelINS0_14default_configENS1_29reduce_by_key_config_selectorIjjN6thrust23THRUST_200600_302600_NS4plusIjEEEEZZNS1_33reduce_by_key_impl_wrapped_configILNS1_25lookback_scan_determinismE0ES3_S9_NS6_6detail15normal_iteratorINS6_10device_ptrIjEEEESG_NS6_16discard_iteratorINS6_11use_defaultEEESG_PmS8_NS6_8equal_toIjEEEE10hipError_tPvRmT2_T3_mT4_T5_T6_T7_T8_P12ihipStream_tbENKUlT_T0_E_clISt17integral_constantIbLb1EES13_IbLb0EEEEDaSZ_S10_EUlSZ_E_NS1_11comp_targetILNS1_3genE4ELNS1_11target_archE910ELNS1_3gpuE8ELNS1_3repE0EEENS1_30default_config_static_selectorELNS0_4arch9wavefront6targetE1EEEvT1_,"axG",@progbits,_ZN7rocprim17ROCPRIM_400000_NS6detail17trampoline_kernelINS0_14default_configENS1_29reduce_by_key_config_selectorIjjN6thrust23THRUST_200600_302600_NS4plusIjEEEEZZNS1_33reduce_by_key_impl_wrapped_configILNS1_25lookback_scan_determinismE0ES3_S9_NS6_6detail15normal_iteratorINS6_10device_ptrIjEEEESG_NS6_16discard_iteratorINS6_11use_defaultEEESG_PmS8_NS6_8equal_toIjEEEE10hipError_tPvRmT2_T3_mT4_T5_T6_T7_T8_P12ihipStream_tbENKUlT_T0_E_clISt17integral_constantIbLb1EES13_IbLb0EEEEDaSZ_S10_EUlSZ_E_NS1_11comp_targetILNS1_3genE4ELNS1_11target_archE910ELNS1_3gpuE8ELNS1_3repE0EEENS1_30default_config_static_selectorELNS0_4arch9wavefront6targetE1EEEvT1_,comdat
.Lfunc_end933:
	.size	_ZN7rocprim17ROCPRIM_400000_NS6detail17trampoline_kernelINS0_14default_configENS1_29reduce_by_key_config_selectorIjjN6thrust23THRUST_200600_302600_NS4plusIjEEEEZZNS1_33reduce_by_key_impl_wrapped_configILNS1_25lookback_scan_determinismE0ES3_S9_NS6_6detail15normal_iteratorINS6_10device_ptrIjEEEESG_NS6_16discard_iteratorINS6_11use_defaultEEESG_PmS8_NS6_8equal_toIjEEEE10hipError_tPvRmT2_T3_mT4_T5_T6_T7_T8_P12ihipStream_tbENKUlT_T0_E_clISt17integral_constantIbLb1EES13_IbLb0EEEEDaSZ_S10_EUlSZ_E_NS1_11comp_targetILNS1_3genE4ELNS1_11target_archE910ELNS1_3gpuE8ELNS1_3repE0EEENS1_30default_config_static_selectorELNS0_4arch9wavefront6targetE1EEEvT1_, .Lfunc_end933-_ZN7rocprim17ROCPRIM_400000_NS6detail17trampoline_kernelINS0_14default_configENS1_29reduce_by_key_config_selectorIjjN6thrust23THRUST_200600_302600_NS4plusIjEEEEZZNS1_33reduce_by_key_impl_wrapped_configILNS1_25lookback_scan_determinismE0ES3_S9_NS6_6detail15normal_iteratorINS6_10device_ptrIjEEEESG_NS6_16discard_iteratorINS6_11use_defaultEEESG_PmS8_NS6_8equal_toIjEEEE10hipError_tPvRmT2_T3_mT4_T5_T6_T7_T8_P12ihipStream_tbENKUlT_T0_E_clISt17integral_constantIbLb1EES13_IbLb0EEEEDaSZ_S10_EUlSZ_E_NS1_11comp_targetILNS1_3genE4ELNS1_11target_archE910ELNS1_3gpuE8ELNS1_3repE0EEENS1_30default_config_static_selectorELNS0_4arch9wavefront6targetE1EEEvT1_
                                        ; -- End function
	.section	.AMDGPU.csdata,"",@progbits
; Kernel info:
; codeLenInByte = 14800
; NumSgprs: 66
; NumVgprs: 87
; NumAgprs: 0
; TotalNumVgprs: 87
; ScratchSize: 0
; MemoryBound: 0
; FloatMode: 240
; IeeeMode: 1
; LDSByteSize: 15360 bytes/workgroup (compile time only)
; SGPRBlocks: 8
; VGPRBlocks: 10
; NumSGPRsForWavesPerEU: 66
; NumVGPRsForWavesPerEU: 87
; AccumOffset: 88
; Occupancy: 4
; WaveLimiterHint : 1
; COMPUTE_PGM_RSRC2:SCRATCH_EN: 0
; COMPUTE_PGM_RSRC2:USER_SGPR: 6
; COMPUTE_PGM_RSRC2:TRAP_HANDLER: 0
; COMPUTE_PGM_RSRC2:TGID_X_EN: 1
; COMPUTE_PGM_RSRC2:TGID_Y_EN: 0
; COMPUTE_PGM_RSRC2:TGID_Z_EN: 0
; COMPUTE_PGM_RSRC2:TIDIG_COMP_CNT: 0
; COMPUTE_PGM_RSRC3_GFX90A:ACCUM_OFFSET: 21
; COMPUTE_PGM_RSRC3_GFX90A:TG_SPLIT: 0
	.section	.text._ZN7rocprim17ROCPRIM_400000_NS6detail17trampoline_kernelINS0_14default_configENS1_29reduce_by_key_config_selectorIjjN6thrust23THRUST_200600_302600_NS4plusIjEEEEZZNS1_33reduce_by_key_impl_wrapped_configILNS1_25lookback_scan_determinismE0ES3_S9_NS6_6detail15normal_iteratorINS6_10device_ptrIjEEEESG_NS6_16discard_iteratorINS6_11use_defaultEEESG_PmS8_NS6_8equal_toIjEEEE10hipError_tPvRmT2_T3_mT4_T5_T6_T7_T8_P12ihipStream_tbENKUlT_T0_E_clISt17integral_constantIbLb1EES13_IbLb0EEEEDaSZ_S10_EUlSZ_E_NS1_11comp_targetILNS1_3genE3ELNS1_11target_archE908ELNS1_3gpuE7ELNS1_3repE0EEENS1_30default_config_static_selectorELNS0_4arch9wavefront6targetE1EEEvT1_,"axG",@progbits,_ZN7rocprim17ROCPRIM_400000_NS6detail17trampoline_kernelINS0_14default_configENS1_29reduce_by_key_config_selectorIjjN6thrust23THRUST_200600_302600_NS4plusIjEEEEZZNS1_33reduce_by_key_impl_wrapped_configILNS1_25lookback_scan_determinismE0ES3_S9_NS6_6detail15normal_iteratorINS6_10device_ptrIjEEEESG_NS6_16discard_iteratorINS6_11use_defaultEEESG_PmS8_NS6_8equal_toIjEEEE10hipError_tPvRmT2_T3_mT4_T5_T6_T7_T8_P12ihipStream_tbENKUlT_T0_E_clISt17integral_constantIbLb1EES13_IbLb0EEEEDaSZ_S10_EUlSZ_E_NS1_11comp_targetILNS1_3genE3ELNS1_11target_archE908ELNS1_3gpuE7ELNS1_3repE0EEENS1_30default_config_static_selectorELNS0_4arch9wavefront6targetE1EEEvT1_,comdat
	.protected	_ZN7rocprim17ROCPRIM_400000_NS6detail17trampoline_kernelINS0_14default_configENS1_29reduce_by_key_config_selectorIjjN6thrust23THRUST_200600_302600_NS4plusIjEEEEZZNS1_33reduce_by_key_impl_wrapped_configILNS1_25lookback_scan_determinismE0ES3_S9_NS6_6detail15normal_iteratorINS6_10device_ptrIjEEEESG_NS6_16discard_iteratorINS6_11use_defaultEEESG_PmS8_NS6_8equal_toIjEEEE10hipError_tPvRmT2_T3_mT4_T5_T6_T7_T8_P12ihipStream_tbENKUlT_T0_E_clISt17integral_constantIbLb1EES13_IbLb0EEEEDaSZ_S10_EUlSZ_E_NS1_11comp_targetILNS1_3genE3ELNS1_11target_archE908ELNS1_3gpuE7ELNS1_3repE0EEENS1_30default_config_static_selectorELNS0_4arch9wavefront6targetE1EEEvT1_ ; -- Begin function _ZN7rocprim17ROCPRIM_400000_NS6detail17trampoline_kernelINS0_14default_configENS1_29reduce_by_key_config_selectorIjjN6thrust23THRUST_200600_302600_NS4plusIjEEEEZZNS1_33reduce_by_key_impl_wrapped_configILNS1_25lookback_scan_determinismE0ES3_S9_NS6_6detail15normal_iteratorINS6_10device_ptrIjEEEESG_NS6_16discard_iteratorINS6_11use_defaultEEESG_PmS8_NS6_8equal_toIjEEEE10hipError_tPvRmT2_T3_mT4_T5_T6_T7_T8_P12ihipStream_tbENKUlT_T0_E_clISt17integral_constantIbLb1EES13_IbLb0EEEEDaSZ_S10_EUlSZ_E_NS1_11comp_targetILNS1_3genE3ELNS1_11target_archE908ELNS1_3gpuE7ELNS1_3repE0EEENS1_30default_config_static_selectorELNS0_4arch9wavefront6targetE1EEEvT1_
	.globl	_ZN7rocprim17ROCPRIM_400000_NS6detail17trampoline_kernelINS0_14default_configENS1_29reduce_by_key_config_selectorIjjN6thrust23THRUST_200600_302600_NS4plusIjEEEEZZNS1_33reduce_by_key_impl_wrapped_configILNS1_25lookback_scan_determinismE0ES3_S9_NS6_6detail15normal_iteratorINS6_10device_ptrIjEEEESG_NS6_16discard_iteratorINS6_11use_defaultEEESG_PmS8_NS6_8equal_toIjEEEE10hipError_tPvRmT2_T3_mT4_T5_T6_T7_T8_P12ihipStream_tbENKUlT_T0_E_clISt17integral_constantIbLb1EES13_IbLb0EEEEDaSZ_S10_EUlSZ_E_NS1_11comp_targetILNS1_3genE3ELNS1_11target_archE908ELNS1_3gpuE7ELNS1_3repE0EEENS1_30default_config_static_selectorELNS0_4arch9wavefront6targetE1EEEvT1_
	.p2align	8
	.type	_ZN7rocprim17ROCPRIM_400000_NS6detail17trampoline_kernelINS0_14default_configENS1_29reduce_by_key_config_selectorIjjN6thrust23THRUST_200600_302600_NS4plusIjEEEEZZNS1_33reduce_by_key_impl_wrapped_configILNS1_25lookback_scan_determinismE0ES3_S9_NS6_6detail15normal_iteratorINS6_10device_ptrIjEEEESG_NS6_16discard_iteratorINS6_11use_defaultEEESG_PmS8_NS6_8equal_toIjEEEE10hipError_tPvRmT2_T3_mT4_T5_T6_T7_T8_P12ihipStream_tbENKUlT_T0_E_clISt17integral_constantIbLb1EES13_IbLb0EEEEDaSZ_S10_EUlSZ_E_NS1_11comp_targetILNS1_3genE3ELNS1_11target_archE908ELNS1_3gpuE7ELNS1_3repE0EEENS1_30default_config_static_selectorELNS0_4arch9wavefront6targetE1EEEvT1_,@function
_ZN7rocprim17ROCPRIM_400000_NS6detail17trampoline_kernelINS0_14default_configENS1_29reduce_by_key_config_selectorIjjN6thrust23THRUST_200600_302600_NS4plusIjEEEEZZNS1_33reduce_by_key_impl_wrapped_configILNS1_25lookback_scan_determinismE0ES3_S9_NS6_6detail15normal_iteratorINS6_10device_ptrIjEEEESG_NS6_16discard_iteratorINS6_11use_defaultEEESG_PmS8_NS6_8equal_toIjEEEE10hipError_tPvRmT2_T3_mT4_T5_T6_T7_T8_P12ihipStream_tbENKUlT_T0_E_clISt17integral_constantIbLb1EES13_IbLb0EEEEDaSZ_S10_EUlSZ_E_NS1_11comp_targetILNS1_3genE3ELNS1_11target_archE908ELNS1_3gpuE7ELNS1_3repE0EEENS1_30default_config_static_selectorELNS0_4arch9wavefront6targetE1EEEvT1_: ; @_ZN7rocprim17ROCPRIM_400000_NS6detail17trampoline_kernelINS0_14default_configENS1_29reduce_by_key_config_selectorIjjN6thrust23THRUST_200600_302600_NS4plusIjEEEEZZNS1_33reduce_by_key_impl_wrapped_configILNS1_25lookback_scan_determinismE0ES3_S9_NS6_6detail15normal_iteratorINS6_10device_ptrIjEEEESG_NS6_16discard_iteratorINS6_11use_defaultEEESG_PmS8_NS6_8equal_toIjEEEE10hipError_tPvRmT2_T3_mT4_T5_T6_T7_T8_P12ihipStream_tbENKUlT_T0_E_clISt17integral_constantIbLb1EES13_IbLb0EEEEDaSZ_S10_EUlSZ_E_NS1_11comp_targetILNS1_3genE3ELNS1_11target_archE908ELNS1_3gpuE7ELNS1_3repE0EEENS1_30default_config_static_selectorELNS0_4arch9wavefront6targetE1EEEvT1_
; %bb.0:
	.section	.rodata,"a",@progbits
	.p2align	6, 0x0
	.amdhsa_kernel _ZN7rocprim17ROCPRIM_400000_NS6detail17trampoline_kernelINS0_14default_configENS1_29reduce_by_key_config_selectorIjjN6thrust23THRUST_200600_302600_NS4plusIjEEEEZZNS1_33reduce_by_key_impl_wrapped_configILNS1_25lookback_scan_determinismE0ES3_S9_NS6_6detail15normal_iteratorINS6_10device_ptrIjEEEESG_NS6_16discard_iteratorINS6_11use_defaultEEESG_PmS8_NS6_8equal_toIjEEEE10hipError_tPvRmT2_T3_mT4_T5_T6_T7_T8_P12ihipStream_tbENKUlT_T0_E_clISt17integral_constantIbLb1EES13_IbLb0EEEEDaSZ_S10_EUlSZ_E_NS1_11comp_targetILNS1_3genE3ELNS1_11target_archE908ELNS1_3gpuE7ELNS1_3repE0EEENS1_30default_config_static_selectorELNS0_4arch9wavefront6targetE1EEEvT1_
		.amdhsa_group_segment_fixed_size 0
		.amdhsa_private_segment_fixed_size 0
		.amdhsa_kernarg_size 128
		.amdhsa_user_sgpr_count 6
		.amdhsa_user_sgpr_private_segment_buffer 1
		.amdhsa_user_sgpr_dispatch_ptr 0
		.amdhsa_user_sgpr_queue_ptr 0
		.amdhsa_user_sgpr_kernarg_segment_ptr 1
		.amdhsa_user_sgpr_dispatch_id 0
		.amdhsa_user_sgpr_flat_scratch_init 0
		.amdhsa_user_sgpr_kernarg_preload_length 0
		.amdhsa_user_sgpr_kernarg_preload_offset 0
		.amdhsa_user_sgpr_private_segment_size 0
		.amdhsa_uses_dynamic_stack 0
		.amdhsa_system_sgpr_private_segment_wavefront_offset 0
		.amdhsa_system_sgpr_workgroup_id_x 1
		.amdhsa_system_sgpr_workgroup_id_y 0
		.amdhsa_system_sgpr_workgroup_id_z 0
		.amdhsa_system_sgpr_workgroup_info 0
		.amdhsa_system_vgpr_workitem_id 0
		.amdhsa_next_free_vgpr 1
		.amdhsa_next_free_sgpr 0
		.amdhsa_accum_offset 4
		.amdhsa_reserve_vcc 0
		.amdhsa_reserve_flat_scratch 0
		.amdhsa_float_round_mode_32 0
		.amdhsa_float_round_mode_16_64 0
		.amdhsa_float_denorm_mode_32 3
		.amdhsa_float_denorm_mode_16_64 3
		.amdhsa_dx10_clamp 1
		.amdhsa_ieee_mode 1
		.amdhsa_fp16_overflow 0
		.amdhsa_tg_split 0
		.amdhsa_exception_fp_ieee_invalid_op 0
		.amdhsa_exception_fp_denorm_src 0
		.amdhsa_exception_fp_ieee_div_zero 0
		.amdhsa_exception_fp_ieee_overflow 0
		.amdhsa_exception_fp_ieee_underflow 0
		.amdhsa_exception_fp_ieee_inexact 0
		.amdhsa_exception_int_div_zero 0
	.end_amdhsa_kernel
	.section	.text._ZN7rocprim17ROCPRIM_400000_NS6detail17trampoline_kernelINS0_14default_configENS1_29reduce_by_key_config_selectorIjjN6thrust23THRUST_200600_302600_NS4plusIjEEEEZZNS1_33reduce_by_key_impl_wrapped_configILNS1_25lookback_scan_determinismE0ES3_S9_NS6_6detail15normal_iteratorINS6_10device_ptrIjEEEESG_NS6_16discard_iteratorINS6_11use_defaultEEESG_PmS8_NS6_8equal_toIjEEEE10hipError_tPvRmT2_T3_mT4_T5_T6_T7_T8_P12ihipStream_tbENKUlT_T0_E_clISt17integral_constantIbLb1EES13_IbLb0EEEEDaSZ_S10_EUlSZ_E_NS1_11comp_targetILNS1_3genE3ELNS1_11target_archE908ELNS1_3gpuE7ELNS1_3repE0EEENS1_30default_config_static_selectorELNS0_4arch9wavefront6targetE1EEEvT1_,"axG",@progbits,_ZN7rocprim17ROCPRIM_400000_NS6detail17trampoline_kernelINS0_14default_configENS1_29reduce_by_key_config_selectorIjjN6thrust23THRUST_200600_302600_NS4plusIjEEEEZZNS1_33reduce_by_key_impl_wrapped_configILNS1_25lookback_scan_determinismE0ES3_S9_NS6_6detail15normal_iteratorINS6_10device_ptrIjEEEESG_NS6_16discard_iteratorINS6_11use_defaultEEESG_PmS8_NS6_8equal_toIjEEEE10hipError_tPvRmT2_T3_mT4_T5_T6_T7_T8_P12ihipStream_tbENKUlT_T0_E_clISt17integral_constantIbLb1EES13_IbLb0EEEEDaSZ_S10_EUlSZ_E_NS1_11comp_targetILNS1_3genE3ELNS1_11target_archE908ELNS1_3gpuE7ELNS1_3repE0EEENS1_30default_config_static_selectorELNS0_4arch9wavefront6targetE1EEEvT1_,comdat
.Lfunc_end934:
	.size	_ZN7rocprim17ROCPRIM_400000_NS6detail17trampoline_kernelINS0_14default_configENS1_29reduce_by_key_config_selectorIjjN6thrust23THRUST_200600_302600_NS4plusIjEEEEZZNS1_33reduce_by_key_impl_wrapped_configILNS1_25lookback_scan_determinismE0ES3_S9_NS6_6detail15normal_iteratorINS6_10device_ptrIjEEEESG_NS6_16discard_iteratorINS6_11use_defaultEEESG_PmS8_NS6_8equal_toIjEEEE10hipError_tPvRmT2_T3_mT4_T5_T6_T7_T8_P12ihipStream_tbENKUlT_T0_E_clISt17integral_constantIbLb1EES13_IbLb0EEEEDaSZ_S10_EUlSZ_E_NS1_11comp_targetILNS1_3genE3ELNS1_11target_archE908ELNS1_3gpuE7ELNS1_3repE0EEENS1_30default_config_static_selectorELNS0_4arch9wavefront6targetE1EEEvT1_, .Lfunc_end934-_ZN7rocprim17ROCPRIM_400000_NS6detail17trampoline_kernelINS0_14default_configENS1_29reduce_by_key_config_selectorIjjN6thrust23THRUST_200600_302600_NS4plusIjEEEEZZNS1_33reduce_by_key_impl_wrapped_configILNS1_25lookback_scan_determinismE0ES3_S9_NS6_6detail15normal_iteratorINS6_10device_ptrIjEEEESG_NS6_16discard_iteratorINS6_11use_defaultEEESG_PmS8_NS6_8equal_toIjEEEE10hipError_tPvRmT2_T3_mT4_T5_T6_T7_T8_P12ihipStream_tbENKUlT_T0_E_clISt17integral_constantIbLb1EES13_IbLb0EEEEDaSZ_S10_EUlSZ_E_NS1_11comp_targetILNS1_3genE3ELNS1_11target_archE908ELNS1_3gpuE7ELNS1_3repE0EEENS1_30default_config_static_selectorELNS0_4arch9wavefront6targetE1EEEvT1_
                                        ; -- End function
	.section	.AMDGPU.csdata,"",@progbits
; Kernel info:
; codeLenInByte = 0
; NumSgprs: 4
; NumVgprs: 0
; NumAgprs: 0
; TotalNumVgprs: 0
; ScratchSize: 0
; MemoryBound: 0
; FloatMode: 240
; IeeeMode: 1
; LDSByteSize: 0 bytes/workgroup (compile time only)
; SGPRBlocks: 0
; VGPRBlocks: 0
; NumSGPRsForWavesPerEU: 4
; NumVGPRsForWavesPerEU: 1
; AccumOffset: 4
; Occupancy: 8
; WaveLimiterHint : 0
; COMPUTE_PGM_RSRC2:SCRATCH_EN: 0
; COMPUTE_PGM_RSRC2:USER_SGPR: 6
; COMPUTE_PGM_RSRC2:TRAP_HANDLER: 0
; COMPUTE_PGM_RSRC2:TGID_X_EN: 1
; COMPUTE_PGM_RSRC2:TGID_Y_EN: 0
; COMPUTE_PGM_RSRC2:TGID_Z_EN: 0
; COMPUTE_PGM_RSRC2:TIDIG_COMP_CNT: 0
; COMPUTE_PGM_RSRC3_GFX90A:ACCUM_OFFSET: 0
; COMPUTE_PGM_RSRC3_GFX90A:TG_SPLIT: 0
	.section	.text._ZN7rocprim17ROCPRIM_400000_NS6detail17trampoline_kernelINS0_14default_configENS1_29reduce_by_key_config_selectorIjjN6thrust23THRUST_200600_302600_NS4plusIjEEEEZZNS1_33reduce_by_key_impl_wrapped_configILNS1_25lookback_scan_determinismE0ES3_S9_NS6_6detail15normal_iteratorINS6_10device_ptrIjEEEESG_NS6_16discard_iteratorINS6_11use_defaultEEESG_PmS8_NS6_8equal_toIjEEEE10hipError_tPvRmT2_T3_mT4_T5_T6_T7_T8_P12ihipStream_tbENKUlT_T0_E_clISt17integral_constantIbLb1EES13_IbLb0EEEEDaSZ_S10_EUlSZ_E_NS1_11comp_targetILNS1_3genE2ELNS1_11target_archE906ELNS1_3gpuE6ELNS1_3repE0EEENS1_30default_config_static_selectorELNS0_4arch9wavefront6targetE1EEEvT1_,"axG",@progbits,_ZN7rocprim17ROCPRIM_400000_NS6detail17trampoline_kernelINS0_14default_configENS1_29reduce_by_key_config_selectorIjjN6thrust23THRUST_200600_302600_NS4plusIjEEEEZZNS1_33reduce_by_key_impl_wrapped_configILNS1_25lookback_scan_determinismE0ES3_S9_NS6_6detail15normal_iteratorINS6_10device_ptrIjEEEESG_NS6_16discard_iteratorINS6_11use_defaultEEESG_PmS8_NS6_8equal_toIjEEEE10hipError_tPvRmT2_T3_mT4_T5_T6_T7_T8_P12ihipStream_tbENKUlT_T0_E_clISt17integral_constantIbLb1EES13_IbLb0EEEEDaSZ_S10_EUlSZ_E_NS1_11comp_targetILNS1_3genE2ELNS1_11target_archE906ELNS1_3gpuE6ELNS1_3repE0EEENS1_30default_config_static_selectorELNS0_4arch9wavefront6targetE1EEEvT1_,comdat
	.protected	_ZN7rocprim17ROCPRIM_400000_NS6detail17trampoline_kernelINS0_14default_configENS1_29reduce_by_key_config_selectorIjjN6thrust23THRUST_200600_302600_NS4plusIjEEEEZZNS1_33reduce_by_key_impl_wrapped_configILNS1_25lookback_scan_determinismE0ES3_S9_NS6_6detail15normal_iteratorINS6_10device_ptrIjEEEESG_NS6_16discard_iteratorINS6_11use_defaultEEESG_PmS8_NS6_8equal_toIjEEEE10hipError_tPvRmT2_T3_mT4_T5_T6_T7_T8_P12ihipStream_tbENKUlT_T0_E_clISt17integral_constantIbLb1EES13_IbLb0EEEEDaSZ_S10_EUlSZ_E_NS1_11comp_targetILNS1_3genE2ELNS1_11target_archE906ELNS1_3gpuE6ELNS1_3repE0EEENS1_30default_config_static_selectorELNS0_4arch9wavefront6targetE1EEEvT1_ ; -- Begin function _ZN7rocprim17ROCPRIM_400000_NS6detail17trampoline_kernelINS0_14default_configENS1_29reduce_by_key_config_selectorIjjN6thrust23THRUST_200600_302600_NS4plusIjEEEEZZNS1_33reduce_by_key_impl_wrapped_configILNS1_25lookback_scan_determinismE0ES3_S9_NS6_6detail15normal_iteratorINS6_10device_ptrIjEEEESG_NS6_16discard_iteratorINS6_11use_defaultEEESG_PmS8_NS6_8equal_toIjEEEE10hipError_tPvRmT2_T3_mT4_T5_T6_T7_T8_P12ihipStream_tbENKUlT_T0_E_clISt17integral_constantIbLb1EES13_IbLb0EEEEDaSZ_S10_EUlSZ_E_NS1_11comp_targetILNS1_3genE2ELNS1_11target_archE906ELNS1_3gpuE6ELNS1_3repE0EEENS1_30default_config_static_selectorELNS0_4arch9wavefront6targetE1EEEvT1_
	.globl	_ZN7rocprim17ROCPRIM_400000_NS6detail17trampoline_kernelINS0_14default_configENS1_29reduce_by_key_config_selectorIjjN6thrust23THRUST_200600_302600_NS4plusIjEEEEZZNS1_33reduce_by_key_impl_wrapped_configILNS1_25lookback_scan_determinismE0ES3_S9_NS6_6detail15normal_iteratorINS6_10device_ptrIjEEEESG_NS6_16discard_iteratorINS6_11use_defaultEEESG_PmS8_NS6_8equal_toIjEEEE10hipError_tPvRmT2_T3_mT4_T5_T6_T7_T8_P12ihipStream_tbENKUlT_T0_E_clISt17integral_constantIbLb1EES13_IbLb0EEEEDaSZ_S10_EUlSZ_E_NS1_11comp_targetILNS1_3genE2ELNS1_11target_archE906ELNS1_3gpuE6ELNS1_3repE0EEENS1_30default_config_static_selectorELNS0_4arch9wavefront6targetE1EEEvT1_
	.p2align	8
	.type	_ZN7rocprim17ROCPRIM_400000_NS6detail17trampoline_kernelINS0_14default_configENS1_29reduce_by_key_config_selectorIjjN6thrust23THRUST_200600_302600_NS4plusIjEEEEZZNS1_33reduce_by_key_impl_wrapped_configILNS1_25lookback_scan_determinismE0ES3_S9_NS6_6detail15normal_iteratorINS6_10device_ptrIjEEEESG_NS6_16discard_iteratorINS6_11use_defaultEEESG_PmS8_NS6_8equal_toIjEEEE10hipError_tPvRmT2_T3_mT4_T5_T6_T7_T8_P12ihipStream_tbENKUlT_T0_E_clISt17integral_constantIbLb1EES13_IbLb0EEEEDaSZ_S10_EUlSZ_E_NS1_11comp_targetILNS1_3genE2ELNS1_11target_archE906ELNS1_3gpuE6ELNS1_3repE0EEENS1_30default_config_static_selectorELNS0_4arch9wavefront6targetE1EEEvT1_,@function
_ZN7rocprim17ROCPRIM_400000_NS6detail17trampoline_kernelINS0_14default_configENS1_29reduce_by_key_config_selectorIjjN6thrust23THRUST_200600_302600_NS4plusIjEEEEZZNS1_33reduce_by_key_impl_wrapped_configILNS1_25lookback_scan_determinismE0ES3_S9_NS6_6detail15normal_iteratorINS6_10device_ptrIjEEEESG_NS6_16discard_iteratorINS6_11use_defaultEEESG_PmS8_NS6_8equal_toIjEEEE10hipError_tPvRmT2_T3_mT4_T5_T6_T7_T8_P12ihipStream_tbENKUlT_T0_E_clISt17integral_constantIbLb1EES13_IbLb0EEEEDaSZ_S10_EUlSZ_E_NS1_11comp_targetILNS1_3genE2ELNS1_11target_archE906ELNS1_3gpuE6ELNS1_3repE0EEENS1_30default_config_static_selectorELNS0_4arch9wavefront6targetE1EEEvT1_: ; @_ZN7rocprim17ROCPRIM_400000_NS6detail17trampoline_kernelINS0_14default_configENS1_29reduce_by_key_config_selectorIjjN6thrust23THRUST_200600_302600_NS4plusIjEEEEZZNS1_33reduce_by_key_impl_wrapped_configILNS1_25lookback_scan_determinismE0ES3_S9_NS6_6detail15normal_iteratorINS6_10device_ptrIjEEEESG_NS6_16discard_iteratorINS6_11use_defaultEEESG_PmS8_NS6_8equal_toIjEEEE10hipError_tPvRmT2_T3_mT4_T5_T6_T7_T8_P12ihipStream_tbENKUlT_T0_E_clISt17integral_constantIbLb1EES13_IbLb0EEEEDaSZ_S10_EUlSZ_E_NS1_11comp_targetILNS1_3genE2ELNS1_11target_archE906ELNS1_3gpuE6ELNS1_3repE0EEENS1_30default_config_static_selectorELNS0_4arch9wavefront6targetE1EEEvT1_
; %bb.0:
	.section	.rodata,"a",@progbits
	.p2align	6, 0x0
	.amdhsa_kernel _ZN7rocprim17ROCPRIM_400000_NS6detail17trampoline_kernelINS0_14default_configENS1_29reduce_by_key_config_selectorIjjN6thrust23THRUST_200600_302600_NS4plusIjEEEEZZNS1_33reduce_by_key_impl_wrapped_configILNS1_25lookback_scan_determinismE0ES3_S9_NS6_6detail15normal_iteratorINS6_10device_ptrIjEEEESG_NS6_16discard_iteratorINS6_11use_defaultEEESG_PmS8_NS6_8equal_toIjEEEE10hipError_tPvRmT2_T3_mT4_T5_T6_T7_T8_P12ihipStream_tbENKUlT_T0_E_clISt17integral_constantIbLb1EES13_IbLb0EEEEDaSZ_S10_EUlSZ_E_NS1_11comp_targetILNS1_3genE2ELNS1_11target_archE906ELNS1_3gpuE6ELNS1_3repE0EEENS1_30default_config_static_selectorELNS0_4arch9wavefront6targetE1EEEvT1_
		.amdhsa_group_segment_fixed_size 0
		.amdhsa_private_segment_fixed_size 0
		.amdhsa_kernarg_size 128
		.amdhsa_user_sgpr_count 6
		.amdhsa_user_sgpr_private_segment_buffer 1
		.amdhsa_user_sgpr_dispatch_ptr 0
		.amdhsa_user_sgpr_queue_ptr 0
		.amdhsa_user_sgpr_kernarg_segment_ptr 1
		.amdhsa_user_sgpr_dispatch_id 0
		.amdhsa_user_sgpr_flat_scratch_init 0
		.amdhsa_user_sgpr_kernarg_preload_length 0
		.amdhsa_user_sgpr_kernarg_preload_offset 0
		.amdhsa_user_sgpr_private_segment_size 0
		.amdhsa_uses_dynamic_stack 0
		.amdhsa_system_sgpr_private_segment_wavefront_offset 0
		.amdhsa_system_sgpr_workgroup_id_x 1
		.amdhsa_system_sgpr_workgroup_id_y 0
		.amdhsa_system_sgpr_workgroup_id_z 0
		.amdhsa_system_sgpr_workgroup_info 0
		.amdhsa_system_vgpr_workitem_id 0
		.amdhsa_next_free_vgpr 1
		.amdhsa_next_free_sgpr 0
		.amdhsa_accum_offset 4
		.amdhsa_reserve_vcc 0
		.amdhsa_reserve_flat_scratch 0
		.amdhsa_float_round_mode_32 0
		.amdhsa_float_round_mode_16_64 0
		.amdhsa_float_denorm_mode_32 3
		.amdhsa_float_denorm_mode_16_64 3
		.amdhsa_dx10_clamp 1
		.amdhsa_ieee_mode 1
		.amdhsa_fp16_overflow 0
		.amdhsa_tg_split 0
		.amdhsa_exception_fp_ieee_invalid_op 0
		.amdhsa_exception_fp_denorm_src 0
		.amdhsa_exception_fp_ieee_div_zero 0
		.amdhsa_exception_fp_ieee_overflow 0
		.amdhsa_exception_fp_ieee_underflow 0
		.amdhsa_exception_fp_ieee_inexact 0
		.amdhsa_exception_int_div_zero 0
	.end_amdhsa_kernel
	.section	.text._ZN7rocprim17ROCPRIM_400000_NS6detail17trampoline_kernelINS0_14default_configENS1_29reduce_by_key_config_selectorIjjN6thrust23THRUST_200600_302600_NS4plusIjEEEEZZNS1_33reduce_by_key_impl_wrapped_configILNS1_25lookback_scan_determinismE0ES3_S9_NS6_6detail15normal_iteratorINS6_10device_ptrIjEEEESG_NS6_16discard_iteratorINS6_11use_defaultEEESG_PmS8_NS6_8equal_toIjEEEE10hipError_tPvRmT2_T3_mT4_T5_T6_T7_T8_P12ihipStream_tbENKUlT_T0_E_clISt17integral_constantIbLb1EES13_IbLb0EEEEDaSZ_S10_EUlSZ_E_NS1_11comp_targetILNS1_3genE2ELNS1_11target_archE906ELNS1_3gpuE6ELNS1_3repE0EEENS1_30default_config_static_selectorELNS0_4arch9wavefront6targetE1EEEvT1_,"axG",@progbits,_ZN7rocprim17ROCPRIM_400000_NS6detail17trampoline_kernelINS0_14default_configENS1_29reduce_by_key_config_selectorIjjN6thrust23THRUST_200600_302600_NS4plusIjEEEEZZNS1_33reduce_by_key_impl_wrapped_configILNS1_25lookback_scan_determinismE0ES3_S9_NS6_6detail15normal_iteratorINS6_10device_ptrIjEEEESG_NS6_16discard_iteratorINS6_11use_defaultEEESG_PmS8_NS6_8equal_toIjEEEE10hipError_tPvRmT2_T3_mT4_T5_T6_T7_T8_P12ihipStream_tbENKUlT_T0_E_clISt17integral_constantIbLb1EES13_IbLb0EEEEDaSZ_S10_EUlSZ_E_NS1_11comp_targetILNS1_3genE2ELNS1_11target_archE906ELNS1_3gpuE6ELNS1_3repE0EEENS1_30default_config_static_selectorELNS0_4arch9wavefront6targetE1EEEvT1_,comdat
.Lfunc_end935:
	.size	_ZN7rocprim17ROCPRIM_400000_NS6detail17trampoline_kernelINS0_14default_configENS1_29reduce_by_key_config_selectorIjjN6thrust23THRUST_200600_302600_NS4plusIjEEEEZZNS1_33reduce_by_key_impl_wrapped_configILNS1_25lookback_scan_determinismE0ES3_S9_NS6_6detail15normal_iteratorINS6_10device_ptrIjEEEESG_NS6_16discard_iteratorINS6_11use_defaultEEESG_PmS8_NS6_8equal_toIjEEEE10hipError_tPvRmT2_T3_mT4_T5_T6_T7_T8_P12ihipStream_tbENKUlT_T0_E_clISt17integral_constantIbLb1EES13_IbLb0EEEEDaSZ_S10_EUlSZ_E_NS1_11comp_targetILNS1_3genE2ELNS1_11target_archE906ELNS1_3gpuE6ELNS1_3repE0EEENS1_30default_config_static_selectorELNS0_4arch9wavefront6targetE1EEEvT1_, .Lfunc_end935-_ZN7rocprim17ROCPRIM_400000_NS6detail17trampoline_kernelINS0_14default_configENS1_29reduce_by_key_config_selectorIjjN6thrust23THRUST_200600_302600_NS4plusIjEEEEZZNS1_33reduce_by_key_impl_wrapped_configILNS1_25lookback_scan_determinismE0ES3_S9_NS6_6detail15normal_iteratorINS6_10device_ptrIjEEEESG_NS6_16discard_iteratorINS6_11use_defaultEEESG_PmS8_NS6_8equal_toIjEEEE10hipError_tPvRmT2_T3_mT4_T5_T6_T7_T8_P12ihipStream_tbENKUlT_T0_E_clISt17integral_constantIbLb1EES13_IbLb0EEEEDaSZ_S10_EUlSZ_E_NS1_11comp_targetILNS1_3genE2ELNS1_11target_archE906ELNS1_3gpuE6ELNS1_3repE0EEENS1_30default_config_static_selectorELNS0_4arch9wavefront6targetE1EEEvT1_
                                        ; -- End function
	.section	.AMDGPU.csdata,"",@progbits
; Kernel info:
; codeLenInByte = 0
; NumSgprs: 4
; NumVgprs: 0
; NumAgprs: 0
; TotalNumVgprs: 0
; ScratchSize: 0
; MemoryBound: 0
; FloatMode: 240
; IeeeMode: 1
; LDSByteSize: 0 bytes/workgroup (compile time only)
; SGPRBlocks: 0
; VGPRBlocks: 0
; NumSGPRsForWavesPerEU: 4
; NumVGPRsForWavesPerEU: 1
; AccumOffset: 4
; Occupancy: 8
; WaveLimiterHint : 0
; COMPUTE_PGM_RSRC2:SCRATCH_EN: 0
; COMPUTE_PGM_RSRC2:USER_SGPR: 6
; COMPUTE_PGM_RSRC2:TRAP_HANDLER: 0
; COMPUTE_PGM_RSRC2:TGID_X_EN: 1
; COMPUTE_PGM_RSRC2:TGID_Y_EN: 0
; COMPUTE_PGM_RSRC2:TGID_Z_EN: 0
; COMPUTE_PGM_RSRC2:TIDIG_COMP_CNT: 0
; COMPUTE_PGM_RSRC3_GFX90A:ACCUM_OFFSET: 0
; COMPUTE_PGM_RSRC3_GFX90A:TG_SPLIT: 0
	.section	.text._ZN7rocprim17ROCPRIM_400000_NS6detail17trampoline_kernelINS0_14default_configENS1_29reduce_by_key_config_selectorIjjN6thrust23THRUST_200600_302600_NS4plusIjEEEEZZNS1_33reduce_by_key_impl_wrapped_configILNS1_25lookback_scan_determinismE0ES3_S9_NS6_6detail15normal_iteratorINS6_10device_ptrIjEEEESG_NS6_16discard_iteratorINS6_11use_defaultEEESG_PmS8_NS6_8equal_toIjEEEE10hipError_tPvRmT2_T3_mT4_T5_T6_T7_T8_P12ihipStream_tbENKUlT_T0_E_clISt17integral_constantIbLb1EES13_IbLb0EEEEDaSZ_S10_EUlSZ_E_NS1_11comp_targetILNS1_3genE10ELNS1_11target_archE1201ELNS1_3gpuE5ELNS1_3repE0EEENS1_30default_config_static_selectorELNS0_4arch9wavefront6targetE1EEEvT1_,"axG",@progbits,_ZN7rocprim17ROCPRIM_400000_NS6detail17trampoline_kernelINS0_14default_configENS1_29reduce_by_key_config_selectorIjjN6thrust23THRUST_200600_302600_NS4plusIjEEEEZZNS1_33reduce_by_key_impl_wrapped_configILNS1_25lookback_scan_determinismE0ES3_S9_NS6_6detail15normal_iteratorINS6_10device_ptrIjEEEESG_NS6_16discard_iteratorINS6_11use_defaultEEESG_PmS8_NS6_8equal_toIjEEEE10hipError_tPvRmT2_T3_mT4_T5_T6_T7_T8_P12ihipStream_tbENKUlT_T0_E_clISt17integral_constantIbLb1EES13_IbLb0EEEEDaSZ_S10_EUlSZ_E_NS1_11comp_targetILNS1_3genE10ELNS1_11target_archE1201ELNS1_3gpuE5ELNS1_3repE0EEENS1_30default_config_static_selectorELNS0_4arch9wavefront6targetE1EEEvT1_,comdat
	.protected	_ZN7rocprim17ROCPRIM_400000_NS6detail17trampoline_kernelINS0_14default_configENS1_29reduce_by_key_config_selectorIjjN6thrust23THRUST_200600_302600_NS4plusIjEEEEZZNS1_33reduce_by_key_impl_wrapped_configILNS1_25lookback_scan_determinismE0ES3_S9_NS6_6detail15normal_iteratorINS6_10device_ptrIjEEEESG_NS6_16discard_iteratorINS6_11use_defaultEEESG_PmS8_NS6_8equal_toIjEEEE10hipError_tPvRmT2_T3_mT4_T5_T6_T7_T8_P12ihipStream_tbENKUlT_T0_E_clISt17integral_constantIbLb1EES13_IbLb0EEEEDaSZ_S10_EUlSZ_E_NS1_11comp_targetILNS1_3genE10ELNS1_11target_archE1201ELNS1_3gpuE5ELNS1_3repE0EEENS1_30default_config_static_selectorELNS0_4arch9wavefront6targetE1EEEvT1_ ; -- Begin function _ZN7rocprim17ROCPRIM_400000_NS6detail17trampoline_kernelINS0_14default_configENS1_29reduce_by_key_config_selectorIjjN6thrust23THRUST_200600_302600_NS4plusIjEEEEZZNS1_33reduce_by_key_impl_wrapped_configILNS1_25lookback_scan_determinismE0ES3_S9_NS6_6detail15normal_iteratorINS6_10device_ptrIjEEEESG_NS6_16discard_iteratorINS6_11use_defaultEEESG_PmS8_NS6_8equal_toIjEEEE10hipError_tPvRmT2_T3_mT4_T5_T6_T7_T8_P12ihipStream_tbENKUlT_T0_E_clISt17integral_constantIbLb1EES13_IbLb0EEEEDaSZ_S10_EUlSZ_E_NS1_11comp_targetILNS1_3genE10ELNS1_11target_archE1201ELNS1_3gpuE5ELNS1_3repE0EEENS1_30default_config_static_selectorELNS0_4arch9wavefront6targetE1EEEvT1_
	.globl	_ZN7rocprim17ROCPRIM_400000_NS6detail17trampoline_kernelINS0_14default_configENS1_29reduce_by_key_config_selectorIjjN6thrust23THRUST_200600_302600_NS4plusIjEEEEZZNS1_33reduce_by_key_impl_wrapped_configILNS1_25lookback_scan_determinismE0ES3_S9_NS6_6detail15normal_iteratorINS6_10device_ptrIjEEEESG_NS6_16discard_iteratorINS6_11use_defaultEEESG_PmS8_NS6_8equal_toIjEEEE10hipError_tPvRmT2_T3_mT4_T5_T6_T7_T8_P12ihipStream_tbENKUlT_T0_E_clISt17integral_constantIbLb1EES13_IbLb0EEEEDaSZ_S10_EUlSZ_E_NS1_11comp_targetILNS1_3genE10ELNS1_11target_archE1201ELNS1_3gpuE5ELNS1_3repE0EEENS1_30default_config_static_selectorELNS0_4arch9wavefront6targetE1EEEvT1_
	.p2align	8
	.type	_ZN7rocprim17ROCPRIM_400000_NS6detail17trampoline_kernelINS0_14default_configENS1_29reduce_by_key_config_selectorIjjN6thrust23THRUST_200600_302600_NS4plusIjEEEEZZNS1_33reduce_by_key_impl_wrapped_configILNS1_25lookback_scan_determinismE0ES3_S9_NS6_6detail15normal_iteratorINS6_10device_ptrIjEEEESG_NS6_16discard_iteratorINS6_11use_defaultEEESG_PmS8_NS6_8equal_toIjEEEE10hipError_tPvRmT2_T3_mT4_T5_T6_T7_T8_P12ihipStream_tbENKUlT_T0_E_clISt17integral_constantIbLb1EES13_IbLb0EEEEDaSZ_S10_EUlSZ_E_NS1_11comp_targetILNS1_3genE10ELNS1_11target_archE1201ELNS1_3gpuE5ELNS1_3repE0EEENS1_30default_config_static_selectorELNS0_4arch9wavefront6targetE1EEEvT1_,@function
_ZN7rocprim17ROCPRIM_400000_NS6detail17trampoline_kernelINS0_14default_configENS1_29reduce_by_key_config_selectorIjjN6thrust23THRUST_200600_302600_NS4plusIjEEEEZZNS1_33reduce_by_key_impl_wrapped_configILNS1_25lookback_scan_determinismE0ES3_S9_NS6_6detail15normal_iteratorINS6_10device_ptrIjEEEESG_NS6_16discard_iteratorINS6_11use_defaultEEESG_PmS8_NS6_8equal_toIjEEEE10hipError_tPvRmT2_T3_mT4_T5_T6_T7_T8_P12ihipStream_tbENKUlT_T0_E_clISt17integral_constantIbLb1EES13_IbLb0EEEEDaSZ_S10_EUlSZ_E_NS1_11comp_targetILNS1_3genE10ELNS1_11target_archE1201ELNS1_3gpuE5ELNS1_3repE0EEENS1_30default_config_static_selectorELNS0_4arch9wavefront6targetE1EEEvT1_: ; @_ZN7rocprim17ROCPRIM_400000_NS6detail17trampoline_kernelINS0_14default_configENS1_29reduce_by_key_config_selectorIjjN6thrust23THRUST_200600_302600_NS4plusIjEEEEZZNS1_33reduce_by_key_impl_wrapped_configILNS1_25lookback_scan_determinismE0ES3_S9_NS6_6detail15normal_iteratorINS6_10device_ptrIjEEEESG_NS6_16discard_iteratorINS6_11use_defaultEEESG_PmS8_NS6_8equal_toIjEEEE10hipError_tPvRmT2_T3_mT4_T5_T6_T7_T8_P12ihipStream_tbENKUlT_T0_E_clISt17integral_constantIbLb1EES13_IbLb0EEEEDaSZ_S10_EUlSZ_E_NS1_11comp_targetILNS1_3genE10ELNS1_11target_archE1201ELNS1_3gpuE5ELNS1_3repE0EEENS1_30default_config_static_selectorELNS0_4arch9wavefront6targetE1EEEvT1_
; %bb.0:
	.section	.rodata,"a",@progbits
	.p2align	6, 0x0
	.amdhsa_kernel _ZN7rocprim17ROCPRIM_400000_NS6detail17trampoline_kernelINS0_14default_configENS1_29reduce_by_key_config_selectorIjjN6thrust23THRUST_200600_302600_NS4plusIjEEEEZZNS1_33reduce_by_key_impl_wrapped_configILNS1_25lookback_scan_determinismE0ES3_S9_NS6_6detail15normal_iteratorINS6_10device_ptrIjEEEESG_NS6_16discard_iteratorINS6_11use_defaultEEESG_PmS8_NS6_8equal_toIjEEEE10hipError_tPvRmT2_T3_mT4_T5_T6_T7_T8_P12ihipStream_tbENKUlT_T0_E_clISt17integral_constantIbLb1EES13_IbLb0EEEEDaSZ_S10_EUlSZ_E_NS1_11comp_targetILNS1_3genE10ELNS1_11target_archE1201ELNS1_3gpuE5ELNS1_3repE0EEENS1_30default_config_static_selectorELNS0_4arch9wavefront6targetE1EEEvT1_
		.amdhsa_group_segment_fixed_size 0
		.amdhsa_private_segment_fixed_size 0
		.amdhsa_kernarg_size 128
		.amdhsa_user_sgpr_count 6
		.amdhsa_user_sgpr_private_segment_buffer 1
		.amdhsa_user_sgpr_dispatch_ptr 0
		.amdhsa_user_sgpr_queue_ptr 0
		.amdhsa_user_sgpr_kernarg_segment_ptr 1
		.amdhsa_user_sgpr_dispatch_id 0
		.amdhsa_user_sgpr_flat_scratch_init 0
		.amdhsa_user_sgpr_kernarg_preload_length 0
		.amdhsa_user_sgpr_kernarg_preload_offset 0
		.amdhsa_user_sgpr_private_segment_size 0
		.amdhsa_uses_dynamic_stack 0
		.amdhsa_system_sgpr_private_segment_wavefront_offset 0
		.amdhsa_system_sgpr_workgroup_id_x 1
		.amdhsa_system_sgpr_workgroup_id_y 0
		.amdhsa_system_sgpr_workgroup_id_z 0
		.amdhsa_system_sgpr_workgroup_info 0
		.amdhsa_system_vgpr_workitem_id 0
		.amdhsa_next_free_vgpr 1
		.amdhsa_next_free_sgpr 0
		.amdhsa_accum_offset 4
		.amdhsa_reserve_vcc 0
		.amdhsa_reserve_flat_scratch 0
		.amdhsa_float_round_mode_32 0
		.amdhsa_float_round_mode_16_64 0
		.amdhsa_float_denorm_mode_32 3
		.amdhsa_float_denorm_mode_16_64 3
		.amdhsa_dx10_clamp 1
		.amdhsa_ieee_mode 1
		.amdhsa_fp16_overflow 0
		.amdhsa_tg_split 0
		.amdhsa_exception_fp_ieee_invalid_op 0
		.amdhsa_exception_fp_denorm_src 0
		.amdhsa_exception_fp_ieee_div_zero 0
		.amdhsa_exception_fp_ieee_overflow 0
		.amdhsa_exception_fp_ieee_underflow 0
		.amdhsa_exception_fp_ieee_inexact 0
		.amdhsa_exception_int_div_zero 0
	.end_amdhsa_kernel
	.section	.text._ZN7rocprim17ROCPRIM_400000_NS6detail17trampoline_kernelINS0_14default_configENS1_29reduce_by_key_config_selectorIjjN6thrust23THRUST_200600_302600_NS4plusIjEEEEZZNS1_33reduce_by_key_impl_wrapped_configILNS1_25lookback_scan_determinismE0ES3_S9_NS6_6detail15normal_iteratorINS6_10device_ptrIjEEEESG_NS6_16discard_iteratorINS6_11use_defaultEEESG_PmS8_NS6_8equal_toIjEEEE10hipError_tPvRmT2_T3_mT4_T5_T6_T7_T8_P12ihipStream_tbENKUlT_T0_E_clISt17integral_constantIbLb1EES13_IbLb0EEEEDaSZ_S10_EUlSZ_E_NS1_11comp_targetILNS1_3genE10ELNS1_11target_archE1201ELNS1_3gpuE5ELNS1_3repE0EEENS1_30default_config_static_selectorELNS0_4arch9wavefront6targetE1EEEvT1_,"axG",@progbits,_ZN7rocprim17ROCPRIM_400000_NS6detail17trampoline_kernelINS0_14default_configENS1_29reduce_by_key_config_selectorIjjN6thrust23THRUST_200600_302600_NS4plusIjEEEEZZNS1_33reduce_by_key_impl_wrapped_configILNS1_25lookback_scan_determinismE0ES3_S9_NS6_6detail15normal_iteratorINS6_10device_ptrIjEEEESG_NS6_16discard_iteratorINS6_11use_defaultEEESG_PmS8_NS6_8equal_toIjEEEE10hipError_tPvRmT2_T3_mT4_T5_T6_T7_T8_P12ihipStream_tbENKUlT_T0_E_clISt17integral_constantIbLb1EES13_IbLb0EEEEDaSZ_S10_EUlSZ_E_NS1_11comp_targetILNS1_3genE10ELNS1_11target_archE1201ELNS1_3gpuE5ELNS1_3repE0EEENS1_30default_config_static_selectorELNS0_4arch9wavefront6targetE1EEEvT1_,comdat
.Lfunc_end936:
	.size	_ZN7rocprim17ROCPRIM_400000_NS6detail17trampoline_kernelINS0_14default_configENS1_29reduce_by_key_config_selectorIjjN6thrust23THRUST_200600_302600_NS4plusIjEEEEZZNS1_33reduce_by_key_impl_wrapped_configILNS1_25lookback_scan_determinismE0ES3_S9_NS6_6detail15normal_iteratorINS6_10device_ptrIjEEEESG_NS6_16discard_iteratorINS6_11use_defaultEEESG_PmS8_NS6_8equal_toIjEEEE10hipError_tPvRmT2_T3_mT4_T5_T6_T7_T8_P12ihipStream_tbENKUlT_T0_E_clISt17integral_constantIbLb1EES13_IbLb0EEEEDaSZ_S10_EUlSZ_E_NS1_11comp_targetILNS1_3genE10ELNS1_11target_archE1201ELNS1_3gpuE5ELNS1_3repE0EEENS1_30default_config_static_selectorELNS0_4arch9wavefront6targetE1EEEvT1_, .Lfunc_end936-_ZN7rocprim17ROCPRIM_400000_NS6detail17trampoline_kernelINS0_14default_configENS1_29reduce_by_key_config_selectorIjjN6thrust23THRUST_200600_302600_NS4plusIjEEEEZZNS1_33reduce_by_key_impl_wrapped_configILNS1_25lookback_scan_determinismE0ES3_S9_NS6_6detail15normal_iteratorINS6_10device_ptrIjEEEESG_NS6_16discard_iteratorINS6_11use_defaultEEESG_PmS8_NS6_8equal_toIjEEEE10hipError_tPvRmT2_T3_mT4_T5_T6_T7_T8_P12ihipStream_tbENKUlT_T0_E_clISt17integral_constantIbLb1EES13_IbLb0EEEEDaSZ_S10_EUlSZ_E_NS1_11comp_targetILNS1_3genE10ELNS1_11target_archE1201ELNS1_3gpuE5ELNS1_3repE0EEENS1_30default_config_static_selectorELNS0_4arch9wavefront6targetE1EEEvT1_
                                        ; -- End function
	.section	.AMDGPU.csdata,"",@progbits
; Kernel info:
; codeLenInByte = 0
; NumSgprs: 4
; NumVgprs: 0
; NumAgprs: 0
; TotalNumVgprs: 0
; ScratchSize: 0
; MemoryBound: 0
; FloatMode: 240
; IeeeMode: 1
; LDSByteSize: 0 bytes/workgroup (compile time only)
; SGPRBlocks: 0
; VGPRBlocks: 0
; NumSGPRsForWavesPerEU: 4
; NumVGPRsForWavesPerEU: 1
; AccumOffset: 4
; Occupancy: 8
; WaveLimiterHint : 0
; COMPUTE_PGM_RSRC2:SCRATCH_EN: 0
; COMPUTE_PGM_RSRC2:USER_SGPR: 6
; COMPUTE_PGM_RSRC2:TRAP_HANDLER: 0
; COMPUTE_PGM_RSRC2:TGID_X_EN: 1
; COMPUTE_PGM_RSRC2:TGID_Y_EN: 0
; COMPUTE_PGM_RSRC2:TGID_Z_EN: 0
; COMPUTE_PGM_RSRC2:TIDIG_COMP_CNT: 0
; COMPUTE_PGM_RSRC3_GFX90A:ACCUM_OFFSET: 0
; COMPUTE_PGM_RSRC3_GFX90A:TG_SPLIT: 0
	.section	.text._ZN7rocprim17ROCPRIM_400000_NS6detail17trampoline_kernelINS0_14default_configENS1_29reduce_by_key_config_selectorIjjN6thrust23THRUST_200600_302600_NS4plusIjEEEEZZNS1_33reduce_by_key_impl_wrapped_configILNS1_25lookback_scan_determinismE0ES3_S9_NS6_6detail15normal_iteratorINS6_10device_ptrIjEEEESG_NS6_16discard_iteratorINS6_11use_defaultEEESG_PmS8_NS6_8equal_toIjEEEE10hipError_tPvRmT2_T3_mT4_T5_T6_T7_T8_P12ihipStream_tbENKUlT_T0_E_clISt17integral_constantIbLb1EES13_IbLb0EEEEDaSZ_S10_EUlSZ_E_NS1_11comp_targetILNS1_3genE10ELNS1_11target_archE1200ELNS1_3gpuE4ELNS1_3repE0EEENS1_30default_config_static_selectorELNS0_4arch9wavefront6targetE1EEEvT1_,"axG",@progbits,_ZN7rocprim17ROCPRIM_400000_NS6detail17trampoline_kernelINS0_14default_configENS1_29reduce_by_key_config_selectorIjjN6thrust23THRUST_200600_302600_NS4plusIjEEEEZZNS1_33reduce_by_key_impl_wrapped_configILNS1_25lookback_scan_determinismE0ES3_S9_NS6_6detail15normal_iteratorINS6_10device_ptrIjEEEESG_NS6_16discard_iteratorINS6_11use_defaultEEESG_PmS8_NS6_8equal_toIjEEEE10hipError_tPvRmT2_T3_mT4_T5_T6_T7_T8_P12ihipStream_tbENKUlT_T0_E_clISt17integral_constantIbLb1EES13_IbLb0EEEEDaSZ_S10_EUlSZ_E_NS1_11comp_targetILNS1_3genE10ELNS1_11target_archE1200ELNS1_3gpuE4ELNS1_3repE0EEENS1_30default_config_static_selectorELNS0_4arch9wavefront6targetE1EEEvT1_,comdat
	.protected	_ZN7rocprim17ROCPRIM_400000_NS6detail17trampoline_kernelINS0_14default_configENS1_29reduce_by_key_config_selectorIjjN6thrust23THRUST_200600_302600_NS4plusIjEEEEZZNS1_33reduce_by_key_impl_wrapped_configILNS1_25lookback_scan_determinismE0ES3_S9_NS6_6detail15normal_iteratorINS6_10device_ptrIjEEEESG_NS6_16discard_iteratorINS6_11use_defaultEEESG_PmS8_NS6_8equal_toIjEEEE10hipError_tPvRmT2_T3_mT4_T5_T6_T7_T8_P12ihipStream_tbENKUlT_T0_E_clISt17integral_constantIbLb1EES13_IbLb0EEEEDaSZ_S10_EUlSZ_E_NS1_11comp_targetILNS1_3genE10ELNS1_11target_archE1200ELNS1_3gpuE4ELNS1_3repE0EEENS1_30default_config_static_selectorELNS0_4arch9wavefront6targetE1EEEvT1_ ; -- Begin function _ZN7rocprim17ROCPRIM_400000_NS6detail17trampoline_kernelINS0_14default_configENS1_29reduce_by_key_config_selectorIjjN6thrust23THRUST_200600_302600_NS4plusIjEEEEZZNS1_33reduce_by_key_impl_wrapped_configILNS1_25lookback_scan_determinismE0ES3_S9_NS6_6detail15normal_iteratorINS6_10device_ptrIjEEEESG_NS6_16discard_iteratorINS6_11use_defaultEEESG_PmS8_NS6_8equal_toIjEEEE10hipError_tPvRmT2_T3_mT4_T5_T6_T7_T8_P12ihipStream_tbENKUlT_T0_E_clISt17integral_constantIbLb1EES13_IbLb0EEEEDaSZ_S10_EUlSZ_E_NS1_11comp_targetILNS1_3genE10ELNS1_11target_archE1200ELNS1_3gpuE4ELNS1_3repE0EEENS1_30default_config_static_selectorELNS0_4arch9wavefront6targetE1EEEvT1_
	.globl	_ZN7rocprim17ROCPRIM_400000_NS6detail17trampoline_kernelINS0_14default_configENS1_29reduce_by_key_config_selectorIjjN6thrust23THRUST_200600_302600_NS4plusIjEEEEZZNS1_33reduce_by_key_impl_wrapped_configILNS1_25lookback_scan_determinismE0ES3_S9_NS6_6detail15normal_iteratorINS6_10device_ptrIjEEEESG_NS6_16discard_iteratorINS6_11use_defaultEEESG_PmS8_NS6_8equal_toIjEEEE10hipError_tPvRmT2_T3_mT4_T5_T6_T7_T8_P12ihipStream_tbENKUlT_T0_E_clISt17integral_constantIbLb1EES13_IbLb0EEEEDaSZ_S10_EUlSZ_E_NS1_11comp_targetILNS1_3genE10ELNS1_11target_archE1200ELNS1_3gpuE4ELNS1_3repE0EEENS1_30default_config_static_selectorELNS0_4arch9wavefront6targetE1EEEvT1_
	.p2align	8
	.type	_ZN7rocprim17ROCPRIM_400000_NS6detail17trampoline_kernelINS0_14default_configENS1_29reduce_by_key_config_selectorIjjN6thrust23THRUST_200600_302600_NS4plusIjEEEEZZNS1_33reduce_by_key_impl_wrapped_configILNS1_25lookback_scan_determinismE0ES3_S9_NS6_6detail15normal_iteratorINS6_10device_ptrIjEEEESG_NS6_16discard_iteratorINS6_11use_defaultEEESG_PmS8_NS6_8equal_toIjEEEE10hipError_tPvRmT2_T3_mT4_T5_T6_T7_T8_P12ihipStream_tbENKUlT_T0_E_clISt17integral_constantIbLb1EES13_IbLb0EEEEDaSZ_S10_EUlSZ_E_NS1_11comp_targetILNS1_3genE10ELNS1_11target_archE1200ELNS1_3gpuE4ELNS1_3repE0EEENS1_30default_config_static_selectorELNS0_4arch9wavefront6targetE1EEEvT1_,@function
_ZN7rocprim17ROCPRIM_400000_NS6detail17trampoline_kernelINS0_14default_configENS1_29reduce_by_key_config_selectorIjjN6thrust23THRUST_200600_302600_NS4plusIjEEEEZZNS1_33reduce_by_key_impl_wrapped_configILNS1_25lookback_scan_determinismE0ES3_S9_NS6_6detail15normal_iteratorINS6_10device_ptrIjEEEESG_NS6_16discard_iteratorINS6_11use_defaultEEESG_PmS8_NS6_8equal_toIjEEEE10hipError_tPvRmT2_T3_mT4_T5_T6_T7_T8_P12ihipStream_tbENKUlT_T0_E_clISt17integral_constantIbLb1EES13_IbLb0EEEEDaSZ_S10_EUlSZ_E_NS1_11comp_targetILNS1_3genE10ELNS1_11target_archE1200ELNS1_3gpuE4ELNS1_3repE0EEENS1_30default_config_static_selectorELNS0_4arch9wavefront6targetE1EEEvT1_: ; @_ZN7rocprim17ROCPRIM_400000_NS6detail17trampoline_kernelINS0_14default_configENS1_29reduce_by_key_config_selectorIjjN6thrust23THRUST_200600_302600_NS4plusIjEEEEZZNS1_33reduce_by_key_impl_wrapped_configILNS1_25lookback_scan_determinismE0ES3_S9_NS6_6detail15normal_iteratorINS6_10device_ptrIjEEEESG_NS6_16discard_iteratorINS6_11use_defaultEEESG_PmS8_NS6_8equal_toIjEEEE10hipError_tPvRmT2_T3_mT4_T5_T6_T7_T8_P12ihipStream_tbENKUlT_T0_E_clISt17integral_constantIbLb1EES13_IbLb0EEEEDaSZ_S10_EUlSZ_E_NS1_11comp_targetILNS1_3genE10ELNS1_11target_archE1200ELNS1_3gpuE4ELNS1_3repE0EEENS1_30default_config_static_selectorELNS0_4arch9wavefront6targetE1EEEvT1_
; %bb.0:
	.section	.rodata,"a",@progbits
	.p2align	6, 0x0
	.amdhsa_kernel _ZN7rocprim17ROCPRIM_400000_NS6detail17trampoline_kernelINS0_14default_configENS1_29reduce_by_key_config_selectorIjjN6thrust23THRUST_200600_302600_NS4plusIjEEEEZZNS1_33reduce_by_key_impl_wrapped_configILNS1_25lookback_scan_determinismE0ES3_S9_NS6_6detail15normal_iteratorINS6_10device_ptrIjEEEESG_NS6_16discard_iteratorINS6_11use_defaultEEESG_PmS8_NS6_8equal_toIjEEEE10hipError_tPvRmT2_T3_mT4_T5_T6_T7_T8_P12ihipStream_tbENKUlT_T0_E_clISt17integral_constantIbLb1EES13_IbLb0EEEEDaSZ_S10_EUlSZ_E_NS1_11comp_targetILNS1_3genE10ELNS1_11target_archE1200ELNS1_3gpuE4ELNS1_3repE0EEENS1_30default_config_static_selectorELNS0_4arch9wavefront6targetE1EEEvT1_
		.amdhsa_group_segment_fixed_size 0
		.amdhsa_private_segment_fixed_size 0
		.amdhsa_kernarg_size 128
		.amdhsa_user_sgpr_count 6
		.amdhsa_user_sgpr_private_segment_buffer 1
		.amdhsa_user_sgpr_dispatch_ptr 0
		.amdhsa_user_sgpr_queue_ptr 0
		.amdhsa_user_sgpr_kernarg_segment_ptr 1
		.amdhsa_user_sgpr_dispatch_id 0
		.amdhsa_user_sgpr_flat_scratch_init 0
		.amdhsa_user_sgpr_kernarg_preload_length 0
		.amdhsa_user_sgpr_kernarg_preload_offset 0
		.amdhsa_user_sgpr_private_segment_size 0
		.amdhsa_uses_dynamic_stack 0
		.amdhsa_system_sgpr_private_segment_wavefront_offset 0
		.amdhsa_system_sgpr_workgroup_id_x 1
		.amdhsa_system_sgpr_workgroup_id_y 0
		.amdhsa_system_sgpr_workgroup_id_z 0
		.amdhsa_system_sgpr_workgroup_info 0
		.amdhsa_system_vgpr_workitem_id 0
		.amdhsa_next_free_vgpr 1
		.amdhsa_next_free_sgpr 0
		.amdhsa_accum_offset 4
		.amdhsa_reserve_vcc 0
		.amdhsa_reserve_flat_scratch 0
		.amdhsa_float_round_mode_32 0
		.amdhsa_float_round_mode_16_64 0
		.amdhsa_float_denorm_mode_32 3
		.amdhsa_float_denorm_mode_16_64 3
		.amdhsa_dx10_clamp 1
		.amdhsa_ieee_mode 1
		.amdhsa_fp16_overflow 0
		.amdhsa_tg_split 0
		.amdhsa_exception_fp_ieee_invalid_op 0
		.amdhsa_exception_fp_denorm_src 0
		.amdhsa_exception_fp_ieee_div_zero 0
		.amdhsa_exception_fp_ieee_overflow 0
		.amdhsa_exception_fp_ieee_underflow 0
		.amdhsa_exception_fp_ieee_inexact 0
		.amdhsa_exception_int_div_zero 0
	.end_amdhsa_kernel
	.section	.text._ZN7rocprim17ROCPRIM_400000_NS6detail17trampoline_kernelINS0_14default_configENS1_29reduce_by_key_config_selectorIjjN6thrust23THRUST_200600_302600_NS4plusIjEEEEZZNS1_33reduce_by_key_impl_wrapped_configILNS1_25lookback_scan_determinismE0ES3_S9_NS6_6detail15normal_iteratorINS6_10device_ptrIjEEEESG_NS6_16discard_iteratorINS6_11use_defaultEEESG_PmS8_NS6_8equal_toIjEEEE10hipError_tPvRmT2_T3_mT4_T5_T6_T7_T8_P12ihipStream_tbENKUlT_T0_E_clISt17integral_constantIbLb1EES13_IbLb0EEEEDaSZ_S10_EUlSZ_E_NS1_11comp_targetILNS1_3genE10ELNS1_11target_archE1200ELNS1_3gpuE4ELNS1_3repE0EEENS1_30default_config_static_selectorELNS0_4arch9wavefront6targetE1EEEvT1_,"axG",@progbits,_ZN7rocprim17ROCPRIM_400000_NS6detail17trampoline_kernelINS0_14default_configENS1_29reduce_by_key_config_selectorIjjN6thrust23THRUST_200600_302600_NS4plusIjEEEEZZNS1_33reduce_by_key_impl_wrapped_configILNS1_25lookback_scan_determinismE0ES3_S9_NS6_6detail15normal_iteratorINS6_10device_ptrIjEEEESG_NS6_16discard_iteratorINS6_11use_defaultEEESG_PmS8_NS6_8equal_toIjEEEE10hipError_tPvRmT2_T3_mT4_T5_T6_T7_T8_P12ihipStream_tbENKUlT_T0_E_clISt17integral_constantIbLb1EES13_IbLb0EEEEDaSZ_S10_EUlSZ_E_NS1_11comp_targetILNS1_3genE10ELNS1_11target_archE1200ELNS1_3gpuE4ELNS1_3repE0EEENS1_30default_config_static_selectorELNS0_4arch9wavefront6targetE1EEEvT1_,comdat
.Lfunc_end937:
	.size	_ZN7rocprim17ROCPRIM_400000_NS6detail17trampoline_kernelINS0_14default_configENS1_29reduce_by_key_config_selectorIjjN6thrust23THRUST_200600_302600_NS4plusIjEEEEZZNS1_33reduce_by_key_impl_wrapped_configILNS1_25lookback_scan_determinismE0ES3_S9_NS6_6detail15normal_iteratorINS6_10device_ptrIjEEEESG_NS6_16discard_iteratorINS6_11use_defaultEEESG_PmS8_NS6_8equal_toIjEEEE10hipError_tPvRmT2_T3_mT4_T5_T6_T7_T8_P12ihipStream_tbENKUlT_T0_E_clISt17integral_constantIbLb1EES13_IbLb0EEEEDaSZ_S10_EUlSZ_E_NS1_11comp_targetILNS1_3genE10ELNS1_11target_archE1200ELNS1_3gpuE4ELNS1_3repE0EEENS1_30default_config_static_selectorELNS0_4arch9wavefront6targetE1EEEvT1_, .Lfunc_end937-_ZN7rocprim17ROCPRIM_400000_NS6detail17trampoline_kernelINS0_14default_configENS1_29reduce_by_key_config_selectorIjjN6thrust23THRUST_200600_302600_NS4plusIjEEEEZZNS1_33reduce_by_key_impl_wrapped_configILNS1_25lookback_scan_determinismE0ES3_S9_NS6_6detail15normal_iteratorINS6_10device_ptrIjEEEESG_NS6_16discard_iteratorINS6_11use_defaultEEESG_PmS8_NS6_8equal_toIjEEEE10hipError_tPvRmT2_T3_mT4_T5_T6_T7_T8_P12ihipStream_tbENKUlT_T0_E_clISt17integral_constantIbLb1EES13_IbLb0EEEEDaSZ_S10_EUlSZ_E_NS1_11comp_targetILNS1_3genE10ELNS1_11target_archE1200ELNS1_3gpuE4ELNS1_3repE0EEENS1_30default_config_static_selectorELNS0_4arch9wavefront6targetE1EEEvT1_
                                        ; -- End function
	.section	.AMDGPU.csdata,"",@progbits
; Kernel info:
; codeLenInByte = 0
; NumSgprs: 4
; NumVgprs: 0
; NumAgprs: 0
; TotalNumVgprs: 0
; ScratchSize: 0
; MemoryBound: 0
; FloatMode: 240
; IeeeMode: 1
; LDSByteSize: 0 bytes/workgroup (compile time only)
; SGPRBlocks: 0
; VGPRBlocks: 0
; NumSGPRsForWavesPerEU: 4
; NumVGPRsForWavesPerEU: 1
; AccumOffset: 4
; Occupancy: 8
; WaveLimiterHint : 0
; COMPUTE_PGM_RSRC2:SCRATCH_EN: 0
; COMPUTE_PGM_RSRC2:USER_SGPR: 6
; COMPUTE_PGM_RSRC2:TRAP_HANDLER: 0
; COMPUTE_PGM_RSRC2:TGID_X_EN: 1
; COMPUTE_PGM_RSRC2:TGID_Y_EN: 0
; COMPUTE_PGM_RSRC2:TGID_Z_EN: 0
; COMPUTE_PGM_RSRC2:TIDIG_COMP_CNT: 0
; COMPUTE_PGM_RSRC3_GFX90A:ACCUM_OFFSET: 0
; COMPUTE_PGM_RSRC3_GFX90A:TG_SPLIT: 0
	.section	.text._ZN7rocprim17ROCPRIM_400000_NS6detail17trampoline_kernelINS0_14default_configENS1_29reduce_by_key_config_selectorIjjN6thrust23THRUST_200600_302600_NS4plusIjEEEEZZNS1_33reduce_by_key_impl_wrapped_configILNS1_25lookback_scan_determinismE0ES3_S9_NS6_6detail15normal_iteratorINS6_10device_ptrIjEEEESG_NS6_16discard_iteratorINS6_11use_defaultEEESG_PmS8_NS6_8equal_toIjEEEE10hipError_tPvRmT2_T3_mT4_T5_T6_T7_T8_P12ihipStream_tbENKUlT_T0_E_clISt17integral_constantIbLb1EES13_IbLb0EEEEDaSZ_S10_EUlSZ_E_NS1_11comp_targetILNS1_3genE9ELNS1_11target_archE1100ELNS1_3gpuE3ELNS1_3repE0EEENS1_30default_config_static_selectorELNS0_4arch9wavefront6targetE1EEEvT1_,"axG",@progbits,_ZN7rocprim17ROCPRIM_400000_NS6detail17trampoline_kernelINS0_14default_configENS1_29reduce_by_key_config_selectorIjjN6thrust23THRUST_200600_302600_NS4plusIjEEEEZZNS1_33reduce_by_key_impl_wrapped_configILNS1_25lookback_scan_determinismE0ES3_S9_NS6_6detail15normal_iteratorINS6_10device_ptrIjEEEESG_NS6_16discard_iteratorINS6_11use_defaultEEESG_PmS8_NS6_8equal_toIjEEEE10hipError_tPvRmT2_T3_mT4_T5_T6_T7_T8_P12ihipStream_tbENKUlT_T0_E_clISt17integral_constantIbLb1EES13_IbLb0EEEEDaSZ_S10_EUlSZ_E_NS1_11comp_targetILNS1_3genE9ELNS1_11target_archE1100ELNS1_3gpuE3ELNS1_3repE0EEENS1_30default_config_static_selectorELNS0_4arch9wavefront6targetE1EEEvT1_,comdat
	.protected	_ZN7rocprim17ROCPRIM_400000_NS6detail17trampoline_kernelINS0_14default_configENS1_29reduce_by_key_config_selectorIjjN6thrust23THRUST_200600_302600_NS4plusIjEEEEZZNS1_33reduce_by_key_impl_wrapped_configILNS1_25lookback_scan_determinismE0ES3_S9_NS6_6detail15normal_iteratorINS6_10device_ptrIjEEEESG_NS6_16discard_iteratorINS6_11use_defaultEEESG_PmS8_NS6_8equal_toIjEEEE10hipError_tPvRmT2_T3_mT4_T5_T6_T7_T8_P12ihipStream_tbENKUlT_T0_E_clISt17integral_constantIbLb1EES13_IbLb0EEEEDaSZ_S10_EUlSZ_E_NS1_11comp_targetILNS1_3genE9ELNS1_11target_archE1100ELNS1_3gpuE3ELNS1_3repE0EEENS1_30default_config_static_selectorELNS0_4arch9wavefront6targetE1EEEvT1_ ; -- Begin function _ZN7rocprim17ROCPRIM_400000_NS6detail17trampoline_kernelINS0_14default_configENS1_29reduce_by_key_config_selectorIjjN6thrust23THRUST_200600_302600_NS4plusIjEEEEZZNS1_33reduce_by_key_impl_wrapped_configILNS1_25lookback_scan_determinismE0ES3_S9_NS6_6detail15normal_iteratorINS6_10device_ptrIjEEEESG_NS6_16discard_iteratorINS6_11use_defaultEEESG_PmS8_NS6_8equal_toIjEEEE10hipError_tPvRmT2_T3_mT4_T5_T6_T7_T8_P12ihipStream_tbENKUlT_T0_E_clISt17integral_constantIbLb1EES13_IbLb0EEEEDaSZ_S10_EUlSZ_E_NS1_11comp_targetILNS1_3genE9ELNS1_11target_archE1100ELNS1_3gpuE3ELNS1_3repE0EEENS1_30default_config_static_selectorELNS0_4arch9wavefront6targetE1EEEvT1_
	.globl	_ZN7rocprim17ROCPRIM_400000_NS6detail17trampoline_kernelINS0_14default_configENS1_29reduce_by_key_config_selectorIjjN6thrust23THRUST_200600_302600_NS4plusIjEEEEZZNS1_33reduce_by_key_impl_wrapped_configILNS1_25lookback_scan_determinismE0ES3_S9_NS6_6detail15normal_iteratorINS6_10device_ptrIjEEEESG_NS6_16discard_iteratorINS6_11use_defaultEEESG_PmS8_NS6_8equal_toIjEEEE10hipError_tPvRmT2_T3_mT4_T5_T6_T7_T8_P12ihipStream_tbENKUlT_T0_E_clISt17integral_constantIbLb1EES13_IbLb0EEEEDaSZ_S10_EUlSZ_E_NS1_11comp_targetILNS1_3genE9ELNS1_11target_archE1100ELNS1_3gpuE3ELNS1_3repE0EEENS1_30default_config_static_selectorELNS0_4arch9wavefront6targetE1EEEvT1_
	.p2align	8
	.type	_ZN7rocprim17ROCPRIM_400000_NS6detail17trampoline_kernelINS0_14default_configENS1_29reduce_by_key_config_selectorIjjN6thrust23THRUST_200600_302600_NS4plusIjEEEEZZNS1_33reduce_by_key_impl_wrapped_configILNS1_25lookback_scan_determinismE0ES3_S9_NS6_6detail15normal_iteratorINS6_10device_ptrIjEEEESG_NS6_16discard_iteratorINS6_11use_defaultEEESG_PmS8_NS6_8equal_toIjEEEE10hipError_tPvRmT2_T3_mT4_T5_T6_T7_T8_P12ihipStream_tbENKUlT_T0_E_clISt17integral_constantIbLb1EES13_IbLb0EEEEDaSZ_S10_EUlSZ_E_NS1_11comp_targetILNS1_3genE9ELNS1_11target_archE1100ELNS1_3gpuE3ELNS1_3repE0EEENS1_30default_config_static_selectorELNS0_4arch9wavefront6targetE1EEEvT1_,@function
_ZN7rocprim17ROCPRIM_400000_NS6detail17trampoline_kernelINS0_14default_configENS1_29reduce_by_key_config_selectorIjjN6thrust23THRUST_200600_302600_NS4plusIjEEEEZZNS1_33reduce_by_key_impl_wrapped_configILNS1_25lookback_scan_determinismE0ES3_S9_NS6_6detail15normal_iteratorINS6_10device_ptrIjEEEESG_NS6_16discard_iteratorINS6_11use_defaultEEESG_PmS8_NS6_8equal_toIjEEEE10hipError_tPvRmT2_T3_mT4_T5_T6_T7_T8_P12ihipStream_tbENKUlT_T0_E_clISt17integral_constantIbLb1EES13_IbLb0EEEEDaSZ_S10_EUlSZ_E_NS1_11comp_targetILNS1_3genE9ELNS1_11target_archE1100ELNS1_3gpuE3ELNS1_3repE0EEENS1_30default_config_static_selectorELNS0_4arch9wavefront6targetE1EEEvT1_: ; @_ZN7rocprim17ROCPRIM_400000_NS6detail17trampoline_kernelINS0_14default_configENS1_29reduce_by_key_config_selectorIjjN6thrust23THRUST_200600_302600_NS4plusIjEEEEZZNS1_33reduce_by_key_impl_wrapped_configILNS1_25lookback_scan_determinismE0ES3_S9_NS6_6detail15normal_iteratorINS6_10device_ptrIjEEEESG_NS6_16discard_iteratorINS6_11use_defaultEEESG_PmS8_NS6_8equal_toIjEEEE10hipError_tPvRmT2_T3_mT4_T5_T6_T7_T8_P12ihipStream_tbENKUlT_T0_E_clISt17integral_constantIbLb1EES13_IbLb0EEEEDaSZ_S10_EUlSZ_E_NS1_11comp_targetILNS1_3genE9ELNS1_11target_archE1100ELNS1_3gpuE3ELNS1_3repE0EEENS1_30default_config_static_selectorELNS0_4arch9wavefront6targetE1EEEvT1_
; %bb.0:
	.section	.rodata,"a",@progbits
	.p2align	6, 0x0
	.amdhsa_kernel _ZN7rocprim17ROCPRIM_400000_NS6detail17trampoline_kernelINS0_14default_configENS1_29reduce_by_key_config_selectorIjjN6thrust23THRUST_200600_302600_NS4plusIjEEEEZZNS1_33reduce_by_key_impl_wrapped_configILNS1_25lookback_scan_determinismE0ES3_S9_NS6_6detail15normal_iteratorINS6_10device_ptrIjEEEESG_NS6_16discard_iteratorINS6_11use_defaultEEESG_PmS8_NS6_8equal_toIjEEEE10hipError_tPvRmT2_T3_mT4_T5_T6_T7_T8_P12ihipStream_tbENKUlT_T0_E_clISt17integral_constantIbLb1EES13_IbLb0EEEEDaSZ_S10_EUlSZ_E_NS1_11comp_targetILNS1_3genE9ELNS1_11target_archE1100ELNS1_3gpuE3ELNS1_3repE0EEENS1_30default_config_static_selectorELNS0_4arch9wavefront6targetE1EEEvT1_
		.amdhsa_group_segment_fixed_size 0
		.amdhsa_private_segment_fixed_size 0
		.amdhsa_kernarg_size 128
		.amdhsa_user_sgpr_count 6
		.amdhsa_user_sgpr_private_segment_buffer 1
		.amdhsa_user_sgpr_dispatch_ptr 0
		.amdhsa_user_sgpr_queue_ptr 0
		.amdhsa_user_sgpr_kernarg_segment_ptr 1
		.amdhsa_user_sgpr_dispatch_id 0
		.amdhsa_user_sgpr_flat_scratch_init 0
		.amdhsa_user_sgpr_kernarg_preload_length 0
		.amdhsa_user_sgpr_kernarg_preload_offset 0
		.amdhsa_user_sgpr_private_segment_size 0
		.amdhsa_uses_dynamic_stack 0
		.amdhsa_system_sgpr_private_segment_wavefront_offset 0
		.amdhsa_system_sgpr_workgroup_id_x 1
		.amdhsa_system_sgpr_workgroup_id_y 0
		.amdhsa_system_sgpr_workgroup_id_z 0
		.amdhsa_system_sgpr_workgroup_info 0
		.amdhsa_system_vgpr_workitem_id 0
		.amdhsa_next_free_vgpr 1
		.amdhsa_next_free_sgpr 0
		.amdhsa_accum_offset 4
		.amdhsa_reserve_vcc 0
		.amdhsa_reserve_flat_scratch 0
		.amdhsa_float_round_mode_32 0
		.amdhsa_float_round_mode_16_64 0
		.amdhsa_float_denorm_mode_32 3
		.amdhsa_float_denorm_mode_16_64 3
		.amdhsa_dx10_clamp 1
		.amdhsa_ieee_mode 1
		.amdhsa_fp16_overflow 0
		.amdhsa_tg_split 0
		.amdhsa_exception_fp_ieee_invalid_op 0
		.amdhsa_exception_fp_denorm_src 0
		.amdhsa_exception_fp_ieee_div_zero 0
		.amdhsa_exception_fp_ieee_overflow 0
		.amdhsa_exception_fp_ieee_underflow 0
		.amdhsa_exception_fp_ieee_inexact 0
		.amdhsa_exception_int_div_zero 0
	.end_amdhsa_kernel
	.section	.text._ZN7rocprim17ROCPRIM_400000_NS6detail17trampoline_kernelINS0_14default_configENS1_29reduce_by_key_config_selectorIjjN6thrust23THRUST_200600_302600_NS4plusIjEEEEZZNS1_33reduce_by_key_impl_wrapped_configILNS1_25lookback_scan_determinismE0ES3_S9_NS6_6detail15normal_iteratorINS6_10device_ptrIjEEEESG_NS6_16discard_iteratorINS6_11use_defaultEEESG_PmS8_NS6_8equal_toIjEEEE10hipError_tPvRmT2_T3_mT4_T5_T6_T7_T8_P12ihipStream_tbENKUlT_T0_E_clISt17integral_constantIbLb1EES13_IbLb0EEEEDaSZ_S10_EUlSZ_E_NS1_11comp_targetILNS1_3genE9ELNS1_11target_archE1100ELNS1_3gpuE3ELNS1_3repE0EEENS1_30default_config_static_selectorELNS0_4arch9wavefront6targetE1EEEvT1_,"axG",@progbits,_ZN7rocprim17ROCPRIM_400000_NS6detail17trampoline_kernelINS0_14default_configENS1_29reduce_by_key_config_selectorIjjN6thrust23THRUST_200600_302600_NS4plusIjEEEEZZNS1_33reduce_by_key_impl_wrapped_configILNS1_25lookback_scan_determinismE0ES3_S9_NS6_6detail15normal_iteratorINS6_10device_ptrIjEEEESG_NS6_16discard_iteratorINS6_11use_defaultEEESG_PmS8_NS6_8equal_toIjEEEE10hipError_tPvRmT2_T3_mT4_T5_T6_T7_T8_P12ihipStream_tbENKUlT_T0_E_clISt17integral_constantIbLb1EES13_IbLb0EEEEDaSZ_S10_EUlSZ_E_NS1_11comp_targetILNS1_3genE9ELNS1_11target_archE1100ELNS1_3gpuE3ELNS1_3repE0EEENS1_30default_config_static_selectorELNS0_4arch9wavefront6targetE1EEEvT1_,comdat
.Lfunc_end938:
	.size	_ZN7rocprim17ROCPRIM_400000_NS6detail17trampoline_kernelINS0_14default_configENS1_29reduce_by_key_config_selectorIjjN6thrust23THRUST_200600_302600_NS4plusIjEEEEZZNS1_33reduce_by_key_impl_wrapped_configILNS1_25lookback_scan_determinismE0ES3_S9_NS6_6detail15normal_iteratorINS6_10device_ptrIjEEEESG_NS6_16discard_iteratorINS6_11use_defaultEEESG_PmS8_NS6_8equal_toIjEEEE10hipError_tPvRmT2_T3_mT4_T5_T6_T7_T8_P12ihipStream_tbENKUlT_T0_E_clISt17integral_constantIbLb1EES13_IbLb0EEEEDaSZ_S10_EUlSZ_E_NS1_11comp_targetILNS1_3genE9ELNS1_11target_archE1100ELNS1_3gpuE3ELNS1_3repE0EEENS1_30default_config_static_selectorELNS0_4arch9wavefront6targetE1EEEvT1_, .Lfunc_end938-_ZN7rocprim17ROCPRIM_400000_NS6detail17trampoline_kernelINS0_14default_configENS1_29reduce_by_key_config_selectorIjjN6thrust23THRUST_200600_302600_NS4plusIjEEEEZZNS1_33reduce_by_key_impl_wrapped_configILNS1_25lookback_scan_determinismE0ES3_S9_NS6_6detail15normal_iteratorINS6_10device_ptrIjEEEESG_NS6_16discard_iteratorINS6_11use_defaultEEESG_PmS8_NS6_8equal_toIjEEEE10hipError_tPvRmT2_T3_mT4_T5_T6_T7_T8_P12ihipStream_tbENKUlT_T0_E_clISt17integral_constantIbLb1EES13_IbLb0EEEEDaSZ_S10_EUlSZ_E_NS1_11comp_targetILNS1_3genE9ELNS1_11target_archE1100ELNS1_3gpuE3ELNS1_3repE0EEENS1_30default_config_static_selectorELNS0_4arch9wavefront6targetE1EEEvT1_
                                        ; -- End function
	.section	.AMDGPU.csdata,"",@progbits
; Kernel info:
; codeLenInByte = 0
; NumSgprs: 4
; NumVgprs: 0
; NumAgprs: 0
; TotalNumVgprs: 0
; ScratchSize: 0
; MemoryBound: 0
; FloatMode: 240
; IeeeMode: 1
; LDSByteSize: 0 bytes/workgroup (compile time only)
; SGPRBlocks: 0
; VGPRBlocks: 0
; NumSGPRsForWavesPerEU: 4
; NumVGPRsForWavesPerEU: 1
; AccumOffset: 4
; Occupancy: 8
; WaveLimiterHint : 0
; COMPUTE_PGM_RSRC2:SCRATCH_EN: 0
; COMPUTE_PGM_RSRC2:USER_SGPR: 6
; COMPUTE_PGM_RSRC2:TRAP_HANDLER: 0
; COMPUTE_PGM_RSRC2:TGID_X_EN: 1
; COMPUTE_PGM_RSRC2:TGID_Y_EN: 0
; COMPUTE_PGM_RSRC2:TGID_Z_EN: 0
; COMPUTE_PGM_RSRC2:TIDIG_COMP_CNT: 0
; COMPUTE_PGM_RSRC3_GFX90A:ACCUM_OFFSET: 0
; COMPUTE_PGM_RSRC3_GFX90A:TG_SPLIT: 0
	.section	.text._ZN7rocprim17ROCPRIM_400000_NS6detail17trampoline_kernelINS0_14default_configENS1_29reduce_by_key_config_selectorIjjN6thrust23THRUST_200600_302600_NS4plusIjEEEEZZNS1_33reduce_by_key_impl_wrapped_configILNS1_25lookback_scan_determinismE0ES3_S9_NS6_6detail15normal_iteratorINS6_10device_ptrIjEEEESG_NS6_16discard_iteratorINS6_11use_defaultEEESG_PmS8_NS6_8equal_toIjEEEE10hipError_tPvRmT2_T3_mT4_T5_T6_T7_T8_P12ihipStream_tbENKUlT_T0_E_clISt17integral_constantIbLb1EES13_IbLb0EEEEDaSZ_S10_EUlSZ_E_NS1_11comp_targetILNS1_3genE8ELNS1_11target_archE1030ELNS1_3gpuE2ELNS1_3repE0EEENS1_30default_config_static_selectorELNS0_4arch9wavefront6targetE1EEEvT1_,"axG",@progbits,_ZN7rocprim17ROCPRIM_400000_NS6detail17trampoline_kernelINS0_14default_configENS1_29reduce_by_key_config_selectorIjjN6thrust23THRUST_200600_302600_NS4plusIjEEEEZZNS1_33reduce_by_key_impl_wrapped_configILNS1_25lookback_scan_determinismE0ES3_S9_NS6_6detail15normal_iteratorINS6_10device_ptrIjEEEESG_NS6_16discard_iteratorINS6_11use_defaultEEESG_PmS8_NS6_8equal_toIjEEEE10hipError_tPvRmT2_T3_mT4_T5_T6_T7_T8_P12ihipStream_tbENKUlT_T0_E_clISt17integral_constantIbLb1EES13_IbLb0EEEEDaSZ_S10_EUlSZ_E_NS1_11comp_targetILNS1_3genE8ELNS1_11target_archE1030ELNS1_3gpuE2ELNS1_3repE0EEENS1_30default_config_static_selectorELNS0_4arch9wavefront6targetE1EEEvT1_,comdat
	.protected	_ZN7rocprim17ROCPRIM_400000_NS6detail17trampoline_kernelINS0_14default_configENS1_29reduce_by_key_config_selectorIjjN6thrust23THRUST_200600_302600_NS4plusIjEEEEZZNS1_33reduce_by_key_impl_wrapped_configILNS1_25lookback_scan_determinismE0ES3_S9_NS6_6detail15normal_iteratorINS6_10device_ptrIjEEEESG_NS6_16discard_iteratorINS6_11use_defaultEEESG_PmS8_NS6_8equal_toIjEEEE10hipError_tPvRmT2_T3_mT4_T5_T6_T7_T8_P12ihipStream_tbENKUlT_T0_E_clISt17integral_constantIbLb1EES13_IbLb0EEEEDaSZ_S10_EUlSZ_E_NS1_11comp_targetILNS1_3genE8ELNS1_11target_archE1030ELNS1_3gpuE2ELNS1_3repE0EEENS1_30default_config_static_selectorELNS0_4arch9wavefront6targetE1EEEvT1_ ; -- Begin function _ZN7rocprim17ROCPRIM_400000_NS6detail17trampoline_kernelINS0_14default_configENS1_29reduce_by_key_config_selectorIjjN6thrust23THRUST_200600_302600_NS4plusIjEEEEZZNS1_33reduce_by_key_impl_wrapped_configILNS1_25lookback_scan_determinismE0ES3_S9_NS6_6detail15normal_iteratorINS6_10device_ptrIjEEEESG_NS6_16discard_iteratorINS6_11use_defaultEEESG_PmS8_NS6_8equal_toIjEEEE10hipError_tPvRmT2_T3_mT4_T5_T6_T7_T8_P12ihipStream_tbENKUlT_T0_E_clISt17integral_constantIbLb1EES13_IbLb0EEEEDaSZ_S10_EUlSZ_E_NS1_11comp_targetILNS1_3genE8ELNS1_11target_archE1030ELNS1_3gpuE2ELNS1_3repE0EEENS1_30default_config_static_selectorELNS0_4arch9wavefront6targetE1EEEvT1_
	.globl	_ZN7rocprim17ROCPRIM_400000_NS6detail17trampoline_kernelINS0_14default_configENS1_29reduce_by_key_config_selectorIjjN6thrust23THRUST_200600_302600_NS4plusIjEEEEZZNS1_33reduce_by_key_impl_wrapped_configILNS1_25lookback_scan_determinismE0ES3_S9_NS6_6detail15normal_iteratorINS6_10device_ptrIjEEEESG_NS6_16discard_iteratorINS6_11use_defaultEEESG_PmS8_NS6_8equal_toIjEEEE10hipError_tPvRmT2_T3_mT4_T5_T6_T7_T8_P12ihipStream_tbENKUlT_T0_E_clISt17integral_constantIbLb1EES13_IbLb0EEEEDaSZ_S10_EUlSZ_E_NS1_11comp_targetILNS1_3genE8ELNS1_11target_archE1030ELNS1_3gpuE2ELNS1_3repE0EEENS1_30default_config_static_selectorELNS0_4arch9wavefront6targetE1EEEvT1_
	.p2align	8
	.type	_ZN7rocprim17ROCPRIM_400000_NS6detail17trampoline_kernelINS0_14default_configENS1_29reduce_by_key_config_selectorIjjN6thrust23THRUST_200600_302600_NS4plusIjEEEEZZNS1_33reduce_by_key_impl_wrapped_configILNS1_25lookback_scan_determinismE0ES3_S9_NS6_6detail15normal_iteratorINS6_10device_ptrIjEEEESG_NS6_16discard_iteratorINS6_11use_defaultEEESG_PmS8_NS6_8equal_toIjEEEE10hipError_tPvRmT2_T3_mT4_T5_T6_T7_T8_P12ihipStream_tbENKUlT_T0_E_clISt17integral_constantIbLb1EES13_IbLb0EEEEDaSZ_S10_EUlSZ_E_NS1_11comp_targetILNS1_3genE8ELNS1_11target_archE1030ELNS1_3gpuE2ELNS1_3repE0EEENS1_30default_config_static_selectorELNS0_4arch9wavefront6targetE1EEEvT1_,@function
_ZN7rocprim17ROCPRIM_400000_NS6detail17trampoline_kernelINS0_14default_configENS1_29reduce_by_key_config_selectorIjjN6thrust23THRUST_200600_302600_NS4plusIjEEEEZZNS1_33reduce_by_key_impl_wrapped_configILNS1_25lookback_scan_determinismE0ES3_S9_NS6_6detail15normal_iteratorINS6_10device_ptrIjEEEESG_NS6_16discard_iteratorINS6_11use_defaultEEESG_PmS8_NS6_8equal_toIjEEEE10hipError_tPvRmT2_T3_mT4_T5_T6_T7_T8_P12ihipStream_tbENKUlT_T0_E_clISt17integral_constantIbLb1EES13_IbLb0EEEEDaSZ_S10_EUlSZ_E_NS1_11comp_targetILNS1_3genE8ELNS1_11target_archE1030ELNS1_3gpuE2ELNS1_3repE0EEENS1_30default_config_static_selectorELNS0_4arch9wavefront6targetE1EEEvT1_: ; @_ZN7rocprim17ROCPRIM_400000_NS6detail17trampoline_kernelINS0_14default_configENS1_29reduce_by_key_config_selectorIjjN6thrust23THRUST_200600_302600_NS4plusIjEEEEZZNS1_33reduce_by_key_impl_wrapped_configILNS1_25lookback_scan_determinismE0ES3_S9_NS6_6detail15normal_iteratorINS6_10device_ptrIjEEEESG_NS6_16discard_iteratorINS6_11use_defaultEEESG_PmS8_NS6_8equal_toIjEEEE10hipError_tPvRmT2_T3_mT4_T5_T6_T7_T8_P12ihipStream_tbENKUlT_T0_E_clISt17integral_constantIbLb1EES13_IbLb0EEEEDaSZ_S10_EUlSZ_E_NS1_11comp_targetILNS1_3genE8ELNS1_11target_archE1030ELNS1_3gpuE2ELNS1_3repE0EEENS1_30default_config_static_selectorELNS0_4arch9wavefront6targetE1EEEvT1_
; %bb.0:
	.section	.rodata,"a",@progbits
	.p2align	6, 0x0
	.amdhsa_kernel _ZN7rocprim17ROCPRIM_400000_NS6detail17trampoline_kernelINS0_14default_configENS1_29reduce_by_key_config_selectorIjjN6thrust23THRUST_200600_302600_NS4plusIjEEEEZZNS1_33reduce_by_key_impl_wrapped_configILNS1_25lookback_scan_determinismE0ES3_S9_NS6_6detail15normal_iteratorINS6_10device_ptrIjEEEESG_NS6_16discard_iteratorINS6_11use_defaultEEESG_PmS8_NS6_8equal_toIjEEEE10hipError_tPvRmT2_T3_mT4_T5_T6_T7_T8_P12ihipStream_tbENKUlT_T0_E_clISt17integral_constantIbLb1EES13_IbLb0EEEEDaSZ_S10_EUlSZ_E_NS1_11comp_targetILNS1_3genE8ELNS1_11target_archE1030ELNS1_3gpuE2ELNS1_3repE0EEENS1_30default_config_static_selectorELNS0_4arch9wavefront6targetE1EEEvT1_
		.amdhsa_group_segment_fixed_size 0
		.amdhsa_private_segment_fixed_size 0
		.amdhsa_kernarg_size 128
		.amdhsa_user_sgpr_count 6
		.amdhsa_user_sgpr_private_segment_buffer 1
		.amdhsa_user_sgpr_dispatch_ptr 0
		.amdhsa_user_sgpr_queue_ptr 0
		.amdhsa_user_sgpr_kernarg_segment_ptr 1
		.amdhsa_user_sgpr_dispatch_id 0
		.amdhsa_user_sgpr_flat_scratch_init 0
		.amdhsa_user_sgpr_kernarg_preload_length 0
		.amdhsa_user_sgpr_kernarg_preload_offset 0
		.amdhsa_user_sgpr_private_segment_size 0
		.amdhsa_uses_dynamic_stack 0
		.amdhsa_system_sgpr_private_segment_wavefront_offset 0
		.amdhsa_system_sgpr_workgroup_id_x 1
		.amdhsa_system_sgpr_workgroup_id_y 0
		.amdhsa_system_sgpr_workgroup_id_z 0
		.amdhsa_system_sgpr_workgroup_info 0
		.amdhsa_system_vgpr_workitem_id 0
		.amdhsa_next_free_vgpr 1
		.amdhsa_next_free_sgpr 0
		.amdhsa_accum_offset 4
		.amdhsa_reserve_vcc 0
		.amdhsa_reserve_flat_scratch 0
		.amdhsa_float_round_mode_32 0
		.amdhsa_float_round_mode_16_64 0
		.amdhsa_float_denorm_mode_32 3
		.amdhsa_float_denorm_mode_16_64 3
		.amdhsa_dx10_clamp 1
		.amdhsa_ieee_mode 1
		.amdhsa_fp16_overflow 0
		.amdhsa_tg_split 0
		.amdhsa_exception_fp_ieee_invalid_op 0
		.amdhsa_exception_fp_denorm_src 0
		.amdhsa_exception_fp_ieee_div_zero 0
		.amdhsa_exception_fp_ieee_overflow 0
		.amdhsa_exception_fp_ieee_underflow 0
		.amdhsa_exception_fp_ieee_inexact 0
		.amdhsa_exception_int_div_zero 0
	.end_amdhsa_kernel
	.section	.text._ZN7rocprim17ROCPRIM_400000_NS6detail17trampoline_kernelINS0_14default_configENS1_29reduce_by_key_config_selectorIjjN6thrust23THRUST_200600_302600_NS4plusIjEEEEZZNS1_33reduce_by_key_impl_wrapped_configILNS1_25lookback_scan_determinismE0ES3_S9_NS6_6detail15normal_iteratorINS6_10device_ptrIjEEEESG_NS6_16discard_iteratorINS6_11use_defaultEEESG_PmS8_NS6_8equal_toIjEEEE10hipError_tPvRmT2_T3_mT4_T5_T6_T7_T8_P12ihipStream_tbENKUlT_T0_E_clISt17integral_constantIbLb1EES13_IbLb0EEEEDaSZ_S10_EUlSZ_E_NS1_11comp_targetILNS1_3genE8ELNS1_11target_archE1030ELNS1_3gpuE2ELNS1_3repE0EEENS1_30default_config_static_selectorELNS0_4arch9wavefront6targetE1EEEvT1_,"axG",@progbits,_ZN7rocprim17ROCPRIM_400000_NS6detail17trampoline_kernelINS0_14default_configENS1_29reduce_by_key_config_selectorIjjN6thrust23THRUST_200600_302600_NS4plusIjEEEEZZNS1_33reduce_by_key_impl_wrapped_configILNS1_25lookback_scan_determinismE0ES3_S9_NS6_6detail15normal_iteratorINS6_10device_ptrIjEEEESG_NS6_16discard_iteratorINS6_11use_defaultEEESG_PmS8_NS6_8equal_toIjEEEE10hipError_tPvRmT2_T3_mT4_T5_T6_T7_T8_P12ihipStream_tbENKUlT_T0_E_clISt17integral_constantIbLb1EES13_IbLb0EEEEDaSZ_S10_EUlSZ_E_NS1_11comp_targetILNS1_3genE8ELNS1_11target_archE1030ELNS1_3gpuE2ELNS1_3repE0EEENS1_30default_config_static_selectorELNS0_4arch9wavefront6targetE1EEEvT1_,comdat
.Lfunc_end939:
	.size	_ZN7rocprim17ROCPRIM_400000_NS6detail17trampoline_kernelINS0_14default_configENS1_29reduce_by_key_config_selectorIjjN6thrust23THRUST_200600_302600_NS4plusIjEEEEZZNS1_33reduce_by_key_impl_wrapped_configILNS1_25lookback_scan_determinismE0ES3_S9_NS6_6detail15normal_iteratorINS6_10device_ptrIjEEEESG_NS6_16discard_iteratorINS6_11use_defaultEEESG_PmS8_NS6_8equal_toIjEEEE10hipError_tPvRmT2_T3_mT4_T5_T6_T7_T8_P12ihipStream_tbENKUlT_T0_E_clISt17integral_constantIbLb1EES13_IbLb0EEEEDaSZ_S10_EUlSZ_E_NS1_11comp_targetILNS1_3genE8ELNS1_11target_archE1030ELNS1_3gpuE2ELNS1_3repE0EEENS1_30default_config_static_selectorELNS0_4arch9wavefront6targetE1EEEvT1_, .Lfunc_end939-_ZN7rocprim17ROCPRIM_400000_NS6detail17trampoline_kernelINS0_14default_configENS1_29reduce_by_key_config_selectorIjjN6thrust23THRUST_200600_302600_NS4plusIjEEEEZZNS1_33reduce_by_key_impl_wrapped_configILNS1_25lookback_scan_determinismE0ES3_S9_NS6_6detail15normal_iteratorINS6_10device_ptrIjEEEESG_NS6_16discard_iteratorINS6_11use_defaultEEESG_PmS8_NS6_8equal_toIjEEEE10hipError_tPvRmT2_T3_mT4_T5_T6_T7_T8_P12ihipStream_tbENKUlT_T0_E_clISt17integral_constantIbLb1EES13_IbLb0EEEEDaSZ_S10_EUlSZ_E_NS1_11comp_targetILNS1_3genE8ELNS1_11target_archE1030ELNS1_3gpuE2ELNS1_3repE0EEENS1_30default_config_static_selectorELNS0_4arch9wavefront6targetE1EEEvT1_
                                        ; -- End function
	.section	.AMDGPU.csdata,"",@progbits
; Kernel info:
; codeLenInByte = 0
; NumSgprs: 4
; NumVgprs: 0
; NumAgprs: 0
; TotalNumVgprs: 0
; ScratchSize: 0
; MemoryBound: 0
; FloatMode: 240
; IeeeMode: 1
; LDSByteSize: 0 bytes/workgroup (compile time only)
; SGPRBlocks: 0
; VGPRBlocks: 0
; NumSGPRsForWavesPerEU: 4
; NumVGPRsForWavesPerEU: 1
; AccumOffset: 4
; Occupancy: 8
; WaveLimiterHint : 0
; COMPUTE_PGM_RSRC2:SCRATCH_EN: 0
; COMPUTE_PGM_RSRC2:USER_SGPR: 6
; COMPUTE_PGM_RSRC2:TRAP_HANDLER: 0
; COMPUTE_PGM_RSRC2:TGID_X_EN: 1
; COMPUTE_PGM_RSRC2:TGID_Y_EN: 0
; COMPUTE_PGM_RSRC2:TGID_Z_EN: 0
; COMPUTE_PGM_RSRC2:TIDIG_COMP_CNT: 0
; COMPUTE_PGM_RSRC3_GFX90A:ACCUM_OFFSET: 0
; COMPUTE_PGM_RSRC3_GFX90A:TG_SPLIT: 0
	.section	.text._ZN7rocprim17ROCPRIM_400000_NS6detail17trampoline_kernelINS0_14default_configENS1_29reduce_by_key_config_selectorIjjN6thrust23THRUST_200600_302600_NS4plusIjEEEEZZNS1_33reduce_by_key_impl_wrapped_configILNS1_25lookback_scan_determinismE0ES3_S9_NS6_6detail15normal_iteratorINS6_10device_ptrIjEEEESG_NS6_16discard_iteratorINS6_11use_defaultEEESG_PmS8_NS6_8equal_toIjEEEE10hipError_tPvRmT2_T3_mT4_T5_T6_T7_T8_P12ihipStream_tbENKUlT_T0_E_clISt17integral_constantIbLb0EES13_IbLb1EEEEDaSZ_S10_EUlSZ_E_NS1_11comp_targetILNS1_3genE0ELNS1_11target_archE4294967295ELNS1_3gpuE0ELNS1_3repE0EEENS1_30default_config_static_selectorELNS0_4arch9wavefront6targetE1EEEvT1_,"axG",@progbits,_ZN7rocprim17ROCPRIM_400000_NS6detail17trampoline_kernelINS0_14default_configENS1_29reduce_by_key_config_selectorIjjN6thrust23THRUST_200600_302600_NS4plusIjEEEEZZNS1_33reduce_by_key_impl_wrapped_configILNS1_25lookback_scan_determinismE0ES3_S9_NS6_6detail15normal_iteratorINS6_10device_ptrIjEEEESG_NS6_16discard_iteratorINS6_11use_defaultEEESG_PmS8_NS6_8equal_toIjEEEE10hipError_tPvRmT2_T3_mT4_T5_T6_T7_T8_P12ihipStream_tbENKUlT_T0_E_clISt17integral_constantIbLb0EES13_IbLb1EEEEDaSZ_S10_EUlSZ_E_NS1_11comp_targetILNS1_3genE0ELNS1_11target_archE4294967295ELNS1_3gpuE0ELNS1_3repE0EEENS1_30default_config_static_selectorELNS0_4arch9wavefront6targetE1EEEvT1_,comdat
	.protected	_ZN7rocprim17ROCPRIM_400000_NS6detail17trampoline_kernelINS0_14default_configENS1_29reduce_by_key_config_selectorIjjN6thrust23THRUST_200600_302600_NS4plusIjEEEEZZNS1_33reduce_by_key_impl_wrapped_configILNS1_25lookback_scan_determinismE0ES3_S9_NS6_6detail15normal_iteratorINS6_10device_ptrIjEEEESG_NS6_16discard_iteratorINS6_11use_defaultEEESG_PmS8_NS6_8equal_toIjEEEE10hipError_tPvRmT2_T3_mT4_T5_T6_T7_T8_P12ihipStream_tbENKUlT_T0_E_clISt17integral_constantIbLb0EES13_IbLb1EEEEDaSZ_S10_EUlSZ_E_NS1_11comp_targetILNS1_3genE0ELNS1_11target_archE4294967295ELNS1_3gpuE0ELNS1_3repE0EEENS1_30default_config_static_selectorELNS0_4arch9wavefront6targetE1EEEvT1_ ; -- Begin function _ZN7rocprim17ROCPRIM_400000_NS6detail17trampoline_kernelINS0_14default_configENS1_29reduce_by_key_config_selectorIjjN6thrust23THRUST_200600_302600_NS4plusIjEEEEZZNS1_33reduce_by_key_impl_wrapped_configILNS1_25lookback_scan_determinismE0ES3_S9_NS6_6detail15normal_iteratorINS6_10device_ptrIjEEEESG_NS6_16discard_iteratorINS6_11use_defaultEEESG_PmS8_NS6_8equal_toIjEEEE10hipError_tPvRmT2_T3_mT4_T5_T6_T7_T8_P12ihipStream_tbENKUlT_T0_E_clISt17integral_constantIbLb0EES13_IbLb1EEEEDaSZ_S10_EUlSZ_E_NS1_11comp_targetILNS1_3genE0ELNS1_11target_archE4294967295ELNS1_3gpuE0ELNS1_3repE0EEENS1_30default_config_static_selectorELNS0_4arch9wavefront6targetE1EEEvT1_
	.globl	_ZN7rocprim17ROCPRIM_400000_NS6detail17trampoline_kernelINS0_14default_configENS1_29reduce_by_key_config_selectorIjjN6thrust23THRUST_200600_302600_NS4plusIjEEEEZZNS1_33reduce_by_key_impl_wrapped_configILNS1_25lookback_scan_determinismE0ES3_S9_NS6_6detail15normal_iteratorINS6_10device_ptrIjEEEESG_NS6_16discard_iteratorINS6_11use_defaultEEESG_PmS8_NS6_8equal_toIjEEEE10hipError_tPvRmT2_T3_mT4_T5_T6_T7_T8_P12ihipStream_tbENKUlT_T0_E_clISt17integral_constantIbLb0EES13_IbLb1EEEEDaSZ_S10_EUlSZ_E_NS1_11comp_targetILNS1_3genE0ELNS1_11target_archE4294967295ELNS1_3gpuE0ELNS1_3repE0EEENS1_30default_config_static_selectorELNS0_4arch9wavefront6targetE1EEEvT1_
	.p2align	8
	.type	_ZN7rocprim17ROCPRIM_400000_NS6detail17trampoline_kernelINS0_14default_configENS1_29reduce_by_key_config_selectorIjjN6thrust23THRUST_200600_302600_NS4plusIjEEEEZZNS1_33reduce_by_key_impl_wrapped_configILNS1_25lookback_scan_determinismE0ES3_S9_NS6_6detail15normal_iteratorINS6_10device_ptrIjEEEESG_NS6_16discard_iteratorINS6_11use_defaultEEESG_PmS8_NS6_8equal_toIjEEEE10hipError_tPvRmT2_T3_mT4_T5_T6_T7_T8_P12ihipStream_tbENKUlT_T0_E_clISt17integral_constantIbLb0EES13_IbLb1EEEEDaSZ_S10_EUlSZ_E_NS1_11comp_targetILNS1_3genE0ELNS1_11target_archE4294967295ELNS1_3gpuE0ELNS1_3repE0EEENS1_30default_config_static_selectorELNS0_4arch9wavefront6targetE1EEEvT1_,@function
_ZN7rocprim17ROCPRIM_400000_NS6detail17trampoline_kernelINS0_14default_configENS1_29reduce_by_key_config_selectorIjjN6thrust23THRUST_200600_302600_NS4plusIjEEEEZZNS1_33reduce_by_key_impl_wrapped_configILNS1_25lookback_scan_determinismE0ES3_S9_NS6_6detail15normal_iteratorINS6_10device_ptrIjEEEESG_NS6_16discard_iteratorINS6_11use_defaultEEESG_PmS8_NS6_8equal_toIjEEEE10hipError_tPvRmT2_T3_mT4_T5_T6_T7_T8_P12ihipStream_tbENKUlT_T0_E_clISt17integral_constantIbLb0EES13_IbLb1EEEEDaSZ_S10_EUlSZ_E_NS1_11comp_targetILNS1_3genE0ELNS1_11target_archE4294967295ELNS1_3gpuE0ELNS1_3repE0EEENS1_30default_config_static_selectorELNS0_4arch9wavefront6targetE1EEEvT1_: ; @_ZN7rocprim17ROCPRIM_400000_NS6detail17trampoline_kernelINS0_14default_configENS1_29reduce_by_key_config_selectorIjjN6thrust23THRUST_200600_302600_NS4plusIjEEEEZZNS1_33reduce_by_key_impl_wrapped_configILNS1_25lookback_scan_determinismE0ES3_S9_NS6_6detail15normal_iteratorINS6_10device_ptrIjEEEESG_NS6_16discard_iteratorINS6_11use_defaultEEESG_PmS8_NS6_8equal_toIjEEEE10hipError_tPvRmT2_T3_mT4_T5_T6_T7_T8_P12ihipStream_tbENKUlT_T0_E_clISt17integral_constantIbLb0EES13_IbLb1EEEEDaSZ_S10_EUlSZ_E_NS1_11comp_targetILNS1_3genE0ELNS1_11target_archE4294967295ELNS1_3gpuE0ELNS1_3repE0EEENS1_30default_config_static_selectorELNS0_4arch9wavefront6targetE1EEEvT1_
; %bb.0:
	.section	.rodata,"a",@progbits
	.p2align	6, 0x0
	.amdhsa_kernel _ZN7rocprim17ROCPRIM_400000_NS6detail17trampoline_kernelINS0_14default_configENS1_29reduce_by_key_config_selectorIjjN6thrust23THRUST_200600_302600_NS4plusIjEEEEZZNS1_33reduce_by_key_impl_wrapped_configILNS1_25lookback_scan_determinismE0ES3_S9_NS6_6detail15normal_iteratorINS6_10device_ptrIjEEEESG_NS6_16discard_iteratorINS6_11use_defaultEEESG_PmS8_NS6_8equal_toIjEEEE10hipError_tPvRmT2_T3_mT4_T5_T6_T7_T8_P12ihipStream_tbENKUlT_T0_E_clISt17integral_constantIbLb0EES13_IbLb1EEEEDaSZ_S10_EUlSZ_E_NS1_11comp_targetILNS1_3genE0ELNS1_11target_archE4294967295ELNS1_3gpuE0ELNS1_3repE0EEENS1_30default_config_static_selectorELNS0_4arch9wavefront6targetE1EEEvT1_
		.amdhsa_group_segment_fixed_size 0
		.amdhsa_private_segment_fixed_size 0
		.amdhsa_kernarg_size 128
		.amdhsa_user_sgpr_count 6
		.amdhsa_user_sgpr_private_segment_buffer 1
		.amdhsa_user_sgpr_dispatch_ptr 0
		.amdhsa_user_sgpr_queue_ptr 0
		.amdhsa_user_sgpr_kernarg_segment_ptr 1
		.amdhsa_user_sgpr_dispatch_id 0
		.amdhsa_user_sgpr_flat_scratch_init 0
		.amdhsa_user_sgpr_kernarg_preload_length 0
		.amdhsa_user_sgpr_kernarg_preload_offset 0
		.amdhsa_user_sgpr_private_segment_size 0
		.amdhsa_uses_dynamic_stack 0
		.amdhsa_system_sgpr_private_segment_wavefront_offset 0
		.amdhsa_system_sgpr_workgroup_id_x 1
		.amdhsa_system_sgpr_workgroup_id_y 0
		.amdhsa_system_sgpr_workgroup_id_z 0
		.amdhsa_system_sgpr_workgroup_info 0
		.amdhsa_system_vgpr_workitem_id 0
		.amdhsa_next_free_vgpr 1
		.amdhsa_next_free_sgpr 0
		.amdhsa_accum_offset 4
		.amdhsa_reserve_vcc 0
		.amdhsa_reserve_flat_scratch 0
		.amdhsa_float_round_mode_32 0
		.amdhsa_float_round_mode_16_64 0
		.amdhsa_float_denorm_mode_32 3
		.amdhsa_float_denorm_mode_16_64 3
		.amdhsa_dx10_clamp 1
		.amdhsa_ieee_mode 1
		.amdhsa_fp16_overflow 0
		.amdhsa_tg_split 0
		.amdhsa_exception_fp_ieee_invalid_op 0
		.amdhsa_exception_fp_denorm_src 0
		.amdhsa_exception_fp_ieee_div_zero 0
		.amdhsa_exception_fp_ieee_overflow 0
		.amdhsa_exception_fp_ieee_underflow 0
		.amdhsa_exception_fp_ieee_inexact 0
		.amdhsa_exception_int_div_zero 0
	.end_amdhsa_kernel
	.section	.text._ZN7rocprim17ROCPRIM_400000_NS6detail17trampoline_kernelINS0_14default_configENS1_29reduce_by_key_config_selectorIjjN6thrust23THRUST_200600_302600_NS4plusIjEEEEZZNS1_33reduce_by_key_impl_wrapped_configILNS1_25lookback_scan_determinismE0ES3_S9_NS6_6detail15normal_iteratorINS6_10device_ptrIjEEEESG_NS6_16discard_iteratorINS6_11use_defaultEEESG_PmS8_NS6_8equal_toIjEEEE10hipError_tPvRmT2_T3_mT4_T5_T6_T7_T8_P12ihipStream_tbENKUlT_T0_E_clISt17integral_constantIbLb0EES13_IbLb1EEEEDaSZ_S10_EUlSZ_E_NS1_11comp_targetILNS1_3genE0ELNS1_11target_archE4294967295ELNS1_3gpuE0ELNS1_3repE0EEENS1_30default_config_static_selectorELNS0_4arch9wavefront6targetE1EEEvT1_,"axG",@progbits,_ZN7rocprim17ROCPRIM_400000_NS6detail17trampoline_kernelINS0_14default_configENS1_29reduce_by_key_config_selectorIjjN6thrust23THRUST_200600_302600_NS4plusIjEEEEZZNS1_33reduce_by_key_impl_wrapped_configILNS1_25lookback_scan_determinismE0ES3_S9_NS6_6detail15normal_iteratorINS6_10device_ptrIjEEEESG_NS6_16discard_iteratorINS6_11use_defaultEEESG_PmS8_NS6_8equal_toIjEEEE10hipError_tPvRmT2_T3_mT4_T5_T6_T7_T8_P12ihipStream_tbENKUlT_T0_E_clISt17integral_constantIbLb0EES13_IbLb1EEEEDaSZ_S10_EUlSZ_E_NS1_11comp_targetILNS1_3genE0ELNS1_11target_archE4294967295ELNS1_3gpuE0ELNS1_3repE0EEENS1_30default_config_static_selectorELNS0_4arch9wavefront6targetE1EEEvT1_,comdat
.Lfunc_end940:
	.size	_ZN7rocprim17ROCPRIM_400000_NS6detail17trampoline_kernelINS0_14default_configENS1_29reduce_by_key_config_selectorIjjN6thrust23THRUST_200600_302600_NS4plusIjEEEEZZNS1_33reduce_by_key_impl_wrapped_configILNS1_25lookback_scan_determinismE0ES3_S9_NS6_6detail15normal_iteratorINS6_10device_ptrIjEEEESG_NS6_16discard_iteratorINS6_11use_defaultEEESG_PmS8_NS6_8equal_toIjEEEE10hipError_tPvRmT2_T3_mT4_T5_T6_T7_T8_P12ihipStream_tbENKUlT_T0_E_clISt17integral_constantIbLb0EES13_IbLb1EEEEDaSZ_S10_EUlSZ_E_NS1_11comp_targetILNS1_3genE0ELNS1_11target_archE4294967295ELNS1_3gpuE0ELNS1_3repE0EEENS1_30default_config_static_selectorELNS0_4arch9wavefront6targetE1EEEvT1_, .Lfunc_end940-_ZN7rocprim17ROCPRIM_400000_NS6detail17trampoline_kernelINS0_14default_configENS1_29reduce_by_key_config_selectorIjjN6thrust23THRUST_200600_302600_NS4plusIjEEEEZZNS1_33reduce_by_key_impl_wrapped_configILNS1_25lookback_scan_determinismE0ES3_S9_NS6_6detail15normal_iteratorINS6_10device_ptrIjEEEESG_NS6_16discard_iteratorINS6_11use_defaultEEESG_PmS8_NS6_8equal_toIjEEEE10hipError_tPvRmT2_T3_mT4_T5_T6_T7_T8_P12ihipStream_tbENKUlT_T0_E_clISt17integral_constantIbLb0EES13_IbLb1EEEEDaSZ_S10_EUlSZ_E_NS1_11comp_targetILNS1_3genE0ELNS1_11target_archE4294967295ELNS1_3gpuE0ELNS1_3repE0EEENS1_30default_config_static_selectorELNS0_4arch9wavefront6targetE1EEEvT1_
                                        ; -- End function
	.section	.AMDGPU.csdata,"",@progbits
; Kernel info:
; codeLenInByte = 0
; NumSgprs: 4
; NumVgprs: 0
; NumAgprs: 0
; TotalNumVgprs: 0
; ScratchSize: 0
; MemoryBound: 0
; FloatMode: 240
; IeeeMode: 1
; LDSByteSize: 0 bytes/workgroup (compile time only)
; SGPRBlocks: 0
; VGPRBlocks: 0
; NumSGPRsForWavesPerEU: 4
; NumVGPRsForWavesPerEU: 1
; AccumOffset: 4
; Occupancy: 8
; WaveLimiterHint : 0
; COMPUTE_PGM_RSRC2:SCRATCH_EN: 0
; COMPUTE_PGM_RSRC2:USER_SGPR: 6
; COMPUTE_PGM_RSRC2:TRAP_HANDLER: 0
; COMPUTE_PGM_RSRC2:TGID_X_EN: 1
; COMPUTE_PGM_RSRC2:TGID_Y_EN: 0
; COMPUTE_PGM_RSRC2:TGID_Z_EN: 0
; COMPUTE_PGM_RSRC2:TIDIG_COMP_CNT: 0
; COMPUTE_PGM_RSRC3_GFX90A:ACCUM_OFFSET: 0
; COMPUTE_PGM_RSRC3_GFX90A:TG_SPLIT: 0
	.section	.text._ZN7rocprim17ROCPRIM_400000_NS6detail17trampoline_kernelINS0_14default_configENS1_29reduce_by_key_config_selectorIjjN6thrust23THRUST_200600_302600_NS4plusIjEEEEZZNS1_33reduce_by_key_impl_wrapped_configILNS1_25lookback_scan_determinismE0ES3_S9_NS6_6detail15normal_iteratorINS6_10device_ptrIjEEEESG_NS6_16discard_iteratorINS6_11use_defaultEEESG_PmS8_NS6_8equal_toIjEEEE10hipError_tPvRmT2_T3_mT4_T5_T6_T7_T8_P12ihipStream_tbENKUlT_T0_E_clISt17integral_constantIbLb0EES13_IbLb1EEEEDaSZ_S10_EUlSZ_E_NS1_11comp_targetILNS1_3genE5ELNS1_11target_archE942ELNS1_3gpuE9ELNS1_3repE0EEENS1_30default_config_static_selectorELNS0_4arch9wavefront6targetE1EEEvT1_,"axG",@progbits,_ZN7rocprim17ROCPRIM_400000_NS6detail17trampoline_kernelINS0_14default_configENS1_29reduce_by_key_config_selectorIjjN6thrust23THRUST_200600_302600_NS4plusIjEEEEZZNS1_33reduce_by_key_impl_wrapped_configILNS1_25lookback_scan_determinismE0ES3_S9_NS6_6detail15normal_iteratorINS6_10device_ptrIjEEEESG_NS6_16discard_iteratorINS6_11use_defaultEEESG_PmS8_NS6_8equal_toIjEEEE10hipError_tPvRmT2_T3_mT4_T5_T6_T7_T8_P12ihipStream_tbENKUlT_T0_E_clISt17integral_constantIbLb0EES13_IbLb1EEEEDaSZ_S10_EUlSZ_E_NS1_11comp_targetILNS1_3genE5ELNS1_11target_archE942ELNS1_3gpuE9ELNS1_3repE0EEENS1_30default_config_static_selectorELNS0_4arch9wavefront6targetE1EEEvT1_,comdat
	.protected	_ZN7rocprim17ROCPRIM_400000_NS6detail17trampoline_kernelINS0_14default_configENS1_29reduce_by_key_config_selectorIjjN6thrust23THRUST_200600_302600_NS4plusIjEEEEZZNS1_33reduce_by_key_impl_wrapped_configILNS1_25lookback_scan_determinismE0ES3_S9_NS6_6detail15normal_iteratorINS6_10device_ptrIjEEEESG_NS6_16discard_iteratorINS6_11use_defaultEEESG_PmS8_NS6_8equal_toIjEEEE10hipError_tPvRmT2_T3_mT4_T5_T6_T7_T8_P12ihipStream_tbENKUlT_T0_E_clISt17integral_constantIbLb0EES13_IbLb1EEEEDaSZ_S10_EUlSZ_E_NS1_11comp_targetILNS1_3genE5ELNS1_11target_archE942ELNS1_3gpuE9ELNS1_3repE0EEENS1_30default_config_static_selectorELNS0_4arch9wavefront6targetE1EEEvT1_ ; -- Begin function _ZN7rocprim17ROCPRIM_400000_NS6detail17trampoline_kernelINS0_14default_configENS1_29reduce_by_key_config_selectorIjjN6thrust23THRUST_200600_302600_NS4plusIjEEEEZZNS1_33reduce_by_key_impl_wrapped_configILNS1_25lookback_scan_determinismE0ES3_S9_NS6_6detail15normal_iteratorINS6_10device_ptrIjEEEESG_NS6_16discard_iteratorINS6_11use_defaultEEESG_PmS8_NS6_8equal_toIjEEEE10hipError_tPvRmT2_T3_mT4_T5_T6_T7_T8_P12ihipStream_tbENKUlT_T0_E_clISt17integral_constantIbLb0EES13_IbLb1EEEEDaSZ_S10_EUlSZ_E_NS1_11comp_targetILNS1_3genE5ELNS1_11target_archE942ELNS1_3gpuE9ELNS1_3repE0EEENS1_30default_config_static_selectorELNS0_4arch9wavefront6targetE1EEEvT1_
	.globl	_ZN7rocprim17ROCPRIM_400000_NS6detail17trampoline_kernelINS0_14default_configENS1_29reduce_by_key_config_selectorIjjN6thrust23THRUST_200600_302600_NS4plusIjEEEEZZNS1_33reduce_by_key_impl_wrapped_configILNS1_25lookback_scan_determinismE0ES3_S9_NS6_6detail15normal_iteratorINS6_10device_ptrIjEEEESG_NS6_16discard_iteratorINS6_11use_defaultEEESG_PmS8_NS6_8equal_toIjEEEE10hipError_tPvRmT2_T3_mT4_T5_T6_T7_T8_P12ihipStream_tbENKUlT_T0_E_clISt17integral_constantIbLb0EES13_IbLb1EEEEDaSZ_S10_EUlSZ_E_NS1_11comp_targetILNS1_3genE5ELNS1_11target_archE942ELNS1_3gpuE9ELNS1_3repE0EEENS1_30default_config_static_selectorELNS0_4arch9wavefront6targetE1EEEvT1_
	.p2align	8
	.type	_ZN7rocprim17ROCPRIM_400000_NS6detail17trampoline_kernelINS0_14default_configENS1_29reduce_by_key_config_selectorIjjN6thrust23THRUST_200600_302600_NS4plusIjEEEEZZNS1_33reduce_by_key_impl_wrapped_configILNS1_25lookback_scan_determinismE0ES3_S9_NS6_6detail15normal_iteratorINS6_10device_ptrIjEEEESG_NS6_16discard_iteratorINS6_11use_defaultEEESG_PmS8_NS6_8equal_toIjEEEE10hipError_tPvRmT2_T3_mT4_T5_T6_T7_T8_P12ihipStream_tbENKUlT_T0_E_clISt17integral_constantIbLb0EES13_IbLb1EEEEDaSZ_S10_EUlSZ_E_NS1_11comp_targetILNS1_3genE5ELNS1_11target_archE942ELNS1_3gpuE9ELNS1_3repE0EEENS1_30default_config_static_selectorELNS0_4arch9wavefront6targetE1EEEvT1_,@function
_ZN7rocprim17ROCPRIM_400000_NS6detail17trampoline_kernelINS0_14default_configENS1_29reduce_by_key_config_selectorIjjN6thrust23THRUST_200600_302600_NS4plusIjEEEEZZNS1_33reduce_by_key_impl_wrapped_configILNS1_25lookback_scan_determinismE0ES3_S9_NS6_6detail15normal_iteratorINS6_10device_ptrIjEEEESG_NS6_16discard_iteratorINS6_11use_defaultEEESG_PmS8_NS6_8equal_toIjEEEE10hipError_tPvRmT2_T3_mT4_T5_T6_T7_T8_P12ihipStream_tbENKUlT_T0_E_clISt17integral_constantIbLb0EES13_IbLb1EEEEDaSZ_S10_EUlSZ_E_NS1_11comp_targetILNS1_3genE5ELNS1_11target_archE942ELNS1_3gpuE9ELNS1_3repE0EEENS1_30default_config_static_selectorELNS0_4arch9wavefront6targetE1EEEvT1_: ; @_ZN7rocprim17ROCPRIM_400000_NS6detail17trampoline_kernelINS0_14default_configENS1_29reduce_by_key_config_selectorIjjN6thrust23THRUST_200600_302600_NS4plusIjEEEEZZNS1_33reduce_by_key_impl_wrapped_configILNS1_25lookback_scan_determinismE0ES3_S9_NS6_6detail15normal_iteratorINS6_10device_ptrIjEEEESG_NS6_16discard_iteratorINS6_11use_defaultEEESG_PmS8_NS6_8equal_toIjEEEE10hipError_tPvRmT2_T3_mT4_T5_T6_T7_T8_P12ihipStream_tbENKUlT_T0_E_clISt17integral_constantIbLb0EES13_IbLb1EEEEDaSZ_S10_EUlSZ_E_NS1_11comp_targetILNS1_3genE5ELNS1_11target_archE942ELNS1_3gpuE9ELNS1_3repE0EEENS1_30default_config_static_selectorELNS0_4arch9wavefront6targetE1EEEvT1_
; %bb.0:
	.section	.rodata,"a",@progbits
	.p2align	6, 0x0
	.amdhsa_kernel _ZN7rocprim17ROCPRIM_400000_NS6detail17trampoline_kernelINS0_14default_configENS1_29reduce_by_key_config_selectorIjjN6thrust23THRUST_200600_302600_NS4plusIjEEEEZZNS1_33reduce_by_key_impl_wrapped_configILNS1_25lookback_scan_determinismE0ES3_S9_NS6_6detail15normal_iteratorINS6_10device_ptrIjEEEESG_NS6_16discard_iteratorINS6_11use_defaultEEESG_PmS8_NS6_8equal_toIjEEEE10hipError_tPvRmT2_T3_mT4_T5_T6_T7_T8_P12ihipStream_tbENKUlT_T0_E_clISt17integral_constantIbLb0EES13_IbLb1EEEEDaSZ_S10_EUlSZ_E_NS1_11comp_targetILNS1_3genE5ELNS1_11target_archE942ELNS1_3gpuE9ELNS1_3repE0EEENS1_30default_config_static_selectorELNS0_4arch9wavefront6targetE1EEEvT1_
		.amdhsa_group_segment_fixed_size 0
		.amdhsa_private_segment_fixed_size 0
		.amdhsa_kernarg_size 128
		.amdhsa_user_sgpr_count 6
		.amdhsa_user_sgpr_private_segment_buffer 1
		.amdhsa_user_sgpr_dispatch_ptr 0
		.amdhsa_user_sgpr_queue_ptr 0
		.amdhsa_user_sgpr_kernarg_segment_ptr 1
		.amdhsa_user_sgpr_dispatch_id 0
		.amdhsa_user_sgpr_flat_scratch_init 0
		.amdhsa_user_sgpr_kernarg_preload_length 0
		.amdhsa_user_sgpr_kernarg_preload_offset 0
		.amdhsa_user_sgpr_private_segment_size 0
		.amdhsa_uses_dynamic_stack 0
		.amdhsa_system_sgpr_private_segment_wavefront_offset 0
		.amdhsa_system_sgpr_workgroup_id_x 1
		.amdhsa_system_sgpr_workgroup_id_y 0
		.amdhsa_system_sgpr_workgroup_id_z 0
		.amdhsa_system_sgpr_workgroup_info 0
		.amdhsa_system_vgpr_workitem_id 0
		.amdhsa_next_free_vgpr 1
		.amdhsa_next_free_sgpr 0
		.amdhsa_accum_offset 4
		.amdhsa_reserve_vcc 0
		.amdhsa_reserve_flat_scratch 0
		.amdhsa_float_round_mode_32 0
		.amdhsa_float_round_mode_16_64 0
		.amdhsa_float_denorm_mode_32 3
		.amdhsa_float_denorm_mode_16_64 3
		.amdhsa_dx10_clamp 1
		.amdhsa_ieee_mode 1
		.amdhsa_fp16_overflow 0
		.amdhsa_tg_split 0
		.amdhsa_exception_fp_ieee_invalid_op 0
		.amdhsa_exception_fp_denorm_src 0
		.amdhsa_exception_fp_ieee_div_zero 0
		.amdhsa_exception_fp_ieee_overflow 0
		.amdhsa_exception_fp_ieee_underflow 0
		.amdhsa_exception_fp_ieee_inexact 0
		.amdhsa_exception_int_div_zero 0
	.end_amdhsa_kernel
	.section	.text._ZN7rocprim17ROCPRIM_400000_NS6detail17trampoline_kernelINS0_14default_configENS1_29reduce_by_key_config_selectorIjjN6thrust23THRUST_200600_302600_NS4plusIjEEEEZZNS1_33reduce_by_key_impl_wrapped_configILNS1_25lookback_scan_determinismE0ES3_S9_NS6_6detail15normal_iteratorINS6_10device_ptrIjEEEESG_NS6_16discard_iteratorINS6_11use_defaultEEESG_PmS8_NS6_8equal_toIjEEEE10hipError_tPvRmT2_T3_mT4_T5_T6_T7_T8_P12ihipStream_tbENKUlT_T0_E_clISt17integral_constantIbLb0EES13_IbLb1EEEEDaSZ_S10_EUlSZ_E_NS1_11comp_targetILNS1_3genE5ELNS1_11target_archE942ELNS1_3gpuE9ELNS1_3repE0EEENS1_30default_config_static_selectorELNS0_4arch9wavefront6targetE1EEEvT1_,"axG",@progbits,_ZN7rocprim17ROCPRIM_400000_NS6detail17trampoline_kernelINS0_14default_configENS1_29reduce_by_key_config_selectorIjjN6thrust23THRUST_200600_302600_NS4plusIjEEEEZZNS1_33reduce_by_key_impl_wrapped_configILNS1_25lookback_scan_determinismE0ES3_S9_NS6_6detail15normal_iteratorINS6_10device_ptrIjEEEESG_NS6_16discard_iteratorINS6_11use_defaultEEESG_PmS8_NS6_8equal_toIjEEEE10hipError_tPvRmT2_T3_mT4_T5_T6_T7_T8_P12ihipStream_tbENKUlT_T0_E_clISt17integral_constantIbLb0EES13_IbLb1EEEEDaSZ_S10_EUlSZ_E_NS1_11comp_targetILNS1_3genE5ELNS1_11target_archE942ELNS1_3gpuE9ELNS1_3repE0EEENS1_30default_config_static_selectorELNS0_4arch9wavefront6targetE1EEEvT1_,comdat
.Lfunc_end941:
	.size	_ZN7rocprim17ROCPRIM_400000_NS6detail17trampoline_kernelINS0_14default_configENS1_29reduce_by_key_config_selectorIjjN6thrust23THRUST_200600_302600_NS4plusIjEEEEZZNS1_33reduce_by_key_impl_wrapped_configILNS1_25lookback_scan_determinismE0ES3_S9_NS6_6detail15normal_iteratorINS6_10device_ptrIjEEEESG_NS6_16discard_iteratorINS6_11use_defaultEEESG_PmS8_NS6_8equal_toIjEEEE10hipError_tPvRmT2_T3_mT4_T5_T6_T7_T8_P12ihipStream_tbENKUlT_T0_E_clISt17integral_constantIbLb0EES13_IbLb1EEEEDaSZ_S10_EUlSZ_E_NS1_11comp_targetILNS1_3genE5ELNS1_11target_archE942ELNS1_3gpuE9ELNS1_3repE0EEENS1_30default_config_static_selectorELNS0_4arch9wavefront6targetE1EEEvT1_, .Lfunc_end941-_ZN7rocprim17ROCPRIM_400000_NS6detail17trampoline_kernelINS0_14default_configENS1_29reduce_by_key_config_selectorIjjN6thrust23THRUST_200600_302600_NS4plusIjEEEEZZNS1_33reduce_by_key_impl_wrapped_configILNS1_25lookback_scan_determinismE0ES3_S9_NS6_6detail15normal_iteratorINS6_10device_ptrIjEEEESG_NS6_16discard_iteratorINS6_11use_defaultEEESG_PmS8_NS6_8equal_toIjEEEE10hipError_tPvRmT2_T3_mT4_T5_T6_T7_T8_P12ihipStream_tbENKUlT_T0_E_clISt17integral_constantIbLb0EES13_IbLb1EEEEDaSZ_S10_EUlSZ_E_NS1_11comp_targetILNS1_3genE5ELNS1_11target_archE942ELNS1_3gpuE9ELNS1_3repE0EEENS1_30default_config_static_selectorELNS0_4arch9wavefront6targetE1EEEvT1_
                                        ; -- End function
	.section	.AMDGPU.csdata,"",@progbits
; Kernel info:
; codeLenInByte = 0
; NumSgprs: 4
; NumVgprs: 0
; NumAgprs: 0
; TotalNumVgprs: 0
; ScratchSize: 0
; MemoryBound: 0
; FloatMode: 240
; IeeeMode: 1
; LDSByteSize: 0 bytes/workgroup (compile time only)
; SGPRBlocks: 0
; VGPRBlocks: 0
; NumSGPRsForWavesPerEU: 4
; NumVGPRsForWavesPerEU: 1
; AccumOffset: 4
; Occupancy: 8
; WaveLimiterHint : 0
; COMPUTE_PGM_RSRC2:SCRATCH_EN: 0
; COMPUTE_PGM_RSRC2:USER_SGPR: 6
; COMPUTE_PGM_RSRC2:TRAP_HANDLER: 0
; COMPUTE_PGM_RSRC2:TGID_X_EN: 1
; COMPUTE_PGM_RSRC2:TGID_Y_EN: 0
; COMPUTE_PGM_RSRC2:TGID_Z_EN: 0
; COMPUTE_PGM_RSRC2:TIDIG_COMP_CNT: 0
; COMPUTE_PGM_RSRC3_GFX90A:ACCUM_OFFSET: 0
; COMPUTE_PGM_RSRC3_GFX90A:TG_SPLIT: 0
	.section	.text._ZN7rocprim17ROCPRIM_400000_NS6detail17trampoline_kernelINS0_14default_configENS1_29reduce_by_key_config_selectorIjjN6thrust23THRUST_200600_302600_NS4plusIjEEEEZZNS1_33reduce_by_key_impl_wrapped_configILNS1_25lookback_scan_determinismE0ES3_S9_NS6_6detail15normal_iteratorINS6_10device_ptrIjEEEESG_NS6_16discard_iteratorINS6_11use_defaultEEESG_PmS8_NS6_8equal_toIjEEEE10hipError_tPvRmT2_T3_mT4_T5_T6_T7_T8_P12ihipStream_tbENKUlT_T0_E_clISt17integral_constantIbLb0EES13_IbLb1EEEEDaSZ_S10_EUlSZ_E_NS1_11comp_targetILNS1_3genE4ELNS1_11target_archE910ELNS1_3gpuE8ELNS1_3repE0EEENS1_30default_config_static_selectorELNS0_4arch9wavefront6targetE1EEEvT1_,"axG",@progbits,_ZN7rocprim17ROCPRIM_400000_NS6detail17trampoline_kernelINS0_14default_configENS1_29reduce_by_key_config_selectorIjjN6thrust23THRUST_200600_302600_NS4plusIjEEEEZZNS1_33reduce_by_key_impl_wrapped_configILNS1_25lookback_scan_determinismE0ES3_S9_NS6_6detail15normal_iteratorINS6_10device_ptrIjEEEESG_NS6_16discard_iteratorINS6_11use_defaultEEESG_PmS8_NS6_8equal_toIjEEEE10hipError_tPvRmT2_T3_mT4_T5_T6_T7_T8_P12ihipStream_tbENKUlT_T0_E_clISt17integral_constantIbLb0EES13_IbLb1EEEEDaSZ_S10_EUlSZ_E_NS1_11comp_targetILNS1_3genE4ELNS1_11target_archE910ELNS1_3gpuE8ELNS1_3repE0EEENS1_30default_config_static_selectorELNS0_4arch9wavefront6targetE1EEEvT1_,comdat
	.protected	_ZN7rocprim17ROCPRIM_400000_NS6detail17trampoline_kernelINS0_14default_configENS1_29reduce_by_key_config_selectorIjjN6thrust23THRUST_200600_302600_NS4plusIjEEEEZZNS1_33reduce_by_key_impl_wrapped_configILNS1_25lookback_scan_determinismE0ES3_S9_NS6_6detail15normal_iteratorINS6_10device_ptrIjEEEESG_NS6_16discard_iteratorINS6_11use_defaultEEESG_PmS8_NS6_8equal_toIjEEEE10hipError_tPvRmT2_T3_mT4_T5_T6_T7_T8_P12ihipStream_tbENKUlT_T0_E_clISt17integral_constantIbLb0EES13_IbLb1EEEEDaSZ_S10_EUlSZ_E_NS1_11comp_targetILNS1_3genE4ELNS1_11target_archE910ELNS1_3gpuE8ELNS1_3repE0EEENS1_30default_config_static_selectorELNS0_4arch9wavefront6targetE1EEEvT1_ ; -- Begin function _ZN7rocprim17ROCPRIM_400000_NS6detail17trampoline_kernelINS0_14default_configENS1_29reduce_by_key_config_selectorIjjN6thrust23THRUST_200600_302600_NS4plusIjEEEEZZNS1_33reduce_by_key_impl_wrapped_configILNS1_25lookback_scan_determinismE0ES3_S9_NS6_6detail15normal_iteratorINS6_10device_ptrIjEEEESG_NS6_16discard_iteratorINS6_11use_defaultEEESG_PmS8_NS6_8equal_toIjEEEE10hipError_tPvRmT2_T3_mT4_T5_T6_T7_T8_P12ihipStream_tbENKUlT_T0_E_clISt17integral_constantIbLb0EES13_IbLb1EEEEDaSZ_S10_EUlSZ_E_NS1_11comp_targetILNS1_3genE4ELNS1_11target_archE910ELNS1_3gpuE8ELNS1_3repE0EEENS1_30default_config_static_selectorELNS0_4arch9wavefront6targetE1EEEvT1_
	.globl	_ZN7rocprim17ROCPRIM_400000_NS6detail17trampoline_kernelINS0_14default_configENS1_29reduce_by_key_config_selectorIjjN6thrust23THRUST_200600_302600_NS4plusIjEEEEZZNS1_33reduce_by_key_impl_wrapped_configILNS1_25lookback_scan_determinismE0ES3_S9_NS6_6detail15normal_iteratorINS6_10device_ptrIjEEEESG_NS6_16discard_iteratorINS6_11use_defaultEEESG_PmS8_NS6_8equal_toIjEEEE10hipError_tPvRmT2_T3_mT4_T5_T6_T7_T8_P12ihipStream_tbENKUlT_T0_E_clISt17integral_constantIbLb0EES13_IbLb1EEEEDaSZ_S10_EUlSZ_E_NS1_11comp_targetILNS1_3genE4ELNS1_11target_archE910ELNS1_3gpuE8ELNS1_3repE0EEENS1_30default_config_static_selectorELNS0_4arch9wavefront6targetE1EEEvT1_
	.p2align	8
	.type	_ZN7rocprim17ROCPRIM_400000_NS6detail17trampoline_kernelINS0_14default_configENS1_29reduce_by_key_config_selectorIjjN6thrust23THRUST_200600_302600_NS4plusIjEEEEZZNS1_33reduce_by_key_impl_wrapped_configILNS1_25lookback_scan_determinismE0ES3_S9_NS6_6detail15normal_iteratorINS6_10device_ptrIjEEEESG_NS6_16discard_iteratorINS6_11use_defaultEEESG_PmS8_NS6_8equal_toIjEEEE10hipError_tPvRmT2_T3_mT4_T5_T6_T7_T8_P12ihipStream_tbENKUlT_T0_E_clISt17integral_constantIbLb0EES13_IbLb1EEEEDaSZ_S10_EUlSZ_E_NS1_11comp_targetILNS1_3genE4ELNS1_11target_archE910ELNS1_3gpuE8ELNS1_3repE0EEENS1_30default_config_static_selectorELNS0_4arch9wavefront6targetE1EEEvT1_,@function
_ZN7rocprim17ROCPRIM_400000_NS6detail17trampoline_kernelINS0_14default_configENS1_29reduce_by_key_config_selectorIjjN6thrust23THRUST_200600_302600_NS4plusIjEEEEZZNS1_33reduce_by_key_impl_wrapped_configILNS1_25lookback_scan_determinismE0ES3_S9_NS6_6detail15normal_iteratorINS6_10device_ptrIjEEEESG_NS6_16discard_iteratorINS6_11use_defaultEEESG_PmS8_NS6_8equal_toIjEEEE10hipError_tPvRmT2_T3_mT4_T5_T6_T7_T8_P12ihipStream_tbENKUlT_T0_E_clISt17integral_constantIbLb0EES13_IbLb1EEEEDaSZ_S10_EUlSZ_E_NS1_11comp_targetILNS1_3genE4ELNS1_11target_archE910ELNS1_3gpuE8ELNS1_3repE0EEENS1_30default_config_static_selectorELNS0_4arch9wavefront6targetE1EEEvT1_: ; @_ZN7rocprim17ROCPRIM_400000_NS6detail17trampoline_kernelINS0_14default_configENS1_29reduce_by_key_config_selectorIjjN6thrust23THRUST_200600_302600_NS4plusIjEEEEZZNS1_33reduce_by_key_impl_wrapped_configILNS1_25lookback_scan_determinismE0ES3_S9_NS6_6detail15normal_iteratorINS6_10device_ptrIjEEEESG_NS6_16discard_iteratorINS6_11use_defaultEEESG_PmS8_NS6_8equal_toIjEEEE10hipError_tPvRmT2_T3_mT4_T5_T6_T7_T8_P12ihipStream_tbENKUlT_T0_E_clISt17integral_constantIbLb0EES13_IbLb1EEEEDaSZ_S10_EUlSZ_E_NS1_11comp_targetILNS1_3genE4ELNS1_11target_archE910ELNS1_3gpuE8ELNS1_3repE0EEENS1_30default_config_static_selectorELNS0_4arch9wavefront6targetE1EEEvT1_
; %bb.0:
	s_load_dwordx4 s[8:11], s[4:5], 0x0
	s_load_dwordx2 s[6:7], s[4:5], 0x10
	s_load_dwordx2 s[52:53], s[4:5], 0x70
	s_load_dwordx4 s[48:51], s[4:5], 0x60
	s_load_dwordx8 s[36:43], s[4:5], 0x40
	v_cmp_ne_u32_e64 s[2:3], 0, v0
	v_cmp_eq_u32_e64 s[0:1], 0, v0
	s_and_saveexec_b64 s[12:13], s[0:1]
	s_cbranch_execz .LBB942_4
; %bb.1:
	s_mov_b64 s[16:17], exec
	v_mbcnt_lo_u32_b32 v1, s16, 0
	v_mbcnt_hi_u32_b32 v1, s17, v1
	v_cmp_eq_u32_e32 vcc, 0, v1
                                        ; implicit-def: $vgpr2
	s_and_saveexec_b64 s[14:15], vcc
	s_cbranch_execz .LBB942_3
; %bb.2:
	s_load_dwordx2 s[18:19], s[4:5], 0x78
	s_bcnt1_i32_b64 s16, s[16:17]
	v_mov_b32_e32 v2, 0
	v_mov_b32_e32 v3, s16
	s_waitcnt lgkmcnt(0)
	global_atomic_add v2, v2, v3, s[18:19] glc
.LBB942_3:
	s_or_b64 exec, exec, s[14:15]
	s_waitcnt vmcnt(0)
	v_readfirstlane_b32 s14, v2
	v_add_u32_e32 v1, s14, v1
	v_mov_b32_e32 v2, 0
	ds_write_b32 v2, v1
.LBB942_4:
	s_or_b64 exec, exec, s[12:13]
	s_load_dwordx4 s[44:47], s[4:5], 0x28
	s_waitcnt lgkmcnt(0)
	s_lshl_b64 s[4:5], s[10:11], 2
	v_mov_b32_e32 v3, 0
	s_add_u32 s8, s8, s4
	s_barrier
	ds_read_b32 v1, v3
	s_addc_u32 s9, s9, s5
	s_add_u32 s4, s6, s4
	s_addc_u32 s5, s7, s5
	s_mul_i32 s6, s40, s39
	s_mul_hi_u32 s7, s40, s38
	s_add_i32 s6, s7, s6
	s_mul_i32 s7, s41, s38
	s_add_i32 s6, s6, s7
	s_mul_i32 s7, s40, s38
	s_waitcnt lgkmcnt(0)
	v_readfirstlane_b32 s58, v1
	s_movk_i32 s10, 0xf00
	v_mul_lo_u32 v2, v1, s10
	s_add_u32 s54, s7, s58
	v_lshlrev_b64 v[2:3], 2, v[2:3]
	s_addc_u32 s55, s6, 0
	v_mov_b32_e32 v1, s9
	v_add_co_u32_e32 v39, vcc, s8, v2
	s_add_u32 s6, s42, -1
	v_addc_co_u32_e32 v41, vcc, v1, v3, vcc
	s_addc_u32 s7, s43, -1
	v_mov_b32_e32 v1, s5
	v_add_co_u32_e32 v22, vcc, s4, v2
	s_cmp_eq_u64 s[54:55], s[6:7]
	v_addc_co_u32_e32 v23, vcc, v1, v3, vcc
	s_cselect_b64 s[40:41], -1, 0
	s_cmp_lg_u64 s[54:55], s[6:7]
	s_mov_b64 s[4:5], -1
	s_cselect_b64 s[56:57], -1, 0
	s_mul_i32 s33, s6, 0xfffff100
	s_and_b64 vcc, exec, s[40:41]
	s_barrier
	s_cbranch_vccnz .LBB942_6
; %bb.5:
	v_lshlrev_b32_e32 v26, 2, v0
	v_add_co_u32_e32 v2, vcc, v39, v26
	v_addc_co_u32_e32 v3, vcc, 0, v41, vcc
	v_add_co_u32_e32 v4, vcc, 0x1000, v2
	v_addc_co_u32_e32 v5, vcc, 0, v3, vcc
	flat_load_dword v1, v[2:3]
	flat_load_dword v8, v[2:3] offset:1024
	flat_load_dword v9, v[2:3] offset:2048
	;; [unrolled: 1-line block ×3, first 2 shown]
	flat_load_dword v11, v[4:5]
	flat_load_dword v12, v[4:5] offset:1024
	flat_load_dword v13, v[4:5] offset:2048
	;; [unrolled: 1-line block ×3, first 2 shown]
	v_add_co_u32_e32 v4, vcc, 0x2000, v2
	v_addc_co_u32_e32 v5, vcc, 0, v3, vcc
	v_add_co_u32_e32 v2, vcc, 0x3000, v2
	v_addc_co_u32_e32 v3, vcc, 0, v3, vcc
	flat_load_dword v15, v[4:5]
	flat_load_dword v16, v[4:5] offset:1024
	flat_load_dword v17, v[4:5] offset:2048
	;; [unrolled: 1-line block ×3, first 2 shown]
	flat_load_dword v19, v[2:3]
	flat_load_dword v20, v[2:3] offset:1024
	flat_load_dword v21, v[2:3] offset:2048
	v_add_co_u32_e32 v2, vcc, v22, v26
	s_movk_i32 s4, 0x1000
	v_addc_co_u32_e32 v3, vcc, 0, v23, vcc
	v_add_co_u32_e32 v4, vcc, s4, v2
	s_movk_i32 s5, 0x2000
	v_addc_co_u32_e32 v5, vcc, 0, v3, vcc
	;; [unrolled: 3-line block ×3, first 2 shown]
	v_mad_u32_u24 v38, v0, 56, v26
	v_add_co_u32_e32 v24, vcc, s6, v2
	v_addc_co_u32_e32 v25, vcc, 0, v3, vcc
	s_waitcnt vmcnt(0) lgkmcnt(0)
	ds_write2st64_b32 v26, v1, v8 offset1:4
	ds_write2st64_b32 v26, v9, v10 offset0:8 offset1:12
	ds_write2st64_b32 v26, v11, v12 offset0:16 offset1:20
	;; [unrolled: 1-line block ×6, first 2 shown]
	ds_write_b32 v26, v21 offset:14336
	s_waitcnt lgkmcnt(0)
	s_barrier
	ds_read2_b32 v[20:21], v38 offset1:1
	ds_read2_b32 v[18:19], v38 offset0:2 offset1:3
	ds_read2_b32 v[16:17], v38 offset0:4 offset1:5
	;; [unrolled: 1-line block ×6, first 2 shown]
	ds_read_b32 v1, v38 offset:56
	s_waitcnt lgkmcnt(0)
	s_barrier
	flat_load_dword v27, v[2:3]
	flat_load_dword v28, v[2:3] offset:1024
	flat_load_dword v29, v[2:3] offset:2048
	flat_load_dword v30, v[2:3] offset:3072
	flat_load_dword v31, v[4:5]
	flat_load_dword v32, v[4:5] offset:1024
	flat_load_dword v33, v[4:5] offset:2048
	flat_load_dword v34, v[4:5] offset:3072
	;; [unrolled: 4-line block ×3, first 2 shown]
	flat_load_dword v44, v[24:25]
	flat_load_dword v45, v[24:25] offset:1024
	flat_load_dword v46, v[24:25] offset:2048
	v_mov_b32_e32 v36, v20
	v_mov_b32_e32 v37, v18
	;; [unrolled: 1-line block ×7, first 2 shown]
	s_waitcnt vmcnt(0) lgkmcnt(0)
	ds_write2st64_b32 v26, v27, v28 offset1:4
	ds_write2st64_b32 v26, v29, v30 offset0:8 offset1:12
	ds_write2st64_b32 v26, v31, v32 offset0:16 offset1:20
	;; [unrolled: 1-line block ×6, first 2 shown]
	ds_write_b32 v26, v46 offset:14336
	s_waitcnt lgkmcnt(0)
	s_barrier
	s_add_i32 s33, s33, s48
	s_cbranch_execz .LBB942_7
	s_branch .LBB942_54
.LBB942_6:
                                        ; implicit-def: $vgpr1
                                        ; implicit-def: $vgpr8
                                        ; implicit-def: $vgpr10
                                        ; implicit-def: $vgpr12
                                        ; implicit-def: $vgpr14
                                        ; implicit-def: $vgpr16
                                        ; implicit-def: $vgpr18
                                        ; implicit-def: $vgpr20
                                        ; implicit-def: $vgpr38
                                        ; implicit-def: $vgpr2_vgpr3
                                        ; implicit-def: $vgpr4_vgpr5
                                        ; implicit-def: $vgpr36_vgpr37
                                        ; implicit-def: $vgpr6_vgpr7
	s_andn2_b64 vcc, exec, s[4:5]
	s_add_i32 s33, s33, s48
	s_cbranch_vccnz .LBB942_54
.LBB942_7:
	v_cmp_gt_u32_e32 vcc, s33, v0
                                        ; implicit-def: $vgpr1
	s_and_saveexec_b64 s[6:7], vcc
	s_cbranch_execz .LBB942_9
; %bb.8:
	v_lshlrev_b32_e32 v1, 2, v0
	v_add_co_u32_e64 v2, s[4:5], v39, v1
	v_addc_co_u32_e64 v3, s[4:5], 0, v41, s[4:5]
	flat_load_dword v1, v[2:3]
.LBB942_9:
	s_or_b64 exec, exec, s[6:7]
	v_or_b32_e32 v2, 0x100, v0
	v_cmp_gt_u32_e64 s[4:5], s33, v2
                                        ; implicit-def: $vgpr8
	s_and_saveexec_b64 s[8:9], s[4:5]
	s_cbranch_execz .LBB942_11
; %bb.10:
	v_lshlrev_b32_e32 v2, 2, v0
	v_add_co_u32_e64 v2, s[6:7], v39, v2
	v_addc_co_u32_e64 v3, s[6:7], 0, v41, s[6:7]
	flat_load_dword v8, v[2:3] offset:1024
.LBB942_11:
	s_or_b64 exec, exec, s[8:9]
	v_or_b32_e32 v2, 0x200, v0
	v_cmp_gt_u32_e64 s[6:7], s33, v2
                                        ; implicit-def: $vgpr9
	s_and_saveexec_b64 s[10:11], s[6:7]
	s_cbranch_execz .LBB942_13
; %bb.12:
	v_lshlrev_b32_e32 v2, 2, v0
	v_add_co_u32_e64 v2, s[8:9], v39, v2
	v_addc_co_u32_e64 v3, s[8:9], 0, v41, s[8:9]
	flat_load_dword v9, v[2:3] offset:2048
.LBB942_13:
	s_or_b64 exec, exec, s[10:11]
	v_or_b32_e32 v2, 0x300, v0
	v_cmp_gt_u32_e64 s[8:9], s33, v2
                                        ; implicit-def: $vgpr10
	s_and_saveexec_b64 s[12:13], s[8:9]
	s_cbranch_execz .LBB942_15
; %bb.14:
	v_lshlrev_b32_e32 v2, 2, v0
	v_add_co_u32_e64 v2, s[10:11], v39, v2
	v_addc_co_u32_e64 v3, s[10:11], 0, v41, s[10:11]
	flat_load_dword v10, v[2:3] offset:3072
.LBB942_15:
	s_or_b64 exec, exec, s[12:13]
	v_or_b32_e32 v2, 0x400, v0
	v_cmp_gt_u32_e64 s[10:11], s33, v2
	v_lshlrev_b32_e32 v2, 2, v2
                                        ; implicit-def: $vgpr11
	s_and_saveexec_b64 s[14:15], s[10:11]
	s_cbranch_execz .LBB942_17
; %bb.16:
	v_add_co_u32_e64 v4, s[12:13], v39, v2
	v_addc_co_u32_e64 v5, s[12:13], 0, v41, s[12:13]
	flat_load_dword v11, v[4:5]
.LBB942_17:
	s_or_b64 exec, exec, s[14:15]
	v_or_b32_e32 v3, 0x500, v0
	v_cmp_gt_u32_e64 s[12:13], s33, v3
	v_lshlrev_b32_e32 v3, 2, v3
                                        ; implicit-def: $vgpr12
	s_and_saveexec_b64 s[16:17], s[12:13]
	s_cbranch_execz .LBB942_19
; %bb.18:
	v_add_co_u32_e64 v4, s[14:15], v39, v3
	v_addc_co_u32_e64 v5, s[14:15], 0, v41, s[14:15]
	flat_load_dword v12, v[4:5]
.LBB942_19:
	s_or_b64 exec, exec, s[16:17]
	v_or_b32_e32 v4, 0x600, v0
	v_cmp_gt_u32_e64 s[14:15], s33, v4
	v_lshlrev_b32_e32 v4, 2, v4
                                        ; implicit-def: $vgpr13
	s_and_saveexec_b64 s[18:19], s[14:15]
	s_cbranch_execz .LBB942_21
; %bb.20:
	v_add_co_u32_e64 v6, s[16:17], v39, v4
	v_addc_co_u32_e64 v7, s[16:17], 0, v41, s[16:17]
	flat_load_dword v13, v[6:7]
.LBB942_21:
	s_or_b64 exec, exec, s[18:19]
	v_or_b32_e32 v5, 0x700, v0
	v_cmp_gt_u32_e64 s[16:17], s33, v5
	v_lshlrev_b32_e32 v5, 2, v5
                                        ; implicit-def: $vgpr14
	s_and_saveexec_b64 s[20:21], s[16:17]
	s_cbranch_execz .LBB942_23
; %bb.22:
	v_add_co_u32_e64 v6, s[18:19], v39, v5
	v_addc_co_u32_e64 v7, s[18:19], 0, v41, s[18:19]
	flat_load_dword v14, v[6:7]
.LBB942_23:
	s_or_b64 exec, exec, s[20:21]
	v_or_b32_e32 v6, 0x800, v0
	v_cmp_gt_u32_e64 s[18:19], s33, v6
	v_lshlrev_b32_e32 v6, 2, v6
                                        ; implicit-def: $vgpr15
	s_and_saveexec_b64 s[22:23], s[18:19]
	s_cbranch_execz .LBB942_25
; %bb.24:
	v_add_co_u32_e64 v16, s[20:21], v39, v6
	v_addc_co_u32_e64 v17, s[20:21], 0, v41, s[20:21]
	flat_load_dword v15, v[16:17]
.LBB942_25:
	s_or_b64 exec, exec, s[22:23]
	v_or_b32_e32 v7, 0x900, v0
	v_cmp_gt_u32_e64 s[20:21], s33, v7
	v_lshlrev_b32_e32 v7, 2, v7
                                        ; implicit-def: $vgpr16
	s_and_saveexec_b64 s[24:25], s[20:21]
	s_cbranch_execz .LBB942_27
; %bb.26:
	v_add_co_u32_e64 v16, s[22:23], v39, v7
	v_addc_co_u32_e64 v17, s[22:23], 0, v41, s[22:23]
	flat_load_dword v16, v[16:17]
.LBB942_27:
	s_or_b64 exec, exec, s[24:25]
	v_or_b32_e32 v17, 0xa00, v0
	v_cmp_gt_u32_e64 s[22:23], s33, v17
	v_lshlrev_b32_e32 v25, 2, v17
                                        ; implicit-def: $vgpr17
	s_and_saveexec_b64 s[26:27], s[22:23]
	s_cbranch_execz .LBB942_29
; %bb.28:
	v_add_co_u32_e64 v18, s[24:25], v39, v25
	v_addc_co_u32_e64 v19, s[24:25], 0, v41, s[24:25]
	flat_load_dword v17, v[18:19]
.LBB942_29:
	s_or_b64 exec, exec, s[26:27]
	v_or_b32_e32 v18, 0xb00, v0
	v_cmp_gt_u32_e64 s[24:25], s33, v18
	v_lshlrev_b32_e32 v26, 2, v18
                                        ; implicit-def: $vgpr18
	s_and_saveexec_b64 s[28:29], s[24:25]
	s_cbranch_execz .LBB942_31
; %bb.30:
	v_add_co_u32_e64 v18, s[26:27], v39, v26
	v_addc_co_u32_e64 v19, s[26:27], 0, v41, s[26:27]
	flat_load_dword v18, v[18:19]
.LBB942_31:
	s_or_b64 exec, exec, s[28:29]
	v_or_b32_e32 v19, 0xc00, v0
	v_cmp_gt_u32_e64 s[26:27], s33, v19
	v_lshlrev_b32_e32 v27, 2, v19
                                        ; implicit-def: $vgpr19
	s_and_saveexec_b64 s[30:31], s[26:27]
	s_cbranch_execz .LBB942_33
; %bb.32:
	v_add_co_u32_e64 v20, s[28:29], v39, v27
	v_addc_co_u32_e64 v21, s[28:29], 0, v41, s[28:29]
	flat_load_dword v19, v[20:21]
.LBB942_33:
	s_or_b64 exec, exec, s[30:31]
	v_or_b32_e32 v20, 0xd00, v0
	v_cmp_gt_u32_e64 s[28:29], s33, v20
	v_lshlrev_b32_e32 v28, 2, v20
                                        ; implicit-def: $vgpr20
	s_and_saveexec_b64 s[34:35], s[28:29]
	s_cbranch_execz .LBB942_35
; %bb.34:
	v_add_co_u32_e64 v20, s[30:31], v39, v28
	v_addc_co_u32_e64 v21, s[30:31], 0, v41, s[30:31]
	flat_load_dword v20, v[20:21]
.LBB942_35:
	s_or_b64 exec, exec, s[34:35]
	v_or_b32_e32 v21, 0xe00, v0
	v_cmp_gt_u32_e64 s[30:31], s33, v21
	v_lshlrev_b32_e32 v29, 2, v21
                                        ; implicit-def: $vgpr21
	s_and_saveexec_b64 s[42:43], s[30:31]
	s_cbranch_execz .LBB942_37
; %bb.36:
	v_add_co_u32_e64 v30, s[34:35], v39, v29
	v_addc_co_u32_e64 v31, s[34:35], 0, v41, s[34:35]
	flat_load_dword v21, v[30:31]
.LBB942_37:
	s_or_b64 exec, exec, s[42:43]
	v_lshlrev_b32_e32 v24, 2, v0
	v_mad_u32_u24 v38, v0, 56, v24
	s_waitcnt vmcnt(0) lgkmcnt(0)
	ds_write2st64_b32 v24, v1, v8 offset1:4
	ds_write2st64_b32 v24, v9, v10 offset0:8 offset1:12
	ds_write2st64_b32 v24, v11, v12 offset0:16 offset1:20
	;; [unrolled: 1-line block ×6, first 2 shown]
	ds_write_b32 v24, v21 offset:14336
	s_waitcnt lgkmcnt(0)
	s_barrier
	ds_read2_b32 v[20:21], v38 offset1:1
	ds_read2_b32 v[18:19], v38 offset0:2 offset1:3
	ds_read2_b32 v[16:17], v38 offset0:4 offset1:5
	ds_read2_b32 v[14:15], v38 offset0:6 offset1:7
	ds_read2_b32 v[12:13], v38 offset0:8 offset1:9
	ds_read2_b32 v[10:11], v38 offset0:10 offset1:11
	ds_read2_b32 v[8:9], v38 offset0:12 offset1:13
	ds_read_b32 v1, v38 offset:56
	s_waitcnt lgkmcnt(0)
	s_barrier
	s_waitcnt lgkmcnt(0)
                                        ; implicit-def: $vgpr30
	s_and_saveexec_b64 s[34:35], vcc
	s_cbranch_execnz .LBB942_61
; %bb.38:
	s_or_b64 exec, exec, s[34:35]
                                        ; implicit-def: $vgpr31
	s_and_saveexec_b64 s[34:35], s[4:5]
	s_cbranch_execnz .LBB942_62
.LBB942_39:
	s_or_b64 exec, exec, s[34:35]
                                        ; implicit-def: $vgpr32
	s_and_saveexec_b64 s[4:5], s[6:7]
	s_cbranch_execnz .LBB942_63
.LBB942_40:
	s_or_b64 exec, exec, s[4:5]
                                        ; implicit-def: $vgpr33
	s_and_saveexec_b64 s[4:5], s[8:9]
	s_cbranch_execnz .LBB942_64
.LBB942_41:
	s_or_b64 exec, exec, s[4:5]
                                        ; implicit-def: $vgpr34
	s_and_saveexec_b64 s[4:5], s[10:11]
	s_cbranch_execnz .LBB942_65
.LBB942_42:
	s_or_b64 exec, exec, s[4:5]
                                        ; implicit-def: $vgpr2
	s_and_saveexec_b64 s[4:5], s[12:13]
	s_cbranch_execnz .LBB942_66
.LBB942_43:
	s_or_b64 exec, exec, s[4:5]
                                        ; implicit-def: $vgpr3
	s_and_saveexec_b64 s[4:5], s[14:15]
	s_cbranch_execnz .LBB942_67
.LBB942_44:
	s_or_b64 exec, exec, s[4:5]
                                        ; implicit-def: $vgpr4
	s_and_saveexec_b64 s[4:5], s[16:17]
	s_cbranch_execnz .LBB942_68
.LBB942_45:
	s_or_b64 exec, exec, s[4:5]
                                        ; implicit-def: $vgpr5
	s_and_saveexec_b64 s[4:5], s[18:19]
	s_cbranch_execnz .LBB942_69
.LBB942_46:
	s_or_b64 exec, exec, s[4:5]
                                        ; implicit-def: $vgpr6
	s_and_saveexec_b64 s[4:5], s[20:21]
	s_cbranch_execnz .LBB942_70
.LBB942_47:
	s_or_b64 exec, exec, s[4:5]
                                        ; implicit-def: $vgpr7
	s_and_saveexec_b64 s[4:5], s[22:23]
	s_cbranch_execnz .LBB942_71
.LBB942_48:
	s_or_b64 exec, exec, s[4:5]
                                        ; implicit-def: $vgpr25
	s_and_saveexec_b64 s[4:5], s[24:25]
	s_cbranch_execnz .LBB942_72
.LBB942_49:
	s_or_b64 exec, exec, s[4:5]
                                        ; implicit-def: $vgpr26
	s_and_saveexec_b64 s[4:5], s[26:27]
	s_cbranch_execnz .LBB942_73
.LBB942_50:
	s_or_b64 exec, exec, s[4:5]
                                        ; implicit-def: $vgpr27
	s_and_saveexec_b64 s[4:5], s[28:29]
	s_cbranch_execnz .LBB942_74
.LBB942_51:
	s_or_b64 exec, exec, s[4:5]
                                        ; implicit-def: $vgpr28
	s_and_saveexec_b64 s[4:5], s[30:31]
	s_cbranch_execz .LBB942_53
.LBB942_52:
	v_add_co_u32_e32 v22, vcc, v22, v29
	v_addc_co_u32_e32 v23, vcc, 0, v23, vcc
	flat_load_dword v28, v[22:23]
.LBB942_53:
	s_or_b64 exec, exec, s[4:5]
	s_waitcnt vmcnt(0) lgkmcnt(0)
	ds_write2st64_b32 v24, v30, v31 offset1:4
	ds_write2st64_b32 v24, v32, v33 offset0:8 offset1:12
	ds_write2st64_b32 v24, v34, v2 offset0:16 offset1:20
	;; [unrolled: 1-line block ×6, first 2 shown]
	ds_write_b32 v24, v28 offset:14336
	v_mov_b32_e32 v36, v20
	v_mov_b32_e32 v37, v18
	;; [unrolled: 1-line block ×7, first 2 shown]
	s_waitcnt lgkmcnt(0)
	s_barrier
.LBB942_54:
	ds_read2_b32 v[34:35], v38 offset1:1
	ds_read2_b32 v[32:33], v38 offset0:2 offset1:3
	ds_read2_b32 v[30:31], v38 offset0:4 offset1:5
	;; [unrolled: 1-line block ×6, first 2 shown]
	ds_read_b32 v80, v38 offset:56
	s_cmp_eq_u64 s[54:55], 0
	s_cselect_b64 s[34:35], -1, 0
	s_cmp_lg_u64 s[54:55], 0
	s_mov_b64 s[42:43], 0
	s_cselect_b64 s[6:7], -1, 0
	s_and_b64 vcc, exec, s[56:57]
	s_waitcnt lgkmcnt(0)
	s_barrier
	s_cbranch_vccz .LBB942_60
; %bb.55:
	s_and_b64 vcc, exec, s[6:7]
	s_cbranch_vccz .LBB942_75
; %bb.56:
	v_add_co_u32_e32 v42, vcc, -4, v39
	v_addc_co_u32_e32 v43, vcc, -1, v41, vcc
	flat_load_dword v7, v[42:43]
	v_lshlrev_b32_e32 v38, 2, v0
	ds_write_b32 v38, v1
	s_waitcnt lgkmcnt(0)
	s_barrier
	s_and_saveexec_b64 s[4:5], s[2:3]
	s_cbranch_execz .LBB942_58
; %bb.57:
	s_waitcnt vmcnt(0)
	v_add_u32_e32 v7, -4, v38
	ds_read_b32 v7, v7
.LBB942_58:
	s_or_b64 exec, exec, s[4:5]
	v_cmp_ne_u32_e32 vcc, v36, v21
	v_cndmask_b32_e64 v79, 0, 1, vcc
	v_cmp_ne_u32_e32 vcc, v37, v21
	v_cndmask_b32_e64 v78, 0, 1, vcc
	;; [unrolled: 2-line block ×14, first 2 shown]
	s_waitcnt vmcnt(0) lgkmcnt(0)
	v_cmp_ne_u32_e64 s[4:5], v7, v20
	s_mov_b64 s[42:43], -1
.LBB942_59:
                                        ; implicit-def: $sgpr10
	s_branch .LBB942_87
.LBB942_60:
                                        ; implicit-def: $sgpr4_sgpr5
                                        ; implicit-def: $vgpr66
                                        ; implicit-def: $vgpr67
                                        ; implicit-def: $vgpr68
                                        ; implicit-def: $vgpr69
                                        ; implicit-def: $vgpr70
                                        ; implicit-def: $vgpr71
                                        ; implicit-def: $vgpr72
                                        ; implicit-def: $vgpr73
                                        ; implicit-def: $vgpr74
                                        ; implicit-def: $vgpr75
                                        ; implicit-def: $vgpr76
                                        ; implicit-def: $vgpr77
                                        ; implicit-def: $vgpr78
                                        ; implicit-def: $vgpr79
                                        ; implicit-def: $sgpr10
	s_cbranch_execnz .LBB942_79
	s_branch .LBB942_87
.LBB942_61:
	v_add_co_u32_e32 v30, vcc, v22, v24
	v_addc_co_u32_e32 v31, vcc, 0, v23, vcc
	flat_load_dword v30, v[30:31]
	s_or_b64 exec, exec, s[34:35]
                                        ; implicit-def: $vgpr31
	s_and_saveexec_b64 s[34:35], s[4:5]
	s_cbranch_execz .LBB942_39
.LBB942_62:
	v_add_co_u32_e32 v32, vcc, v22, v24
	v_addc_co_u32_e32 v33, vcc, 0, v23, vcc
	flat_load_dword v31, v[32:33] offset:1024
	s_or_b64 exec, exec, s[34:35]
                                        ; implicit-def: $vgpr32
	s_and_saveexec_b64 s[4:5], s[6:7]
	s_cbranch_execz .LBB942_40
.LBB942_63:
	v_add_co_u32_e32 v32, vcc, v22, v24
	v_addc_co_u32_e32 v33, vcc, 0, v23, vcc
	flat_load_dword v32, v[32:33] offset:2048
	s_or_b64 exec, exec, s[4:5]
                                        ; implicit-def: $vgpr33
	s_and_saveexec_b64 s[4:5], s[8:9]
	s_cbranch_execz .LBB942_41
.LBB942_64:
	v_add_co_u32_e32 v34, vcc, v22, v24
	v_addc_co_u32_e32 v35, vcc, 0, v23, vcc
	flat_load_dword v33, v[34:35] offset:3072
	s_or_b64 exec, exec, s[4:5]
                                        ; implicit-def: $vgpr34
	s_and_saveexec_b64 s[4:5], s[10:11]
	s_cbranch_execz .LBB942_42
.LBB942_65:
	v_add_co_u32_e32 v34, vcc, v22, v2
	v_addc_co_u32_e32 v35, vcc, 0, v23, vcc
	flat_load_dword v34, v[34:35]
	s_or_b64 exec, exec, s[4:5]
                                        ; implicit-def: $vgpr2
	s_and_saveexec_b64 s[4:5], s[12:13]
	s_cbranch_execz .LBB942_43
.LBB942_66:
	v_add_co_u32_e32 v2, vcc, v22, v3
	v_addc_co_u32_e32 v3, vcc, 0, v23, vcc
	flat_load_dword v2, v[2:3]
	s_or_b64 exec, exec, s[4:5]
                                        ; implicit-def: $vgpr3
	s_and_saveexec_b64 s[4:5], s[14:15]
	s_cbranch_execz .LBB942_44
.LBB942_67:
	v_add_co_u32_e32 v36, vcc, v22, v4
	v_addc_co_u32_e32 v37, vcc, 0, v23, vcc
	flat_load_dword v3, v[36:37]
	s_or_b64 exec, exec, s[4:5]
                                        ; implicit-def: $vgpr4
	s_and_saveexec_b64 s[4:5], s[16:17]
	s_cbranch_execz .LBB942_45
.LBB942_68:
	v_add_co_u32_e32 v4, vcc, v22, v5
	v_addc_co_u32_e32 v5, vcc, 0, v23, vcc
	flat_load_dword v4, v[4:5]
	s_or_b64 exec, exec, s[4:5]
                                        ; implicit-def: $vgpr5
	s_and_saveexec_b64 s[4:5], s[18:19]
	s_cbranch_execz .LBB942_46
.LBB942_69:
	v_add_co_u32_e32 v36, vcc, v22, v6
	v_addc_co_u32_e32 v37, vcc, 0, v23, vcc
	flat_load_dword v5, v[36:37]
	s_or_b64 exec, exec, s[4:5]
                                        ; implicit-def: $vgpr6
	s_and_saveexec_b64 s[4:5], s[20:21]
	s_cbranch_execz .LBB942_47
.LBB942_70:
	v_add_co_u32_e32 v6, vcc, v22, v7
	v_addc_co_u32_e32 v7, vcc, 0, v23, vcc
	flat_load_dword v6, v[6:7]
	s_or_b64 exec, exec, s[4:5]
                                        ; implicit-def: $vgpr7
	s_and_saveexec_b64 s[4:5], s[22:23]
	s_cbranch_execz .LBB942_48
.LBB942_71:
	v_add_co_u32_e32 v36, vcc, v22, v25
	v_addc_co_u32_e32 v37, vcc, 0, v23, vcc
	flat_load_dword v7, v[36:37]
	s_or_b64 exec, exec, s[4:5]
                                        ; implicit-def: $vgpr25
	s_and_saveexec_b64 s[4:5], s[24:25]
	s_cbranch_execz .LBB942_49
.LBB942_72:
	v_add_co_u32_e32 v36, vcc, v22, v26
	v_addc_co_u32_e32 v37, vcc, 0, v23, vcc
	flat_load_dword v25, v[36:37]
	s_or_b64 exec, exec, s[4:5]
                                        ; implicit-def: $vgpr26
	s_and_saveexec_b64 s[4:5], s[26:27]
	s_cbranch_execz .LBB942_50
.LBB942_73:
	v_add_co_u32_e32 v26, vcc, v22, v27
	v_addc_co_u32_e32 v27, vcc, 0, v23, vcc
	flat_load_dword v26, v[26:27]
	s_or_b64 exec, exec, s[4:5]
                                        ; implicit-def: $vgpr27
	s_and_saveexec_b64 s[4:5], s[28:29]
	s_cbranch_execz .LBB942_51
.LBB942_74:
	v_add_co_u32_e32 v36, vcc, v22, v28
	v_addc_co_u32_e32 v37, vcc, 0, v23, vcc
	flat_load_dword v27, v[36:37]
	s_or_b64 exec, exec, s[4:5]
                                        ; implicit-def: $vgpr28
	s_and_saveexec_b64 s[4:5], s[30:31]
	s_cbranch_execnz .LBB942_52
	s_branch .LBB942_53
.LBB942_75:
                                        ; implicit-def: $sgpr4_sgpr5
                                        ; implicit-def: $vgpr66
                                        ; implicit-def: $vgpr67
                                        ; implicit-def: $vgpr68
                                        ; implicit-def: $vgpr69
                                        ; implicit-def: $vgpr70
                                        ; implicit-def: $vgpr71
                                        ; implicit-def: $vgpr72
                                        ; implicit-def: $vgpr73
                                        ; implicit-def: $vgpr74
                                        ; implicit-def: $vgpr75
                                        ; implicit-def: $vgpr76
                                        ; implicit-def: $vgpr77
                                        ; implicit-def: $vgpr78
                                        ; implicit-def: $vgpr79
	s_cbranch_execz .LBB942_59
; %bb.76:
	v_cmp_ne_u32_e32 vcc, v21, v36
	v_cndmask_b32_e64 v79, 0, 1, vcc
	v_cmp_ne_u32_e32 vcc, v21, v37
	v_cndmask_b32_e64 v78, 0, 1, vcc
	;; [unrolled: 2-line block ×13, first 2 shown]
	v_cmp_ne_u32_e32 vcc, v9, v1
	v_lshlrev_b32_e32 v7, 2, v0
	v_cndmask_b32_e64 v66, 0, 1, vcc
	ds_write_b32 v7, v1
	s_waitcnt lgkmcnt(0)
	s_barrier
	s_waitcnt lgkmcnt(0)
                                        ; implicit-def: $sgpr4_sgpr5
	s_and_saveexec_b64 s[8:9], s[2:3]
	s_xor_b64 s[8:9], exec, s[8:9]
	s_cbranch_execz .LBB942_78
; %bb.77:
	v_add_u32_e32 v2, -4, v7
	ds_read_b32 v2, v2
	s_or_b64 s[42:43], s[42:43], exec
	s_waitcnt lgkmcnt(0)
	v_cmp_ne_u32_e32 vcc, v2, v20
	s_and_b64 s[4:5], vcc, exec
.LBB942_78:
	s_or_b64 exec, exec, s[8:9]
	s_mov_b32 s10, 1
	s_branch .LBB942_87
.LBB942_79:
	s_mul_hi_u32 s5, s54, 0xfffff100
	s_mul_i32 s4, s55, 0xfffff100
	s_sub_i32 s5, s5, s54
	s_add_i32 s5, s5, s4
	s_mul_i32 s4, s54, 0xfffff100
	s_add_u32 s48, s4, s48
	s_addc_u32 s49, s5, s49
	s_and_b64 vcc, exec, s[6:7]
	v_cmp_ne_u32_e64 s[30:31], v9, v1
	v_cmp_ne_u32_e64 s[28:29], v8, v9
	;; [unrolled: 1-line block ×14, first 2 shown]
	v_mad_u32_u24 v2, v0, 15, 14
	v_mad_u32_u24 v56, v0, 15, 13
	;; [unrolled: 1-line block ×14, first 2 shown]
	s_cbranch_vccz .LBB942_84
; %bb.80:
	v_add_co_u32_e32 v58, vcc, -4, v39
	v_addc_co_u32_e32 v59, vcc, -1, v41, vcc
	flat_load_dword v60, v[58:59]
	v_mov_b32_e32 v3, 0
	v_cmp_gt_u64_e32 vcc, s[48:49], v[2:3]
	v_mov_b32_e32 v57, v3
	s_and_b64 s[30:31], vcc, s[30:31]
	v_cmp_gt_u64_e32 vcc, s[48:49], v[56:57]
	v_mov_b32_e32 v55, v3
	s_and_b64 s[28:29], vcc, s[28:29]
	;; [unrolled: 3-line block ×13, first 2 shown]
	v_cmp_gt_u64_e32 vcc, s[48:49], v[4:5]
	v_lshlrev_b32_e32 v59, 2, v0
	v_mul_u32_u24_e32 v58, 15, v0
	s_and_b64 s[4:5], vcc, s[4:5]
	ds_write_b32 v59, v1
	s_waitcnt lgkmcnt(0)
	s_barrier
	s_and_saveexec_b64 s[42:43], s[2:3]
	s_cbranch_execz .LBB942_82
; %bb.81:
	v_add_u32_e32 v5, -4, v59
	s_waitcnt vmcnt(0)
	ds_read_b32 v60, v5
.LBB942_82:
	s_or_b64 exec, exec, s[42:43]
	v_mov_b32_e32 v59, v3
	v_cndmask_b32_e64 v79, 0, 1, s[4:5]
	v_cmp_gt_u64_e32 vcc, s[48:49], v[58:59]
	s_waitcnt vmcnt(0) lgkmcnt(0)
	v_cmp_ne_u32_e64 s[4:5], v60, v20
	v_cndmask_b32_e64 v66, 0, 1, s[30:31]
	v_cndmask_b32_e64 v67, 0, 1, s[28:29]
	;; [unrolled: 1-line block ×13, first 2 shown]
	s_and_b64 s[4:5], vcc, s[4:5]
	s_mov_b64 s[42:43], -1
.LBB942_83:
                                        ; implicit-def: $sgpr10
	v_mov_b32_e32 v82, s10
	s_and_saveexec_b64 s[2:3], s[42:43]
	s_cbranch_execnz .LBB942_88
	s_branch .LBB942_89
.LBB942_84:
                                        ; implicit-def: $sgpr4_sgpr5
                                        ; implicit-def: $vgpr66
                                        ; implicit-def: $vgpr67
                                        ; implicit-def: $vgpr68
                                        ; implicit-def: $vgpr69
                                        ; implicit-def: $vgpr70
                                        ; implicit-def: $vgpr71
                                        ; implicit-def: $vgpr72
                                        ; implicit-def: $vgpr73
                                        ; implicit-def: $vgpr74
                                        ; implicit-def: $vgpr75
                                        ; implicit-def: $vgpr76
                                        ; implicit-def: $vgpr77
                                        ; implicit-def: $vgpr78
                                        ; implicit-def: $vgpr79
	s_cbranch_execz .LBB942_83
; %bb.85:
	v_mov_b32_e32 v3, 0
	v_cmp_gt_u64_e32 vcc, s[48:49], v[2:3]
	v_cmp_ne_u32_e64 s[4:5], v9, v1
	s_and_b64 s[4:5], vcc, s[4:5]
	v_mov_b32_e32 v57, v3
	v_cndmask_b32_e64 v66, 0, 1, s[4:5]
	v_cmp_gt_u64_e32 vcc, s[48:49], v[56:57]
	v_cmp_ne_u32_e64 s[4:5], v8, v9
	s_and_b64 s[4:5], vcc, s[4:5]
	v_mov_b32_e32 v55, v3
	v_cndmask_b32_e64 v67, 0, 1, s[4:5]
	;; [unrolled: 5-line block ×13, first 2 shown]
	v_cmp_gt_u64_e32 vcc, s[48:49], v[4:5]
	v_cmp_ne_u32_e64 s[4:5], v20, v21
	s_and_b64 s[4:5], vcc, s[4:5]
	v_lshlrev_b32_e32 v58, 2, v0
	s_mov_b32 s10, 1
	v_cndmask_b32_e64 v79, 0, 1, s[4:5]
	ds_write_b32 v58, v1
	s_waitcnt lgkmcnt(0)
	s_barrier
	s_waitcnt lgkmcnt(0)
                                        ; implicit-def: $sgpr4_sgpr5
	s_and_saveexec_b64 s[6:7], s[2:3]
	s_cbranch_execz .LBB942_170
; %bb.86:
	v_add_u32_e32 v2, -4, v58
	ds_read_b32 v4, v2
	v_mul_u32_u24_e32 v2, 15, v0
	v_cmp_gt_u64_e32 vcc, s[48:49], v[2:3]
	s_or_b64 s[42:43], s[42:43], exec
	s_waitcnt lgkmcnt(0)
	v_cmp_ne_u32_e64 s[2:3], v4, v20
	s_and_b64 s[2:3], vcc, s[2:3]
	s_and_b64 s[4:5], s[2:3], exec
	s_or_b64 exec, exec, s[6:7]
.LBB942_87:
	v_mov_b32_e32 v82, s10
	s_and_saveexec_b64 s[2:3], s[42:43]
.LBB942_88:
	v_cndmask_b32_e64 v82, 0, 1, s[4:5]
.LBB942_89:
	s_or_b64 exec, exec, s[2:3]
	s_cmp_eq_u64 s[38:39], 0
	v_add3_u32 v2, v79, v82, v78
	s_cselect_b64 s[38:39], -1, 0
	s_cmp_lg_u32 s58, 0
	v_cmp_eq_u32_e64 s[26:27], 0, v79
	v_cmp_eq_u32_e64 s[24:25], 0, v78
	;; [unrolled: 1-line block ×3, first 2 shown]
	v_add3_u32 v86, v2, v77, v76
	v_cmp_eq_u32_e64 s[20:21], 0, v76
	v_cmp_eq_u32_e64 s[18:19], 0, v75
	;; [unrolled: 1-line block ×10, first 2 shown]
	v_cmp_eq_u32_e32 vcc, 0, v66
	v_mbcnt_lo_u32_b32 v85, -1, 0
	v_lshrrev_b32_e32 v83, 6, v0
	v_or_b32_e32 v84, 63, v0
	s_cbranch_scc0 .LBB942_116
; %bb.90:
	v_cndmask_b32_e64 v2, 0, v34, s[26:27]
	v_add_u32_e32 v2, v2, v35
	v_cndmask_b32_e64 v2, 0, v2, s[24:25]
	v_add_u32_e32 v2, v2, v32
	;; [unrolled: 2-line block ×11, first 2 shown]
	v_cndmask_b32_e64 v2, 0, v2, s[4:5]
	v_add3_u32 v3, v86, v75, v74
	v_add_u32_e32 v2, v2, v22
	v_add3_u32 v3, v3, v73, v72
	v_cndmask_b32_e64 v2, 0, v2, s[2:3]
	v_add3_u32 v3, v3, v71, v70
	v_add_u32_e32 v2, v2, v23
	v_add3_u32 v3, v3, v69, v68
	v_cndmask_b32_e32 v2, 0, v2, vcc
	v_add3_u32 v3, v3, v67, v66
	v_add_u32_e32 v2, v2, v80
	v_mbcnt_hi_u32_b32 v39, -1, v85
	v_and_b32_e32 v4, 15, v39
	v_mov_b32_dpp v6, v2 row_shr:1 row_mask:0xf bank_mask:0xf
	v_cmp_eq_u32_e32 vcc, 0, v3
	v_mov_b32_dpp v5, v3 row_shr:1 row_mask:0xf bank_mask:0xf
	v_cndmask_b32_e32 v6, 0, v6, vcc
	v_cmp_eq_u32_e32 vcc, 0, v4
	v_cndmask_b32_e64 v5, v5, 0, vcc
	v_add_u32_e32 v3, v5, v3
	v_cndmask_b32_e64 v5, v6, 0, vcc
	v_add_u32_e32 v2, v5, v2
	v_cmp_eq_u32_e32 vcc, 0, v3
	v_mov_b32_dpp v5, v3 row_shr:2 row_mask:0xf bank_mask:0xf
	v_cmp_lt_u32_e64 s[28:29], 1, v4
	v_mov_b32_dpp v6, v2 row_shr:2 row_mask:0xf bank_mask:0xf
	v_cndmask_b32_e64 v5, 0, v5, s[28:29]
	s_and_b64 vcc, s[28:29], vcc
	v_cndmask_b32_e32 v6, 0, v6, vcc
	v_add_u32_e32 v3, v3, v5
	v_add_u32_e32 v2, v6, v2
	v_cmp_eq_u32_e32 vcc, 0, v3
	v_mov_b32_dpp v5, v3 row_shr:4 row_mask:0xf bank_mask:0xf
	v_cmp_lt_u32_e64 s[28:29], 3, v4
	v_mov_b32_dpp v6, v2 row_shr:4 row_mask:0xf bank_mask:0xf
	v_cndmask_b32_e64 v5, 0, v5, s[28:29]
	s_and_b64 vcc, s[28:29], vcc
	v_cndmask_b32_e32 v6, 0, v6, vcc
	v_add_u32_e32 v3, v5, v3
	v_add_u32_e32 v2, v2, v6
	v_cmp_eq_u32_e32 vcc, 0, v3
	v_cmp_lt_u32_e64 s[28:29], 7, v4
	v_mov_b32_dpp v5, v3 row_shr:8 row_mask:0xf bank_mask:0xf
	v_mov_b32_dpp v6, v2 row_shr:8 row_mask:0xf bank_mask:0xf
	s_and_b64 vcc, s[28:29], vcc
	v_cndmask_b32_e64 v4, 0, v5, s[28:29]
	v_cndmask_b32_e32 v5, 0, v6, vcc
	v_add_u32_e32 v2, v5, v2
	v_add_u32_e32 v3, v4, v3
	v_bfe_i32 v6, v39, 4, 1
	v_mov_b32_dpp v5, v2 row_bcast:15 row_mask:0xf bank_mask:0xf
	v_mov_b32_dpp v4, v3 row_bcast:15 row_mask:0xf bank_mask:0xf
	v_cmp_eq_u32_e32 vcc, 0, v3
	v_cndmask_b32_e32 v5, 0, v5, vcc
	v_and_b32_e32 v4, v6, v4
	v_add_u32_e32 v3, v4, v3
	v_and_b32_e32 v4, v6, v5
	v_add_u32_e32 v4, v4, v2
	v_mov_b32_dpp v2, v3 row_bcast:31 row_mask:0xf bank_mask:0xf
	v_cmp_eq_u32_e32 vcc, 0, v3
	v_cmp_lt_u32_e64 s[28:29], 31, v39
	v_mov_b32_dpp v5, v4 row_bcast:31 row_mask:0xf bank_mask:0xf
	v_cndmask_b32_e64 v2, 0, v2, s[28:29]
	s_and_b64 vcc, s[28:29], vcc
	v_add_u32_e32 v2, v2, v3
	v_cndmask_b32_e32 v3, 0, v5, vcc
	v_add_u32_e32 v3, v3, v4
	v_cmp_eq_u32_e32 vcc, v84, v0
	v_lshlrev_b32_e32 v4, 3, v83
	s_and_saveexec_b64 s[28:29], vcc
	s_cbranch_execz .LBB942_92
; %bb.91:
	ds_write_b64 v4, v[2:3] offset:2064
.LBB942_92:
	s_or_b64 exec, exec, s[28:29]
	v_cmp_gt_u32_e32 vcc, 4, v0
	s_waitcnt lgkmcnt(0)
	s_barrier
	s_and_saveexec_b64 s[30:31], vcc
	s_cbranch_execz .LBB942_94
; %bb.93:
	v_lshlrev_b32_e32 v5, 3, v0
	ds_read_b64 v[6:7], v5 offset:2064
	v_and_b32_e32 v36, 3, v39
	v_cmp_lt_u32_e64 s[28:29], 1, v36
	s_waitcnt lgkmcnt(0)
	v_mov_b32_dpp v38, v7 row_shr:1 row_mask:0xf bank_mask:0xf
	v_cmp_eq_u32_e32 vcc, 0, v6
	v_mov_b32_dpp v37, v6 row_shr:1 row_mask:0xf bank_mask:0xf
	v_cndmask_b32_e32 v38, 0, v38, vcc
	v_cmp_eq_u32_e32 vcc, 0, v36
	v_cndmask_b32_e64 v37, v37, 0, vcc
	v_add_u32_e32 v6, v37, v6
	v_cndmask_b32_e64 v37, v38, 0, vcc
	v_add_u32_e32 v7, v37, v7
	v_cmp_eq_u32_e32 vcc, 0, v6
	v_mov_b32_dpp v37, v6 row_shr:2 row_mask:0xf bank_mask:0xf
	v_mov_b32_dpp v38, v7 row_shr:2 row_mask:0xf bank_mask:0xf
	v_cndmask_b32_e64 v36, 0, v37, s[28:29]
	s_and_b64 vcc, s[28:29], vcc
	v_add_u32_e32 v6, v36, v6
	v_cndmask_b32_e32 v36, 0, v38, vcc
	v_add_u32_e32 v7, v36, v7
	ds_write_b64 v5, v[6:7] offset:2064
.LBB942_94:
	s_or_b64 exec, exec, s[30:31]
	v_cmp_gt_u32_e32 vcc, 64, v0
	v_cmp_lt_u32_e64 s[28:29], 63, v0
	v_mov_b32_e32 v36, 0
	v_mov_b32_e32 v37, 0
	s_waitcnt lgkmcnt(0)
	s_barrier
	s_and_saveexec_b64 s[30:31], s[28:29]
	s_cbranch_execz .LBB942_96
; %bb.95:
	ds_read_b64 v[36:37], v4 offset:2056
	v_cmp_eq_u32_e64 s[28:29], 0, v2
	s_waitcnt lgkmcnt(0)
	v_add_u32_e32 v4, v36, v2
	v_cndmask_b32_e64 v2, 0, v37, s[28:29]
	v_add_u32_e32 v3, v2, v3
	v_mov_b32_e32 v2, v4
.LBB942_96:
	s_or_b64 exec, exec, s[30:31]
	v_add_u32_e32 v4, -1, v39
	v_and_b32_e32 v5, 64, v39
	v_cmp_lt_i32_e64 s[28:29], v4, v5
	v_cndmask_b32_e64 v4, v4, v39, s[28:29]
	v_lshlrev_b32_e32 v4, 2, v4
	ds_bpermute_b32 v44, v4, v2
	ds_bpermute_b32 v45, v4, v3
	v_cmp_eq_u32_e64 s[28:29], 0, v39
	s_and_saveexec_b64 s[42:43], vcc
	s_cbranch_execz .LBB942_115
; %bb.97:
	v_mov_b32_e32 v7, 0
	ds_read_b64 v[2:3], v7 offset:2088
	s_waitcnt lgkmcnt(0)
	v_readfirstlane_b32 s54, v2
	v_readfirstlane_b32 s55, v3
	s_and_saveexec_b64 s[30:31], s[28:29]
	s_cbranch_execz .LBB942_99
; %bb.98:
	s_add_i32 s48, s58, 64
	s_mov_b32 s49, 0
	s_lshl_b64 s[56:57], s[48:49], 4
	s_add_u32 s56, s36, s56
	s_addc_u32 s57, s37, s57
	s_and_b32 s61, s55, 0xff000000
	s_mov_b32 s60, s49
	s_and_b32 s63, s55, 0xff0000
	s_mov_b32 s62, s49
	s_or_b64 s[60:61], s[62:63], s[60:61]
	s_and_b32 s63, s55, 0xff00
	s_or_b64 s[60:61], s[60:61], s[62:63]
	s_and_b32 s63, s55, 0xff
	s_or_b64 s[48:49], s[60:61], s[62:63]
	v_mov_b32_e32 v4, s54
	v_mov_b32_e32 v5, s49
	v_mov_b32_e32 v6, 1
	v_pk_mov_b32 v[2:3], s[56:57], s[56:57] op_sel:[0,1]
	;;#ASMSTART
	global_store_dwordx4 v[2:3], v[4:7] off	
s_waitcnt vmcnt(0)
	;;#ASMEND
.LBB942_99:
	s_or_b64 exec, exec, s[30:31]
	v_xad_u32 v38, v39, -1, s58
	v_add_u32_e32 v6, 64, v38
	v_lshlrev_b64 v[2:3], 4, v[6:7]
	v_mov_b32_e32 v4, s37
	v_add_co_u32_e32 v40, vcc, s36, v2
	v_addc_co_u32_e32 v41, vcc, v4, v3, vcc
	;;#ASMSTART
	global_load_dwordx4 v[2:5], v[40:41] off glc	
s_waitcnt vmcnt(0)
	;;#ASMEND
	v_and_b32_e32 v5, 0xff, v3
	v_and_b32_e32 v6, 0xff00, v3
	;; [unrolled: 1-line block ×3, first 2 shown]
	v_or3_b32 v5, 0, v5, v6
	v_or3_b32 v2, v2, 0, 0
	v_and_b32_e32 v3, 0xff000000, v3
	v_or3_b32 v3, v5, v42, v3
	v_or3_b32 v2, v2, 0, 0
	v_cmp_eq_u16_sdwa s[48:49], v4, v7 src0_sel:BYTE_0 src1_sel:DWORD
	s_and_saveexec_b64 s[30:31], s[48:49]
	s_cbranch_execz .LBB942_103
; %bb.100:
	s_mov_b64 s[48:49], 0
	v_mov_b32_e32 v6, 0
.LBB942_101:                            ; =>This Inner Loop Header: Depth=1
	;;#ASMSTART
	global_load_dwordx4 v[2:5], v[40:41] off glc	
s_waitcnt vmcnt(0)
	;;#ASMEND
	v_cmp_ne_u16_sdwa s[56:57], v4, v6 src0_sel:BYTE_0 src1_sel:DWORD
	s_or_b64 s[48:49], s[56:57], s[48:49]
	s_andn2_b64 exec, exec, s[48:49]
	s_cbranch_execnz .LBB942_101
; %bb.102:
	s_or_b64 exec, exec, s[48:49]
.LBB942_103:
	s_or_b64 exec, exec, s[30:31]
	v_mov_b32_e32 v46, 2
	v_cmp_eq_u16_sdwa s[30:31], v4, v46 src0_sel:BYTE_0 src1_sel:DWORD
	v_lshlrev_b64 v[40:41], v39, -1
	v_and_b32_e32 v5, s31, v41
	v_and_b32_e32 v47, 63, v39
	v_or_b32_e32 v5, 0x80000000, v5
	v_cmp_ne_u32_e32 vcc, 63, v47
	v_and_b32_e32 v6, s30, v40
	v_ffbl_b32_e32 v5, v5
	v_addc_co_u32_e32 v7, vcc, 0, v39, vcc
	v_add_u32_e32 v5, 32, v5
	v_ffbl_b32_e32 v6, v6
	v_lshlrev_b32_e32 v48, 2, v7
	v_min_u32_e32 v5, v6, v5
	ds_bpermute_b32 v6, v48, v3
	v_cmp_eq_u32_e32 vcc, 0, v2
	v_cmp_lt_u32_e64 s[30:31], v47, v5
	ds_bpermute_b32 v7, v48, v2
	s_and_b64 vcc, s[30:31], vcc
	s_waitcnt lgkmcnt(1)
	v_cndmask_b32_e32 v6, 0, v6, vcc
	v_cmp_gt_u32_e32 vcc, 62, v47
	v_add_u32_e32 v3, v6, v3
	v_cndmask_b32_e64 v6, 0, 1, vcc
	v_lshlrev_b32_e32 v6, 1, v6
	v_add_lshl_u32 v49, v6, v39, 2
	s_waitcnt lgkmcnt(0)
	v_cndmask_b32_e64 v7, 0, v7, s[30:31]
	ds_bpermute_b32 v6, v49, v3
	v_add_u32_e32 v2, v7, v2
	ds_bpermute_b32 v7, v49, v2
	v_add_u32_e32 v50, 2, v47
	v_cmp_eq_u32_e32 vcc, 0, v2
	s_waitcnt lgkmcnt(1)
	v_cndmask_b32_e32 v6, 0, v6, vcc
	v_cmp_gt_u32_e32 vcc, v50, v5
	v_cndmask_b32_e64 v6, v6, 0, vcc
	v_add_u32_e32 v3, v6, v3
	s_waitcnt lgkmcnt(0)
	v_cndmask_b32_e64 v6, v7, 0, vcc
	v_cmp_gt_u32_e32 vcc, 60, v47
	v_cndmask_b32_e64 v7, 0, 1, vcc
	v_lshlrev_b32_e32 v7, 2, v7
	v_add_lshl_u32 v51, v7, v39, 2
	ds_bpermute_b32 v7, v51, v3
	v_add_u32_e32 v2, v2, v6
	ds_bpermute_b32 v6, v51, v2
	v_add_u32_e32 v52, 4, v47
	v_cmp_eq_u32_e32 vcc, 0, v2
	s_waitcnt lgkmcnt(1)
	v_cndmask_b32_e32 v7, 0, v7, vcc
	v_cmp_gt_u32_e32 vcc, v52, v5
	v_cndmask_b32_e64 v7, v7, 0, vcc
	s_waitcnt lgkmcnt(0)
	v_cndmask_b32_e64 v6, v6, 0, vcc
	v_cmp_gt_u32_e32 vcc, 56, v47
	v_add_u32_e32 v3, v3, v7
	v_cndmask_b32_e64 v7, 0, 1, vcc
	v_lshlrev_b32_e32 v7, 3, v7
	v_add_lshl_u32 v53, v7, v39, 2
	ds_bpermute_b32 v7, v53, v3
	v_add_u32_e32 v2, v2, v6
	ds_bpermute_b32 v6, v53, v2
	v_add_u32_e32 v54, 8, v47
	v_cmp_eq_u32_e32 vcc, 0, v2
	s_waitcnt lgkmcnt(1)
	v_cndmask_b32_e32 v7, 0, v7, vcc
	v_cmp_gt_u32_e32 vcc, v54, v5
	v_cndmask_b32_e64 v7, v7, 0, vcc
	s_waitcnt lgkmcnt(0)
	v_cndmask_b32_e64 v6, v6, 0, vcc
	v_cmp_gt_u32_e32 vcc, 48, v47
	v_add_u32_e32 v3, v3, v7
	;; [unrolled: 16-line block ×3, first 2 shown]
	v_cndmask_b32_e64 v7, 0, 1, vcc
	v_lshlrev_b32_e32 v7, 5, v7
	v_add_lshl_u32 v57, v7, v39, 2
	ds_bpermute_b32 v7, v57, v3
	v_add_u32_e32 v2, v2, v6
	ds_bpermute_b32 v6, v57, v2
	v_add_u32_e32 v58, 32, v47
	v_cmp_eq_u32_e32 vcc, 0, v2
	s_waitcnt lgkmcnt(1)
	v_cndmask_b32_e32 v7, 0, v7, vcc
	v_cmp_gt_u32_e32 vcc, v58, v5
	v_cndmask_b32_e64 v5, v7, 0, vcc
	v_add_u32_e32 v3, v5, v3
	s_waitcnt lgkmcnt(0)
	v_cndmask_b32_e64 v5, v6, 0, vcc
	v_add_u32_e32 v2, v5, v2
	v_mov_b32_e32 v39, 0
	s_branch .LBB942_105
.LBB942_104:                            ;   in Loop: Header=BB942_105 Depth=1
	s_or_b64 exec, exec, s[30:31]
	v_cmp_eq_u16_sdwa s[30:31], v4, v46 src0_sel:BYTE_0 src1_sel:DWORD
	v_and_b32_e32 v5, s31, v41
	v_or_b32_e32 v5, 0x80000000, v5
	v_and_b32_e32 v42, s30, v40
	v_ffbl_b32_e32 v5, v5
	v_add_u32_e32 v5, 32, v5
	v_ffbl_b32_e32 v42, v42
	v_min_u32_e32 v5, v42, v5
	ds_bpermute_b32 v42, v48, v3
	v_cmp_eq_u32_e32 vcc, 0, v2
	v_cmp_lt_u32_e64 s[30:31], v47, v5
	ds_bpermute_b32 v43, v48, v2
	s_and_b64 vcc, s[30:31], vcc
	s_waitcnt lgkmcnt(1)
	v_cndmask_b32_e32 v42, 0, v42, vcc
	v_add_u32_e32 v3, v42, v3
	ds_bpermute_b32 v42, v49, v3
	s_waitcnt lgkmcnt(1)
	v_cndmask_b32_e64 v43, 0, v43, s[30:31]
	v_add_u32_e32 v2, v43, v2
	v_cmp_eq_u32_e32 vcc, 0, v2
	ds_bpermute_b32 v43, v49, v2
	s_waitcnt lgkmcnt(1)
	v_cndmask_b32_e32 v42, 0, v42, vcc
	v_cmp_gt_u32_e32 vcc, v50, v5
	v_cndmask_b32_e64 v42, v42, 0, vcc
	v_add_u32_e32 v3, v42, v3
	ds_bpermute_b32 v42, v51, v3
	s_waitcnt lgkmcnt(1)
	v_cndmask_b32_e64 v43, v43, 0, vcc
	v_add_u32_e32 v2, v2, v43
	v_cmp_eq_u32_e32 vcc, 0, v2
	ds_bpermute_b32 v43, v51, v2
	s_waitcnt lgkmcnt(1)
	v_cndmask_b32_e32 v42, 0, v42, vcc
	v_cmp_gt_u32_e32 vcc, v52, v5
	v_cndmask_b32_e64 v42, v42, 0, vcc
	v_add_u32_e32 v3, v3, v42
	ds_bpermute_b32 v42, v53, v3
	s_waitcnt lgkmcnt(1)
	v_cndmask_b32_e64 v43, v43, 0, vcc
	v_add_u32_e32 v2, v2, v43
	ds_bpermute_b32 v43, v53, v2
	v_cmp_eq_u32_e32 vcc, 0, v2
	s_waitcnt lgkmcnt(1)
	v_cndmask_b32_e32 v42, 0, v42, vcc
	v_cmp_gt_u32_e32 vcc, v54, v5
	v_cndmask_b32_e64 v42, v42, 0, vcc
	v_add_u32_e32 v3, v3, v42
	ds_bpermute_b32 v42, v55, v3
	s_waitcnt lgkmcnt(1)
	v_cndmask_b32_e64 v43, v43, 0, vcc
	v_add_u32_e32 v2, v2, v43
	ds_bpermute_b32 v43, v55, v2
	v_cmp_eq_u32_e32 vcc, 0, v2
	s_waitcnt lgkmcnt(1)
	v_cndmask_b32_e32 v42, 0, v42, vcc
	v_cmp_gt_u32_e32 vcc, v56, v5
	v_cndmask_b32_e64 v42, v42, 0, vcc
	v_add_u32_e32 v3, v3, v42
	ds_bpermute_b32 v42, v57, v3
	s_waitcnt lgkmcnt(1)
	v_cndmask_b32_e64 v43, v43, 0, vcc
	v_add_u32_e32 v2, v2, v43
	ds_bpermute_b32 v43, v57, v2
	v_cmp_eq_u32_e32 vcc, 0, v2
	s_waitcnt lgkmcnt(1)
	v_cndmask_b32_e32 v42, 0, v42, vcc
	v_cmp_gt_u32_e32 vcc, v58, v5
	v_cndmask_b32_e64 v5, v42, 0, vcc
	v_add_u32_e32 v3, v5, v3
	s_waitcnt lgkmcnt(0)
	v_cndmask_b32_e64 v5, v43, 0, vcc
	v_cmp_eq_u32_e32 vcc, 0, v6
	v_cndmask_b32_e32 v3, 0, v3, vcc
	v_subrev_u32_e32 v38, 64, v38
	v_add3_u32 v2, v2, v6, v5
	v_add_u32_e32 v3, v3, v7
.LBB942_105:                            ; =>This Loop Header: Depth=1
                                        ;     Child Loop BB942_108 Depth 2
	v_cmp_ne_u16_sdwa s[30:31], v4, v46 src0_sel:BYTE_0 src1_sel:DWORD
	v_mov_b32_e32 v7, v3
	v_cndmask_b32_e64 v3, 0, 1, s[30:31]
	;;#ASMSTART
	;;#ASMEND
	v_cmp_ne_u32_e32 vcc, 0, v3
	s_cmp_lg_u64 vcc, exec
	v_mov_b32_e32 v6, v2
	s_cbranch_scc1 .LBB942_110
; %bb.106:                              ;   in Loop: Header=BB942_105 Depth=1
	v_lshlrev_b64 v[2:3], 4, v[38:39]
	v_mov_b32_e32 v4, s37
	v_add_co_u32_e32 v42, vcc, s36, v2
	v_addc_co_u32_e32 v43, vcc, v4, v3, vcc
	;;#ASMSTART
	global_load_dwordx4 v[2:5], v[42:43] off glc	
s_waitcnt vmcnt(0)
	;;#ASMEND
	v_and_b32_e32 v5, 0xff, v3
	v_and_b32_e32 v59, 0xff00, v3
	;; [unrolled: 1-line block ×3, first 2 shown]
	v_or3_b32 v5, 0, v5, v59
	v_or3_b32 v2, v2, 0, 0
	v_and_b32_e32 v3, 0xff000000, v3
	v_or3_b32 v3, v5, v60, v3
	v_or3_b32 v2, v2, 0, 0
	v_cmp_eq_u16_sdwa s[48:49], v4, v39 src0_sel:BYTE_0 src1_sel:DWORD
	s_and_saveexec_b64 s[30:31], s[48:49]
	s_cbranch_execz .LBB942_104
; %bb.107:                              ;   in Loop: Header=BB942_105 Depth=1
	s_mov_b64 s[48:49], 0
.LBB942_108:                            ;   Parent Loop BB942_105 Depth=1
                                        ; =>  This Inner Loop Header: Depth=2
	;;#ASMSTART
	global_load_dwordx4 v[2:5], v[42:43] off glc	
s_waitcnt vmcnt(0)
	;;#ASMEND
	v_cmp_ne_u16_sdwa s[56:57], v4, v39 src0_sel:BYTE_0 src1_sel:DWORD
	s_or_b64 s[48:49], s[56:57], s[48:49]
	s_andn2_b64 exec, exec, s[48:49]
	s_cbranch_execnz .LBB942_108
; %bb.109:                              ;   in Loop: Header=BB942_105 Depth=1
	s_or_b64 exec, exec, s[48:49]
	s_branch .LBB942_104
.LBB942_110:                            ;   in Loop: Header=BB942_105 Depth=1
                                        ; implicit-def: $vgpr3
                                        ; implicit-def: $vgpr2
                                        ; implicit-def: $vgpr4
	s_cbranch_execz .LBB942_105
; %bb.111:
	s_and_saveexec_b64 s[30:31], s[28:29]
	s_cbranch_execz .LBB942_113
; %bb.112:
	s_cmp_eq_u32 s54, 0
	s_cselect_b64 vcc, -1, 0
	s_mov_b32 s49, 0
	v_cndmask_b32_e32 v2, 0, v7, vcc
	s_add_i32 s48, s58, 64
	v_add_u32_e32 v2, s55, v2
	s_lshl_b64 s[48:49], s[48:49], 4
	s_add_u32 s48, s36, s48
	v_and_b32_e32 v3, 0xff000000, v2
	v_and_b32_e32 v4, 0xff0000, v2
	s_addc_u32 s49, s37, s49
	v_or_b32_e32 v3, v4, v3
	v_and_b32_e32 v4, 0xff00, v2
	v_and_b32_e32 v2, 0xff, v2
	v_add_u32_e32 v38, s54, v6
	v_mov_b32_e32 v41, 0
	v_or3_b32 v39, v3, v4, v2
	v_mov_b32_e32 v40, 2
	v_pk_mov_b32 v[2:3], s[48:49], s[48:49] op_sel:[0,1]
	;;#ASMSTART
	global_store_dwordx4 v[2:3], v[38:41] off	
s_waitcnt vmcnt(0)
	;;#ASMEND
	v_mov_b32_e32 v4, s54
	v_mov_b32_e32 v5, s55
	ds_write_b128 v41, v[4:7] offset:2048
.LBB942_113:
	s_or_b64 exec, exec, s[30:31]
	s_and_b64 exec, exec, s[0:1]
	s_cbranch_execz .LBB942_115
; %bb.114:
	v_mov_b32_e32 v2, 0
	ds_write_b64 v2, v[6:7] offset:2088
.LBB942_115:
	s_or_b64 exec, exec, s[42:43]
	v_mov_b32_e32 v4, 0
	s_waitcnt lgkmcnt(0)
	s_barrier
	ds_read_b64 v[2:3], v4 offset:2088
	v_cndmask_b32_e64 v6, v44, v36, s[28:29]
	v_cmp_eq_u32_e32 vcc, 0, v6
	v_cndmask_b32_e64 v5, v45, v37, s[28:29]
	s_waitcnt lgkmcnt(0)
	v_cndmask_b32_e32 v7, 0, v3, vcc
	v_add_u32_e32 v5, v7, v5
	v_cndmask_b32_e64 v65, v5, v3, s[0:1]
	v_cndmask_b32_e64 v3, v6, 0, s[0:1]
	v_cmp_eq_u32_e32 vcc, 0, v82
	v_add_u32_e32 v64, v2, v3
	v_cndmask_b32_e32 v2, 0, v65, vcc
	v_add_u32_e32 v63, v2, v34
	v_cndmask_b32_e64 v2, 0, v63, s[26:27]
	v_add_u32_e32 v61, v2, v35
	v_cndmask_b32_e64 v2, 0, v61, s[24:25]
	;; [unrolled: 2-line block ×8, first 2 shown]
	v_add_u32_e32 v62, v64, v82
	v_add_u32_e32 v47, v2, v26
	v_add_u32_e32 v60, v62, v79
	v_cndmask_b32_e64 v2, 0, v47, s[10:11]
	v_add_u32_e32 v58, v60, v78
	v_add_u32_e32 v45, v2, v27
	v_add_u32_e32 v56, v58, v77
	v_cndmask_b32_e64 v2, 0, v45, s[8:9]
	;; [unrolled: 4-line block ×3, first 2 shown]
	v_add_u32_e32 v50, v52, v74
	v_add_u32_e32 v41, v2, v25
	s_barrier
	ds_read_b128 v[2:5], v4 offset:2048
	v_add_u32_e32 v48, v50, v73
	v_add_u32_e32 v46, v48, v72
	;; [unrolled: 1-line block ×4, first 2 shown]
	v_cndmask_b32_e64 v6, 0, v41, s[4:5]
	v_add_u32_e32 v40, v42, v69
	v_add_u32_e32 v39, v6, v22
	s_waitcnt lgkmcnt(0)
	v_cmp_eq_u32_e32 vcc, 0, v2
	v_add_u32_e32 v38, v40, v68
	v_cndmask_b32_e64 v6, 0, v39, s[2:3]
	v_cndmask_b32_e32 v5, 0, v5, vcc
	v_add_u32_e32 v36, v38, v67
	v_add_u32_e32 v37, v6, v23
	;; [unrolled: 1-line block ×3, first 2 shown]
	s_branch .LBB942_128
.LBB942_116:
                                        ; implicit-def: $vgpr2
                                        ; implicit-def: $vgpr81
                                        ; implicit-def: $vgpr64_vgpr65
                                        ; implicit-def: $vgpr62_vgpr63
                                        ; implicit-def: $vgpr60_vgpr61
                                        ; implicit-def: $vgpr58_vgpr59
                                        ; implicit-def: $vgpr56_vgpr57
                                        ; implicit-def: $vgpr54_vgpr55
                                        ; implicit-def: $vgpr52_vgpr53
                                        ; implicit-def: $vgpr50_vgpr51
                                        ; implicit-def: $vgpr48_vgpr49
                                        ; implicit-def: $vgpr46_vgpr47
                                        ; implicit-def: $vgpr44_vgpr45
                                        ; implicit-def: $vgpr42_vgpr43
                                        ; implicit-def: $vgpr40_vgpr41
                                        ; implicit-def: $vgpr38_vgpr39
                                        ; implicit-def: $vgpr36_vgpr37
	s_cbranch_execz .LBB942_128
; %bb.117:
	s_and_b64 s[2:3], s[38:39], exec
	s_cselect_b32 s3, 0, s53
	s_cselect_b32 s2, 0, s52
	s_cmp_eq_u64 s[2:3], 0
	v_mov_b32_e32 v6, v34
	s_cbranch_scc1 .LBB942_119
; %bb.118:
	v_mov_b32_e32 v2, 0
	global_load_dword v6, v2, s[2:3]
.LBB942_119:
	v_cmp_eq_u32_e64 s[2:3], 0, v79
	v_cndmask_b32_e64 v2, 0, v34, s[2:3]
	v_add_u32_e32 v2, v2, v35
	v_cmp_eq_u32_e64 s[4:5], 0, v78
	v_cndmask_b32_e64 v2, 0, v2, s[4:5]
	v_add_u32_e32 v2, v2, v32
	;; [unrolled: 3-line block ×11, first 2 shown]
	v_cmp_eq_u32_e64 s[24:25], 0, v68
	v_cndmask_b32_e64 v2, 0, v2, s[24:25]
	v_add3_u32 v3, v86, v75, v74
	v_add_u32_e32 v2, v2, v22
	v_cmp_eq_u32_e32 vcc, 0, v67
	v_add3_u32 v3, v3, v73, v72
	v_cndmask_b32_e32 v2, 0, v2, vcc
	v_add3_u32 v3, v3, v71, v70
	v_add_u32_e32 v2, v2, v23
	v_cmp_eq_u32_e64 s[26:27], 0, v66
	v_add3_u32 v3, v3, v69, v68
	v_cndmask_b32_e64 v2, 0, v2, s[26:27]
	v_add3_u32 v3, v3, v67, v66
	v_add_u32_e32 v2, v2, v80
	v_mbcnt_hi_u32_b32 v7, -1, v85
	v_and_b32_e32 v4, 15, v7
	v_mov_b32_dpp v36, v2 row_shr:1 row_mask:0xf bank_mask:0xf
	v_cmp_eq_u32_e64 s[26:27], 0, v3
	v_mov_b32_dpp v5, v3 row_shr:1 row_mask:0xf bank_mask:0xf
	v_cndmask_b32_e64 v36, 0, v36, s[26:27]
	v_cmp_eq_u32_e64 s[26:27], 0, v4
	v_cndmask_b32_e64 v5, v5, 0, s[26:27]
	v_add_u32_e32 v3, v5, v3
	v_cndmask_b32_e64 v5, v36, 0, s[26:27]
	v_add_u32_e32 v2, v5, v2
	v_cmp_eq_u32_e64 s[26:27], 0, v3
	v_mov_b32_dpp v5, v3 row_shr:2 row_mask:0xf bank_mask:0xf
	v_cmp_lt_u32_e64 s[28:29], 1, v4
	v_mov_b32_dpp v36, v2 row_shr:2 row_mask:0xf bank_mask:0xf
	v_cndmask_b32_e64 v5, 0, v5, s[28:29]
	s_and_b64 s[26:27], s[28:29], s[26:27]
	v_cndmask_b32_e64 v36, 0, v36, s[26:27]
	v_add_u32_e32 v3, v3, v5
	v_add_u32_e32 v2, v36, v2
	v_cmp_eq_u32_e64 s[26:27], 0, v3
	v_mov_b32_dpp v5, v3 row_shr:4 row_mask:0xf bank_mask:0xf
	v_cmp_lt_u32_e64 s[28:29], 3, v4
	v_mov_b32_dpp v36, v2 row_shr:4 row_mask:0xf bank_mask:0xf
	v_cndmask_b32_e64 v5, 0, v5, s[28:29]
	s_and_b64 s[26:27], s[28:29], s[26:27]
	v_cndmask_b32_e64 v36, 0, v36, s[26:27]
	v_add_u32_e32 v3, v5, v3
	v_add_u32_e32 v2, v2, v36
	v_cmp_eq_u32_e64 s[26:27], 0, v3
	v_cmp_lt_u32_e64 s[28:29], 7, v4
	v_mov_b32_dpp v5, v3 row_shr:8 row_mask:0xf bank_mask:0xf
	v_mov_b32_dpp v36, v2 row_shr:8 row_mask:0xf bank_mask:0xf
	s_and_b64 s[26:27], s[28:29], s[26:27]
	v_cndmask_b32_e64 v4, 0, v5, s[28:29]
	v_cndmask_b32_e64 v5, 0, v36, s[26:27]
	v_add_u32_e32 v2, v5, v2
	v_add_u32_e32 v3, v4, v3
	v_bfe_i32 v36, v7, 4, 1
	v_mov_b32_dpp v5, v2 row_bcast:15 row_mask:0xf bank_mask:0xf
	v_mov_b32_dpp v4, v3 row_bcast:15 row_mask:0xf bank_mask:0xf
	v_cmp_eq_u32_e64 s[26:27], 0, v3
	v_cndmask_b32_e64 v5, 0, v5, s[26:27]
	v_and_b32_e32 v4, v36, v4
	v_add_u32_e32 v3, v4, v3
	v_and_b32_e32 v4, v36, v5
	v_add_u32_e32 v4, v4, v2
	v_mov_b32_dpp v2, v3 row_bcast:31 row_mask:0xf bank_mask:0xf
	v_cmp_eq_u32_e64 s[26:27], 0, v3
	v_cmp_lt_u32_e64 s[28:29], 31, v7
	v_mov_b32_dpp v5, v4 row_bcast:31 row_mask:0xf bank_mask:0xf
	v_cndmask_b32_e64 v2, 0, v2, s[28:29]
	s_and_b64 s[26:27], s[28:29], s[26:27]
	v_add_u32_e32 v2, v2, v3
	v_cndmask_b32_e64 v3, 0, v5, s[26:27]
	v_add_u32_e32 v3, v3, v4
	v_cmp_eq_u32_e64 s[26:27], v84, v0
	v_lshlrev_b32_e32 v5, 3, v83
	s_and_saveexec_b64 s[28:29], s[26:27]
	s_cbranch_execz .LBB942_121
; %bb.120:
	ds_write_b64 v5, v[2:3] offset:2064
.LBB942_121:
	s_or_b64 exec, exec, s[28:29]
	v_cmp_gt_u32_e64 s[26:27], 4, v0
	s_waitcnt lgkmcnt(0)
	s_barrier
	s_and_saveexec_b64 s[30:31], s[26:27]
	s_cbranch_execz .LBB942_123
; %bb.122:
	v_lshlrev_b32_e32 v4, 3, v0
	ds_read_b64 v[36:37], v4 offset:2064
	v_and_b32_e32 v38, 3, v7
	v_cmp_lt_u32_e64 s[28:29], 1, v38
	s_waitcnt lgkmcnt(0)
	v_mov_b32_dpp v40, v37 row_shr:1 row_mask:0xf bank_mask:0xf
	v_cmp_eq_u32_e64 s[26:27], 0, v36
	v_mov_b32_dpp v39, v36 row_shr:1 row_mask:0xf bank_mask:0xf
	v_cndmask_b32_e64 v40, 0, v40, s[26:27]
	v_cmp_eq_u32_e64 s[26:27], 0, v38
	v_cndmask_b32_e64 v39, v39, 0, s[26:27]
	v_add_u32_e32 v36, v39, v36
	v_cndmask_b32_e64 v39, v40, 0, s[26:27]
	v_add_u32_e32 v37, v39, v37
	v_cmp_eq_u32_e64 s[26:27], 0, v36
	v_mov_b32_dpp v39, v36 row_shr:2 row_mask:0xf bank_mask:0xf
	v_mov_b32_dpp v40, v37 row_shr:2 row_mask:0xf bank_mask:0xf
	v_cndmask_b32_e64 v38, 0, v39, s[28:29]
	s_and_b64 s[26:27], s[28:29], s[26:27]
	v_add_u32_e32 v36, v38, v36
	v_cndmask_b32_e64 v38, 0, v40, s[26:27]
	v_add_u32_e32 v37, v38, v37
	ds_write_b64 v4, v[36:37] offset:2064
.LBB942_123:
	s_or_b64 exec, exec, s[30:31]
	v_cmp_lt_u32_e64 s[26:27], 63, v0
	v_mov_b32_e32 v36, 0
	v_mov_b32_e32 v4, 0
	s_waitcnt vmcnt(0)
	v_mov_b32_e32 v37, v6
	s_waitcnt lgkmcnt(0)
	s_barrier
	s_and_saveexec_b64 s[28:29], s[26:27]
	s_cbranch_execz .LBB942_125
; %bb.124:
	ds_read_b64 v[4:5], v5 offset:2056
	s_waitcnt lgkmcnt(0)
	v_cmp_eq_u32_e64 s[26:27], 0, v4
	v_cndmask_b32_e64 v37, 0, v6, s[26:27]
	v_add_u32_e32 v37, v37, v5
.LBB942_125:
	s_or_b64 exec, exec, s[28:29]
	v_cmp_eq_u32_e64 s[26:27], 0, v2
	v_add_u32_e32 v5, v4, v2
	v_cndmask_b32_e64 v2, 0, v37, s[26:27]
	v_add_u32_e32 v2, v2, v3
	v_add_u32_e32 v3, -1, v7
	v_and_b32_e32 v38, 64, v7
	v_cmp_lt_i32_e64 s[26:27], v3, v38
	v_cndmask_b32_e64 v3, v3, v7, s[26:27]
	v_lshlrev_b32_e32 v3, 2, v3
	ds_bpermute_b32 v2, v3, v2
	ds_bpermute_b32 v5, v3, v5
	v_cmp_eq_u32_e64 s[26:27], 0, v7
	s_waitcnt lgkmcnt(1)
	v_cndmask_b32_e64 v2, v2, v37, s[26:27]
	s_waitcnt lgkmcnt(0)
	v_cndmask_b32_e64 v3, v5, v4, s[26:27]
	v_cndmask_b32_e64 v65, v2, v6, s[0:1]
	v_cmp_eq_u32_e64 s[26:27], 0, v82
	v_cndmask_b32_e64 v2, 0, v65, s[26:27]
	v_add_u32_e32 v63, v2, v34
	v_cndmask_b32_e64 v2, 0, v63, s[2:3]
	v_add_u32_e32 v61, v2, v35
	;; [unrolled: 2-line block ×8, first 2 shown]
	v_cndmask_b32_e64 v64, v3, 0, s[0:1]
	v_cndmask_b32_e64 v2, 0, v49, s[16:17]
	v_add_u32_e32 v62, v64, v82
	v_add_u32_e32 v47, v2, v26
	v_add_u32_e32 v60, v62, v79
	v_cndmask_b32_e64 v2, 0, v47, s[18:19]
	v_add_u32_e32 v58, v60, v78
	v_add_u32_e32 v45, v2, v27
	v_add_u32_e32 v56, v58, v77
	v_cndmask_b32_e64 v2, 0, v45, s[20:21]
	v_add_u32_e32 v54, v56, v76
	v_add_u32_e32 v43, v2, v24
	v_add_u32_e32 v52, v54, v75
	v_cndmask_b32_e64 v2, 0, v43, s[22:23]
	v_add_u32_e32 v50, v52, v74
	v_add_u32_e32 v41, v2, v25
	ds_read_b64 v[2:3], v36 offset:2088
	v_add_u32_e32 v48, v50, v73
	v_add_u32_e32 v46, v48, v72
	;; [unrolled: 1-line block ×3, first 2 shown]
	v_cndmask_b32_e64 v4, 0, v41, s[24:25]
	v_add_u32_e32 v42, v44, v70
	v_add_u32_e32 v39, v4, v22
	;; [unrolled: 1-line block ×3, first 2 shown]
	v_cndmask_b32_e32 v4, 0, v39, vcc
	s_waitcnt lgkmcnt(0)
	v_cmp_eq_u32_e32 vcc, 0, v2
	v_add_u32_e32 v38, v40, v68
	v_add_u32_e32 v37, v4, v23
	v_cndmask_b32_e32 v4, 0, v6, vcc
	v_add_u32_e32 v36, v38, v67
	v_add_u32_e32 v81, v4, v3
	s_and_saveexec_b64 s[2:3], s[0:1]
	s_cbranch_execz .LBB942_127
; %bb.126:
	s_add_u32 s4, s36, 0x400
	v_and_b32_e32 v3, 0xff000000, v81
	v_and_b32_e32 v4, 0xff0000, v81
	s_addc_u32 s5, s37, 0
	v_or_b32_e32 v3, v4, v3
	v_and_b32_e32 v4, 0xff00, v81
	v_and_b32_e32 v6, 0xff, v81
	v_mov_b32_e32 v5, 0
	v_or3_b32 v3, v3, v4, v6
	v_mov_b32_e32 v4, 2
	v_pk_mov_b32 v[6:7], s[4:5], s[4:5] op_sel:[0,1]
	;;#ASMSTART
	global_store_dwordx4 v[6:7], v[2:5] off	
s_waitcnt vmcnt(0)
	;;#ASMEND
.LBB942_127:
	s_or_b64 exec, exec, s[2:3]
	v_mov_b32_e32 v4, 0
.LBB942_128:
	s_and_b64 s[2:3], s[38:39], exec
	s_cselect_b32 s3, 0, s51
	s_cselect_b32 s2, 0, s50
	s_cmp_eq_u64 s[2:3], 0
	v_pk_mov_b32 v[6:7], 0, 0
	s_barrier
	s_cbranch_scc1 .LBB942_130
; %bb.129:
	v_mov_b32_e32 v3, 0
	global_load_dwordx2 v[6:7], v3, s[2:3]
.LBB942_130:
	s_movk_i32 s38, 0x100
	v_cmp_gt_u32_e32 vcc, s38, v2
	s_cbranch_vccnz .LBB942_137
; %bb.131:
	v_cmp_eq_u32_e64 s[28:29], 0, v79
	v_cndmask_b32_e64 v33, 1, 2, s[28:29]
	v_cmp_eq_u32_e64 s[28:29], 0, v82
	v_cmp_eq_u32_e64 s[26:27], 0, v78
	v_cndmask_b32_e64 v34, 1, 2, s[28:29]
	v_cmp_eq_u32_e64 s[24:25], 0, v77
	v_cndmask_b32_e64 v32, 1, 2, s[26:27]
	v_and_b32_e32 v33, v33, v34
	v_cmp_eq_u32_e64 s[22:23], 0, v76
	v_cndmask_b32_e64 v31, 1, 2, s[24:25]
	v_and_b32_e32 v32, v33, v32
	;; [unrolled: 3-line block ×11, first 2 shown]
	v_cmp_eq_u32_e32 vcc, 0, v66
	v_cndmask_b32_e64 v5, 1, 2, s[2:3]
	v_and_b32_e32 v22, v23, v22
	v_cndmask_b32_e64 v3, 1, 2, vcc
	v_and_b32_e32 v5, v22, v5
	v_and_b32_e32 v3, v5, v3
	v_cmp_ne_u32_e64 s[20:21], 0, v82
	v_cmp_ne_u32_e32 vcc, 0, v67
	v_cmp_ne_u32_e64 s[2:3], 0, v68
	v_cmp_ne_u32_e64 s[4:5], 0, v69
	;; [unrolled: 1-line block ×12, first 2 shown]
	v_cmp_gt_i16_e64 s[28:29], 2, v3
	s_and_saveexec_b64 s[30:31], s[28:29]
	s_cbranch_execz .LBB942_136
; %bb.132:
	v_cmp_ne_u16_e64 s[28:29], 1, v3
	s_mov_b64 s[36:37], 0
	s_and_saveexec_b64 s[42:43], s[28:29]
	s_xor_b64 s[28:29], exec, s[42:43]
	s_cbranch_execnz .LBB942_171
; %bb.133:
	s_andn2_saveexec_b64 s[2:3], s[28:29]
	s_cbranch_execnz .LBB942_187
.LBB942_134:
	s_or_b64 exec, exec, s[2:3]
	s_and_b64 exec, exec, s[36:37]
	s_cbranch_execz .LBB942_136
.LBB942_135:
	v_sub_u32_e32 v3, v36, v4
	v_lshlrev_b32_e32 v3, 2, v3
	ds_write_b32 v3, v1
.LBB942_136:
	s_or_b64 exec, exec, s[30:31]
	s_waitcnt lgkmcnt(0)
	s_barrier
.LBB942_137:
	s_cmpk_lg_i32 s33, 0xf00
	s_cselect_b64 s[2:3], -1, 0
	s_and_b64 s[0:1], s[0:1], s[34:35]
	v_cndmask_b32_e64 v9, v82, 0, s[0:1]
	s_mul_hi_u32 s0, s33, 0x88888889
	s_lshr_b32 s0, s0, 3
	v_mad_i32_i24 v10, v0, -15, s33
	v_cmp_eq_u32_e32 vcc, s0, v0
	v_cmp_ne_u32_e64 s[0:1], 0, v10
	v_cndmask_b32_e64 v11, 1, v9, s[0:1]
	v_cmp_ne_u32_e64 s[0:1], 1, v10
	v_cndmask_b32_e64 v12, 1, v79, s[0:1]
	;; [unrolled: 2-line block ×15, first 2 shown]
	s_and_b64 vcc, vcc, s[40:41]
	v_cndmask_b32_e32 v25, v66, v10, vcc
	v_cndmask_b32_e32 v29, v9, v11, vcc
	s_waitcnt vmcnt(0)
	v_lshlrev_b64 v[10:11], 2, v[6:7]
	v_mov_b32_e32 v5, 0
	v_cndmask_b32_e32 v24, v67, v24, vcc
	v_cndmask_b32_e32 v23, v68, v23, vcc
	v_cndmask_b32_e32 v22, v69, v22, vcc
	v_cndmask_b32_e32 v21, v70, v21, vcc
	v_cndmask_b32_e32 v20, v71, v20, vcc
	v_cndmask_b32_e32 v19, v72, v19, vcc
	v_cndmask_b32_e32 v18, v73, v18, vcc
	v_cndmask_b32_e32 v17, v74, v17, vcc
	v_cndmask_b32_e32 v16, v75, v16, vcc
	v_cndmask_b32_e32 v15, v76, v15, vcc
	v_cndmask_b32_e32 v26, v77, v14, vcc
	v_cndmask_b32_e32 v27, v78, v13, vcc
	v_cndmask_b32_e32 v28, v79, v12, vcc
	v_mov_b32_e32 v9, s45
	v_add_co_u32_e32 v12, vcc, s44, v10
	v_addc_co_u32_e32 v9, vcc, v9, v11, vcc
	v_lshlrev_b64 v[10:11], 2, v[4:5]
	v_cndmask_b32_e64 v1, 0, 1, s[34:35]
	v_add_co_u32_e32 v5, vcc, v12, v10
	v_addc_co_u32_e32 v12, vcc, v9, v11, vcc
	v_lshlrev_b32_e32 v9, 2, v1
	v_add_co_u32_e32 v9, vcc, v9, v5
	v_addc_co_u32_e32 v10, vcc, 0, v12, vcc
	v_add_co_u32_e32 v13, vcc, -4, v9
	v_addc_co_u32_e32 v14, vcc, -1, v10, vcc
	v_cmp_eq_u32_e32 vcc, 0, v29
	v_cndmask_b32_e64 v10, 1, 2, vcc
	v_cmp_eq_u32_e32 vcc, 0, v28
	v_cndmask_b32_e64 v11, 1, 2, vcc
	v_cmp_eq_u32_e32 vcc, 0, v27
	v_and_b32_e32 v10, v11, v10
	v_cndmask_b32_e64 v11, 1, 2, vcc
	v_cmp_eq_u32_e32 vcc, 0, v26
	v_and_b32_e32 v10, v10, v11
	;; [unrolled: 3-line block ×10, first 2 shown]
	v_cndmask_b32_e64 v11, 1, 2, vcc
	v_cmp_eq_u32_e32 vcc, 0, v23
	s_and_b64 s[2:3], s[2:3], s[40:41]
	v_and_b32_e32 v10, v10, v11
	v_cndmask_b32_e64 v11, 1, 2, vcc
	v_cmp_eq_u32_e32 vcc, 0, v24
	v_sub_u32_e32 v3, v2, v1
	v_cndmask_b32_e64 v8, 0, 1, s[2:3]
	v_and_b32_e32 v10, v10, v11
	v_cndmask_b32_e64 v11, 1, 2, vcc
	v_cmp_eq_u32_e32 vcc, 0, v25
	v_add_u32_e32 v3, v3, v8
	v_and_b32_e32 v10, v10, v11
	v_cndmask_b32_e64 v11, 1, 2, vcc
	v_and_b32_e32 v10, v10, v11
	v_cmp_gt_u32_e32 vcc, s38, v3
	v_add_u32_e32 v9, v4, v1
	v_cmp_ne_u32_e64 s[28:29], 0, v29
	v_cmp_ne_u32_e64 s[26:27], 0, v28
	;; [unrolled: 1-line block ×15, first 2 shown]
	s_mov_b64 s[34:35], -1
	v_cmp_gt_i16_e64 s[30:31], 2, v10
	s_barrier
	s_cbranch_vccz .LBB942_144
; %bb.138:
	s_and_saveexec_b64 s[34:35], s[30:31]
	s_cbranch_execz .LBB942_143
; %bb.139:
	v_cmp_ne_u16_e32 vcc, 1, v10
	s_mov_b64 s[36:37], 0
	s_and_saveexec_b64 s[30:31], vcc
	s_xor_b64 s[30:31], exec, s[30:31]
	s_cbranch_execnz .LBB942_188
; %bb.140:
	s_andn2_saveexec_b64 s[30:31], s[30:31]
	s_cbranch_execnz .LBB942_204
.LBB942_141:
	s_or_b64 exec, exec, s[30:31]
	s_and_b64 exec, exec, s[36:37]
	s_cbranch_execz .LBB942_143
.LBB942_142:
	v_sub_u32_e32 v16, v36, v9
	v_mov_b32_e32 v17, 0
	v_lshlrev_b64 v[16:17], 2, v[16:17]
	v_add_co_u32_e32 v16, vcc, v13, v16
	v_addc_co_u32_e32 v17, vcc, v14, v17, vcc
	global_store_dword v[16:17], v37, off
.LBB942_143:
	s_or_b64 exec, exec, s[34:35]
	s_mov_b64 s[34:35], 0
.LBB942_144:
	s_and_b64 vcc, exec, s[34:35]
	s_cbranch_vccz .LBB942_166
; %bb.145:
	v_cmp_gt_i16_e32 vcc, 2, v10
	s_and_saveexec_b64 s[30:31], vcc
	s_cbranch_execz .LBB942_150
; %bb.146:
	v_cmp_ne_u16_e32 vcc, 1, v10
	s_mov_b64 s[36:37], 0
	s_and_saveexec_b64 s[34:35], vcc
	s_xor_b64 s[34:35], exec, s[34:35]
	s_cbranch_execnz .LBB942_205
; %bb.147:
	s_andn2_saveexec_b64 s[0:1], s[34:35]
	s_cbranch_execnz .LBB942_221
.LBB942_148:
	s_or_b64 exec, exec, s[0:1]
	s_and_b64 exec, exec, s[36:37]
	s_cbranch_execz .LBB942_150
.LBB942_149:
	v_sub_u32_e32 v9, v36, v9
	v_lshlrev_b32_e32 v9, 2, v9
	ds_write_b32 v9, v37
.LBB942_150:
	s_or_b64 exec, exec, s[30:31]
	v_cmp_lt_u32_e32 vcc, v0, v3
	s_waitcnt lgkmcnt(0)
	s_barrier
	s_and_saveexec_b64 s[2:3], vcc
	s_cbranch_execz .LBB942_165
; %bb.151:
	v_add_u32_e32 v10, v2, v8
	v_xad_u32 v8, v0, -1, v10
	v_sub_u32_e32 v9, v8, v1
	s_movk_i32 s0, 0x1900
	v_cmp_gt_u32_e64 s[4:5], s0, v9
	s_movk_i32 s0, 0x18ff
	v_cmp_lt_u32_e32 vcc, s0, v9
	v_mov_b32_e32 v8, v0
	s_and_saveexec_b64 s[6:7], vcc
	s_cbranch_execz .LBB942_162
; %bb.152:
	v_sub_u32_e32 v8, v0, v10
	v_add_u32_e32 v1, v8, v1
	v_or_b32_e32 v1, 0xff, v1
	v_cmp_ge_u32_e32 vcc, v1, v0
	s_mov_b64 s[0:1], -1
	v_mov_b32_e32 v8, v0
	s_and_saveexec_b64 s[8:9], vcc
	s_cbranch_execz .LBB942_161
; %bb.153:
	v_lshrrev_b32_e32 v15, 8, v9
	v_add_u32_e32 v8, -1, v15
	v_or_b32_e32 v1, 0x100, v0
	v_lshrrev_b32_e32 v9, 1, v8
	v_add_u32_e32 v17, 1, v9
	v_cmp_lt_u32_e32 vcc, 13, v8
	v_mov_b32_e32 v20, 0
	v_lshlrev_b32_e32 v16, 2, v0
	v_pk_mov_b32 v[8:9], v[0:1], v[0:1] op_sel:[0,1]
	s_and_saveexec_b64 s[10:11], vcc
	s_cbranch_execz .LBB942_157
; %bb.154:
	v_and_b32_e32 v18, -8, v17
	s_mov_b32 s14, 0
	s_mov_b64 s[12:13], 0
	v_mov_b32_e32 v11, 0
	v_mov_b32_e32 v19, v16
	v_pk_mov_b32 v[8:9], v[0:1], v[0:1] op_sel:[0,1]
.LBB942_155:                            ; =>This Inner Loop Header: Depth=1
	v_mov_b32_e32 v10, v8
	v_add_u32_e32 v18, -8, v18
	v_lshlrev_b64 v[50:51], 2, v[10:11]
	v_mov_b32_e32 v10, v9
	ds_read2st64_b32 v[22:23], v19 offset1:4
	s_add_i32 s14, s14, 16
	v_cmp_eq_u32_e32 vcc, 0, v18
	v_lshlrev_b64 v[54:55], 2, v[10:11]
	v_add_u32_e32 v10, 0x200, v8
	s_or_b64 s[12:13], vcc, s[12:13]
	v_add_co_u32_e32 v54, vcc, v13, v54
	v_add_u32_e32 v20, 0x200, v9
	v_mov_b32_e32 v21, v11
	ds_read2st64_b32 v[24:25], v19 offset0:8 offset1:12
	ds_read2st64_b32 v[28:29], v19 offset0:16 offset1:20
	v_add_co_u32_e64 v50, s[0:1], v13, v50
	v_addc_co_u32_e32 v55, vcc, v14, v55, vcc
	v_lshlrev_b64 v[56:57], 2, v[10:11]
	v_lshlrev_b64 v[52:53], 2, v[20:21]
	v_addc_co_u32_e64 v51, s[0:1], v14, v51, s[0:1]
	v_add_u32_e32 v10, 0x400, v8
	v_add_co_u32_e32 v56, vcc, v13, v56
	v_add_u32_e32 v26, 0x400, v9
	v_mov_b32_e32 v27, v11
	ds_read2st64_b32 v[32:33], v19 offset0:24 offset1:28
	v_add_co_u32_e64 v52, s[0:1], v13, v52
	v_addc_co_u32_e32 v57, vcc, v14, v57, vcc
	v_lshlrev_b64 v[58:59], 2, v[10:11]
	ds_read2st64_b32 v[36:37], v19 offset0:32 offset1:36
	ds_read2st64_b32 v[40:41], v19 offset0:40 offset1:44
	;; [unrolled: 1-line block ×4, first 2 shown]
	v_lshlrev_b64 v[26:27], 2, v[26:27]
	v_addc_co_u32_e64 v53, s[0:1], v14, v53, s[0:1]
	v_add_u32_e32 v10, 0x600, v8
	s_waitcnt lgkmcnt(7)
	global_store_dword v[50:51], v22, off
	global_store_dword v[54:55], v23, off
	s_waitcnt lgkmcnt(6)
	global_store_dword v[56:57], v24, off
	global_store_dword v[52:53], v25, off
	v_add_co_u32_e32 v22, vcc, v13, v58
	v_add_u32_e32 v30, 0x600, v9
	v_mov_b32_e32 v31, v11
	v_add_co_u32_e64 v26, s[0:1], v13, v26
	v_addc_co_u32_e32 v23, vcc, v14, v59, vcc
	v_lshlrev_b64 v[24:25], 2, v[10:11]
	v_lshlrev_b64 v[30:31], 2, v[30:31]
	v_addc_co_u32_e64 v27, s[0:1], v14, v27, s[0:1]
	v_add_u32_e32 v10, 0x800, v8
	s_waitcnt lgkmcnt(5)
	global_store_dword v[22:23], v28, off
	global_store_dword v[26:27], v29, off
	v_add_co_u32_e32 v22, vcc, v13, v24
	v_add_u32_e32 v34, 0x800, v9
	v_mov_b32_e32 v35, v11
	v_add_co_u32_e64 v30, s[0:1], v13, v30
	v_addc_co_u32_e32 v23, vcc, v14, v25, vcc
	v_lshlrev_b64 v[24:25], 2, v[10:11]
	v_lshlrev_b64 v[34:35], 2, v[34:35]
	v_addc_co_u32_e64 v31, s[0:1], v14, v31, s[0:1]
	v_add_u32_e32 v10, 0xa00, v8
	;; [unrolled: 12-line block ×4, first 2 shown]
	s_waitcnt lgkmcnt(2)
	global_store_dword v[22:23], v40, off
	global_store_dword v[38:39], v41, off
	v_add_co_u32_e32 v22, vcc, v13, v24
	v_add_u32_e32 v46, 0xe00, v9
	v_mov_b32_e32 v47, v11
	v_add_co_u32_e64 v42, s[0:1], v13, v42
	v_addc_co_u32_e32 v23, vcc, v14, v25, vcc
	v_lshlrev_b64 v[24:25], 2, v[10:11]
	v_lshlrev_b64 v[46:47], 2, v[46:47]
	v_addc_co_u32_e64 v43, s[0:1], v14, v43, s[0:1]
	s_waitcnt lgkmcnt(1)
	global_store_dword v[22:23], v44, off
	global_store_dword v[42:43], v45, off
	v_add_co_u32_e32 v22, vcc, v13, v24
	v_add_u32_e32 v19, 0x4000, v19
	v_add_u32_e32 v9, 0x1000, v9
	v_mov_b32_e32 v20, s14
	v_add_co_u32_e64 v46, s[0:1], v13, v46
	v_add_u32_e32 v8, 0x1000, v8
	v_addc_co_u32_e32 v23, vcc, v14, v25, vcc
	v_addc_co_u32_e64 v47, s[0:1], v14, v47, s[0:1]
	s_waitcnt lgkmcnt(0)
	global_store_dword v[22:23], v48, off
	global_store_dword v[46:47], v49, off
	s_andn2_b64 exec, exec, s[12:13]
	s_cbranch_execnz .LBB942_155
; %bb.156:
	s_or_b64 exec, exec, s[12:13]
.LBB942_157:
	s_or_b64 exec, exec, s[10:11]
	v_and_b32_e32 v1, 7, v17
	v_cmp_ne_u32_e32 vcc, 0, v1
	s_and_saveexec_b64 s[10:11], vcc
	s_cbranch_execz .LBB942_160
; %bb.158:
	v_lshl_or_b32 v16, v20, 10, v16
	s_mov_b64 s[12:13], 0
	v_mov_b32_e32 v11, 0
.LBB942_159:                            ; =>This Inner Loop Header: Depth=1
	ds_read2st64_b32 v[18:19], v16 offset1:4
	v_mov_b32_e32 v10, v8
	v_add_u32_e32 v1, -1, v1
	v_lshlrev_b64 v[20:21], 2, v[10:11]
	v_mov_b32_e32 v10, v9
	v_cmp_eq_u32_e32 vcc, 0, v1
	v_add_co_u32_e64 v20, s[0:1], v13, v20
	v_lshlrev_b64 v[22:23], 2, v[10:11]
	v_add_u32_e32 v8, 0x200, v8
	v_add_u32_e32 v16, 0x800, v16
	;; [unrolled: 1-line block ×3, first 2 shown]
	v_addc_co_u32_e64 v21, s[0:1], v14, v21, s[0:1]
	s_or_b64 s[12:13], vcc, s[12:13]
	v_add_co_u32_e32 v22, vcc, v13, v22
	v_addc_co_u32_e32 v23, vcc, v14, v23, vcc
	s_waitcnt lgkmcnt(0)
	global_store_dword v[20:21], v18, off
	global_store_dword v[22:23], v19, off
	s_andn2_b64 exec, exec, s[12:13]
	s_cbranch_execnz .LBB942_159
.LBB942_160:
	s_or_b64 exec, exec, s[10:11]
	v_add_u32_e32 v1, 1, v15
	v_and_b32_e32 v9, 0x1fffffe, v1
	v_cmp_ne_u32_e32 vcc, v1, v9
	v_lshl_or_b32 v8, v9, 8, v0
	s_orn2_b64 s[0:1], vcc, exec
.LBB942_161:
	s_or_b64 exec, exec, s[8:9]
	s_andn2_b64 s[4:5], s[4:5], exec
	s_and_b64 s[0:1], s[0:1], exec
	s_or_b64 s[4:5], s[4:5], s[0:1]
.LBB942_162:
	s_or_b64 exec, exec, s[6:7]
	s_and_b64 exec, exec, s[4:5]
	s_cbranch_execz .LBB942_165
; %bb.163:
	v_lshlrev_b32_e32 v1, 2, v8
	s_mov_b64 s[0:1], 0
	v_mov_b32_e32 v9, 0
.LBB942_164:                            ; =>This Inner Loop Header: Depth=1
	v_lshlrev_b64 v[10:11], 2, v[8:9]
	ds_read_b32 v15, v1
	v_add_co_u32_e32 v10, vcc, v13, v10
	v_add_u32_e32 v8, 0x100, v8
	v_addc_co_u32_e32 v11, vcc, v14, v11, vcc
	v_cmp_ge_u32_e32 vcc, v8, v3
	v_add_u32_e32 v1, 0x400, v1
	s_or_b64 s[0:1], vcc, s[0:1]
	s_waitcnt lgkmcnt(0)
	global_store_dword v[10:11], v15, off
	s_andn2_b64 exec, exec, s[0:1]
	s_cbranch_execnz .LBB942_164
.LBB942_165:
	s_or_b64 exec, exec, s[2:3]
.LBB942_166:
	s_movk_i32 s0, 0xff
	v_cmp_eq_u32_e32 vcc, s0, v0
	s_and_b64 s[0:1], vcc, s[40:41]
	s_and_saveexec_b64 s[2:3], s[0:1]
	s_cbranch_execz .LBB942_169
; %bb.167:
	v_add_co_u32_e32 v0, vcc, v2, v4
	v_addc_co_u32_e64 v1, s[0:1], 0, 0, vcc
	v_add_co_u32_e32 v0, vcc, v0, v6
	v_mov_b32_e32 v3, 0
	v_addc_co_u32_e32 v1, vcc, v1, v7, vcc
	s_cmpk_lg_i32 s33, 0xf00
	global_store_dwordx2 v3, v[0:1], s[46:47]
	s_cbranch_scc1 .LBB942_169
; %bb.168:
	v_lshlrev_b64 v[0:1], 2, v[2:3]
	v_add_co_u32_e32 v0, vcc, v5, v0
	v_addc_co_u32_e32 v1, vcc, v12, v1, vcc
	global_store_dword v[0:1], v81, off offset:-4
.LBB942_169:
	s_endpgm
.LBB942_170:
	s_or_b64 exec, exec, s[6:7]
	v_mov_b32_e32 v82, s10
	s_and_saveexec_b64 s[2:3], s[42:43]
	s_cbranch_execnz .LBB942_88
	s_branch .LBB942_89
.LBB942_171:
	s_and_saveexec_b64 s[36:37], s[20:21]
	s_cbranch_execnz .LBB942_222
; %bb.172:
	s_or_b64 exec, exec, s[36:37]
	s_and_saveexec_b64 s[20:21], s[26:27]
	s_cbranch_execnz .LBB942_223
.LBB942_173:
	s_or_b64 exec, exec, s[20:21]
	s_and_saveexec_b64 s[20:21], s[24:25]
	s_cbranch_execnz .LBB942_224
.LBB942_174:
	s_or_b64 exec, exec, s[20:21]
	s_and_saveexec_b64 s[20:21], s[22:23]
	s_cbranch_execnz .LBB942_225
.LBB942_175:
	s_or_b64 exec, exec, s[20:21]
	s_and_saveexec_b64 s[20:21], s[18:19]
	s_cbranch_execnz .LBB942_226
.LBB942_176:
	s_or_b64 exec, exec, s[20:21]
	s_and_saveexec_b64 s[18:19], s[16:17]
	s_cbranch_execnz .LBB942_227
.LBB942_177:
	s_or_b64 exec, exec, s[18:19]
	s_and_saveexec_b64 s[16:17], s[14:15]
	s_cbranch_execnz .LBB942_228
.LBB942_178:
	s_or_b64 exec, exec, s[16:17]
	s_and_saveexec_b64 s[14:15], s[12:13]
	s_cbranch_execnz .LBB942_229
.LBB942_179:
	s_or_b64 exec, exec, s[14:15]
	s_and_saveexec_b64 s[12:13], s[10:11]
	s_cbranch_execnz .LBB942_230
.LBB942_180:
	s_or_b64 exec, exec, s[12:13]
	s_and_saveexec_b64 s[10:11], s[8:9]
	s_cbranch_execnz .LBB942_231
.LBB942_181:
	s_or_b64 exec, exec, s[10:11]
	s_and_saveexec_b64 s[8:9], s[6:7]
	s_cbranch_execnz .LBB942_232
.LBB942_182:
	s_or_b64 exec, exec, s[8:9]
	s_and_saveexec_b64 s[6:7], s[4:5]
	s_cbranch_execnz .LBB942_233
.LBB942_183:
	s_or_b64 exec, exec, s[6:7]
	s_and_saveexec_b64 s[4:5], s[2:3]
	s_cbranch_execnz .LBB942_234
.LBB942_184:
	s_or_b64 exec, exec, s[4:5]
	v_cmp_ne_u32_e64 s[2:3], 0, v66
	s_and_saveexec_b64 s[4:5], vcc
	s_cbranch_execz .LBB942_186
.LBB942_185:
	v_sub_u32_e32 v3, v38, v4
	v_lshlrev_b32_e32 v3, 2, v3
	ds_write_b32 v3, v9
.LBB942_186:
	s_or_b64 exec, exec, s[4:5]
	s_and_b64 s[36:37], s[2:3], exec
                                        ; implicit-def: $vgpr8
                                        ; implicit-def: $vgpr10
                                        ; implicit-def: $vgpr12
                                        ; implicit-def: $vgpr14
                                        ; implicit-def: $vgpr16
                                        ; implicit-def: $vgpr18
                                        ; implicit-def: $vgpr20
	s_andn2_saveexec_b64 s[2:3], s[28:29]
	s_cbranch_execz .LBB942_134
.LBB942_187:
	v_sub_u32_e32 v3, v64, v4
	v_lshlrev_b32_e32 v3, 2, v3
	ds_write_b32 v3, v20
	v_sub_u32_e32 v3, v62, v4
	v_lshlrev_b32_e32 v3, 2, v3
	ds_write_b32 v3, v21
	;; [unrolled: 3-line block ×13, first 2 shown]
	v_sub_u32_e32 v3, v38, v4
	v_lshlrev_b32_e32 v3, 2, v3
	s_or_b64 s[36:37], s[36:37], exec
	ds_write_b32 v3, v9
	s_or_b64 exec, exec, s[2:3]
	s_and_b64 exec, exec, s[36:37]
	s_cbranch_execnz .LBB942_135
	s_branch .LBB942_136
.LBB942_188:
	s_and_saveexec_b64 s[36:37], s[28:29]
	s_cbranch_execnz .LBB942_235
; %bb.189:
	s_or_b64 exec, exec, s[36:37]
	s_and_saveexec_b64 s[36:37], s[26:27]
	s_cbranch_execnz .LBB942_236
.LBB942_190:
	s_or_b64 exec, exec, s[36:37]
	s_and_saveexec_b64 s[36:37], s[24:25]
	s_cbranch_execnz .LBB942_237
.LBB942_191:
	s_or_b64 exec, exec, s[36:37]
	s_and_saveexec_b64 s[36:37], s[22:23]
	s_cbranch_execnz .LBB942_238
.LBB942_192:
	s_or_b64 exec, exec, s[36:37]
	s_and_saveexec_b64 s[36:37], s[20:21]
	s_cbranch_execnz .LBB942_239
.LBB942_193:
	s_or_b64 exec, exec, s[36:37]
	s_and_saveexec_b64 s[36:37], s[18:19]
	s_cbranch_execnz .LBB942_240
.LBB942_194:
	s_or_b64 exec, exec, s[36:37]
	s_and_saveexec_b64 s[36:37], s[16:17]
	s_cbranch_execnz .LBB942_241
.LBB942_195:
	s_or_b64 exec, exec, s[36:37]
	s_and_saveexec_b64 s[36:37], s[14:15]
	s_cbranch_execnz .LBB942_242
.LBB942_196:
	s_or_b64 exec, exec, s[36:37]
	s_and_saveexec_b64 s[36:37], s[12:13]
	s_cbranch_execnz .LBB942_243
.LBB942_197:
	s_or_b64 exec, exec, s[36:37]
	s_and_saveexec_b64 s[36:37], s[10:11]
	s_cbranch_execnz .LBB942_244
.LBB942_198:
	s_or_b64 exec, exec, s[36:37]
	s_and_saveexec_b64 s[36:37], s[8:9]
	s_cbranch_execnz .LBB942_245
.LBB942_199:
	s_or_b64 exec, exec, s[36:37]
	s_and_saveexec_b64 s[36:37], s[6:7]
	s_cbranch_execnz .LBB942_246
.LBB942_200:
	s_or_b64 exec, exec, s[36:37]
	s_and_saveexec_b64 s[36:37], s[4:5]
	s_cbranch_execnz .LBB942_247
.LBB942_201:
	s_or_b64 exec, exec, s[36:37]
	s_and_saveexec_b64 s[36:37], s[2:3]
	s_cbranch_execz .LBB942_203
.LBB942_202:
	v_sub_u32_e32 v16, v38, v9
	v_mov_b32_e32 v17, 0
	v_lshlrev_b64 v[16:17], 2, v[16:17]
	v_add_co_u32_e32 v16, vcc, v13, v16
	v_addc_co_u32_e32 v17, vcc, v14, v17, vcc
	global_store_dword v[16:17], v39, off
.LBB942_203:
	s_or_b64 exec, exec, s[36:37]
	s_and_b64 s[36:37], s[0:1], exec
	s_andn2_saveexec_b64 s[30:31], s[30:31]
	s_cbranch_execz .LBB942_141
.LBB942_204:
	v_sub_u32_e32 v16, v64, v9
	v_mov_b32_e32 v17, 0
	v_lshlrev_b64 v[18:19], 2, v[16:17]
	v_add_co_u32_e32 v18, vcc, v13, v18
	v_addc_co_u32_e32 v19, vcc, v14, v19, vcc
	v_sub_u32_e32 v16, v62, v9
	global_store_dword v[18:19], v65, off
	v_lshlrev_b64 v[18:19], 2, v[16:17]
	v_add_co_u32_e32 v18, vcc, v13, v18
	v_addc_co_u32_e32 v19, vcc, v14, v19, vcc
	v_sub_u32_e32 v16, v60, v9
	global_store_dword v[18:19], v63, off
	;; [unrolled: 5-line block ×12, first 2 shown]
	v_lshlrev_b64 v[18:19], 2, v[16:17]
	v_add_co_u32_e32 v18, vcc, v13, v18
	v_sub_u32_e32 v16, v38, v9
	v_addc_co_u32_e32 v19, vcc, v14, v19, vcc
	v_lshlrev_b64 v[16:17], 2, v[16:17]
	v_add_co_u32_e32 v16, vcc, v13, v16
	v_addc_co_u32_e32 v17, vcc, v14, v17, vcc
	s_or_b64 s[36:37], s[36:37], exec
	global_store_dword v[18:19], v41, off
	global_store_dword v[16:17], v39, off
	s_or_b64 exec, exec, s[30:31]
	s_and_b64 exec, exec, s[36:37]
	s_cbranch_execnz .LBB942_142
	s_branch .LBB942_143
.LBB942_205:
	s_and_saveexec_b64 s[36:37], s[28:29]
	s_cbranch_execnz .LBB942_248
; %bb.206:
	s_or_b64 exec, exec, s[36:37]
	s_and_saveexec_b64 s[28:29], s[26:27]
	s_cbranch_execnz .LBB942_249
.LBB942_207:
	s_or_b64 exec, exec, s[28:29]
	s_and_saveexec_b64 s[26:27], s[24:25]
	s_cbranch_execnz .LBB942_250
.LBB942_208:
	s_or_b64 exec, exec, s[26:27]
	s_and_saveexec_b64 s[24:25], s[22:23]
	s_cbranch_execnz .LBB942_251
.LBB942_209:
	s_or_b64 exec, exec, s[24:25]
	s_and_saveexec_b64 s[22:23], s[20:21]
	s_cbranch_execnz .LBB942_252
.LBB942_210:
	s_or_b64 exec, exec, s[22:23]
	s_and_saveexec_b64 s[20:21], s[18:19]
	s_cbranch_execnz .LBB942_253
.LBB942_211:
	s_or_b64 exec, exec, s[20:21]
	s_and_saveexec_b64 s[18:19], s[16:17]
	s_cbranch_execnz .LBB942_254
.LBB942_212:
	s_or_b64 exec, exec, s[18:19]
	s_and_saveexec_b64 s[16:17], s[14:15]
	s_cbranch_execnz .LBB942_255
.LBB942_213:
	s_or_b64 exec, exec, s[16:17]
	s_and_saveexec_b64 s[14:15], s[12:13]
	s_cbranch_execnz .LBB942_256
.LBB942_214:
	s_or_b64 exec, exec, s[14:15]
	s_and_saveexec_b64 s[12:13], s[10:11]
	s_cbranch_execnz .LBB942_257
.LBB942_215:
	s_or_b64 exec, exec, s[12:13]
	s_and_saveexec_b64 s[10:11], s[8:9]
	s_cbranch_execnz .LBB942_258
.LBB942_216:
	s_or_b64 exec, exec, s[10:11]
	s_and_saveexec_b64 s[8:9], s[6:7]
	s_cbranch_execnz .LBB942_259
.LBB942_217:
	s_or_b64 exec, exec, s[8:9]
	s_and_saveexec_b64 s[6:7], s[4:5]
	s_cbranch_execnz .LBB942_260
.LBB942_218:
	s_or_b64 exec, exec, s[6:7]
	s_and_saveexec_b64 s[4:5], s[2:3]
	s_cbranch_execz .LBB942_220
.LBB942_219:
	v_sub_u32_e32 v10, v38, v9
	v_lshlrev_b32_e32 v10, 2, v10
	ds_write_b32 v10, v39
.LBB942_220:
	s_or_b64 exec, exec, s[4:5]
	s_and_b64 s[36:37], s[0:1], exec
                                        ; implicit-def: $vgpr64_vgpr65
                                        ; implicit-def: $vgpr62_vgpr63
                                        ; implicit-def: $vgpr60_vgpr61
                                        ; implicit-def: $vgpr58_vgpr59
                                        ; implicit-def: $vgpr56_vgpr57
                                        ; implicit-def: $vgpr54_vgpr55
                                        ; implicit-def: $vgpr52_vgpr53
                                        ; implicit-def: $vgpr50_vgpr51
                                        ; implicit-def: $vgpr48_vgpr49
                                        ; implicit-def: $vgpr46_vgpr47
                                        ; implicit-def: $vgpr44_vgpr45
                                        ; implicit-def: $vgpr42_vgpr43
                                        ; implicit-def: $vgpr40_vgpr41
                                        ; implicit-def: $vgpr38_vgpr39
	s_andn2_saveexec_b64 s[0:1], s[34:35]
	s_cbranch_execz .LBB942_148
.LBB942_221:
	v_sub_u32_e32 v10, v64, v9
	v_lshlrev_b32_e32 v10, 2, v10
	ds_write_b32 v10, v65
	v_sub_u32_e32 v10, v62, v9
	v_lshlrev_b32_e32 v10, 2, v10
	ds_write_b32 v10, v63
	;; [unrolled: 3-line block ×13, first 2 shown]
	v_sub_u32_e32 v10, v38, v9
	v_lshlrev_b32_e32 v10, 2, v10
	s_or_b64 s[36:37], s[36:37], exec
	ds_write_b32 v10, v39
	s_or_b64 exec, exec, s[0:1]
	s_and_b64 exec, exec, s[36:37]
	s_cbranch_execnz .LBB942_149
	s_branch .LBB942_150
.LBB942_222:
	v_sub_u32_e32 v3, v64, v4
	v_lshlrev_b32_e32 v3, 2, v3
	ds_write_b32 v3, v20
	s_or_b64 exec, exec, s[36:37]
	s_and_saveexec_b64 s[20:21], s[26:27]
	s_cbranch_execz .LBB942_173
.LBB942_223:
	v_sub_u32_e32 v3, v62, v4
	v_lshlrev_b32_e32 v3, 2, v3
	ds_write_b32 v3, v21
	s_or_b64 exec, exec, s[20:21]
	s_and_saveexec_b64 s[20:21], s[24:25]
	s_cbranch_execz .LBB942_174
.LBB942_224:
	v_sub_u32_e32 v3, v60, v4
	v_lshlrev_b32_e32 v3, 2, v3
	ds_write_b32 v3, v18
	s_or_b64 exec, exec, s[20:21]
	s_and_saveexec_b64 s[20:21], s[22:23]
	s_cbranch_execz .LBB942_175
.LBB942_225:
	v_sub_u32_e32 v3, v58, v4
	v_lshlrev_b32_e32 v3, 2, v3
	ds_write_b32 v3, v19
	s_or_b64 exec, exec, s[20:21]
	s_and_saveexec_b64 s[20:21], s[18:19]
	s_cbranch_execz .LBB942_176
.LBB942_226:
	v_sub_u32_e32 v3, v56, v4
	v_lshlrev_b32_e32 v3, 2, v3
	ds_write_b32 v3, v16
	s_or_b64 exec, exec, s[20:21]
	s_and_saveexec_b64 s[18:19], s[16:17]
	s_cbranch_execz .LBB942_177
.LBB942_227:
	v_sub_u32_e32 v3, v54, v4
	v_lshlrev_b32_e32 v3, 2, v3
	ds_write_b32 v3, v17
	s_or_b64 exec, exec, s[18:19]
	s_and_saveexec_b64 s[16:17], s[14:15]
	s_cbranch_execz .LBB942_178
.LBB942_228:
	v_sub_u32_e32 v3, v52, v4
	v_lshlrev_b32_e32 v3, 2, v3
	ds_write_b32 v3, v14
	s_or_b64 exec, exec, s[16:17]
	s_and_saveexec_b64 s[14:15], s[12:13]
	s_cbranch_execz .LBB942_179
.LBB942_229:
	v_sub_u32_e32 v3, v50, v4
	v_lshlrev_b32_e32 v3, 2, v3
	ds_write_b32 v3, v15
	s_or_b64 exec, exec, s[14:15]
	s_and_saveexec_b64 s[12:13], s[10:11]
	s_cbranch_execz .LBB942_180
.LBB942_230:
	v_sub_u32_e32 v3, v48, v4
	v_lshlrev_b32_e32 v3, 2, v3
	ds_write_b32 v3, v12
	s_or_b64 exec, exec, s[12:13]
	s_and_saveexec_b64 s[10:11], s[8:9]
	s_cbranch_execz .LBB942_181
.LBB942_231:
	v_sub_u32_e32 v3, v46, v4
	v_lshlrev_b32_e32 v3, 2, v3
	ds_write_b32 v3, v13
	s_or_b64 exec, exec, s[10:11]
	s_and_saveexec_b64 s[8:9], s[6:7]
	s_cbranch_execz .LBB942_182
.LBB942_232:
	v_sub_u32_e32 v3, v44, v4
	v_lshlrev_b32_e32 v3, 2, v3
	ds_write_b32 v3, v10
	s_or_b64 exec, exec, s[8:9]
	s_and_saveexec_b64 s[6:7], s[4:5]
	s_cbranch_execz .LBB942_183
.LBB942_233:
	v_sub_u32_e32 v3, v42, v4
	v_lshlrev_b32_e32 v3, 2, v3
	ds_write_b32 v3, v11
	s_or_b64 exec, exec, s[6:7]
	s_and_saveexec_b64 s[4:5], s[2:3]
	s_cbranch_execz .LBB942_184
.LBB942_234:
	v_sub_u32_e32 v3, v40, v4
	v_lshlrev_b32_e32 v3, 2, v3
	ds_write_b32 v3, v8
	s_or_b64 exec, exec, s[4:5]
	v_cmp_ne_u32_e64 s[2:3], 0, v66
	s_and_saveexec_b64 s[4:5], vcc
	s_cbranch_execnz .LBB942_185
	s_branch .LBB942_186
.LBB942_235:
	v_sub_u32_e32 v16, v64, v9
	v_mov_b32_e32 v17, 0
	v_lshlrev_b64 v[16:17], 2, v[16:17]
	v_add_co_u32_e32 v16, vcc, v13, v16
	v_addc_co_u32_e32 v17, vcc, v14, v17, vcc
	global_store_dword v[16:17], v65, off
	s_or_b64 exec, exec, s[36:37]
	s_and_saveexec_b64 s[36:37], s[26:27]
	s_cbranch_execz .LBB942_190
.LBB942_236:
	v_sub_u32_e32 v16, v62, v9
	v_mov_b32_e32 v17, 0
	v_lshlrev_b64 v[16:17], 2, v[16:17]
	v_add_co_u32_e32 v16, vcc, v13, v16
	v_addc_co_u32_e32 v17, vcc, v14, v17, vcc
	global_store_dword v[16:17], v63, off
	s_or_b64 exec, exec, s[36:37]
	s_and_saveexec_b64 s[36:37], s[24:25]
	s_cbranch_execz .LBB942_191
.LBB942_237:
	v_sub_u32_e32 v16, v60, v9
	v_mov_b32_e32 v17, 0
	v_lshlrev_b64 v[16:17], 2, v[16:17]
	v_add_co_u32_e32 v16, vcc, v13, v16
	v_addc_co_u32_e32 v17, vcc, v14, v17, vcc
	global_store_dword v[16:17], v61, off
	s_or_b64 exec, exec, s[36:37]
	s_and_saveexec_b64 s[36:37], s[22:23]
	s_cbranch_execz .LBB942_192
.LBB942_238:
	v_sub_u32_e32 v16, v58, v9
	v_mov_b32_e32 v17, 0
	v_lshlrev_b64 v[16:17], 2, v[16:17]
	v_add_co_u32_e32 v16, vcc, v13, v16
	v_addc_co_u32_e32 v17, vcc, v14, v17, vcc
	global_store_dword v[16:17], v59, off
	s_or_b64 exec, exec, s[36:37]
	s_and_saveexec_b64 s[36:37], s[20:21]
	s_cbranch_execz .LBB942_193
.LBB942_239:
	v_sub_u32_e32 v16, v56, v9
	v_mov_b32_e32 v17, 0
	v_lshlrev_b64 v[16:17], 2, v[16:17]
	v_add_co_u32_e32 v16, vcc, v13, v16
	v_addc_co_u32_e32 v17, vcc, v14, v17, vcc
	global_store_dword v[16:17], v57, off
	s_or_b64 exec, exec, s[36:37]
	s_and_saveexec_b64 s[36:37], s[18:19]
	s_cbranch_execz .LBB942_194
.LBB942_240:
	v_sub_u32_e32 v16, v54, v9
	v_mov_b32_e32 v17, 0
	v_lshlrev_b64 v[16:17], 2, v[16:17]
	v_add_co_u32_e32 v16, vcc, v13, v16
	v_addc_co_u32_e32 v17, vcc, v14, v17, vcc
	global_store_dword v[16:17], v55, off
	s_or_b64 exec, exec, s[36:37]
	s_and_saveexec_b64 s[36:37], s[16:17]
	s_cbranch_execz .LBB942_195
.LBB942_241:
	v_sub_u32_e32 v16, v52, v9
	v_mov_b32_e32 v17, 0
	v_lshlrev_b64 v[16:17], 2, v[16:17]
	v_add_co_u32_e32 v16, vcc, v13, v16
	v_addc_co_u32_e32 v17, vcc, v14, v17, vcc
	global_store_dword v[16:17], v53, off
	s_or_b64 exec, exec, s[36:37]
	s_and_saveexec_b64 s[36:37], s[14:15]
	s_cbranch_execz .LBB942_196
.LBB942_242:
	v_sub_u32_e32 v16, v50, v9
	v_mov_b32_e32 v17, 0
	v_lshlrev_b64 v[16:17], 2, v[16:17]
	v_add_co_u32_e32 v16, vcc, v13, v16
	v_addc_co_u32_e32 v17, vcc, v14, v17, vcc
	global_store_dword v[16:17], v51, off
	s_or_b64 exec, exec, s[36:37]
	s_and_saveexec_b64 s[36:37], s[12:13]
	s_cbranch_execz .LBB942_197
.LBB942_243:
	v_sub_u32_e32 v16, v48, v9
	v_mov_b32_e32 v17, 0
	v_lshlrev_b64 v[16:17], 2, v[16:17]
	v_add_co_u32_e32 v16, vcc, v13, v16
	v_addc_co_u32_e32 v17, vcc, v14, v17, vcc
	global_store_dword v[16:17], v49, off
	s_or_b64 exec, exec, s[36:37]
	s_and_saveexec_b64 s[36:37], s[10:11]
	s_cbranch_execz .LBB942_198
.LBB942_244:
	v_sub_u32_e32 v16, v46, v9
	v_mov_b32_e32 v17, 0
	v_lshlrev_b64 v[16:17], 2, v[16:17]
	v_add_co_u32_e32 v16, vcc, v13, v16
	v_addc_co_u32_e32 v17, vcc, v14, v17, vcc
	global_store_dword v[16:17], v47, off
	s_or_b64 exec, exec, s[36:37]
	s_and_saveexec_b64 s[36:37], s[8:9]
	s_cbranch_execz .LBB942_199
.LBB942_245:
	v_sub_u32_e32 v16, v44, v9
	v_mov_b32_e32 v17, 0
	v_lshlrev_b64 v[16:17], 2, v[16:17]
	v_add_co_u32_e32 v16, vcc, v13, v16
	v_addc_co_u32_e32 v17, vcc, v14, v17, vcc
	global_store_dword v[16:17], v45, off
	s_or_b64 exec, exec, s[36:37]
	s_and_saveexec_b64 s[36:37], s[6:7]
	s_cbranch_execz .LBB942_200
.LBB942_246:
	v_sub_u32_e32 v16, v42, v9
	v_mov_b32_e32 v17, 0
	v_lshlrev_b64 v[16:17], 2, v[16:17]
	v_add_co_u32_e32 v16, vcc, v13, v16
	v_addc_co_u32_e32 v17, vcc, v14, v17, vcc
	global_store_dword v[16:17], v43, off
	s_or_b64 exec, exec, s[36:37]
	s_and_saveexec_b64 s[36:37], s[4:5]
	s_cbranch_execz .LBB942_201
.LBB942_247:
	v_sub_u32_e32 v16, v40, v9
	v_mov_b32_e32 v17, 0
	v_lshlrev_b64 v[16:17], 2, v[16:17]
	v_add_co_u32_e32 v16, vcc, v13, v16
	v_addc_co_u32_e32 v17, vcc, v14, v17, vcc
	global_store_dword v[16:17], v41, off
	s_or_b64 exec, exec, s[36:37]
	s_and_saveexec_b64 s[36:37], s[2:3]
	s_cbranch_execnz .LBB942_202
	s_branch .LBB942_203
.LBB942_248:
	v_sub_u32_e32 v10, v64, v9
	v_lshlrev_b32_e32 v10, 2, v10
	ds_write_b32 v10, v65
	s_or_b64 exec, exec, s[36:37]
	s_and_saveexec_b64 s[28:29], s[26:27]
	s_cbranch_execz .LBB942_207
.LBB942_249:
	v_sub_u32_e32 v10, v62, v9
	v_lshlrev_b32_e32 v10, 2, v10
	ds_write_b32 v10, v63
	s_or_b64 exec, exec, s[28:29]
	s_and_saveexec_b64 s[26:27], s[24:25]
	s_cbranch_execz .LBB942_208
.LBB942_250:
	v_sub_u32_e32 v10, v60, v9
	v_lshlrev_b32_e32 v10, 2, v10
	ds_write_b32 v10, v61
	s_or_b64 exec, exec, s[26:27]
	s_and_saveexec_b64 s[24:25], s[22:23]
	s_cbranch_execz .LBB942_209
.LBB942_251:
	v_sub_u32_e32 v10, v58, v9
	v_lshlrev_b32_e32 v10, 2, v10
	ds_write_b32 v10, v59
	s_or_b64 exec, exec, s[24:25]
	s_and_saveexec_b64 s[22:23], s[20:21]
	s_cbranch_execz .LBB942_210
.LBB942_252:
	v_sub_u32_e32 v10, v56, v9
	v_lshlrev_b32_e32 v10, 2, v10
	ds_write_b32 v10, v57
	s_or_b64 exec, exec, s[22:23]
	s_and_saveexec_b64 s[20:21], s[18:19]
	s_cbranch_execz .LBB942_211
.LBB942_253:
	v_sub_u32_e32 v10, v54, v9
	v_lshlrev_b32_e32 v10, 2, v10
	ds_write_b32 v10, v55
	s_or_b64 exec, exec, s[20:21]
	s_and_saveexec_b64 s[18:19], s[16:17]
	s_cbranch_execz .LBB942_212
.LBB942_254:
	v_sub_u32_e32 v10, v52, v9
	v_lshlrev_b32_e32 v10, 2, v10
	ds_write_b32 v10, v53
	s_or_b64 exec, exec, s[18:19]
	s_and_saveexec_b64 s[16:17], s[14:15]
	s_cbranch_execz .LBB942_213
.LBB942_255:
	v_sub_u32_e32 v10, v50, v9
	v_lshlrev_b32_e32 v10, 2, v10
	ds_write_b32 v10, v51
	s_or_b64 exec, exec, s[16:17]
	s_and_saveexec_b64 s[14:15], s[12:13]
	s_cbranch_execz .LBB942_214
.LBB942_256:
	v_sub_u32_e32 v10, v48, v9
	v_lshlrev_b32_e32 v10, 2, v10
	ds_write_b32 v10, v49
	s_or_b64 exec, exec, s[14:15]
	s_and_saveexec_b64 s[12:13], s[10:11]
	s_cbranch_execz .LBB942_215
.LBB942_257:
	v_sub_u32_e32 v10, v46, v9
	v_lshlrev_b32_e32 v10, 2, v10
	ds_write_b32 v10, v47
	s_or_b64 exec, exec, s[12:13]
	s_and_saveexec_b64 s[10:11], s[8:9]
	s_cbranch_execz .LBB942_216
.LBB942_258:
	v_sub_u32_e32 v10, v44, v9
	v_lshlrev_b32_e32 v10, 2, v10
	ds_write_b32 v10, v45
	s_or_b64 exec, exec, s[10:11]
	s_and_saveexec_b64 s[8:9], s[6:7]
	s_cbranch_execz .LBB942_217
.LBB942_259:
	v_sub_u32_e32 v10, v42, v9
	v_lshlrev_b32_e32 v10, 2, v10
	ds_write_b32 v10, v43
	s_or_b64 exec, exec, s[8:9]
	s_and_saveexec_b64 s[6:7], s[4:5]
	s_cbranch_execz .LBB942_218
.LBB942_260:
	v_sub_u32_e32 v10, v40, v9
	v_lshlrev_b32_e32 v10, 2, v10
	ds_write_b32 v10, v41
	s_or_b64 exec, exec, s[6:7]
	s_and_saveexec_b64 s[4:5], s[2:3]
	s_cbranch_execnz .LBB942_219
	s_branch .LBB942_220
	.section	.rodata,"a",@progbits
	.p2align	6, 0x0
	.amdhsa_kernel _ZN7rocprim17ROCPRIM_400000_NS6detail17trampoline_kernelINS0_14default_configENS1_29reduce_by_key_config_selectorIjjN6thrust23THRUST_200600_302600_NS4plusIjEEEEZZNS1_33reduce_by_key_impl_wrapped_configILNS1_25lookback_scan_determinismE0ES3_S9_NS6_6detail15normal_iteratorINS6_10device_ptrIjEEEESG_NS6_16discard_iteratorINS6_11use_defaultEEESG_PmS8_NS6_8equal_toIjEEEE10hipError_tPvRmT2_T3_mT4_T5_T6_T7_T8_P12ihipStream_tbENKUlT_T0_E_clISt17integral_constantIbLb0EES13_IbLb1EEEEDaSZ_S10_EUlSZ_E_NS1_11comp_targetILNS1_3genE4ELNS1_11target_archE910ELNS1_3gpuE8ELNS1_3repE0EEENS1_30default_config_static_selectorELNS0_4arch9wavefront6targetE1EEEvT1_
		.amdhsa_group_segment_fixed_size 15360
		.amdhsa_private_segment_fixed_size 0
		.amdhsa_kernarg_size 128
		.amdhsa_user_sgpr_count 6
		.amdhsa_user_sgpr_private_segment_buffer 1
		.amdhsa_user_sgpr_dispatch_ptr 0
		.amdhsa_user_sgpr_queue_ptr 0
		.amdhsa_user_sgpr_kernarg_segment_ptr 1
		.amdhsa_user_sgpr_dispatch_id 0
		.amdhsa_user_sgpr_flat_scratch_init 0
		.amdhsa_user_sgpr_kernarg_preload_length 0
		.amdhsa_user_sgpr_kernarg_preload_offset 0
		.amdhsa_user_sgpr_private_segment_size 0
		.amdhsa_uses_dynamic_stack 0
		.amdhsa_system_sgpr_private_segment_wavefront_offset 0
		.amdhsa_system_sgpr_workgroup_id_x 1
		.amdhsa_system_sgpr_workgroup_id_y 0
		.amdhsa_system_sgpr_workgroup_id_z 0
		.amdhsa_system_sgpr_workgroup_info 0
		.amdhsa_system_vgpr_workitem_id 0
		.amdhsa_next_free_vgpr 87
		.amdhsa_next_free_sgpr 64
		.amdhsa_accum_offset 88
		.amdhsa_reserve_vcc 1
		.amdhsa_reserve_flat_scratch 0
		.amdhsa_float_round_mode_32 0
		.amdhsa_float_round_mode_16_64 0
		.amdhsa_float_denorm_mode_32 3
		.amdhsa_float_denorm_mode_16_64 3
		.amdhsa_dx10_clamp 1
		.amdhsa_ieee_mode 1
		.amdhsa_fp16_overflow 0
		.amdhsa_tg_split 0
		.amdhsa_exception_fp_ieee_invalid_op 0
		.amdhsa_exception_fp_denorm_src 0
		.amdhsa_exception_fp_ieee_div_zero 0
		.amdhsa_exception_fp_ieee_overflow 0
		.amdhsa_exception_fp_ieee_underflow 0
		.amdhsa_exception_fp_ieee_inexact 0
		.amdhsa_exception_int_div_zero 0
	.end_amdhsa_kernel
	.section	.text._ZN7rocprim17ROCPRIM_400000_NS6detail17trampoline_kernelINS0_14default_configENS1_29reduce_by_key_config_selectorIjjN6thrust23THRUST_200600_302600_NS4plusIjEEEEZZNS1_33reduce_by_key_impl_wrapped_configILNS1_25lookback_scan_determinismE0ES3_S9_NS6_6detail15normal_iteratorINS6_10device_ptrIjEEEESG_NS6_16discard_iteratorINS6_11use_defaultEEESG_PmS8_NS6_8equal_toIjEEEE10hipError_tPvRmT2_T3_mT4_T5_T6_T7_T8_P12ihipStream_tbENKUlT_T0_E_clISt17integral_constantIbLb0EES13_IbLb1EEEEDaSZ_S10_EUlSZ_E_NS1_11comp_targetILNS1_3genE4ELNS1_11target_archE910ELNS1_3gpuE8ELNS1_3repE0EEENS1_30default_config_static_selectorELNS0_4arch9wavefront6targetE1EEEvT1_,"axG",@progbits,_ZN7rocprim17ROCPRIM_400000_NS6detail17trampoline_kernelINS0_14default_configENS1_29reduce_by_key_config_selectorIjjN6thrust23THRUST_200600_302600_NS4plusIjEEEEZZNS1_33reduce_by_key_impl_wrapped_configILNS1_25lookback_scan_determinismE0ES3_S9_NS6_6detail15normal_iteratorINS6_10device_ptrIjEEEESG_NS6_16discard_iteratorINS6_11use_defaultEEESG_PmS8_NS6_8equal_toIjEEEE10hipError_tPvRmT2_T3_mT4_T5_T6_T7_T8_P12ihipStream_tbENKUlT_T0_E_clISt17integral_constantIbLb0EES13_IbLb1EEEEDaSZ_S10_EUlSZ_E_NS1_11comp_targetILNS1_3genE4ELNS1_11target_archE910ELNS1_3gpuE8ELNS1_3repE0EEENS1_30default_config_static_selectorELNS0_4arch9wavefront6targetE1EEEvT1_,comdat
.Lfunc_end942:
	.size	_ZN7rocprim17ROCPRIM_400000_NS6detail17trampoline_kernelINS0_14default_configENS1_29reduce_by_key_config_selectorIjjN6thrust23THRUST_200600_302600_NS4plusIjEEEEZZNS1_33reduce_by_key_impl_wrapped_configILNS1_25lookback_scan_determinismE0ES3_S9_NS6_6detail15normal_iteratorINS6_10device_ptrIjEEEESG_NS6_16discard_iteratorINS6_11use_defaultEEESG_PmS8_NS6_8equal_toIjEEEE10hipError_tPvRmT2_T3_mT4_T5_T6_T7_T8_P12ihipStream_tbENKUlT_T0_E_clISt17integral_constantIbLb0EES13_IbLb1EEEEDaSZ_S10_EUlSZ_E_NS1_11comp_targetILNS1_3genE4ELNS1_11target_archE910ELNS1_3gpuE8ELNS1_3repE0EEENS1_30default_config_static_selectorELNS0_4arch9wavefront6targetE1EEEvT1_, .Lfunc_end942-_ZN7rocprim17ROCPRIM_400000_NS6detail17trampoline_kernelINS0_14default_configENS1_29reduce_by_key_config_selectorIjjN6thrust23THRUST_200600_302600_NS4plusIjEEEEZZNS1_33reduce_by_key_impl_wrapped_configILNS1_25lookback_scan_determinismE0ES3_S9_NS6_6detail15normal_iteratorINS6_10device_ptrIjEEEESG_NS6_16discard_iteratorINS6_11use_defaultEEESG_PmS8_NS6_8equal_toIjEEEE10hipError_tPvRmT2_T3_mT4_T5_T6_T7_T8_P12ihipStream_tbENKUlT_T0_E_clISt17integral_constantIbLb0EES13_IbLb1EEEEDaSZ_S10_EUlSZ_E_NS1_11comp_targetILNS1_3genE4ELNS1_11target_archE910ELNS1_3gpuE8ELNS1_3repE0EEENS1_30default_config_static_selectorELNS0_4arch9wavefront6targetE1EEEvT1_
                                        ; -- End function
	.section	.AMDGPU.csdata,"",@progbits
; Kernel info:
; codeLenInByte = 14648
; NumSgprs: 68
; NumVgprs: 87
; NumAgprs: 0
; TotalNumVgprs: 87
; ScratchSize: 0
; MemoryBound: 0
; FloatMode: 240
; IeeeMode: 1
; LDSByteSize: 15360 bytes/workgroup (compile time only)
; SGPRBlocks: 8
; VGPRBlocks: 10
; NumSGPRsForWavesPerEU: 68
; NumVGPRsForWavesPerEU: 87
; AccumOffset: 88
; Occupancy: 4
; WaveLimiterHint : 1
; COMPUTE_PGM_RSRC2:SCRATCH_EN: 0
; COMPUTE_PGM_RSRC2:USER_SGPR: 6
; COMPUTE_PGM_RSRC2:TRAP_HANDLER: 0
; COMPUTE_PGM_RSRC2:TGID_X_EN: 1
; COMPUTE_PGM_RSRC2:TGID_Y_EN: 0
; COMPUTE_PGM_RSRC2:TGID_Z_EN: 0
; COMPUTE_PGM_RSRC2:TIDIG_COMP_CNT: 0
; COMPUTE_PGM_RSRC3_GFX90A:ACCUM_OFFSET: 21
; COMPUTE_PGM_RSRC3_GFX90A:TG_SPLIT: 0
	.section	.text._ZN7rocprim17ROCPRIM_400000_NS6detail17trampoline_kernelINS0_14default_configENS1_29reduce_by_key_config_selectorIjjN6thrust23THRUST_200600_302600_NS4plusIjEEEEZZNS1_33reduce_by_key_impl_wrapped_configILNS1_25lookback_scan_determinismE0ES3_S9_NS6_6detail15normal_iteratorINS6_10device_ptrIjEEEESG_NS6_16discard_iteratorINS6_11use_defaultEEESG_PmS8_NS6_8equal_toIjEEEE10hipError_tPvRmT2_T3_mT4_T5_T6_T7_T8_P12ihipStream_tbENKUlT_T0_E_clISt17integral_constantIbLb0EES13_IbLb1EEEEDaSZ_S10_EUlSZ_E_NS1_11comp_targetILNS1_3genE3ELNS1_11target_archE908ELNS1_3gpuE7ELNS1_3repE0EEENS1_30default_config_static_selectorELNS0_4arch9wavefront6targetE1EEEvT1_,"axG",@progbits,_ZN7rocprim17ROCPRIM_400000_NS6detail17trampoline_kernelINS0_14default_configENS1_29reduce_by_key_config_selectorIjjN6thrust23THRUST_200600_302600_NS4plusIjEEEEZZNS1_33reduce_by_key_impl_wrapped_configILNS1_25lookback_scan_determinismE0ES3_S9_NS6_6detail15normal_iteratorINS6_10device_ptrIjEEEESG_NS6_16discard_iteratorINS6_11use_defaultEEESG_PmS8_NS6_8equal_toIjEEEE10hipError_tPvRmT2_T3_mT4_T5_T6_T7_T8_P12ihipStream_tbENKUlT_T0_E_clISt17integral_constantIbLb0EES13_IbLb1EEEEDaSZ_S10_EUlSZ_E_NS1_11comp_targetILNS1_3genE3ELNS1_11target_archE908ELNS1_3gpuE7ELNS1_3repE0EEENS1_30default_config_static_selectorELNS0_4arch9wavefront6targetE1EEEvT1_,comdat
	.protected	_ZN7rocprim17ROCPRIM_400000_NS6detail17trampoline_kernelINS0_14default_configENS1_29reduce_by_key_config_selectorIjjN6thrust23THRUST_200600_302600_NS4plusIjEEEEZZNS1_33reduce_by_key_impl_wrapped_configILNS1_25lookback_scan_determinismE0ES3_S9_NS6_6detail15normal_iteratorINS6_10device_ptrIjEEEESG_NS6_16discard_iteratorINS6_11use_defaultEEESG_PmS8_NS6_8equal_toIjEEEE10hipError_tPvRmT2_T3_mT4_T5_T6_T7_T8_P12ihipStream_tbENKUlT_T0_E_clISt17integral_constantIbLb0EES13_IbLb1EEEEDaSZ_S10_EUlSZ_E_NS1_11comp_targetILNS1_3genE3ELNS1_11target_archE908ELNS1_3gpuE7ELNS1_3repE0EEENS1_30default_config_static_selectorELNS0_4arch9wavefront6targetE1EEEvT1_ ; -- Begin function _ZN7rocprim17ROCPRIM_400000_NS6detail17trampoline_kernelINS0_14default_configENS1_29reduce_by_key_config_selectorIjjN6thrust23THRUST_200600_302600_NS4plusIjEEEEZZNS1_33reduce_by_key_impl_wrapped_configILNS1_25lookback_scan_determinismE0ES3_S9_NS6_6detail15normal_iteratorINS6_10device_ptrIjEEEESG_NS6_16discard_iteratorINS6_11use_defaultEEESG_PmS8_NS6_8equal_toIjEEEE10hipError_tPvRmT2_T3_mT4_T5_T6_T7_T8_P12ihipStream_tbENKUlT_T0_E_clISt17integral_constantIbLb0EES13_IbLb1EEEEDaSZ_S10_EUlSZ_E_NS1_11comp_targetILNS1_3genE3ELNS1_11target_archE908ELNS1_3gpuE7ELNS1_3repE0EEENS1_30default_config_static_selectorELNS0_4arch9wavefront6targetE1EEEvT1_
	.globl	_ZN7rocprim17ROCPRIM_400000_NS6detail17trampoline_kernelINS0_14default_configENS1_29reduce_by_key_config_selectorIjjN6thrust23THRUST_200600_302600_NS4plusIjEEEEZZNS1_33reduce_by_key_impl_wrapped_configILNS1_25lookback_scan_determinismE0ES3_S9_NS6_6detail15normal_iteratorINS6_10device_ptrIjEEEESG_NS6_16discard_iteratorINS6_11use_defaultEEESG_PmS8_NS6_8equal_toIjEEEE10hipError_tPvRmT2_T3_mT4_T5_T6_T7_T8_P12ihipStream_tbENKUlT_T0_E_clISt17integral_constantIbLb0EES13_IbLb1EEEEDaSZ_S10_EUlSZ_E_NS1_11comp_targetILNS1_3genE3ELNS1_11target_archE908ELNS1_3gpuE7ELNS1_3repE0EEENS1_30default_config_static_selectorELNS0_4arch9wavefront6targetE1EEEvT1_
	.p2align	8
	.type	_ZN7rocprim17ROCPRIM_400000_NS6detail17trampoline_kernelINS0_14default_configENS1_29reduce_by_key_config_selectorIjjN6thrust23THRUST_200600_302600_NS4plusIjEEEEZZNS1_33reduce_by_key_impl_wrapped_configILNS1_25lookback_scan_determinismE0ES3_S9_NS6_6detail15normal_iteratorINS6_10device_ptrIjEEEESG_NS6_16discard_iteratorINS6_11use_defaultEEESG_PmS8_NS6_8equal_toIjEEEE10hipError_tPvRmT2_T3_mT4_T5_T6_T7_T8_P12ihipStream_tbENKUlT_T0_E_clISt17integral_constantIbLb0EES13_IbLb1EEEEDaSZ_S10_EUlSZ_E_NS1_11comp_targetILNS1_3genE3ELNS1_11target_archE908ELNS1_3gpuE7ELNS1_3repE0EEENS1_30default_config_static_selectorELNS0_4arch9wavefront6targetE1EEEvT1_,@function
_ZN7rocprim17ROCPRIM_400000_NS6detail17trampoline_kernelINS0_14default_configENS1_29reduce_by_key_config_selectorIjjN6thrust23THRUST_200600_302600_NS4plusIjEEEEZZNS1_33reduce_by_key_impl_wrapped_configILNS1_25lookback_scan_determinismE0ES3_S9_NS6_6detail15normal_iteratorINS6_10device_ptrIjEEEESG_NS6_16discard_iteratorINS6_11use_defaultEEESG_PmS8_NS6_8equal_toIjEEEE10hipError_tPvRmT2_T3_mT4_T5_T6_T7_T8_P12ihipStream_tbENKUlT_T0_E_clISt17integral_constantIbLb0EES13_IbLb1EEEEDaSZ_S10_EUlSZ_E_NS1_11comp_targetILNS1_3genE3ELNS1_11target_archE908ELNS1_3gpuE7ELNS1_3repE0EEENS1_30default_config_static_selectorELNS0_4arch9wavefront6targetE1EEEvT1_: ; @_ZN7rocprim17ROCPRIM_400000_NS6detail17trampoline_kernelINS0_14default_configENS1_29reduce_by_key_config_selectorIjjN6thrust23THRUST_200600_302600_NS4plusIjEEEEZZNS1_33reduce_by_key_impl_wrapped_configILNS1_25lookback_scan_determinismE0ES3_S9_NS6_6detail15normal_iteratorINS6_10device_ptrIjEEEESG_NS6_16discard_iteratorINS6_11use_defaultEEESG_PmS8_NS6_8equal_toIjEEEE10hipError_tPvRmT2_T3_mT4_T5_T6_T7_T8_P12ihipStream_tbENKUlT_T0_E_clISt17integral_constantIbLb0EES13_IbLb1EEEEDaSZ_S10_EUlSZ_E_NS1_11comp_targetILNS1_3genE3ELNS1_11target_archE908ELNS1_3gpuE7ELNS1_3repE0EEENS1_30default_config_static_selectorELNS0_4arch9wavefront6targetE1EEEvT1_
; %bb.0:
	.section	.rodata,"a",@progbits
	.p2align	6, 0x0
	.amdhsa_kernel _ZN7rocprim17ROCPRIM_400000_NS6detail17trampoline_kernelINS0_14default_configENS1_29reduce_by_key_config_selectorIjjN6thrust23THRUST_200600_302600_NS4plusIjEEEEZZNS1_33reduce_by_key_impl_wrapped_configILNS1_25lookback_scan_determinismE0ES3_S9_NS6_6detail15normal_iteratorINS6_10device_ptrIjEEEESG_NS6_16discard_iteratorINS6_11use_defaultEEESG_PmS8_NS6_8equal_toIjEEEE10hipError_tPvRmT2_T3_mT4_T5_T6_T7_T8_P12ihipStream_tbENKUlT_T0_E_clISt17integral_constantIbLb0EES13_IbLb1EEEEDaSZ_S10_EUlSZ_E_NS1_11comp_targetILNS1_3genE3ELNS1_11target_archE908ELNS1_3gpuE7ELNS1_3repE0EEENS1_30default_config_static_selectorELNS0_4arch9wavefront6targetE1EEEvT1_
		.amdhsa_group_segment_fixed_size 0
		.amdhsa_private_segment_fixed_size 0
		.amdhsa_kernarg_size 128
		.amdhsa_user_sgpr_count 6
		.amdhsa_user_sgpr_private_segment_buffer 1
		.amdhsa_user_sgpr_dispatch_ptr 0
		.amdhsa_user_sgpr_queue_ptr 0
		.amdhsa_user_sgpr_kernarg_segment_ptr 1
		.amdhsa_user_sgpr_dispatch_id 0
		.amdhsa_user_sgpr_flat_scratch_init 0
		.amdhsa_user_sgpr_kernarg_preload_length 0
		.amdhsa_user_sgpr_kernarg_preload_offset 0
		.amdhsa_user_sgpr_private_segment_size 0
		.amdhsa_uses_dynamic_stack 0
		.amdhsa_system_sgpr_private_segment_wavefront_offset 0
		.amdhsa_system_sgpr_workgroup_id_x 1
		.amdhsa_system_sgpr_workgroup_id_y 0
		.amdhsa_system_sgpr_workgroup_id_z 0
		.amdhsa_system_sgpr_workgroup_info 0
		.amdhsa_system_vgpr_workitem_id 0
		.amdhsa_next_free_vgpr 1
		.amdhsa_next_free_sgpr 0
		.amdhsa_accum_offset 4
		.amdhsa_reserve_vcc 0
		.amdhsa_reserve_flat_scratch 0
		.amdhsa_float_round_mode_32 0
		.amdhsa_float_round_mode_16_64 0
		.amdhsa_float_denorm_mode_32 3
		.amdhsa_float_denorm_mode_16_64 3
		.amdhsa_dx10_clamp 1
		.amdhsa_ieee_mode 1
		.amdhsa_fp16_overflow 0
		.amdhsa_tg_split 0
		.amdhsa_exception_fp_ieee_invalid_op 0
		.amdhsa_exception_fp_denorm_src 0
		.amdhsa_exception_fp_ieee_div_zero 0
		.amdhsa_exception_fp_ieee_overflow 0
		.amdhsa_exception_fp_ieee_underflow 0
		.amdhsa_exception_fp_ieee_inexact 0
		.amdhsa_exception_int_div_zero 0
	.end_amdhsa_kernel
	.section	.text._ZN7rocprim17ROCPRIM_400000_NS6detail17trampoline_kernelINS0_14default_configENS1_29reduce_by_key_config_selectorIjjN6thrust23THRUST_200600_302600_NS4plusIjEEEEZZNS1_33reduce_by_key_impl_wrapped_configILNS1_25lookback_scan_determinismE0ES3_S9_NS6_6detail15normal_iteratorINS6_10device_ptrIjEEEESG_NS6_16discard_iteratorINS6_11use_defaultEEESG_PmS8_NS6_8equal_toIjEEEE10hipError_tPvRmT2_T3_mT4_T5_T6_T7_T8_P12ihipStream_tbENKUlT_T0_E_clISt17integral_constantIbLb0EES13_IbLb1EEEEDaSZ_S10_EUlSZ_E_NS1_11comp_targetILNS1_3genE3ELNS1_11target_archE908ELNS1_3gpuE7ELNS1_3repE0EEENS1_30default_config_static_selectorELNS0_4arch9wavefront6targetE1EEEvT1_,"axG",@progbits,_ZN7rocprim17ROCPRIM_400000_NS6detail17trampoline_kernelINS0_14default_configENS1_29reduce_by_key_config_selectorIjjN6thrust23THRUST_200600_302600_NS4plusIjEEEEZZNS1_33reduce_by_key_impl_wrapped_configILNS1_25lookback_scan_determinismE0ES3_S9_NS6_6detail15normal_iteratorINS6_10device_ptrIjEEEESG_NS6_16discard_iteratorINS6_11use_defaultEEESG_PmS8_NS6_8equal_toIjEEEE10hipError_tPvRmT2_T3_mT4_T5_T6_T7_T8_P12ihipStream_tbENKUlT_T0_E_clISt17integral_constantIbLb0EES13_IbLb1EEEEDaSZ_S10_EUlSZ_E_NS1_11comp_targetILNS1_3genE3ELNS1_11target_archE908ELNS1_3gpuE7ELNS1_3repE0EEENS1_30default_config_static_selectorELNS0_4arch9wavefront6targetE1EEEvT1_,comdat
.Lfunc_end943:
	.size	_ZN7rocprim17ROCPRIM_400000_NS6detail17trampoline_kernelINS0_14default_configENS1_29reduce_by_key_config_selectorIjjN6thrust23THRUST_200600_302600_NS4plusIjEEEEZZNS1_33reduce_by_key_impl_wrapped_configILNS1_25lookback_scan_determinismE0ES3_S9_NS6_6detail15normal_iteratorINS6_10device_ptrIjEEEESG_NS6_16discard_iteratorINS6_11use_defaultEEESG_PmS8_NS6_8equal_toIjEEEE10hipError_tPvRmT2_T3_mT4_T5_T6_T7_T8_P12ihipStream_tbENKUlT_T0_E_clISt17integral_constantIbLb0EES13_IbLb1EEEEDaSZ_S10_EUlSZ_E_NS1_11comp_targetILNS1_3genE3ELNS1_11target_archE908ELNS1_3gpuE7ELNS1_3repE0EEENS1_30default_config_static_selectorELNS0_4arch9wavefront6targetE1EEEvT1_, .Lfunc_end943-_ZN7rocprim17ROCPRIM_400000_NS6detail17trampoline_kernelINS0_14default_configENS1_29reduce_by_key_config_selectorIjjN6thrust23THRUST_200600_302600_NS4plusIjEEEEZZNS1_33reduce_by_key_impl_wrapped_configILNS1_25lookback_scan_determinismE0ES3_S9_NS6_6detail15normal_iteratorINS6_10device_ptrIjEEEESG_NS6_16discard_iteratorINS6_11use_defaultEEESG_PmS8_NS6_8equal_toIjEEEE10hipError_tPvRmT2_T3_mT4_T5_T6_T7_T8_P12ihipStream_tbENKUlT_T0_E_clISt17integral_constantIbLb0EES13_IbLb1EEEEDaSZ_S10_EUlSZ_E_NS1_11comp_targetILNS1_3genE3ELNS1_11target_archE908ELNS1_3gpuE7ELNS1_3repE0EEENS1_30default_config_static_selectorELNS0_4arch9wavefront6targetE1EEEvT1_
                                        ; -- End function
	.section	.AMDGPU.csdata,"",@progbits
; Kernel info:
; codeLenInByte = 0
; NumSgprs: 4
; NumVgprs: 0
; NumAgprs: 0
; TotalNumVgprs: 0
; ScratchSize: 0
; MemoryBound: 0
; FloatMode: 240
; IeeeMode: 1
; LDSByteSize: 0 bytes/workgroup (compile time only)
; SGPRBlocks: 0
; VGPRBlocks: 0
; NumSGPRsForWavesPerEU: 4
; NumVGPRsForWavesPerEU: 1
; AccumOffset: 4
; Occupancy: 8
; WaveLimiterHint : 0
; COMPUTE_PGM_RSRC2:SCRATCH_EN: 0
; COMPUTE_PGM_RSRC2:USER_SGPR: 6
; COMPUTE_PGM_RSRC2:TRAP_HANDLER: 0
; COMPUTE_PGM_RSRC2:TGID_X_EN: 1
; COMPUTE_PGM_RSRC2:TGID_Y_EN: 0
; COMPUTE_PGM_RSRC2:TGID_Z_EN: 0
; COMPUTE_PGM_RSRC2:TIDIG_COMP_CNT: 0
; COMPUTE_PGM_RSRC3_GFX90A:ACCUM_OFFSET: 0
; COMPUTE_PGM_RSRC3_GFX90A:TG_SPLIT: 0
	.section	.text._ZN7rocprim17ROCPRIM_400000_NS6detail17trampoline_kernelINS0_14default_configENS1_29reduce_by_key_config_selectorIjjN6thrust23THRUST_200600_302600_NS4plusIjEEEEZZNS1_33reduce_by_key_impl_wrapped_configILNS1_25lookback_scan_determinismE0ES3_S9_NS6_6detail15normal_iteratorINS6_10device_ptrIjEEEESG_NS6_16discard_iteratorINS6_11use_defaultEEESG_PmS8_NS6_8equal_toIjEEEE10hipError_tPvRmT2_T3_mT4_T5_T6_T7_T8_P12ihipStream_tbENKUlT_T0_E_clISt17integral_constantIbLb0EES13_IbLb1EEEEDaSZ_S10_EUlSZ_E_NS1_11comp_targetILNS1_3genE2ELNS1_11target_archE906ELNS1_3gpuE6ELNS1_3repE0EEENS1_30default_config_static_selectorELNS0_4arch9wavefront6targetE1EEEvT1_,"axG",@progbits,_ZN7rocprim17ROCPRIM_400000_NS6detail17trampoline_kernelINS0_14default_configENS1_29reduce_by_key_config_selectorIjjN6thrust23THRUST_200600_302600_NS4plusIjEEEEZZNS1_33reduce_by_key_impl_wrapped_configILNS1_25lookback_scan_determinismE0ES3_S9_NS6_6detail15normal_iteratorINS6_10device_ptrIjEEEESG_NS6_16discard_iteratorINS6_11use_defaultEEESG_PmS8_NS6_8equal_toIjEEEE10hipError_tPvRmT2_T3_mT4_T5_T6_T7_T8_P12ihipStream_tbENKUlT_T0_E_clISt17integral_constantIbLb0EES13_IbLb1EEEEDaSZ_S10_EUlSZ_E_NS1_11comp_targetILNS1_3genE2ELNS1_11target_archE906ELNS1_3gpuE6ELNS1_3repE0EEENS1_30default_config_static_selectorELNS0_4arch9wavefront6targetE1EEEvT1_,comdat
	.protected	_ZN7rocprim17ROCPRIM_400000_NS6detail17trampoline_kernelINS0_14default_configENS1_29reduce_by_key_config_selectorIjjN6thrust23THRUST_200600_302600_NS4plusIjEEEEZZNS1_33reduce_by_key_impl_wrapped_configILNS1_25lookback_scan_determinismE0ES3_S9_NS6_6detail15normal_iteratorINS6_10device_ptrIjEEEESG_NS6_16discard_iteratorINS6_11use_defaultEEESG_PmS8_NS6_8equal_toIjEEEE10hipError_tPvRmT2_T3_mT4_T5_T6_T7_T8_P12ihipStream_tbENKUlT_T0_E_clISt17integral_constantIbLb0EES13_IbLb1EEEEDaSZ_S10_EUlSZ_E_NS1_11comp_targetILNS1_3genE2ELNS1_11target_archE906ELNS1_3gpuE6ELNS1_3repE0EEENS1_30default_config_static_selectorELNS0_4arch9wavefront6targetE1EEEvT1_ ; -- Begin function _ZN7rocprim17ROCPRIM_400000_NS6detail17trampoline_kernelINS0_14default_configENS1_29reduce_by_key_config_selectorIjjN6thrust23THRUST_200600_302600_NS4plusIjEEEEZZNS1_33reduce_by_key_impl_wrapped_configILNS1_25lookback_scan_determinismE0ES3_S9_NS6_6detail15normal_iteratorINS6_10device_ptrIjEEEESG_NS6_16discard_iteratorINS6_11use_defaultEEESG_PmS8_NS6_8equal_toIjEEEE10hipError_tPvRmT2_T3_mT4_T5_T6_T7_T8_P12ihipStream_tbENKUlT_T0_E_clISt17integral_constantIbLb0EES13_IbLb1EEEEDaSZ_S10_EUlSZ_E_NS1_11comp_targetILNS1_3genE2ELNS1_11target_archE906ELNS1_3gpuE6ELNS1_3repE0EEENS1_30default_config_static_selectorELNS0_4arch9wavefront6targetE1EEEvT1_
	.globl	_ZN7rocprim17ROCPRIM_400000_NS6detail17trampoline_kernelINS0_14default_configENS1_29reduce_by_key_config_selectorIjjN6thrust23THRUST_200600_302600_NS4plusIjEEEEZZNS1_33reduce_by_key_impl_wrapped_configILNS1_25lookback_scan_determinismE0ES3_S9_NS6_6detail15normal_iteratorINS6_10device_ptrIjEEEESG_NS6_16discard_iteratorINS6_11use_defaultEEESG_PmS8_NS6_8equal_toIjEEEE10hipError_tPvRmT2_T3_mT4_T5_T6_T7_T8_P12ihipStream_tbENKUlT_T0_E_clISt17integral_constantIbLb0EES13_IbLb1EEEEDaSZ_S10_EUlSZ_E_NS1_11comp_targetILNS1_3genE2ELNS1_11target_archE906ELNS1_3gpuE6ELNS1_3repE0EEENS1_30default_config_static_selectorELNS0_4arch9wavefront6targetE1EEEvT1_
	.p2align	8
	.type	_ZN7rocprim17ROCPRIM_400000_NS6detail17trampoline_kernelINS0_14default_configENS1_29reduce_by_key_config_selectorIjjN6thrust23THRUST_200600_302600_NS4plusIjEEEEZZNS1_33reduce_by_key_impl_wrapped_configILNS1_25lookback_scan_determinismE0ES3_S9_NS6_6detail15normal_iteratorINS6_10device_ptrIjEEEESG_NS6_16discard_iteratorINS6_11use_defaultEEESG_PmS8_NS6_8equal_toIjEEEE10hipError_tPvRmT2_T3_mT4_T5_T6_T7_T8_P12ihipStream_tbENKUlT_T0_E_clISt17integral_constantIbLb0EES13_IbLb1EEEEDaSZ_S10_EUlSZ_E_NS1_11comp_targetILNS1_3genE2ELNS1_11target_archE906ELNS1_3gpuE6ELNS1_3repE0EEENS1_30default_config_static_selectorELNS0_4arch9wavefront6targetE1EEEvT1_,@function
_ZN7rocprim17ROCPRIM_400000_NS6detail17trampoline_kernelINS0_14default_configENS1_29reduce_by_key_config_selectorIjjN6thrust23THRUST_200600_302600_NS4plusIjEEEEZZNS1_33reduce_by_key_impl_wrapped_configILNS1_25lookback_scan_determinismE0ES3_S9_NS6_6detail15normal_iteratorINS6_10device_ptrIjEEEESG_NS6_16discard_iteratorINS6_11use_defaultEEESG_PmS8_NS6_8equal_toIjEEEE10hipError_tPvRmT2_T3_mT4_T5_T6_T7_T8_P12ihipStream_tbENKUlT_T0_E_clISt17integral_constantIbLb0EES13_IbLb1EEEEDaSZ_S10_EUlSZ_E_NS1_11comp_targetILNS1_3genE2ELNS1_11target_archE906ELNS1_3gpuE6ELNS1_3repE0EEENS1_30default_config_static_selectorELNS0_4arch9wavefront6targetE1EEEvT1_: ; @_ZN7rocprim17ROCPRIM_400000_NS6detail17trampoline_kernelINS0_14default_configENS1_29reduce_by_key_config_selectorIjjN6thrust23THRUST_200600_302600_NS4plusIjEEEEZZNS1_33reduce_by_key_impl_wrapped_configILNS1_25lookback_scan_determinismE0ES3_S9_NS6_6detail15normal_iteratorINS6_10device_ptrIjEEEESG_NS6_16discard_iteratorINS6_11use_defaultEEESG_PmS8_NS6_8equal_toIjEEEE10hipError_tPvRmT2_T3_mT4_T5_T6_T7_T8_P12ihipStream_tbENKUlT_T0_E_clISt17integral_constantIbLb0EES13_IbLb1EEEEDaSZ_S10_EUlSZ_E_NS1_11comp_targetILNS1_3genE2ELNS1_11target_archE906ELNS1_3gpuE6ELNS1_3repE0EEENS1_30default_config_static_selectorELNS0_4arch9wavefront6targetE1EEEvT1_
; %bb.0:
	.section	.rodata,"a",@progbits
	.p2align	6, 0x0
	.amdhsa_kernel _ZN7rocprim17ROCPRIM_400000_NS6detail17trampoline_kernelINS0_14default_configENS1_29reduce_by_key_config_selectorIjjN6thrust23THRUST_200600_302600_NS4plusIjEEEEZZNS1_33reduce_by_key_impl_wrapped_configILNS1_25lookback_scan_determinismE0ES3_S9_NS6_6detail15normal_iteratorINS6_10device_ptrIjEEEESG_NS6_16discard_iteratorINS6_11use_defaultEEESG_PmS8_NS6_8equal_toIjEEEE10hipError_tPvRmT2_T3_mT4_T5_T6_T7_T8_P12ihipStream_tbENKUlT_T0_E_clISt17integral_constantIbLb0EES13_IbLb1EEEEDaSZ_S10_EUlSZ_E_NS1_11comp_targetILNS1_3genE2ELNS1_11target_archE906ELNS1_3gpuE6ELNS1_3repE0EEENS1_30default_config_static_selectorELNS0_4arch9wavefront6targetE1EEEvT1_
		.amdhsa_group_segment_fixed_size 0
		.amdhsa_private_segment_fixed_size 0
		.amdhsa_kernarg_size 128
		.amdhsa_user_sgpr_count 6
		.amdhsa_user_sgpr_private_segment_buffer 1
		.amdhsa_user_sgpr_dispatch_ptr 0
		.amdhsa_user_sgpr_queue_ptr 0
		.amdhsa_user_sgpr_kernarg_segment_ptr 1
		.amdhsa_user_sgpr_dispatch_id 0
		.amdhsa_user_sgpr_flat_scratch_init 0
		.amdhsa_user_sgpr_kernarg_preload_length 0
		.amdhsa_user_sgpr_kernarg_preload_offset 0
		.amdhsa_user_sgpr_private_segment_size 0
		.amdhsa_uses_dynamic_stack 0
		.amdhsa_system_sgpr_private_segment_wavefront_offset 0
		.amdhsa_system_sgpr_workgroup_id_x 1
		.amdhsa_system_sgpr_workgroup_id_y 0
		.amdhsa_system_sgpr_workgroup_id_z 0
		.amdhsa_system_sgpr_workgroup_info 0
		.amdhsa_system_vgpr_workitem_id 0
		.amdhsa_next_free_vgpr 1
		.amdhsa_next_free_sgpr 0
		.amdhsa_accum_offset 4
		.amdhsa_reserve_vcc 0
		.amdhsa_reserve_flat_scratch 0
		.amdhsa_float_round_mode_32 0
		.amdhsa_float_round_mode_16_64 0
		.amdhsa_float_denorm_mode_32 3
		.amdhsa_float_denorm_mode_16_64 3
		.amdhsa_dx10_clamp 1
		.amdhsa_ieee_mode 1
		.amdhsa_fp16_overflow 0
		.amdhsa_tg_split 0
		.amdhsa_exception_fp_ieee_invalid_op 0
		.amdhsa_exception_fp_denorm_src 0
		.amdhsa_exception_fp_ieee_div_zero 0
		.amdhsa_exception_fp_ieee_overflow 0
		.amdhsa_exception_fp_ieee_underflow 0
		.amdhsa_exception_fp_ieee_inexact 0
		.amdhsa_exception_int_div_zero 0
	.end_amdhsa_kernel
	.section	.text._ZN7rocprim17ROCPRIM_400000_NS6detail17trampoline_kernelINS0_14default_configENS1_29reduce_by_key_config_selectorIjjN6thrust23THRUST_200600_302600_NS4plusIjEEEEZZNS1_33reduce_by_key_impl_wrapped_configILNS1_25lookback_scan_determinismE0ES3_S9_NS6_6detail15normal_iteratorINS6_10device_ptrIjEEEESG_NS6_16discard_iteratorINS6_11use_defaultEEESG_PmS8_NS6_8equal_toIjEEEE10hipError_tPvRmT2_T3_mT4_T5_T6_T7_T8_P12ihipStream_tbENKUlT_T0_E_clISt17integral_constantIbLb0EES13_IbLb1EEEEDaSZ_S10_EUlSZ_E_NS1_11comp_targetILNS1_3genE2ELNS1_11target_archE906ELNS1_3gpuE6ELNS1_3repE0EEENS1_30default_config_static_selectorELNS0_4arch9wavefront6targetE1EEEvT1_,"axG",@progbits,_ZN7rocprim17ROCPRIM_400000_NS6detail17trampoline_kernelINS0_14default_configENS1_29reduce_by_key_config_selectorIjjN6thrust23THRUST_200600_302600_NS4plusIjEEEEZZNS1_33reduce_by_key_impl_wrapped_configILNS1_25lookback_scan_determinismE0ES3_S9_NS6_6detail15normal_iteratorINS6_10device_ptrIjEEEESG_NS6_16discard_iteratorINS6_11use_defaultEEESG_PmS8_NS6_8equal_toIjEEEE10hipError_tPvRmT2_T3_mT4_T5_T6_T7_T8_P12ihipStream_tbENKUlT_T0_E_clISt17integral_constantIbLb0EES13_IbLb1EEEEDaSZ_S10_EUlSZ_E_NS1_11comp_targetILNS1_3genE2ELNS1_11target_archE906ELNS1_3gpuE6ELNS1_3repE0EEENS1_30default_config_static_selectorELNS0_4arch9wavefront6targetE1EEEvT1_,comdat
.Lfunc_end944:
	.size	_ZN7rocprim17ROCPRIM_400000_NS6detail17trampoline_kernelINS0_14default_configENS1_29reduce_by_key_config_selectorIjjN6thrust23THRUST_200600_302600_NS4plusIjEEEEZZNS1_33reduce_by_key_impl_wrapped_configILNS1_25lookback_scan_determinismE0ES3_S9_NS6_6detail15normal_iteratorINS6_10device_ptrIjEEEESG_NS6_16discard_iteratorINS6_11use_defaultEEESG_PmS8_NS6_8equal_toIjEEEE10hipError_tPvRmT2_T3_mT4_T5_T6_T7_T8_P12ihipStream_tbENKUlT_T0_E_clISt17integral_constantIbLb0EES13_IbLb1EEEEDaSZ_S10_EUlSZ_E_NS1_11comp_targetILNS1_3genE2ELNS1_11target_archE906ELNS1_3gpuE6ELNS1_3repE0EEENS1_30default_config_static_selectorELNS0_4arch9wavefront6targetE1EEEvT1_, .Lfunc_end944-_ZN7rocprim17ROCPRIM_400000_NS6detail17trampoline_kernelINS0_14default_configENS1_29reduce_by_key_config_selectorIjjN6thrust23THRUST_200600_302600_NS4plusIjEEEEZZNS1_33reduce_by_key_impl_wrapped_configILNS1_25lookback_scan_determinismE0ES3_S9_NS6_6detail15normal_iteratorINS6_10device_ptrIjEEEESG_NS6_16discard_iteratorINS6_11use_defaultEEESG_PmS8_NS6_8equal_toIjEEEE10hipError_tPvRmT2_T3_mT4_T5_T6_T7_T8_P12ihipStream_tbENKUlT_T0_E_clISt17integral_constantIbLb0EES13_IbLb1EEEEDaSZ_S10_EUlSZ_E_NS1_11comp_targetILNS1_3genE2ELNS1_11target_archE906ELNS1_3gpuE6ELNS1_3repE0EEENS1_30default_config_static_selectorELNS0_4arch9wavefront6targetE1EEEvT1_
                                        ; -- End function
	.section	.AMDGPU.csdata,"",@progbits
; Kernel info:
; codeLenInByte = 0
; NumSgprs: 4
; NumVgprs: 0
; NumAgprs: 0
; TotalNumVgprs: 0
; ScratchSize: 0
; MemoryBound: 0
; FloatMode: 240
; IeeeMode: 1
; LDSByteSize: 0 bytes/workgroup (compile time only)
; SGPRBlocks: 0
; VGPRBlocks: 0
; NumSGPRsForWavesPerEU: 4
; NumVGPRsForWavesPerEU: 1
; AccumOffset: 4
; Occupancy: 8
; WaveLimiterHint : 0
; COMPUTE_PGM_RSRC2:SCRATCH_EN: 0
; COMPUTE_PGM_RSRC2:USER_SGPR: 6
; COMPUTE_PGM_RSRC2:TRAP_HANDLER: 0
; COMPUTE_PGM_RSRC2:TGID_X_EN: 1
; COMPUTE_PGM_RSRC2:TGID_Y_EN: 0
; COMPUTE_PGM_RSRC2:TGID_Z_EN: 0
; COMPUTE_PGM_RSRC2:TIDIG_COMP_CNT: 0
; COMPUTE_PGM_RSRC3_GFX90A:ACCUM_OFFSET: 0
; COMPUTE_PGM_RSRC3_GFX90A:TG_SPLIT: 0
	.section	.text._ZN7rocprim17ROCPRIM_400000_NS6detail17trampoline_kernelINS0_14default_configENS1_29reduce_by_key_config_selectorIjjN6thrust23THRUST_200600_302600_NS4plusIjEEEEZZNS1_33reduce_by_key_impl_wrapped_configILNS1_25lookback_scan_determinismE0ES3_S9_NS6_6detail15normal_iteratorINS6_10device_ptrIjEEEESG_NS6_16discard_iteratorINS6_11use_defaultEEESG_PmS8_NS6_8equal_toIjEEEE10hipError_tPvRmT2_T3_mT4_T5_T6_T7_T8_P12ihipStream_tbENKUlT_T0_E_clISt17integral_constantIbLb0EES13_IbLb1EEEEDaSZ_S10_EUlSZ_E_NS1_11comp_targetILNS1_3genE10ELNS1_11target_archE1201ELNS1_3gpuE5ELNS1_3repE0EEENS1_30default_config_static_selectorELNS0_4arch9wavefront6targetE1EEEvT1_,"axG",@progbits,_ZN7rocprim17ROCPRIM_400000_NS6detail17trampoline_kernelINS0_14default_configENS1_29reduce_by_key_config_selectorIjjN6thrust23THRUST_200600_302600_NS4plusIjEEEEZZNS1_33reduce_by_key_impl_wrapped_configILNS1_25lookback_scan_determinismE0ES3_S9_NS6_6detail15normal_iteratorINS6_10device_ptrIjEEEESG_NS6_16discard_iteratorINS6_11use_defaultEEESG_PmS8_NS6_8equal_toIjEEEE10hipError_tPvRmT2_T3_mT4_T5_T6_T7_T8_P12ihipStream_tbENKUlT_T0_E_clISt17integral_constantIbLb0EES13_IbLb1EEEEDaSZ_S10_EUlSZ_E_NS1_11comp_targetILNS1_3genE10ELNS1_11target_archE1201ELNS1_3gpuE5ELNS1_3repE0EEENS1_30default_config_static_selectorELNS0_4arch9wavefront6targetE1EEEvT1_,comdat
	.protected	_ZN7rocprim17ROCPRIM_400000_NS6detail17trampoline_kernelINS0_14default_configENS1_29reduce_by_key_config_selectorIjjN6thrust23THRUST_200600_302600_NS4plusIjEEEEZZNS1_33reduce_by_key_impl_wrapped_configILNS1_25lookback_scan_determinismE0ES3_S9_NS6_6detail15normal_iteratorINS6_10device_ptrIjEEEESG_NS6_16discard_iteratorINS6_11use_defaultEEESG_PmS8_NS6_8equal_toIjEEEE10hipError_tPvRmT2_T3_mT4_T5_T6_T7_T8_P12ihipStream_tbENKUlT_T0_E_clISt17integral_constantIbLb0EES13_IbLb1EEEEDaSZ_S10_EUlSZ_E_NS1_11comp_targetILNS1_3genE10ELNS1_11target_archE1201ELNS1_3gpuE5ELNS1_3repE0EEENS1_30default_config_static_selectorELNS0_4arch9wavefront6targetE1EEEvT1_ ; -- Begin function _ZN7rocprim17ROCPRIM_400000_NS6detail17trampoline_kernelINS0_14default_configENS1_29reduce_by_key_config_selectorIjjN6thrust23THRUST_200600_302600_NS4plusIjEEEEZZNS1_33reduce_by_key_impl_wrapped_configILNS1_25lookback_scan_determinismE0ES3_S9_NS6_6detail15normal_iteratorINS6_10device_ptrIjEEEESG_NS6_16discard_iteratorINS6_11use_defaultEEESG_PmS8_NS6_8equal_toIjEEEE10hipError_tPvRmT2_T3_mT4_T5_T6_T7_T8_P12ihipStream_tbENKUlT_T0_E_clISt17integral_constantIbLb0EES13_IbLb1EEEEDaSZ_S10_EUlSZ_E_NS1_11comp_targetILNS1_3genE10ELNS1_11target_archE1201ELNS1_3gpuE5ELNS1_3repE0EEENS1_30default_config_static_selectorELNS0_4arch9wavefront6targetE1EEEvT1_
	.globl	_ZN7rocprim17ROCPRIM_400000_NS6detail17trampoline_kernelINS0_14default_configENS1_29reduce_by_key_config_selectorIjjN6thrust23THRUST_200600_302600_NS4plusIjEEEEZZNS1_33reduce_by_key_impl_wrapped_configILNS1_25lookback_scan_determinismE0ES3_S9_NS6_6detail15normal_iteratorINS6_10device_ptrIjEEEESG_NS6_16discard_iteratorINS6_11use_defaultEEESG_PmS8_NS6_8equal_toIjEEEE10hipError_tPvRmT2_T3_mT4_T5_T6_T7_T8_P12ihipStream_tbENKUlT_T0_E_clISt17integral_constantIbLb0EES13_IbLb1EEEEDaSZ_S10_EUlSZ_E_NS1_11comp_targetILNS1_3genE10ELNS1_11target_archE1201ELNS1_3gpuE5ELNS1_3repE0EEENS1_30default_config_static_selectorELNS0_4arch9wavefront6targetE1EEEvT1_
	.p2align	8
	.type	_ZN7rocprim17ROCPRIM_400000_NS6detail17trampoline_kernelINS0_14default_configENS1_29reduce_by_key_config_selectorIjjN6thrust23THRUST_200600_302600_NS4plusIjEEEEZZNS1_33reduce_by_key_impl_wrapped_configILNS1_25lookback_scan_determinismE0ES3_S9_NS6_6detail15normal_iteratorINS6_10device_ptrIjEEEESG_NS6_16discard_iteratorINS6_11use_defaultEEESG_PmS8_NS6_8equal_toIjEEEE10hipError_tPvRmT2_T3_mT4_T5_T6_T7_T8_P12ihipStream_tbENKUlT_T0_E_clISt17integral_constantIbLb0EES13_IbLb1EEEEDaSZ_S10_EUlSZ_E_NS1_11comp_targetILNS1_3genE10ELNS1_11target_archE1201ELNS1_3gpuE5ELNS1_3repE0EEENS1_30default_config_static_selectorELNS0_4arch9wavefront6targetE1EEEvT1_,@function
_ZN7rocprim17ROCPRIM_400000_NS6detail17trampoline_kernelINS0_14default_configENS1_29reduce_by_key_config_selectorIjjN6thrust23THRUST_200600_302600_NS4plusIjEEEEZZNS1_33reduce_by_key_impl_wrapped_configILNS1_25lookback_scan_determinismE0ES3_S9_NS6_6detail15normal_iteratorINS6_10device_ptrIjEEEESG_NS6_16discard_iteratorINS6_11use_defaultEEESG_PmS8_NS6_8equal_toIjEEEE10hipError_tPvRmT2_T3_mT4_T5_T6_T7_T8_P12ihipStream_tbENKUlT_T0_E_clISt17integral_constantIbLb0EES13_IbLb1EEEEDaSZ_S10_EUlSZ_E_NS1_11comp_targetILNS1_3genE10ELNS1_11target_archE1201ELNS1_3gpuE5ELNS1_3repE0EEENS1_30default_config_static_selectorELNS0_4arch9wavefront6targetE1EEEvT1_: ; @_ZN7rocprim17ROCPRIM_400000_NS6detail17trampoline_kernelINS0_14default_configENS1_29reduce_by_key_config_selectorIjjN6thrust23THRUST_200600_302600_NS4plusIjEEEEZZNS1_33reduce_by_key_impl_wrapped_configILNS1_25lookback_scan_determinismE0ES3_S9_NS6_6detail15normal_iteratorINS6_10device_ptrIjEEEESG_NS6_16discard_iteratorINS6_11use_defaultEEESG_PmS8_NS6_8equal_toIjEEEE10hipError_tPvRmT2_T3_mT4_T5_T6_T7_T8_P12ihipStream_tbENKUlT_T0_E_clISt17integral_constantIbLb0EES13_IbLb1EEEEDaSZ_S10_EUlSZ_E_NS1_11comp_targetILNS1_3genE10ELNS1_11target_archE1201ELNS1_3gpuE5ELNS1_3repE0EEENS1_30default_config_static_selectorELNS0_4arch9wavefront6targetE1EEEvT1_
; %bb.0:
	.section	.rodata,"a",@progbits
	.p2align	6, 0x0
	.amdhsa_kernel _ZN7rocprim17ROCPRIM_400000_NS6detail17trampoline_kernelINS0_14default_configENS1_29reduce_by_key_config_selectorIjjN6thrust23THRUST_200600_302600_NS4plusIjEEEEZZNS1_33reduce_by_key_impl_wrapped_configILNS1_25lookback_scan_determinismE0ES3_S9_NS6_6detail15normal_iteratorINS6_10device_ptrIjEEEESG_NS6_16discard_iteratorINS6_11use_defaultEEESG_PmS8_NS6_8equal_toIjEEEE10hipError_tPvRmT2_T3_mT4_T5_T6_T7_T8_P12ihipStream_tbENKUlT_T0_E_clISt17integral_constantIbLb0EES13_IbLb1EEEEDaSZ_S10_EUlSZ_E_NS1_11comp_targetILNS1_3genE10ELNS1_11target_archE1201ELNS1_3gpuE5ELNS1_3repE0EEENS1_30default_config_static_selectorELNS0_4arch9wavefront6targetE1EEEvT1_
		.amdhsa_group_segment_fixed_size 0
		.amdhsa_private_segment_fixed_size 0
		.amdhsa_kernarg_size 128
		.amdhsa_user_sgpr_count 6
		.amdhsa_user_sgpr_private_segment_buffer 1
		.amdhsa_user_sgpr_dispatch_ptr 0
		.amdhsa_user_sgpr_queue_ptr 0
		.amdhsa_user_sgpr_kernarg_segment_ptr 1
		.amdhsa_user_sgpr_dispatch_id 0
		.amdhsa_user_sgpr_flat_scratch_init 0
		.amdhsa_user_sgpr_kernarg_preload_length 0
		.amdhsa_user_sgpr_kernarg_preload_offset 0
		.amdhsa_user_sgpr_private_segment_size 0
		.amdhsa_uses_dynamic_stack 0
		.amdhsa_system_sgpr_private_segment_wavefront_offset 0
		.amdhsa_system_sgpr_workgroup_id_x 1
		.amdhsa_system_sgpr_workgroup_id_y 0
		.amdhsa_system_sgpr_workgroup_id_z 0
		.amdhsa_system_sgpr_workgroup_info 0
		.amdhsa_system_vgpr_workitem_id 0
		.amdhsa_next_free_vgpr 1
		.amdhsa_next_free_sgpr 0
		.amdhsa_accum_offset 4
		.amdhsa_reserve_vcc 0
		.amdhsa_reserve_flat_scratch 0
		.amdhsa_float_round_mode_32 0
		.amdhsa_float_round_mode_16_64 0
		.amdhsa_float_denorm_mode_32 3
		.amdhsa_float_denorm_mode_16_64 3
		.amdhsa_dx10_clamp 1
		.amdhsa_ieee_mode 1
		.amdhsa_fp16_overflow 0
		.amdhsa_tg_split 0
		.amdhsa_exception_fp_ieee_invalid_op 0
		.amdhsa_exception_fp_denorm_src 0
		.amdhsa_exception_fp_ieee_div_zero 0
		.amdhsa_exception_fp_ieee_overflow 0
		.amdhsa_exception_fp_ieee_underflow 0
		.amdhsa_exception_fp_ieee_inexact 0
		.amdhsa_exception_int_div_zero 0
	.end_amdhsa_kernel
	.section	.text._ZN7rocprim17ROCPRIM_400000_NS6detail17trampoline_kernelINS0_14default_configENS1_29reduce_by_key_config_selectorIjjN6thrust23THRUST_200600_302600_NS4plusIjEEEEZZNS1_33reduce_by_key_impl_wrapped_configILNS1_25lookback_scan_determinismE0ES3_S9_NS6_6detail15normal_iteratorINS6_10device_ptrIjEEEESG_NS6_16discard_iteratorINS6_11use_defaultEEESG_PmS8_NS6_8equal_toIjEEEE10hipError_tPvRmT2_T3_mT4_T5_T6_T7_T8_P12ihipStream_tbENKUlT_T0_E_clISt17integral_constantIbLb0EES13_IbLb1EEEEDaSZ_S10_EUlSZ_E_NS1_11comp_targetILNS1_3genE10ELNS1_11target_archE1201ELNS1_3gpuE5ELNS1_3repE0EEENS1_30default_config_static_selectorELNS0_4arch9wavefront6targetE1EEEvT1_,"axG",@progbits,_ZN7rocprim17ROCPRIM_400000_NS6detail17trampoline_kernelINS0_14default_configENS1_29reduce_by_key_config_selectorIjjN6thrust23THRUST_200600_302600_NS4plusIjEEEEZZNS1_33reduce_by_key_impl_wrapped_configILNS1_25lookback_scan_determinismE0ES3_S9_NS6_6detail15normal_iteratorINS6_10device_ptrIjEEEESG_NS6_16discard_iteratorINS6_11use_defaultEEESG_PmS8_NS6_8equal_toIjEEEE10hipError_tPvRmT2_T3_mT4_T5_T6_T7_T8_P12ihipStream_tbENKUlT_T0_E_clISt17integral_constantIbLb0EES13_IbLb1EEEEDaSZ_S10_EUlSZ_E_NS1_11comp_targetILNS1_3genE10ELNS1_11target_archE1201ELNS1_3gpuE5ELNS1_3repE0EEENS1_30default_config_static_selectorELNS0_4arch9wavefront6targetE1EEEvT1_,comdat
.Lfunc_end945:
	.size	_ZN7rocprim17ROCPRIM_400000_NS6detail17trampoline_kernelINS0_14default_configENS1_29reduce_by_key_config_selectorIjjN6thrust23THRUST_200600_302600_NS4plusIjEEEEZZNS1_33reduce_by_key_impl_wrapped_configILNS1_25lookback_scan_determinismE0ES3_S9_NS6_6detail15normal_iteratorINS6_10device_ptrIjEEEESG_NS6_16discard_iteratorINS6_11use_defaultEEESG_PmS8_NS6_8equal_toIjEEEE10hipError_tPvRmT2_T3_mT4_T5_T6_T7_T8_P12ihipStream_tbENKUlT_T0_E_clISt17integral_constantIbLb0EES13_IbLb1EEEEDaSZ_S10_EUlSZ_E_NS1_11comp_targetILNS1_3genE10ELNS1_11target_archE1201ELNS1_3gpuE5ELNS1_3repE0EEENS1_30default_config_static_selectorELNS0_4arch9wavefront6targetE1EEEvT1_, .Lfunc_end945-_ZN7rocprim17ROCPRIM_400000_NS6detail17trampoline_kernelINS0_14default_configENS1_29reduce_by_key_config_selectorIjjN6thrust23THRUST_200600_302600_NS4plusIjEEEEZZNS1_33reduce_by_key_impl_wrapped_configILNS1_25lookback_scan_determinismE0ES3_S9_NS6_6detail15normal_iteratorINS6_10device_ptrIjEEEESG_NS6_16discard_iteratorINS6_11use_defaultEEESG_PmS8_NS6_8equal_toIjEEEE10hipError_tPvRmT2_T3_mT4_T5_T6_T7_T8_P12ihipStream_tbENKUlT_T0_E_clISt17integral_constantIbLb0EES13_IbLb1EEEEDaSZ_S10_EUlSZ_E_NS1_11comp_targetILNS1_3genE10ELNS1_11target_archE1201ELNS1_3gpuE5ELNS1_3repE0EEENS1_30default_config_static_selectorELNS0_4arch9wavefront6targetE1EEEvT1_
                                        ; -- End function
	.section	.AMDGPU.csdata,"",@progbits
; Kernel info:
; codeLenInByte = 0
; NumSgprs: 4
; NumVgprs: 0
; NumAgprs: 0
; TotalNumVgprs: 0
; ScratchSize: 0
; MemoryBound: 0
; FloatMode: 240
; IeeeMode: 1
; LDSByteSize: 0 bytes/workgroup (compile time only)
; SGPRBlocks: 0
; VGPRBlocks: 0
; NumSGPRsForWavesPerEU: 4
; NumVGPRsForWavesPerEU: 1
; AccumOffset: 4
; Occupancy: 8
; WaveLimiterHint : 0
; COMPUTE_PGM_RSRC2:SCRATCH_EN: 0
; COMPUTE_PGM_RSRC2:USER_SGPR: 6
; COMPUTE_PGM_RSRC2:TRAP_HANDLER: 0
; COMPUTE_PGM_RSRC2:TGID_X_EN: 1
; COMPUTE_PGM_RSRC2:TGID_Y_EN: 0
; COMPUTE_PGM_RSRC2:TGID_Z_EN: 0
; COMPUTE_PGM_RSRC2:TIDIG_COMP_CNT: 0
; COMPUTE_PGM_RSRC3_GFX90A:ACCUM_OFFSET: 0
; COMPUTE_PGM_RSRC3_GFX90A:TG_SPLIT: 0
	.section	.text._ZN7rocprim17ROCPRIM_400000_NS6detail17trampoline_kernelINS0_14default_configENS1_29reduce_by_key_config_selectorIjjN6thrust23THRUST_200600_302600_NS4plusIjEEEEZZNS1_33reduce_by_key_impl_wrapped_configILNS1_25lookback_scan_determinismE0ES3_S9_NS6_6detail15normal_iteratorINS6_10device_ptrIjEEEESG_NS6_16discard_iteratorINS6_11use_defaultEEESG_PmS8_NS6_8equal_toIjEEEE10hipError_tPvRmT2_T3_mT4_T5_T6_T7_T8_P12ihipStream_tbENKUlT_T0_E_clISt17integral_constantIbLb0EES13_IbLb1EEEEDaSZ_S10_EUlSZ_E_NS1_11comp_targetILNS1_3genE10ELNS1_11target_archE1200ELNS1_3gpuE4ELNS1_3repE0EEENS1_30default_config_static_selectorELNS0_4arch9wavefront6targetE1EEEvT1_,"axG",@progbits,_ZN7rocprim17ROCPRIM_400000_NS6detail17trampoline_kernelINS0_14default_configENS1_29reduce_by_key_config_selectorIjjN6thrust23THRUST_200600_302600_NS4plusIjEEEEZZNS1_33reduce_by_key_impl_wrapped_configILNS1_25lookback_scan_determinismE0ES3_S9_NS6_6detail15normal_iteratorINS6_10device_ptrIjEEEESG_NS6_16discard_iteratorINS6_11use_defaultEEESG_PmS8_NS6_8equal_toIjEEEE10hipError_tPvRmT2_T3_mT4_T5_T6_T7_T8_P12ihipStream_tbENKUlT_T0_E_clISt17integral_constantIbLb0EES13_IbLb1EEEEDaSZ_S10_EUlSZ_E_NS1_11comp_targetILNS1_3genE10ELNS1_11target_archE1200ELNS1_3gpuE4ELNS1_3repE0EEENS1_30default_config_static_selectorELNS0_4arch9wavefront6targetE1EEEvT1_,comdat
	.protected	_ZN7rocprim17ROCPRIM_400000_NS6detail17trampoline_kernelINS0_14default_configENS1_29reduce_by_key_config_selectorIjjN6thrust23THRUST_200600_302600_NS4plusIjEEEEZZNS1_33reduce_by_key_impl_wrapped_configILNS1_25lookback_scan_determinismE0ES3_S9_NS6_6detail15normal_iteratorINS6_10device_ptrIjEEEESG_NS6_16discard_iteratorINS6_11use_defaultEEESG_PmS8_NS6_8equal_toIjEEEE10hipError_tPvRmT2_T3_mT4_T5_T6_T7_T8_P12ihipStream_tbENKUlT_T0_E_clISt17integral_constantIbLb0EES13_IbLb1EEEEDaSZ_S10_EUlSZ_E_NS1_11comp_targetILNS1_3genE10ELNS1_11target_archE1200ELNS1_3gpuE4ELNS1_3repE0EEENS1_30default_config_static_selectorELNS0_4arch9wavefront6targetE1EEEvT1_ ; -- Begin function _ZN7rocprim17ROCPRIM_400000_NS6detail17trampoline_kernelINS0_14default_configENS1_29reduce_by_key_config_selectorIjjN6thrust23THRUST_200600_302600_NS4plusIjEEEEZZNS1_33reduce_by_key_impl_wrapped_configILNS1_25lookback_scan_determinismE0ES3_S9_NS6_6detail15normal_iteratorINS6_10device_ptrIjEEEESG_NS6_16discard_iteratorINS6_11use_defaultEEESG_PmS8_NS6_8equal_toIjEEEE10hipError_tPvRmT2_T3_mT4_T5_T6_T7_T8_P12ihipStream_tbENKUlT_T0_E_clISt17integral_constantIbLb0EES13_IbLb1EEEEDaSZ_S10_EUlSZ_E_NS1_11comp_targetILNS1_3genE10ELNS1_11target_archE1200ELNS1_3gpuE4ELNS1_3repE0EEENS1_30default_config_static_selectorELNS0_4arch9wavefront6targetE1EEEvT1_
	.globl	_ZN7rocprim17ROCPRIM_400000_NS6detail17trampoline_kernelINS0_14default_configENS1_29reduce_by_key_config_selectorIjjN6thrust23THRUST_200600_302600_NS4plusIjEEEEZZNS1_33reduce_by_key_impl_wrapped_configILNS1_25lookback_scan_determinismE0ES3_S9_NS6_6detail15normal_iteratorINS6_10device_ptrIjEEEESG_NS6_16discard_iteratorINS6_11use_defaultEEESG_PmS8_NS6_8equal_toIjEEEE10hipError_tPvRmT2_T3_mT4_T5_T6_T7_T8_P12ihipStream_tbENKUlT_T0_E_clISt17integral_constantIbLb0EES13_IbLb1EEEEDaSZ_S10_EUlSZ_E_NS1_11comp_targetILNS1_3genE10ELNS1_11target_archE1200ELNS1_3gpuE4ELNS1_3repE0EEENS1_30default_config_static_selectorELNS0_4arch9wavefront6targetE1EEEvT1_
	.p2align	8
	.type	_ZN7rocprim17ROCPRIM_400000_NS6detail17trampoline_kernelINS0_14default_configENS1_29reduce_by_key_config_selectorIjjN6thrust23THRUST_200600_302600_NS4plusIjEEEEZZNS1_33reduce_by_key_impl_wrapped_configILNS1_25lookback_scan_determinismE0ES3_S9_NS6_6detail15normal_iteratorINS6_10device_ptrIjEEEESG_NS6_16discard_iteratorINS6_11use_defaultEEESG_PmS8_NS6_8equal_toIjEEEE10hipError_tPvRmT2_T3_mT4_T5_T6_T7_T8_P12ihipStream_tbENKUlT_T0_E_clISt17integral_constantIbLb0EES13_IbLb1EEEEDaSZ_S10_EUlSZ_E_NS1_11comp_targetILNS1_3genE10ELNS1_11target_archE1200ELNS1_3gpuE4ELNS1_3repE0EEENS1_30default_config_static_selectorELNS0_4arch9wavefront6targetE1EEEvT1_,@function
_ZN7rocprim17ROCPRIM_400000_NS6detail17trampoline_kernelINS0_14default_configENS1_29reduce_by_key_config_selectorIjjN6thrust23THRUST_200600_302600_NS4plusIjEEEEZZNS1_33reduce_by_key_impl_wrapped_configILNS1_25lookback_scan_determinismE0ES3_S9_NS6_6detail15normal_iteratorINS6_10device_ptrIjEEEESG_NS6_16discard_iteratorINS6_11use_defaultEEESG_PmS8_NS6_8equal_toIjEEEE10hipError_tPvRmT2_T3_mT4_T5_T6_T7_T8_P12ihipStream_tbENKUlT_T0_E_clISt17integral_constantIbLb0EES13_IbLb1EEEEDaSZ_S10_EUlSZ_E_NS1_11comp_targetILNS1_3genE10ELNS1_11target_archE1200ELNS1_3gpuE4ELNS1_3repE0EEENS1_30default_config_static_selectorELNS0_4arch9wavefront6targetE1EEEvT1_: ; @_ZN7rocprim17ROCPRIM_400000_NS6detail17trampoline_kernelINS0_14default_configENS1_29reduce_by_key_config_selectorIjjN6thrust23THRUST_200600_302600_NS4plusIjEEEEZZNS1_33reduce_by_key_impl_wrapped_configILNS1_25lookback_scan_determinismE0ES3_S9_NS6_6detail15normal_iteratorINS6_10device_ptrIjEEEESG_NS6_16discard_iteratorINS6_11use_defaultEEESG_PmS8_NS6_8equal_toIjEEEE10hipError_tPvRmT2_T3_mT4_T5_T6_T7_T8_P12ihipStream_tbENKUlT_T0_E_clISt17integral_constantIbLb0EES13_IbLb1EEEEDaSZ_S10_EUlSZ_E_NS1_11comp_targetILNS1_3genE10ELNS1_11target_archE1200ELNS1_3gpuE4ELNS1_3repE0EEENS1_30default_config_static_selectorELNS0_4arch9wavefront6targetE1EEEvT1_
; %bb.0:
	.section	.rodata,"a",@progbits
	.p2align	6, 0x0
	.amdhsa_kernel _ZN7rocprim17ROCPRIM_400000_NS6detail17trampoline_kernelINS0_14default_configENS1_29reduce_by_key_config_selectorIjjN6thrust23THRUST_200600_302600_NS4plusIjEEEEZZNS1_33reduce_by_key_impl_wrapped_configILNS1_25lookback_scan_determinismE0ES3_S9_NS6_6detail15normal_iteratorINS6_10device_ptrIjEEEESG_NS6_16discard_iteratorINS6_11use_defaultEEESG_PmS8_NS6_8equal_toIjEEEE10hipError_tPvRmT2_T3_mT4_T5_T6_T7_T8_P12ihipStream_tbENKUlT_T0_E_clISt17integral_constantIbLb0EES13_IbLb1EEEEDaSZ_S10_EUlSZ_E_NS1_11comp_targetILNS1_3genE10ELNS1_11target_archE1200ELNS1_3gpuE4ELNS1_3repE0EEENS1_30default_config_static_selectorELNS0_4arch9wavefront6targetE1EEEvT1_
		.amdhsa_group_segment_fixed_size 0
		.amdhsa_private_segment_fixed_size 0
		.amdhsa_kernarg_size 128
		.amdhsa_user_sgpr_count 6
		.amdhsa_user_sgpr_private_segment_buffer 1
		.amdhsa_user_sgpr_dispatch_ptr 0
		.amdhsa_user_sgpr_queue_ptr 0
		.amdhsa_user_sgpr_kernarg_segment_ptr 1
		.amdhsa_user_sgpr_dispatch_id 0
		.amdhsa_user_sgpr_flat_scratch_init 0
		.amdhsa_user_sgpr_kernarg_preload_length 0
		.amdhsa_user_sgpr_kernarg_preload_offset 0
		.amdhsa_user_sgpr_private_segment_size 0
		.amdhsa_uses_dynamic_stack 0
		.amdhsa_system_sgpr_private_segment_wavefront_offset 0
		.amdhsa_system_sgpr_workgroup_id_x 1
		.amdhsa_system_sgpr_workgroup_id_y 0
		.amdhsa_system_sgpr_workgroup_id_z 0
		.amdhsa_system_sgpr_workgroup_info 0
		.amdhsa_system_vgpr_workitem_id 0
		.amdhsa_next_free_vgpr 1
		.amdhsa_next_free_sgpr 0
		.amdhsa_accum_offset 4
		.amdhsa_reserve_vcc 0
		.amdhsa_reserve_flat_scratch 0
		.amdhsa_float_round_mode_32 0
		.amdhsa_float_round_mode_16_64 0
		.amdhsa_float_denorm_mode_32 3
		.amdhsa_float_denorm_mode_16_64 3
		.amdhsa_dx10_clamp 1
		.amdhsa_ieee_mode 1
		.amdhsa_fp16_overflow 0
		.amdhsa_tg_split 0
		.amdhsa_exception_fp_ieee_invalid_op 0
		.amdhsa_exception_fp_denorm_src 0
		.amdhsa_exception_fp_ieee_div_zero 0
		.amdhsa_exception_fp_ieee_overflow 0
		.amdhsa_exception_fp_ieee_underflow 0
		.amdhsa_exception_fp_ieee_inexact 0
		.amdhsa_exception_int_div_zero 0
	.end_amdhsa_kernel
	.section	.text._ZN7rocprim17ROCPRIM_400000_NS6detail17trampoline_kernelINS0_14default_configENS1_29reduce_by_key_config_selectorIjjN6thrust23THRUST_200600_302600_NS4plusIjEEEEZZNS1_33reduce_by_key_impl_wrapped_configILNS1_25lookback_scan_determinismE0ES3_S9_NS6_6detail15normal_iteratorINS6_10device_ptrIjEEEESG_NS6_16discard_iteratorINS6_11use_defaultEEESG_PmS8_NS6_8equal_toIjEEEE10hipError_tPvRmT2_T3_mT4_T5_T6_T7_T8_P12ihipStream_tbENKUlT_T0_E_clISt17integral_constantIbLb0EES13_IbLb1EEEEDaSZ_S10_EUlSZ_E_NS1_11comp_targetILNS1_3genE10ELNS1_11target_archE1200ELNS1_3gpuE4ELNS1_3repE0EEENS1_30default_config_static_selectorELNS0_4arch9wavefront6targetE1EEEvT1_,"axG",@progbits,_ZN7rocprim17ROCPRIM_400000_NS6detail17trampoline_kernelINS0_14default_configENS1_29reduce_by_key_config_selectorIjjN6thrust23THRUST_200600_302600_NS4plusIjEEEEZZNS1_33reduce_by_key_impl_wrapped_configILNS1_25lookback_scan_determinismE0ES3_S9_NS6_6detail15normal_iteratorINS6_10device_ptrIjEEEESG_NS6_16discard_iteratorINS6_11use_defaultEEESG_PmS8_NS6_8equal_toIjEEEE10hipError_tPvRmT2_T3_mT4_T5_T6_T7_T8_P12ihipStream_tbENKUlT_T0_E_clISt17integral_constantIbLb0EES13_IbLb1EEEEDaSZ_S10_EUlSZ_E_NS1_11comp_targetILNS1_3genE10ELNS1_11target_archE1200ELNS1_3gpuE4ELNS1_3repE0EEENS1_30default_config_static_selectorELNS0_4arch9wavefront6targetE1EEEvT1_,comdat
.Lfunc_end946:
	.size	_ZN7rocprim17ROCPRIM_400000_NS6detail17trampoline_kernelINS0_14default_configENS1_29reduce_by_key_config_selectorIjjN6thrust23THRUST_200600_302600_NS4plusIjEEEEZZNS1_33reduce_by_key_impl_wrapped_configILNS1_25lookback_scan_determinismE0ES3_S9_NS6_6detail15normal_iteratorINS6_10device_ptrIjEEEESG_NS6_16discard_iteratorINS6_11use_defaultEEESG_PmS8_NS6_8equal_toIjEEEE10hipError_tPvRmT2_T3_mT4_T5_T6_T7_T8_P12ihipStream_tbENKUlT_T0_E_clISt17integral_constantIbLb0EES13_IbLb1EEEEDaSZ_S10_EUlSZ_E_NS1_11comp_targetILNS1_3genE10ELNS1_11target_archE1200ELNS1_3gpuE4ELNS1_3repE0EEENS1_30default_config_static_selectorELNS0_4arch9wavefront6targetE1EEEvT1_, .Lfunc_end946-_ZN7rocprim17ROCPRIM_400000_NS6detail17trampoline_kernelINS0_14default_configENS1_29reduce_by_key_config_selectorIjjN6thrust23THRUST_200600_302600_NS4plusIjEEEEZZNS1_33reduce_by_key_impl_wrapped_configILNS1_25lookback_scan_determinismE0ES3_S9_NS6_6detail15normal_iteratorINS6_10device_ptrIjEEEESG_NS6_16discard_iteratorINS6_11use_defaultEEESG_PmS8_NS6_8equal_toIjEEEE10hipError_tPvRmT2_T3_mT4_T5_T6_T7_T8_P12ihipStream_tbENKUlT_T0_E_clISt17integral_constantIbLb0EES13_IbLb1EEEEDaSZ_S10_EUlSZ_E_NS1_11comp_targetILNS1_3genE10ELNS1_11target_archE1200ELNS1_3gpuE4ELNS1_3repE0EEENS1_30default_config_static_selectorELNS0_4arch9wavefront6targetE1EEEvT1_
                                        ; -- End function
	.section	.AMDGPU.csdata,"",@progbits
; Kernel info:
; codeLenInByte = 0
; NumSgprs: 4
; NumVgprs: 0
; NumAgprs: 0
; TotalNumVgprs: 0
; ScratchSize: 0
; MemoryBound: 0
; FloatMode: 240
; IeeeMode: 1
; LDSByteSize: 0 bytes/workgroup (compile time only)
; SGPRBlocks: 0
; VGPRBlocks: 0
; NumSGPRsForWavesPerEU: 4
; NumVGPRsForWavesPerEU: 1
; AccumOffset: 4
; Occupancy: 8
; WaveLimiterHint : 0
; COMPUTE_PGM_RSRC2:SCRATCH_EN: 0
; COMPUTE_PGM_RSRC2:USER_SGPR: 6
; COMPUTE_PGM_RSRC2:TRAP_HANDLER: 0
; COMPUTE_PGM_RSRC2:TGID_X_EN: 1
; COMPUTE_PGM_RSRC2:TGID_Y_EN: 0
; COMPUTE_PGM_RSRC2:TGID_Z_EN: 0
; COMPUTE_PGM_RSRC2:TIDIG_COMP_CNT: 0
; COMPUTE_PGM_RSRC3_GFX90A:ACCUM_OFFSET: 0
; COMPUTE_PGM_RSRC3_GFX90A:TG_SPLIT: 0
	.section	.text._ZN7rocprim17ROCPRIM_400000_NS6detail17trampoline_kernelINS0_14default_configENS1_29reduce_by_key_config_selectorIjjN6thrust23THRUST_200600_302600_NS4plusIjEEEEZZNS1_33reduce_by_key_impl_wrapped_configILNS1_25lookback_scan_determinismE0ES3_S9_NS6_6detail15normal_iteratorINS6_10device_ptrIjEEEESG_NS6_16discard_iteratorINS6_11use_defaultEEESG_PmS8_NS6_8equal_toIjEEEE10hipError_tPvRmT2_T3_mT4_T5_T6_T7_T8_P12ihipStream_tbENKUlT_T0_E_clISt17integral_constantIbLb0EES13_IbLb1EEEEDaSZ_S10_EUlSZ_E_NS1_11comp_targetILNS1_3genE9ELNS1_11target_archE1100ELNS1_3gpuE3ELNS1_3repE0EEENS1_30default_config_static_selectorELNS0_4arch9wavefront6targetE1EEEvT1_,"axG",@progbits,_ZN7rocprim17ROCPRIM_400000_NS6detail17trampoline_kernelINS0_14default_configENS1_29reduce_by_key_config_selectorIjjN6thrust23THRUST_200600_302600_NS4plusIjEEEEZZNS1_33reduce_by_key_impl_wrapped_configILNS1_25lookback_scan_determinismE0ES3_S9_NS6_6detail15normal_iteratorINS6_10device_ptrIjEEEESG_NS6_16discard_iteratorINS6_11use_defaultEEESG_PmS8_NS6_8equal_toIjEEEE10hipError_tPvRmT2_T3_mT4_T5_T6_T7_T8_P12ihipStream_tbENKUlT_T0_E_clISt17integral_constantIbLb0EES13_IbLb1EEEEDaSZ_S10_EUlSZ_E_NS1_11comp_targetILNS1_3genE9ELNS1_11target_archE1100ELNS1_3gpuE3ELNS1_3repE0EEENS1_30default_config_static_selectorELNS0_4arch9wavefront6targetE1EEEvT1_,comdat
	.protected	_ZN7rocprim17ROCPRIM_400000_NS6detail17trampoline_kernelINS0_14default_configENS1_29reduce_by_key_config_selectorIjjN6thrust23THRUST_200600_302600_NS4plusIjEEEEZZNS1_33reduce_by_key_impl_wrapped_configILNS1_25lookback_scan_determinismE0ES3_S9_NS6_6detail15normal_iteratorINS6_10device_ptrIjEEEESG_NS6_16discard_iteratorINS6_11use_defaultEEESG_PmS8_NS6_8equal_toIjEEEE10hipError_tPvRmT2_T3_mT4_T5_T6_T7_T8_P12ihipStream_tbENKUlT_T0_E_clISt17integral_constantIbLb0EES13_IbLb1EEEEDaSZ_S10_EUlSZ_E_NS1_11comp_targetILNS1_3genE9ELNS1_11target_archE1100ELNS1_3gpuE3ELNS1_3repE0EEENS1_30default_config_static_selectorELNS0_4arch9wavefront6targetE1EEEvT1_ ; -- Begin function _ZN7rocprim17ROCPRIM_400000_NS6detail17trampoline_kernelINS0_14default_configENS1_29reduce_by_key_config_selectorIjjN6thrust23THRUST_200600_302600_NS4plusIjEEEEZZNS1_33reduce_by_key_impl_wrapped_configILNS1_25lookback_scan_determinismE0ES3_S9_NS6_6detail15normal_iteratorINS6_10device_ptrIjEEEESG_NS6_16discard_iteratorINS6_11use_defaultEEESG_PmS8_NS6_8equal_toIjEEEE10hipError_tPvRmT2_T3_mT4_T5_T6_T7_T8_P12ihipStream_tbENKUlT_T0_E_clISt17integral_constantIbLb0EES13_IbLb1EEEEDaSZ_S10_EUlSZ_E_NS1_11comp_targetILNS1_3genE9ELNS1_11target_archE1100ELNS1_3gpuE3ELNS1_3repE0EEENS1_30default_config_static_selectorELNS0_4arch9wavefront6targetE1EEEvT1_
	.globl	_ZN7rocprim17ROCPRIM_400000_NS6detail17trampoline_kernelINS0_14default_configENS1_29reduce_by_key_config_selectorIjjN6thrust23THRUST_200600_302600_NS4plusIjEEEEZZNS1_33reduce_by_key_impl_wrapped_configILNS1_25lookback_scan_determinismE0ES3_S9_NS6_6detail15normal_iteratorINS6_10device_ptrIjEEEESG_NS6_16discard_iteratorINS6_11use_defaultEEESG_PmS8_NS6_8equal_toIjEEEE10hipError_tPvRmT2_T3_mT4_T5_T6_T7_T8_P12ihipStream_tbENKUlT_T0_E_clISt17integral_constantIbLb0EES13_IbLb1EEEEDaSZ_S10_EUlSZ_E_NS1_11comp_targetILNS1_3genE9ELNS1_11target_archE1100ELNS1_3gpuE3ELNS1_3repE0EEENS1_30default_config_static_selectorELNS0_4arch9wavefront6targetE1EEEvT1_
	.p2align	8
	.type	_ZN7rocprim17ROCPRIM_400000_NS6detail17trampoline_kernelINS0_14default_configENS1_29reduce_by_key_config_selectorIjjN6thrust23THRUST_200600_302600_NS4plusIjEEEEZZNS1_33reduce_by_key_impl_wrapped_configILNS1_25lookback_scan_determinismE0ES3_S9_NS6_6detail15normal_iteratorINS6_10device_ptrIjEEEESG_NS6_16discard_iteratorINS6_11use_defaultEEESG_PmS8_NS6_8equal_toIjEEEE10hipError_tPvRmT2_T3_mT4_T5_T6_T7_T8_P12ihipStream_tbENKUlT_T0_E_clISt17integral_constantIbLb0EES13_IbLb1EEEEDaSZ_S10_EUlSZ_E_NS1_11comp_targetILNS1_3genE9ELNS1_11target_archE1100ELNS1_3gpuE3ELNS1_3repE0EEENS1_30default_config_static_selectorELNS0_4arch9wavefront6targetE1EEEvT1_,@function
_ZN7rocprim17ROCPRIM_400000_NS6detail17trampoline_kernelINS0_14default_configENS1_29reduce_by_key_config_selectorIjjN6thrust23THRUST_200600_302600_NS4plusIjEEEEZZNS1_33reduce_by_key_impl_wrapped_configILNS1_25lookback_scan_determinismE0ES3_S9_NS6_6detail15normal_iteratorINS6_10device_ptrIjEEEESG_NS6_16discard_iteratorINS6_11use_defaultEEESG_PmS8_NS6_8equal_toIjEEEE10hipError_tPvRmT2_T3_mT4_T5_T6_T7_T8_P12ihipStream_tbENKUlT_T0_E_clISt17integral_constantIbLb0EES13_IbLb1EEEEDaSZ_S10_EUlSZ_E_NS1_11comp_targetILNS1_3genE9ELNS1_11target_archE1100ELNS1_3gpuE3ELNS1_3repE0EEENS1_30default_config_static_selectorELNS0_4arch9wavefront6targetE1EEEvT1_: ; @_ZN7rocprim17ROCPRIM_400000_NS6detail17trampoline_kernelINS0_14default_configENS1_29reduce_by_key_config_selectorIjjN6thrust23THRUST_200600_302600_NS4plusIjEEEEZZNS1_33reduce_by_key_impl_wrapped_configILNS1_25lookback_scan_determinismE0ES3_S9_NS6_6detail15normal_iteratorINS6_10device_ptrIjEEEESG_NS6_16discard_iteratorINS6_11use_defaultEEESG_PmS8_NS6_8equal_toIjEEEE10hipError_tPvRmT2_T3_mT4_T5_T6_T7_T8_P12ihipStream_tbENKUlT_T0_E_clISt17integral_constantIbLb0EES13_IbLb1EEEEDaSZ_S10_EUlSZ_E_NS1_11comp_targetILNS1_3genE9ELNS1_11target_archE1100ELNS1_3gpuE3ELNS1_3repE0EEENS1_30default_config_static_selectorELNS0_4arch9wavefront6targetE1EEEvT1_
; %bb.0:
	.section	.rodata,"a",@progbits
	.p2align	6, 0x0
	.amdhsa_kernel _ZN7rocprim17ROCPRIM_400000_NS6detail17trampoline_kernelINS0_14default_configENS1_29reduce_by_key_config_selectorIjjN6thrust23THRUST_200600_302600_NS4plusIjEEEEZZNS1_33reduce_by_key_impl_wrapped_configILNS1_25lookback_scan_determinismE0ES3_S9_NS6_6detail15normal_iteratorINS6_10device_ptrIjEEEESG_NS6_16discard_iteratorINS6_11use_defaultEEESG_PmS8_NS6_8equal_toIjEEEE10hipError_tPvRmT2_T3_mT4_T5_T6_T7_T8_P12ihipStream_tbENKUlT_T0_E_clISt17integral_constantIbLb0EES13_IbLb1EEEEDaSZ_S10_EUlSZ_E_NS1_11comp_targetILNS1_3genE9ELNS1_11target_archE1100ELNS1_3gpuE3ELNS1_3repE0EEENS1_30default_config_static_selectorELNS0_4arch9wavefront6targetE1EEEvT1_
		.amdhsa_group_segment_fixed_size 0
		.amdhsa_private_segment_fixed_size 0
		.amdhsa_kernarg_size 128
		.amdhsa_user_sgpr_count 6
		.amdhsa_user_sgpr_private_segment_buffer 1
		.amdhsa_user_sgpr_dispatch_ptr 0
		.amdhsa_user_sgpr_queue_ptr 0
		.amdhsa_user_sgpr_kernarg_segment_ptr 1
		.amdhsa_user_sgpr_dispatch_id 0
		.amdhsa_user_sgpr_flat_scratch_init 0
		.amdhsa_user_sgpr_kernarg_preload_length 0
		.amdhsa_user_sgpr_kernarg_preload_offset 0
		.amdhsa_user_sgpr_private_segment_size 0
		.amdhsa_uses_dynamic_stack 0
		.amdhsa_system_sgpr_private_segment_wavefront_offset 0
		.amdhsa_system_sgpr_workgroup_id_x 1
		.amdhsa_system_sgpr_workgroup_id_y 0
		.amdhsa_system_sgpr_workgroup_id_z 0
		.amdhsa_system_sgpr_workgroup_info 0
		.amdhsa_system_vgpr_workitem_id 0
		.amdhsa_next_free_vgpr 1
		.amdhsa_next_free_sgpr 0
		.amdhsa_accum_offset 4
		.amdhsa_reserve_vcc 0
		.amdhsa_reserve_flat_scratch 0
		.amdhsa_float_round_mode_32 0
		.amdhsa_float_round_mode_16_64 0
		.amdhsa_float_denorm_mode_32 3
		.amdhsa_float_denorm_mode_16_64 3
		.amdhsa_dx10_clamp 1
		.amdhsa_ieee_mode 1
		.amdhsa_fp16_overflow 0
		.amdhsa_tg_split 0
		.amdhsa_exception_fp_ieee_invalid_op 0
		.amdhsa_exception_fp_denorm_src 0
		.amdhsa_exception_fp_ieee_div_zero 0
		.amdhsa_exception_fp_ieee_overflow 0
		.amdhsa_exception_fp_ieee_underflow 0
		.amdhsa_exception_fp_ieee_inexact 0
		.amdhsa_exception_int_div_zero 0
	.end_amdhsa_kernel
	.section	.text._ZN7rocprim17ROCPRIM_400000_NS6detail17trampoline_kernelINS0_14default_configENS1_29reduce_by_key_config_selectorIjjN6thrust23THRUST_200600_302600_NS4plusIjEEEEZZNS1_33reduce_by_key_impl_wrapped_configILNS1_25lookback_scan_determinismE0ES3_S9_NS6_6detail15normal_iteratorINS6_10device_ptrIjEEEESG_NS6_16discard_iteratorINS6_11use_defaultEEESG_PmS8_NS6_8equal_toIjEEEE10hipError_tPvRmT2_T3_mT4_T5_T6_T7_T8_P12ihipStream_tbENKUlT_T0_E_clISt17integral_constantIbLb0EES13_IbLb1EEEEDaSZ_S10_EUlSZ_E_NS1_11comp_targetILNS1_3genE9ELNS1_11target_archE1100ELNS1_3gpuE3ELNS1_3repE0EEENS1_30default_config_static_selectorELNS0_4arch9wavefront6targetE1EEEvT1_,"axG",@progbits,_ZN7rocprim17ROCPRIM_400000_NS6detail17trampoline_kernelINS0_14default_configENS1_29reduce_by_key_config_selectorIjjN6thrust23THRUST_200600_302600_NS4plusIjEEEEZZNS1_33reduce_by_key_impl_wrapped_configILNS1_25lookback_scan_determinismE0ES3_S9_NS6_6detail15normal_iteratorINS6_10device_ptrIjEEEESG_NS6_16discard_iteratorINS6_11use_defaultEEESG_PmS8_NS6_8equal_toIjEEEE10hipError_tPvRmT2_T3_mT4_T5_T6_T7_T8_P12ihipStream_tbENKUlT_T0_E_clISt17integral_constantIbLb0EES13_IbLb1EEEEDaSZ_S10_EUlSZ_E_NS1_11comp_targetILNS1_3genE9ELNS1_11target_archE1100ELNS1_3gpuE3ELNS1_3repE0EEENS1_30default_config_static_selectorELNS0_4arch9wavefront6targetE1EEEvT1_,comdat
.Lfunc_end947:
	.size	_ZN7rocprim17ROCPRIM_400000_NS6detail17trampoline_kernelINS0_14default_configENS1_29reduce_by_key_config_selectorIjjN6thrust23THRUST_200600_302600_NS4plusIjEEEEZZNS1_33reduce_by_key_impl_wrapped_configILNS1_25lookback_scan_determinismE0ES3_S9_NS6_6detail15normal_iteratorINS6_10device_ptrIjEEEESG_NS6_16discard_iteratorINS6_11use_defaultEEESG_PmS8_NS6_8equal_toIjEEEE10hipError_tPvRmT2_T3_mT4_T5_T6_T7_T8_P12ihipStream_tbENKUlT_T0_E_clISt17integral_constantIbLb0EES13_IbLb1EEEEDaSZ_S10_EUlSZ_E_NS1_11comp_targetILNS1_3genE9ELNS1_11target_archE1100ELNS1_3gpuE3ELNS1_3repE0EEENS1_30default_config_static_selectorELNS0_4arch9wavefront6targetE1EEEvT1_, .Lfunc_end947-_ZN7rocprim17ROCPRIM_400000_NS6detail17trampoline_kernelINS0_14default_configENS1_29reduce_by_key_config_selectorIjjN6thrust23THRUST_200600_302600_NS4plusIjEEEEZZNS1_33reduce_by_key_impl_wrapped_configILNS1_25lookback_scan_determinismE0ES3_S9_NS6_6detail15normal_iteratorINS6_10device_ptrIjEEEESG_NS6_16discard_iteratorINS6_11use_defaultEEESG_PmS8_NS6_8equal_toIjEEEE10hipError_tPvRmT2_T3_mT4_T5_T6_T7_T8_P12ihipStream_tbENKUlT_T0_E_clISt17integral_constantIbLb0EES13_IbLb1EEEEDaSZ_S10_EUlSZ_E_NS1_11comp_targetILNS1_3genE9ELNS1_11target_archE1100ELNS1_3gpuE3ELNS1_3repE0EEENS1_30default_config_static_selectorELNS0_4arch9wavefront6targetE1EEEvT1_
                                        ; -- End function
	.section	.AMDGPU.csdata,"",@progbits
; Kernel info:
; codeLenInByte = 0
; NumSgprs: 4
; NumVgprs: 0
; NumAgprs: 0
; TotalNumVgprs: 0
; ScratchSize: 0
; MemoryBound: 0
; FloatMode: 240
; IeeeMode: 1
; LDSByteSize: 0 bytes/workgroup (compile time only)
; SGPRBlocks: 0
; VGPRBlocks: 0
; NumSGPRsForWavesPerEU: 4
; NumVGPRsForWavesPerEU: 1
; AccumOffset: 4
; Occupancy: 8
; WaveLimiterHint : 0
; COMPUTE_PGM_RSRC2:SCRATCH_EN: 0
; COMPUTE_PGM_RSRC2:USER_SGPR: 6
; COMPUTE_PGM_RSRC2:TRAP_HANDLER: 0
; COMPUTE_PGM_RSRC2:TGID_X_EN: 1
; COMPUTE_PGM_RSRC2:TGID_Y_EN: 0
; COMPUTE_PGM_RSRC2:TGID_Z_EN: 0
; COMPUTE_PGM_RSRC2:TIDIG_COMP_CNT: 0
; COMPUTE_PGM_RSRC3_GFX90A:ACCUM_OFFSET: 0
; COMPUTE_PGM_RSRC3_GFX90A:TG_SPLIT: 0
	.section	.text._ZN7rocprim17ROCPRIM_400000_NS6detail17trampoline_kernelINS0_14default_configENS1_29reduce_by_key_config_selectorIjjN6thrust23THRUST_200600_302600_NS4plusIjEEEEZZNS1_33reduce_by_key_impl_wrapped_configILNS1_25lookback_scan_determinismE0ES3_S9_NS6_6detail15normal_iteratorINS6_10device_ptrIjEEEESG_NS6_16discard_iteratorINS6_11use_defaultEEESG_PmS8_NS6_8equal_toIjEEEE10hipError_tPvRmT2_T3_mT4_T5_T6_T7_T8_P12ihipStream_tbENKUlT_T0_E_clISt17integral_constantIbLb0EES13_IbLb1EEEEDaSZ_S10_EUlSZ_E_NS1_11comp_targetILNS1_3genE8ELNS1_11target_archE1030ELNS1_3gpuE2ELNS1_3repE0EEENS1_30default_config_static_selectorELNS0_4arch9wavefront6targetE1EEEvT1_,"axG",@progbits,_ZN7rocprim17ROCPRIM_400000_NS6detail17trampoline_kernelINS0_14default_configENS1_29reduce_by_key_config_selectorIjjN6thrust23THRUST_200600_302600_NS4plusIjEEEEZZNS1_33reduce_by_key_impl_wrapped_configILNS1_25lookback_scan_determinismE0ES3_S9_NS6_6detail15normal_iteratorINS6_10device_ptrIjEEEESG_NS6_16discard_iteratorINS6_11use_defaultEEESG_PmS8_NS6_8equal_toIjEEEE10hipError_tPvRmT2_T3_mT4_T5_T6_T7_T8_P12ihipStream_tbENKUlT_T0_E_clISt17integral_constantIbLb0EES13_IbLb1EEEEDaSZ_S10_EUlSZ_E_NS1_11comp_targetILNS1_3genE8ELNS1_11target_archE1030ELNS1_3gpuE2ELNS1_3repE0EEENS1_30default_config_static_selectorELNS0_4arch9wavefront6targetE1EEEvT1_,comdat
	.protected	_ZN7rocprim17ROCPRIM_400000_NS6detail17trampoline_kernelINS0_14default_configENS1_29reduce_by_key_config_selectorIjjN6thrust23THRUST_200600_302600_NS4plusIjEEEEZZNS1_33reduce_by_key_impl_wrapped_configILNS1_25lookback_scan_determinismE0ES3_S9_NS6_6detail15normal_iteratorINS6_10device_ptrIjEEEESG_NS6_16discard_iteratorINS6_11use_defaultEEESG_PmS8_NS6_8equal_toIjEEEE10hipError_tPvRmT2_T3_mT4_T5_T6_T7_T8_P12ihipStream_tbENKUlT_T0_E_clISt17integral_constantIbLb0EES13_IbLb1EEEEDaSZ_S10_EUlSZ_E_NS1_11comp_targetILNS1_3genE8ELNS1_11target_archE1030ELNS1_3gpuE2ELNS1_3repE0EEENS1_30default_config_static_selectorELNS0_4arch9wavefront6targetE1EEEvT1_ ; -- Begin function _ZN7rocprim17ROCPRIM_400000_NS6detail17trampoline_kernelINS0_14default_configENS1_29reduce_by_key_config_selectorIjjN6thrust23THRUST_200600_302600_NS4plusIjEEEEZZNS1_33reduce_by_key_impl_wrapped_configILNS1_25lookback_scan_determinismE0ES3_S9_NS6_6detail15normal_iteratorINS6_10device_ptrIjEEEESG_NS6_16discard_iteratorINS6_11use_defaultEEESG_PmS8_NS6_8equal_toIjEEEE10hipError_tPvRmT2_T3_mT4_T5_T6_T7_T8_P12ihipStream_tbENKUlT_T0_E_clISt17integral_constantIbLb0EES13_IbLb1EEEEDaSZ_S10_EUlSZ_E_NS1_11comp_targetILNS1_3genE8ELNS1_11target_archE1030ELNS1_3gpuE2ELNS1_3repE0EEENS1_30default_config_static_selectorELNS0_4arch9wavefront6targetE1EEEvT1_
	.globl	_ZN7rocprim17ROCPRIM_400000_NS6detail17trampoline_kernelINS0_14default_configENS1_29reduce_by_key_config_selectorIjjN6thrust23THRUST_200600_302600_NS4plusIjEEEEZZNS1_33reduce_by_key_impl_wrapped_configILNS1_25lookback_scan_determinismE0ES3_S9_NS6_6detail15normal_iteratorINS6_10device_ptrIjEEEESG_NS6_16discard_iteratorINS6_11use_defaultEEESG_PmS8_NS6_8equal_toIjEEEE10hipError_tPvRmT2_T3_mT4_T5_T6_T7_T8_P12ihipStream_tbENKUlT_T0_E_clISt17integral_constantIbLb0EES13_IbLb1EEEEDaSZ_S10_EUlSZ_E_NS1_11comp_targetILNS1_3genE8ELNS1_11target_archE1030ELNS1_3gpuE2ELNS1_3repE0EEENS1_30default_config_static_selectorELNS0_4arch9wavefront6targetE1EEEvT1_
	.p2align	8
	.type	_ZN7rocprim17ROCPRIM_400000_NS6detail17trampoline_kernelINS0_14default_configENS1_29reduce_by_key_config_selectorIjjN6thrust23THRUST_200600_302600_NS4plusIjEEEEZZNS1_33reduce_by_key_impl_wrapped_configILNS1_25lookback_scan_determinismE0ES3_S9_NS6_6detail15normal_iteratorINS6_10device_ptrIjEEEESG_NS6_16discard_iteratorINS6_11use_defaultEEESG_PmS8_NS6_8equal_toIjEEEE10hipError_tPvRmT2_T3_mT4_T5_T6_T7_T8_P12ihipStream_tbENKUlT_T0_E_clISt17integral_constantIbLb0EES13_IbLb1EEEEDaSZ_S10_EUlSZ_E_NS1_11comp_targetILNS1_3genE8ELNS1_11target_archE1030ELNS1_3gpuE2ELNS1_3repE0EEENS1_30default_config_static_selectorELNS0_4arch9wavefront6targetE1EEEvT1_,@function
_ZN7rocprim17ROCPRIM_400000_NS6detail17trampoline_kernelINS0_14default_configENS1_29reduce_by_key_config_selectorIjjN6thrust23THRUST_200600_302600_NS4plusIjEEEEZZNS1_33reduce_by_key_impl_wrapped_configILNS1_25lookback_scan_determinismE0ES3_S9_NS6_6detail15normal_iteratorINS6_10device_ptrIjEEEESG_NS6_16discard_iteratorINS6_11use_defaultEEESG_PmS8_NS6_8equal_toIjEEEE10hipError_tPvRmT2_T3_mT4_T5_T6_T7_T8_P12ihipStream_tbENKUlT_T0_E_clISt17integral_constantIbLb0EES13_IbLb1EEEEDaSZ_S10_EUlSZ_E_NS1_11comp_targetILNS1_3genE8ELNS1_11target_archE1030ELNS1_3gpuE2ELNS1_3repE0EEENS1_30default_config_static_selectorELNS0_4arch9wavefront6targetE1EEEvT1_: ; @_ZN7rocprim17ROCPRIM_400000_NS6detail17trampoline_kernelINS0_14default_configENS1_29reduce_by_key_config_selectorIjjN6thrust23THRUST_200600_302600_NS4plusIjEEEEZZNS1_33reduce_by_key_impl_wrapped_configILNS1_25lookback_scan_determinismE0ES3_S9_NS6_6detail15normal_iteratorINS6_10device_ptrIjEEEESG_NS6_16discard_iteratorINS6_11use_defaultEEESG_PmS8_NS6_8equal_toIjEEEE10hipError_tPvRmT2_T3_mT4_T5_T6_T7_T8_P12ihipStream_tbENKUlT_T0_E_clISt17integral_constantIbLb0EES13_IbLb1EEEEDaSZ_S10_EUlSZ_E_NS1_11comp_targetILNS1_3genE8ELNS1_11target_archE1030ELNS1_3gpuE2ELNS1_3repE0EEENS1_30default_config_static_selectorELNS0_4arch9wavefront6targetE1EEEvT1_
; %bb.0:
	.section	.rodata,"a",@progbits
	.p2align	6, 0x0
	.amdhsa_kernel _ZN7rocprim17ROCPRIM_400000_NS6detail17trampoline_kernelINS0_14default_configENS1_29reduce_by_key_config_selectorIjjN6thrust23THRUST_200600_302600_NS4plusIjEEEEZZNS1_33reduce_by_key_impl_wrapped_configILNS1_25lookback_scan_determinismE0ES3_S9_NS6_6detail15normal_iteratorINS6_10device_ptrIjEEEESG_NS6_16discard_iteratorINS6_11use_defaultEEESG_PmS8_NS6_8equal_toIjEEEE10hipError_tPvRmT2_T3_mT4_T5_T6_T7_T8_P12ihipStream_tbENKUlT_T0_E_clISt17integral_constantIbLb0EES13_IbLb1EEEEDaSZ_S10_EUlSZ_E_NS1_11comp_targetILNS1_3genE8ELNS1_11target_archE1030ELNS1_3gpuE2ELNS1_3repE0EEENS1_30default_config_static_selectorELNS0_4arch9wavefront6targetE1EEEvT1_
		.amdhsa_group_segment_fixed_size 0
		.amdhsa_private_segment_fixed_size 0
		.amdhsa_kernarg_size 128
		.amdhsa_user_sgpr_count 6
		.amdhsa_user_sgpr_private_segment_buffer 1
		.amdhsa_user_sgpr_dispatch_ptr 0
		.amdhsa_user_sgpr_queue_ptr 0
		.amdhsa_user_sgpr_kernarg_segment_ptr 1
		.amdhsa_user_sgpr_dispatch_id 0
		.amdhsa_user_sgpr_flat_scratch_init 0
		.amdhsa_user_sgpr_kernarg_preload_length 0
		.amdhsa_user_sgpr_kernarg_preload_offset 0
		.amdhsa_user_sgpr_private_segment_size 0
		.amdhsa_uses_dynamic_stack 0
		.amdhsa_system_sgpr_private_segment_wavefront_offset 0
		.amdhsa_system_sgpr_workgroup_id_x 1
		.amdhsa_system_sgpr_workgroup_id_y 0
		.amdhsa_system_sgpr_workgroup_id_z 0
		.amdhsa_system_sgpr_workgroup_info 0
		.amdhsa_system_vgpr_workitem_id 0
		.amdhsa_next_free_vgpr 1
		.amdhsa_next_free_sgpr 0
		.amdhsa_accum_offset 4
		.amdhsa_reserve_vcc 0
		.amdhsa_reserve_flat_scratch 0
		.amdhsa_float_round_mode_32 0
		.amdhsa_float_round_mode_16_64 0
		.amdhsa_float_denorm_mode_32 3
		.amdhsa_float_denorm_mode_16_64 3
		.amdhsa_dx10_clamp 1
		.amdhsa_ieee_mode 1
		.amdhsa_fp16_overflow 0
		.amdhsa_tg_split 0
		.amdhsa_exception_fp_ieee_invalid_op 0
		.amdhsa_exception_fp_denorm_src 0
		.amdhsa_exception_fp_ieee_div_zero 0
		.amdhsa_exception_fp_ieee_overflow 0
		.amdhsa_exception_fp_ieee_underflow 0
		.amdhsa_exception_fp_ieee_inexact 0
		.amdhsa_exception_int_div_zero 0
	.end_amdhsa_kernel
	.section	.text._ZN7rocprim17ROCPRIM_400000_NS6detail17trampoline_kernelINS0_14default_configENS1_29reduce_by_key_config_selectorIjjN6thrust23THRUST_200600_302600_NS4plusIjEEEEZZNS1_33reduce_by_key_impl_wrapped_configILNS1_25lookback_scan_determinismE0ES3_S9_NS6_6detail15normal_iteratorINS6_10device_ptrIjEEEESG_NS6_16discard_iteratorINS6_11use_defaultEEESG_PmS8_NS6_8equal_toIjEEEE10hipError_tPvRmT2_T3_mT4_T5_T6_T7_T8_P12ihipStream_tbENKUlT_T0_E_clISt17integral_constantIbLb0EES13_IbLb1EEEEDaSZ_S10_EUlSZ_E_NS1_11comp_targetILNS1_3genE8ELNS1_11target_archE1030ELNS1_3gpuE2ELNS1_3repE0EEENS1_30default_config_static_selectorELNS0_4arch9wavefront6targetE1EEEvT1_,"axG",@progbits,_ZN7rocprim17ROCPRIM_400000_NS6detail17trampoline_kernelINS0_14default_configENS1_29reduce_by_key_config_selectorIjjN6thrust23THRUST_200600_302600_NS4plusIjEEEEZZNS1_33reduce_by_key_impl_wrapped_configILNS1_25lookback_scan_determinismE0ES3_S9_NS6_6detail15normal_iteratorINS6_10device_ptrIjEEEESG_NS6_16discard_iteratorINS6_11use_defaultEEESG_PmS8_NS6_8equal_toIjEEEE10hipError_tPvRmT2_T3_mT4_T5_T6_T7_T8_P12ihipStream_tbENKUlT_T0_E_clISt17integral_constantIbLb0EES13_IbLb1EEEEDaSZ_S10_EUlSZ_E_NS1_11comp_targetILNS1_3genE8ELNS1_11target_archE1030ELNS1_3gpuE2ELNS1_3repE0EEENS1_30default_config_static_selectorELNS0_4arch9wavefront6targetE1EEEvT1_,comdat
.Lfunc_end948:
	.size	_ZN7rocprim17ROCPRIM_400000_NS6detail17trampoline_kernelINS0_14default_configENS1_29reduce_by_key_config_selectorIjjN6thrust23THRUST_200600_302600_NS4plusIjEEEEZZNS1_33reduce_by_key_impl_wrapped_configILNS1_25lookback_scan_determinismE0ES3_S9_NS6_6detail15normal_iteratorINS6_10device_ptrIjEEEESG_NS6_16discard_iteratorINS6_11use_defaultEEESG_PmS8_NS6_8equal_toIjEEEE10hipError_tPvRmT2_T3_mT4_T5_T6_T7_T8_P12ihipStream_tbENKUlT_T0_E_clISt17integral_constantIbLb0EES13_IbLb1EEEEDaSZ_S10_EUlSZ_E_NS1_11comp_targetILNS1_3genE8ELNS1_11target_archE1030ELNS1_3gpuE2ELNS1_3repE0EEENS1_30default_config_static_selectorELNS0_4arch9wavefront6targetE1EEEvT1_, .Lfunc_end948-_ZN7rocprim17ROCPRIM_400000_NS6detail17trampoline_kernelINS0_14default_configENS1_29reduce_by_key_config_selectorIjjN6thrust23THRUST_200600_302600_NS4plusIjEEEEZZNS1_33reduce_by_key_impl_wrapped_configILNS1_25lookback_scan_determinismE0ES3_S9_NS6_6detail15normal_iteratorINS6_10device_ptrIjEEEESG_NS6_16discard_iteratorINS6_11use_defaultEEESG_PmS8_NS6_8equal_toIjEEEE10hipError_tPvRmT2_T3_mT4_T5_T6_T7_T8_P12ihipStream_tbENKUlT_T0_E_clISt17integral_constantIbLb0EES13_IbLb1EEEEDaSZ_S10_EUlSZ_E_NS1_11comp_targetILNS1_3genE8ELNS1_11target_archE1030ELNS1_3gpuE2ELNS1_3repE0EEENS1_30default_config_static_selectorELNS0_4arch9wavefront6targetE1EEEvT1_
                                        ; -- End function
	.section	.AMDGPU.csdata,"",@progbits
; Kernel info:
; codeLenInByte = 0
; NumSgprs: 4
; NumVgprs: 0
; NumAgprs: 0
; TotalNumVgprs: 0
; ScratchSize: 0
; MemoryBound: 0
; FloatMode: 240
; IeeeMode: 1
; LDSByteSize: 0 bytes/workgroup (compile time only)
; SGPRBlocks: 0
; VGPRBlocks: 0
; NumSGPRsForWavesPerEU: 4
; NumVGPRsForWavesPerEU: 1
; AccumOffset: 4
; Occupancy: 8
; WaveLimiterHint : 0
; COMPUTE_PGM_RSRC2:SCRATCH_EN: 0
; COMPUTE_PGM_RSRC2:USER_SGPR: 6
; COMPUTE_PGM_RSRC2:TRAP_HANDLER: 0
; COMPUTE_PGM_RSRC2:TGID_X_EN: 1
; COMPUTE_PGM_RSRC2:TGID_Y_EN: 0
; COMPUTE_PGM_RSRC2:TGID_Z_EN: 0
; COMPUTE_PGM_RSRC2:TIDIG_COMP_CNT: 0
; COMPUTE_PGM_RSRC3_GFX90A:ACCUM_OFFSET: 0
; COMPUTE_PGM_RSRC3_GFX90A:TG_SPLIT: 0
	.section	.text._ZN7rocprim17ROCPRIM_400000_NS6detail17trampoline_kernelINS0_14default_configENS1_29reduce_by_key_config_selectorIjtN6thrust23THRUST_200600_302600_NS4plusItEEEEZZNS1_33reduce_by_key_impl_wrapped_configILNS1_25lookback_scan_determinismE0ES3_S9_NS6_6detail15normal_iteratorINS6_10device_ptrIjEEEENSD_INSE_ItEEEENS6_16discard_iteratorINS6_11use_defaultEEESI_PmS8_NS6_8equal_toIjEEEE10hipError_tPvRmT2_T3_mT4_T5_T6_T7_T8_P12ihipStream_tbENKUlT_T0_E_clISt17integral_constantIbLb0EES16_EEDaS11_S12_EUlS11_E_NS1_11comp_targetILNS1_3genE0ELNS1_11target_archE4294967295ELNS1_3gpuE0ELNS1_3repE0EEENS1_30default_config_static_selectorELNS0_4arch9wavefront6targetE1EEEvT1_,"axG",@progbits,_ZN7rocprim17ROCPRIM_400000_NS6detail17trampoline_kernelINS0_14default_configENS1_29reduce_by_key_config_selectorIjtN6thrust23THRUST_200600_302600_NS4plusItEEEEZZNS1_33reduce_by_key_impl_wrapped_configILNS1_25lookback_scan_determinismE0ES3_S9_NS6_6detail15normal_iteratorINS6_10device_ptrIjEEEENSD_INSE_ItEEEENS6_16discard_iteratorINS6_11use_defaultEEESI_PmS8_NS6_8equal_toIjEEEE10hipError_tPvRmT2_T3_mT4_T5_T6_T7_T8_P12ihipStream_tbENKUlT_T0_E_clISt17integral_constantIbLb0EES16_EEDaS11_S12_EUlS11_E_NS1_11comp_targetILNS1_3genE0ELNS1_11target_archE4294967295ELNS1_3gpuE0ELNS1_3repE0EEENS1_30default_config_static_selectorELNS0_4arch9wavefront6targetE1EEEvT1_,comdat
	.protected	_ZN7rocprim17ROCPRIM_400000_NS6detail17trampoline_kernelINS0_14default_configENS1_29reduce_by_key_config_selectorIjtN6thrust23THRUST_200600_302600_NS4plusItEEEEZZNS1_33reduce_by_key_impl_wrapped_configILNS1_25lookback_scan_determinismE0ES3_S9_NS6_6detail15normal_iteratorINS6_10device_ptrIjEEEENSD_INSE_ItEEEENS6_16discard_iteratorINS6_11use_defaultEEESI_PmS8_NS6_8equal_toIjEEEE10hipError_tPvRmT2_T3_mT4_T5_T6_T7_T8_P12ihipStream_tbENKUlT_T0_E_clISt17integral_constantIbLb0EES16_EEDaS11_S12_EUlS11_E_NS1_11comp_targetILNS1_3genE0ELNS1_11target_archE4294967295ELNS1_3gpuE0ELNS1_3repE0EEENS1_30default_config_static_selectorELNS0_4arch9wavefront6targetE1EEEvT1_ ; -- Begin function _ZN7rocprim17ROCPRIM_400000_NS6detail17trampoline_kernelINS0_14default_configENS1_29reduce_by_key_config_selectorIjtN6thrust23THRUST_200600_302600_NS4plusItEEEEZZNS1_33reduce_by_key_impl_wrapped_configILNS1_25lookback_scan_determinismE0ES3_S9_NS6_6detail15normal_iteratorINS6_10device_ptrIjEEEENSD_INSE_ItEEEENS6_16discard_iteratorINS6_11use_defaultEEESI_PmS8_NS6_8equal_toIjEEEE10hipError_tPvRmT2_T3_mT4_T5_T6_T7_T8_P12ihipStream_tbENKUlT_T0_E_clISt17integral_constantIbLb0EES16_EEDaS11_S12_EUlS11_E_NS1_11comp_targetILNS1_3genE0ELNS1_11target_archE4294967295ELNS1_3gpuE0ELNS1_3repE0EEENS1_30default_config_static_selectorELNS0_4arch9wavefront6targetE1EEEvT1_
	.globl	_ZN7rocprim17ROCPRIM_400000_NS6detail17trampoline_kernelINS0_14default_configENS1_29reduce_by_key_config_selectorIjtN6thrust23THRUST_200600_302600_NS4plusItEEEEZZNS1_33reduce_by_key_impl_wrapped_configILNS1_25lookback_scan_determinismE0ES3_S9_NS6_6detail15normal_iteratorINS6_10device_ptrIjEEEENSD_INSE_ItEEEENS6_16discard_iteratorINS6_11use_defaultEEESI_PmS8_NS6_8equal_toIjEEEE10hipError_tPvRmT2_T3_mT4_T5_T6_T7_T8_P12ihipStream_tbENKUlT_T0_E_clISt17integral_constantIbLb0EES16_EEDaS11_S12_EUlS11_E_NS1_11comp_targetILNS1_3genE0ELNS1_11target_archE4294967295ELNS1_3gpuE0ELNS1_3repE0EEENS1_30default_config_static_selectorELNS0_4arch9wavefront6targetE1EEEvT1_
	.p2align	8
	.type	_ZN7rocprim17ROCPRIM_400000_NS6detail17trampoline_kernelINS0_14default_configENS1_29reduce_by_key_config_selectorIjtN6thrust23THRUST_200600_302600_NS4plusItEEEEZZNS1_33reduce_by_key_impl_wrapped_configILNS1_25lookback_scan_determinismE0ES3_S9_NS6_6detail15normal_iteratorINS6_10device_ptrIjEEEENSD_INSE_ItEEEENS6_16discard_iteratorINS6_11use_defaultEEESI_PmS8_NS6_8equal_toIjEEEE10hipError_tPvRmT2_T3_mT4_T5_T6_T7_T8_P12ihipStream_tbENKUlT_T0_E_clISt17integral_constantIbLb0EES16_EEDaS11_S12_EUlS11_E_NS1_11comp_targetILNS1_3genE0ELNS1_11target_archE4294967295ELNS1_3gpuE0ELNS1_3repE0EEENS1_30default_config_static_selectorELNS0_4arch9wavefront6targetE1EEEvT1_,@function
_ZN7rocprim17ROCPRIM_400000_NS6detail17trampoline_kernelINS0_14default_configENS1_29reduce_by_key_config_selectorIjtN6thrust23THRUST_200600_302600_NS4plusItEEEEZZNS1_33reduce_by_key_impl_wrapped_configILNS1_25lookback_scan_determinismE0ES3_S9_NS6_6detail15normal_iteratorINS6_10device_ptrIjEEEENSD_INSE_ItEEEENS6_16discard_iteratorINS6_11use_defaultEEESI_PmS8_NS6_8equal_toIjEEEE10hipError_tPvRmT2_T3_mT4_T5_T6_T7_T8_P12ihipStream_tbENKUlT_T0_E_clISt17integral_constantIbLb0EES16_EEDaS11_S12_EUlS11_E_NS1_11comp_targetILNS1_3genE0ELNS1_11target_archE4294967295ELNS1_3gpuE0ELNS1_3repE0EEENS1_30default_config_static_selectorELNS0_4arch9wavefront6targetE1EEEvT1_: ; @_ZN7rocprim17ROCPRIM_400000_NS6detail17trampoline_kernelINS0_14default_configENS1_29reduce_by_key_config_selectorIjtN6thrust23THRUST_200600_302600_NS4plusItEEEEZZNS1_33reduce_by_key_impl_wrapped_configILNS1_25lookback_scan_determinismE0ES3_S9_NS6_6detail15normal_iteratorINS6_10device_ptrIjEEEENSD_INSE_ItEEEENS6_16discard_iteratorINS6_11use_defaultEEESI_PmS8_NS6_8equal_toIjEEEE10hipError_tPvRmT2_T3_mT4_T5_T6_T7_T8_P12ihipStream_tbENKUlT_T0_E_clISt17integral_constantIbLb0EES16_EEDaS11_S12_EUlS11_E_NS1_11comp_targetILNS1_3genE0ELNS1_11target_archE4294967295ELNS1_3gpuE0ELNS1_3repE0EEENS1_30default_config_static_selectorELNS0_4arch9wavefront6targetE1EEEvT1_
; %bb.0:
	.section	.rodata,"a",@progbits
	.p2align	6, 0x0
	.amdhsa_kernel _ZN7rocprim17ROCPRIM_400000_NS6detail17trampoline_kernelINS0_14default_configENS1_29reduce_by_key_config_selectorIjtN6thrust23THRUST_200600_302600_NS4plusItEEEEZZNS1_33reduce_by_key_impl_wrapped_configILNS1_25lookback_scan_determinismE0ES3_S9_NS6_6detail15normal_iteratorINS6_10device_ptrIjEEEENSD_INSE_ItEEEENS6_16discard_iteratorINS6_11use_defaultEEESI_PmS8_NS6_8equal_toIjEEEE10hipError_tPvRmT2_T3_mT4_T5_T6_T7_T8_P12ihipStream_tbENKUlT_T0_E_clISt17integral_constantIbLb0EES16_EEDaS11_S12_EUlS11_E_NS1_11comp_targetILNS1_3genE0ELNS1_11target_archE4294967295ELNS1_3gpuE0ELNS1_3repE0EEENS1_30default_config_static_selectorELNS0_4arch9wavefront6targetE1EEEvT1_
		.amdhsa_group_segment_fixed_size 0
		.amdhsa_private_segment_fixed_size 0
		.amdhsa_kernarg_size 128
		.amdhsa_user_sgpr_count 6
		.amdhsa_user_sgpr_private_segment_buffer 1
		.amdhsa_user_sgpr_dispatch_ptr 0
		.amdhsa_user_sgpr_queue_ptr 0
		.amdhsa_user_sgpr_kernarg_segment_ptr 1
		.amdhsa_user_sgpr_dispatch_id 0
		.amdhsa_user_sgpr_flat_scratch_init 0
		.amdhsa_user_sgpr_kernarg_preload_length 0
		.amdhsa_user_sgpr_kernarg_preload_offset 0
		.amdhsa_user_sgpr_private_segment_size 0
		.amdhsa_uses_dynamic_stack 0
		.amdhsa_system_sgpr_private_segment_wavefront_offset 0
		.amdhsa_system_sgpr_workgroup_id_x 1
		.amdhsa_system_sgpr_workgroup_id_y 0
		.amdhsa_system_sgpr_workgroup_id_z 0
		.amdhsa_system_sgpr_workgroup_info 0
		.amdhsa_system_vgpr_workitem_id 0
		.amdhsa_next_free_vgpr 1
		.amdhsa_next_free_sgpr 0
		.amdhsa_accum_offset 4
		.amdhsa_reserve_vcc 0
		.amdhsa_reserve_flat_scratch 0
		.amdhsa_float_round_mode_32 0
		.amdhsa_float_round_mode_16_64 0
		.amdhsa_float_denorm_mode_32 3
		.amdhsa_float_denorm_mode_16_64 3
		.amdhsa_dx10_clamp 1
		.amdhsa_ieee_mode 1
		.amdhsa_fp16_overflow 0
		.amdhsa_tg_split 0
		.amdhsa_exception_fp_ieee_invalid_op 0
		.amdhsa_exception_fp_denorm_src 0
		.amdhsa_exception_fp_ieee_div_zero 0
		.amdhsa_exception_fp_ieee_overflow 0
		.amdhsa_exception_fp_ieee_underflow 0
		.amdhsa_exception_fp_ieee_inexact 0
		.amdhsa_exception_int_div_zero 0
	.end_amdhsa_kernel
	.section	.text._ZN7rocprim17ROCPRIM_400000_NS6detail17trampoline_kernelINS0_14default_configENS1_29reduce_by_key_config_selectorIjtN6thrust23THRUST_200600_302600_NS4plusItEEEEZZNS1_33reduce_by_key_impl_wrapped_configILNS1_25lookback_scan_determinismE0ES3_S9_NS6_6detail15normal_iteratorINS6_10device_ptrIjEEEENSD_INSE_ItEEEENS6_16discard_iteratorINS6_11use_defaultEEESI_PmS8_NS6_8equal_toIjEEEE10hipError_tPvRmT2_T3_mT4_T5_T6_T7_T8_P12ihipStream_tbENKUlT_T0_E_clISt17integral_constantIbLb0EES16_EEDaS11_S12_EUlS11_E_NS1_11comp_targetILNS1_3genE0ELNS1_11target_archE4294967295ELNS1_3gpuE0ELNS1_3repE0EEENS1_30default_config_static_selectorELNS0_4arch9wavefront6targetE1EEEvT1_,"axG",@progbits,_ZN7rocprim17ROCPRIM_400000_NS6detail17trampoline_kernelINS0_14default_configENS1_29reduce_by_key_config_selectorIjtN6thrust23THRUST_200600_302600_NS4plusItEEEEZZNS1_33reduce_by_key_impl_wrapped_configILNS1_25lookback_scan_determinismE0ES3_S9_NS6_6detail15normal_iteratorINS6_10device_ptrIjEEEENSD_INSE_ItEEEENS6_16discard_iteratorINS6_11use_defaultEEESI_PmS8_NS6_8equal_toIjEEEE10hipError_tPvRmT2_T3_mT4_T5_T6_T7_T8_P12ihipStream_tbENKUlT_T0_E_clISt17integral_constantIbLb0EES16_EEDaS11_S12_EUlS11_E_NS1_11comp_targetILNS1_3genE0ELNS1_11target_archE4294967295ELNS1_3gpuE0ELNS1_3repE0EEENS1_30default_config_static_selectorELNS0_4arch9wavefront6targetE1EEEvT1_,comdat
.Lfunc_end949:
	.size	_ZN7rocprim17ROCPRIM_400000_NS6detail17trampoline_kernelINS0_14default_configENS1_29reduce_by_key_config_selectorIjtN6thrust23THRUST_200600_302600_NS4plusItEEEEZZNS1_33reduce_by_key_impl_wrapped_configILNS1_25lookback_scan_determinismE0ES3_S9_NS6_6detail15normal_iteratorINS6_10device_ptrIjEEEENSD_INSE_ItEEEENS6_16discard_iteratorINS6_11use_defaultEEESI_PmS8_NS6_8equal_toIjEEEE10hipError_tPvRmT2_T3_mT4_T5_T6_T7_T8_P12ihipStream_tbENKUlT_T0_E_clISt17integral_constantIbLb0EES16_EEDaS11_S12_EUlS11_E_NS1_11comp_targetILNS1_3genE0ELNS1_11target_archE4294967295ELNS1_3gpuE0ELNS1_3repE0EEENS1_30default_config_static_selectorELNS0_4arch9wavefront6targetE1EEEvT1_, .Lfunc_end949-_ZN7rocprim17ROCPRIM_400000_NS6detail17trampoline_kernelINS0_14default_configENS1_29reduce_by_key_config_selectorIjtN6thrust23THRUST_200600_302600_NS4plusItEEEEZZNS1_33reduce_by_key_impl_wrapped_configILNS1_25lookback_scan_determinismE0ES3_S9_NS6_6detail15normal_iteratorINS6_10device_ptrIjEEEENSD_INSE_ItEEEENS6_16discard_iteratorINS6_11use_defaultEEESI_PmS8_NS6_8equal_toIjEEEE10hipError_tPvRmT2_T3_mT4_T5_T6_T7_T8_P12ihipStream_tbENKUlT_T0_E_clISt17integral_constantIbLb0EES16_EEDaS11_S12_EUlS11_E_NS1_11comp_targetILNS1_3genE0ELNS1_11target_archE4294967295ELNS1_3gpuE0ELNS1_3repE0EEENS1_30default_config_static_selectorELNS0_4arch9wavefront6targetE1EEEvT1_
                                        ; -- End function
	.section	.AMDGPU.csdata,"",@progbits
; Kernel info:
; codeLenInByte = 0
; NumSgprs: 4
; NumVgprs: 0
; NumAgprs: 0
; TotalNumVgprs: 0
; ScratchSize: 0
; MemoryBound: 0
; FloatMode: 240
; IeeeMode: 1
; LDSByteSize: 0 bytes/workgroup (compile time only)
; SGPRBlocks: 0
; VGPRBlocks: 0
; NumSGPRsForWavesPerEU: 4
; NumVGPRsForWavesPerEU: 1
; AccumOffset: 4
; Occupancy: 8
; WaveLimiterHint : 0
; COMPUTE_PGM_RSRC2:SCRATCH_EN: 0
; COMPUTE_PGM_RSRC2:USER_SGPR: 6
; COMPUTE_PGM_RSRC2:TRAP_HANDLER: 0
; COMPUTE_PGM_RSRC2:TGID_X_EN: 1
; COMPUTE_PGM_RSRC2:TGID_Y_EN: 0
; COMPUTE_PGM_RSRC2:TGID_Z_EN: 0
; COMPUTE_PGM_RSRC2:TIDIG_COMP_CNT: 0
; COMPUTE_PGM_RSRC3_GFX90A:ACCUM_OFFSET: 0
; COMPUTE_PGM_RSRC3_GFX90A:TG_SPLIT: 0
	.section	.text._ZN7rocprim17ROCPRIM_400000_NS6detail17trampoline_kernelINS0_14default_configENS1_29reduce_by_key_config_selectorIjtN6thrust23THRUST_200600_302600_NS4plusItEEEEZZNS1_33reduce_by_key_impl_wrapped_configILNS1_25lookback_scan_determinismE0ES3_S9_NS6_6detail15normal_iteratorINS6_10device_ptrIjEEEENSD_INSE_ItEEEENS6_16discard_iteratorINS6_11use_defaultEEESI_PmS8_NS6_8equal_toIjEEEE10hipError_tPvRmT2_T3_mT4_T5_T6_T7_T8_P12ihipStream_tbENKUlT_T0_E_clISt17integral_constantIbLb0EES16_EEDaS11_S12_EUlS11_E_NS1_11comp_targetILNS1_3genE5ELNS1_11target_archE942ELNS1_3gpuE9ELNS1_3repE0EEENS1_30default_config_static_selectorELNS0_4arch9wavefront6targetE1EEEvT1_,"axG",@progbits,_ZN7rocprim17ROCPRIM_400000_NS6detail17trampoline_kernelINS0_14default_configENS1_29reduce_by_key_config_selectorIjtN6thrust23THRUST_200600_302600_NS4plusItEEEEZZNS1_33reduce_by_key_impl_wrapped_configILNS1_25lookback_scan_determinismE0ES3_S9_NS6_6detail15normal_iteratorINS6_10device_ptrIjEEEENSD_INSE_ItEEEENS6_16discard_iteratorINS6_11use_defaultEEESI_PmS8_NS6_8equal_toIjEEEE10hipError_tPvRmT2_T3_mT4_T5_T6_T7_T8_P12ihipStream_tbENKUlT_T0_E_clISt17integral_constantIbLb0EES16_EEDaS11_S12_EUlS11_E_NS1_11comp_targetILNS1_3genE5ELNS1_11target_archE942ELNS1_3gpuE9ELNS1_3repE0EEENS1_30default_config_static_selectorELNS0_4arch9wavefront6targetE1EEEvT1_,comdat
	.protected	_ZN7rocprim17ROCPRIM_400000_NS6detail17trampoline_kernelINS0_14default_configENS1_29reduce_by_key_config_selectorIjtN6thrust23THRUST_200600_302600_NS4plusItEEEEZZNS1_33reduce_by_key_impl_wrapped_configILNS1_25lookback_scan_determinismE0ES3_S9_NS6_6detail15normal_iteratorINS6_10device_ptrIjEEEENSD_INSE_ItEEEENS6_16discard_iteratorINS6_11use_defaultEEESI_PmS8_NS6_8equal_toIjEEEE10hipError_tPvRmT2_T3_mT4_T5_T6_T7_T8_P12ihipStream_tbENKUlT_T0_E_clISt17integral_constantIbLb0EES16_EEDaS11_S12_EUlS11_E_NS1_11comp_targetILNS1_3genE5ELNS1_11target_archE942ELNS1_3gpuE9ELNS1_3repE0EEENS1_30default_config_static_selectorELNS0_4arch9wavefront6targetE1EEEvT1_ ; -- Begin function _ZN7rocprim17ROCPRIM_400000_NS6detail17trampoline_kernelINS0_14default_configENS1_29reduce_by_key_config_selectorIjtN6thrust23THRUST_200600_302600_NS4plusItEEEEZZNS1_33reduce_by_key_impl_wrapped_configILNS1_25lookback_scan_determinismE0ES3_S9_NS6_6detail15normal_iteratorINS6_10device_ptrIjEEEENSD_INSE_ItEEEENS6_16discard_iteratorINS6_11use_defaultEEESI_PmS8_NS6_8equal_toIjEEEE10hipError_tPvRmT2_T3_mT4_T5_T6_T7_T8_P12ihipStream_tbENKUlT_T0_E_clISt17integral_constantIbLb0EES16_EEDaS11_S12_EUlS11_E_NS1_11comp_targetILNS1_3genE5ELNS1_11target_archE942ELNS1_3gpuE9ELNS1_3repE0EEENS1_30default_config_static_selectorELNS0_4arch9wavefront6targetE1EEEvT1_
	.globl	_ZN7rocprim17ROCPRIM_400000_NS6detail17trampoline_kernelINS0_14default_configENS1_29reduce_by_key_config_selectorIjtN6thrust23THRUST_200600_302600_NS4plusItEEEEZZNS1_33reduce_by_key_impl_wrapped_configILNS1_25lookback_scan_determinismE0ES3_S9_NS6_6detail15normal_iteratorINS6_10device_ptrIjEEEENSD_INSE_ItEEEENS6_16discard_iteratorINS6_11use_defaultEEESI_PmS8_NS6_8equal_toIjEEEE10hipError_tPvRmT2_T3_mT4_T5_T6_T7_T8_P12ihipStream_tbENKUlT_T0_E_clISt17integral_constantIbLb0EES16_EEDaS11_S12_EUlS11_E_NS1_11comp_targetILNS1_3genE5ELNS1_11target_archE942ELNS1_3gpuE9ELNS1_3repE0EEENS1_30default_config_static_selectorELNS0_4arch9wavefront6targetE1EEEvT1_
	.p2align	8
	.type	_ZN7rocprim17ROCPRIM_400000_NS6detail17trampoline_kernelINS0_14default_configENS1_29reduce_by_key_config_selectorIjtN6thrust23THRUST_200600_302600_NS4plusItEEEEZZNS1_33reduce_by_key_impl_wrapped_configILNS1_25lookback_scan_determinismE0ES3_S9_NS6_6detail15normal_iteratorINS6_10device_ptrIjEEEENSD_INSE_ItEEEENS6_16discard_iteratorINS6_11use_defaultEEESI_PmS8_NS6_8equal_toIjEEEE10hipError_tPvRmT2_T3_mT4_T5_T6_T7_T8_P12ihipStream_tbENKUlT_T0_E_clISt17integral_constantIbLb0EES16_EEDaS11_S12_EUlS11_E_NS1_11comp_targetILNS1_3genE5ELNS1_11target_archE942ELNS1_3gpuE9ELNS1_3repE0EEENS1_30default_config_static_selectorELNS0_4arch9wavefront6targetE1EEEvT1_,@function
_ZN7rocprim17ROCPRIM_400000_NS6detail17trampoline_kernelINS0_14default_configENS1_29reduce_by_key_config_selectorIjtN6thrust23THRUST_200600_302600_NS4plusItEEEEZZNS1_33reduce_by_key_impl_wrapped_configILNS1_25lookback_scan_determinismE0ES3_S9_NS6_6detail15normal_iteratorINS6_10device_ptrIjEEEENSD_INSE_ItEEEENS6_16discard_iteratorINS6_11use_defaultEEESI_PmS8_NS6_8equal_toIjEEEE10hipError_tPvRmT2_T3_mT4_T5_T6_T7_T8_P12ihipStream_tbENKUlT_T0_E_clISt17integral_constantIbLb0EES16_EEDaS11_S12_EUlS11_E_NS1_11comp_targetILNS1_3genE5ELNS1_11target_archE942ELNS1_3gpuE9ELNS1_3repE0EEENS1_30default_config_static_selectorELNS0_4arch9wavefront6targetE1EEEvT1_: ; @_ZN7rocprim17ROCPRIM_400000_NS6detail17trampoline_kernelINS0_14default_configENS1_29reduce_by_key_config_selectorIjtN6thrust23THRUST_200600_302600_NS4plusItEEEEZZNS1_33reduce_by_key_impl_wrapped_configILNS1_25lookback_scan_determinismE0ES3_S9_NS6_6detail15normal_iteratorINS6_10device_ptrIjEEEENSD_INSE_ItEEEENS6_16discard_iteratorINS6_11use_defaultEEESI_PmS8_NS6_8equal_toIjEEEE10hipError_tPvRmT2_T3_mT4_T5_T6_T7_T8_P12ihipStream_tbENKUlT_T0_E_clISt17integral_constantIbLb0EES16_EEDaS11_S12_EUlS11_E_NS1_11comp_targetILNS1_3genE5ELNS1_11target_archE942ELNS1_3gpuE9ELNS1_3repE0EEENS1_30default_config_static_selectorELNS0_4arch9wavefront6targetE1EEEvT1_
; %bb.0:
	.section	.rodata,"a",@progbits
	.p2align	6, 0x0
	.amdhsa_kernel _ZN7rocprim17ROCPRIM_400000_NS6detail17trampoline_kernelINS0_14default_configENS1_29reduce_by_key_config_selectorIjtN6thrust23THRUST_200600_302600_NS4plusItEEEEZZNS1_33reduce_by_key_impl_wrapped_configILNS1_25lookback_scan_determinismE0ES3_S9_NS6_6detail15normal_iteratorINS6_10device_ptrIjEEEENSD_INSE_ItEEEENS6_16discard_iteratorINS6_11use_defaultEEESI_PmS8_NS6_8equal_toIjEEEE10hipError_tPvRmT2_T3_mT4_T5_T6_T7_T8_P12ihipStream_tbENKUlT_T0_E_clISt17integral_constantIbLb0EES16_EEDaS11_S12_EUlS11_E_NS1_11comp_targetILNS1_3genE5ELNS1_11target_archE942ELNS1_3gpuE9ELNS1_3repE0EEENS1_30default_config_static_selectorELNS0_4arch9wavefront6targetE1EEEvT1_
		.amdhsa_group_segment_fixed_size 0
		.amdhsa_private_segment_fixed_size 0
		.amdhsa_kernarg_size 128
		.amdhsa_user_sgpr_count 6
		.amdhsa_user_sgpr_private_segment_buffer 1
		.amdhsa_user_sgpr_dispatch_ptr 0
		.amdhsa_user_sgpr_queue_ptr 0
		.amdhsa_user_sgpr_kernarg_segment_ptr 1
		.amdhsa_user_sgpr_dispatch_id 0
		.amdhsa_user_sgpr_flat_scratch_init 0
		.amdhsa_user_sgpr_kernarg_preload_length 0
		.amdhsa_user_sgpr_kernarg_preload_offset 0
		.amdhsa_user_sgpr_private_segment_size 0
		.amdhsa_uses_dynamic_stack 0
		.amdhsa_system_sgpr_private_segment_wavefront_offset 0
		.amdhsa_system_sgpr_workgroup_id_x 1
		.amdhsa_system_sgpr_workgroup_id_y 0
		.amdhsa_system_sgpr_workgroup_id_z 0
		.amdhsa_system_sgpr_workgroup_info 0
		.amdhsa_system_vgpr_workitem_id 0
		.amdhsa_next_free_vgpr 1
		.amdhsa_next_free_sgpr 0
		.amdhsa_accum_offset 4
		.amdhsa_reserve_vcc 0
		.amdhsa_reserve_flat_scratch 0
		.amdhsa_float_round_mode_32 0
		.amdhsa_float_round_mode_16_64 0
		.amdhsa_float_denorm_mode_32 3
		.amdhsa_float_denorm_mode_16_64 3
		.amdhsa_dx10_clamp 1
		.amdhsa_ieee_mode 1
		.amdhsa_fp16_overflow 0
		.amdhsa_tg_split 0
		.amdhsa_exception_fp_ieee_invalid_op 0
		.amdhsa_exception_fp_denorm_src 0
		.amdhsa_exception_fp_ieee_div_zero 0
		.amdhsa_exception_fp_ieee_overflow 0
		.amdhsa_exception_fp_ieee_underflow 0
		.amdhsa_exception_fp_ieee_inexact 0
		.amdhsa_exception_int_div_zero 0
	.end_amdhsa_kernel
	.section	.text._ZN7rocprim17ROCPRIM_400000_NS6detail17trampoline_kernelINS0_14default_configENS1_29reduce_by_key_config_selectorIjtN6thrust23THRUST_200600_302600_NS4plusItEEEEZZNS1_33reduce_by_key_impl_wrapped_configILNS1_25lookback_scan_determinismE0ES3_S9_NS6_6detail15normal_iteratorINS6_10device_ptrIjEEEENSD_INSE_ItEEEENS6_16discard_iteratorINS6_11use_defaultEEESI_PmS8_NS6_8equal_toIjEEEE10hipError_tPvRmT2_T3_mT4_T5_T6_T7_T8_P12ihipStream_tbENKUlT_T0_E_clISt17integral_constantIbLb0EES16_EEDaS11_S12_EUlS11_E_NS1_11comp_targetILNS1_3genE5ELNS1_11target_archE942ELNS1_3gpuE9ELNS1_3repE0EEENS1_30default_config_static_selectorELNS0_4arch9wavefront6targetE1EEEvT1_,"axG",@progbits,_ZN7rocprim17ROCPRIM_400000_NS6detail17trampoline_kernelINS0_14default_configENS1_29reduce_by_key_config_selectorIjtN6thrust23THRUST_200600_302600_NS4plusItEEEEZZNS1_33reduce_by_key_impl_wrapped_configILNS1_25lookback_scan_determinismE0ES3_S9_NS6_6detail15normal_iteratorINS6_10device_ptrIjEEEENSD_INSE_ItEEEENS6_16discard_iteratorINS6_11use_defaultEEESI_PmS8_NS6_8equal_toIjEEEE10hipError_tPvRmT2_T3_mT4_T5_T6_T7_T8_P12ihipStream_tbENKUlT_T0_E_clISt17integral_constantIbLb0EES16_EEDaS11_S12_EUlS11_E_NS1_11comp_targetILNS1_3genE5ELNS1_11target_archE942ELNS1_3gpuE9ELNS1_3repE0EEENS1_30default_config_static_selectorELNS0_4arch9wavefront6targetE1EEEvT1_,comdat
.Lfunc_end950:
	.size	_ZN7rocprim17ROCPRIM_400000_NS6detail17trampoline_kernelINS0_14default_configENS1_29reduce_by_key_config_selectorIjtN6thrust23THRUST_200600_302600_NS4plusItEEEEZZNS1_33reduce_by_key_impl_wrapped_configILNS1_25lookback_scan_determinismE0ES3_S9_NS6_6detail15normal_iteratorINS6_10device_ptrIjEEEENSD_INSE_ItEEEENS6_16discard_iteratorINS6_11use_defaultEEESI_PmS8_NS6_8equal_toIjEEEE10hipError_tPvRmT2_T3_mT4_T5_T6_T7_T8_P12ihipStream_tbENKUlT_T0_E_clISt17integral_constantIbLb0EES16_EEDaS11_S12_EUlS11_E_NS1_11comp_targetILNS1_3genE5ELNS1_11target_archE942ELNS1_3gpuE9ELNS1_3repE0EEENS1_30default_config_static_selectorELNS0_4arch9wavefront6targetE1EEEvT1_, .Lfunc_end950-_ZN7rocprim17ROCPRIM_400000_NS6detail17trampoline_kernelINS0_14default_configENS1_29reduce_by_key_config_selectorIjtN6thrust23THRUST_200600_302600_NS4plusItEEEEZZNS1_33reduce_by_key_impl_wrapped_configILNS1_25lookback_scan_determinismE0ES3_S9_NS6_6detail15normal_iteratorINS6_10device_ptrIjEEEENSD_INSE_ItEEEENS6_16discard_iteratorINS6_11use_defaultEEESI_PmS8_NS6_8equal_toIjEEEE10hipError_tPvRmT2_T3_mT4_T5_T6_T7_T8_P12ihipStream_tbENKUlT_T0_E_clISt17integral_constantIbLb0EES16_EEDaS11_S12_EUlS11_E_NS1_11comp_targetILNS1_3genE5ELNS1_11target_archE942ELNS1_3gpuE9ELNS1_3repE0EEENS1_30default_config_static_selectorELNS0_4arch9wavefront6targetE1EEEvT1_
                                        ; -- End function
	.section	.AMDGPU.csdata,"",@progbits
; Kernel info:
; codeLenInByte = 0
; NumSgprs: 4
; NumVgprs: 0
; NumAgprs: 0
; TotalNumVgprs: 0
; ScratchSize: 0
; MemoryBound: 0
; FloatMode: 240
; IeeeMode: 1
; LDSByteSize: 0 bytes/workgroup (compile time only)
; SGPRBlocks: 0
; VGPRBlocks: 0
; NumSGPRsForWavesPerEU: 4
; NumVGPRsForWavesPerEU: 1
; AccumOffset: 4
; Occupancy: 8
; WaveLimiterHint : 0
; COMPUTE_PGM_RSRC2:SCRATCH_EN: 0
; COMPUTE_PGM_RSRC2:USER_SGPR: 6
; COMPUTE_PGM_RSRC2:TRAP_HANDLER: 0
; COMPUTE_PGM_RSRC2:TGID_X_EN: 1
; COMPUTE_PGM_RSRC2:TGID_Y_EN: 0
; COMPUTE_PGM_RSRC2:TGID_Z_EN: 0
; COMPUTE_PGM_RSRC2:TIDIG_COMP_CNT: 0
; COMPUTE_PGM_RSRC3_GFX90A:ACCUM_OFFSET: 0
; COMPUTE_PGM_RSRC3_GFX90A:TG_SPLIT: 0
	.section	.text._ZN7rocprim17ROCPRIM_400000_NS6detail17trampoline_kernelINS0_14default_configENS1_29reduce_by_key_config_selectorIjtN6thrust23THRUST_200600_302600_NS4plusItEEEEZZNS1_33reduce_by_key_impl_wrapped_configILNS1_25lookback_scan_determinismE0ES3_S9_NS6_6detail15normal_iteratorINS6_10device_ptrIjEEEENSD_INSE_ItEEEENS6_16discard_iteratorINS6_11use_defaultEEESI_PmS8_NS6_8equal_toIjEEEE10hipError_tPvRmT2_T3_mT4_T5_T6_T7_T8_P12ihipStream_tbENKUlT_T0_E_clISt17integral_constantIbLb0EES16_EEDaS11_S12_EUlS11_E_NS1_11comp_targetILNS1_3genE4ELNS1_11target_archE910ELNS1_3gpuE8ELNS1_3repE0EEENS1_30default_config_static_selectorELNS0_4arch9wavefront6targetE1EEEvT1_,"axG",@progbits,_ZN7rocprim17ROCPRIM_400000_NS6detail17trampoline_kernelINS0_14default_configENS1_29reduce_by_key_config_selectorIjtN6thrust23THRUST_200600_302600_NS4plusItEEEEZZNS1_33reduce_by_key_impl_wrapped_configILNS1_25lookback_scan_determinismE0ES3_S9_NS6_6detail15normal_iteratorINS6_10device_ptrIjEEEENSD_INSE_ItEEEENS6_16discard_iteratorINS6_11use_defaultEEESI_PmS8_NS6_8equal_toIjEEEE10hipError_tPvRmT2_T3_mT4_T5_T6_T7_T8_P12ihipStream_tbENKUlT_T0_E_clISt17integral_constantIbLb0EES16_EEDaS11_S12_EUlS11_E_NS1_11comp_targetILNS1_3genE4ELNS1_11target_archE910ELNS1_3gpuE8ELNS1_3repE0EEENS1_30default_config_static_selectorELNS0_4arch9wavefront6targetE1EEEvT1_,comdat
	.protected	_ZN7rocprim17ROCPRIM_400000_NS6detail17trampoline_kernelINS0_14default_configENS1_29reduce_by_key_config_selectorIjtN6thrust23THRUST_200600_302600_NS4plusItEEEEZZNS1_33reduce_by_key_impl_wrapped_configILNS1_25lookback_scan_determinismE0ES3_S9_NS6_6detail15normal_iteratorINS6_10device_ptrIjEEEENSD_INSE_ItEEEENS6_16discard_iteratorINS6_11use_defaultEEESI_PmS8_NS6_8equal_toIjEEEE10hipError_tPvRmT2_T3_mT4_T5_T6_T7_T8_P12ihipStream_tbENKUlT_T0_E_clISt17integral_constantIbLb0EES16_EEDaS11_S12_EUlS11_E_NS1_11comp_targetILNS1_3genE4ELNS1_11target_archE910ELNS1_3gpuE8ELNS1_3repE0EEENS1_30default_config_static_selectorELNS0_4arch9wavefront6targetE1EEEvT1_ ; -- Begin function _ZN7rocprim17ROCPRIM_400000_NS6detail17trampoline_kernelINS0_14default_configENS1_29reduce_by_key_config_selectorIjtN6thrust23THRUST_200600_302600_NS4plusItEEEEZZNS1_33reduce_by_key_impl_wrapped_configILNS1_25lookback_scan_determinismE0ES3_S9_NS6_6detail15normal_iteratorINS6_10device_ptrIjEEEENSD_INSE_ItEEEENS6_16discard_iteratorINS6_11use_defaultEEESI_PmS8_NS6_8equal_toIjEEEE10hipError_tPvRmT2_T3_mT4_T5_T6_T7_T8_P12ihipStream_tbENKUlT_T0_E_clISt17integral_constantIbLb0EES16_EEDaS11_S12_EUlS11_E_NS1_11comp_targetILNS1_3genE4ELNS1_11target_archE910ELNS1_3gpuE8ELNS1_3repE0EEENS1_30default_config_static_selectorELNS0_4arch9wavefront6targetE1EEEvT1_
	.globl	_ZN7rocprim17ROCPRIM_400000_NS6detail17trampoline_kernelINS0_14default_configENS1_29reduce_by_key_config_selectorIjtN6thrust23THRUST_200600_302600_NS4plusItEEEEZZNS1_33reduce_by_key_impl_wrapped_configILNS1_25lookback_scan_determinismE0ES3_S9_NS6_6detail15normal_iteratorINS6_10device_ptrIjEEEENSD_INSE_ItEEEENS6_16discard_iteratorINS6_11use_defaultEEESI_PmS8_NS6_8equal_toIjEEEE10hipError_tPvRmT2_T3_mT4_T5_T6_T7_T8_P12ihipStream_tbENKUlT_T0_E_clISt17integral_constantIbLb0EES16_EEDaS11_S12_EUlS11_E_NS1_11comp_targetILNS1_3genE4ELNS1_11target_archE910ELNS1_3gpuE8ELNS1_3repE0EEENS1_30default_config_static_selectorELNS0_4arch9wavefront6targetE1EEEvT1_
	.p2align	8
	.type	_ZN7rocprim17ROCPRIM_400000_NS6detail17trampoline_kernelINS0_14default_configENS1_29reduce_by_key_config_selectorIjtN6thrust23THRUST_200600_302600_NS4plusItEEEEZZNS1_33reduce_by_key_impl_wrapped_configILNS1_25lookback_scan_determinismE0ES3_S9_NS6_6detail15normal_iteratorINS6_10device_ptrIjEEEENSD_INSE_ItEEEENS6_16discard_iteratorINS6_11use_defaultEEESI_PmS8_NS6_8equal_toIjEEEE10hipError_tPvRmT2_T3_mT4_T5_T6_T7_T8_P12ihipStream_tbENKUlT_T0_E_clISt17integral_constantIbLb0EES16_EEDaS11_S12_EUlS11_E_NS1_11comp_targetILNS1_3genE4ELNS1_11target_archE910ELNS1_3gpuE8ELNS1_3repE0EEENS1_30default_config_static_selectorELNS0_4arch9wavefront6targetE1EEEvT1_,@function
_ZN7rocprim17ROCPRIM_400000_NS6detail17trampoline_kernelINS0_14default_configENS1_29reduce_by_key_config_selectorIjtN6thrust23THRUST_200600_302600_NS4plusItEEEEZZNS1_33reduce_by_key_impl_wrapped_configILNS1_25lookback_scan_determinismE0ES3_S9_NS6_6detail15normal_iteratorINS6_10device_ptrIjEEEENSD_INSE_ItEEEENS6_16discard_iteratorINS6_11use_defaultEEESI_PmS8_NS6_8equal_toIjEEEE10hipError_tPvRmT2_T3_mT4_T5_T6_T7_T8_P12ihipStream_tbENKUlT_T0_E_clISt17integral_constantIbLb0EES16_EEDaS11_S12_EUlS11_E_NS1_11comp_targetILNS1_3genE4ELNS1_11target_archE910ELNS1_3gpuE8ELNS1_3repE0EEENS1_30default_config_static_selectorELNS0_4arch9wavefront6targetE1EEEvT1_: ; @_ZN7rocprim17ROCPRIM_400000_NS6detail17trampoline_kernelINS0_14default_configENS1_29reduce_by_key_config_selectorIjtN6thrust23THRUST_200600_302600_NS4plusItEEEEZZNS1_33reduce_by_key_impl_wrapped_configILNS1_25lookback_scan_determinismE0ES3_S9_NS6_6detail15normal_iteratorINS6_10device_ptrIjEEEENSD_INSE_ItEEEENS6_16discard_iteratorINS6_11use_defaultEEESI_PmS8_NS6_8equal_toIjEEEE10hipError_tPvRmT2_T3_mT4_T5_T6_T7_T8_P12ihipStream_tbENKUlT_T0_E_clISt17integral_constantIbLb0EES16_EEDaS11_S12_EUlS11_E_NS1_11comp_targetILNS1_3genE4ELNS1_11target_archE910ELNS1_3gpuE8ELNS1_3repE0EEENS1_30default_config_static_selectorELNS0_4arch9wavefront6targetE1EEEvT1_
; %bb.0:
	s_load_dwordx4 s[0:3], s[4:5], 0x0
	s_load_dwordx2 s[8:9], s[4:5], 0x10
	s_load_dwordx2 s[50:51], s[4:5], 0x70
	s_load_dwordx4 s[44:47], s[4:5], 0x60
	s_load_dwordx8 s[36:43], s[4:5], 0x40
	s_waitcnt lgkmcnt(0)
	s_lshl_b64 s[10:11], s[2:3], 2
	s_add_u32 s7, s0, s10
	s_addc_u32 s10, s1, s11
	s_lshl_b64 s[0:1], s[2:3], 1
	s_add_u32 s8, s8, s0
	s_addc_u32 s9, s9, s1
	s_mul_i32 s0, s40, s39
	s_mul_hi_u32 s1, s40, s38
	s_add_i32 s0, s1, s0
	s_mul_i32 s1, s41, s38
	s_add_i32 s11, s0, s1
	s_mul_i32 s0, s6, 0xf00
	s_mov_b32 s1, 0
	s_lshl_b64 s[2:3], s[0:1], 2
	s_add_u32 s7, s7, s2
	s_addc_u32 s58, s10, s3
	s_lshl_b64 s[0:1], s[0:1], 1
	s_add_u32 s56, s8, s0
	s_mul_i32 s12, s40, s38
	s_addc_u32 s57, s9, s1
	s_add_u32 s52, s12, s6
	s_addc_u32 s53, s11, 0
	s_add_u32 s2, s42, -1
	s_addc_u32 s3, s43, -1
	s_cmp_eq_u64 s[52:53], s[2:3]
	s_cselect_b64 s[48:49], -1, 0
	s_cmp_lg_u64 s[52:53], s[2:3]
	s_mov_b64 s[0:1], -1
	s_cselect_b64 s[54:55], -1, 0
	s_mul_i32 s33, s2, 0xfffff100
	s_and_b64 vcc, exec, s[48:49]
	v_lshlrev_b32_e32 v81, 2, v0
	v_mad_u32_u24 v4, v0, 15, 1
	v_mad_u32_u24 v6, v0, 15, 2
	;; [unrolled: 1-line block ×14, first 2 shown]
	s_cbranch_vccnz .LBB951_2
; %bb.1:
	v_mov_b32_e32 v1, s58
	v_add_co_u32_e32 v10, vcc, s7, v81
	v_addc_co_u32_e32 v11, vcc, 0, v1, vcc
	v_add_co_u32_e32 v12, vcc, 0x1000, v10
	v_addc_co_u32_e32 v13, vcc, 0, v11, vcc
	flat_load_dword v1, v[10:11]
	flat_load_dword v3, v[10:11] offset:1024
	flat_load_dword v5, v[10:11] offset:2048
	;; [unrolled: 1-line block ×3, first 2 shown]
	flat_load_dword v9, v[12:13]
	flat_load_dword v14, v[12:13] offset:1024
	flat_load_dword v15, v[12:13] offset:2048
	;; [unrolled: 1-line block ×3, first 2 shown]
	v_add_co_u32_e32 v12, vcc, 0x2000, v10
	v_addc_co_u32_e32 v13, vcc, 0, v11, vcc
	v_add_co_u32_e32 v10, vcc, 0x3000, v10
	v_addc_co_u32_e32 v11, vcc, 0, v11, vcc
	flat_load_dword v17, v[12:13]
	flat_load_dword v18, v[12:13] offset:1024
	flat_load_dword v19, v[12:13] offset:2048
	;; [unrolled: 1-line block ×3, first 2 shown]
	flat_load_dword v21, v[10:11]
	flat_load_dword v22, v[10:11] offset:1024
	flat_load_dword v23, v[10:11] offset:2048
	v_lshlrev_b32_e32 v10, 1, v0
	v_mov_b32_e32 v11, s57
	v_add_co_u32_e32 v44, vcc, s56, v10
	s_movk_i32 s0, 0x1000
	v_addc_co_u32_e32 v45, vcc, 0, v11, vcc
	v_mad_u32_u24 v25, v0, 56, v81
	v_add_co_u32_e32 v46, vcc, s0, v44
	v_addc_co_u32_e32 v47, vcc, 0, v45, vcc
	s_movk_i32 s0, 0xffc6
	s_waitcnt vmcnt(0) lgkmcnt(0)
	ds_write2st64_b32 v81, v1, v3 offset1:4
	ds_write2st64_b32 v81, v5, v7 offset0:8 offset1:12
	ds_write2st64_b32 v81, v9, v14 offset0:16 offset1:20
	;; [unrolled: 1-line block ×6, first 2 shown]
	ds_write_b32 v81, v23 offset:14336
	s_waitcnt lgkmcnt(0)
	s_barrier
	ds_read2_b32 v[22:23], v25 offset1:1
	ds_read2_b32 v[20:21], v25 offset0:2 offset1:3
	ds_read2_b32 v[18:19], v25 offset0:4 offset1:5
	;; [unrolled: 1-line block ×6, first 2 shown]
	ds_read_b32 v1, v25 offset:56
	s_waitcnt lgkmcnt(0)
	s_barrier
	flat_load_ushort v5, v[44:45]
	flat_load_ushort v7, v[44:45] offset:512
	flat_load_ushort v9, v[44:45] offset:1024
	;; [unrolled: 1-line block ×7, first 2 shown]
	flat_load_ushort v37, v[46:47]
	flat_load_ushort v39, v[46:47] offset:512
	flat_load_ushort v41, v[46:47] offset:1024
	;; [unrolled: 1-line block ×6, first 2 shown]
	v_mul_u32_u24_e32 v3, 15, v0
	v_mad_i32_i24 v25, v0, s0, v25
	v_mov_b32_e32 v50, v22
	v_mov_b32_e32 v51, v20
	;; [unrolled: 1-line block ×7, first 2 shown]
	s_mov_b64 s[0:1], 0
	s_waitcnt vmcnt(0) lgkmcnt(0)
	ds_write_b16 v25, v5
	ds_write_b16 v25, v7 offset:512
	ds_write_b16 v25, v9 offset:1024
	;; [unrolled: 1-line block ×14, first 2 shown]
	s_waitcnt lgkmcnt(0)
	s_barrier
	s_branch .LBB951_3
.LBB951_2:
                                        ; implicit-def: $vgpr1
                                        ; implicit-def: $vgpr10
                                        ; implicit-def: $vgpr12
                                        ; implicit-def: $vgpr14
                                        ; implicit-def: $vgpr16
                                        ; implicit-def: $vgpr18
                                        ; implicit-def: $vgpr20
                                        ; implicit-def: $vgpr22
                                        ; implicit-def: $vgpr3
                                        ; implicit-def: $vgpr44_vgpr45
                                        ; implicit-def: $vgpr46_vgpr47
                                        ; implicit-def: $vgpr50_vgpr51
                                        ; implicit-def: $vgpr48_vgpr49
.LBB951_3:
	s_add_i32 s33, s33, s44
	s_andn2_b64 vcc, exec, s[0:1]
	v_mov_b32_e32 v5, v2
	v_mov_b32_e32 v9, v42
	;; [unrolled: 1-line block ×14, first 2 shown]
	s_cbranch_vccnz .LBB951_65
; %bb.4:
	v_cmp_gt_u32_e32 vcc, s33, v0
                                        ; implicit-def: $vgpr1
	s_and_saveexec_b64 s[2:3], vcc
	s_cbranch_execz .LBB951_6
; %bb.5:
	v_mov_b32_e32 v1, s58
	v_add_co_u32_e64 v10, s[0:1], s7, v81
	v_addc_co_u32_e64 v11, s[0:1], 0, v1, s[0:1]
	flat_load_dword v1, v[10:11]
.LBB951_6:
	s_or_b64 exec, exec, s[2:3]
	v_or_b32_e32 v3, 0x100, v0
	v_cmp_gt_u32_e64 s[0:1], s33, v3
                                        ; implicit-def: $vgpr7
	s_and_saveexec_b64 s[8:9], s[0:1]
	s_cbranch_execz .LBB951_8
; %bb.7:
	v_mov_b32_e32 v3, s58
	v_add_co_u32_e64 v10, s[2:3], s7, v81
	v_addc_co_u32_e64 v11, s[2:3], 0, v3, s[2:3]
	flat_load_dword v7, v[10:11] offset:1024
.LBB951_8:
	s_or_b64 exec, exec, s[8:9]
	v_or_b32_e32 v3, 0x200, v0
	v_cmp_gt_u32_e64 s[2:3], s33, v3
                                        ; implicit-def: $vgpr10
	s_and_saveexec_b64 s[10:11], s[2:3]
	s_cbranch_execz .LBB951_10
; %bb.9:
	v_mov_b32_e32 v3, s58
	v_add_co_u32_e64 v10, s[8:9], s7, v81
	v_addc_co_u32_e64 v11, s[8:9], 0, v3, s[8:9]
	flat_load_dword v10, v[10:11] offset:2048
.LBB951_10:
	s_or_b64 exec, exec, s[10:11]
	v_or_b32_e32 v3, 0x300, v0
	v_cmp_gt_u32_e64 s[30:31], s33, v3
                                        ; implicit-def: $vgpr11
	s_and_saveexec_b64 s[10:11], s[30:31]
	s_cbranch_execz .LBB951_12
; %bb.11:
	v_mov_b32_e32 v3, s58
	v_add_co_u32_e64 v12, s[8:9], s7, v81
	v_addc_co_u32_e64 v13, s[8:9], 0, v3, s[8:9]
	flat_load_dword v11, v[12:13] offset:3072
.LBB951_12:
	s_or_b64 exec, exec, s[10:11]
	v_or_b32_e32 v3, 0x400, v0
	v_cmp_gt_u32_e64 s[8:9], s33, v3
                                        ; implicit-def: $vgpr12
	s_and_saveexec_b64 s[12:13], s[8:9]
	s_cbranch_execz .LBB951_14
; %bb.13:
	v_lshlrev_b32_e32 v3, 2, v3
	v_mov_b32_e32 v5, s58
	v_add_co_u32_e64 v12, s[10:11], s7, v3
	v_addc_co_u32_e64 v13, s[10:11], 0, v5, s[10:11]
	flat_load_dword v12, v[12:13]
.LBB951_14:
	s_or_b64 exec, exec, s[12:13]
	v_or_b32_e32 v3, 0x500, v0
	v_cmp_gt_u32_e64 s[10:11], s33, v3
                                        ; implicit-def: $vgpr13
	s_and_saveexec_b64 s[14:15], s[10:11]
	s_cbranch_execz .LBB951_16
; %bb.15:
	v_lshlrev_b32_e32 v3, 2, v3
	v_mov_b32_e32 v5, s58
	v_add_co_u32_e64 v14, s[12:13], s7, v3
	v_addc_co_u32_e64 v15, s[12:13], 0, v5, s[12:13]
	flat_load_dword v13, v[14:15]
.LBB951_16:
	s_or_b64 exec, exec, s[14:15]
	v_or_b32_e32 v3, 0x600, v0
	v_cmp_gt_u32_e64 s[12:13], s33, v3
                                        ; implicit-def: $vgpr14
	s_and_saveexec_b64 s[16:17], s[12:13]
	s_cbranch_execz .LBB951_18
; %bb.17:
	v_lshlrev_b32_e32 v3, 2, v3
	v_mov_b32_e32 v5, s58
	v_add_co_u32_e64 v14, s[14:15], s7, v3
	v_addc_co_u32_e64 v15, s[14:15], 0, v5, s[14:15]
	flat_load_dword v14, v[14:15]
.LBB951_18:
	s_or_b64 exec, exec, s[16:17]
	v_or_b32_e32 v3, 0x700, v0
	v_cmp_gt_u32_e64 s[14:15], s33, v3
                                        ; implicit-def: $vgpr15
	s_and_saveexec_b64 s[18:19], s[14:15]
	s_cbranch_execz .LBB951_20
; %bb.19:
	v_lshlrev_b32_e32 v3, 2, v3
	v_mov_b32_e32 v5, s58
	v_add_co_u32_e64 v16, s[16:17], s7, v3
	v_addc_co_u32_e64 v17, s[16:17], 0, v5, s[16:17]
	flat_load_dword v15, v[16:17]
.LBB951_20:
	s_or_b64 exec, exec, s[18:19]
	v_or_b32_e32 v3, 0x800, v0
	v_cmp_gt_u32_e64 s[16:17], s33, v3
                                        ; implicit-def: $vgpr16
	s_and_saveexec_b64 s[20:21], s[16:17]
	s_cbranch_execz .LBB951_22
; %bb.21:
	v_lshlrev_b32_e32 v5, 2, v3
	v_mov_b32_e32 v9, s58
	v_add_co_u32_e64 v16, s[18:19], s7, v5
	v_addc_co_u32_e64 v17, s[18:19], 0, v9, s[18:19]
	flat_load_dword v16, v[16:17]
.LBB951_22:
	s_or_b64 exec, exec, s[20:21]
	v_or_b32_e32 v5, 0x900, v0
	v_cmp_gt_u32_e64 s[18:19], s33, v5
                                        ; implicit-def: $vgpr17
	s_and_saveexec_b64 s[22:23], s[18:19]
	s_cbranch_execz .LBB951_24
; %bb.23:
	v_lshlrev_b32_e32 v9, 2, v5
	v_mov_b32_e32 v17, s58
	v_add_co_u32_e64 v18, s[20:21], s7, v9
	v_addc_co_u32_e64 v19, s[20:21], 0, v17, s[20:21]
	flat_load_dword v17, v[18:19]
.LBB951_24:
	s_or_b64 exec, exec, s[22:23]
	v_or_b32_e32 v9, 0xa00, v0
	v_cmp_gt_u32_e64 s[20:21], s33, v9
                                        ; implicit-def: $vgpr18
	s_and_saveexec_b64 s[24:25], s[20:21]
	s_cbranch_execz .LBB951_26
; %bb.25:
	v_lshlrev_b32_e32 v18, 2, v9
	v_mov_b32_e32 v19, s58
	v_add_co_u32_e64 v18, s[22:23], s7, v18
	v_addc_co_u32_e64 v19, s[22:23], 0, v19, s[22:23]
	flat_load_dword v18, v[18:19]
.LBB951_26:
	s_or_b64 exec, exec, s[24:25]
	v_or_b32_e32 v25, 0xb00, v0
	v_cmp_gt_u32_e64 s[22:23], s33, v25
                                        ; implicit-def: $vgpr19
	s_and_saveexec_b64 s[26:27], s[22:23]
	s_cbranch_execz .LBB951_28
; %bb.27:
	v_lshlrev_b32_e32 v19, 2, v25
	v_mov_b32_e32 v21, s58
	v_add_co_u32_e64 v20, s[24:25], s7, v19
	v_addc_co_u32_e64 v21, s[24:25], 0, v21, s[24:25]
	flat_load_dword v19, v[20:21]
.LBB951_28:
	s_or_b64 exec, exec, s[26:27]
	v_or_b32_e32 v27, 0xc00, v0
	v_cmp_gt_u32_e64 s[24:25], s33, v27
                                        ; implicit-def: $vgpr20
	s_and_saveexec_b64 s[28:29], s[24:25]
	s_cbranch_execz .LBB951_30
; %bb.29:
	v_lshlrev_b32_e32 v20, 2, v27
	v_mov_b32_e32 v21, s58
	v_add_co_u32_e64 v20, s[26:27], s7, v20
	v_addc_co_u32_e64 v21, s[26:27], 0, v21, s[26:27]
	flat_load_dword v20, v[20:21]
.LBB951_30:
	s_or_b64 exec, exec, s[28:29]
	v_or_b32_e32 v29, 0xd00, v0
	v_cmp_gt_u32_e64 s[26:27], s33, v29
                                        ; implicit-def: $vgpr21
	s_and_saveexec_b64 s[34:35], s[26:27]
	s_cbranch_execz .LBB951_32
; %bb.31:
	v_lshlrev_b32_e32 v21, 2, v29
	v_mov_b32_e32 v23, s58
	v_add_co_u32_e64 v22, s[28:29], s7, v21
	v_addc_co_u32_e64 v23, s[28:29], 0, v23, s[28:29]
	flat_load_dword v21, v[22:23]
.LBB951_32:
	s_or_b64 exec, exec, s[34:35]
	v_or_b32_e32 v31, 0xe00, v0
	v_cmp_gt_u32_e64 s[28:29], s33, v31
                                        ; implicit-def: $vgpr22
	s_and_saveexec_b64 s[40:41], s[28:29]
	s_cbranch_execz .LBB951_34
; %bb.33:
	v_lshlrev_b32_e32 v22, 2, v31
	v_mov_b32_e32 v23, s58
	v_add_co_u32_e64 v22, s[34:35], s7, v22
	v_addc_co_u32_e64 v23, s[34:35], 0, v23, s[34:35]
	flat_load_dword v22, v[22:23]
.LBB951_34:
	s_or_b64 exec, exec, s[40:41]
	s_waitcnt vmcnt(0) lgkmcnt(0)
	ds_write2st64_b32 v81, v1, v7 offset1:4
	ds_write2st64_b32 v81, v10, v11 offset0:8 offset1:12
	ds_write2st64_b32 v81, v12, v13 offset0:16 offset1:20
	;; [unrolled: 1-line block ×6, first 2 shown]
	ds_write_b32 v81, v22 offset:14336
	v_mad_u32_u24 v7, v0, 56, v81
	s_waitcnt lgkmcnt(0)
	s_barrier
	ds_read2_b32 v[22:23], v7 offset1:1
	ds_read2_b32 v[20:21], v7 offset0:2 offset1:3
	ds_read2_b32 v[18:19], v7 offset0:4 offset1:5
	ds_read2_b32 v[16:17], v7 offset0:6 offset1:7
	ds_read2_b32 v[14:15], v7 offset0:8 offset1:9
	ds_read2_b32 v[12:13], v7 offset0:10 offset1:11
	ds_read2_b32 v[10:11], v7 offset0:12 offset1:13
	ds_read_b32 v1, v7 offset:56
	s_waitcnt lgkmcnt(0)
	s_barrier
	s_waitcnt lgkmcnt(0)
                                        ; implicit-def: $vgpr33
	s_and_saveexec_b64 s[34:35], vcc
	s_cbranch_execz .LBB951_48
; %bb.35:
	v_lshlrev_b32_e32 v33, 1, v0
	v_mov_b32_e32 v35, s57
	v_add_co_u32_e32 v44, vcc, s56, v33
	v_addc_co_u32_e32 v45, vcc, 0, v35, vcc
	flat_load_ushort v33, v[44:45]
	s_or_b64 exec, exec, s[34:35]
                                        ; implicit-def: $vgpr35
	s_and_saveexec_b64 s[34:35], s[0:1]
	s_cbranch_execnz .LBB951_49
.LBB951_36:
	s_or_b64 exec, exec, s[34:35]
                                        ; implicit-def: $vgpr37
	s_and_saveexec_b64 s[0:1], s[2:3]
	s_cbranch_execz .LBB951_50
.LBB951_37:
	v_lshlrev_b32_e32 v37, 1, v0
	v_mov_b32_e32 v39, s57
	v_add_co_u32_e32 v44, vcc, s56, v37
	v_addc_co_u32_e32 v45, vcc, 0, v39, vcc
	flat_load_ushort v37, v[44:45] offset:1024
	s_or_b64 exec, exec, s[0:1]
                                        ; implicit-def: $vgpr39
	s_and_saveexec_b64 s[0:1], s[30:31]
	s_cbranch_execnz .LBB951_51
.LBB951_38:
	s_or_b64 exec, exec, s[0:1]
                                        ; implicit-def: $vgpr41
	s_and_saveexec_b64 s[0:1], s[8:9]
	s_cbranch_execz .LBB951_52
.LBB951_39:
	v_lshlrev_b32_e32 v41, 1, v0
	v_mov_b32_e32 v43, s57
	v_add_co_u32_e32 v44, vcc, s56, v41
	v_addc_co_u32_e32 v45, vcc, 0, v43, vcc
	flat_load_ushort v41, v[44:45] offset:2048
	s_or_b64 exec, exec, s[0:1]
                                        ; implicit-def: $vgpr43
	s_and_saveexec_b64 s[0:1], s[10:11]
	s_cbranch_execnz .LBB951_53
.LBB951_40:
	s_or_b64 exec, exec, s[0:1]
                                        ; implicit-def: $vgpr44
	s_and_saveexec_b64 s[0:1], s[12:13]
	s_cbranch_execz .LBB951_54
.LBB951_41:
	v_lshlrev_b32_e32 v44, 1, v0
	v_mov_b32_e32 v45, s57
	v_add_co_u32_e32 v44, vcc, s56, v44
	v_addc_co_u32_e32 v45, vcc, 0, v45, vcc
	flat_load_ushort v44, v[44:45] offset:3072
	s_or_b64 exec, exec, s[0:1]
                                        ; implicit-def: $vgpr45
	s_and_saveexec_b64 s[0:1], s[14:15]
	s_cbranch_execnz .LBB951_55
.LBB951_42:
	s_or_b64 exec, exec, s[0:1]
                                        ; implicit-def: $vgpr46
	s_and_saveexec_b64 s[0:1], s[16:17]
	s_cbranch_execz .LBB951_56
.LBB951_43:
	v_lshlrev_b32_e32 v3, 1, v3
	v_mov_b32_e32 v47, s57
	v_add_co_u32_e32 v46, vcc, s56, v3
	v_addc_co_u32_e32 v47, vcc, 0, v47, vcc
	flat_load_ushort v46, v[46:47]
	s_or_b64 exec, exec, s[0:1]
                                        ; implicit-def: $vgpr47
	s_and_saveexec_b64 s[0:1], s[18:19]
	s_cbranch_execnz .LBB951_57
.LBB951_44:
	s_or_b64 exec, exec, s[0:1]
                                        ; implicit-def: $vgpr48
	s_and_saveexec_b64 s[0:1], s[20:21]
	s_cbranch_execz .LBB951_58
.LBB951_45:
	v_lshlrev_b32_e32 v3, 1, v9
	v_mov_b32_e32 v5, s57
	v_add_co_u32_e32 v48, vcc, s56, v3
	v_addc_co_u32_e32 v49, vcc, 0, v5, vcc
	flat_load_ushort v48, v[48:49]
	s_or_b64 exec, exec, s[0:1]
                                        ; implicit-def: $vgpr50
	s_and_saveexec_b64 s[0:1], s[22:23]
	s_cbranch_execnz .LBB951_59
.LBB951_46:
	s_or_b64 exec, exec, s[0:1]
                                        ; implicit-def: $vgpr51
	s_and_saveexec_b64 s[0:1], s[24:25]
	s_cbranch_execz .LBB951_60
.LBB951_47:
	v_lshlrev_b32_e32 v3, 1, v27
	v_mov_b32_e32 v5, s57
	v_add_co_u32_e32 v52, vcc, s56, v3
	v_addc_co_u32_e32 v53, vcc, 0, v5, vcc
	flat_load_ushort v51, v[52:53]
	s_or_b64 exec, exec, s[0:1]
                                        ; implicit-def: $vgpr59
	s_and_saveexec_b64 s[0:1], s[26:27]
	s_cbranch_execz .LBB951_62
	s_branch .LBB951_61
.LBB951_48:
	s_or_b64 exec, exec, s[34:35]
                                        ; implicit-def: $vgpr35
	s_and_saveexec_b64 s[34:35], s[0:1]
	s_cbranch_execz .LBB951_36
.LBB951_49:
	v_lshlrev_b32_e32 v35, 1, v0
	v_mov_b32_e32 v37, s57
	v_add_co_u32_e32 v44, vcc, s56, v35
	v_addc_co_u32_e32 v45, vcc, 0, v37, vcc
	flat_load_ushort v35, v[44:45] offset:512
	s_or_b64 exec, exec, s[34:35]
                                        ; implicit-def: $vgpr37
	s_and_saveexec_b64 s[0:1], s[2:3]
	s_cbranch_execnz .LBB951_37
.LBB951_50:
	s_or_b64 exec, exec, s[0:1]
                                        ; implicit-def: $vgpr39
	s_and_saveexec_b64 s[0:1], s[30:31]
	s_cbranch_execz .LBB951_38
.LBB951_51:
	v_lshlrev_b32_e32 v39, 1, v0
	v_mov_b32_e32 v41, s57
	v_add_co_u32_e32 v44, vcc, s56, v39
	v_addc_co_u32_e32 v45, vcc, 0, v41, vcc
	flat_load_ushort v39, v[44:45] offset:1536
	s_or_b64 exec, exec, s[0:1]
                                        ; implicit-def: $vgpr41
	s_and_saveexec_b64 s[0:1], s[8:9]
	s_cbranch_execnz .LBB951_39
.LBB951_52:
	s_or_b64 exec, exec, s[0:1]
                                        ; implicit-def: $vgpr43
	s_and_saveexec_b64 s[0:1], s[10:11]
	s_cbranch_execz .LBB951_40
.LBB951_53:
	v_lshlrev_b32_e32 v43, 1, v0
	v_mov_b32_e32 v45, s57
	v_add_co_u32_e32 v44, vcc, s56, v43
	v_addc_co_u32_e32 v45, vcc, 0, v45, vcc
	flat_load_ushort v43, v[44:45] offset:2560
	s_or_b64 exec, exec, s[0:1]
                                        ; implicit-def: $vgpr44
	s_and_saveexec_b64 s[0:1], s[12:13]
	s_cbranch_execnz .LBB951_41
.LBB951_54:
	s_or_b64 exec, exec, s[0:1]
                                        ; implicit-def: $vgpr45
	s_and_saveexec_b64 s[0:1], s[14:15]
	s_cbranch_execz .LBB951_42
.LBB951_55:
	v_lshlrev_b32_e32 v45, 1, v0
	v_mov_b32_e32 v47, s57
	v_add_co_u32_e32 v46, vcc, s56, v45
	v_addc_co_u32_e32 v47, vcc, 0, v47, vcc
	flat_load_ushort v45, v[46:47] offset:3584
	s_or_b64 exec, exec, s[0:1]
                                        ; implicit-def: $vgpr46
	s_and_saveexec_b64 s[0:1], s[16:17]
	s_cbranch_execnz .LBB951_43
.LBB951_56:
	s_or_b64 exec, exec, s[0:1]
                                        ; implicit-def: $vgpr47
	s_and_saveexec_b64 s[0:1], s[18:19]
	s_cbranch_execz .LBB951_44
.LBB951_57:
	v_lshlrev_b32_e32 v3, 1, v5
	v_mov_b32_e32 v5, s57
	v_add_co_u32_e32 v48, vcc, s56, v3
	v_addc_co_u32_e32 v49, vcc, 0, v5, vcc
	flat_load_ushort v47, v[48:49]
	s_or_b64 exec, exec, s[0:1]
                                        ; implicit-def: $vgpr48
	s_and_saveexec_b64 s[0:1], s[20:21]
	s_cbranch_execnz .LBB951_45
.LBB951_58:
	s_or_b64 exec, exec, s[0:1]
                                        ; implicit-def: $vgpr50
	s_and_saveexec_b64 s[0:1], s[22:23]
	s_cbranch_execz .LBB951_46
.LBB951_59:
	v_lshlrev_b32_e32 v3, 1, v25
	v_mov_b32_e32 v5, s57
	v_add_co_u32_e32 v50, vcc, s56, v3
	v_addc_co_u32_e32 v51, vcc, 0, v5, vcc
	flat_load_ushort v50, v[50:51]
	s_or_b64 exec, exec, s[0:1]
                                        ; implicit-def: $vgpr51
	s_and_saveexec_b64 s[0:1], s[24:25]
	s_cbranch_execnz .LBB951_47
.LBB951_60:
	s_or_b64 exec, exec, s[0:1]
                                        ; implicit-def: $vgpr59
	s_and_saveexec_b64 s[0:1], s[26:27]
	s_cbranch_execz .LBB951_62
.LBB951_61:
	v_lshlrev_b32_e32 v3, 1, v29
	v_mov_b32_e32 v5, s57
	v_add_co_u32_e32 v52, vcc, s56, v3
	v_addc_co_u32_e32 v53, vcc, 0, v5, vcc
	flat_load_ushort v59, v[52:53]
.LBB951_62:
	s_or_b64 exec, exec, s[0:1]
	v_mul_u32_u24_e32 v3, 15, v0
                                        ; implicit-def: $vgpr60
	s_and_saveexec_b64 s[0:1], s[28:29]
	s_cbranch_execz .LBB951_64
; %bb.63:
	v_lshlrev_b32_e32 v5, 1, v31
	v_mov_b32_e32 v9, s57
	v_add_co_u32_e32 v52, vcc, s56, v5
	v_addc_co_u32_e32 v53, vcc, 0, v9, vcc
	flat_load_ushort v60, v[52:53]
.LBB951_64:
	s_or_b64 exec, exec, s[0:1]
	s_movk_i32 s0, 0xffc6
	v_mad_i32_i24 v7, v0, s0, v7
	v_add_u32_e32 v58, 1, v3
	v_add_u32_e32 v57, 2, v3
	;; [unrolled: 1-line block ×14, first 2 shown]
	s_waitcnt vmcnt(0) lgkmcnt(0)
	ds_write_b16 v7, v33
	ds_write_b16 v7, v35 offset:512
	ds_write_b16 v7, v37 offset:1024
	;; [unrolled: 1-line block ×14, first 2 shown]
	v_mov_b32_e32 v50, v22
	v_mov_b32_e32 v51, v20
	;; [unrolled: 1-line block ×7, first 2 shown]
	s_waitcnt lgkmcnt(0)
	s_barrier
.LBB951_65:
	v_lshlrev_b32_e32 v3, 1, v3
	v_lshlrev_b32_e32 v7, 1, v58
	;; [unrolled: 1-line block ×8, first 2 shown]
	ds_read_u16 v79, v3
	ds_read_u16 v78, v7
	;; [unrolled: 1-line block ×8, first 2 shown]
	v_lshlrev_b32_e32 v3, 1, v49
	v_lshlrev_b32_e32 v7, 1, v31
	;; [unrolled: 1-line block ×7, first 2 shown]
	ds_read_u16 v77, v3
	ds_read_u16 v75, v7
	;; [unrolled: 1-line block ×7, first 2 shown]
	s_load_dwordx4 s[40:43], s[4:5], 0x28
	s_cmp_eq_u64 s[52:53], 0
	s_cselect_b64 s[34:35], -1, 0
	s_cmp_lg_u64 s[52:53], 0
	s_mov_b64 s[56:57], 0
	s_cselect_b64 s[2:3], -1, 0
	s_and_b64 vcc, exec, s[54:55]
	s_waitcnt lgkmcnt(0)
	s_barrier
	s_cbranch_vccz .LBB951_71
; %bb.66:
	s_and_b64 vcc, exec, s[2:3]
	s_cbranch_vccz .LBB951_132
; %bb.67:
	v_mov_b32_e32 v3, s58
	v_add_co_u32_e64 v52, vcc, -4, s7
	v_addc_co_u32_e32 v53, vcc, -1, v3, vcc
	flat_load_dword v3, v[52:53]
	v_cmp_ne_u32_e32 vcc, 0, v0
	ds_write_b32 v81, v1
	s_waitcnt lgkmcnt(0)
	s_barrier
	s_and_saveexec_b64 s[0:1], vcc
	s_cbranch_execz .LBB951_69
; %bb.68:
	s_waitcnt vmcnt(0)
	v_add_u32_e32 v3, -4, v81
	ds_read_b32 v3, v3
.LBB951_69:
	s_or_b64 exec, exec, s[0:1]
	v_cmp_ne_u32_e32 vcc, v50, v23
	v_cndmask_b32_e64 v65, 0, 1, vcc
	v_cmp_ne_u32_e32 vcc, v51, v23
	v_cndmask_b32_e64 v64, 0, 1, vcc
	;; [unrolled: 2-line block ×14, first 2 shown]
	s_waitcnt vmcnt(0) lgkmcnt(0)
	v_cmp_ne_u32_e64 s[0:1], v3, v22
	s_mov_b64 s[56:57], -1
.LBB951_70:
                                        ; implicit-def: $sgpr8
	s_branch .LBB951_72
.LBB951_71:
                                        ; implicit-def: $sgpr0_sgpr1
                                        ; implicit-def: $vgpr52
                                        ; implicit-def: $vgpr53
                                        ; implicit-def: $vgpr54
                                        ; implicit-def: $vgpr55
                                        ; implicit-def: $vgpr56
                                        ; implicit-def: $vgpr57
                                        ; implicit-def: $vgpr58
                                        ; implicit-def: $vgpr59
                                        ; implicit-def: $vgpr60
                                        ; implicit-def: $vgpr61
                                        ; implicit-def: $vgpr62
                                        ; implicit-def: $vgpr63
                                        ; implicit-def: $vgpr64
                                        ; implicit-def: $vgpr65
                                        ; implicit-def: $sgpr8
	s_cbranch_execnz .LBB951_136
.LBB951_72:
	v_mov_b32_e32 v82, s8
	s_and_saveexec_b64 s[2:3], s[56:57]
.LBB951_73:
	v_cndmask_b32_e64 v82, 0, 1, s[0:1]
.LBB951_74:
	s_or_b64 exec, exec, s[2:3]
	s_cmp_eq_u64 s[38:39], 0
	v_add3_u32 v2, v65, v82, v64
	s_cselect_b64 s[30:31], -1, 0
	s_cmp_lg_u32 s6, 0
	v_cmp_eq_u32_e64 s[24:25], 0, v65
	v_cmp_eq_u32_e64 s[22:23], 0, v64
	;; [unrolled: 1-line block ×3, first 2 shown]
	v_add3_u32 v86, v2, v63, v62
	v_cmp_eq_u32_e64 s[18:19], 0, v62
	v_cmp_eq_u32_e64 s[16:17], 0, v61
	;; [unrolled: 1-line block ×10, first 2 shown]
	v_cmp_eq_u32_e32 vcc, 0, v52
	v_mbcnt_lo_u32_b32 v85, -1, 0
	v_lshrrev_b32_e32 v83, 6, v0
	v_or_b32_e32 v84, 63, v0
	s_cbranch_scc0 .LBB951_101
; %bb.75:
	v_cndmask_b32_e64 v2, 0, v79, s[24:25]
	v_add_u16_e32 v2, v2, v78
	v_cndmask_b32_e64 v2, 0, v2, s[22:23]
	v_add_u16_e32 v2, v2, v76
	v_cndmask_b32_e64 v2, 0, v2, s[20:21]
	v_add_u16_e32 v2, v2, v74
	v_cndmask_b32_e64 v2, 0, v2, s[18:19]
	v_add_u16_e32 v2, v2, v72
	v_cndmask_b32_e64 v2, 0, v2, s[16:17]
	v_add_u16_e32 v2, v2, v70
	v_cndmask_b32_e64 v2, 0, v2, s[14:15]
	v_add_u16_e32 v2, v2, v68
	v_cndmask_b32_e64 v2, 0, v2, s[12:13]
	v_add_u16_e32 v2, v2, v67
	v_cndmask_b32_e64 v2, 0, v2, s[10:11]
	v_add_u16_e32 v2, v2, v77
	v_cndmask_b32_e64 v2, 0, v2, s[8:9]
	v_add_u16_e32 v2, v2, v75
	v_cndmask_b32_e64 v2, 0, v2, s[28:29]
	v_add_u16_e32 v2, v2, v73
	v_cndmask_b32_e64 v2, 0, v2, s[4:5]
	v_add_u16_e32 v2, v2, v71
	v_cndmask_b32_e64 v2, 0, v2, s[2:3]
	v_add3_u32 v3, v86, v61, v60
	v_add_u16_e32 v2, v2, v69
	v_add3_u32 v3, v3, v59, v58
	v_cndmask_b32_e64 v2, 0, v2, s[0:1]
	v_add3_u32 v3, v3, v57, v56
	v_add_u16_e32 v2, v2, v66
	v_add3_u32 v3, v3, v55, v54
	v_cndmask_b32_e32 v2, 0, v2, vcc
	v_add3_u32 v3, v3, v53, v52
	v_add_u16_e32 v2, v2, v80
	v_mbcnt_hi_u32_b32 v25, -1, v85
	v_and_b32_e32 v4, 15, v25
	v_mov_b32_dpp v6, v2 row_shr:1 row_mask:0xf bank_mask:0xf
	v_cmp_eq_u32_e32 vcc, 0, v3
	v_mov_b32_dpp v5, v3 row_shr:1 row_mask:0xf bank_mask:0xf
	v_cndmask_b32_e32 v6, 0, v6, vcc
	v_cmp_eq_u32_e32 vcc, 0, v4
	v_add_u16_e32 v6, v6, v2
	v_cndmask_b32_e64 v5, v5, 0, vcc
	v_add_u32_e32 v3, v5, v3
	v_cndmask_b32_e32 v2, v6, v2, vcc
	v_cmp_eq_u32_e32 vcc, 0, v3
	v_mov_b32_dpp v5, v3 row_shr:2 row_mask:0xf bank_mask:0xf
	v_mov_b32_dpp v6, v2 row_shr:2 row_mask:0xf bank_mask:0xf
	v_cndmask_b32_e32 v6, 0, v6, vcc
	v_cmp_lt_u32_e32 vcc, 1, v4
	v_add_u16_e32 v6, v6, v2
	v_cndmask_b32_e32 v5, 0, v5, vcc
	v_cndmask_b32_e32 v2, v2, v6, vcc
	v_add_u32_e32 v3, v3, v5
	v_cmp_eq_u32_e32 vcc, 0, v3
	v_mov_b32_dpp v6, v2 row_shr:4 row_mask:0xf bank_mask:0xf
	v_mov_b32_dpp v5, v3 row_shr:4 row_mask:0xf bank_mask:0xf
	v_cndmask_b32_e32 v6, 0, v6, vcc
	v_cmp_lt_u32_e32 vcc, 3, v4
	v_add_u16_e32 v6, v6, v2
	v_cndmask_b32_e32 v5, 0, v5, vcc
	v_cndmask_b32_e32 v2, v2, v6, vcc
	v_add_u32_e32 v3, v5, v3
	;; [unrolled: 9-line block ×3, first 2 shown]
	v_bfe_i32 v6, v25, 4, 1
	v_mov_b32_dpp v5, v2 row_bcast:15 row_mask:0xf bank_mask:0xf
	v_mov_b32_dpp v4, v3 row_bcast:15 row_mask:0xf bank_mask:0xf
	v_cmp_eq_u32_e32 vcc, 0, v3
	v_and_b32_e32 v7, 16, v25
	v_cndmask_b32_e32 v5, 0, v5, vcc
	v_and_b32_e32 v4, v6, v4
	v_add_u16_e32 v5, v5, v2
	v_add_u32_e32 v3, v4, v3
	v_cmp_eq_u32_e32 vcc, 0, v7
	v_cndmask_b32_e32 v4, v5, v2, vcc
	v_mov_b32_dpp v2, v3 row_bcast:31 row_mask:0xf bank_mask:0xf
	v_cmp_eq_u32_e32 vcc, 0, v3
	v_cmp_lt_u32_e64 s[26:27], 31, v25
	v_mov_b32_dpp v5, v4 row_bcast:31 row_mask:0xf bank_mask:0xf
	v_cndmask_b32_e64 v2, 0, v2, s[26:27]
	s_and_b64 vcc, s[26:27], vcc
	v_add_u32_e32 v2, v2, v3
	v_cndmask_b32_e32 v3, 0, v5, vcc
	v_add_u16_e32 v3, v3, v4
	v_cmp_eq_u32_e32 vcc, v84, v0
	v_lshlrev_b32_e32 v4, 3, v83
	s_and_saveexec_b64 s[26:27], vcc
	s_cbranch_execz .LBB951_77
; %bb.76:
	ds_write_b32 v4, v2 offset:2064
	ds_write_b16 v4, v3 offset:2068
.LBB951_77:
	s_or_b64 exec, exec, s[26:27]
	v_cmp_gt_u32_e32 vcc, 4, v0
	s_waitcnt lgkmcnt(0)
	s_barrier
	s_and_saveexec_b64 s[38:39], vcc
	s_cbranch_execz .LBB951_79
; %bb.78:
	v_lshlrev_b32_e32 v5, 3, v0
	ds_read_b64 v[6:7], v5 offset:2064
	v_and_b32_e32 v8, 3, v25
	s_mov_b32 s7, 0xffff0000
	v_cmp_lt_u32_e64 s[26:27], 1, v8
	s_waitcnt lgkmcnt(0)
	v_mov_b32_dpp v24, v7 row_shr:1 row_mask:0xf bank_mask:0xf
	v_cmp_eq_u32_e32 vcc, 0, v6
	v_mov_b32_dpp v9, v6 row_shr:1 row_mask:0xf bank_mask:0xf
	v_cndmask_b32_e32 v24, 0, v24, vcc
	v_cmp_eq_u32_e32 vcc, 0, v8
	v_add_u16_e32 v24, v24, v7
	v_cndmask_b32_e64 v9, v9, 0, vcc
	v_and_or_b32 v26, v7, s7, v24
	v_add_u32_e32 v6, v9, v6
	v_cndmask_b32_e32 v9, v24, v7, vcc
	v_cndmask_b32_e32 v7, v26, v7, vcc
	v_mov_b32_dpp v24, v6 row_shr:2 row_mask:0xf bank_mask:0xf
	v_cmp_eq_u32_e32 vcc, 0, v6
	v_mov_b32_dpp v7, v7 row_shr:2 row_mask:0xf bank_mask:0xf
	v_cndmask_b32_e64 v8, 0, v24, s[26:27]
	s_and_b64 vcc, s[26:27], vcc
	v_add_u32_e32 v6, v8, v6
	v_cndmask_b32_e32 v7, 0, v7, vcc
	v_add_u16_e32 v7, v9, v7
	ds_write_b32 v5, v6 offset:2064
	ds_write_b16 v5, v7 offset:2068
.LBB951_79:
	s_or_b64 exec, exec, s[38:39]
	v_cmp_gt_u32_e32 vcc, 64, v0
	v_cmp_lt_u32_e64 s[26:27], 63, v0
	v_mov_b32_e32 v28, 0
	v_mov_b32_e32 v29, 0
	s_waitcnt lgkmcnt(0)
	s_barrier
	s_and_saveexec_b64 s[38:39], s[26:27]
	s_cbranch_execz .LBB951_81
; %bb.80:
	ds_read_b32 v28, v4 offset:2056
	ds_read_u16 v29, v4 offset:2060
	v_cmp_eq_u32_e64 s[26:27], 0, v2
	s_waitcnt lgkmcnt(1)
	v_add_u32_e32 v4, v28, v2
	s_waitcnt lgkmcnt(0)
	v_cndmask_b32_e64 v2, 0, v29, s[26:27]
	v_add_u16_e32 v3, v2, v3
	v_mov_b32_e32 v2, v4
.LBB951_81:
	s_or_b64 exec, exec, s[38:39]
	v_add_u32_e32 v4, -1, v25
	v_and_b32_e32 v5, 64, v25
	v_cmp_lt_i32_e64 s[26:27], v4, v5
	v_cndmask_b32_e64 v4, v4, v25, s[26:27]
	v_and_b32_e32 v3, 0xffff, v3
	v_lshlrev_b32_e32 v4, 2, v4
	ds_bpermute_b32 v30, v4, v2
	ds_bpermute_b32 v31, v4, v3
	v_cmp_eq_u32_e64 s[26:27], 0, v25
	s_and_saveexec_b64 s[38:39], vcc
	s_cbranch_execz .LBB951_100
; %bb.82:
	v_mov_b32_e32 v5, 0
	ds_read_b64 v[2:3], v5 offset:2088
	s_waitcnt lgkmcnt(0)
	v_readfirstlane_b32 s7, v3
	s_and_saveexec_b64 s[44:45], s[26:27]
	s_cbranch_execz .LBB951_84
; %bb.83:
	s_add_i32 s52, s6, 64
	s_mov_b32 s53, 0
	s_lshl_b64 s[54:55], s[52:53], 4
	s_add_u32 s54, s36, s54
	s_addc_u32 s55, s37, s55
	s_and_b32 s57, s7, 0xff000000
	s_mov_b32 s56, s53
	s_and_b32 s59, s7, 0xff0000
	s_mov_b32 s58, s53
	s_or_b64 s[56:57], s[58:59], s[56:57]
	s_and_b32 s59, s7, 0xff00
	s_or_b64 s[56:57], s[56:57], s[58:59]
	s_and_b32 s59, s7, 0xff
	s_or_b64 s[52:53], s[56:57], s[58:59]
	v_mov_b32_e32 v3, s53
	v_mov_b32_e32 v4, 1
	v_pk_mov_b32 v[6:7], s[54:55], s[54:55] op_sel:[0,1]
	;;#ASMSTART
	global_store_dwordx4 v[6:7], v[2:5] off	
s_waitcnt vmcnt(0)
	;;#ASMEND
.LBB951_84:
	s_or_b64 exec, exec, s[44:45]
	v_xad_u32 v24, v25, -1, s6
	v_add_u32_e32 v4, 64, v24
	v_lshlrev_b64 v[6:7], 4, v[4:5]
	v_mov_b32_e32 v3, s37
	v_add_co_u32_e32 v26, vcc, s36, v6
	v_addc_co_u32_e32 v27, vcc, v3, v7, vcc
	;;#ASMSTART
	global_load_dwordx4 v[6:9], v[26:27] off glc	
s_waitcnt vmcnt(0)
	;;#ASMEND
	v_and_b32_e32 v3, 0xffffff, v6
	v_and_b32_e32 v4, 0xff000000, v6
	v_or_b32_e32 v3, v3, v4
	v_and_b32_e32 v4, 0xff, v7
	v_and_b32_e32 v6, 0xff00, v7
	v_or3_b32 v7, 0, v4, v6
	v_or3_b32 v6, v3, 0, 0
	v_cmp_eq_u16_sdwa s[52:53], v8, v5 src0_sel:BYTE_0 src1_sel:DWORD
	s_and_saveexec_b64 s[44:45], s[52:53]
	s_cbranch_execz .LBB951_88
; %bb.85:
	s_mov_b64 s[52:53], 0
	v_mov_b32_e32 v3, 0
.LBB951_86:                             ; =>This Inner Loop Header: Depth=1
	;;#ASMSTART
	global_load_dwordx4 v[6:9], v[26:27] off glc	
s_waitcnt vmcnt(0)
	;;#ASMEND
	v_cmp_ne_u16_sdwa s[54:55], v8, v3 src0_sel:BYTE_0 src1_sel:DWORD
	s_or_b64 s[52:53], s[54:55], s[52:53]
	s_andn2_b64 exec, exec, s[52:53]
	s_cbranch_execnz .LBB951_86
; %bb.87:
	s_or_b64 exec, exec, s[52:53]
	v_and_b32_e32 v7, 0xffff, v7
.LBB951_88:
	s_or_b64 exec, exec, s[44:45]
	v_mov_b32_e32 v3, 2
	v_and_b32_e32 v32, 63, v25
	v_cmp_eq_u16_sdwa s[44:45], v8, v3 src0_sel:BYTE_0 src1_sel:DWORD
	v_lshlrev_b64 v[4:5], v25, -1
	v_cmp_ne_u32_e32 vcc, 63, v32
	v_and_b32_e32 v9, s45, v5
	v_addc_co_u32_e32 v27, vcc, 0, v25, vcc
	v_or_b32_e32 v9, 0x80000000, v9
	v_lshlrev_b32_e32 v33, 2, v27
	v_and_b32_e32 v26, s44, v4
	v_ffbl_b32_e32 v9, v9
	ds_bpermute_b32 v27, v33, v7
	v_add_u32_e32 v9, 32, v9
	v_ffbl_b32_e32 v26, v26
	v_min_u32_e32 v9, v26, v9
	ds_bpermute_b32 v26, v33, v6
	v_cmp_eq_u32_e32 vcc, 0, v6
	s_waitcnt lgkmcnt(1)
	v_cndmask_b32_e32 v27, 0, v27, vcc
	v_add_u16_e32 v27, v27, v7
	v_cmp_lt_u32_e32 vcc, v32, v9
	v_cndmask_b32_e32 v7, v7, v27, vcc
	s_waitcnt lgkmcnt(0)
	v_cndmask_b32_e32 v26, 0, v26, vcc
	v_cmp_gt_u32_e32 vcc, 62, v32
	v_cndmask_b32_e64 v27, 0, 1, vcc
	v_lshlrev_b32_e32 v27, 1, v27
	v_add_lshl_u32 v34, v27, v25, 2
	ds_bpermute_b32 v27, v34, v7
	v_add_u32_e32 v6, v26, v6
	ds_bpermute_b32 v26, v34, v6
	v_cmp_eq_u32_e32 vcc, 0, v6
	v_add_u32_e32 v35, 2, v32
	s_waitcnt lgkmcnt(1)
	v_cndmask_b32_e32 v27, 0, v27, vcc
	v_add_u16_e32 v27, v27, v7
	v_cmp_gt_u32_e32 vcc, v35, v9
	v_cndmask_b32_e32 v7, v27, v7, vcc
	s_waitcnt lgkmcnt(0)
	v_cndmask_b32_e64 v26, v26, 0, vcc
	v_cmp_gt_u32_e32 vcc, 60, v32
	v_cndmask_b32_e64 v27, 0, 1, vcc
	v_lshlrev_b32_e32 v27, 2, v27
	v_add_lshl_u32 v36, v27, v25, 2
	ds_bpermute_b32 v27, v36, v7
	v_add_u32_e32 v6, v6, v26
	ds_bpermute_b32 v26, v36, v6
	v_cmp_eq_u32_e32 vcc, 0, v6
	v_add_u32_e32 v37, 4, v32
	s_waitcnt lgkmcnt(1)
	v_cndmask_b32_e32 v27, 0, v27, vcc
	v_add_u16_e32 v27, v7, v27
	v_cmp_gt_u32_e32 vcc, v37, v9
	v_cndmask_b32_e32 v7, v27, v7, vcc
	s_waitcnt lgkmcnt(0)
	v_cndmask_b32_e64 v26, v26, 0, vcc
	;; [unrolled: 16-line block ×4, first 2 shown]
	v_cmp_gt_u32_e32 vcc, 32, v32
	v_cndmask_b32_e64 v27, 0, 1, vcc
	v_lshlrev_b32_e32 v27, 5, v27
	v_add_lshl_u32 v44, v27, v25, 2
	ds_bpermute_b32 v25, v44, v7
	v_add_u32_e32 v6, v6, v26
	ds_bpermute_b32 v26, v44, v6
	v_add_u32_e32 v45, 32, v32
	v_cmp_eq_u32_e32 vcc, 0, v6
	s_waitcnt lgkmcnt(1)
	v_cndmask_b32_e32 v25, 0, v25, vcc
	v_cmp_gt_u32_e32 vcc, v45, v9
	v_cndmask_b32_e64 v9, v25, 0, vcc
	v_add_u16_e32 v7, v7, v9
	s_waitcnt lgkmcnt(0)
	v_cndmask_b32_e64 v9, v26, 0, vcc
	v_add_u32_e32 v6, v9, v6
	v_mov_b32_e32 v25, 0
	s_branch .LBB951_90
.LBB951_89:                             ;   in Loop: Header=BB951_90 Depth=1
	s_or_b64 exec, exec, s[44:45]
	v_cmp_eq_u16_sdwa s[44:45], v8, v3 src0_sel:BYTE_0 src1_sel:DWORD
	ds_bpermute_b32 v27, v33, v7
	v_and_b32_e32 v9, s45, v5
	v_or_b32_e32 v9, 0x80000000, v9
	v_and_b32_e32 v26, s44, v4
	v_ffbl_b32_e32 v9, v9
	v_add_u32_e32 v9, 32, v9
	v_ffbl_b32_e32 v26, v26
	v_cmp_eq_u32_e32 vcc, 0, v6
	v_min_u32_e32 v9, v26, v9
	ds_bpermute_b32 v26, v33, v6
	s_waitcnt lgkmcnt(1)
	v_cndmask_b32_e32 v27, 0, v27, vcc
	v_add_u16_e32 v27, v27, v7
	v_cmp_lt_u32_e32 vcc, v32, v9
	v_cndmask_b32_e32 v7, v7, v27, vcc
	ds_bpermute_b32 v27, v34, v7
	s_waitcnt lgkmcnt(1)
	v_cndmask_b32_e32 v26, 0, v26, vcc
	v_add_u32_e32 v6, v26, v6
	v_cmp_eq_u32_e32 vcc, 0, v6
	ds_bpermute_b32 v26, v34, v6
	s_waitcnt lgkmcnt(1)
	v_cndmask_b32_e32 v27, 0, v27, vcc
	v_add_u16_e32 v27, v27, v7
	v_cmp_gt_u32_e32 vcc, v35, v9
	v_cndmask_b32_e32 v7, v27, v7, vcc
	ds_bpermute_b32 v27, v36, v7
	s_waitcnt lgkmcnt(1)
	v_cndmask_b32_e64 v26, v26, 0, vcc
	v_add_u32_e32 v6, v6, v26
	v_cmp_eq_u32_e32 vcc, 0, v6
	ds_bpermute_b32 v26, v36, v6
	s_waitcnt lgkmcnt(1)
	v_cndmask_b32_e32 v27, 0, v27, vcc
	v_add_u16_e32 v27, v7, v27
	v_cmp_gt_u32_e32 vcc, v37, v9
	v_cndmask_b32_e32 v7, v27, v7, vcc
	ds_bpermute_b32 v27, v38, v7
	s_waitcnt lgkmcnt(1)
	v_cndmask_b32_e64 v26, v26, 0, vcc
	v_add_u32_e32 v6, v6, v26
	ds_bpermute_b32 v26, v38, v6
	v_cmp_eq_u32_e32 vcc, 0, v6
	s_waitcnt lgkmcnt(1)
	v_cndmask_b32_e32 v27, 0, v27, vcc
	v_add_u16_e32 v27, v7, v27
	v_cmp_gt_u32_e32 vcc, v39, v9
	v_cndmask_b32_e32 v7, v27, v7, vcc
	ds_bpermute_b32 v27, v41, v7
	s_waitcnt lgkmcnt(1)
	v_cndmask_b32_e64 v26, v26, 0, vcc
	v_add_u32_e32 v6, v6, v26
	ds_bpermute_b32 v26, v41, v6
	v_cmp_eq_u32_e32 vcc, 0, v6
	s_waitcnt lgkmcnt(1)
	v_cndmask_b32_e32 v27, 0, v27, vcc
	v_add_u16_e32 v27, v7, v27
	v_cmp_gt_u32_e32 vcc, v43, v9
	v_cndmask_b32_e32 v7, v27, v7, vcc
	ds_bpermute_b32 v27, v44, v7
	s_waitcnt lgkmcnt(1)
	v_cndmask_b32_e64 v26, v26, 0, vcc
	v_add_u32_e32 v6, v6, v26
	ds_bpermute_b32 v26, v44, v6
	v_cmp_eq_u32_e32 vcc, 0, v6
	s_waitcnt lgkmcnt(1)
	v_cndmask_b32_e32 v27, 0, v27, vcc
	v_cmp_gt_u32_e32 vcc, v45, v9
	v_cndmask_b32_e64 v9, v27, 0, vcc
	v_add_u16_e32 v7, v7, v9
	s_waitcnt lgkmcnt(0)
	v_cndmask_b32_e64 v9, v26, 0, vcc
	v_cmp_eq_u32_e32 vcc, 0, v42
	v_cndmask_b32_e32 v7, 0, v7, vcc
	v_subrev_u32_e32 v24, 64, v24
	v_add3_u32 v6, v6, v42, v9
	v_add_u16_e32 v7, v7, v40
.LBB951_90:                             ; =>This Loop Header: Depth=1
                                        ;     Child Loop BB951_93 Depth 2
	v_cmp_ne_u16_sdwa s[44:45], v8, v3 src0_sel:BYTE_0 src1_sel:DWORD
	v_mov_b32_e32 v40, v7
	v_cndmask_b32_e64 v7, 0, 1, s[44:45]
	;;#ASMSTART
	;;#ASMEND
	v_cmp_ne_u32_e32 vcc, 0, v7
	s_cmp_lg_u64 vcc, exec
	v_mov_b32_e32 v42, v6
	s_cbranch_scc1 .LBB951_95
; %bb.91:                               ;   in Loop: Header=BB951_90 Depth=1
	v_lshlrev_b64 v[6:7], 4, v[24:25]
	v_mov_b32_e32 v8, s37
	v_add_co_u32_e32 v26, vcc, s36, v6
	v_addc_co_u32_e32 v27, vcc, v8, v7, vcc
	;;#ASMSTART
	global_load_dwordx4 v[6:9], v[26:27] off glc	
s_waitcnt vmcnt(0)
	;;#ASMEND
	v_and_b32_e32 v9, 0xffffff, v6
	v_and_b32_e32 v6, 0xff000000, v6
	v_or_b32_e32 v6, v9, v6
	v_and_b32_e32 v9, 0xff, v7
	v_and_b32_e32 v7, 0xff00, v7
	v_or3_b32 v7, 0, v9, v7
	v_or3_b32 v6, v6, 0, 0
	v_cmp_eq_u16_sdwa s[52:53], v8, v25 src0_sel:BYTE_0 src1_sel:DWORD
	s_and_saveexec_b64 s[44:45], s[52:53]
	s_cbranch_execz .LBB951_89
; %bb.92:                               ;   in Loop: Header=BB951_90 Depth=1
	s_mov_b64 s[52:53], 0
.LBB951_93:                             ;   Parent Loop BB951_90 Depth=1
                                        ; =>  This Inner Loop Header: Depth=2
	;;#ASMSTART
	global_load_dwordx4 v[6:9], v[26:27] off glc	
s_waitcnt vmcnt(0)
	;;#ASMEND
	v_cmp_ne_u16_sdwa s[54:55], v8, v25 src0_sel:BYTE_0 src1_sel:DWORD
	s_or_b64 s[52:53], s[54:55], s[52:53]
	s_andn2_b64 exec, exec, s[52:53]
	s_cbranch_execnz .LBB951_93
; %bb.94:                               ;   in Loop: Header=BB951_90 Depth=1
	s_or_b64 exec, exec, s[52:53]
	v_and_b32_e32 v7, 0xffff, v7
	s_branch .LBB951_89
.LBB951_95:                             ;   in Loop: Header=BB951_90 Depth=1
                                        ; implicit-def: $vgpr7
                                        ; implicit-def: $vgpr6
                                        ; implicit-def: $vgpr8
	s_cbranch_execz .LBB951_90
; %bb.96:
	s_and_saveexec_b64 s[44:45], s[26:27]
	s_cbranch_execz .LBB951_98
; %bb.97:
	s_mov_b32 s53, 0
	v_cmp_eq_u32_e32 vcc, 0, v2
	s_add_i32 s52, s6, 64
	v_cndmask_b32_e32 v3, 0, v40, vcc
	s_lshl_b64 s[52:53], s[52:53], 4
	v_add_u16_e32 v3, s7, v3
	s_add_u32 s52, s36, s52
	s_addc_u32 s53, s37, s53
	v_and_b32_e32 v5, 0xff00, v3
	v_add_u32_e32 v4, v42, v2
	v_mov_b32_e32 v7, 0
	v_or_b32_sdwa v5, v5, v3 dst_sel:DWORD dst_unused:UNUSED_PAD src0_sel:DWORD src1_sel:BYTE_0
	v_mov_b32_e32 v6, 2
	v_pk_mov_b32 v[8:9], s[52:53], s[52:53] op_sel:[0,1]
	;;#ASMSTART
	global_store_dwordx4 v[8:9], v[4:7] off	
s_waitcnt vmcnt(0)
	;;#ASMEND
	v_mov_b32_e32 v3, s7
	s_movk_i32 s6, 0x800
	ds_write_b16 v7, v3 offset:2052
	v_add_u32_e64 v3, s6, 0
	ds_write2_b32 v3, v2, v42 offset1:2
	ds_write_b16 v7, v40 offset:2060
.LBB951_98:
	s_or_b64 exec, exec, s[44:45]
	v_cmp_eq_u32_e32 vcc, 0, v0
	s_and_b64 exec, exec, vcc
	s_cbranch_execz .LBB951_100
; %bb.99:
	v_mov_b32_e32 v2, 0
	ds_write_b32 v2, v42 offset:2088
	ds_write_b16 v2, v40 offset:2092
.LBB951_100:
	s_or_b64 exec, exec, s[38:39]
	v_mov_b32_e32 v4, 0
	s_waitcnt lgkmcnt(0)
	s_barrier
	ds_read_b64 v[2:3], v4 offset:2088
	v_cndmask_b32_e64 v6, v30, v28, s[26:27]
	v_cmp_eq_u32_e32 vcc, 0, v6
	v_cndmask_b32_e64 v5, v31, v29, s[26:27]
	s_waitcnt lgkmcnt(0)
	v_cndmask_b32_e32 v7, 0, v3, vcc
	v_add_u16_e32 v5, v7, v5
	v_cmp_eq_u32_e32 vcc, 0, v0
	v_cndmask_b32_e32 v3, v5, v3, vcc
	v_cndmask_b32_e64 v5, v6, 0, vcc
	v_cmp_eq_u32_e32 vcc, 0, v82
	v_add_u32_e32 v50, v2, v5
	v_cndmask_b32_e32 v2, 0, v3, vcc
	v_add_u16_e32 v49, v2, v79
	v_cndmask_b32_e64 v2, 0, v49, s[24:25]
	v_add_u16_e32 v47, v2, v78
	v_cndmask_b32_e64 v2, 0, v47, s[22:23]
	;; [unrolled: 2-line block ×6, first 2 shown]
	v_add_u16_e32 v37, v2, v68
	v_add_u32_e32 v48, v50, v82
	v_cndmask_b32_e64 v2, 0, v37, s[12:13]
	v_add_u32_e32 v46, v48, v65
	v_add_u16_e32 v35, v2, v67
	v_add_u32_e32 v44, v46, v64
	v_cndmask_b32_e64 v2, 0, v35, s[10:11]
	v_add_u32_e32 v42, v44, v63
	;; [unrolled: 4-line block ×3, first 2 shown]
	v_add_u16_e32 v31, v2, v75
	v_add_u32_e32 v36, v38, v60
	v_cndmask_b32_e64 v2, 0, v31, s[28:29]
	s_barrier
	ds_read_b128 v[4:7], v4 offset:2048
	v_add_u32_e32 v34, v36, v59
	v_add_u16_e32 v29, v2, v73
	v_add_u32_e32 v32, v34, v58
	v_cndmask_b32_e64 v2, 0, v29, s[4:5]
	v_add_u32_e32 v30, v32, v57
	v_add_u16_e32 v27, v2, v71
	v_add_u32_e32 v28, v30, v56
	v_cndmask_b32_e64 v2, 0, v27, s[2:3]
	v_add_u32_e32 v26, v28, v55
	v_add_u16_e32 v9, v2, v69
	s_waitcnt lgkmcnt(0)
	v_cmp_eq_u32_e32 vcc, 0, v4
	v_and_b32_e32 v51, 0xffff, v3
	v_add_u32_e32 v8, v26, v54
	v_cndmask_b32_e64 v3, 0, v9, s[0:1]
	v_cndmask_b32_e32 v7, 0, v7, vcc
	v_add_u32_e32 v2, v8, v53
	v_add_u16_e32 v3, v3, v66
	v_add_u32_e32 v81, v7, v5
	s_branch .LBB951_113
.LBB951_101:
                                        ; implicit-def: $vgpr4
                                        ; implicit-def: $vgpr81
                                        ; implicit-def: $vgpr50_vgpr51
                                        ; implicit-def: $vgpr48_vgpr49
                                        ; implicit-def: $vgpr46_vgpr47
                                        ; implicit-def: $vgpr44_vgpr45
                                        ; implicit-def: $vgpr42_vgpr43
                                        ; implicit-def: $vgpr40_vgpr41
                                        ; implicit-def: $vgpr38_vgpr39
                                        ; implicit-def: $vgpr36_vgpr37
                                        ; implicit-def: $vgpr34_vgpr35
                                        ; implicit-def: $vgpr32_vgpr33
                                        ; implicit-def: $vgpr30_vgpr31
                                        ; implicit-def: $vgpr28_vgpr29
                                        ; implicit-def: $vgpr26_vgpr27
                                        ; implicit-def: $vgpr8_vgpr9
                                        ; implicit-def: $vgpr2_vgpr3
	s_cbranch_execz .LBB951_113
; %bb.102:
	s_and_b64 s[0:1], s[30:31], exec
	s_cselect_b32 s1, 0, s51
	s_cselect_b32 s0, 0, s50
	s_cmp_eq_u64 s[0:1], 0
	v_mov_b32_e32 v5, v79
	s_cbranch_scc1 .LBB951_104
; %bb.103:
	v_mov_b32_e32 v2, 0
	global_load_ushort v5, v2, s[0:1]
.LBB951_104:
	v_cmp_eq_u32_e64 s[0:1], 0, v65
	v_cndmask_b32_e64 v2, 0, v79, s[0:1]
	v_add_u16_e32 v2, v2, v78
	v_cmp_eq_u32_e64 s[2:3], 0, v64
	v_cndmask_b32_e64 v2, 0, v2, s[2:3]
	v_add_u16_e32 v2, v2, v76
	;; [unrolled: 3-line block ×11, first 2 shown]
	v_cmp_eq_u32_e64 s[22:23], 0, v54
	v_cndmask_b32_e64 v2, 0, v2, s[22:23]
	v_add3_u32 v3, v86, v61, v60
	v_add_u16_e32 v2, v2, v69
	v_cmp_eq_u32_e32 vcc, 0, v53
	v_add3_u32 v3, v3, v59, v58
	v_cndmask_b32_e32 v2, 0, v2, vcc
	v_add3_u32 v3, v3, v57, v56
	v_add_u16_e32 v2, v2, v66
	v_cmp_eq_u32_e64 s[24:25], 0, v52
	v_add3_u32 v3, v3, v55, v54
	v_cndmask_b32_e64 v2, 0, v2, s[24:25]
	v_add3_u32 v3, v3, v53, v52
	v_add_u16_e32 v4, v2, v80
	v_mbcnt_hi_u32_b32 v2, -1, v85
	v_and_b32_e32 v6, 15, v2
	v_mov_b32_dpp v8, v4 row_shr:1 row_mask:0xf bank_mask:0xf
	v_cmp_eq_u32_e64 s[24:25], 0, v3
	v_mov_b32_dpp v7, v3 row_shr:1 row_mask:0xf bank_mask:0xf
	v_cndmask_b32_e64 v8, 0, v8, s[24:25]
	v_cmp_eq_u32_e64 s[24:25], 0, v6
	v_add_u16_e32 v8, v8, v4
	v_cndmask_b32_e64 v7, v7, 0, s[24:25]
	v_add_u32_e32 v3, v7, v3
	v_cndmask_b32_e64 v4, v8, v4, s[24:25]
	v_cmp_eq_u32_e64 s[24:25], 0, v3
	v_mov_b32_dpp v7, v3 row_shr:2 row_mask:0xf bank_mask:0xf
	v_mov_b32_dpp v8, v4 row_shr:2 row_mask:0xf bank_mask:0xf
	v_cndmask_b32_e64 v8, 0, v8, s[24:25]
	v_cmp_lt_u32_e64 s[24:25], 1, v6
	v_add_u16_e32 v8, v8, v4
	v_cndmask_b32_e64 v7, 0, v7, s[24:25]
	v_cndmask_b32_e64 v4, v4, v8, s[24:25]
	v_add_u32_e32 v3, v3, v7
	v_cmp_eq_u32_e64 s[24:25], 0, v3
	v_mov_b32_dpp v8, v4 row_shr:4 row_mask:0xf bank_mask:0xf
	v_mov_b32_dpp v7, v3 row_shr:4 row_mask:0xf bank_mask:0xf
	v_cndmask_b32_e64 v8, 0, v8, s[24:25]
	v_cmp_lt_u32_e64 s[24:25], 3, v6
	v_add_u16_e32 v8, v8, v4
	v_cndmask_b32_e64 v7, 0, v7, s[24:25]
	v_cndmask_b32_e64 v4, v4, v8, s[24:25]
	v_add_u32_e32 v3, v7, v3
	v_cmp_eq_u32_e64 s[24:25], 0, v3
	v_mov_b32_dpp v8, v4 row_shr:8 row_mask:0xf bank_mask:0xf
	v_mov_b32_dpp v7, v3 row_shr:8 row_mask:0xf bank_mask:0xf
	v_cndmask_b32_e64 v8, 0, v8, s[24:25]
	v_cmp_lt_u32_e64 s[24:25], 7, v6
	v_add_u16_e32 v8, v8, v4
	v_cndmask_b32_e64 v6, 0, v7, s[24:25]
	v_cndmask_b32_e64 v4, v4, v8, s[24:25]
	v_add_u32_e32 v3, v6, v3
	v_bfe_i32 v8, v2, 4, 1
	v_mov_b32_dpp v7, v4 row_bcast:15 row_mask:0xf bank_mask:0xf
	v_mov_b32_dpp v6, v3 row_bcast:15 row_mask:0xf bank_mask:0xf
	v_cmp_eq_u32_e64 s[24:25], 0, v3
	v_and_b32_e32 v9, 16, v2
	v_cndmask_b32_e64 v7, 0, v7, s[24:25]
	v_and_b32_e32 v6, v8, v6
	v_add_u16_e32 v7, v7, v4
	v_add_u32_e32 v3, v6, v3
	v_cmp_eq_u32_e64 s[24:25], 0, v9
	v_cndmask_b32_e64 v4, v7, v4, s[24:25]
	v_mov_b32_dpp v6, v3 row_bcast:31 row_mask:0xf bank_mask:0xf
	v_cmp_eq_u32_e64 s[24:25], 0, v3
	v_cmp_lt_u32_e64 s[26:27], 31, v2
	v_mov_b32_dpp v7, v4 row_bcast:31 row_mask:0xf bank_mask:0xf
	v_cndmask_b32_e64 v6, 0, v6, s[26:27]
	s_and_b64 s[24:25], s[26:27], s[24:25]
	v_add_u32_e32 v3, v6, v3
	v_cndmask_b32_e64 v6, 0, v7, s[24:25]
	v_add_u16_e32 v4, v6, v4
	v_cmp_eq_u32_e64 s[24:25], v84, v0
	v_lshlrev_b32_e32 v7, 3, v83
	s_and_saveexec_b64 s[26:27], s[24:25]
	s_cbranch_execz .LBB951_106
; %bb.105:
	ds_write_b32 v7, v3 offset:2064
	ds_write_b16 v7, v4 offset:2068
.LBB951_106:
	s_or_b64 exec, exec, s[26:27]
	v_cmp_gt_u32_e64 s[24:25], 4, v0
	s_waitcnt lgkmcnt(0)
	s_barrier
	s_and_saveexec_b64 s[28:29], s[24:25]
	s_cbranch_execz .LBB951_108
; %bb.107:
	v_lshlrev_b32_e32 v6, 3, v0
	ds_read_b64 v[8:9], v6 offset:2064
	v_and_b32_e32 v24, 3, v2
	s_mov_b32 s26, 0xffff0000
	s_waitcnt lgkmcnt(0)
	v_mov_b32_dpp v26, v9 row_shr:1 row_mask:0xf bank_mask:0xf
	v_cmp_eq_u32_e64 s[24:25], 0, v8
	v_mov_b32_dpp v25, v8 row_shr:1 row_mask:0xf bank_mask:0xf
	v_cndmask_b32_e64 v26, 0, v26, s[24:25]
	v_cmp_eq_u32_e64 s[24:25], 0, v24
	v_add_u16_e32 v26, v26, v9
	v_cndmask_b32_e64 v25, v25, 0, s[24:25]
	v_and_or_b32 v27, v9, s26, v26
	v_add_u32_e32 v8, v25, v8
	v_cndmask_b32_e64 v25, v26, v9, s[24:25]
	v_cndmask_b32_e64 v9, v27, v9, s[24:25]
	v_mov_b32_dpp v26, v8 row_shr:2 row_mask:0xf bank_mask:0xf
	v_cmp_eq_u32_e64 s[24:25], 0, v8
	v_cmp_lt_u32_e64 s[26:27], 1, v24
	v_mov_b32_dpp v9, v9 row_shr:2 row_mask:0xf bank_mask:0xf
	v_cndmask_b32_e64 v24, 0, v26, s[26:27]
	s_and_b64 s[24:25], s[26:27], s[24:25]
	v_add_u32_e32 v8, v24, v8
	v_cndmask_b32_e64 v9, 0, v9, s[24:25]
	v_add_u16_e32 v9, v25, v9
	ds_write_b32 v6, v8 offset:2064
	ds_write_b16 v6, v9 offset:2068
.LBB951_108:
	s_or_b64 exec, exec, s[28:29]
	v_cmp_lt_u32_e64 s[24:25], 63, v0
	v_mov_b32_e32 v6, 0
	v_mov_b32_e32 v8, 0
	s_waitcnt vmcnt(0)
	v_mov_b32_e32 v9, v5
	s_waitcnt lgkmcnt(0)
	s_barrier
	s_and_saveexec_b64 s[26:27], s[24:25]
	s_cbranch_execz .LBB951_110
; %bb.109:
	ds_read_b32 v8, v7 offset:2056
	ds_read_u16 v7, v7 offset:2060
	s_waitcnt lgkmcnt(1)
	v_cmp_eq_u32_e64 s[24:25], 0, v8
	v_cndmask_b32_e64 v9, 0, v5, s[24:25]
	s_waitcnt lgkmcnt(0)
	v_add_u16_e32 v9, v9, v7
.LBB951_110:
	s_or_b64 exec, exec, s[26:27]
	v_cmp_eq_u32_e64 s[24:25], 0, v3
	v_add_u32_e32 v7, v8, v3
	v_cndmask_b32_e64 v3, 0, v9, s[24:25]
	v_add_u16_e32 v3, v3, v4
	v_add_u32_e32 v4, -1, v2
	v_and_b32_e32 v24, 64, v2
	v_cmp_lt_i32_e64 s[24:25], v4, v24
	v_cndmask_b32_e64 v4, v4, v2, s[24:25]
	v_lshlrev_b32_e32 v4, 2, v4
	ds_bpermute_b32 v7, v4, v7
	ds_bpermute_b32 v3, v4, v3
	v_cmp_eq_u32_e64 s[24:25], 0, v2
	v_cmp_eq_u32_e64 s[26:27], 0, v82
	ds_read_b32 v4, v6 offset:2088
	s_waitcnt lgkmcnt(2)
	v_cndmask_b32_e64 v2, v7, v8, s[24:25]
	s_waitcnt lgkmcnt(1)
	v_cndmask_b32_e64 v3, v3, v9, s[24:25]
	v_cmp_eq_u32_e64 s[24:25], 0, v0
	v_cndmask_b32_e64 v3, v3, v5, s[24:25]
	v_cndmask_b32_e64 v50, v2, 0, s[24:25]
	;; [unrolled: 1-line block ×3, first 2 shown]
	v_add_u16_e32 v49, v2, v79
	v_cndmask_b32_e64 v2, 0, v49, s[0:1]
	v_add_u16_e32 v47, v2, v78
	v_cndmask_b32_e64 v2, 0, v47, s[2:3]
	;; [unrolled: 2-line block ×7, first 2 shown]
	v_add_u32_e32 v48, v50, v82
	v_add_u16_e32 v35, v2, v67
	v_add_u32_e32 v46, v48, v65
	v_cndmask_b32_e64 v2, 0, v35, s[14:15]
	v_add_u32_e32 v44, v46, v64
	v_add_u16_e32 v33, v2, v77
	v_add_u32_e32 v42, v44, v63
	v_cndmask_b32_e64 v2, 0, v33, s[16:17]
	;; [unrolled: 4-line block ×4, first 2 shown]
	v_add_u32_e32 v32, v34, v58
	v_add_u16_e32 v27, v2, v71
	ds_read_u16 v6, v6 offset:2092
	v_add_u32_e32 v30, v32, v57
	v_cndmask_b32_e64 v2, 0, v27, s[22:23]
	v_add_u32_e32 v28, v30, v56
	v_add_u16_e32 v9, v2, v69
	v_and_b32_e32 v51, 0xffff, v3
	v_add_u32_e32 v26, v28, v55
	v_cndmask_b32_e32 v3, 0, v9, vcc
	s_waitcnt lgkmcnt(1)
	v_cmp_eq_u32_e32 vcc, 0, v4
	v_add_u32_e32 v8, v26, v54
	v_cndmask_b32_e32 v5, 0, v5, vcc
	v_add_u32_e32 v2, v8, v53
	v_add_u16_e32 v3, v3, v66
	s_waitcnt lgkmcnt(0)
	v_add_u16_e32 v81, v5, v6
	s_and_saveexec_b64 s[0:1], s[24:25]
	s_cbranch_execz .LBB951_112
; %bb.111:
	s_add_u32 s2, s36, 0x400
	s_addc_u32 s3, s37, 0
	v_and_b32_e32 v5, 0xff00, v81
	v_mov_b32_e32 v7, 0
	v_or_b32_sdwa v5, v5, v81 dst_sel:DWORD dst_unused:UNUSED_PAD src0_sel:DWORD src1_sel:BYTE_0
	v_mov_b32_e32 v6, 2
	v_pk_mov_b32 v[24:25], s[2:3], s[2:3] op_sel:[0,1]
	;;#ASMSTART
	global_store_dwordx4 v[24:25], v[4:7] off	
s_waitcnt vmcnt(0)
	;;#ASMEND
.LBB951_112:
	s_or_b64 exec, exec, s[0:1]
	v_mov_b32_e32 v6, 0
.LBB951_113:
	s_and_b64 s[0:1], s[30:31], exec
	s_cselect_b32 s1, 0, s47
	s_cselect_b32 s0, 0, s46
	s_cmp_eq_u64 s[0:1], 0
	v_pk_mov_b32 v[24:25], 0, 0
	s_barrier
	s_cbranch_scc1 .LBB951_115
; %bb.114:
	v_mov_b32_e32 v5, 0
	global_load_dwordx2 v[24:25], v5, s[0:1]
.LBB951_115:
	s_movk_i32 s36, 0x100
	v_cmp_gt_u32_e32 vcc, s36, v4
	s_cbranch_vccnz .LBB951_164
; %bb.116:
	v_cmp_eq_u32_e64 s[26:27], 0, v65
	v_cndmask_b32_e64 v77, 1, 2, s[26:27]
	v_cmp_eq_u32_e64 s[26:27], 0, v82
	v_cmp_eq_u32_e64 s[24:25], 0, v64
	v_cndmask_b32_e64 v78, 1, 2, s[26:27]
	v_cmp_eq_u32_e64 s[22:23], 0, v63
	v_cndmask_b32_e64 v76, 1, 2, s[24:25]
	v_and_b32_e32 v77, v77, v78
	v_cmp_eq_u32_e64 s[20:21], 0, v62
	v_cndmask_b32_e64 v75, 1, 2, s[22:23]
	v_and_b32_e32 v76, v77, v76
	;; [unrolled: 3-line block ×11, first 2 shown]
	v_cmp_eq_u32_e32 vcc, 0, v52
	v_cndmask_b32_e64 v7, 1, 2, s[0:1]
	v_and_b32_e32 v66, v67, v66
	v_cndmask_b32_e64 v5, 1, 2, vcc
	v_and_b32_e32 v7, v66, v7
	v_and_b32_e32 v5, v7, v5
	v_cmp_ne_u32_e64 s[18:19], 0, v82
	v_cmp_ne_u32_e32 vcc, 0, v53
	v_cmp_ne_u32_e64 s[0:1], 0, v54
	v_cmp_ne_u32_e64 s[2:3], 0, v55
	;; [unrolled: 1-line block ×12, first 2 shown]
	v_cmp_gt_i16_e64 s[26:27], 2, v5
	s_and_saveexec_b64 s[28:29], s[26:27]
	s_cbranch_execz .LBB951_163
; %bb.117:
	v_cmp_ne_u16_e64 s[26:27], 1, v5
	s_mov_b64 s[30:31], 0
	s_and_saveexec_b64 s[38:39], s[26:27]
	s_xor_b64 s[26:27], exec, s[38:39]
	s_cbranch_execz .LBB951_141
; %bb.118:
	s_and_saveexec_b64 s[30:31], s[18:19]
	s_cbranch_execz .LBB951_146
; %bb.119:
	v_sub_u32_e32 v5, v50, v6
	v_lshlrev_b32_e32 v5, 2, v5
	ds_write_b32 v5, v22
	s_or_b64 exec, exec, s[30:31]
	s_and_saveexec_b64 s[18:19], s[24:25]
	s_cbranch_execnz .LBB951_147
.LBB951_120:
	s_or_b64 exec, exec, s[18:19]
	s_and_saveexec_b64 s[18:19], s[22:23]
	s_cbranch_execz .LBB951_148
.LBB951_121:
	v_sub_u32_e32 v5, v46, v6
	v_lshlrev_b32_e32 v5, 2, v5
	ds_write_b32 v5, v20
	s_or_b64 exec, exec, s[18:19]
	s_and_saveexec_b64 s[18:19], s[20:21]
	s_cbranch_execnz .LBB951_149
.LBB951_122:
	s_or_b64 exec, exec, s[18:19]
	s_and_saveexec_b64 s[18:19], s[16:17]
	s_cbranch_execz .LBB951_150
.LBB951_123:
	v_sub_u32_e32 v5, v42, v6
	v_lshlrev_b32_e32 v5, 2, v5
	ds_write_b32 v5, v18
	s_or_b64 exec, exec, s[18:19]
	s_and_saveexec_b64 s[16:17], s[14:15]
	s_cbranch_execnz .LBB951_151
.LBB951_124:
	s_or_b64 exec, exec, s[16:17]
	s_and_saveexec_b64 s[14:15], s[12:13]
	s_cbranch_execz .LBB951_152
.LBB951_125:
	v_sub_u32_e32 v5, v38, v6
	v_lshlrev_b32_e32 v5, 2, v5
	ds_write_b32 v5, v16
	s_or_b64 exec, exec, s[14:15]
	s_and_saveexec_b64 s[12:13], s[10:11]
	s_cbranch_execnz .LBB951_153
.LBB951_126:
	s_or_b64 exec, exec, s[12:13]
	s_and_saveexec_b64 s[10:11], s[8:9]
	s_cbranch_execz .LBB951_154
.LBB951_127:
	v_sub_u32_e32 v5, v34, v6
	v_lshlrev_b32_e32 v5, 2, v5
	ds_write_b32 v5, v14
	s_or_b64 exec, exec, s[10:11]
	s_and_saveexec_b64 s[8:9], s[6:7]
	s_cbranch_execnz .LBB951_155
.LBB951_128:
	s_or_b64 exec, exec, s[8:9]
	s_and_saveexec_b64 s[6:7], s[4:5]
	s_cbranch_execz .LBB951_156
.LBB951_129:
	v_sub_u32_e32 v5, v30, v6
	v_lshlrev_b32_e32 v5, 2, v5
	ds_write_b32 v5, v12
	s_or_b64 exec, exec, s[6:7]
	s_and_saveexec_b64 s[4:5], s[2:3]
	s_cbranch_execnz .LBB951_157
.LBB951_130:
	s_or_b64 exec, exec, s[4:5]
	s_and_saveexec_b64 s[2:3], s[0:1]
	s_cbranch_execz .LBB951_158
.LBB951_131:
	v_sub_u32_e32 v5, v26, v6
	v_lshlrev_b32_e32 v5, 2, v5
	ds_write_b32 v5, v10
	s_or_b64 exec, exec, s[2:3]
	v_cmp_ne_u32_e64 s[0:1], 0, v52
	s_and_saveexec_b64 s[2:3], vcc
	s_cbranch_execnz .LBB951_159
	s_branch .LBB951_160
.LBB951_132:
                                        ; implicit-def: $sgpr0_sgpr1
                                        ; implicit-def: $vgpr52
                                        ; implicit-def: $vgpr53
                                        ; implicit-def: $vgpr54
                                        ; implicit-def: $vgpr55
                                        ; implicit-def: $vgpr56
                                        ; implicit-def: $vgpr57
                                        ; implicit-def: $vgpr58
                                        ; implicit-def: $vgpr59
                                        ; implicit-def: $vgpr60
                                        ; implicit-def: $vgpr61
                                        ; implicit-def: $vgpr62
                                        ; implicit-def: $vgpr63
                                        ; implicit-def: $vgpr64
                                        ; implicit-def: $vgpr65
	s_cbranch_execz .LBB951_70
; %bb.133:
	v_cmp_ne_u32_e32 vcc, v23, v50
	v_cndmask_b32_e64 v65, 0, 1, vcc
	v_cmp_ne_u32_e32 vcc, v23, v51
	v_cndmask_b32_e64 v64, 0, 1, vcc
	;; [unrolled: 2-line block ×14, first 2 shown]
	v_cmp_ne_u32_e32 vcc, 0, v0
	ds_write_b32 v81, v1
	s_waitcnt lgkmcnt(0)
	s_barrier
	s_waitcnt lgkmcnt(0)
                                        ; implicit-def: $sgpr0_sgpr1
	s_and_saveexec_b64 s[4:5], vcc
	s_xor_b64 s[4:5], exec, s[4:5]
	s_cbranch_execz .LBB951_135
; %bb.134:
	v_add_u32_e32 v3, -4, v81
	ds_read_b32 v3, v3
	s_or_b64 s[56:57], s[56:57], exec
	s_waitcnt lgkmcnt(0)
	v_cmp_ne_u32_e32 vcc, v3, v22
	s_and_b64 s[0:1], vcc, exec
.LBB951_135:
	s_or_b64 exec, exec, s[4:5]
	s_mov_b32 s8, 1
	s_branch .LBB951_72
.LBB951_136:
	s_mul_hi_u32 s1, s52, 0xfffff100
	s_mul_i32 s0, s53, 0xfffff100
	s_sub_i32 s1, s1, s52
	s_add_i32 s1, s1, s0
	s_mul_i32 s0, s52, 0xfffff100
	s_add_u32 s44, s0, s44
	s_addc_u32 s45, s1, s45
	s_and_b64 vcc, exec, s[2:3]
	v_cmp_ne_u32_e64 s[28:29], v11, v1
	v_cmp_ne_u32_e64 s[26:27], v10, v11
	;; [unrolled: 1-line block ×15, first 2 shown]
	s_cbranch_vccz .LBB951_143
; %bb.137:
	v_mov_b32_e32 v3, s58
	v_add_co_u32_e64 v44, vcc, -4, s7
	v_addc_co_u32_e32 v45, vcc, -1, v3, vcc
	flat_load_dword v46, v[44:45]
	v_mov_b32_e32 v3, 0
	v_cmp_gt_u64_e32 vcc, s[44:45], v[2:3]
	v_mov_b32_e32 v43, v3
	s_and_b64 s[28:29], vcc, s[28:29]
	v_cmp_gt_u64_e32 vcc, s[44:45], v[42:43]
	v_mov_b32_e32 v41, v3
	s_and_b64 s[26:27], vcc, s[26:27]
	;; [unrolled: 3-line block ×13, first 2 shown]
	v_cmp_gt_u64_e32 vcc, s[44:45], v[4:5]
	v_mul_u32_u24_e32 v44, 15, v0
	s_and_b64 s[2:3], vcc, s[2:3]
	ds_write_b32 v81, v1
	s_waitcnt lgkmcnt(0)
	s_barrier
	s_and_saveexec_b64 s[52:53], s[0:1]
	s_cbranch_execz .LBB951_139
; %bb.138:
	v_add_u32_e32 v5, -4, v81
	s_waitcnt vmcnt(0)
	ds_read_b32 v46, v5
.LBB951_139:
	s_or_b64 exec, exec, s[52:53]
	v_mov_b32_e32 v45, v3
	v_cmp_gt_u64_e32 vcc, s[44:45], v[44:45]
	s_waitcnt vmcnt(0) lgkmcnt(0)
	v_cmp_ne_u32_e64 s[0:1], v46, v22
	v_cndmask_b32_e64 v52, 0, 1, s[28:29]
	v_cndmask_b32_e64 v53, 0, 1, s[26:27]
	;; [unrolled: 1-line block ×14, first 2 shown]
	s_and_b64 s[0:1], vcc, s[0:1]
	s_mov_b64 s[56:57], -1
.LBB951_140:
                                        ; implicit-def: $sgpr8
	v_mov_b32_e32 v82, s8
	s_and_saveexec_b64 s[2:3], s[56:57]
	s_cbranch_execnz .LBB951_73
	s_branch .LBB951_74
.LBB951_141:
	s_andn2_saveexec_b64 s[0:1], s[26:27]
	s_cbranch_execz .LBB951_161
.LBB951_142:
	v_sub_u32_e32 v5, v50, v6
	v_lshlrev_b32_e32 v5, 2, v5
	ds_write_b32 v5, v22
	v_sub_u32_e32 v5, v48, v6
	v_lshlrev_b32_e32 v5, 2, v5
	ds_write_b32 v5, v23
	;; [unrolled: 3-line block ×13, first 2 shown]
	v_sub_u32_e32 v5, v8, v6
	v_lshlrev_b32_e32 v5, 2, v5
	s_or_b64 s[30:31], s[30:31], exec
	ds_write_b32 v5, v11
	s_or_b64 exec, exec, s[0:1]
	s_and_b64 exec, exec, s[30:31]
	s_cbranch_execnz .LBB951_162
	s_branch .LBB951_163
.LBB951_143:
                                        ; implicit-def: $sgpr0_sgpr1
                                        ; implicit-def: $vgpr52
                                        ; implicit-def: $vgpr53
                                        ; implicit-def: $vgpr54
                                        ; implicit-def: $vgpr55
                                        ; implicit-def: $vgpr56
                                        ; implicit-def: $vgpr57
                                        ; implicit-def: $vgpr58
                                        ; implicit-def: $vgpr59
                                        ; implicit-def: $vgpr60
                                        ; implicit-def: $vgpr61
                                        ; implicit-def: $vgpr62
                                        ; implicit-def: $vgpr63
                                        ; implicit-def: $vgpr64
                                        ; implicit-def: $vgpr65
	s_cbranch_execz .LBB951_140
; %bb.144:
	v_mov_b32_e32 v3, 0
	v_cmp_gt_u64_e32 vcc, s[44:45], v[2:3]
	v_cmp_ne_u32_e64 s[0:1], v11, v1
	s_and_b64 s[0:1], vcc, s[0:1]
	v_mov_b32_e32 v43, v3
	v_cndmask_b32_e64 v52, 0, 1, s[0:1]
	v_cmp_gt_u64_e32 vcc, s[44:45], v[42:43]
	v_cmp_ne_u32_e64 s[0:1], v10, v11
	s_and_b64 s[0:1], vcc, s[0:1]
	v_mov_b32_e32 v41, v3
	v_cndmask_b32_e64 v53, 0, 1, s[0:1]
	;; [unrolled: 5-line block ×13, first 2 shown]
	v_cmp_gt_u64_e32 vcc, s[44:45], v[4:5]
	v_cmp_ne_u32_e64 s[0:1], v22, v23
	s_and_b64 s[0:1], vcc, s[0:1]
	s_mov_b32 s8, 1
	v_cndmask_b32_e64 v65, 0, 1, s[0:1]
	v_cmp_ne_u32_e32 vcc, 0, v0
	ds_write_b32 v81, v1
	s_waitcnt lgkmcnt(0)
	s_barrier
	s_waitcnt lgkmcnt(0)
                                        ; implicit-def: $sgpr0_sgpr1
	s_and_saveexec_b64 s[2:3], vcc
	s_cbranch_execz .LBB951_183
; %bb.145:
	v_add_u32_e32 v2, -4, v81
	ds_read_b32 v4, v2
	v_mul_u32_u24_e32 v2, 15, v0
	v_cmp_gt_u64_e32 vcc, s[44:45], v[2:3]
	s_or_b64 s[56:57], s[56:57], exec
	s_waitcnt lgkmcnt(0)
	v_cmp_ne_u32_e64 s[0:1], v4, v22
	s_and_b64 s[0:1], vcc, s[0:1]
	s_and_b64 s[0:1], s[0:1], exec
	s_or_b64 exec, exec, s[2:3]
	v_mov_b32_e32 v82, s8
	s_and_saveexec_b64 s[2:3], s[56:57]
	s_cbranch_execz .LBB951_74
	s_branch .LBB951_73
.LBB951_146:
	s_or_b64 exec, exec, s[30:31]
	s_and_saveexec_b64 s[18:19], s[24:25]
	s_cbranch_execz .LBB951_120
.LBB951_147:
	v_sub_u32_e32 v5, v48, v6
	v_lshlrev_b32_e32 v5, 2, v5
	ds_write_b32 v5, v23
	s_or_b64 exec, exec, s[18:19]
	s_and_saveexec_b64 s[18:19], s[22:23]
	s_cbranch_execnz .LBB951_121
.LBB951_148:
	s_or_b64 exec, exec, s[18:19]
	s_and_saveexec_b64 s[18:19], s[20:21]
	s_cbranch_execz .LBB951_122
.LBB951_149:
	v_sub_u32_e32 v5, v44, v6
	v_lshlrev_b32_e32 v5, 2, v5
	ds_write_b32 v5, v21
	s_or_b64 exec, exec, s[18:19]
	s_and_saveexec_b64 s[18:19], s[16:17]
	s_cbranch_execnz .LBB951_123
.LBB951_150:
	s_or_b64 exec, exec, s[18:19]
	s_and_saveexec_b64 s[16:17], s[14:15]
	s_cbranch_execz .LBB951_124
.LBB951_151:
	v_sub_u32_e32 v5, v40, v6
	v_lshlrev_b32_e32 v5, 2, v5
	ds_write_b32 v5, v19
	s_or_b64 exec, exec, s[16:17]
	s_and_saveexec_b64 s[14:15], s[12:13]
	s_cbranch_execnz .LBB951_125
.LBB951_152:
	s_or_b64 exec, exec, s[14:15]
	s_and_saveexec_b64 s[12:13], s[10:11]
	s_cbranch_execz .LBB951_126
.LBB951_153:
	v_sub_u32_e32 v5, v36, v6
	v_lshlrev_b32_e32 v5, 2, v5
	ds_write_b32 v5, v17
	s_or_b64 exec, exec, s[12:13]
	s_and_saveexec_b64 s[10:11], s[8:9]
	s_cbranch_execnz .LBB951_127
.LBB951_154:
	s_or_b64 exec, exec, s[10:11]
	s_and_saveexec_b64 s[8:9], s[6:7]
	s_cbranch_execz .LBB951_128
.LBB951_155:
	v_sub_u32_e32 v5, v32, v6
	v_lshlrev_b32_e32 v5, 2, v5
	ds_write_b32 v5, v15
	s_or_b64 exec, exec, s[8:9]
	s_and_saveexec_b64 s[6:7], s[4:5]
	s_cbranch_execnz .LBB951_129
.LBB951_156:
	s_or_b64 exec, exec, s[6:7]
	s_and_saveexec_b64 s[4:5], s[2:3]
	s_cbranch_execz .LBB951_130
.LBB951_157:
	v_sub_u32_e32 v5, v28, v6
	v_lshlrev_b32_e32 v5, 2, v5
	ds_write_b32 v5, v13
	s_or_b64 exec, exec, s[4:5]
	s_and_saveexec_b64 s[2:3], s[0:1]
	s_cbranch_execnz .LBB951_131
.LBB951_158:
	s_or_b64 exec, exec, s[2:3]
	v_cmp_ne_u32_e64 s[0:1], 0, v52
	s_and_saveexec_b64 s[2:3], vcc
	s_cbranch_execz .LBB951_160
.LBB951_159:
	v_sub_u32_e32 v5, v8, v6
	v_lshlrev_b32_e32 v5, 2, v5
	ds_write_b32 v5, v11
.LBB951_160:
	s_or_b64 exec, exec, s[2:3]
	s_and_b64 s[30:31], s[0:1], exec
                                        ; implicit-def: $vgpr10
                                        ; implicit-def: $vgpr12
                                        ; implicit-def: $vgpr14
                                        ; implicit-def: $vgpr16
                                        ; implicit-def: $vgpr18
                                        ; implicit-def: $vgpr20
                                        ; implicit-def: $vgpr22
	s_andn2_saveexec_b64 s[0:1], s[26:27]
	s_cbranch_execnz .LBB951_142
.LBB951_161:
	s_or_b64 exec, exec, s[0:1]
	s_and_b64 exec, exec, s[30:31]
	s_cbranch_execz .LBB951_163
.LBB951_162:
	v_sub_u32_e32 v5, v2, v6
	v_lshlrev_b32_e32 v5, 2, v5
	ds_write_b32 v5, v1
.LBB951_163:
	s_or_b64 exec, exec, s[28:29]
	s_waitcnt lgkmcnt(0)
	s_barrier
.LBB951_164:
	s_cmpk_lg_i32 s33, 0xf00
	s_cselect_b64 s[0:1], -1, 0
	s_and_b64 s[0:1], s[48:49], s[0:1]
	v_cmp_eq_u32_e32 vcc, 0, v0
	v_cndmask_b32_e64 v10, 0, 1, s[0:1]
	s_and_b64 s[0:1], vcc, s[34:35]
	v_cndmask_b32_e64 v11, v82, 0, s[0:1]
	s_mul_hi_u32 s0, s33, 0x88888889
	s_lshr_b32 s0, s0, 3
	v_mad_i32_i24 v12, v0, -15, s33
	v_cmp_eq_u32_e32 vcc, s0, v0
	v_cmp_ne_u32_e64 s[0:1], 0, v12
	v_cndmask_b32_e64 v13, 1, v11, s[0:1]
	v_cmp_ne_u32_e64 s[0:1], 1, v12
	v_cndmask_b32_e64 v14, 1, v65, s[0:1]
	;; [unrolled: 2-line block ×15, first 2 shown]
	s_and_b64 vcc, s[48:49], vcc
	v_cndmask_b32_e32 v52, v52, v12, vcc
	v_cndmask_b32_e32 v20, v59, v20, vcc
	;; [unrolled: 1-line block ×3, first 2 shown]
	s_waitcnt vmcnt(0)
	v_lshlrev_b64 v[12:13], 1, v[24:25]
	v_mov_b32_e32 v7, 0
	v_cndmask_b32_e32 v53, v53, v68, vcc
	v_cndmask_b32_e32 v54, v54, v67, vcc
	;; [unrolled: 1-line block ×12, first 2 shown]
	v_mov_b32_e32 v11, s41
	v_add_co_u32_e32 v14, vcc, s40, v12
	v_addc_co_u32_e32 v11, vcc, v11, v13, vcc
	v_lshlrev_b64 v[12:13], 1, v[6:7]
	v_cndmask_b32_e64 v1, 0, 1, s[34:35]
	v_add_co_u32_e32 v7, vcc, v14, v12
	v_addc_co_u32_e32 v14, vcc, v11, v13, vcc
	v_lshlrev_b32_e32 v11, 1, v1
	v_add_co_u32_e32 v11, vcc, v11, v7
	v_addc_co_u32_e32 v12, vcc, 0, v14, vcc
	v_add_co_u32_e32 v15, vcc, -2, v11
	v_addc_co_u32_e32 v16, vcc, -1, v12, vcc
	v_cmp_eq_u32_e32 vcc, 0, v59
	v_cndmask_b32_e64 v12, 1, 2, vcc
	v_cmp_eq_u32_e32 vcc, 0, v58
	v_cndmask_b32_e64 v13, 1, 2, vcc
	v_cmp_eq_u32_e32 vcc, 0, v57
	v_and_b32_e32 v12, v13, v12
	v_cndmask_b32_e64 v13, 1, 2, vcc
	v_cmp_eq_u32_e32 vcc, 0, v56
	v_and_b32_e32 v12, v12, v13
	;; [unrolled: 3-line block ×11, first 2 shown]
	v_cndmask_b32_e64 v13, 1, 2, vcc
	v_cmp_eq_u32_e32 vcc, 0, v53
	v_sub_u32_e32 v5, v4, v1
	v_and_b32_e32 v12, v12, v13
	v_cndmask_b32_e64 v13, 1, 2, vcc
	v_cmp_eq_u32_e32 vcc, 0, v52
	v_add_u32_e32 v5, v5, v10
	v_and_b32_e32 v12, v12, v13
	v_cndmask_b32_e64 v13, 1, 2, vcc
	v_and_b32_e32 v12, v12, v13
	v_cmp_gt_u32_e32 vcc, s36, v5
	v_add_u32_e32 v11, v6, v1
	v_cmp_ne_u32_e64 s[28:29], 0, v59
	v_cmp_ne_u32_e64 s[26:27], 0, v58
	;; [unrolled: 1-line block ×15, first 2 shown]
	s_mov_b64 s[34:35], -1
	v_cmp_gt_i16_e64 s[30:31], 2, v12
	s_barrier
	s_cbranch_vccz .LBB951_202
; %bb.165:
	s_and_saveexec_b64 s[34:35], s[30:31]
	s_cbranch_execz .LBB951_201
; %bb.166:
	v_cmp_ne_u16_e32 vcc, 1, v12
	s_mov_b64 s[36:37], 0
	s_and_saveexec_b64 s[30:31], vcc
	s_xor_b64 s[30:31], exec, s[30:31]
	s_cbranch_execz .LBB951_181
; %bb.167:
	s_and_saveexec_b64 s[36:37], s[28:29]
	s_cbranch_execz .LBB951_184
; %bb.168:
	v_sub_u32_e32 v18, v50, v11
	v_mov_b32_e32 v19, 0
	v_lshlrev_b64 v[18:19], 1, v[18:19]
	v_add_co_u32_e32 v18, vcc, v15, v18
	v_addc_co_u32_e32 v19, vcc, v16, v19, vcc
	global_store_short v[18:19], v51, off
	s_or_b64 exec, exec, s[36:37]
	s_and_saveexec_b64 s[36:37], s[26:27]
	s_cbranch_execnz .LBB951_185
.LBB951_169:
	s_or_b64 exec, exec, s[36:37]
	s_and_saveexec_b64 s[36:37], s[24:25]
	s_cbranch_execz .LBB951_186
.LBB951_170:
	v_sub_u32_e32 v18, v46, v11
	v_mov_b32_e32 v19, 0
	v_lshlrev_b64 v[18:19], 1, v[18:19]
	v_add_co_u32_e32 v18, vcc, v15, v18
	v_addc_co_u32_e32 v19, vcc, v16, v19, vcc
	global_store_short v[18:19], v47, off
	s_or_b64 exec, exec, s[36:37]
	s_and_saveexec_b64 s[36:37], s[22:23]
	s_cbranch_execnz .LBB951_187
.LBB951_171:
	s_or_b64 exec, exec, s[36:37]
	s_and_saveexec_b64 s[36:37], s[20:21]
	s_cbranch_execz .LBB951_188
.LBB951_172:
	v_sub_u32_e32 v18, v42, v11
	v_mov_b32_e32 v19, 0
	v_lshlrev_b64 v[18:19], 1, v[18:19]
	v_add_co_u32_e32 v18, vcc, v15, v18
	v_addc_co_u32_e32 v19, vcc, v16, v19, vcc
	global_store_short v[18:19], v43, off
	s_or_b64 exec, exec, s[36:37]
	s_and_saveexec_b64 s[36:37], s[18:19]
	s_cbranch_execnz .LBB951_189
.LBB951_173:
	s_or_b64 exec, exec, s[36:37]
	s_and_saveexec_b64 s[36:37], s[16:17]
	s_cbranch_execz .LBB951_190
.LBB951_174:
	v_sub_u32_e32 v18, v38, v11
	v_mov_b32_e32 v19, 0
	v_lshlrev_b64 v[18:19], 1, v[18:19]
	v_add_co_u32_e32 v18, vcc, v15, v18
	v_addc_co_u32_e32 v19, vcc, v16, v19, vcc
	global_store_short v[18:19], v39, off
	s_or_b64 exec, exec, s[36:37]
	s_and_saveexec_b64 s[36:37], s[14:15]
	s_cbranch_execnz .LBB951_191
.LBB951_175:
	s_or_b64 exec, exec, s[36:37]
	s_and_saveexec_b64 s[36:37], s[12:13]
	s_cbranch_execz .LBB951_192
.LBB951_176:
	v_sub_u32_e32 v18, v34, v11
	v_mov_b32_e32 v19, 0
	v_lshlrev_b64 v[18:19], 1, v[18:19]
	v_add_co_u32_e32 v18, vcc, v15, v18
	v_addc_co_u32_e32 v19, vcc, v16, v19, vcc
	global_store_short v[18:19], v35, off
	s_or_b64 exec, exec, s[36:37]
	s_and_saveexec_b64 s[36:37], s[10:11]
	s_cbranch_execnz .LBB951_193
.LBB951_177:
	s_or_b64 exec, exec, s[36:37]
	s_and_saveexec_b64 s[36:37], s[8:9]
	s_cbranch_execz .LBB951_194
.LBB951_178:
	v_sub_u32_e32 v18, v30, v11
	v_mov_b32_e32 v19, 0
	v_lshlrev_b64 v[18:19], 1, v[18:19]
	v_add_co_u32_e32 v18, vcc, v15, v18
	v_addc_co_u32_e32 v19, vcc, v16, v19, vcc
	global_store_short v[18:19], v31, off
	s_or_b64 exec, exec, s[36:37]
	s_and_saveexec_b64 s[36:37], s[6:7]
	s_cbranch_execnz .LBB951_195
.LBB951_179:
	s_or_b64 exec, exec, s[36:37]
	s_and_saveexec_b64 s[36:37], s[4:5]
	s_cbranch_execz .LBB951_196
.LBB951_180:
	v_sub_u32_e32 v18, v26, v11
	v_mov_b32_e32 v19, 0
	v_lshlrev_b64 v[18:19], 1, v[18:19]
	v_add_co_u32_e32 v18, vcc, v15, v18
	v_addc_co_u32_e32 v19, vcc, v16, v19, vcc
	global_store_short v[18:19], v27, off
	s_or_b64 exec, exec, s[36:37]
	s_and_saveexec_b64 s[36:37], s[2:3]
	s_cbranch_execnz .LBB951_197
	s_branch .LBB951_198
.LBB951_181:
	s_andn2_saveexec_b64 s[30:31], s[30:31]
	s_cbranch_execz .LBB951_199
.LBB951_182:
	v_sub_u32_e32 v18, v50, v11
	v_mov_b32_e32 v19, 0
	v_lshlrev_b64 v[20:21], 1, v[18:19]
	v_add_co_u32_e32 v20, vcc, v15, v20
	v_addc_co_u32_e32 v21, vcc, v16, v21, vcc
	v_sub_u32_e32 v18, v48, v11
	global_store_short v[20:21], v51, off
	v_lshlrev_b64 v[20:21], 1, v[18:19]
	v_add_co_u32_e32 v20, vcc, v15, v20
	v_addc_co_u32_e32 v21, vcc, v16, v21, vcc
	v_sub_u32_e32 v18, v46, v11
	global_store_short v[20:21], v49, off
	v_lshlrev_b64 v[20:21], 1, v[18:19]
	v_add_co_u32_e32 v20, vcc, v15, v20
	v_addc_co_u32_e32 v21, vcc, v16, v21, vcc
	v_sub_u32_e32 v18, v44, v11
	global_store_short v[20:21], v47, off
	v_lshlrev_b64 v[20:21], 1, v[18:19]
	v_add_co_u32_e32 v20, vcc, v15, v20
	v_addc_co_u32_e32 v21, vcc, v16, v21, vcc
	v_sub_u32_e32 v18, v42, v11
	global_store_short v[20:21], v45, off
	v_lshlrev_b64 v[20:21], 1, v[18:19]
	v_add_co_u32_e32 v20, vcc, v15, v20
	v_addc_co_u32_e32 v21, vcc, v16, v21, vcc
	v_sub_u32_e32 v18, v40, v11
	global_store_short v[20:21], v43, off
	v_lshlrev_b64 v[20:21], 1, v[18:19]
	v_add_co_u32_e32 v20, vcc, v15, v20
	v_addc_co_u32_e32 v21, vcc, v16, v21, vcc
	v_sub_u32_e32 v18, v38, v11
	global_store_short v[20:21], v41, off
	v_lshlrev_b64 v[20:21], 1, v[18:19]
	v_add_co_u32_e32 v20, vcc, v15, v20
	v_addc_co_u32_e32 v21, vcc, v16, v21, vcc
	v_sub_u32_e32 v18, v36, v11
	global_store_short v[20:21], v39, off
	v_lshlrev_b64 v[20:21], 1, v[18:19]
	v_add_co_u32_e32 v20, vcc, v15, v20
	v_addc_co_u32_e32 v21, vcc, v16, v21, vcc
	v_sub_u32_e32 v18, v34, v11
	global_store_short v[20:21], v37, off
	v_lshlrev_b64 v[20:21], 1, v[18:19]
	v_add_co_u32_e32 v20, vcc, v15, v20
	v_addc_co_u32_e32 v21, vcc, v16, v21, vcc
	v_sub_u32_e32 v18, v32, v11
	global_store_short v[20:21], v35, off
	v_lshlrev_b64 v[20:21], 1, v[18:19]
	v_add_co_u32_e32 v20, vcc, v15, v20
	v_addc_co_u32_e32 v21, vcc, v16, v21, vcc
	v_sub_u32_e32 v18, v30, v11
	global_store_short v[20:21], v33, off
	v_lshlrev_b64 v[20:21], 1, v[18:19]
	v_add_co_u32_e32 v20, vcc, v15, v20
	v_addc_co_u32_e32 v21, vcc, v16, v21, vcc
	v_sub_u32_e32 v18, v28, v11
	global_store_short v[20:21], v31, off
	v_lshlrev_b64 v[20:21], 1, v[18:19]
	v_add_co_u32_e32 v20, vcc, v15, v20
	v_addc_co_u32_e32 v21, vcc, v16, v21, vcc
	v_sub_u32_e32 v18, v26, v11
	global_store_short v[20:21], v29, off
	v_lshlrev_b64 v[20:21], 1, v[18:19]
	v_add_co_u32_e32 v20, vcc, v15, v20
	v_sub_u32_e32 v18, v8, v11
	v_addc_co_u32_e32 v21, vcc, v16, v21, vcc
	v_lshlrev_b64 v[18:19], 1, v[18:19]
	v_add_co_u32_e32 v18, vcc, v15, v18
	v_addc_co_u32_e32 v19, vcc, v16, v19, vcc
	s_or_b64 s[36:37], s[36:37], exec
	global_store_short v[20:21], v27, off
	global_store_short v[18:19], v9, off
	s_or_b64 exec, exec, s[30:31]
	s_and_b64 exec, exec, s[36:37]
	s_cbranch_execnz .LBB951_200
	s_branch .LBB951_201
.LBB951_183:
	s_or_b64 exec, exec, s[2:3]
	v_mov_b32_e32 v82, s8
	s_and_saveexec_b64 s[2:3], s[56:57]
	s_cbranch_execnz .LBB951_73
	s_branch .LBB951_74
.LBB951_184:
	s_or_b64 exec, exec, s[36:37]
	s_and_saveexec_b64 s[36:37], s[26:27]
	s_cbranch_execz .LBB951_169
.LBB951_185:
	v_sub_u32_e32 v18, v48, v11
	v_mov_b32_e32 v19, 0
	v_lshlrev_b64 v[18:19], 1, v[18:19]
	v_add_co_u32_e32 v18, vcc, v15, v18
	v_addc_co_u32_e32 v19, vcc, v16, v19, vcc
	global_store_short v[18:19], v49, off
	s_or_b64 exec, exec, s[36:37]
	s_and_saveexec_b64 s[36:37], s[24:25]
	s_cbranch_execnz .LBB951_170
.LBB951_186:
	s_or_b64 exec, exec, s[36:37]
	s_and_saveexec_b64 s[36:37], s[22:23]
	s_cbranch_execz .LBB951_171
.LBB951_187:
	v_sub_u32_e32 v18, v44, v11
	v_mov_b32_e32 v19, 0
	v_lshlrev_b64 v[18:19], 1, v[18:19]
	v_add_co_u32_e32 v18, vcc, v15, v18
	v_addc_co_u32_e32 v19, vcc, v16, v19, vcc
	global_store_short v[18:19], v45, off
	s_or_b64 exec, exec, s[36:37]
	s_and_saveexec_b64 s[36:37], s[20:21]
	s_cbranch_execnz .LBB951_172
.LBB951_188:
	s_or_b64 exec, exec, s[36:37]
	s_and_saveexec_b64 s[36:37], s[18:19]
	s_cbranch_execz .LBB951_173
.LBB951_189:
	v_sub_u32_e32 v18, v40, v11
	v_mov_b32_e32 v19, 0
	v_lshlrev_b64 v[18:19], 1, v[18:19]
	v_add_co_u32_e32 v18, vcc, v15, v18
	v_addc_co_u32_e32 v19, vcc, v16, v19, vcc
	global_store_short v[18:19], v41, off
	s_or_b64 exec, exec, s[36:37]
	s_and_saveexec_b64 s[36:37], s[16:17]
	s_cbranch_execnz .LBB951_174
.LBB951_190:
	s_or_b64 exec, exec, s[36:37]
	s_and_saveexec_b64 s[36:37], s[14:15]
	s_cbranch_execz .LBB951_175
.LBB951_191:
	v_sub_u32_e32 v18, v36, v11
	v_mov_b32_e32 v19, 0
	v_lshlrev_b64 v[18:19], 1, v[18:19]
	v_add_co_u32_e32 v18, vcc, v15, v18
	v_addc_co_u32_e32 v19, vcc, v16, v19, vcc
	global_store_short v[18:19], v37, off
	s_or_b64 exec, exec, s[36:37]
	s_and_saveexec_b64 s[36:37], s[12:13]
	s_cbranch_execnz .LBB951_176
.LBB951_192:
	s_or_b64 exec, exec, s[36:37]
	s_and_saveexec_b64 s[36:37], s[10:11]
	s_cbranch_execz .LBB951_177
.LBB951_193:
	v_sub_u32_e32 v18, v32, v11
	v_mov_b32_e32 v19, 0
	v_lshlrev_b64 v[18:19], 1, v[18:19]
	v_add_co_u32_e32 v18, vcc, v15, v18
	v_addc_co_u32_e32 v19, vcc, v16, v19, vcc
	global_store_short v[18:19], v33, off
	s_or_b64 exec, exec, s[36:37]
	s_and_saveexec_b64 s[36:37], s[8:9]
	s_cbranch_execnz .LBB951_178
.LBB951_194:
	s_or_b64 exec, exec, s[36:37]
	s_and_saveexec_b64 s[36:37], s[6:7]
	s_cbranch_execz .LBB951_179
.LBB951_195:
	v_sub_u32_e32 v18, v28, v11
	v_mov_b32_e32 v19, 0
	v_lshlrev_b64 v[18:19], 1, v[18:19]
	v_add_co_u32_e32 v18, vcc, v15, v18
	v_addc_co_u32_e32 v19, vcc, v16, v19, vcc
	global_store_short v[18:19], v29, off
	s_or_b64 exec, exec, s[36:37]
	s_and_saveexec_b64 s[36:37], s[4:5]
	s_cbranch_execnz .LBB951_180
.LBB951_196:
	s_or_b64 exec, exec, s[36:37]
	s_and_saveexec_b64 s[36:37], s[2:3]
	s_cbranch_execz .LBB951_198
.LBB951_197:
	v_sub_u32_e32 v18, v8, v11
	v_mov_b32_e32 v19, 0
	v_lshlrev_b64 v[18:19], 1, v[18:19]
	v_add_co_u32_e32 v18, vcc, v15, v18
	v_addc_co_u32_e32 v19, vcc, v16, v19, vcc
	global_store_short v[18:19], v9, off
.LBB951_198:
	s_or_b64 exec, exec, s[36:37]
	s_and_b64 s[36:37], s[0:1], exec
	s_andn2_saveexec_b64 s[30:31], s[30:31]
	s_cbranch_execnz .LBB951_182
.LBB951_199:
	s_or_b64 exec, exec, s[30:31]
	s_and_b64 exec, exec, s[36:37]
	s_cbranch_execz .LBB951_201
.LBB951_200:
	v_sub_u32_e32 v18, v2, v11
	v_mov_b32_e32 v19, 0
	v_lshlrev_b64 v[18:19], 1, v[18:19]
	v_add_co_u32_e32 v18, vcc, v15, v18
	v_addc_co_u32_e32 v19, vcc, v16, v19, vcc
	global_store_short v[18:19], v3, off
.LBB951_201:
	s_or_b64 exec, exec, s[34:35]
	s_mov_b64 s[34:35], 0
.LBB951_202:
	s_and_b64 vcc, exec, s[34:35]
	s_cbranch_vccz .LBB951_254
; %bb.203:
	v_cmp_gt_i16_e32 vcc, 2, v12
	s_and_saveexec_b64 s[30:31], vcc
	s_cbranch_execz .LBB951_238
; %bb.204:
	v_cmp_ne_u16_e32 vcc, 1, v12
	s_mov_b64 s[36:37], 0
	s_and_saveexec_b64 s[34:35], vcc
	s_xor_b64 s[34:35], exec, s[34:35]
	s_cbranch_execz .LBB951_219
; %bb.205:
	s_and_saveexec_b64 s[36:37], s[28:29]
	s_cbranch_execz .LBB951_221
; %bb.206:
	v_sub_u32_e32 v12, v50, v11
	v_lshlrev_b32_e32 v12, 1, v12
	ds_write_b16 v12, v51
	s_or_b64 exec, exec, s[36:37]
	s_and_saveexec_b64 s[28:29], s[26:27]
	s_cbranch_execnz .LBB951_222
.LBB951_207:
	s_or_b64 exec, exec, s[28:29]
	s_and_saveexec_b64 s[26:27], s[24:25]
	s_cbranch_execz .LBB951_223
.LBB951_208:
	v_sub_u32_e32 v12, v46, v11
	v_lshlrev_b32_e32 v12, 1, v12
	ds_write_b16 v12, v47
	s_or_b64 exec, exec, s[26:27]
	s_and_saveexec_b64 s[24:25], s[22:23]
	s_cbranch_execnz .LBB951_224
.LBB951_209:
	s_or_b64 exec, exec, s[24:25]
	s_and_saveexec_b64 s[22:23], s[20:21]
	s_cbranch_execz .LBB951_225
.LBB951_210:
	v_sub_u32_e32 v12, v42, v11
	v_lshlrev_b32_e32 v12, 1, v12
	ds_write_b16 v12, v43
	s_or_b64 exec, exec, s[22:23]
	s_and_saveexec_b64 s[20:21], s[18:19]
	s_cbranch_execnz .LBB951_226
.LBB951_211:
	s_or_b64 exec, exec, s[20:21]
	s_and_saveexec_b64 s[18:19], s[16:17]
	s_cbranch_execz .LBB951_227
.LBB951_212:
	v_sub_u32_e32 v12, v38, v11
	v_lshlrev_b32_e32 v12, 1, v12
	ds_write_b16 v12, v39
	s_or_b64 exec, exec, s[18:19]
	s_and_saveexec_b64 s[16:17], s[14:15]
	s_cbranch_execnz .LBB951_228
.LBB951_213:
	s_or_b64 exec, exec, s[16:17]
	s_and_saveexec_b64 s[14:15], s[12:13]
	s_cbranch_execz .LBB951_229
.LBB951_214:
	v_sub_u32_e32 v12, v34, v11
	v_lshlrev_b32_e32 v12, 1, v12
	ds_write_b16 v12, v35
	s_or_b64 exec, exec, s[14:15]
	s_and_saveexec_b64 s[12:13], s[10:11]
	s_cbranch_execnz .LBB951_230
.LBB951_215:
	s_or_b64 exec, exec, s[12:13]
	s_and_saveexec_b64 s[10:11], s[8:9]
	s_cbranch_execz .LBB951_231
.LBB951_216:
	v_sub_u32_e32 v12, v30, v11
	v_lshlrev_b32_e32 v12, 1, v12
	ds_write_b16 v12, v31
	s_or_b64 exec, exec, s[10:11]
	s_and_saveexec_b64 s[8:9], s[6:7]
	s_cbranch_execnz .LBB951_232
.LBB951_217:
	s_or_b64 exec, exec, s[8:9]
	s_and_saveexec_b64 s[6:7], s[4:5]
	s_cbranch_execz .LBB951_233
.LBB951_218:
	v_sub_u32_e32 v12, v26, v11
	v_lshlrev_b32_e32 v12, 1, v12
	ds_write_b16 v12, v27
	s_or_b64 exec, exec, s[6:7]
	s_and_saveexec_b64 s[4:5], s[2:3]
	s_cbranch_execnz .LBB951_234
	s_branch .LBB951_235
.LBB951_219:
	s_andn2_saveexec_b64 s[0:1], s[34:35]
	s_cbranch_execz .LBB951_236
.LBB951_220:
	v_sub_u32_e32 v12, v50, v11
	v_lshlrev_b32_e32 v12, 1, v12
	ds_write_b16 v12, v51
	v_sub_u32_e32 v12, v48, v11
	v_lshlrev_b32_e32 v12, 1, v12
	ds_write_b16 v12, v49
	;; [unrolled: 3-line block ×12, first 2 shown]
	v_sub_u32_e32 v12, v26, v11
	v_sub_u32_e32 v8, v8, v11
	v_lshlrev_b32_e32 v12, 1, v12
	v_lshlrev_b32_e32 v8, 1, v8
	s_or_b64 s[36:37], s[36:37], exec
	ds_write_b16 v12, v27
	ds_write_b16 v8, v9
	s_or_b64 exec, exec, s[0:1]
	s_and_b64 exec, exec, s[36:37]
	s_cbranch_execnz .LBB951_237
	s_branch .LBB951_238
.LBB951_221:
	s_or_b64 exec, exec, s[36:37]
	s_and_saveexec_b64 s[28:29], s[26:27]
	s_cbranch_execz .LBB951_207
.LBB951_222:
	v_sub_u32_e32 v12, v48, v11
	v_lshlrev_b32_e32 v12, 1, v12
	ds_write_b16 v12, v49
	s_or_b64 exec, exec, s[28:29]
	s_and_saveexec_b64 s[26:27], s[24:25]
	s_cbranch_execnz .LBB951_208
.LBB951_223:
	s_or_b64 exec, exec, s[26:27]
	s_and_saveexec_b64 s[24:25], s[22:23]
	s_cbranch_execz .LBB951_209
.LBB951_224:
	v_sub_u32_e32 v12, v44, v11
	v_lshlrev_b32_e32 v12, 1, v12
	ds_write_b16 v12, v45
	s_or_b64 exec, exec, s[24:25]
	s_and_saveexec_b64 s[22:23], s[20:21]
	s_cbranch_execnz .LBB951_210
.LBB951_225:
	s_or_b64 exec, exec, s[22:23]
	s_and_saveexec_b64 s[20:21], s[18:19]
	s_cbranch_execz .LBB951_211
.LBB951_226:
	v_sub_u32_e32 v12, v40, v11
	v_lshlrev_b32_e32 v12, 1, v12
	ds_write_b16 v12, v41
	s_or_b64 exec, exec, s[20:21]
	s_and_saveexec_b64 s[18:19], s[16:17]
	s_cbranch_execnz .LBB951_212
.LBB951_227:
	s_or_b64 exec, exec, s[18:19]
	s_and_saveexec_b64 s[16:17], s[14:15]
	s_cbranch_execz .LBB951_213
.LBB951_228:
	v_sub_u32_e32 v12, v36, v11
	v_lshlrev_b32_e32 v12, 1, v12
	ds_write_b16 v12, v37
	s_or_b64 exec, exec, s[16:17]
	s_and_saveexec_b64 s[14:15], s[12:13]
	s_cbranch_execnz .LBB951_214
.LBB951_229:
	s_or_b64 exec, exec, s[14:15]
	s_and_saveexec_b64 s[12:13], s[10:11]
	s_cbranch_execz .LBB951_215
.LBB951_230:
	v_sub_u32_e32 v12, v32, v11
	v_lshlrev_b32_e32 v12, 1, v12
	ds_write_b16 v12, v33
	s_or_b64 exec, exec, s[12:13]
	s_and_saveexec_b64 s[10:11], s[8:9]
	s_cbranch_execnz .LBB951_216
.LBB951_231:
	s_or_b64 exec, exec, s[10:11]
	s_and_saveexec_b64 s[8:9], s[6:7]
	s_cbranch_execz .LBB951_217
.LBB951_232:
	v_sub_u32_e32 v12, v28, v11
	v_lshlrev_b32_e32 v12, 1, v12
	ds_write_b16 v12, v29
	s_or_b64 exec, exec, s[8:9]
	s_and_saveexec_b64 s[6:7], s[4:5]
	s_cbranch_execnz .LBB951_218
.LBB951_233:
	s_or_b64 exec, exec, s[6:7]
	s_and_saveexec_b64 s[4:5], s[2:3]
	s_cbranch_execz .LBB951_235
.LBB951_234:
	v_sub_u32_e32 v8, v8, v11
	v_lshlrev_b32_e32 v8, 1, v8
	ds_write_b16 v8, v9
.LBB951_235:
	s_or_b64 exec, exec, s[4:5]
	s_and_b64 s[36:37], s[0:1], exec
                                        ; implicit-def: $vgpr50_vgpr51
                                        ; implicit-def: $vgpr48_vgpr49
                                        ; implicit-def: $vgpr46_vgpr47
                                        ; implicit-def: $vgpr44_vgpr45
                                        ; implicit-def: $vgpr42_vgpr43
                                        ; implicit-def: $vgpr40_vgpr41
                                        ; implicit-def: $vgpr38_vgpr39
                                        ; implicit-def: $vgpr36_vgpr37
                                        ; implicit-def: $vgpr34_vgpr35
                                        ; implicit-def: $vgpr32_vgpr33
                                        ; implicit-def: $vgpr30_vgpr31
                                        ; implicit-def: $vgpr28_vgpr29
                                        ; implicit-def: $vgpr26_vgpr27
                                        ; implicit-def: $vgpr8_vgpr9
	s_andn2_saveexec_b64 s[0:1], s[34:35]
	s_cbranch_execnz .LBB951_220
.LBB951_236:
	s_or_b64 exec, exec, s[0:1]
	s_and_b64 exec, exec, s[36:37]
	s_cbranch_execz .LBB951_238
.LBB951_237:
	v_sub_u32_e32 v2, v2, v11
	v_lshlrev_b32_e32 v2, 1, v2
	ds_write_b16 v2, v3
.LBB951_238:
	s_or_b64 exec, exec, s[30:31]
	v_cmp_lt_u32_e32 vcc, v0, v5
	s_waitcnt lgkmcnt(0)
	s_barrier
	s_and_saveexec_b64 s[2:3], vcc
	s_cbranch_execz .LBB951_253
; %bb.239:
	v_add_u32_e32 v8, v4, v10
	v_xad_u32 v2, v0, -1, v8
	v_sub_u32_e32 v3, v2, v1
	s_movk_i32 s0, 0x1b00
	v_cmp_gt_u32_e64 s[4:5], s0, v3
	s_movk_i32 s0, 0x1aff
	v_cmp_lt_u32_e32 vcc, s0, v3
	v_mov_b32_e32 v2, v0
	s_and_saveexec_b64 s[6:7], vcc
	s_cbranch_execz .LBB951_250
; %bb.240:
	v_sub_u32_e32 v2, v0, v8
	v_add_u32_e32 v1, v2, v1
	v_or_b32_e32 v1, 0xff, v1
	v_cmp_ge_u32_e32 vcc, v1, v0
	s_mov_b64 s[0:1], -1
	v_mov_b32_e32 v2, v0
	s_and_saveexec_b64 s[8:9], vcc
	s_cbranch_execz .LBB951_249
; %bb.241:
	v_lshrrev_b32_e32 v17, 8, v3
	v_add_u32_e32 v8, -3, v17
	v_or_b32_e32 v3, 0x300, v0
	v_or_b32_e32 v2, 0x200, v0
	v_lshrrev_b32_e32 v9, 2, v8
	v_or_b32_e32 v1, 0x100, v0
	v_add_u32_e32 v19, 1, v9
	v_cmp_lt_u32_e32 vcc, 11, v8
	v_pk_mov_b32 v[10:11], v[2:3], v[2:3] op_sel:[0,1]
	v_mov_b32_e32 v22, 0
	v_lshlrev_b32_e32 v18, 1, v0
	v_pk_mov_b32 v[8:9], v[0:1], v[0:1] op_sel:[0,1]
	s_and_saveexec_b64 s[10:11], vcc
	s_cbranch_execz .LBB951_245
; %bb.242:
	v_pk_mov_b32 v[10:11], v[2:3], v[2:3] op_sel:[0,1]
	v_and_b32_e32 v20, 0x7ffffffc, v19
	s_mov_b32 s14, 0
	s_mov_b64 s[12:13], 0
	v_mov_b32_e32 v13, 0
	v_mov_b32_e32 v21, v18
	v_pk_mov_b32 v[8:9], v[0:1], v[0:1] op_sel:[0,1]
.LBB951_243:                            ; =>This Inner Loop Header: Depth=1
	v_mov_b32_e32 v12, v8
	v_lshlrev_b64 v[40:41], 1, v[12:13]
	v_add_u32_e32 v26, 0x400, v9
	v_mov_b32_e32 v27, v13
	v_add_co_u32_e64 v40, s[0:1], v15, v40
	v_lshlrev_b64 v[26:27], 1, v[26:27]
	v_addc_co_u32_e64 v41, s[0:1], v16, v41, s[0:1]
	v_add_u32_e32 v22, 0x400, v10
	v_mov_b32_e32 v23, v13
	v_add_co_u32_e64 v26, s[0:1], v15, v26
	v_lshlrev_b64 v[42:43], 1, v[22:23]
	v_addc_co_u32_e64 v27, s[0:1], v16, v27, s[0:1]
	v_add_u32_e32 v2, 0x400, v11
	v_mov_b32_e32 v3, v13
	v_add_co_u32_e64 v42, s[0:1], v15, v42
	v_add_u32_e32 v20, -4, v20
	v_mov_b32_e32 v12, v9
	v_lshlrev_b64 v[2:3], 1, v[2:3]
	v_addc_co_u32_e64 v43, s[0:1], v16, v43, s[0:1]
	v_add_u32_e32 v32, 0x800, v9
	v_mov_b32_e32 v33, v13
	s_add_i32 s14, s14, 16
	v_cmp_eq_u32_e32 vcc, 0, v20
	v_lshlrev_b64 v[44:45], 1, v[12:13]
	v_add_co_u32_e64 v2, s[0:1], v15, v2
	v_lshlrev_b64 v[32:33], 1, v[32:33]
	v_mov_b32_e32 v12, v10
	v_addc_co_u32_e64 v3, s[0:1], v16, v3, s[0:1]
	s_or_b64 s[12:13], vcc, s[12:13]
	v_add_co_u32_e32 v44, vcc, v15, v44
	v_add_u32_e32 v30, 0x800, v10
	v_mov_b32_e32 v31, v13
	v_add_co_u32_e64 v32, s[0:1], v15, v32
	v_addc_co_u32_e32 v45, vcc, v16, v45, vcc
	v_lshlrev_b64 v[46:47], 1, v[12:13]
	v_lshlrev_b64 v[30:31], 1, v[30:31]
	v_addc_co_u32_e64 v33, s[0:1], v16, v33, s[0:1]
	v_mov_b32_e32 v12, v11
	v_add_co_u32_e32 v46, vcc, v15, v46
	ds_read_u16 v1, v21
	ds_read_u16 v50, v21 offset:512
	ds_read_u16 v51, v21 offset:1024
	;; [unrolled: 1-line block ×7, first 2 shown]
	v_add_u32_e32 v28, 0x800, v11
	v_mov_b32_e32 v29, v13
	v_add_co_u32_e64 v30, s[0:1], v15, v30
	v_addc_co_u32_e32 v47, vcc, v16, v47, vcc
	v_lshlrev_b64 v[48:49], 1, v[12:13]
	v_lshlrev_b64 v[28:29], 1, v[28:29]
	v_addc_co_u32_e64 v31, s[0:1], v16, v31, s[0:1]
	v_add_u32_e32 v12, 0x400, v8
	v_add_co_u32_e32 v48, vcc, v15, v48
	v_add_u32_e32 v38, 0xc00, v9
	v_mov_b32_e32 v39, v13
	ds_read_u16 v57, v21 offset:4096
	ds_read_u16 v58, v21 offset:4608
	;; [unrolled: 1-line block ×8, first 2 shown]
	v_add_co_u32_e64 v28, s[0:1], v15, v28
	v_addc_co_u32_e32 v49, vcc, v16, v49, vcc
	s_waitcnt lgkmcnt(14)
	global_store_short v[40:41], v1, off
	global_store_short v[44:45], v50, off
	s_waitcnt lgkmcnt(13)
	global_store_short v[46:47], v51, off
	v_lshlrev_b64 v[40:41], 1, v[12:13]
	v_lshlrev_b64 v[38:39], 1, v[38:39]
	v_addc_co_u32_e64 v29, s[0:1], v16, v29, s[0:1]
	v_add_u32_e32 v12, 0x800, v8
	v_add_co_u32_e32 v40, vcc, v15, v40
	v_add_u32_e32 v36, 0xc00, v10
	v_mov_b32_e32 v37, v13
	v_add_co_u32_e64 v38, s[0:1], v15, v38
	v_addc_co_u32_e32 v41, vcc, v16, v41, vcc
	v_lshlrev_b64 v[44:45], 1, v[12:13]
	v_lshlrev_b64 v[36:37], 1, v[36:37]
	v_addc_co_u32_e64 v39, s[0:1], v16, v39, s[0:1]
	s_waitcnt lgkmcnt(12)
	global_store_short v[48:49], v52, off
	v_add_u32_e32 v12, 0xc00, v8
	s_waitcnt lgkmcnt(11)
	global_store_short v[40:41], v53, off
	s_waitcnt lgkmcnt(10)
	global_store_short v[26:27], v54, off
	;; [unrolled: 2-line block ×4, first 2 shown]
	v_add_co_u32_e32 v2, vcc, v15, v44
	v_add_u32_e32 v34, 0xc00, v11
	v_mov_b32_e32 v35, v13
	v_add_co_u32_e64 v36, s[0:1], v15, v36
	v_addc_co_u32_e32 v3, vcc, v16, v45, vcc
	v_lshlrev_b64 v[26:27], 1, v[12:13]
	v_lshlrev_b64 v[34:35], 1, v[34:35]
	v_addc_co_u32_e64 v37, s[0:1], v16, v37, s[0:1]
	s_waitcnt lgkmcnt(7)
	global_store_short v[2:3], v57, off
	s_waitcnt lgkmcnt(6)
	global_store_short v[32:33], v58, off
	;; [unrolled: 2-line block ×4, first 2 shown]
	v_add_co_u32_e32 v2, vcc, v15, v26
	v_add_u32_e32 v21, 0x2000, v21
	v_add_u32_e32 v9, 0x1000, v9
	v_mov_b32_e32 v22, s14
	v_add_co_u32_e64 v34, s[0:1], v15, v34
	v_add_u32_e32 v10, 0x1000, v10
	v_add_u32_e32 v11, 0x1000, v11
	;; [unrolled: 1-line block ×3, first 2 shown]
	v_addc_co_u32_e32 v3, vcc, v16, v27, vcc
	v_addc_co_u32_e64 v35, s[0:1], v16, v35, s[0:1]
	s_waitcnt lgkmcnt(3)
	global_store_short v[2:3], v61, off
	s_waitcnt lgkmcnt(2)
	global_store_short v[38:39], v62, off
	;; [unrolled: 2-line block ×4, first 2 shown]
	s_andn2_b64 exec, exec, s[12:13]
	s_cbranch_execnz .LBB951_243
; %bb.244:
	s_or_b64 exec, exec, s[12:13]
.LBB951_245:
	s_or_b64 exec, exec, s[10:11]
	v_and_b32_e32 v1, 3, v19
	v_cmp_ne_u32_e32 vcc, 0, v1
	s_and_saveexec_b64 s[10:11], vcc
	s_cbranch_execz .LBB951_248
; %bb.246:
	v_lshl_or_b32 v12, v22, 9, v18
	s_mov_b64 s[12:13], 0
	v_mov_b32_e32 v3, 0
.LBB951_247:                            ; =>This Inner Loop Header: Depth=1
	v_mov_b32_e32 v2, v8
	v_add_u32_e32 v1, -1, v1
	v_lshlrev_b64 v[18:19], 1, v[2:3]
	v_mov_b32_e32 v2, v9
	v_cmp_eq_u32_e32 vcc, 0, v1
	v_lshlrev_b64 v[20:21], 1, v[2:3]
	ds_read_u16 v13, v12
	ds_read_u16 v28, v12 offset:512
	ds_read_u16 v29, v12 offset:1024
	;; [unrolled: 1-line block ×3, first 2 shown]
	v_mov_b32_e32 v2, v10
	s_or_b64 s[12:13], vcc, s[12:13]
	v_add_co_u32_e32 v20, vcc, v15, v20
	v_addc_co_u32_e32 v21, vcc, v16, v21, vcc
	v_lshlrev_b64 v[22:23], 1, v[2:3]
	v_mov_b32_e32 v2, v11
	v_add_co_u32_e32 v22, vcc, v15, v22
	v_add_co_u32_e64 v18, s[0:1], v15, v18
	v_addc_co_u32_e32 v23, vcc, v16, v23, vcc
	v_lshlrev_b64 v[26:27], 1, v[2:3]
	v_add_u32_e32 v8, 0x400, v8
	v_add_u32_e32 v12, 0x800, v12
	;; [unrolled: 1-line block ×3, first 2 shown]
	v_addc_co_u32_e64 v19, s[0:1], v16, v19, s[0:1]
	v_add_u32_e32 v10, 0x400, v10
	v_add_u32_e32 v11, 0x400, v11
	v_add_co_u32_e32 v26, vcc, v15, v26
	v_addc_co_u32_e32 v27, vcc, v16, v27, vcc
	s_waitcnt lgkmcnt(3)
	global_store_short v[18:19], v13, off
	s_waitcnt lgkmcnt(2)
	global_store_short v[20:21], v28, off
	s_waitcnt lgkmcnt(1)
	global_store_short v[22:23], v29, off
	s_waitcnt lgkmcnt(0)
	global_store_short v[26:27], v30, off
	s_andn2_b64 exec, exec, s[12:13]
	s_cbranch_execnz .LBB951_247
.LBB951_248:
	s_or_b64 exec, exec, s[10:11]
	v_add_u32_e32 v1, 1, v17
	v_and_b32_e32 v3, 0x1fffffc, v1
	v_cmp_ne_u32_e32 vcc, v1, v3
	v_lshl_or_b32 v2, v3, 8, v0
	s_orn2_b64 s[0:1], vcc, exec
.LBB951_249:
	s_or_b64 exec, exec, s[8:9]
	s_andn2_b64 s[4:5], s[4:5], exec
	s_and_b64 s[0:1], s[0:1], exec
	s_or_b64 s[4:5], s[4:5], s[0:1]
.LBB951_250:
	s_or_b64 exec, exec, s[6:7]
	s_and_b64 exec, exec, s[4:5]
	s_cbranch_execz .LBB951_253
; %bb.251:
	v_lshlrev_b32_e32 v1, 1, v2
	s_mov_b64 s[0:1], 0
	v_mov_b32_e32 v3, 0
.LBB951_252:                            ; =>This Inner Loop Header: Depth=1
	v_lshlrev_b64 v[8:9], 1, v[2:3]
	ds_read_u16 v10, v1
	v_add_co_u32_e32 v8, vcc, v15, v8
	v_add_u32_e32 v2, 0x100, v2
	v_addc_co_u32_e32 v9, vcc, v16, v9, vcc
	v_cmp_ge_u32_e32 vcc, v2, v5
	v_add_u32_e32 v1, 0x200, v1
	s_or_b64 s[0:1], vcc, s[0:1]
	s_waitcnt lgkmcnt(0)
	global_store_short v[8:9], v10, off
	s_andn2_b64 exec, exec, s[0:1]
	s_cbranch_execnz .LBB951_252
.LBB951_253:
	s_or_b64 exec, exec, s[2:3]
.LBB951_254:
	s_movk_i32 s0, 0xff
	v_cmp_eq_u32_e32 vcc, s0, v0
	s_and_b64 s[0:1], vcc, s[48:49]
	s_and_saveexec_b64 s[2:3], s[0:1]
	s_cbranch_execz .LBB951_257
; %bb.255:
	v_add_co_u32_e32 v0, vcc, v4, v6
	v_addc_co_u32_e64 v1, s[0:1], 0, 0, vcc
	v_add_co_u32_e32 v0, vcc, v0, v24
	v_mov_b32_e32 v5, 0
	v_addc_co_u32_e32 v1, vcc, v1, v25, vcc
	s_cmpk_lg_i32 s33, 0xf00
	global_store_dwordx2 v5, v[0:1], s[42:43]
	s_cbranch_scc1 .LBB951_257
; %bb.256:
	v_lshlrev_b64 v[0:1], 1, v[4:5]
	v_add_co_u32_e32 v0, vcc, v7, v0
	v_addc_co_u32_e32 v1, vcc, v14, v1, vcc
	global_store_short v[0:1], v81, off offset:-2
.LBB951_257:
	s_endpgm
	.section	.rodata,"a",@progbits
	.p2align	6, 0x0
	.amdhsa_kernel _ZN7rocprim17ROCPRIM_400000_NS6detail17trampoline_kernelINS0_14default_configENS1_29reduce_by_key_config_selectorIjtN6thrust23THRUST_200600_302600_NS4plusItEEEEZZNS1_33reduce_by_key_impl_wrapped_configILNS1_25lookback_scan_determinismE0ES3_S9_NS6_6detail15normal_iteratorINS6_10device_ptrIjEEEENSD_INSE_ItEEEENS6_16discard_iteratorINS6_11use_defaultEEESI_PmS8_NS6_8equal_toIjEEEE10hipError_tPvRmT2_T3_mT4_T5_T6_T7_T8_P12ihipStream_tbENKUlT_T0_E_clISt17integral_constantIbLb0EES16_EEDaS11_S12_EUlS11_E_NS1_11comp_targetILNS1_3genE4ELNS1_11target_archE910ELNS1_3gpuE8ELNS1_3repE0EEENS1_30default_config_static_selectorELNS0_4arch9wavefront6targetE1EEEvT1_
		.amdhsa_group_segment_fixed_size 15360
		.amdhsa_private_segment_fixed_size 0
		.amdhsa_kernarg_size 128
		.amdhsa_user_sgpr_count 6
		.amdhsa_user_sgpr_private_segment_buffer 1
		.amdhsa_user_sgpr_dispatch_ptr 0
		.amdhsa_user_sgpr_queue_ptr 0
		.amdhsa_user_sgpr_kernarg_segment_ptr 1
		.amdhsa_user_sgpr_dispatch_id 0
		.amdhsa_user_sgpr_flat_scratch_init 0
		.amdhsa_user_sgpr_kernarg_preload_length 0
		.amdhsa_user_sgpr_kernarg_preload_offset 0
		.amdhsa_user_sgpr_private_segment_size 0
		.amdhsa_uses_dynamic_stack 0
		.amdhsa_system_sgpr_private_segment_wavefront_offset 0
		.amdhsa_system_sgpr_workgroup_id_x 1
		.amdhsa_system_sgpr_workgroup_id_y 0
		.amdhsa_system_sgpr_workgroup_id_z 0
		.amdhsa_system_sgpr_workgroup_info 0
		.amdhsa_system_vgpr_workitem_id 0
		.amdhsa_next_free_vgpr 87
		.amdhsa_next_free_sgpr 60
		.amdhsa_accum_offset 88
		.amdhsa_reserve_vcc 1
		.amdhsa_reserve_flat_scratch 0
		.amdhsa_float_round_mode_32 0
		.amdhsa_float_round_mode_16_64 0
		.amdhsa_float_denorm_mode_32 3
		.amdhsa_float_denorm_mode_16_64 3
		.amdhsa_dx10_clamp 1
		.amdhsa_ieee_mode 1
		.amdhsa_fp16_overflow 0
		.amdhsa_tg_split 0
		.amdhsa_exception_fp_ieee_invalid_op 0
		.amdhsa_exception_fp_denorm_src 0
		.amdhsa_exception_fp_ieee_div_zero 0
		.amdhsa_exception_fp_ieee_overflow 0
		.amdhsa_exception_fp_ieee_underflow 0
		.amdhsa_exception_fp_ieee_inexact 0
		.amdhsa_exception_int_div_zero 0
	.end_amdhsa_kernel
	.section	.text._ZN7rocprim17ROCPRIM_400000_NS6detail17trampoline_kernelINS0_14default_configENS1_29reduce_by_key_config_selectorIjtN6thrust23THRUST_200600_302600_NS4plusItEEEEZZNS1_33reduce_by_key_impl_wrapped_configILNS1_25lookback_scan_determinismE0ES3_S9_NS6_6detail15normal_iteratorINS6_10device_ptrIjEEEENSD_INSE_ItEEEENS6_16discard_iteratorINS6_11use_defaultEEESI_PmS8_NS6_8equal_toIjEEEE10hipError_tPvRmT2_T3_mT4_T5_T6_T7_T8_P12ihipStream_tbENKUlT_T0_E_clISt17integral_constantIbLb0EES16_EEDaS11_S12_EUlS11_E_NS1_11comp_targetILNS1_3genE4ELNS1_11target_archE910ELNS1_3gpuE8ELNS1_3repE0EEENS1_30default_config_static_selectorELNS0_4arch9wavefront6targetE1EEEvT1_,"axG",@progbits,_ZN7rocprim17ROCPRIM_400000_NS6detail17trampoline_kernelINS0_14default_configENS1_29reduce_by_key_config_selectorIjtN6thrust23THRUST_200600_302600_NS4plusItEEEEZZNS1_33reduce_by_key_impl_wrapped_configILNS1_25lookback_scan_determinismE0ES3_S9_NS6_6detail15normal_iteratorINS6_10device_ptrIjEEEENSD_INSE_ItEEEENS6_16discard_iteratorINS6_11use_defaultEEESI_PmS8_NS6_8equal_toIjEEEE10hipError_tPvRmT2_T3_mT4_T5_T6_T7_T8_P12ihipStream_tbENKUlT_T0_E_clISt17integral_constantIbLb0EES16_EEDaS11_S12_EUlS11_E_NS1_11comp_targetILNS1_3genE4ELNS1_11target_archE910ELNS1_3gpuE8ELNS1_3repE0EEENS1_30default_config_static_selectorELNS0_4arch9wavefront6targetE1EEEvT1_,comdat
.Lfunc_end951:
	.size	_ZN7rocprim17ROCPRIM_400000_NS6detail17trampoline_kernelINS0_14default_configENS1_29reduce_by_key_config_selectorIjtN6thrust23THRUST_200600_302600_NS4plusItEEEEZZNS1_33reduce_by_key_impl_wrapped_configILNS1_25lookback_scan_determinismE0ES3_S9_NS6_6detail15normal_iteratorINS6_10device_ptrIjEEEENSD_INSE_ItEEEENS6_16discard_iteratorINS6_11use_defaultEEESI_PmS8_NS6_8equal_toIjEEEE10hipError_tPvRmT2_T3_mT4_T5_T6_T7_T8_P12ihipStream_tbENKUlT_T0_E_clISt17integral_constantIbLb0EES16_EEDaS11_S12_EUlS11_E_NS1_11comp_targetILNS1_3genE4ELNS1_11target_archE910ELNS1_3gpuE8ELNS1_3repE0EEENS1_30default_config_static_selectorELNS0_4arch9wavefront6targetE1EEEvT1_, .Lfunc_end951-_ZN7rocprim17ROCPRIM_400000_NS6detail17trampoline_kernelINS0_14default_configENS1_29reduce_by_key_config_selectorIjtN6thrust23THRUST_200600_302600_NS4plusItEEEEZZNS1_33reduce_by_key_impl_wrapped_configILNS1_25lookback_scan_determinismE0ES3_S9_NS6_6detail15normal_iteratorINS6_10device_ptrIjEEEENSD_INSE_ItEEEENS6_16discard_iteratorINS6_11use_defaultEEESI_PmS8_NS6_8equal_toIjEEEE10hipError_tPvRmT2_T3_mT4_T5_T6_T7_T8_P12ihipStream_tbENKUlT_T0_E_clISt17integral_constantIbLb0EES16_EEDaS11_S12_EUlS11_E_NS1_11comp_targetILNS1_3genE4ELNS1_11target_archE910ELNS1_3gpuE8ELNS1_3repE0EEENS1_30default_config_static_selectorELNS0_4arch9wavefront6targetE1EEEvT1_
                                        ; -- End function
	.section	.AMDGPU.csdata,"",@progbits
; Kernel info:
; codeLenInByte = 15364
; NumSgprs: 64
; NumVgprs: 87
; NumAgprs: 0
; TotalNumVgprs: 87
; ScratchSize: 0
; MemoryBound: 0
; FloatMode: 240
; IeeeMode: 1
; LDSByteSize: 15360 bytes/workgroup (compile time only)
; SGPRBlocks: 7
; VGPRBlocks: 10
; NumSGPRsForWavesPerEU: 64
; NumVGPRsForWavesPerEU: 87
; AccumOffset: 88
; Occupancy: 4
; WaveLimiterHint : 1
; COMPUTE_PGM_RSRC2:SCRATCH_EN: 0
; COMPUTE_PGM_RSRC2:USER_SGPR: 6
; COMPUTE_PGM_RSRC2:TRAP_HANDLER: 0
; COMPUTE_PGM_RSRC2:TGID_X_EN: 1
; COMPUTE_PGM_RSRC2:TGID_Y_EN: 0
; COMPUTE_PGM_RSRC2:TGID_Z_EN: 0
; COMPUTE_PGM_RSRC2:TIDIG_COMP_CNT: 0
; COMPUTE_PGM_RSRC3_GFX90A:ACCUM_OFFSET: 21
; COMPUTE_PGM_RSRC3_GFX90A:TG_SPLIT: 0
	.section	.text._ZN7rocprim17ROCPRIM_400000_NS6detail17trampoline_kernelINS0_14default_configENS1_29reduce_by_key_config_selectorIjtN6thrust23THRUST_200600_302600_NS4plusItEEEEZZNS1_33reduce_by_key_impl_wrapped_configILNS1_25lookback_scan_determinismE0ES3_S9_NS6_6detail15normal_iteratorINS6_10device_ptrIjEEEENSD_INSE_ItEEEENS6_16discard_iteratorINS6_11use_defaultEEESI_PmS8_NS6_8equal_toIjEEEE10hipError_tPvRmT2_T3_mT4_T5_T6_T7_T8_P12ihipStream_tbENKUlT_T0_E_clISt17integral_constantIbLb0EES16_EEDaS11_S12_EUlS11_E_NS1_11comp_targetILNS1_3genE3ELNS1_11target_archE908ELNS1_3gpuE7ELNS1_3repE0EEENS1_30default_config_static_selectorELNS0_4arch9wavefront6targetE1EEEvT1_,"axG",@progbits,_ZN7rocprim17ROCPRIM_400000_NS6detail17trampoline_kernelINS0_14default_configENS1_29reduce_by_key_config_selectorIjtN6thrust23THRUST_200600_302600_NS4plusItEEEEZZNS1_33reduce_by_key_impl_wrapped_configILNS1_25lookback_scan_determinismE0ES3_S9_NS6_6detail15normal_iteratorINS6_10device_ptrIjEEEENSD_INSE_ItEEEENS6_16discard_iteratorINS6_11use_defaultEEESI_PmS8_NS6_8equal_toIjEEEE10hipError_tPvRmT2_T3_mT4_T5_T6_T7_T8_P12ihipStream_tbENKUlT_T0_E_clISt17integral_constantIbLb0EES16_EEDaS11_S12_EUlS11_E_NS1_11comp_targetILNS1_3genE3ELNS1_11target_archE908ELNS1_3gpuE7ELNS1_3repE0EEENS1_30default_config_static_selectorELNS0_4arch9wavefront6targetE1EEEvT1_,comdat
	.protected	_ZN7rocprim17ROCPRIM_400000_NS6detail17trampoline_kernelINS0_14default_configENS1_29reduce_by_key_config_selectorIjtN6thrust23THRUST_200600_302600_NS4plusItEEEEZZNS1_33reduce_by_key_impl_wrapped_configILNS1_25lookback_scan_determinismE0ES3_S9_NS6_6detail15normal_iteratorINS6_10device_ptrIjEEEENSD_INSE_ItEEEENS6_16discard_iteratorINS6_11use_defaultEEESI_PmS8_NS6_8equal_toIjEEEE10hipError_tPvRmT2_T3_mT4_T5_T6_T7_T8_P12ihipStream_tbENKUlT_T0_E_clISt17integral_constantIbLb0EES16_EEDaS11_S12_EUlS11_E_NS1_11comp_targetILNS1_3genE3ELNS1_11target_archE908ELNS1_3gpuE7ELNS1_3repE0EEENS1_30default_config_static_selectorELNS0_4arch9wavefront6targetE1EEEvT1_ ; -- Begin function _ZN7rocprim17ROCPRIM_400000_NS6detail17trampoline_kernelINS0_14default_configENS1_29reduce_by_key_config_selectorIjtN6thrust23THRUST_200600_302600_NS4plusItEEEEZZNS1_33reduce_by_key_impl_wrapped_configILNS1_25lookback_scan_determinismE0ES3_S9_NS6_6detail15normal_iteratorINS6_10device_ptrIjEEEENSD_INSE_ItEEEENS6_16discard_iteratorINS6_11use_defaultEEESI_PmS8_NS6_8equal_toIjEEEE10hipError_tPvRmT2_T3_mT4_T5_T6_T7_T8_P12ihipStream_tbENKUlT_T0_E_clISt17integral_constantIbLb0EES16_EEDaS11_S12_EUlS11_E_NS1_11comp_targetILNS1_3genE3ELNS1_11target_archE908ELNS1_3gpuE7ELNS1_3repE0EEENS1_30default_config_static_selectorELNS0_4arch9wavefront6targetE1EEEvT1_
	.globl	_ZN7rocprim17ROCPRIM_400000_NS6detail17trampoline_kernelINS0_14default_configENS1_29reduce_by_key_config_selectorIjtN6thrust23THRUST_200600_302600_NS4plusItEEEEZZNS1_33reduce_by_key_impl_wrapped_configILNS1_25lookback_scan_determinismE0ES3_S9_NS6_6detail15normal_iteratorINS6_10device_ptrIjEEEENSD_INSE_ItEEEENS6_16discard_iteratorINS6_11use_defaultEEESI_PmS8_NS6_8equal_toIjEEEE10hipError_tPvRmT2_T3_mT4_T5_T6_T7_T8_P12ihipStream_tbENKUlT_T0_E_clISt17integral_constantIbLb0EES16_EEDaS11_S12_EUlS11_E_NS1_11comp_targetILNS1_3genE3ELNS1_11target_archE908ELNS1_3gpuE7ELNS1_3repE0EEENS1_30default_config_static_selectorELNS0_4arch9wavefront6targetE1EEEvT1_
	.p2align	8
	.type	_ZN7rocprim17ROCPRIM_400000_NS6detail17trampoline_kernelINS0_14default_configENS1_29reduce_by_key_config_selectorIjtN6thrust23THRUST_200600_302600_NS4plusItEEEEZZNS1_33reduce_by_key_impl_wrapped_configILNS1_25lookback_scan_determinismE0ES3_S9_NS6_6detail15normal_iteratorINS6_10device_ptrIjEEEENSD_INSE_ItEEEENS6_16discard_iteratorINS6_11use_defaultEEESI_PmS8_NS6_8equal_toIjEEEE10hipError_tPvRmT2_T3_mT4_T5_T6_T7_T8_P12ihipStream_tbENKUlT_T0_E_clISt17integral_constantIbLb0EES16_EEDaS11_S12_EUlS11_E_NS1_11comp_targetILNS1_3genE3ELNS1_11target_archE908ELNS1_3gpuE7ELNS1_3repE0EEENS1_30default_config_static_selectorELNS0_4arch9wavefront6targetE1EEEvT1_,@function
_ZN7rocprim17ROCPRIM_400000_NS6detail17trampoline_kernelINS0_14default_configENS1_29reduce_by_key_config_selectorIjtN6thrust23THRUST_200600_302600_NS4plusItEEEEZZNS1_33reduce_by_key_impl_wrapped_configILNS1_25lookback_scan_determinismE0ES3_S9_NS6_6detail15normal_iteratorINS6_10device_ptrIjEEEENSD_INSE_ItEEEENS6_16discard_iteratorINS6_11use_defaultEEESI_PmS8_NS6_8equal_toIjEEEE10hipError_tPvRmT2_T3_mT4_T5_T6_T7_T8_P12ihipStream_tbENKUlT_T0_E_clISt17integral_constantIbLb0EES16_EEDaS11_S12_EUlS11_E_NS1_11comp_targetILNS1_3genE3ELNS1_11target_archE908ELNS1_3gpuE7ELNS1_3repE0EEENS1_30default_config_static_selectorELNS0_4arch9wavefront6targetE1EEEvT1_: ; @_ZN7rocprim17ROCPRIM_400000_NS6detail17trampoline_kernelINS0_14default_configENS1_29reduce_by_key_config_selectorIjtN6thrust23THRUST_200600_302600_NS4plusItEEEEZZNS1_33reduce_by_key_impl_wrapped_configILNS1_25lookback_scan_determinismE0ES3_S9_NS6_6detail15normal_iteratorINS6_10device_ptrIjEEEENSD_INSE_ItEEEENS6_16discard_iteratorINS6_11use_defaultEEESI_PmS8_NS6_8equal_toIjEEEE10hipError_tPvRmT2_T3_mT4_T5_T6_T7_T8_P12ihipStream_tbENKUlT_T0_E_clISt17integral_constantIbLb0EES16_EEDaS11_S12_EUlS11_E_NS1_11comp_targetILNS1_3genE3ELNS1_11target_archE908ELNS1_3gpuE7ELNS1_3repE0EEENS1_30default_config_static_selectorELNS0_4arch9wavefront6targetE1EEEvT1_
; %bb.0:
	.section	.rodata,"a",@progbits
	.p2align	6, 0x0
	.amdhsa_kernel _ZN7rocprim17ROCPRIM_400000_NS6detail17trampoline_kernelINS0_14default_configENS1_29reduce_by_key_config_selectorIjtN6thrust23THRUST_200600_302600_NS4plusItEEEEZZNS1_33reduce_by_key_impl_wrapped_configILNS1_25lookback_scan_determinismE0ES3_S9_NS6_6detail15normal_iteratorINS6_10device_ptrIjEEEENSD_INSE_ItEEEENS6_16discard_iteratorINS6_11use_defaultEEESI_PmS8_NS6_8equal_toIjEEEE10hipError_tPvRmT2_T3_mT4_T5_T6_T7_T8_P12ihipStream_tbENKUlT_T0_E_clISt17integral_constantIbLb0EES16_EEDaS11_S12_EUlS11_E_NS1_11comp_targetILNS1_3genE3ELNS1_11target_archE908ELNS1_3gpuE7ELNS1_3repE0EEENS1_30default_config_static_selectorELNS0_4arch9wavefront6targetE1EEEvT1_
		.amdhsa_group_segment_fixed_size 0
		.amdhsa_private_segment_fixed_size 0
		.amdhsa_kernarg_size 128
		.amdhsa_user_sgpr_count 6
		.amdhsa_user_sgpr_private_segment_buffer 1
		.amdhsa_user_sgpr_dispatch_ptr 0
		.amdhsa_user_sgpr_queue_ptr 0
		.amdhsa_user_sgpr_kernarg_segment_ptr 1
		.amdhsa_user_sgpr_dispatch_id 0
		.amdhsa_user_sgpr_flat_scratch_init 0
		.amdhsa_user_sgpr_kernarg_preload_length 0
		.amdhsa_user_sgpr_kernarg_preload_offset 0
		.amdhsa_user_sgpr_private_segment_size 0
		.amdhsa_uses_dynamic_stack 0
		.amdhsa_system_sgpr_private_segment_wavefront_offset 0
		.amdhsa_system_sgpr_workgroup_id_x 1
		.amdhsa_system_sgpr_workgroup_id_y 0
		.amdhsa_system_sgpr_workgroup_id_z 0
		.amdhsa_system_sgpr_workgroup_info 0
		.amdhsa_system_vgpr_workitem_id 0
		.amdhsa_next_free_vgpr 1
		.amdhsa_next_free_sgpr 0
		.amdhsa_accum_offset 4
		.amdhsa_reserve_vcc 0
		.amdhsa_reserve_flat_scratch 0
		.amdhsa_float_round_mode_32 0
		.amdhsa_float_round_mode_16_64 0
		.amdhsa_float_denorm_mode_32 3
		.amdhsa_float_denorm_mode_16_64 3
		.amdhsa_dx10_clamp 1
		.amdhsa_ieee_mode 1
		.amdhsa_fp16_overflow 0
		.amdhsa_tg_split 0
		.amdhsa_exception_fp_ieee_invalid_op 0
		.amdhsa_exception_fp_denorm_src 0
		.amdhsa_exception_fp_ieee_div_zero 0
		.amdhsa_exception_fp_ieee_overflow 0
		.amdhsa_exception_fp_ieee_underflow 0
		.amdhsa_exception_fp_ieee_inexact 0
		.amdhsa_exception_int_div_zero 0
	.end_amdhsa_kernel
	.section	.text._ZN7rocprim17ROCPRIM_400000_NS6detail17trampoline_kernelINS0_14default_configENS1_29reduce_by_key_config_selectorIjtN6thrust23THRUST_200600_302600_NS4plusItEEEEZZNS1_33reduce_by_key_impl_wrapped_configILNS1_25lookback_scan_determinismE0ES3_S9_NS6_6detail15normal_iteratorINS6_10device_ptrIjEEEENSD_INSE_ItEEEENS6_16discard_iteratorINS6_11use_defaultEEESI_PmS8_NS6_8equal_toIjEEEE10hipError_tPvRmT2_T3_mT4_T5_T6_T7_T8_P12ihipStream_tbENKUlT_T0_E_clISt17integral_constantIbLb0EES16_EEDaS11_S12_EUlS11_E_NS1_11comp_targetILNS1_3genE3ELNS1_11target_archE908ELNS1_3gpuE7ELNS1_3repE0EEENS1_30default_config_static_selectorELNS0_4arch9wavefront6targetE1EEEvT1_,"axG",@progbits,_ZN7rocprim17ROCPRIM_400000_NS6detail17trampoline_kernelINS0_14default_configENS1_29reduce_by_key_config_selectorIjtN6thrust23THRUST_200600_302600_NS4plusItEEEEZZNS1_33reduce_by_key_impl_wrapped_configILNS1_25lookback_scan_determinismE0ES3_S9_NS6_6detail15normal_iteratorINS6_10device_ptrIjEEEENSD_INSE_ItEEEENS6_16discard_iteratorINS6_11use_defaultEEESI_PmS8_NS6_8equal_toIjEEEE10hipError_tPvRmT2_T3_mT4_T5_T6_T7_T8_P12ihipStream_tbENKUlT_T0_E_clISt17integral_constantIbLb0EES16_EEDaS11_S12_EUlS11_E_NS1_11comp_targetILNS1_3genE3ELNS1_11target_archE908ELNS1_3gpuE7ELNS1_3repE0EEENS1_30default_config_static_selectorELNS0_4arch9wavefront6targetE1EEEvT1_,comdat
.Lfunc_end952:
	.size	_ZN7rocprim17ROCPRIM_400000_NS6detail17trampoline_kernelINS0_14default_configENS1_29reduce_by_key_config_selectorIjtN6thrust23THRUST_200600_302600_NS4plusItEEEEZZNS1_33reduce_by_key_impl_wrapped_configILNS1_25lookback_scan_determinismE0ES3_S9_NS6_6detail15normal_iteratorINS6_10device_ptrIjEEEENSD_INSE_ItEEEENS6_16discard_iteratorINS6_11use_defaultEEESI_PmS8_NS6_8equal_toIjEEEE10hipError_tPvRmT2_T3_mT4_T5_T6_T7_T8_P12ihipStream_tbENKUlT_T0_E_clISt17integral_constantIbLb0EES16_EEDaS11_S12_EUlS11_E_NS1_11comp_targetILNS1_3genE3ELNS1_11target_archE908ELNS1_3gpuE7ELNS1_3repE0EEENS1_30default_config_static_selectorELNS0_4arch9wavefront6targetE1EEEvT1_, .Lfunc_end952-_ZN7rocprim17ROCPRIM_400000_NS6detail17trampoline_kernelINS0_14default_configENS1_29reduce_by_key_config_selectorIjtN6thrust23THRUST_200600_302600_NS4plusItEEEEZZNS1_33reduce_by_key_impl_wrapped_configILNS1_25lookback_scan_determinismE0ES3_S9_NS6_6detail15normal_iteratorINS6_10device_ptrIjEEEENSD_INSE_ItEEEENS6_16discard_iteratorINS6_11use_defaultEEESI_PmS8_NS6_8equal_toIjEEEE10hipError_tPvRmT2_T3_mT4_T5_T6_T7_T8_P12ihipStream_tbENKUlT_T0_E_clISt17integral_constantIbLb0EES16_EEDaS11_S12_EUlS11_E_NS1_11comp_targetILNS1_3genE3ELNS1_11target_archE908ELNS1_3gpuE7ELNS1_3repE0EEENS1_30default_config_static_selectorELNS0_4arch9wavefront6targetE1EEEvT1_
                                        ; -- End function
	.section	.AMDGPU.csdata,"",@progbits
; Kernel info:
; codeLenInByte = 0
; NumSgprs: 4
; NumVgprs: 0
; NumAgprs: 0
; TotalNumVgprs: 0
; ScratchSize: 0
; MemoryBound: 0
; FloatMode: 240
; IeeeMode: 1
; LDSByteSize: 0 bytes/workgroup (compile time only)
; SGPRBlocks: 0
; VGPRBlocks: 0
; NumSGPRsForWavesPerEU: 4
; NumVGPRsForWavesPerEU: 1
; AccumOffset: 4
; Occupancy: 8
; WaveLimiterHint : 0
; COMPUTE_PGM_RSRC2:SCRATCH_EN: 0
; COMPUTE_PGM_RSRC2:USER_SGPR: 6
; COMPUTE_PGM_RSRC2:TRAP_HANDLER: 0
; COMPUTE_PGM_RSRC2:TGID_X_EN: 1
; COMPUTE_PGM_RSRC2:TGID_Y_EN: 0
; COMPUTE_PGM_RSRC2:TGID_Z_EN: 0
; COMPUTE_PGM_RSRC2:TIDIG_COMP_CNT: 0
; COMPUTE_PGM_RSRC3_GFX90A:ACCUM_OFFSET: 0
; COMPUTE_PGM_RSRC3_GFX90A:TG_SPLIT: 0
	.section	.text._ZN7rocprim17ROCPRIM_400000_NS6detail17trampoline_kernelINS0_14default_configENS1_29reduce_by_key_config_selectorIjtN6thrust23THRUST_200600_302600_NS4plusItEEEEZZNS1_33reduce_by_key_impl_wrapped_configILNS1_25lookback_scan_determinismE0ES3_S9_NS6_6detail15normal_iteratorINS6_10device_ptrIjEEEENSD_INSE_ItEEEENS6_16discard_iteratorINS6_11use_defaultEEESI_PmS8_NS6_8equal_toIjEEEE10hipError_tPvRmT2_T3_mT4_T5_T6_T7_T8_P12ihipStream_tbENKUlT_T0_E_clISt17integral_constantIbLb0EES16_EEDaS11_S12_EUlS11_E_NS1_11comp_targetILNS1_3genE2ELNS1_11target_archE906ELNS1_3gpuE6ELNS1_3repE0EEENS1_30default_config_static_selectorELNS0_4arch9wavefront6targetE1EEEvT1_,"axG",@progbits,_ZN7rocprim17ROCPRIM_400000_NS6detail17trampoline_kernelINS0_14default_configENS1_29reduce_by_key_config_selectorIjtN6thrust23THRUST_200600_302600_NS4plusItEEEEZZNS1_33reduce_by_key_impl_wrapped_configILNS1_25lookback_scan_determinismE0ES3_S9_NS6_6detail15normal_iteratorINS6_10device_ptrIjEEEENSD_INSE_ItEEEENS6_16discard_iteratorINS6_11use_defaultEEESI_PmS8_NS6_8equal_toIjEEEE10hipError_tPvRmT2_T3_mT4_T5_T6_T7_T8_P12ihipStream_tbENKUlT_T0_E_clISt17integral_constantIbLb0EES16_EEDaS11_S12_EUlS11_E_NS1_11comp_targetILNS1_3genE2ELNS1_11target_archE906ELNS1_3gpuE6ELNS1_3repE0EEENS1_30default_config_static_selectorELNS0_4arch9wavefront6targetE1EEEvT1_,comdat
	.protected	_ZN7rocprim17ROCPRIM_400000_NS6detail17trampoline_kernelINS0_14default_configENS1_29reduce_by_key_config_selectorIjtN6thrust23THRUST_200600_302600_NS4plusItEEEEZZNS1_33reduce_by_key_impl_wrapped_configILNS1_25lookback_scan_determinismE0ES3_S9_NS6_6detail15normal_iteratorINS6_10device_ptrIjEEEENSD_INSE_ItEEEENS6_16discard_iteratorINS6_11use_defaultEEESI_PmS8_NS6_8equal_toIjEEEE10hipError_tPvRmT2_T3_mT4_T5_T6_T7_T8_P12ihipStream_tbENKUlT_T0_E_clISt17integral_constantIbLb0EES16_EEDaS11_S12_EUlS11_E_NS1_11comp_targetILNS1_3genE2ELNS1_11target_archE906ELNS1_3gpuE6ELNS1_3repE0EEENS1_30default_config_static_selectorELNS0_4arch9wavefront6targetE1EEEvT1_ ; -- Begin function _ZN7rocprim17ROCPRIM_400000_NS6detail17trampoline_kernelINS0_14default_configENS1_29reduce_by_key_config_selectorIjtN6thrust23THRUST_200600_302600_NS4plusItEEEEZZNS1_33reduce_by_key_impl_wrapped_configILNS1_25lookback_scan_determinismE0ES3_S9_NS6_6detail15normal_iteratorINS6_10device_ptrIjEEEENSD_INSE_ItEEEENS6_16discard_iteratorINS6_11use_defaultEEESI_PmS8_NS6_8equal_toIjEEEE10hipError_tPvRmT2_T3_mT4_T5_T6_T7_T8_P12ihipStream_tbENKUlT_T0_E_clISt17integral_constantIbLb0EES16_EEDaS11_S12_EUlS11_E_NS1_11comp_targetILNS1_3genE2ELNS1_11target_archE906ELNS1_3gpuE6ELNS1_3repE0EEENS1_30default_config_static_selectorELNS0_4arch9wavefront6targetE1EEEvT1_
	.globl	_ZN7rocprim17ROCPRIM_400000_NS6detail17trampoline_kernelINS0_14default_configENS1_29reduce_by_key_config_selectorIjtN6thrust23THRUST_200600_302600_NS4plusItEEEEZZNS1_33reduce_by_key_impl_wrapped_configILNS1_25lookback_scan_determinismE0ES3_S9_NS6_6detail15normal_iteratorINS6_10device_ptrIjEEEENSD_INSE_ItEEEENS6_16discard_iteratorINS6_11use_defaultEEESI_PmS8_NS6_8equal_toIjEEEE10hipError_tPvRmT2_T3_mT4_T5_T6_T7_T8_P12ihipStream_tbENKUlT_T0_E_clISt17integral_constantIbLb0EES16_EEDaS11_S12_EUlS11_E_NS1_11comp_targetILNS1_3genE2ELNS1_11target_archE906ELNS1_3gpuE6ELNS1_3repE0EEENS1_30default_config_static_selectorELNS0_4arch9wavefront6targetE1EEEvT1_
	.p2align	8
	.type	_ZN7rocprim17ROCPRIM_400000_NS6detail17trampoline_kernelINS0_14default_configENS1_29reduce_by_key_config_selectorIjtN6thrust23THRUST_200600_302600_NS4plusItEEEEZZNS1_33reduce_by_key_impl_wrapped_configILNS1_25lookback_scan_determinismE0ES3_S9_NS6_6detail15normal_iteratorINS6_10device_ptrIjEEEENSD_INSE_ItEEEENS6_16discard_iteratorINS6_11use_defaultEEESI_PmS8_NS6_8equal_toIjEEEE10hipError_tPvRmT2_T3_mT4_T5_T6_T7_T8_P12ihipStream_tbENKUlT_T0_E_clISt17integral_constantIbLb0EES16_EEDaS11_S12_EUlS11_E_NS1_11comp_targetILNS1_3genE2ELNS1_11target_archE906ELNS1_3gpuE6ELNS1_3repE0EEENS1_30default_config_static_selectorELNS0_4arch9wavefront6targetE1EEEvT1_,@function
_ZN7rocprim17ROCPRIM_400000_NS6detail17trampoline_kernelINS0_14default_configENS1_29reduce_by_key_config_selectorIjtN6thrust23THRUST_200600_302600_NS4plusItEEEEZZNS1_33reduce_by_key_impl_wrapped_configILNS1_25lookback_scan_determinismE0ES3_S9_NS6_6detail15normal_iteratorINS6_10device_ptrIjEEEENSD_INSE_ItEEEENS6_16discard_iteratorINS6_11use_defaultEEESI_PmS8_NS6_8equal_toIjEEEE10hipError_tPvRmT2_T3_mT4_T5_T6_T7_T8_P12ihipStream_tbENKUlT_T0_E_clISt17integral_constantIbLb0EES16_EEDaS11_S12_EUlS11_E_NS1_11comp_targetILNS1_3genE2ELNS1_11target_archE906ELNS1_3gpuE6ELNS1_3repE0EEENS1_30default_config_static_selectorELNS0_4arch9wavefront6targetE1EEEvT1_: ; @_ZN7rocprim17ROCPRIM_400000_NS6detail17trampoline_kernelINS0_14default_configENS1_29reduce_by_key_config_selectorIjtN6thrust23THRUST_200600_302600_NS4plusItEEEEZZNS1_33reduce_by_key_impl_wrapped_configILNS1_25lookback_scan_determinismE0ES3_S9_NS6_6detail15normal_iteratorINS6_10device_ptrIjEEEENSD_INSE_ItEEEENS6_16discard_iteratorINS6_11use_defaultEEESI_PmS8_NS6_8equal_toIjEEEE10hipError_tPvRmT2_T3_mT4_T5_T6_T7_T8_P12ihipStream_tbENKUlT_T0_E_clISt17integral_constantIbLb0EES16_EEDaS11_S12_EUlS11_E_NS1_11comp_targetILNS1_3genE2ELNS1_11target_archE906ELNS1_3gpuE6ELNS1_3repE0EEENS1_30default_config_static_selectorELNS0_4arch9wavefront6targetE1EEEvT1_
; %bb.0:
	.section	.rodata,"a",@progbits
	.p2align	6, 0x0
	.amdhsa_kernel _ZN7rocprim17ROCPRIM_400000_NS6detail17trampoline_kernelINS0_14default_configENS1_29reduce_by_key_config_selectorIjtN6thrust23THRUST_200600_302600_NS4plusItEEEEZZNS1_33reduce_by_key_impl_wrapped_configILNS1_25lookback_scan_determinismE0ES3_S9_NS6_6detail15normal_iteratorINS6_10device_ptrIjEEEENSD_INSE_ItEEEENS6_16discard_iteratorINS6_11use_defaultEEESI_PmS8_NS6_8equal_toIjEEEE10hipError_tPvRmT2_T3_mT4_T5_T6_T7_T8_P12ihipStream_tbENKUlT_T0_E_clISt17integral_constantIbLb0EES16_EEDaS11_S12_EUlS11_E_NS1_11comp_targetILNS1_3genE2ELNS1_11target_archE906ELNS1_3gpuE6ELNS1_3repE0EEENS1_30default_config_static_selectorELNS0_4arch9wavefront6targetE1EEEvT1_
		.amdhsa_group_segment_fixed_size 0
		.amdhsa_private_segment_fixed_size 0
		.amdhsa_kernarg_size 128
		.amdhsa_user_sgpr_count 6
		.amdhsa_user_sgpr_private_segment_buffer 1
		.amdhsa_user_sgpr_dispatch_ptr 0
		.amdhsa_user_sgpr_queue_ptr 0
		.amdhsa_user_sgpr_kernarg_segment_ptr 1
		.amdhsa_user_sgpr_dispatch_id 0
		.amdhsa_user_sgpr_flat_scratch_init 0
		.amdhsa_user_sgpr_kernarg_preload_length 0
		.amdhsa_user_sgpr_kernarg_preload_offset 0
		.amdhsa_user_sgpr_private_segment_size 0
		.amdhsa_uses_dynamic_stack 0
		.amdhsa_system_sgpr_private_segment_wavefront_offset 0
		.amdhsa_system_sgpr_workgroup_id_x 1
		.amdhsa_system_sgpr_workgroup_id_y 0
		.amdhsa_system_sgpr_workgroup_id_z 0
		.amdhsa_system_sgpr_workgroup_info 0
		.amdhsa_system_vgpr_workitem_id 0
		.amdhsa_next_free_vgpr 1
		.amdhsa_next_free_sgpr 0
		.amdhsa_accum_offset 4
		.amdhsa_reserve_vcc 0
		.amdhsa_reserve_flat_scratch 0
		.amdhsa_float_round_mode_32 0
		.amdhsa_float_round_mode_16_64 0
		.amdhsa_float_denorm_mode_32 3
		.amdhsa_float_denorm_mode_16_64 3
		.amdhsa_dx10_clamp 1
		.amdhsa_ieee_mode 1
		.amdhsa_fp16_overflow 0
		.amdhsa_tg_split 0
		.amdhsa_exception_fp_ieee_invalid_op 0
		.amdhsa_exception_fp_denorm_src 0
		.amdhsa_exception_fp_ieee_div_zero 0
		.amdhsa_exception_fp_ieee_overflow 0
		.amdhsa_exception_fp_ieee_underflow 0
		.amdhsa_exception_fp_ieee_inexact 0
		.amdhsa_exception_int_div_zero 0
	.end_amdhsa_kernel
	.section	.text._ZN7rocprim17ROCPRIM_400000_NS6detail17trampoline_kernelINS0_14default_configENS1_29reduce_by_key_config_selectorIjtN6thrust23THRUST_200600_302600_NS4plusItEEEEZZNS1_33reduce_by_key_impl_wrapped_configILNS1_25lookback_scan_determinismE0ES3_S9_NS6_6detail15normal_iteratorINS6_10device_ptrIjEEEENSD_INSE_ItEEEENS6_16discard_iteratorINS6_11use_defaultEEESI_PmS8_NS6_8equal_toIjEEEE10hipError_tPvRmT2_T3_mT4_T5_T6_T7_T8_P12ihipStream_tbENKUlT_T0_E_clISt17integral_constantIbLb0EES16_EEDaS11_S12_EUlS11_E_NS1_11comp_targetILNS1_3genE2ELNS1_11target_archE906ELNS1_3gpuE6ELNS1_3repE0EEENS1_30default_config_static_selectorELNS0_4arch9wavefront6targetE1EEEvT1_,"axG",@progbits,_ZN7rocprim17ROCPRIM_400000_NS6detail17trampoline_kernelINS0_14default_configENS1_29reduce_by_key_config_selectorIjtN6thrust23THRUST_200600_302600_NS4plusItEEEEZZNS1_33reduce_by_key_impl_wrapped_configILNS1_25lookback_scan_determinismE0ES3_S9_NS6_6detail15normal_iteratorINS6_10device_ptrIjEEEENSD_INSE_ItEEEENS6_16discard_iteratorINS6_11use_defaultEEESI_PmS8_NS6_8equal_toIjEEEE10hipError_tPvRmT2_T3_mT4_T5_T6_T7_T8_P12ihipStream_tbENKUlT_T0_E_clISt17integral_constantIbLb0EES16_EEDaS11_S12_EUlS11_E_NS1_11comp_targetILNS1_3genE2ELNS1_11target_archE906ELNS1_3gpuE6ELNS1_3repE0EEENS1_30default_config_static_selectorELNS0_4arch9wavefront6targetE1EEEvT1_,comdat
.Lfunc_end953:
	.size	_ZN7rocprim17ROCPRIM_400000_NS6detail17trampoline_kernelINS0_14default_configENS1_29reduce_by_key_config_selectorIjtN6thrust23THRUST_200600_302600_NS4plusItEEEEZZNS1_33reduce_by_key_impl_wrapped_configILNS1_25lookback_scan_determinismE0ES3_S9_NS6_6detail15normal_iteratorINS6_10device_ptrIjEEEENSD_INSE_ItEEEENS6_16discard_iteratorINS6_11use_defaultEEESI_PmS8_NS6_8equal_toIjEEEE10hipError_tPvRmT2_T3_mT4_T5_T6_T7_T8_P12ihipStream_tbENKUlT_T0_E_clISt17integral_constantIbLb0EES16_EEDaS11_S12_EUlS11_E_NS1_11comp_targetILNS1_3genE2ELNS1_11target_archE906ELNS1_3gpuE6ELNS1_3repE0EEENS1_30default_config_static_selectorELNS0_4arch9wavefront6targetE1EEEvT1_, .Lfunc_end953-_ZN7rocprim17ROCPRIM_400000_NS6detail17trampoline_kernelINS0_14default_configENS1_29reduce_by_key_config_selectorIjtN6thrust23THRUST_200600_302600_NS4plusItEEEEZZNS1_33reduce_by_key_impl_wrapped_configILNS1_25lookback_scan_determinismE0ES3_S9_NS6_6detail15normal_iteratorINS6_10device_ptrIjEEEENSD_INSE_ItEEEENS6_16discard_iteratorINS6_11use_defaultEEESI_PmS8_NS6_8equal_toIjEEEE10hipError_tPvRmT2_T3_mT4_T5_T6_T7_T8_P12ihipStream_tbENKUlT_T0_E_clISt17integral_constantIbLb0EES16_EEDaS11_S12_EUlS11_E_NS1_11comp_targetILNS1_3genE2ELNS1_11target_archE906ELNS1_3gpuE6ELNS1_3repE0EEENS1_30default_config_static_selectorELNS0_4arch9wavefront6targetE1EEEvT1_
                                        ; -- End function
	.section	.AMDGPU.csdata,"",@progbits
; Kernel info:
; codeLenInByte = 0
; NumSgprs: 4
; NumVgprs: 0
; NumAgprs: 0
; TotalNumVgprs: 0
; ScratchSize: 0
; MemoryBound: 0
; FloatMode: 240
; IeeeMode: 1
; LDSByteSize: 0 bytes/workgroup (compile time only)
; SGPRBlocks: 0
; VGPRBlocks: 0
; NumSGPRsForWavesPerEU: 4
; NumVGPRsForWavesPerEU: 1
; AccumOffset: 4
; Occupancy: 8
; WaveLimiterHint : 0
; COMPUTE_PGM_RSRC2:SCRATCH_EN: 0
; COMPUTE_PGM_RSRC2:USER_SGPR: 6
; COMPUTE_PGM_RSRC2:TRAP_HANDLER: 0
; COMPUTE_PGM_RSRC2:TGID_X_EN: 1
; COMPUTE_PGM_RSRC2:TGID_Y_EN: 0
; COMPUTE_PGM_RSRC2:TGID_Z_EN: 0
; COMPUTE_PGM_RSRC2:TIDIG_COMP_CNT: 0
; COMPUTE_PGM_RSRC3_GFX90A:ACCUM_OFFSET: 0
; COMPUTE_PGM_RSRC3_GFX90A:TG_SPLIT: 0
	.section	.text._ZN7rocprim17ROCPRIM_400000_NS6detail17trampoline_kernelINS0_14default_configENS1_29reduce_by_key_config_selectorIjtN6thrust23THRUST_200600_302600_NS4plusItEEEEZZNS1_33reduce_by_key_impl_wrapped_configILNS1_25lookback_scan_determinismE0ES3_S9_NS6_6detail15normal_iteratorINS6_10device_ptrIjEEEENSD_INSE_ItEEEENS6_16discard_iteratorINS6_11use_defaultEEESI_PmS8_NS6_8equal_toIjEEEE10hipError_tPvRmT2_T3_mT4_T5_T6_T7_T8_P12ihipStream_tbENKUlT_T0_E_clISt17integral_constantIbLb0EES16_EEDaS11_S12_EUlS11_E_NS1_11comp_targetILNS1_3genE10ELNS1_11target_archE1201ELNS1_3gpuE5ELNS1_3repE0EEENS1_30default_config_static_selectorELNS0_4arch9wavefront6targetE1EEEvT1_,"axG",@progbits,_ZN7rocprim17ROCPRIM_400000_NS6detail17trampoline_kernelINS0_14default_configENS1_29reduce_by_key_config_selectorIjtN6thrust23THRUST_200600_302600_NS4plusItEEEEZZNS1_33reduce_by_key_impl_wrapped_configILNS1_25lookback_scan_determinismE0ES3_S9_NS6_6detail15normal_iteratorINS6_10device_ptrIjEEEENSD_INSE_ItEEEENS6_16discard_iteratorINS6_11use_defaultEEESI_PmS8_NS6_8equal_toIjEEEE10hipError_tPvRmT2_T3_mT4_T5_T6_T7_T8_P12ihipStream_tbENKUlT_T0_E_clISt17integral_constantIbLb0EES16_EEDaS11_S12_EUlS11_E_NS1_11comp_targetILNS1_3genE10ELNS1_11target_archE1201ELNS1_3gpuE5ELNS1_3repE0EEENS1_30default_config_static_selectorELNS0_4arch9wavefront6targetE1EEEvT1_,comdat
	.protected	_ZN7rocprim17ROCPRIM_400000_NS6detail17trampoline_kernelINS0_14default_configENS1_29reduce_by_key_config_selectorIjtN6thrust23THRUST_200600_302600_NS4plusItEEEEZZNS1_33reduce_by_key_impl_wrapped_configILNS1_25lookback_scan_determinismE0ES3_S9_NS6_6detail15normal_iteratorINS6_10device_ptrIjEEEENSD_INSE_ItEEEENS6_16discard_iteratorINS6_11use_defaultEEESI_PmS8_NS6_8equal_toIjEEEE10hipError_tPvRmT2_T3_mT4_T5_T6_T7_T8_P12ihipStream_tbENKUlT_T0_E_clISt17integral_constantIbLb0EES16_EEDaS11_S12_EUlS11_E_NS1_11comp_targetILNS1_3genE10ELNS1_11target_archE1201ELNS1_3gpuE5ELNS1_3repE0EEENS1_30default_config_static_selectorELNS0_4arch9wavefront6targetE1EEEvT1_ ; -- Begin function _ZN7rocprim17ROCPRIM_400000_NS6detail17trampoline_kernelINS0_14default_configENS1_29reduce_by_key_config_selectorIjtN6thrust23THRUST_200600_302600_NS4plusItEEEEZZNS1_33reduce_by_key_impl_wrapped_configILNS1_25lookback_scan_determinismE0ES3_S9_NS6_6detail15normal_iteratorINS6_10device_ptrIjEEEENSD_INSE_ItEEEENS6_16discard_iteratorINS6_11use_defaultEEESI_PmS8_NS6_8equal_toIjEEEE10hipError_tPvRmT2_T3_mT4_T5_T6_T7_T8_P12ihipStream_tbENKUlT_T0_E_clISt17integral_constantIbLb0EES16_EEDaS11_S12_EUlS11_E_NS1_11comp_targetILNS1_3genE10ELNS1_11target_archE1201ELNS1_3gpuE5ELNS1_3repE0EEENS1_30default_config_static_selectorELNS0_4arch9wavefront6targetE1EEEvT1_
	.globl	_ZN7rocprim17ROCPRIM_400000_NS6detail17trampoline_kernelINS0_14default_configENS1_29reduce_by_key_config_selectorIjtN6thrust23THRUST_200600_302600_NS4plusItEEEEZZNS1_33reduce_by_key_impl_wrapped_configILNS1_25lookback_scan_determinismE0ES3_S9_NS6_6detail15normal_iteratorINS6_10device_ptrIjEEEENSD_INSE_ItEEEENS6_16discard_iteratorINS6_11use_defaultEEESI_PmS8_NS6_8equal_toIjEEEE10hipError_tPvRmT2_T3_mT4_T5_T6_T7_T8_P12ihipStream_tbENKUlT_T0_E_clISt17integral_constantIbLb0EES16_EEDaS11_S12_EUlS11_E_NS1_11comp_targetILNS1_3genE10ELNS1_11target_archE1201ELNS1_3gpuE5ELNS1_3repE0EEENS1_30default_config_static_selectorELNS0_4arch9wavefront6targetE1EEEvT1_
	.p2align	8
	.type	_ZN7rocprim17ROCPRIM_400000_NS6detail17trampoline_kernelINS0_14default_configENS1_29reduce_by_key_config_selectorIjtN6thrust23THRUST_200600_302600_NS4plusItEEEEZZNS1_33reduce_by_key_impl_wrapped_configILNS1_25lookback_scan_determinismE0ES3_S9_NS6_6detail15normal_iteratorINS6_10device_ptrIjEEEENSD_INSE_ItEEEENS6_16discard_iteratorINS6_11use_defaultEEESI_PmS8_NS6_8equal_toIjEEEE10hipError_tPvRmT2_T3_mT4_T5_T6_T7_T8_P12ihipStream_tbENKUlT_T0_E_clISt17integral_constantIbLb0EES16_EEDaS11_S12_EUlS11_E_NS1_11comp_targetILNS1_3genE10ELNS1_11target_archE1201ELNS1_3gpuE5ELNS1_3repE0EEENS1_30default_config_static_selectorELNS0_4arch9wavefront6targetE1EEEvT1_,@function
_ZN7rocprim17ROCPRIM_400000_NS6detail17trampoline_kernelINS0_14default_configENS1_29reduce_by_key_config_selectorIjtN6thrust23THRUST_200600_302600_NS4plusItEEEEZZNS1_33reduce_by_key_impl_wrapped_configILNS1_25lookback_scan_determinismE0ES3_S9_NS6_6detail15normal_iteratorINS6_10device_ptrIjEEEENSD_INSE_ItEEEENS6_16discard_iteratorINS6_11use_defaultEEESI_PmS8_NS6_8equal_toIjEEEE10hipError_tPvRmT2_T3_mT4_T5_T6_T7_T8_P12ihipStream_tbENKUlT_T0_E_clISt17integral_constantIbLb0EES16_EEDaS11_S12_EUlS11_E_NS1_11comp_targetILNS1_3genE10ELNS1_11target_archE1201ELNS1_3gpuE5ELNS1_3repE0EEENS1_30default_config_static_selectorELNS0_4arch9wavefront6targetE1EEEvT1_: ; @_ZN7rocprim17ROCPRIM_400000_NS6detail17trampoline_kernelINS0_14default_configENS1_29reduce_by_key_config_selectorIjtN6thrust23THRUST_200600_302600_NS4plusItEEEEZZNS1_33reduce_by_key_impl_wrapped_configILNS1_25lookback_scan_determinismE0ES3_S9_NS6_6detail15normal_iteratorINS6_10device_ptrIjEEEENSD_INSE_ItEEEENS6_16discard_iteratorINS6_11use_defaultEEESI_PmS8_NS6_8equal_toIjEEEE10hipError_tPvRmT2_T3_mT4_T5_T6_T7_T8_P12ihipStream_tbENKUlT_T0_E_clISt17integral_constantIbLb0EES16_EEDaS11_S12_EUlS11_E_NS1_11comp_targetILNS1_3genE10ELNS1_11target_archE1201ELNS1_3gpuE5ELNS1_3repE0EEENS1_30default_config_static_selectorELNS0_4arch9wavefront6targetE1EEEvT1_
; %bb.0:
	.section	.rodata,"a",@progbits
	.p2align	6, 0x0
	.amdhsa_kernel _ZN7rocprim17ROCPRIM_400000_NS6detail17trampoline_kernelINS0_14default_configENS1_29reduce_by_key_config_selectorIjtN6thrust23THRUST_200600_302600_NS4plusItEEEEZZNS1_33reduce_by_key_impl_wrapped_configILNS1_25lookback_scan_determinismE0ES3_S9_NS6_6detail15normal_iteratorINS6_10device_ptrIjEEEENSD_INSE_ItEEEENS6_16discard_iteratorINS6_11use_defaultEEESI_PmS8_NS6_8equal_toIjEEEE10hipError_tPvRmT2_T3_mT4_T5_T6_T7_T8_P12ihipStream_tbENKUlT_T0_E_clISt17integral_constantIbLb0EES16_EEDaS11_S12_EUlS11_E_NS1_11comp_targetILNS1_3genE10ELNS1_11target_archE1201ELNS1_3gpuE5ELNS1_3repE0EEENS1_30default_config_static_selectorELNS0_4arch9wavefront6targetE1EEEvT1_
		.amdhsa_group_segment_fixed_size 0
		.amdhsa_private_segment_fixed_size 0
		.amdhsa_kernarg_size 128
		.amdhsa_user_sgpr_count 6
		.amdhsa_user_sgpr_private_segment_buffer 1
		.amdhsa_user_sgpr_dispatch_ptr 0
		.amdhsa_user_sgpr_queue_ptr 0
		.amdhsa_user_sgpr_kernarg_segment_ptr 1
		.amdhsa_user_sgpr_dispatch_id 0
		.amdhsa_user_sgpr_flat_scratch_init 0
		.amdhsa_user_sgpr_kernarg_preload_length 0
		.amdhsa_user_sgpr_kernarg_preload_offset 0
		.amdhsa_user_sgpr_private_segment_size 0
		.amdhsa_uses_dynamic_stack 0
		.amdhsa_system_sgpr_private_segment_wavefront_offset 0
		.amdhsa_system_sgpr_workgroup_id_x 1
		.amdhsa_system_sgpr_workgroup_id_y 0
		.amdhsa_system_sgpr_workgroup_id_z 0
		.amdhsa_system_sgpr_workgroup_info 0
		.amdhsa_system_vgpr_workitem_id 0
		.amdhsa_next_free_vgpr 1
		.amdhsa_next_free_sgpr 0
		.amdhsa_accum_offset 4
		.amdhsa_reserve_vcc 0
		.amdhsa_reserve_flat_scratch 0
		.amdhsa_float_round_mode_32 0
		.amdhsa_float_round_mode_16_64 0
		.amdhsa_float_denorm_mode_32 3
		.amdhsa_float_denorm_mode_16_64 3
		.amdhsa_dx10_clamp 1
		.amdhsa_ieee_mode 1
		.amdhsa_fp16_overflow 0
		.amdhsa_tg_split 0
		.amdhsa_exception_fp_ieee_invalid_op 0
		.amdhsa_exception_fp_denorm_src 0
		.amdhsa_exception_fp_ieee_div_zero 0
		.amdhsa_exception_fp_ieee_overflow 0
		.amdhsa_exception_fp_ieee_underflow 0
		.amdhsa_exception_fp_ieee_inexact 0
		.amdhsa_exception_int_div_zero 0
	.end_amdhsa_kernel
	.section	.text._ZN7rocprim17ROCPRIM_400000_NS6detail17trampoline_kernelINS0_14default_configENS1_29reduce_by_key_config_selectorIjtN6thrust23THRUST_200600_302600_NS4plusItEEEEZZNS1_33reduce_by_key_impl_wrapped_configILNS1_25lookback_scan_determinismE0ES3_S9_NS6_6detail15normal_iteratorINS6_10device_ptrIjEEEENSD_INSE_ItEEEENS6_16discard_iteratorINS6_11use_defaultEEESI_PmS8_NS6_8equal_toIjEEEE10hipError_tPvRmT2_T3_mT4_T5_T6_T7_T8_P12ihipStream_tbENKUlT_T0_E_clISt17integral_constantIbLb0EES16_EEDaS11_S12_EUlS11_E_NS1_11comp_targetILNS1_3genE10ELNS1_11target_archE1201ELNS1_3gpuE5ELNS1_3repE0EEENS1_30default_config_static_selectorELNS0_4arch9wavefront6targetE1EEEvT1_,"axG",@progbits,_ZN7rocprim17ROCPRIM_400000_NS6detail17trampoline_kernelINS0_14default_configENS1_29reduce_by_key_config_selectorIjtN6thrust23THRUST_200600_302600_NS4plusItEEEEZZNS1_33reduce_by_key_impl_wrapped_configILNS1_25lookback_scan_determinismE0ES3_S9_NS6_6detail15normal_iteratorINS6_10device_ptrIjEEEENSD_INSE_ItEEEENS6_16discard_iteratorINS6_11use_defaultEEESI_PmS8_NS6_8equal_toIjEEEE10hipError_tPvRmT2_T3_mT4_T5_T6_T7_T8_P12ihipStream_tbENKUlT_T0_E_clISt17integral_constantIbLb0EES16_EEDaS11_S12_EUlS11_E_NS1_11comp_targetILNS1_3genE10ELNS1_11target_archE1201ELNS1_3gpuE5ELNS1_3repE0EEENS1_30default_config_static_selectorELNS0_4arch9wavefront6targetE1EEEvT1_,comdat
.Lfunc_end954:
	.size	_ZN7rocprim17ROCPRIM_400000_NS6detail17trampoline_kernelINS0_14default_configENS1_29reduce_by_key_config_selectorIjtN6thrust23THRUST_200600_302600_NS4plusItEEEEZZNS1_33reduce_by_key_impl_wrapped_configILNS1_25lookback_scan_determinismE0ES3_S9_NS6_6detail15normal_iteratorINS6_10device_ptrIjEEEENSD_INSE_ItEEEENS6_16discard_iteratorINS6_11use_defaultEEESI_PmS8_NS6_8equal_toIjEEEE10hipError_tPvRmT2_T3_mT4_T5_T6_T7_T8_P12ihipStream_tbENKUlT_T0_E_clISt17integral_constantIbLb0EES16_EEDaS11_S12_EUlS11_E_NS1_11comp_targetILNS1_3genE10ELNS1_11target_archE1201ELNS1_3gpuE5ELNS1_3repE0EEENS1_30default_config_static_selectorELNS0_4arch9wavefront6targetE1EEEvT1_, .Lfunc_end954-_ZN7rocprim17ROCPRIM_400000_NS6detail17trampoline_kernelINS0_14default_configENS1_29reduce_by_key_config_selectorIjtN6thrust23THRUST_200600_302600_NS4plusItEEEEZZNS1_33reduce_by_key_impl_wrapped_configILNS1_25lookback_scan_determinismE0ES3_S9_NS6_6detail15normal_iteratorINS6_10device_ptrIjEEEENSD_INSE_ItEEEENS6_16discard_iteratorINS6_11use_defaultEEESI_PmS8_NS6_8equal_toIjEEEE10hipError_tPvRmT2_T3_mT4_T5_T6_T7_T8_P12ihipStream_tbENKUlT_T0_E_clISt17integral_constantIbLb0EES16_EEDaS11_S12_EUlS11_E_NS1_11comp_targetILNS1_3genE10ELNS1_11target_archE1201ELNS1_3gpuE5ELNS1_3repE0EEENS1_30default_config_static_selectorELNS0_4arch9wavefront6targetE1EEEvT1_
                                        ; -- End function
	.section	.AMDGPU.csdata,"",@progbits
; Kernel info:
; codeLenInByte = 0
; NumSgprs: 4
; NumVgprs: 0
; NumAgprs: 0
; TotalNumVgprs: 0
; ScratchSize: 0
; MemoryBound: 0
; FloatMode: 240
; IeeeMode: 1
; LDSByteSize: 0 bytes/workgroup (compile time only)
; SGPRBlocks: 0
; VGPRBlocks: 0
; NumSGPRsForWavesPerEU: 4
; NumVGPRsForWavesPerEU: 1
; AccumOffset: 4
; Occupancy: 8
; WaveLimiterHint : 0
; COMPUTE_PGM_RSRC2:SCRATCH_EN: 0
; COMPUTE_PGM_RSRC2:USER_SGPR: 6
; COMPUTE_PGM_RSRC2:TRAP_HANDLER: 0
; COMPUTE_PGM_RSRC2:TGID_X_EN: 1
; COMPUTE_PGM_RSRC2:TGID_Y_EN: 0
; COMPUTE_PGM_RSRC2:TGID_Z_EN: 0
; COMPUTE_PGM_RSRC2:TIDIG_COMP_CNT: 0
; COMPUTE_PGM_RSRC3_GFX90A:ACCUM_OFFSET: 0
; COMPUTE_PGM_RSRC3_GFX90A:TG_SPLIT: 0
	.section	.text._ZN7rocprim17ROCPRIM_400000_NS6detail17trampoline_kernelINS0_14default_configENS1_29reduce_by_key_config_selectorIjtN6thrust23THRUST_200600_302600_NS4plusItEEEEZZNS1_33reduce_by_key_impl_wrapped_configILNS1_25lookback_scan_determinismE0ES3_S9_NS6_6detail15normal_iteratorINS6_10device_ptrIjEEEENSD_INSE_ItEEEENS6_16discard_iteratorINS6_11use_defaultEEESI_PmS8_NS6_8equal_toIjEEEE10hipError_tPvRmT2_T3_mT4_T5_T6_T7_T8_P12ihipStream_tbENKUlT_T0_E_clISt17integral_constantIbLb0EES16_EEDaS11_S12_EUlS11_E_NS1_11comp_targetILNS1_3genE10ELNS1_11target_archE1200ELNS1_3gpuE4ELNS1_3repE0EEENS1_30default_config_static_selectorELNS0_4arch9wavefront6targetE1EEEvT1_,"axG",@progbits,_ZN7rocprim17ROCPRIM_400000_NS6detail17trampoline_kernelINS0_14default_configENS1_29reduce_by_key_config_selectorIjtN6thrust23THRUST_200600_302600_NS4plusItEEEEZZNS1_33reduce_by_key_impl_wrapped_configILNS1_25lookback_scan_determinismE0ES3_S9_NS6_6detail15normal_iteratorINS6_10device_ptrIjEEEENSD_INSE_ItEEEENS6_16discard_iteratorINS6_11use_defaultEEESI_PmS8_NS6_8equal_toIjEEEE10hipError_tPvRmT2_T3_mT4_T5_T6_T7_T8_P12ihipStream_tbENKUlT_T0_E_clISt17integral_constantIbLb0EES16_EEDaS11_S12_EUlS11_E_NS1_11comp_targetILNS1_3genE10ELNS1_11target_archE1200ELNS1_3gpuE4ELNS1_3repE0EEENS1_30default_config_static_selectorELNS0_4arch9wavefront6targetE1EEEvT1_,comdat
	.protected	_ZN7rocprim17ROCPRIM_400000_NS6detail17trampoline_kernelINS0_14default_configENS1_29reduce_by_key_config_selectorIjtN6thrust23THRUST_200600_302600_NS4plusItEEEEZZNS1_33reduce_by_key_impl_wrapped_configILNS1_25lookback_scan_determinismE0ES3_S9_NS6_6detail15normal_iteratorINS6_10device_ptrIjEEEENSD_INSE_ItEEEENS6_16discard_iteratorINS6_11use_defaultEEESI_PmS8_NS6_8equal_toIjEEEE10hipError_tPvRmT2_T3_mT4_T5_T6_T7_T8_P12ihipStream_tbENKUlT_T0_E_clISt17integral_constantIbLb0EES16_EEDaS11_S12_EUlS11_E_NS1_11comp_targetILNS1_3genE10ELNS1_11target_archE1200ELNS1_3gpuE4ELNS1_3repE0EEENS1_30default_config_static_selectorELNS0_4arch9wavefront6targetE1EEEvT1_ ; -- Begin function _ZN7rocprim17ROCPRIM_400000_NS6detail17trampoline_kernelINS0_14default_configENS1_29reduce_by_key_config_selectorIjtN6thrust23THRUST_200600_302600_NS4plusItEEEEZZNS1_33reduce_by_key_impl_wrapped_configILNS1_25lookback_scan_determinismE0ES3_S9_NS6_6detail15normal_iteratorINS6_10device_ptrIjEEEENSD_INSE_ItEEEENS6_16discard_iteratorINS6_11use_defaultEEESI_PmS8_NS6_8equal_toIjEEEE10hipError_tPvRmT2_T3_mT4_T5_T6_T7_T8_P12ihipStream_tbENKUlT_T0_E_clISt17integral_constantIbLb0EES16_EEDaS11_S12_EUlS11_E_NS1_11comp_targetILNS1_3genE10ELNS1_11target_archE1200ELNS1_3gpuE4ELNS1_3repE0EEENS1_30default_config_static_selectorELNS0_4arch9wavefront6targetE1EEEvT1_
	.globl	_ZN7rocprim17ROCPRIM_400000_NS6detail17trampoline_kernelINS0_14default_configENS1_29reduce_by_key_config_selectorIjtN6thrust23THRUST_200600_302600_NS4plusItEEEEZZNS1_33reduce_by_key_impl_wrapped_configILNS1_25lookback_scan_determinismE0ES3_S9_NS6_6detail15normal_iteratorINS6_10device_ptrIjEEEENSD_INSE_ItEEEENS6_16discard_iteratorINS6_11use_defaultEEESI_PmS8_NS6_8equal_toIjEEEE10hipError_tPvRmT2_T3_mT4_T5_T6_T7_T8_P12ihipStream_tbENKUlT_T0_E_clISt17integral_constantIbLb0EES16_EEDaS11_S12_EUlS11_E_NS1_11comp_targetILNS1_3genE10ELNS1_11target_archE1200ELNS1_3gpuE4ELNS1_3repE0EEENS1_30default_config_static_selectorELNS0_4arch9wavefront6targetE1EEEvT1_
	.p2align	8
	.type	_ZN7rocprim17ROCPRIM_400000_NS6detail17trampoline_kernelINS0_14default_configENS1_29reduce_by_key_config_selectorIjtN6thrust23THRUST_200600_302600_NS4plusItEEEEZZNS1_33reduce_by_key_impl_wrapped_configILNS1_25lookback_scan_determinismE0ES3_S9_NS6_6detail15normal_iteratorINS6_10device_ptrIjEEEENSD_INSE_ItEEEENS6_16discard_iteratorINS6_11use_defaultEEESI_PmS8_NS6_8equal_toIjEEEE10hipError_tPvRmT2_T3_mT4_T5_T6_T7_T8_P12ihipStream_tbENKUlT_T0_E_clISt17integral_constantIbLb0EES16_EEDaS11_S12_EUlS11_E_NS1_11comp_targetILNS1_3genE10ELNS1_11target_archE1200ELNS1_3gpuE4ELNS1_3repE0EEENS1_30default_config_static_selectorELNS0_4arch9wavefront6targetE1EEEvT1_,@function
_ZN7rocprim17ROCPRIM_400000_NS6detail17trampoline_kernelINS0_14default_configENS1_29reduce_by_key_config_selectorIjtN6thrust23THRUST_200600_302600_NS4plusItEEEEZZNS1_33reduce_by_key_impl_wrapped_configILNS1_25lookback_scan_determinismE0ES3_S9_NS6_6detail15normal_iteratorINS6_10device_ptrIjEEEENSD_INSE_ItEEEENS6_16discard_iteratorINS6_11use_defaultEEESI_PmS8_NS6_8equal_toIjEEEE10hipError_tPvRmT2_T3_mT4_T5_T6_T7_T8_P12ihipStream_tbENKUlT_T0_E_clISt17integral_constantIbLb0EES16_EEDaS11_S12_EUlS11_E_NS1_11comp_targetILNS1_3genE10ELNS1_11target_archE1200ELNS1_3gpuE4ELNS1_3repE0EEENS1_30default_config_static_selectorELNS0_4arch9wavefront6targetE1EEEvT1_: ; @_ZN7rocprim17ROCPRIM_400000_NS6detail17trampoline_kernelINS0_14default_configENS1_29reduce_by_key_config_selectorIjtN6thrust23THRUST_200600_302600_NS4plusItEEEEZZNS1_33reduce_by_key_impl_wrapped_configILNS1_25lookback_scan_determinismE0ES3_S9_NS6_6detail15normal_iteratorINS6_10device_ptrIjEEEENSD_INSE_ItEEEENS6_16discard_iteratorINS6_11use_defaultEEESI_PmS8_NS6_8equal_toIjEEEE10hipError_tPvRmT2_T3_mT4_T5_T6_T7_T8_P12ihipStream_tbENKUlT_T0_E_clISt17integral_constantIbLb0EES16_EEDaS11_S12_EUlS11_E_NS1_11comp_targetILNS1_3genE10ELNS1_11target_archE1200ELNS1_3gpuE4ELNS1_3repE0EEENS1_30default_config_static_selectorELNS0_4arch9wavefront6targetE1EEEvT1_
; %bb.0:
	.section	.rodata,"a",@progbits
	.p2align	6, 0x0
	.amdhsa_kernel _ZN7rocprim17ROCPRIM_400000_NS6detail17trampoline_kernelINS0_14default_configENS1_29reduce_by_key_config_selectorIjtN6thrust23THRUST_200600_302600_NS4plusItEEEEZZNS1_33reduce_by_key_impl_wrapped_configILNS1_25lookback_scan_determinismE0ES3_S9_NS6_6detail15normal_iteratorINS6_10device_ptrIjEEEENSD_INSE_ItEEEENS6_16discard_iteratorINS6_11use_defaultEEESI_PmS8_NS6_8equal_toIjEEEE10hipError_tPvRmT2_T3_mT4_T5_T6_T7_T8_P12ihipStream_tbENKUlT_T0_E_clISt17integral_constantIbLb0EES16_EEDaS11_S12_EUlS11_E_NS1_11comp_targetILNS1_3genE10ELNS1_11target_archE1200ELNS1_3gpuE4ELNS1_3repE0EEENS1_30default_config_static_selectorELNS0_4arch9wavefront6targetE1EEEvT1_
		.amdhsa_group_segment_fixed_size 0
		.amdhsa_private_segment_fixed_size 0
		.amdhsa_kernarg_size 128
		.amdhsa_user_sgpr_count 6
		.amdhsa_user_sgpr_private_segment_buffer 1
		.amdhsa_user_sgpr_dispatch_ptr 0
		.amdhsa_user_sgpr_queue_ptr 0
		.amdhsa_user_sgpr_kernarg_segment_ptr 1
		.amdhsa_user_sgpr_dispatch_id 0
		.amdhsa_user_sgpr_flat_scratch_init 0
		.amdhsa_user_sgpr_kernarg_preload_length 0
		.amdhsa_user_sgpr_kernarg_preload_offset 0
		.amdhsa_user_sgpr_private_segment_size 0
		.amdhsa_uses_dynamic_stack 0
		.amdhsa_system_sgpr_private_segment_wavefront_offset 0
		.amdhsa_system_sgpr_workgroup_id_x 1
		.amdhsa_system_sgpr_workgroup_id_y 0
		.amdhsa_system_sgpr_workgroup_id_z 0
		.amdhsa_system_sgpr_workgroup_info 0
		.amdhsa_system_vgpr_workitem_id 0
		.amdhsa_next_free_vgpr 1
		.amdhsa_next_free_sgpr 0
		.amdhsa_accum_offset 4
		.amdhsa_reserve_vcc 0
		.amdhsa_reserve_flat_scratch 0
		.amdhsa_float_round_mode_32 0
		.amdhsa_float_round_mode_16_64 0
		.amdhsa_float_denorm_mode_32 3
		.amdhsa_float_denorm_mode_16_64 3
		.amdhsa_dx10_clamp 1
		.amdhsa_ieee_mode 1
		.amdhsa_fp16_overflow 0
		.amdhsa_tg_split 0
		.amdhsa_exception_fp_ieee_invalid_op 0
		.amdhsa_exception_fp_denorm_src 0
		.amdhsa_exception_fp_ieee_div_zero 0
		.amdhsa_exception_fp_ieee_overflow 0
		.amdhsa_exception_fp_ieee_underflow 0
		.amdhsa_exception_fp_ieee_inexact 0
		.amdhsa_exception_int_div_zero 0
	.end_amdhsa_kernel
	.section	.text._ZN7rocprim17ROCPRIM_400000_NS6detail17trampoline_kernelINS0_14default_configENS1_29reduce_by_key_config_selectorIjtN6thrust23THRUST_200600_302600_NS4plusItEEEEZZNS1_33reduce_by_key_impl_wrapped_configILNS1_25lookback_scan_determinismE0ES3_S9_NS6_6detail15normal_iteratorINS6_10device_ptrIjEEEENSD_INSE_ItEEEENS6_16discard_iteratorINS6_11use_defaultEEESI_PmS8_NS6_8equal_toIjEEEE10hipError_tPvRmT2_T3_mT4_T5_T6_T7_T8_P12ihipStream_tbENKUlT_T0_E_clISt17integral_constantIbLb0EES16_EEDaS11_S12_EUlS11_E_NS1_11comp_targetILNS1_3genE10ELNS1_11target_archE1200ELNS1_3gpuE4ELNS1_3repE0EEENS1_30default_config_static_selectorELNS0_4arch9wavefront6targetE1EEEvT1_,"axG",@progbits,_ZN7rocprim17ROCPRIM_400000_NS6detail17trampoline_kernelINS0_14default_configENS1_29reduce_by_key_config_selectorIjtN6thrust23THRUST_200600_302600_NS4plusItEEEEZZNS1_33reduce_by_key_impl_wrapped_configILNS1_25lookback_scan_determinismE0ES3_S9_NS6_6detail15normal_iteratorINS6_10device_ptrIjEEEENSD_INSE_ItEEEENS6_16discard_iteratorINS6_11use_defaultEEESI_PmS8_NS6_8equal_toIjEEEE10hipError_tPvRmT2_T3_mT4_T5_T6_T7_T8_P12ihipStream_tbENKUlT_T0_E_clISt17integral_constantIbLb0EES16_EEDaS11_S12_EUlS11_E_NS1_11comp_targetILNS1_3genE10ELNS1_11target_archE1200ELNS1_3gpuE4ELNS1_3repE0EEENS1_30default_config_static_selectorELNS0_4arch9wavefront6targetE1EEEvT1_,comdat
.Lfunc_end955:
	.size	_ZN7rocprim17ROCPRIM_400000_NS6detail17trampoline_kernelINS0_14default_configENS1_29reduce_by_key_config_selectorIjtN6thrust23THRUST_200600_302600_NS4plusItEEEEZZNS1_33reduce_by_key_impl_wrapped_configILNS1_25lookback_scan_determinismE0ES3_S9_NS6_6detail15normal_iteratorINS6_10device_ptrIjEEEENSD_INSE_ItEEEENS6_16discard_iteratorINS6_11use_defaultEEESI_PmS8_NS6_8equal_toIjEEEE10hipError_tPvRmT2_T3_mT4_T5_T6_T7_T8_P12ihipStream_tbENKUlT_T0_E_clISt17integral_constantIbLb0EES16_EEDaS11_S12_EUlS11_E_NS1_11comp_targetILNS1_3genE10ELNS1_11target_archE1200ELNS1_3gpuE4ELNS1_3repE0EEENS1_30default_config_static_selectorELNS0_4arch9wavefront6targetE1EEEvT1_, .Lfunc_end955-_ZN7rocprim17ROCPRIM_400000_NS6detail17trampoline_kernelINS0_14default_configENS1_29reduce_by_key_config_selectorIjtN6thrust23THRUST_200600_302600_NS4plusItEEEEZZNS1_33reduce_by_key_impl_wrapped_configILNS1_25lookback_scan_determinismE0ES3_S9_NS6_6detail15normal_iteratorINS6_10device_ptrIjEEEENSD_INSE_ItEEEENS6_16discard_iteratorINS6_11use_defaultEEESI_PmS8_NS6_8equal_toIjEEEE10hipError_tPvRmT2_T3_mT4_T5_T6_T7_T8_P12ihipStream_tbENKUlT_T0_E_clISt17integral_constantIbLb0EES16_EEDaS11_S12_EUlS11_E_NS1_11comp_targetILNS1_3genE10ELNS1_11target_archE1200ELNS1_3gpuE4ELNS1_3repE0EEENS1_30default_config_static_selectorELNS0_4arch9wavefront6targetE1EEEvT1_
                                        ; -- End function
	.section	.AMDGPU.csdata,"",@progbits
; Kernel info:
; codeLenInByte = 0
; NumSgprs: 4
; NumVgprs: 0
; NumAgprs: 0
; TotalNumVgprs: 0
; ScratchSize: 0
; MemoryBound: 0
; FloatMode: 240
; IeeeMode: 1
; LDSByteSize: 0 bytes/workgroup (compile time only)
; SGPRBlocks: 0
; VGPRBlocks: 0
; NumSGPRsForWavesPerEU: 4
; NumVGPRsForWavesPerEU: 1
; AccumOffset: 4
; Occupancy: 8
; WaveLimiterHint : 0
; COMPUTE_PGM_RSRC2:SCRATCH_EN: 0
; COMPUTE_PGM_RSRC2:USER_SGPR: 6
; COMPUTE_PGM_RSRC2:TRAP_HANDLER: 0
; COMPUTE_PGM_RSRC2:TGID_X_EN: 1
; COMPUTE_PGM_RSRC2:TGID_Y_EN: 0
; COMPUTE_PGM_RSRC2:TGID_Z_EN: 0
; COMPUTE_PGM_RSRC2:TIDIG_COMP_CNT: 0
; COMPUTE_PGM_RSRC3_GFX90A:ACCUM_OFFSET: 0
; COMPUTE_PGM_RSRC3_GFX90A:TG_SPLIT: 0
	.section	.text._ZN7rocprim17ROCPRIM_400000_NS6detail17trampoline_kernelINS0_14default_configENS1_29reduce_by_key_config_selectorIjtN6thrust23THRUST_200600_302600_NS4plusItEEEEZZNS1_33reduce_by_key_impl_wrapped_configILNS1_25lookback_scan_determinismE0ES3_S9_NS6_6detail15normal_iteratorINS6_10device_ptrIjEEEENSD_INSE_ItEEEENS6_16discard_iteratorINS6_11use_defaultEEESI_PmS8_NS6_8equal_toIjEEEE10hipError_tPvRmT2_T3_mT4_T5_T6_T7_T8_P12ihipStream_tbENKUlT_T0_E_clISt17integral_constantIbLb0EES16_EEDaS11_S12_EUlS11_E_NS1_11comp_targetILNS1_3genE9ELNS1_11target_archE1100ELNS1_3gpuE3ELNS1_3repE0EEENS1_30default_config_static_selectorELNS0_4arch9wavefront6targetE1EEEvT1_,"axG",@progbits,_ZN7rocprim17ROCPRIM_400000_NS6detail17trampoline_kernelINS0_14default_configENS1_29reduce_by_key_config_selectorIjtN6thrust23THRUST_200600_302600_NS4plusItEEEEZZNS1_33reduce_by_key_impl_wrapped_configILNS1_25lookback_scan_determinismE0ES3_S9_NS6_6detail15normal_iteratorINS6_10device_ptrIjEEEENSD_INSE_ItEEEENS6_16discard_iteratorINS6_11use_defaultEEESI_PmS8_NS6_8equal_toIjEEEE10hipError_tPvRmT2_T3_mT4_T5_T6_T7_T8_P12ihipStream_tbENKUlT_T0_E_clISt17integral_constantIbLb0EES16_EEDaS11_S12_EUlS11_E_NS1_11comp_targetILNS1_3genE9ELNS1_11target_archE1100ELNS1_3gpuE3ELNS1_3repE0EEENS1_30default_config_static_selectorELNS0_4arch9wavefront6targetE1EEEvT1_,comdat
	.protected	_ZN7rocprim17ROCPRIM_400000_NS6detail17trampoline_kernelINS0_14default_configENS1_29reduce_by_key_config_selectorIjtN6thrust23THRUST_200600_302600_NS4plusItEEEEZZNS1_33reduce_by_key_impl_wrapped_configILNS1_25lookback_scan_determinismE0ES3_S9_NS6_6detail15normal_iteratorINS6_10device_ptrIjEEEENSD_INSE_ItEEEENS6_16discard_iteratorINS6_11use_defaultEEESI_PmS8_NS6_8equal_toIjEEEE10hipError_tPvRmT2_T3_mT4_T5_T6_T7_T8_P12ihipStream_tbENKUlT_T0_E_clISt17integral_constantIbLb0EES16_EEDaS11_S12_EUlS11_E_NS1_11comp_targetILNS1_3genE9ELNS1_11target_archE1100ELNS1_3gpuE3ELNS1_3repE0EEENS1_30default_config_static_selectorELNS0_4arch9wavefront6targetE1EEEvT1_ ; -- Begin function _ZN7rocprim17ROCPRIM_400000_NS6detail17trampoline_kernelINS0_14default_configENS1_29reduce_by_key_config_selectorIjtN6thrust23THRUST_200600_302600_NS4plusItEEEEZZNS1_33reduce_by_key_impl_wrapped_configILNS1_25lookback_scan_determinismE0ES3_S9_NS6_6detail15normal_iteratorINS6_10device_ptrIjEEEENSD_INSE_ItEEEENS6_16discard_iteratorINS6_11use_defaultEEESI_PmS8_NS6_8equal_toIjEEEE10hipError_tPvRmT2_T3_mT4_T5_T6_T7_T8_P12ihipStream_tbENKUlT_T0_E_clISt17integral_constantIbLb0EES16_EEDaS11_S12_EUlS11_E_NS1_11comp_targetILNS1_3genE9ELNS1_11target_archE1100ELNS1_3gpuE3ELNS1_3repE0EEENS1_30default_config_static_selectorELNS0_4arch9wavefront6targetE1EEEvT1_
	.globl	_ZN7rocprim17ROCPRIM_400000_NS6detail17trampoline_kernelINS0_14default_configENS1_29reduce_by_key_config_selectorIjtN6thrust23THRUST_200600_302600_NS4plusItEEEEZZNS1_33reduce_by_key_impl_wrapped_configILNS1_25lookback_scan_determinismE0ES3_S9_NS6_6detail15normal_iteratorINS6_10device_ptrIjEEEENSD_INSE_ItEEEENS6_16discard_iteratorINS6_11use_defaultEEESI_PmS8_NS6_8equal_toIjEEEE10hipError_tPvRmT2_T3_mT4_T5_T6_T7_T8_P12ihipStream_tbENKUlT_T0_E_clISt17integral_constantIbLb0EES16_EEDaS11_S12_EUlS11_E_NS1_11comp_targetILNS1_3genE9ELNS1_11target_archE1100ELNS1_3gpuE3ELNS1_3repE0EEENS1_30default_config_static_selectorELNS0_4arch9wavefront6targetE1EEEvT1_
	.p2align	8
	.type	_ZN7rocprim17ROCPRIM_400000_NS6detail17trampoline_kernelINS0_14default_configENS1_29reduce_by_key_config_selectorIjtN6thrust23THRUST_200600_302600_NS4plusItEEEEZZNS1_33reduce_by_key_impl_wrapped_configILNS1_25lookback_scan_determinismE0ES3_S9_NS6_6detail15normal_iteratorINS6_10device_ptrIjEEEENSD_INSE_ItEEEENS6_16discard_iteratorINS6_11use_defaultEEESI_PmS8_NS6_8equal_toIjEEEE10hipError_tPvRmT2_T3_mT4_T5_T6_T7_T8_P12ihipStream_tbENKUlT_T0_E_clISt17integral_constantIbLb0EES16_EEDaS11_S12_EUlS11_E_NS1_11comp_targetILNS1_3genE9ELNS1_11target_archE1100ELNS1_3gpuE3ELNS1_3repE0EEENS1_30default_config_static_selectorELNS0_4arch9wavefront6targetE1EEEvT1_,@function
_ZN7rocprim17ROCPRIM_400000_NS6detail17trampoline_kernelINS0_14default_configENS1_29reduce_by_key_config_selectorIjtN6thrust23THRUST_200600_302600_NS4plusItEEEEZZNS1_33reduce_by_key_impl_wrapped_configILNS1_25lookback_scan_determinismE0ES3_S9_NS6_6detail15normal_iteratorINS6_10device_ptrIjEEEENSD_INSE_ItEEEENS6_16discard_iteratorINS6_11use_defaultEEESI_PmS8_NS6_8equal_toIjEEEE10hipError_tPvRmT2_T3_mT4_T5_T6_T7_T8_P12ihipStream_tbENKUlT_T0_E_clISt17integral_constantIbLb0EES16_EEDaS11_S12_EUlS11_E_NS1_11comp_targetILNS1_3genE9ELNS1_11target_archE1100ELNS1_3gpuE3ELNS1_3repE0EEENS1_30default_config_static_selectorELNS0_4arch9wavefront6targetE1EEEvT1_: ; @_ZN7rocprim17ROCPRIM_400000_NS6detail17trampoline_kernelINS0_14default_configENS1_29reduce_by_key_config_selectorIjtN6thrust23THRUST_200600_302600_NS4plusItEEEEZZNS1_33reduce_by_key_impl_wrapped_configILNS1_25lookback_scan_determinismE0ES3_S9_NS6_6detail15normal_iteratorINS6_10device_ptrIjEEEENSD_INSE_ItEEEENS6_16discard_iteratorINS6_11use_defaultEEESI_PmS8_NS6_8equal_toIjEEEE10hipError_tPvRmT2_T3_mT4_T5_T6_T7_T8_P12ihipStream_tbENKUlT_T0_E_clISt17integral_constantIbLb0EES16_EEDaS11_S12_EUlS11_E_NS1_11comp_targetILNS1_3genE9ELNS1_11target_archE1100ELNS1_3gpuE3ELNS1_3repE0EEENS1_30default_config_static_selectorELNS0_4arch9wavefront6targetE1EEEvT1_
; %bb.0:
	.section	.rodata,"a",@progbits
	.p2align	6, 0x0
	.amdhsa_kernel _ZN7rocprim17ROCPRIM_400000_NS6detail17trampoline_kernelINS0_14default_configENS1_29reduce_by_key_config_selectorIjtN6thrust23THRUST_200600_302600_NS4plusItEEEEZZNS1_33reduce_by_key_impl_wrapped_configILNS1_25lookback_scan_determinismE0ES3_S9_NS6_6detail15normal_iteratorINS6_10device_ptrIjEEEENSD_INSE_ItEEEENS6_16discard_iteratorINS6_11use_defaultEEESI_PmS8_NS6_8equal_toIjEEEE10hipError_tPvRmT2_T3_mT4_T5_T6_T7_T8_P12ihipStream_tbENKUlT_T0_E_clISt17integral_constantIbLb0EES16_EEDaS11_S12_EUlS11_E_NS1_11comp_targetILNS1_3genE9ELNS1_11target_archE1100ELNS1_3gpuE3ELNS1_3repE0EEENS1_30default_config_static_selectorELNS0_4arch9wavefront6targetE1EEEvT1_
		.amdhsa_group_segment_fixed_size 0
		.amdhsa_private_segment_fixed_size 0
		.amdhsa_kernarg_size 128
		.amdhsa_user_sgpr_count 6
		.amdhsa_user_sgpr_private_segment_buffer 1
		.amdhsa_user_sgpr_dispatch_ptr 0
		.amdhsa_user_sgpr_queue_ptr 0
		.amdhsa_user_sgpr_kernarg_segment_ptr 1
		.amdhsa_user_sgpr_dispatch_id 0
		.amdhsa_user_sgpr_flat_scratch_init 0
		.amdhsa_user_sgpr_kernarg_preload_length 0
		.amdhsa_user_sgpr_kernarg_preload_offset 0
		.amdhsa_user_sgpr_private_segment_size 0
		.amdhsa_uses_dynamic_stack 0
		.amdhsa_system_sgpr_private_segment_wavefront_offset 0
		.amdhsa_system_sgpr_workgroup_id_x 1
		.amdhsa_system_sgpr_workgroup_id_y 0
		.amdhsa_system_sgpr_workgroup_id_z 0
		.amdhsa_system_sgpr_workgroup_info 0
		.amdhsa_system_vgpr_workitem_id 0
		.amdhsa_next_free_vgpr 1
		.amdhsa_next_free_sgpr 0
		.amdhsa_accum_offset 4
		.amdhsa_reserve_vcc 0
		.amdhsa_reserve_flat_scratch 0
		.amdhsa_float_round_mode_32 0
		.amdhsa_float_round_mode_16_64 0
		.amdhsa_float_denorm_mode_32 3
		.amdhsa_float_denorm_mode_16_64 3
		.amdhsa_dx10_clamp 1
		.amdhsa_ieee_mode 1
		.amdhsa_fp16_overflow 0
		.amdhsa_tg_split 0
		.amdhsa_exception_fp_ieee_invalid_op 0
		.amdhsa_exception_fp_denorm_src 0
		.amdhsa_exception_fp_ieee_div_zero 0
		.amdhsa_exception_fp_ieee_overflow 0
		.amdhsa_exception_fp_ieee_underflow 0
		.amdhsa_exception_fp_ieee_inexact 0
		.amdhsa_exception_int_div_zero 0
	.end_amdhsa_kernel
	.section	.text._ZN7rocprim17ROCPRIM_400000_NS6detail17trampoline_kernelINS0_14default_configENS1_29reduce_by_key_config_selectorIjtN6thrust23THRUST_200600_302600_NS4plusItEEEEZZNS1_33reduce_by_key_impl_wrapped_configILNS1_25lookback_scan_determinismE0ES3_S9_NS6_6detail15normal_iteratorINS6_10device_ptrIjEEEENSD_INSE_ItEEEENS6_16discard_iteratorINS6_11use_defaultEEESI_PmS8_NS6_8equal_toIjEEEE10hipError_tPvRmT2_T3_mT4_T5_T6_T7_T8_P12ihipStream_tbENKUlT_T0_E_clISt17integral_constantIbLb0EES16_EEDaS11_S12_EUlS11_E_NS1_11comp_targetILNS1_3genE9ELNS1_11target_archE1100ELNS1_3gpuE3ELNS1_3repE0EEENS1_30default_config_static_selectorELNS0_4arch9wavefront6targetE1EEEvT1_,"axG",@progbits,_ZN7rocprim17ROCPRIM_400000_NS6detail17trampoline_kernelINS0_14default_configENS1_29reduce_by_key_config_selectorIjtN6thrust23THRUST_200600_302600_NS4plusItEEEEZZNS1_33reduce_by_key_impl_wrapped_configILNS1_25lookback_scan_determinismE0ES3_S9_NS6_6detail15normal_iteratorINS6_10device_ptrIjEEEENSD_INSE_ItEEEENS6_16discard_iteratorINS6_11use_defaultEEESI_PmS8_NS6_8equal_toIjEEEE10hipError_tPvRmT2_T3_mT4_T5_T6_T7_T8_P12ihipStream_tbENKUlT_T0_E_clISt17integral_constantIbLb0EES16_EEDaS11_S12_EUlS11_E_NS1_11comp_targetILNS1_3genE9ELNS1_11target_archE1100ELNS1_3gpuE3ELNS1_3repE0EEENS1_30default_config_static_selectorELNS0_4arch9wavefront6targetE1EEEvT1_,comdat
.Lfunc_end956:
	.size	_ZN7rocprim17ROCPRIM_400000_NS6detail17trampoline_kernelINS0_14default_configENS1_29reduce_by_key_config_selectorIjtN6thrust23THRUST_200600_302600_NS4plusItEEEEZZNS1_33reduce_by_key_impl_wrapped_configILNS1_25lookback_scan_determinismE0ES3_S9_NS6_6detail15normal_iteratorINS6_10device_ptrIjEEEENSD_INSE_ItEEEENS6_16discard_iteratorINS6_11use_defaultEEESI_PmS8_NS6_8equal_toIjEEEE10hipError_tPvRmT2_T3_mT4_T5_T6_T7_T8_P12ihipStream_tbENKUlT_T0_E_clISt17integral_constantIbLb0EES16_EEDaS11_S12_EUlS11_E_NS1_11comp_targetILNS1_3genE9ELNS1_11target_archE1100ELNS1_3gpuE3ELNS1_3repE0EEENS1_30default_config_static_selectorELNS0_4arch9wavefront6targetE1EEEvT1_, .Lfunc_end956-_ZN7rocprim17ROCPRIM_400000_NS6detail17trampoline_kernelINS0_14default_configENS1_29reduce_by_key_config_selectorIjtN6thrust23THRUST_200600_302600_NS4plusItEEEEZZNS1_33reduce_by_key_impl_wrapped_configILNS1_25lookback_scan_determinismE0ES3_S9_NS6_6detail15normal_iteratorINS6_10device_ptrIjEEEENSD_INSE_ItEEEENS6_16discard_iteratorINS6_11use_defaultEEESI_PmS8_NS6_8equal_toIjEEEE10hipError_tPvRmT2_T3_mT4_T5_T6_T7_T8_P12ihipStream_tbENKUlT_T0_E_clISt17integral_constantIbLb0EES16_EEDaS11_S12_EUlS11_E_NS1_11comp_targetILNS1_3genE9ELNS1_11target_archE1100ELNS1_3gpuE3ELNS1_3repE0EEENS1_30default_config_static_selectorELNS0_4arch9wavefront6targetE1EEEvT1_
                                        ; -- End function
	.section	.AMDGPU.csdata,"",@progbits
; Kernel info:
; codeLenInByte = 0
; NumSgprs: 4
; NumVgprs: 0
; NumAgprs: 0
; TotalNumVgprs: 0
; ScratchSize: 0
; MemoryBound: 0
; FloatMode: 240
; IeeeMode: 1
; LDSByteSize: 0 bytes/workgroup (compile time only)
; SGPRBlocks: 0
; VGPRBlocks: 0
; NumSGPRsForWavesPerEU: 4
; NumVGPRsForWavesPerEU: 1
; AccumOffset: 4
; Occupancy: 8
; WaveLimiterHint : 0
; COMPUTE_PGM_RSRC2:SCRATCH_EN: 0
; COMPUTE_PGM_RSRC2:USER_SGPR: 6
; COMPUTE_PGM_RSRC2:TRAP_HANDLER: 0
; COMPUTE_PGM_RSRC2:TGID_X_EN: 1
; COMPUTE_PGM_RSRC2:TGID_Y_EN: 0
; COMPUTE_PGM_RSRC2:TGID_Z_EN: 0
; COMPUTE_PGM_RSRC2:TIDIG_COMP_CNT: 0
; COMPUTE_PGM_RSRC3_GFX90A:ACCUM_OFFSET: 0
; COMPUTE_PGM_RSRC3_GFX90A:TG_SPLIT: 0
	.section	.text._ZN7rocprim17ROCPRIM_400000_NS6detail17trampoline_kernelINS0_14default_configENS1_29reduce_by_key_config_selectorIjtN6thrust23THRUST_200600_302600_NS4plusItEEEEZZNS1_33reduce_by_key_impl_wrapped_configILNS1_25lookback_scan_determinismE0ES3_S9_NS6_6detail15normal_iteratorINS6_10device_ptrIjEEEENSD_INSE_ItEEEENS6_16discard_iteratorINS6_11use_defaultEEESI_PmS8_NS6_8equal_toIjEEEE10hipError_tPvRmT2_T3_mT4_T5_T6_T7_T8_P12ihipStream_tbENKUlT_T0_E_clISt17integral_constantIbLb0EES16_EEDaS11_S12_EUlS11_E_NS1_11comp_targetILNS1_3genE8ELNS1_11target_archE1030ELNS1_3gpuE2ELNS1_3repE0EEENS1_30default_config_static_selectorELNS0_4arch9wavefront6targetE1EEEvT1_,"axG",@progbits,_ZN7rocprim17ROCPRIM_400000_NS6detail17trampoline_kernelINS0_14default_configENS1_29reduce_by_key_config_selectorIjtN6thrust23THRUST_200600_302600_NS4plusItEEEEZZNS1_33reduce_by_key_impl_wrapped_configILNS1_25lookback_scan_determinismE0ES3_S9_NS6_6detail15normal_iteratorINS6_10device_ptrIjEEEENSD_INSE_ItEEEENS6_16discard_iteratorINS6_11use_defaultEEESI_PmS8_NS6_8equal_toIjEEEE10hipError_tPvRmT2_T3_mT4_T5_T6_T7_T8_P12ihipStream_tbENKUlT_T0_E_clISt17integral_constantIbLb0EES16_EEDaS11_S12_EUlS11_E_NS1_11comp_targetILNS1_3genE8ELNS1_11target_archE1030ELNS1_3gpuE2ELNS1_3repE0EEENS1_30default_config_static_selectorELNS0_4arch9wavefront6targetE1EEEvT1_,comdat
	.protected	_ZN7rocprim17ROCPRIM_400000_NS6detail17trampoline_kernelINS0_14default_configENS1_29reduce_by_key_config_selectorIjtN6thrust23THRUST_200600_302600_NS4plusItEEEEZZNS1_33reduce_by_key_impl_wrapped_configILNS1_25lookback_scan_determinismE0ES3_S9_NS6_6detail15normal_iteratorINS6_10device_ptrIjEEEENSD_INSE_ItEEEENS6_16discard_iteratorINS6_11use_defaultEEESI_PmS8_NS6_8equal_toIjEEEE10hipError_tPvRmT2_T3_mT4_T5_T6_T7_T8_P12ihipStream_tbENKUlT_T0_E_clISt17integral_constantIbLb0EES16_EEDaS11_S12_EUlS11_E_NS1_11comp_targetILNS1_3genE8ELNS1_11target_archE1030ELNS1_3gpuE2ELNS1_3repE0EEENS1_30default_config_static_selectorELNS0_4arch9wavefront6targetE1EEEvT1_ ; -- Begin function _ZN7rocprim17ROCPRIM_400000_NS6detail17trampoline_kernelINS0_14default_configENS1_29reduce_by_key_config_selectorIjtN6thrust23THRUST_200600_302600_NS4plusItEEEEZZNS1_33reduce_by_key_impl_wrapped_configILNS1_25lookback_scan_determinismE0ES3_S9_NS6_6detail15normal_iteratorINS6_10device_ptrIjEEEENSD_INSE_ItEEEENS6_16discard_iteratorINS6_11use_defaultEEESI_PmS8_NS6_8equal_toIjEEEE10hipError_tPvRmT2_T3_mT4_T5_T6_T7_T8_P12ihipStream_tbENKUlT_T0_E_clISt17integral_constantIbLb0EES16_EEDaS11_S12_EUlS11_E_NS1_11comp_targetILNS1_3genE8ELNS1_11target_archE1030ELNS1_3gpuE2ELNS1_3repE0EEENS1_30default_config_static_selectorELNS0_4arch9wavefront6targetE1EEEvT1_
	.globl	_ZN7rocprim17ROCPRIM_400000_NS6detail17trampoline_kernelINS0_14default_configENS1_29reduce_by_key_config_selectorIjtN6thrust23THRUST_200600_302600_NS4plusItEEEEZZNS1_33reduce_by_key_impl_wrapped_configILNS1_25lookback_scan_determinismE0ES3_S9_NS6_6detail15normal_iteratorINS6_10device_ptrIjEEEENSD_INSE_ItEEEENS6_16discard_iteratorINS6_11use_defaultEEESI_PmS8_NS6_8equal_toIjEEEE10hipError_tPvRmT2_T3_mT4_T5_T6_T7_T8_P12ihipStream_tbENKUlT_T0_E_clISt17integral_constantIbLb0EES16_EEDaS11_S12_EUlS11_E_NS1_11comp_targetILNS1_3genE8ELNS1_11target_archE1030ELNS1_3gpuE2ELNS1_3repE0EEENS1_30default_config_static_selectorELNS0_4arch9wavefront6targetE1EEEvT1_
	.p2align	8
	.type	_ZN7rocprim17ROCPRIM_400000_NS6detail17trampoline_kernelINS0_14default_configENS1_29reduce_by_key_config_selectorIjtN6thrust23THRUST_200600_302600_NS4plusItEEEEZZNS1_33reduce_by_key_impl_wrapped_configILNS1_25lookback_scan_determinismE0ES3_S9_NS6_6detail15normal_iteratorINS6_10device_ptrIjEEEENSD_INSE_ItEEEENS6_16discard_iteratorINS6_11use_defaultEEESI_PmS8_NS6_8equal_toIjEEEE10hipError_tPvRmT2_T3_mT4_T5_T6_T7_T8_P12ihipStream_tbENKUlT_T0_E_clISt17integral_constantIbLb0EES16_EEDaS11_S12_EUlS11_E_NS1_11comp_targetILNS1_3genE8ELNS1_11target_archE1030ELNS1_3gpuE2ELNS1_3repE0EEENS1_30default_config_static_selectorELNS0_4arch9wavefront6targetE1EEEvT1_,@function
_ZN7rocprim17ROCPRIM_400000_NS6detail17trampoline_kernelINS0_14default_configENS1_29reduce_by_key_config_selectorIjtN6thrust23THRUST_200600_302600_NS4plusItEEEEZZNS1_33reduce_by_key_impl_wrapped_configILNS1_25lookback_scan_determinismE0ES3_S9_NS6_6detail15normal_iteratorINS6_10device_ptrIjEEEENSD_INSE_ItEEEENS6_16discard_iteratorINS6_11use_defaultEEESI_PmS8_NS6_8equal_toIjEEEE10hipError_tPvRmT2_T3_mT4_T5_T6_T7_T8_P12ihipStream_tbENKUlT_T0_E_clISt17integral_constantIbLb0EES16_EEDaS11_S12_EUlS11_E_NS1_11comp_targetILNS1_3genE8ELNS1_11target_archE1030ELNS1_3gpuE2ELNS1_3repE0EEENS1_30default_config_static_selectorELNS0_4arch9wavefront6targetE1EEEvT1_: ; @_ZN7rocprim17ROCPRIM_400000_NS6detail17trampoline_kernelINS0_14default_configENS1_29reduce_by_key_config_selectorIjtN6thrust23THRUST_200600_302600_NS4plusItEEEEZZNS1_33reduce_by_key_impl_wrapped_configILNS1_25lookback_scan_determinismE0ES3_S9_NS6_6detail15normal_iteratorINS6_10device_ptrIjEEEENSD_INSE_ItEEEENS6_16discard_iteratorINS6_11use_defaultEEESI_PmS8_NS6_8equal_toIjEEEE10hipError_tPvRmT2_T3_mT4_T5_T6_T7_T8_P12ihipStream_tbENKUlT_T0_E_clISt17integral_constantIbLb0EES16_EEDaS11_S12_EUlS11_E_NS1_11comp_targetILNS1_3genE8ELNS1_11target_archE1030ELNS1_3gpuE2ELNS1_3repE0EEENS1_30default_config_static_selectorELNS0_4arch9wavefront6targetE1EEEvT1_
; %bb.0:
	.section	.rodata,"a",@progbits
	.p2align	6, 0x0
	.amdhsa_kernel _ZN7rocprim17ROCPRIM_400000_NS6detail17trampoline_kernelINS0_14default_configENS1_29reduce_by_key_config_selectorIjtN6thrust23THRUST_200600_302600_NS4plusItEEEEZZNS1_33reduce_by_key_impl_wrapped_configILNS1_25lookback_scan_determinismE0ES3_S9_NS6_6detail15normal_iteratorINS6_10device_ptrIjEEEENSD_INSE_ItEEEENS6_16discard_iteratorINS6_11use_defaultEEESI_PmS8_NS6_8equal_toIjEEEE10hipError_tPvRmT2_T3_mT4_T5_T6_T7_T8_P12ihipStream_tbENKUlT_T0_E_clISt17integral_constantIbLb0EES16_EEDaS11_S12_EUlS11_E_NS1_11comp_targetILNS1_3genE8ELNS1_11target_archE1030ELNS1_3gpuE2ELNS1_3repE0EEENS1_30default_config_static_selectorELNS0_4arch9wavefront6targetE1EEEvT1_
		.amdhsa_group_segment_fixed_size 0
		.amdhsa_private_segment_fixed_size 0
		.amdhsa_kernarg_size 128
		.amdhsa_user_sgpr_count 6
		.amdhsa_user_sgpr_private_segment_buffer 1
		.amdhsa_user_sgpr_dispatch_ptr 0
		.amdhsa_user_sgpr_queue_ptr 0
		.amdhsa_user_sgpr_kernarg_segment_ptr 1
		.amdhsa_user_sgpr_dispatch_id 0
		.amdhsa_user_sgpr_flat_scratch_init 0
		.amdhsa_user_sgpr_kernarg_preload_length 0
		.amdhsa_user_sgpr_kernarg_preload_offset 0
		.amdhsa_user_sgpr_private_segment_size 0
		.amdhsa_uses_dynamic_stack 0
		.amdhsa_system_sgpr_private_segment_wavefront_offset 0
		.amdhsa_system_sgpr_workgroup_id_x 1
		.amdhsa_system_sgpr_workgroup_id_y 0
		.amdhsa_system_sgpr_workgroup_id_z 0
		.amdhsa_system_sgpr_workgroup_info 0
		.amdhsa_system_vgpr_workitem_id 0
		.amdhsa_next_free_vgpr 1
		.amdhsa_next_free_sgpr 0
		.amdhsa_accum_offset 4
		.amdhsa_reserve_vcc 0
		.amdhsa_reserve_flat_scratch 0
		.amdhsa_float_round_mode_32 0
		.amdhsa_float_round_mode_16_64 0
		.amdhsa_float_denorm_mode_32 3
		.amdhsa_float_denorm_mode_16_64 3
		.amdhsa_dx10_clamp 1
		.amdhsa_ieee_mode 1
		.amdhsa_fp16_overflow 0
		.amdhsa_tg_split 0
		.amdhsa_exception_fp_ieee_invalid_op 0
		.amdhsa_exception_fp_denorm_src 0
		.amdhsa_exception_fp_ieee_div_zero 0
		.amdhsa_exception_fp_ieee_overflow 0
		.amdhsa_exception_fp_ieee_underflow 0
		.amdhsa_exception_fp_ieee_inexact 0
		.amdhsa_exception_int_div_zero 0
	.end_amdhsa_kernel
	.section	.text._ZN7rocprim17ROCPRIM_400000_NS6detail17trampoline_kernelINS0_14default_configENS1_29reduce_by_key_config_selectorIjtN6thrust23THRUST_200600_302600_NS4plusItEEEEZZNS1_33reduce_by_key_impl_wrapped_configILNS1_25lookback_scan_determinismE0ES3_S9_NS6_6detail15normal_iteratorINS6_10device_ptrIjEEEENSD_INSE_ItEEEENS6_16discard_iteratorINS6_11use_defaultEEESI_PmS8_NS6_8equal_toIjEEEE10hipError_tPvRmT2_T3_mT4_T5_T6_T7_T8_P12ihipStream_tbENKUlT_T0_E_clISt17integral_constantIbLb0EES16_EEDaS11_S12_EUlS11_E_NS1_11comp_targetILNS1_3genE8ELNS1_11target_archE1030ELNS1_3gpuE2ELNS1_3repE0EEENS1_30default_config_static_selectorELNS0_4arch9wavefront6targetE1EEEvT1_,"axG",@progbits,_ZN7rocprim17ROCPRIM_400000_NS6detail17trampoline_kernelINS0_14default_configENS1_29reduce_by_key_config_selectorIjtN6thrust23THRUST_200600_302600_NS4plusItEEEEZZNS1_33reduce_by_key_impl_wrapped_configILNS1_25lookback_scan_determinismE0ES3_S9_NS6_6detail15normal_iteratorINS6_10device_ptrIjEEEENSD_INSE_ItEEEENS6_16discard_iteratorINS6_11use_defaultEEESI_PmS8_NS6_8equal_toIjEEEE10hipError_tPvRmT2_T3_mT4_T5_T6_T7_T8_P12ihipStream_tbENKUlT_T0_E_clISt17integral_constantIbLb0EES16_EEDaS11_S12_EUlS11_E_NS1_11comp_targetILNS1_3genE8ELNS1_11target_archE1030ELNS1_3gpuE2ELNS1_3repE0EEENS1_30default_config_static_selectorELNS0_4arch9wavefront6targetE1EEEvT1_,comdat
.Lfunc_end957:
	.size	_ZN7rocprim17ROCPRIM_400000_NS6detail17trampoline_kernelINS0_14default_configENS1_29reduce_by_key_config_selectorIjtN6thrust23THRUST_200600_302600_NS4plusItEEEEZZNS1_33reduce_by_key_impl_wrapped_configILNS1_25lookback_scan_determinismE0ES3_S9_NS6_6detail15normal_iteratorINS6_10device_ptrIjEEEENSD_INSE_ItEEEENS6_16discard_iteratorINS6_11use_defaultEEESI_PmS8_NS6_8equal_toIjEEEE10hipError_tPvRmT2_T3_mT4_T5_T6_T7_T8_P12ihipStream_tbENKUlT_T0_E_clISt17integral_constantIbLb0EES16_EEDaS11_S12_EUlS11_E_NS1_11comp_targetILNS1_3genE8ELNS1_11target_archE1030ELNS1_3gpuE2ELNS1_3repE0EEENS1_30default_config_static_selectorELNS0_4arch9wavefront6targetE1EEEvT1_, .Lfunc_end957-_ZN7rocprim17ROCPRIM_400000_NS6detail17trampoline_kernelINS0_14default_configENS1_29reduce_by_key_config_selectorIjtN6thrust23THRUST_200600_302600_NS4plusItEEEEZZNS1_33reduce_by_key_impl_wrapped_configILNS1_25lookback_scan_determinismE0ES3_S9_NS6_6detail15normal_iteratorINS6_10device_ptrIjEEEENSD_INSE_ItEEEENS6_16discard_iteratorINS6_11use_defaultEEESI_PmS8_NS6_8equal_toIjEEEE10hipError_tPvRmT2_T3_mT4_T5_T6_T7_T8_P12ihipStream_tbENKUlT_T0_E_clISt17integral_constantIbLb0EES16_EEDaS11_S12_EUlS11_E_NS1_11comp_targetILNS1_3genE8ELNS1_11target_archE1030ELNS1_3gpuE2ELNS1_3repE0EEENS1_30default_config_static_selectorELNS0_4arch9wavefront6targetE1EEEvT1_
                                        ; -- End function
	.section	.AMDGPU.csdata,"",@progbits
; Kernel info:
; codeLenInByte = 0
; NumSgprs: 4
; NumVgprs: 0
; NumAgprs: 0
; TotalNumVgprs: 0
; ScratchSize: 0
; MemoryBound: 0
; FloatMode: 240
; IeeeMode: 1
; LDSByteSize: 0 bytes/workgroup (compile time only)
; SGPRBlocks: 0
; VGPRBlocks: 0
; NumSGPRsForWavesPerEU: 4
; NumVGPRsForWavesPerEU: 1
; AccumOffset: 4
; Occupancy: 8
; WaveLimiterHint : 0
; COMPUTE_PGM_RSRC2:SCRATCH_EN: 0
; COMPUTE_PGM_RSRC2:USER_SGPR: 6
; COMPUTE_PGM_RSRC2:TRAP_HANDLER: 0
; COMPUTE_PGM_RSRC2:TGID_X_EN: 1
; COMPUTE_PGM_RSRC2:TGID_Y_EN: 0
; COMPUTE_PGM_RSRC2:TGID_Z_EN: 0
; COMPUTE_PGM_RSRC2:TIDIG_COMP_CNT: 0
; COMPUTE_PGM_RSRC3_GFX90A:ACCUM_OFFSET: 0
; COMPUTE_PGM_RSRC3_GFX90A:TG_SPLIT: 0
	.section	.text._ZN7rocprim17ROCPRIM_400000_NS6detail17trampoline_kernelINS0_14default_configENS1_29reduce_by_key_config_selectorIjtN6thrust23THRUST_200600_302600_NS4plusItEEEEZZNS1_33reduce_by_key_impl_wrapped_configILNS1_25lookback_scan_determinismE0ES3_S9_NS6_6detail15normal_iteratorINS6_10device_ptrIjEEEENSD_INSE_ItEEEENS6_16discard_iteratorINS6_11use_defaultEEESI_PmS8_NS6_8equal_toIjEEEE10hipError_tPvRmT2_T3_mT4_T5_T6_T7_T8_P12ihipStream_tbENKUlT_T0_E_clISt17integral_constantIbLb1EES16_EEDaS11_S12_EUlS11_E_NS1_11comp_targetILNS1_3genE0ELNS1_11target_archE4294967295ELNS1_3gpuE0ELNS1_3repE0EEENS1_30default_config_static_selectorELNS0_4arch9wavefront6targetE1EEEvT1_,"axG",@progbits,_ZN7rocprim17ROCPRIM_400000_NS6detail17trampoline_kernelINS0_14default_configENS1_29reduce_by_key_config_selectorIjtN6thrust23THRUST_200600_302600_NS4plusItEEEEZZNS1_33reduce_by_key_impl_wrapped_configILNS1_25lookback_scan_determinismE0ES3_S9_NS6_6detail15normal_iteratorINS6_10device_ptrIjEEEENSD_INSE_ItEEEENS6_16discard_iteratorINS6_11use_defaultEEESI_PmS8_NS6_8equal_toIjEEEE10hipError_tPvRmT2_T3_mT4_T5_T6_T7_T8_P12ihipStream_tbENKUlT_T0_E_clISt17integral_constantIbLb1EES16_EEDaS11_S12_EUlS11_E_NS1_11comp_targetILNS1_3genE0ELNS1_11target_archE4294967295ELNS1_3gpuE0ELNS1_3repE0EEENS1_30default_config_static_selectorELNS0_4arch9wavefront6targetE1EEEvT1_,comdat
	.protected	_ZN7rocprim17ROCPRIM_400000_NS6detail17trampoline_kernelINS0_14default_configENS1_29reduce_by_key_config_selectorIjtN6thrust23THRUST_200600_302600_NS4plusItEEEEZZNS1_33reduce_by_key_impl_wrapped_configILNS1_25lookback_scan_determinismE0ES3_S9_NS6_6detail15normal_iteratorINS6_10device_ptrIjEEEENSD_INSE_ItEEEENS6_16discard_iteratorINS6_11use_defaultEEESI_PmS8_NS6_8equal_toIjEEEE10hipError_tPvRmT2_T3_mT4_T5_T6_T7_T8_P12ihipStream_tbENKUlT_T0_E_clISt17integral_constantIbLb1EES16_EEDaS11_S12_EUlS11_E_NS1_11comp_targetILNS1_3genE0ELNS1_11target_archE4294967295ELNS1_3gpuE0ELNS1_3repE0EEENS1_30default_config_static_selectorELNS0_4arch9wavefront6targetE1EEEvT1_ ; -- Begin function _ZN7rocprim17ROCPRIM_400000_NS6detail17trampoline_kernelINS0_14default_configENS1_29reduce_by_key_config_selectorIjtN6thrust23THRUST_200600_302600_NS4plusItEEEEZZNS1_33reduce_by_key_impl_wrapped_configILNS1_25lookback_scan_determinismE0ES3_S9_NS6_6detail15normal_iteratorINS6_10device_ptrIjEEEENSD_INSE_ItEEEENS6_16discard_iteratorINS6_11use_defaultEEESI_PmS8_NS6_8equal_toIjEEEE10hipError_tPvRmT2_T3_mT4_T5_T6_T7_T8_P12ihipStream_tbENKUlT_T0_E_clISt17integral_constantIbLb1EES16_EEDaS11_S12_EUlS11_E_NS1_11comp_targetILNS1_3genE0ELNS1_11target_archE4294967295ELNS1_3gpuE0ELNS1_3repE0EEENS1_30default_config_static_selectorELNS0_4arch9wavefront6targetE1EEEvT1_
	.globl	_ZN7rocprim17ROCPRIM_400000_NS6detail17trampoline_kernelINS0_14default_configENS1_29reduce_by_key_config_selectorIjtN6thrust23THRUST_200600_302600_NS4plusItEEEEZZNS1_33reduce_by_key_impl_wrapped_configILNS1_25lookback_scan_determinismE0ES3_S9_NS6_6detail15normal_iteratorINS6_10device_ptrIjEEEENSD_INSE_ItEEEENS6_16discard_iteratorINS6_11use_defaultEEESI_PmS8_NS6_8equal_toIjEEEE10hipError_tPvRmT2_T3_mT4_T5_T6_T7_T8_P12ihipStream_tbENKUlT_T0_E_clISt17integral_constantIbLb1EES16_EEDaS11_S12_EUlS11_E_NS1_11comp_targetILNS1_3genE0ELNS1_11target_archE4294967295ELNS1_3gpuE0ELNS1_3repE0EEENS1_30default_config_static_selectorELNS0_4arch9wavefront6targetE1EEEvT1_
	.p2align	8
	.type	_ZN7rocprim17ROCPRIM_400000_NS6detail17trampoline_kernelINS0_14default_configENS1_29reduce_by_key_config_selectorIjtN6thrust23THRUST_200600_302600_NS4plusItEEEEZZNS1_33reduce_by_key_impl_wrapped_configILNS1_25lookback_scan_determinismE0ES3_S9_NS6_6detail15normal_iteratorINS6_10device_ptrIjEEEENSD_INSE_ItEEEENS6_16discard_iteratorINS6_11use_defaultEEESI_PmS8_NS6_8equal_toIjEEEE10hipError_tPvRmT2_T3_mT4_T5_T6_T7_T8_P12ihipStream_tbENKUlT_T0_E_clISt17integral_constantIbLb1EES16_EEDaS11_S12_EUlS11_E_NS1_11comp_targetILNS1_3genE0ELNS1_11target_archE4294967295ELNS1_3gpuE0ELNS1_3repE0EEENS1_30default_config_static_selectorELNS0_4arch9wavefront6targetE1EEEvT1_,@function
_ZN7rocprim17ROCPRIM_400000_NS6detail17trampoline_kernelINS0_14default_configENS1_29reduce_by_key_config_selectorIjtN6thrust23THRUST_200600_302600_NS4plusItEEEEZZNS1_33reduce_by_key_impl_wrapped_configILNS1_25lookback_scan_determinismE0ES3_S9_NS6_6detail15normal_iteratorINS6_10device_ptrIjEEEENSD_INSE_ItEEEENS6_16discard_iteratorINS6_11use_defaultEEESI_PmS8_NS6_8equal_toIjEEEE10hipError_tPvRmT2_T3_mT4_T5_T6_T7_T8_P12ihipStream_tbENKUlT_T0_E_clISt17integral_constantIbLb1EES16_EEDaS11_S12_EUlS11_E_NS1_11comp_targetILNS1_3genE0ELNS1_11target_archE4294967295ELNS1_3gpuE0ELNS1_3repE0EEENS1_30default_config_static_selectorELNS0_4arch9wavefront6targetE1EEEvT1_: ; @_ZN7rocprim17ROCPRIM_400000_NS6detail17trampoline_kernelINS0_14default_configENS1_29reduce_by_key_config_selectorIjtN6thrust23THRUST_200600_302600_NS4plusItEEEEZZNS1_33reduce_by_key_impl_wrapped_configILNS1_25lookback_scan_determinismE0ES3_S9_NS6_6detail15normal_iteratorINS6_10device_ptrIjEEEENSD_INSE_ItEEEENS6_16discard_iteratorINS6_11use_defaultEEESI_PmS8_NS6_8equal_toIjEEEE10hipError_tPvRmT2_T3_mT4_T5_T6_T7_T8_P12ihipStream_tbENKUlT_T0_E_clISt17integral_constantIbLb1EES16_EEDaS11_S12_EUlS11_E_NS1_11comp_targetILNS1_3genE0ELNS1_11target_archE4294967295ELNS1_3gpuE0ELNS1_3repE0EEENS1_30default_config_static_selectorELNS0_4arch9wavefront6targetE1EEEvT1_
; %bb.0:
	.section	.rodata,"a",@progbits
	.p2align	6, 0x0
	.amdhsa_kernel _ZN7rocprim17ROCPRIM_400000_NS6detail17trampoline_kernelINS0_14default_configENS1_29reduce_by_key_config_selectorIjtN6thrust23THRUST_200600_302600_NS4plusItEEEEZZNS1_33reduce_by_key_impl_wrapped_configILNS1_25lookback_scan_determinismE0ES3_S9_NS6_6detail15normal_iteratorINS6_10device_ptrIjEEEENSD_INSE_ItEEEENS6_16discard_iteratorINS6_11use_defaultEEESI_PmS8_NS6_8equal_toIjEEEE10hipError_tPvRmT2_T3_mT4_T5_T6_T7_T8_P12ihipStream_tbENKUlT_T0_E_clISt17integral_constantIbLb1EES16_EEDaS11_S12_EUlS11_E_NS1_11comp_targetILNS1_3genE0ELNS1_11target_archE4294967295ELNS1_3gpuE0ELNS1_3repE0EEENS1_30default_config_static_selectorELNS0_4arch9wavefront6targetE1EEEvT1_
		.amdhsa_group_segment_fixed_size 0
		.amdhsa_private_segment_fixed_size 0
		.amdhsa_kernarg_size 128
		.amdhsa_user_sgpr_count 6
		.amdhsa_user_sgpr_private_segment_buffer 1
		.amdhsa_user_sgpr_dispatch_ptr 0
		.amdhsa_user_sgpr_queue_ptr 0
		.amdhsa_user_sgpr_kernarg_segment_ptr 1
		.amdhsa_user_sgpr_dispatch_id 0
		.amdhsa_user_sgpr_flat_scratch_init 0
		.amdhsa_user_sgpr_kernarg_preload_length 0
		.amdhsa_user_sgpr_kernarg_preload_offset 0
		.amdhsa_user_sgpr_private_segment_size 0
		.amdhsa_uses_dynamic_stack 0
		.amdhsa_system_sgpr_private_segment_wavefront_offset 0
		.amdhsa_system_sgpr_workgroup_id_x 1
		.amdhsa_system_sgpr_workgroup_id_y 0
		.amdhsa_system_sgpr_workgroup_id_z 0
		.amdhsa_system_sgpr_workgroup_info 0
		.amdhsa_system_vgpr_workitem_id 0
		.amdhsa_next_free_vgpr 1
		.amdhsa_next_free_sgpr 0
		.amdhsa_accum_offset 4
		.amdhsa_reserve_vcc 0
		.amdhsa_reserve_flat_scratch 0
		.amdhsa_float_round_mode_32 0
		.amdhsa_float_round_mode_16_64 0
		.amdhsa_float_denorm_mode_32 3
		.amdhsa_float_denorm_mode_16_64 3
		.amdhsa_dx10_clamp 1
		.amdhsa_ieee_mode 1
		.amdhsa_fp16_overflow 0
		.amdhsa_tg_split 0
		.amdhsa_exception_fp_ieee_invalid_op 0
		.amdhsa_exception_fp_denorm_src 0
		.amdhsa_exception_fp_ieee_div_zero 0
		.amdhsa_exception_fp_ieee_overflow 0
		.amdhsa_exception_fp_ieee_underflow 0
		.amdhsa_exception_fp_ieee_inexact 0
		.amdhsa_exception_int_div_zero 0
	.end_amdhsa_kernel
	.section	.text._ZN7rocprim17ROCPRIM_400000_NS6detail17trampoline_kernelINS0_14default_configENS1_29reduce_by_key_config_selectorIjtN6thrust23THRUST_200600_302600_NS4plusItEEEEZZNS1_33reduce_by_key_impl_wrapped_configILNS1_25lookback_scan_determinismE0ES3_S9_NS6_6detail15normal_iteratorINS6_10device_ptrIjEEEENSD_INSE_ItEEEENS6_16discard_iteratorINS6_11use_defaultEEESI_PmS8_NS6_8equal_toIjEEEE10hipError_tPvRmT2_T3_mT4_T5_T6_T7_T8_P12ihipStream_tbENKUlT_T0_E_clISt17integral_constantIbLb1EES16_EEDaS11_S12_EUlS11_E_NS1_11comp_targetILNS1_3genE0ELNS1_11target_archE4294967295ELNS1_3gpuE0ELNS1_3repE0EEENS1_30default_config_static_selectorELNS0_4arch9wavefront6targetE1EEEvT1_,"axG",@progbits,_ZN7rocprim17ROCPRIM_400000_NS6detail17trampoline_kernelINS0_14default_configENS1_29reduce_by_key_config_selectorIjtN6thrust23THRUST_200600_302600_NS4plusItEEEEZZNS1_33reduce_by_key_impl_wrapped_configILNS1_25lookback_scan_determinismE0ES3_S9_NS6_6detail15normal_iteratorINS6_10device_ptrIjEEEENSD_INSE_ItEEEENS6_16discard_iteratorINS6_11use_defaultEEESI_PmS8_NS6_8equal_toIjEEEE10hipError_tPvRmT2_T3_mT4_T5_T6_T7_T8_P12ihipStream_tbENKUlT_T0_E_clISt17integral_constantIbLb1EES16_EEDaS11_S12_EUlS11_E_NS1_11comp_targetILNS1_3genE0ELNS1_11target_archE4294967295ELNS1_3gpuE0ELNS1_3repE0EEENS1_30default_config_static_selectorELNS0_4arch9wavefront6targetE1EEEvT1_,comdat
.Lfunc_end958:
	.size	_ZN7rocprim17ROCPRIM_400000_NS6detail17trampoline_kernelINS0_14default_configENS1_29reduce_by_key_config_selectorIjtN6thrust23THRUST_200600_302600_NS4plusItEEEEZZNS1_33reduce_by_key_impl_wrapped_configILNS1_25lookback_scan_determinismE0ES3_S9_NS6_6detail15normal_iteratorINS6_10device_ptrIjEEEENSD_INSE_ItEEEENS6_16discard_iteratorINS6_11use_defaultEEESI_PmS8_NS6_8equal_toIjEEEE10hipError_tPvRmT2_T3_mT4_T5_T6_T7_T8_P12ihipStream_tbENKUlT_T0_E_clISt17integral_constantIbLb1EES16_EEDaS11_S12_EUlS11_E_NS1_11comp_targetILNS1_3genE0ELNS1_11target_archE4294967295ELNS1_3gpuE0ELNS1_3repE0EEENS1_30default_config_static_selectorELNS0_4arch9wavefront6targetE1EEEvT1_, .Lfunc_end958-_ZN7rocprim17ROCPRIM_400000_NS6detail17trampoline_kernelINS0_14default_configENS1_29reduce_by_key_config_selectorIjtN6thrust23THRUST_200600_302600_NS4plusItEEEEZZNS1_33reduce_by_key_impl_wrapped_configILNS1_25lookback_scan_determinismE0ES3_S9_NS6_6detail15normal_iteratorINS6_10device_ptrIjEEEENSD_INSE_ItEEEENS6_16discard_iteratorINS6_11use_defaultEEESI_PmS8_NS6_8equal_toIjEEEE10hipError_tPvRmT2_T3_mT4_T5_T6_T7_T8_P12ihipStream_tbENKUlT_T0_E_clISt17integral_constantIbLb1EES16_EEDaS11_S12_EUlS11_E_NS1_11comp_targetILNS1_3genE0ELNS1_11target_archE4294967295ELNS1_3gpuE0ELNS1_3repE0EEENS1_30default_config_static_selectorELNS0_4arch9wavefront6targetE1EEEvT1_
                                        ; -- End function
	.section	.AMDGPU.csdata,"",@progbits
; Kernel info:
; codeLenInByte = 0
; NumSgprs: 4
; NumVgprs: 0
; NumAgprs: 0
; TotalNumVgprs: 0
; ScratchSize: 0
; MemoryBound: 0
; FloatMode: 240
; IeeeMode: 1
; LDSByteSize: 0 bytes/workgroup (compile time only)
; SGPRBlocks: 0
; VGPRBlocks: 0
; NumSGPRsForWavesPerEU: 4
; NumVGPRsForWavesPerEU: 1
; AccumOffset: 4
; Occupancy: 8
; WaveLimiterHint : 0
; COMPUTE_PGM_RSRC2:SCRATCH_EN: 0
; COMPUTE_PGM_RSRC2:USER_SGPR: 6
; COMPUTE_PGM_RSRC2:TRAP_HANDLER: 0
; COMPUTE_PGM_RSRC2:TGID_X_EN: 1
; COMPUTE_PGM_RSRC2:TGID_Y_EN: 0
; COMPUTE_PGM_RSRC2:TGID_Z_EN: 0
; COMPUTE_PGM_RSRC2:TIDIG_COMP_CNT: 0
; COMPUTE_PGM_RSRC3_GFX90A:ACCUM_OFFSET: 0
; COMPUTE_PGM_RSRC3_GFX90A:TG_SPLIT: 0
	.section	.text._ZN7rocprim17ROCPRIM_400000_NS6detail17trampoline_kernelINS0_14default_configENS1_29reduce_by_key_config_selectorIjtN6thrust23THRUST_200600_302600_NS4plusItEEEEZZNS1_33reduce_by_key_impl_wrapped_configILNS1_25lookback_scan_determinismE0ES3_S9_NS6_6detail15normal_iteratorINS6_10device_ptrIjEEEENSD_INSE_ItEEEENS6_16discard_iteratorINS6_11use_defaultEEESI_PmS8_NS6_8equal_toIjEEEE10hipError_tPvRmT2_T3_mT4_T5_T6_T7_T8_P12ihipStream_tbENKUlT_T0_E_clISt17integral_constantIbLb1EES16_EEDaS11_S12_EUlS11_E_NS1_11comp_targetILNS1_3genE5ELNS1_11target_archE942ELNS1_3gpuE9ELNS1_3repE0EEENS1_30default_config_static_selectorELNS0_4arch9wavefront6targetE1EEEvT1_,"axG",@progbits,_ZN7rocprim17ROCPRIM_400000_NS6detail17trampoline_kernelINS0_14default_configENS1_29reduce_by_key_config_selectorIjtN6thrust23THRUST_200600_302600_NS4plusItEEEEZZNS1_33reduce_by_key_impl_wrapped_configILNS1_25lookback_scan_determinismE0ES3_S9_NS6_6detail15normal_iteratorINS6_10device_ptrIjEEEENSD_INSE_ItEEEENS6_16discard_iteratorINS6_11use_defaultEEESI_PmS8_NS6_8equal_toIjEEEE10hipError_tPvRmT2_T3_mT4_T5_T6_T7_T8_P12ihipStream_tbENKUlT_T0_E_clISt17integral_constantIbLb1EES16_EEDaS11_S12_EUlS11_E_NS1_11comp_targetILNS1_3genE5ELNS1_11target_archE942ELNS1_3gpuE9ELNS1_3repE0EEENS1_30default_config_static_selectorELNS0_4arch9wavefront6targetE1EEEvT1_,comdat
	.protected	_ZN7rocprim17ROCPRIM_400000_NS6detail17trampoline_kernelINS0_14default_configENS1_29reduce_by_key_config_selectorIjtN6thrust23THRUST_200600_302600_NS4plusItEEEEZZNS1_33reduce_by_key_impl_wrapped_configILNS1_25lookback_scan_determinismE0ES3_S9_NS6_6detail15normal_iteratorINS6_10device_ptrIjEEEENSD_INSE_ItEEEENS6_16discard_iteratorINS6_11use_defaultEEESI_PmS8_NS6_8equal_toIjEEEE10hipError_tPvRmT2_T3_mT4_T5_T6_T7_T8_P12ihipStream_tbENKUlT_T0_E_clISt17integral_constantIbLb1EES16_EEDaS11_S12_EUlS11_E_NS1_11comp_targetILNS1_3genE5ELNS1_11target_archE942ELNS1_3gpuE9ELNS1_3repE0EEENS1_30default_config_static_selectorELNS0_4arch9wavefront6targetE1EEEvT1_ ; -- Begin function _ZN7rocprim17ROCPRIM_400000_NS6detail17trampoline_kernelINS0_14default_configENS1_29reduce_by_key_config_selectorIjtN6thrust23THRUST_200600_302600_NS4plusItEEEEZZNS1_33reduce_by_key_impl_wrapped_configILNS1_25lookback_scan_determinismE0ES3_S9_NS6_6detail15normal_iteratorINS6_10device_ptrIjEEEENSD_INSE_ItEEEENS6_16discard_iteratorINS6_11use_defaultEEESI_PmS8_NS6_8equal_toIjEEEE10hipError_tPvRmT2_T3_mT4_T5_T6_T7_T8_P12ihipStream_tbENKUlT_T0_E_clISt17integral_constantIbLb1EES16_EEDaS11_S12_EUlS11_E_NS1_11comp_targetILNS1_3genE5ELNS1_11target_archE942ELNS1_3gpuE9ELNS1_3repE0EEENS1_30default_config_static_selectorELNS0_4arch9wavefront6targetE1EEEvT1_
	.globl	_ZN7rocprim17ROCPRIM_400000_NS6detail17trampoline_kernelINS0_14default_configENS1_29reduce_by_key_config_selectorIjtN6thrust23THRUST_200600_302600_NS4plusItEEEEZZNS1_33reduce_by_key_impl_wrapped_configILNS1_25lookback_scan_determinismE0ES3_S9_NS6_6detail15normal_iteratorINS6_10device_ptrIjEEEENSD_INSE_ItEEEENS6_16discard_iteratorINS6_11use_defaultEEESI_PmS8_NS6_8equal_toIjEEEE10hipError_tPvRmT2_T3_mT4_T5_T6_T7_T8_P12ihipStream_tbENKUlT_T0_E_clISt17integral_constantIbLb1EES16_EEDaS11_S12_EUlS11_E_NS1_11comp_targetILNS1_3genE5ELNS1_11target_archE942ELNS1_3gpuE9ELNS1_3repE0EEENS1_30default_config_static_selectorELNS0_4arch9wavefront6targetE1EEEvT1_
	.p2align	8
	.type	_ZN7rocprim17ROCPRIM_400000_NS6detail17trampoline_kernelINS0_14default_configENS1_29reduce_by_key_config_selectorIjtN6thrust23THRUST_200600_302600_NS4plusItEEEEZZNS1_33reduce_by_key_impl_wrapped_configILNS1_25lookback_scan_determinismE0ES3_S9_NS6_6detail15normal_iteratorINS6_10device_ptrIjEEEENSD_INSE_ItEEEENS6_16discard_iteratorINS6_11use_defaultEEESI_PmS8_NS6_8equal_toIjEEEE10hipError_tPvRmT2_T3_mT4_T5_T6_T7_T8_P12ihipStream_tbENKUlT_T0_E_clISt17integral_constantIbLb1EES16_EEDaS11_S12_EUlS11_E_NS1_11comp_targetILNS1_3genE5ELNS1_11target_archE942ELNS1_3gpuE9ELNS1_3repE0EEENS1_30default_config_static_selectorELNS0_4arch9wavefront6targetE1EEEvT1_,@function
_ZN7rocprim17ROCPRIM_400000_NS6detail17trampoline_kernelINS0_14default_configENS1_29reduce_by_key_config_selectorIjtN6thrust23THRUST_200600_302600_NS4plusItEEEEZZNS1_33reduce_by_key_impl_wrapped_configILNS1_25lookback_scan_determinismE0ES3_S9_NS6_6detail15normal_iteratorINS6_10device_ptrIjEEEENSD_INSE_ItEEEENS6_16discard_iteratorINS6_11use_defaultEEESI_PmS8_NS6_8equal_toIjEEEE10hipError_tPvRmT2_T3_mT4_T5_T6_T7_T8_P12ihipStream_tbENKUlT_T0_E_clISt17integral_constantIbLb1EES16_EEDaS11_S12_EUlS11_E_NS1_11comp_targetILNS1_3genE5ELNS1_11target_archE942ELNS1_3gpuE9ELNS1_3repE0EEENS1_30default_config_static_selectorELNS0_4arch9wavefront6targetE1EEEvT1_: ; @_ZN7rocprim17ROCPRIM_400000_NS6detail17trampoline_kernelINS0_14default_configENS1_29reduce_by_key_config_selectorIjtN6thrust23THRUST_200600_302600_NS4plusItEEEEZZNS1_33reduce_by_key_impl_wrapped_configILNS1_25lookback_scan_determinismE0ES3_S9_NS6_6detail15normal_iteratorINS6_10device_ptrIjEEEENSD_INSE_ItEEEENS6_16discard_iteratorINS6_11use_defaultEEESI_PmS8_NS6_8equal_toIjEEEE10hipError_tPvRmT2_T3_mT4_T5_T6_T7_T8_P12ihipStream_tbENKUlT_T0_E_clISt17integral_constantIbLb1EES16_EEDaS11_S12_EUlS11_E_NS1_11comp_targetILNS1_3genE5ELNS1_11target_archE942ELNS1_3gpuE9ELNS1_3repE0EEENS1_30default_config_static_selectorELNS0_4arch9wavefront6targetE1EEEvT1_
; %bb.0:
	.section	.rodata,"a",@progbits
	.p2align	6, 0x0
	.amdhsa_kernel _ZN7rocprim17ROCPRIM_400000_NS6detail17trampoline_kernelINS0_14default_configENS1_29reduce_by_key_config_selectorIjtN6thrust23THRUST_200600_302600_NS4plusItEEEEZZNS1_33reduce_by_key_impl_wrapped_configILNS1_25lookback_scan_determinismE0ES3_S9_NS6_6detail15normal_iteratorINS6_10device_ptrIjEEEENSD_INSE_ItEEEENS6_16discard_iteratorINS6_11use_defaultEEESI_PmS8_NS6_8equal_toIjEEEE10hipError_tPvRmT2_T3_mT4_T5_T6_T7_T8_P12ihipStream_tbENKUlT_T0_E_clISt17integral_constantIbLb1EES16_EEDaS11_S12_EUlS11_E_NS1_11comp_targetILNS1_3genE5ELNS1_11target_archE942ELNS1_3gpuE9ELNS1_3repE0EEENS1_30default_config_static_selectorELNS0_4arch9wavefront6targetE1EEEvT1_
		.amdhsa_group_segment_fixed_size 0
		.amdhsa_private_segment_fixed_size 0
		.amdhsa_kernarg_size 128
		.amdhsa_user_sgpr_count 6
		.amdhsa_user_sgpr_private_segment_buffer 1
		.amdhsa_user_sgpr_dispatch_ptr 0
		.amdhsa_user_sgpr_queue_ptr 0
		.amdhsa_user_sgpr_kernarg_segment_ptr 1
		.amdhsa_user_sgpr_dispatch_id 0
		.amdhsa_user_sgpr_flat_scratch_init 0
		.amdhsa_user_sgpr_kernarg_preload_length 0
		.amdhsa_user_sgpr_kernarg_preload_offset 0
		.amdhsa_user_sgpr_private_segment_size 0
		.amdhsa_uses_dynamic_stack 0
		.amdhsa_system_sgpr_private_segment_wavefront_offset 0
		.amdhsa_system_sgpr_workgroup_id_x 1
		.amdhsa_system_sgpr_workgroup_id_y 0
		.amdhsa_system_sgpr_workgroup_id_z 0
		.amdhsa_system_sgpr_workgroup_info 0
		.amdhsa_system_vgpr_workitem_id 0
		.amdhsa_next_free_vgpr 1
		.amdhsa_next_free_sgpr 0
		.amdhsa_accum_offset 4
		.amdhsa_reserve_vcc 0
		.amdhsa_reserve_flat_scratch 0
		.amdhsa_float_round_mode_32 0
		.amdhsa_float_round_mode_16_64 0
		.amdhsa_float_denorm_mode_32 3
		.amdhsa_float_denorm_mode_16_64 3
		.amdhsa_dx10_clamp 1
		.amdhsa_ieee_mode 1
		.amdhsa_fp16_overflow 0
		.amdhsa_tg_split 0
		.amdhsa_exception_fp_ieee_invalid_op 0
		.amdhsa_exception_fp_denorm_src 0
		.amdhsa_exception_fp_ieee_div_zero 0
		.amdhsa_exception_fp_ieee_overflow 0
		.amdhsa_exception_fp_ieee_underflow 0
		.amdhsa_exception_fp_ieee_inexact 0
		.amdhsa_exception_int_div_zero 0
	.end_amdhsa_kernel
	.section	.text._ZN7rocprim17ROCPRIM_400000_NS6detail17trampoline_kernelINS0_14default_configENS1_29reduce_by_key_config_selectorIjtN6thrust23THRUST_200600_302600_NS4plusItEEEEZZNS1_33reduce_by_key_impl_wrapped_configILNS1_25lookback_scan_determinismE0ES3_S9_NS6_6detail15normal_iteratorINS6_10device_ptrIjEEEENSD_INSE_ItEEEENS6_16discard_iteratorINS6_11use_defaultEEESI_PmS8_NS6_8equal_toIjEEEE10hipError_tPvRmT2_T3_mT4_T5_T6_T7_T8_P12ihipStream_tbENKUlT_T0_E_clISt17integral_constantIbLb1EES16_EEDaS11_S12_EUlS11_E_NS1_11comp_targetILNS1_3genE5ELNS1_11target_archE942ELNS1_3gpuE9ELNS1_3repE0EEENS1_30default_config_static_selectorELNS0_4arch9wavefront6targetE1EEEvT1_,"axG",@progbits,_ZN7rocprim17ROCPRIM_400000_NS6detail17trampoline_kernelINS0_14default_configENS1_29reduce_by_key_config_selectorIjtN6thrust23THRUST_200600_302600_NS4plusItEEEEZZNS1_33reduce_by_key_impl_wrapped_configILNS1_25lookback_scan_determinismE0ES3_S9_NS6_6detail15normal_iteratorINS6_10device_ptrIjEEEENSD_INSE_ItEEEENS6_16discard_iteratorINS6_11use_defaultEEESI_PmS8_NS6_8equal_toIjEEEE10hipError_tPvRmT2_T3_mT4_T5_T6_T7_T8_P12ihipStream_tbENKUlT_T0_E_clISt17integral_constantIbLb1EES16_EEDaS11_S12_EUlS11_E_NS1_11comp_targetILNS1_3genE5ELNS1_11target_archE942ELNS1_3gpuE9ELNS1_3repE0EEENS1_30default_config_static_selectorELNS0_4arch9wavefront6targetE1EEEvT1_,comdat
.Lfunc_end959:
	.size	_ZN7rocprim17ROCPRIM_400000_NS6detail17trampoline_kernelINS0_14default_configENS1_29reduce_by_key_config_selectorIjtN6thrust23THRUST_200600_302600_NS4plusItEEEEZZNS1_33reduce_by_key_impl_wrapped_configILNS1_25lookback_scan_determinismE0ES3_S9_NS6_6detail15normal_iteratorINS6_10device_ptrIjEEEENSD_INSE_ItEEEENS6_16discard_iteratorINS6_11use_defaultEEESI_PmS8_NS6_8equal_toIjEEEE10hipError_tPvRmT2_T3_mT4_T5_T6_T7_T8_P12ihipStream_tbENKUlT_T0_E_clISt17integral_constantIbLb1EES16_EEDaS11_S12_EUlS11_E_NS1_11comp_targetILNS1_3genE5ELNS1_11target_archE942ELNS1_3gpuE9ELNS1_3repE0EEENS1_30default_config_static_selectorELNS0_4arch9wavefront6targetE1EEEvT1_, .Lfunc_end959-_ZN7rocprim17ROCPRIM_400000_NS6detail17trampoline_kernelINS0_14default_configENS1_29reduce_by_key_config_selectorIjtN6thrust23THRUST_200600_302600_NS4plusItEEEEZZNS1_33reduce_by_key_impl_wrapped_configILNS1_25lookback_scan_determinismE0ES3_S9_NS6_6detail15normal_iteratorINS6_10device_ptrIjEEEENSD_INSE_ItEEEENS6_16discard_iteratorINS6_11use_defaultEEESI_PmS8_NS6_8equal_toIjEEEE10hipError_tPvRmT2_T3_mT4_T5_T6_T7_T8_P12ihipStream_tbENKUlT_T0_E_clISt17integral_constantIbLb1EES16_EEDaS11_S12_EUlS11_E_NS1_11comp_targetILNS1_3genE5ELNS1_11target_archE942ELNS1_3gpuE9ELNS1_3repE0EEENS1_30default_config_static_selectorELNS0_4arch9wavefront6targetE1EEEvT1_
                                        ; -- End function
	.section	.AMDGPU.csdata,"",@progbits
; Kernel info:
; codeLenInByte = 0
; NumSgprs: 4
; NumVgprs: 0
; NumAgprs: 0
; TotalNumVgprs: 0
; ScratchSize: 0
; MemoryBound: 0
; FloatMode: 240
; IeeeMode: 1
; LDSByteSize: 0 bytes/workgroup (compile time only)
; SGPRBlocks: 0
; VGPRBlocks: 0
; NumSGPRsForWavesPerEU: 4
; NumVGPRsForWavesPerEU: 1
; AccumOffset: 4
; Occupancy: 8
; WaveLimiterHint : 0
; COMPUTE_PGM_RSRC2:SCRATCH_EN: 0
; COMPUTE_PGM_RSRC2:USER_SGPR: 6
; COMPUTE_PGM_RSRC2:TRAP_HANDLER: 0
; COMPUTE_PGM_RSRC2:TGID_X_EN: 1
; COMPUTE_PGM_RSRC2:TGID_Y_EN: 0
; COMPUTE_PGM_RSRC2:TGID_Z_EN: 0
; COMPUTE_PGM_RSRC2:TIDIG_COMP_CNT: 0
; COMPUTE_PGM_RSRC3_GFX90A:ACCUM_OFFSET: 0
; COMPUTE_PGM_RSRC3_GFX90A:TG_SPLIT: 0
	.section	.text._ZN7rocprim17ROCPRIM_400000_NS6detail17trampoline_kernelINS0_14default_configENS1_29reduce_by_key_config_selectorIjtN6thrust23THRUST_200600_302600_NS4plusItEEEEZZNS1_33reduce_by_key_impl_wrapped_configILNS1_25lookback_scan_determinismE0ES3_S9_NS6_6detail15normal_iteratorINS6_10device_ptrIjEEEENSD_INSE_ItEEEENS6_16discard_iteratorINS6_11use_defaultEEESI_PmS8_NS6_8equal_toIjEEEE10hipError_tPvRmT2_T3_mT4_T5_T6_T7_T8_P12ihipStream_tbENKUlT_T0_E_clISt17integral_constantIbLb1EES16_EEDaS11_S12_EUlS11_E_NS1_11comp_targetILNS1_3genE4ELNS1_11target_archE910ELNS1_3gpuE8ELNS1_3repE0EEENS1_30default_config_static_selectorELNS0_4arch9wavefront6targetE1EEEvT1_,"axG",@progbits,_ZN7rocprim17ROCPRIM_400000_NS6detail17trampoline_kernelINS0_14default_configENS1_29reduce_by_key_config_selectorIjtN6thrust23THRUST_200600_302600_NS4plusItEEEEZZNS1_33reduce_by_key_impl_wrapped_configILNS1_25lookback_scan_determinismE0ES3_S9_NS6_6detail15normal_iteratorINS6_10device_ptrIjEEEENSD_INSE_ItEEEENS6_16discard_iteratorINS6_11use_defaultEEESI_PmS8_NS6_8equal_toIjEEEE10hipError_tPvRmT2_T3_mT4_T5_T6_T7_T8_P12ihipStream_tbENKUlT_T0_E_clISt17integral_constantIbLb1EES16_EEDaS11_S12_EUlS11_E_NS1_11comp_targetILNS1_3genE4ELNS1_11target_archE910ELNS1_3gpuE8ELNS1_3repE0EEENS1_30default_config_static_selectorELNS0_4arch9wavefront6targetE1EEEvT1_,comdat
	.protected	_ZN7rocprim17ROCPRIM_400000_NS6detail17trampoline_kernelINS0_14default_configENS1_29reduce_by_key_config_selectorIjtN6thrust23THRUST_200600_302600_NS4plusItEEEEZZNS1_33reduce_by_key_impl_wrapped_configILNS1_25lookback_scan_determinismE0ES3_S9_NS6_6detail15normal_iteratorINS6_10device_ptrIjEEEENSD_INSE_ItEEEENS6_16discard_iteratorINS6_11use_defaultEEESI_PmS8_NS6_8equal_toIjEEEE10hipError_tPvRmT2_T3_mT4_T5_T6_T7_T8_P12ihipStream_tbENKUlT_T0_E_clISt17integral_constantIbLb1EES16_EEDaS11_S12_EUlS11_E_NS1_11comp_targetILNS1_3genE4ELNS1_11target_archE910ELNS1_3gpuE8ELNS1_3repE0EEENS1_30default_config_static_selectorELNS0_4arch9wavefront6targetE1EEEvT1_ ; -- Begin function _ZN7rocprim17ROCPRIM_400000_NS6detail17trampoline_kernelINS0_14default_configENS1_29reduce_by_key_config_selectorIjtN6thrust23THRUST_200600_302600_NS4plusItEEEEZZNS1_33reduce_by_key_impl_wrapped_configILNS1_25lookback_scan_determinismE0ES3_S9_NS6_6detail15normal_iteratorINS6_10device_ptrIjEEEENSD_INSE_ItEEEENS6_16discard_iteratorINS6_11use_defaultEEESI_PmS8_NS6_8equal_toIjEEEE10hipError_tPvRmT2_T3_mT4_T5_T6_T7_T8_P12ihipStream_tbENKUlT_T0_E_clISt17integral_constantIbLb1EES16_EEDaS11_S12_EUlS11_E_NS1_11comp_targetILNS1_3genE4ELNS1_11target_archE910ELNS1_3gpuE8ELNS1_3repE0EEENS1_30default_config_static_selectorELNS0_4arch9wavefront6targetE1EEEvT1_
	.globl	_ZN7rocprim17ROCPRIM_400000_NS6detail17trampoline_kernelINS0_14default_configENS1_29reduce_by_key_config_selectorIjtN6thrust23THRUST_200600_302600_NS4plusItEEEEZZNS1_33reduce_by_key_impl_wrapped_configILNS1_25lookback_scan_determinismE0ES3_S9_NS6_6detail15normal_iteratorINS6_10device_ptrIjEEEENSD_INSE_ItEEEENS6_16discard_iteratorINS6_11use_defaultEEESI_PmS8_NS6_8equal_toIjEEEE10hipError_tPvRmT2_T3_mT4_T5_T6_T7_T8_P12ihipStream_tbENKUlT_T0_E_clISt17integral_constantIbLb1EES16_EEDaS11_S12_EUlS11_E_NS1_11comp_targetILNS1_3genE4ELNS1_11target_archE910ELNS1_3gpuE8ELNS1_3repE0EEENS1_30default_config_static_selectorELNS0_4arch9wavefront6targetE1EEEvT1_
	.p2align	8
	.type	_ZN7rocprim17ROCPRIM_400000_NS6detail17trampoline_kernelINS0_14default_configENS1_29reduce_by_key_config_selectorIjtN6thrust23THRUST_200600_302600_NS4plusItEEEEZZNS1_33reduce_by_key_impl_wrapped_configILNS1_25lookback_scan_determinismE0ES3_S9_NS6_6detail15normal_iteratorINS6_10device_ptrIjEEEENSD_INSE_ItEEEENS6_16discard_iteratorINS6_11use_defaultEEESI_PmS8_NS6_8equal_toIjEEEE10hipError_tPvRmT2_T3_mT4_T5_T6_T7_T8_P12ihipStream_tbENKUlT_T0_E_clISt17integral_constantIbLb1EES16_EEDaS11_S12_EUlS11_E_NS1_11comp_targetILNS1_3genE4ELNS1_11target_archE910ELNS1_3gpuE8ELNS1_3repE0EEENS1_30default_config_static_selectorELNS0_4arch9wavefront6targetE1EEEvT1_,@function
_ZN7rocprim17ROCPRIM_400000_NS6detail17trampoline_kernelINS0_14default_configENS1_29reduce_by_key_config_selectorIjtN6thrust23THRUST_200600_302600_NS4plusItEEEEZZNS1_33reduce_by_key_impl_wrapped_configILNS1_25lookback_scan_determinismE0ES3_S9_NS6_6detail15normal_iteratorINS6_10device_ptrIjEEEENSD_INSE_ItEEEENS6_16discard_iteratorINS6_11use_defaultEEESI_PmS8_NS6_8equal_toIjEEEE10hipError_tPvRmT2_T3_mT4_T5_T6_T7_T8_P12ihipStream_tbENKUlT_T0_E_clISt17integral_constantIbLb1EES16_EEDaS11_S12_EUlS11_E_NS1_11comp_targetILNS1_3genE4ELNS1_11target_archE910ELNS1_3gpuE8ELNS1_3repE0EEENS1_30default_config_static_selectorELNS0_4arch9wavefront6targetE1EEEvT1_: ; @_ZN7rocprim17ROCPRIM_400000_NS6detail17trampoline_kernelINS0_14default_configENS1_29reduce_by_key_config_selectorIjtN6thrust23THRUST_200600_302600_NS4plusItEEEEZZNS1_33reduce_by_key_impl_wrapped_configILNS1_25lookback_scan_determinismE0ES3_S9_NS6_6detail15normal_iteratorINS6_10device_ptrIjEEEENSD_INSE_ItEEEENS6_16discard_iteratorINS6_11use_defaultEEESI_PmS8_NS6_8equal_toIjEEEE10hipError_tPvRmT2_T3_mT4_T5_T6_T7_T8_P12ihipStream_tbENKUlT_T0_E_clISt17integral_constantIbLb1EES16_EEDaS11_S12_EUlS11_E_NS1_11comp_targetILNS1_3genE4ELNS1_11target_archE910ELNS1_3gpuE8ELNS1_3repE0EEENS1_30default_config_static_selectorELNS0_4arch9wavefront6targetE1EEEvT1_
; %bb.0:
	s_load_dwordx4 s[8:11], s[4:5], 0x0
	s_load_dwordx2 s[6:7], s[4:5], 0x10
	s_load_dwordx2 s[52:53], s[4:5], 0x70
	s_load_dwordx4 s[48:51], s[4:5], 0x60
	s_load_dwordx8 s[36:43], s[4:5], 0x40
	v_cmp_ne_u32_e64 s[2:3], 0, v0
	v_cmp_eq_u32_e64 s[0:1], 0, v0
	s_and_saveexec_b64 s[12:13], s[0:1]
	s_cbranch_execz .LBB960_4
; %bb.1:
	s_mov_b64 s[16:17], exec
	v_mbcnt_lo_u32_b32 v1, s16, 0
	v_mbcnt_hi_u32_b32 v1, s17, v1
	v_cmp_eq_u32_e32 vcc, 0, v1
                                        ; implicit-def: $vgpr2
	s_and_saveexec_b64 s[14:15], vcc
	s_cbranch_execz .LBB960_3
; %bb.2:
	s_load_dwordx2 s[18:19], s[4:5], 0x78
	s_bcnt1_i32_b64 s16, s[16:17]
	v_mov_b32_e32 v2, 0
	v_mov_b32_e32 v3, s16
	s_waitcnt lgkmcnt(0)
	global_atomic_add v2, v2, v3, s[18:19] glc
.LBB960_3:
	s_or_b64 exec, exec, s[14:15]
	s_waitcnt vmcnt(0)
	v_readfirstlane_b32 s14, v2
	v_add_u32_e32 v1, s14, v1
	v_mov_b32_e32 v2, 0
	ds_write_b32 v2, v1
.LBB960_4:
	s_or_b64 exec, exec, s[12:13]
	s_load_dwordx4 s[44:47], s[4:5], 0x28
	s_waitcnt lgkmcnt(0)
	s_lshl_b64 s[4:5], s[10:11], 2
	v_mov_b32_e32 v3, 0
	s_add_u32 s8, s8, s4
	s_barrier
	ds_read_b32 v1, v3
	s_addc_u32 s9, s9, s5
	s_lshl_b64 s[4:5], s[10:11], 1
	s_add_u32 s4, s6, s4
	s_addc_u32 s5, s7, s5
	s_mul_i32 s6, s40, s39
	s_mul_hi_u32 s7, s40, s38
	s_add_i32 s6, s7, s6
	s_mul_i32 s7, s41, s38
	s_add_i32 s6, s6, s7
	s_mul_i32 s7, s40, s38
	s_waitcnt lgkmcnt(0)
	v_readfirstlane_b32 s58, v1
	s_movk_i32 s10, 0xf00
	v_mul_lo_u32 v2, v1, s10
	s_add_u32 s54, s7, s58
	v_lshlrev_b64 v[4:5], 2, v[2:3]
	s_addc_u32 s55, s6, 0
	v_mov_b32_e32 v1, s9
	v_add_co_u32_e32 v24, vcc, s8, v4
	s_add_u32 s6, s42, -1
	v_addc_co_u32_e32 v25, vcc, v1, v5, vcc
	v_lshlrev_b64 v[2:3], 1, v[2:3]
	s_addc_u32 s7, s43, -1
	v_mov_b32_e32 v1, s5
	v_add_co_u32_e32 v26, vcc, s4, v2
	s_cmp_eq_u64 s[54:55], s[6:7]
	v_addc_co_u32_e32 v27, vcc, v1, v3, vcc
	s_cselect_b64 s[40:41], -1, 0
	s_cmp_lg_u64 s[54:55], s[6:7]
	s_mov_b64 s[4:5], -1
	s_cselect_b64 s[42:43], -1, 0
	s_mul_i32 s33, s6, 0xfffff100
	s_and_b64 vcc, exec, s[40:41]
	s_barrier
	s_cbranch_vccnz .LBB960_6
; %bb.5:
	v_lshlrev_b32_e32 v1, 2, v0
	v_add_co_u32_e32 v2, vcc, v24, v1
	v_addc_co_u32_e32 v3, vcc, 0, v25, vcc
	v_add_co_u32_e32 v4, vcc, 0x1000, v2
	v_addc_co_u32_e32 v5, vcc, 0, v3, vcc
	flat_load_dword v6, v[2:3]
	flat_load_dword v7, v[2:3] offset:1024
	flat_load_dword v8, v[2:3] offset:2048
	;; [unrolled: 1-line block ×3, first 2 shown]
	flat_load_dword v10, v[4:5]
	flat_load_dword v11, v[4:5] offset:1024
	flat_load_dword v12, v[4:5] offset:2048
	;; [unrolled: 1-line block ×3, first 2 shown]
	v_add_co_u32_e32 v4, vcc, 0x2000, v2
	v_addc_co_u32_e32 v5, vcc, 0, v3, vcc
	v_add_co_u32_e32 v2, vcc, 0x3000, v2
	v_addc_co_u32_e32 v3, vcc, 0, v3, vcc
	flat_load_dword v14, v[4:5]
	flat_load_dword v15, v[4:5] offset:1024
	flat_load_dword v16, v[4:5] offset:2048
	;; [unrolled: 1-line block ×3, first 2 shown]
	flat_load_dword v18, v[2:3]
	flat_load_dword v19, v[2:3] offset:1024
	flat_load_dword v20, v[2:3] offset:2048
	v_lshlrev_b32_e32 v2, 1, v0
	v_add_co_u32_e32 v2, vcc, v26, v2
	s_movk_i32 s4, 0x1000
	v_addc_co_u32_e32 v3, vcc, 0, v27, vcc
	v_mad_u32_u24 v43, v0, 56, v1
	v_add_co_u32_e32 v4, vcc, s4, v2
	v_addc_co_u32_e32 v5, vcc, 0, v3, vcc
	s_movk_i32 s4, 0xffc6
	v_mul_u32_u24_e32 v28, 15, v0
	v_mad_u32_u24 v42, v0, 15, 1
	v_mad_u32_u24 v38, v0, 15, 2
	;; [unrolled: 1-line block ×14, first 2 shown]
	s_waitcnt vmcnt(0) lgkmcnt(0)
	ds_write2st64_b32 v1, v6, v7 offset1:4
	ds_write2st64_b32 v1, v8, v9 offset0:8 offset1:12
	ds_write2st64_b32 v1, v10, v11 offset0:16 offset1:20
	;; [unrolled: 1-line block ×6, first 2 shown]
	ds_write_b32 v1, v20 offset:14336
	s_waitcnt lgkmcnt(0)
	s_barrier
	ds_read2_b32 v[22:23], v43 offset1:1
	ds_read2_b32 v[20:21], v43 offset0:2 offset1:3
	ds_read2_b32 v[18:19], v43 offset0:4 offset1:5
	;; [unrolled: 1-line block ×6, first 2 shown]
	ds_read_b32 v1, v43 offset:56
	s_waitcnt lgkmcnt(0)
	s_barrier
	flat_load_ushort v7, v[2:3]
	flat_load_ushort v44, v[2:3] offset:512
	flat_load_ushort v45, v[2:3] offset:1024
	;; [unrolled: 1-line block ×7, first 2 shown]
	flat_load_ushort v51, v[4:5]
	flat_load_ushort v52, v[4:5] offset:512
	flat_load_ushort v53, v[4:5] offset:1024
	;; [unrolled: 1-line block ×6, first 2 shown]
	v_mad_i32_i24 v43, v0, s4, v43
	v_mov_b32_e32 v8, v22
	v_mov_b32_e32 v9, v20
	;; [unrolled: 1-line block ×7, first 2 shown]
	s_waitcnt vmcnt(0) lgkmcnt(0)
	ds_write_b16 v43, v7
	ds_write_b16 v43, v44 offset:512
	ds_write_b16 v43, v45 offset:1024
	;; [unrolled: 1-line block ×14, first 2 shown]
	s_waitcnt lgkmcnt(0)
	s_barrier
	s_add_i32 s33, s33, s48
	s_cbranch_execz .LBB960_7
	s_branch .LBB960_68
.LBB960_6:
                                        ; implicit-def: $vgpr1
                                        ; implicit-def: $vgpr10
                                        ; implicit-def: $vgpr12
                                        ; implicit-def: $vgpr14
                                        ; implicit-def: $vgpr16
                                        ; implicit-def: $vgpr18
                                        ; implicit-def: $vgpr20
                                        ; implicit-def: $vgpr22
                                        ; implicit-def: $vgpr29
                                        ; implicit-def: $vgpr33
                                        ; implicit-def: $vgpr30
                                        ; implicit-def: $vgpr34
                                        ; implicit-def: $vgpr31
                                        ; implicit-def: $vgpr35
                                        ; implicit-def: $vgpr32
                                        ; implicit-def: $vgpr39
                                        ; implicit-def: $vgpr36
                                        ; implicit-def: $vgpr40
                                        ; implicit-def: $vgpr37
                                        ; implicit-def: $vgpr41
                                        ; implicit-def: $vgpr38
                                        ; implicit-def: $vgpr42
                                        ; implicit-def: $vgpr28
                                        ; implicit-def: $vgpr2_vgpr3
                                        ; implicit-def: $vgpr4_vgpr5
                                        ; implicit-def: $vgpr8_vgpr9
                                        ; implicit-def: $vgpr6_vgpr7
	s_andn2_b64 vcc, exec, s[4:5]
	s_add_i32 s33, s33, s48
	s_cbranch_vccnz .LBB960_68
.LBB960_7:
	v_cmp_gt_u32_e32 vcc, s33, v0
                                        ; implicit-def: $vgpr1
	s_and_saveexec_b64 s[6:7], vcc
	s_cbranch_execz .LBB960_9
; %bb.8:
	v_lshlrev_b32_e32 v1, 2, v0
	v_add_co_u32_e64 v2, s[4:5], v24, v1
	v_addc_co_u32_e64 v3, s[4:5], 0, v25, s[4:5]
	flat_load_dword v1, v[2:3]
.LBB960_9:
	s_or_b64 exec, exec, s[6:7]
	v_or_b32_e32 v2, 0x100, v0
	v_cmp_gt_u32_e64 s[4:5], s33, v2
                                        ; implicit-def: $vgpr4
	s_and_saveexec_b64 s[8:9], s[4:5]
	s_cbranch_execz .LBB960_11
; %bb.10:
	v_lshlrev_b32_e32 v2, 2, v0
	v_add_co_u32_e64 v2, s[6:7], v24, v2
	v_addc_co_u32_e64 v3, s[6:7], 0, v25, s[6:7]
	flat_load_dword v4, v[2:3] offset:1024
.LBB960_11:
	s_or_b64 exec, exec, s[8:9]
	v_or_b32_e32 v2, 0x200, v0
	v_cmp_gt_u32_e64 s[6:7], s33, v2
                                        ; implicit-def: $vgpr10
	s_and_saveexec_b64 s[10:11], s[6:7]
	s_cbranch_execz .LBB960_13
; %bb.12:
	v_lshlrev_b32_e32 v2, 2, v0
	v_add_co_u32_e64 v2, s[8:9], v24, v2
	v_addc_co_u32_e64 v3, s[8:9], 0, v25, s[8:9]
	flat_load_dword v10, v[2:3] offset:2048
.LBB960_13:
	s_or_b64 exec, exec, s[10:11]
	v_or_b32_e32 v2, 0x300, v0
	v_cmp_gt_u32_e64 s[8:9], s33, v2
                                        ; implicit-def: $vgpr11
	s_and_saveexec_b64 s[12:13], s[8:9]
	s_cbranch_execz .LBB960_15
; %bb.14:
	v_lshlrev_b32_e32 v2, 2, v0
	v_add_co_u32_e64 v2, s[10:11], v24, v2
	v_addc_co_u32_e64 v3, s[10:11], 0, v25, s[10:11]
	flat_load_dword v11, v[2:3] offset:3072
.LBB960_15:
	s_or_b64 exec, exec, s[12:13]
	v_or_b32_e32 v2, 0x400, v0
	v_cmp_gt_u32_e64 s[10:11], s33, v2
                                        ; implicit-def: $vgpr12
	s_and_saveexec_b64 s[14:15], s[10:11]
	s_cbranch_execz .LBB960_17
; %bb.16:
	v_lshlrev_b32_e32 v2, 2, v2
	v_add_co_u32_e64 v2, s[12:13], v24, v2
	v_addc_co_u32_e64 v3, s[12:13], 0, v25, s[12:13]
	flat_load_dword v12, v[2:3]
.LBB960_17:
	s_or_b64 exec, exec, s[14:15]
	v_or_b32_e32 v2, 0x500, v0
	v_cmp_gt_u32_e64 s[12:13], s33, v2
                                        ; implicit-def: $vgpr13
	s_and_saveexec_b64 s[16:17], s[12:13]
	s_cbranch_execz .LBB960_19
; %bb.18:
	v_lshlrev_b32_e32 v2, 2, v2
	v_add_co_u32_e64 v2, s[14:15], v24, v2
	v_addc_co_u32_e64 v3, s[14:15], 0, v25, s[14:15]
	flat_load_dword v13, v[2:3]
.LBB960_19:
	s_or_b64 exec, exec, s[16:17]
	v_or_b32_e32 v2, 0x600, v0
	v_cmp_gt_u32_e64 s[14:15], s33, v2
                                        ; implicit-def: $vgpr14
	s_and_saveexec_b64 s[18:19], s[14:15]
	s_cbranch_execz .LBB960_21
; %bb.20:
	v_lshlrev_b32_e32 v2, 2, v2
	v_add_co_u32_e64 v2, s[16:17], v24, v2
	v_addc_co_u32_e64 v3, s[16:17], 0, v25, s[16:17]
	flat_load_dword v14, v[2:3]
.LBB960_21:
	s_or_b64 exec, exec, s[18:19]
	v_or_b32_e32 v2, 0x700, v0
	v_cmp_gt_u32_e64 s[16:17], s33, v2
                                        ; implicit-def: $vgpr15
	s_and_saveexec_b64 s[20:21], s[16:17]
	s_cbranch_execz .LBB960_23
; %bb.22:
	v_lshlrev_b32_e32 v2, 2, v2
	v_add_co_u32_e64 v2, s[18:19], v24, v2
	v_addc_co_u32_e64 v3, s[18:19], 0, v25, s[18:19]
	flat_load_dword v15, v[2:3]
.LBB960_23:
	s_or_b64 exec, exec, s[20:21]
	v_or_b32_e32 v2, 0x800, v0
	v_cmp_gt_u32_e64 s[18:19], s33, v2
                                        ; implicit-def: $vgpr16
	s_and_saveexec_b64 s[22:23], s[18:19]
	s_cbranch_execz .LBB960_25
; %bb.24:
	v_lshlrev_b32_e32 v3, 2, v2
	v_add_co_u32_e64 v6, s[20:21], v24, v3
	v_addc_co_u32_e64 v7, s[20:21], 0, v25, s[20:21]
	flat_load_dword v16, v[6:7]
.LBB960_25:
	s_or_b64 exec, exec, s[22:23]
	v_or_b32_e32 v3, 0x900, v0
	v_cmp_gt_u32_e64 s[20:21], s33, v3
                                        ; implicit-def: $vgpr17
	s_and_saveexec_b64 s[24:25], s[20:21]
	s_cbranch_execz .LBB960_27
; %bb.26:
	v_lshlrev_b32_e32 v5, 2, v3
	v_add_co_u32_e64 v6, s[22:23], v24, v5
	v_addc_co_u32_e64 v7, s[22:23], 0, v25, s[22:23]
	flat_load_dword v17, v[6:7]
.LBB960_27:
	s_or_b64 exec, exec, s[24:25]
	v_or_b32_e32 v5, 0xa00, v0
	v_cmp_gt_u32_e64 s[22:23], s33, v5
                                        ; implicit-def: $vgpr18
	s_and_saveexec_b64 s[26:27], s[22:23]
	s_cbranch_execz .LBB960_29
; %bb.28:
	v_lshlrev_b32_e32 v6, 2, v5
	v_add_co_u32_e64 v6, s[24:25], v24, v6
	v_addc_co_u32_e64 v7, s[24:25], 0, v25, s[24:25]
	flat_load_dword v18, v[6:7]
.LBB960_29:
	s_or_b64 exec, exec, s[26:27]
	v_or_b32_e32 v6, 0xb00, v0
	v_cmp_gt_u32_e64 s[24:25], s33, v6
                                        ; implicit-def: $vgpr19
	s_and_saveexec_b64 s[28:29], s[24:25]
	s_cbranch_execz .LBB960_31
; %bb.30:
	v_lshlrev_b32_e32 v7, 2, v6
	v_add_co_u32_e64 v8, s[26:27], v24, v7
	v_addc_co_u32_e64 v9, s[26:27], 0, v25, s[26:27]
	flat_load_dword v19, v[8:9]
.LBB960_31:
	s_or_b64 exec, exec, s[28:29]
	v_or_b32_e32 v7, 0xc00, v0
	v_cmp_gt_u32_e64 s[26:27], s33, v7
                                        ; implicit-def: $vgpr20
	s_and_saveexec_b64 s[30:31], s[26:27]
	s_cbranch_execz .LBB960_33
; %bb.32:
	v_lshlrev_b32_e32 v8, 2, v7
	v_add_co_u32_e64 v8, s[28:29], v24, v8
	v_addc_co_u32_e64 v9, s[28:29], 0, v25, s[28:29]
	flat_load_dword v20, v[8:9]
.LBB960_33:
	s_or_b64 exec, exec, s[30:31]
	v_or_b32_e32 v8, 0xd00, v0
	v_cmp_gt_u32_e64 s[28:29], s33, v8
                                        ; implicit-def: $vgpr21
	s_and_saveexec_b64 s[34:35], s[28:29]
	s_cbranch_execz .LBB960_35
; %bb.34:
	v_lshlrev_b32_e32 v9, 2, v8
	v_add_co_u32_e64 v22, s[30:31], v24, v9
	v_addc_co_u32_e64 v23, s[30:31], 0, v25, s[30:31]
	flat_load_dword v21, v[22:23]
.LBB960_35:
	s_or_b64 exec, exec, s[34:35]
	v_or_b32_e32 v9, 0xe00, v0
	v_cmp_gt_u32_e64 s[30:31], s33, v9
                                        ; implicit-def: $vgpr22
	s_and_saveexec_b64 s[56:57], s[30:31]
	s_cbranch_execz .LBB960_37
; %bb.36:
	v_lshlrev_b32_e32 v22, 2, v9
	v_add_co_u32_e64 v22, s[34:35], v24, v22
	v_addc_co_u32_e64 v23, s[34:35], 0, v25, s[34:35]
	flat_load_dword v22, v[22:23]
.LBB960_37:
	s_or_b64 exec, exec, s[56:57]
	v_lshlrev_b32_e32 v23, 2, v0
	s_waitcnt vmcnt(0) lgkmcnt(0)
	ds_write2st64_b32 v23, v1, v4 offset1:4
	ds_write2st64_b32 v23, v10, v11 offset0:8 offset1:12
	ds_write2st64_b32 v23, v12, v13 offset0:16 offset1:20
	;; [unrolled: 1-line block ×6, first 2 shown]
	ds_write_b32 v23, v22 offset:14336
	v_mad_u32_u24 v4, v0, 56, v23
	s_waitcnt lgkmcnt(0)
	s_barrier
	ds_read2_b32 v[22:23], v4 offset1:1
	ds_read2_b32 v[20:21], v4 offset0:2 offset1:3
	ds_read2_b32 v[18:19], v4 offset0:4 offset1:5
	ds_read2_b32 v[16:17], v4 offset0:6 offset1:7
	ds_read2_b32 v[14:15], v4 offset0:8 offset1:9
	ds_read2_b32 v[12:13], v4 offset0:10 offset1:11
	ds_read2_b32 v[10:11], v4 offset0:12 offset1:13
	ds_read_b32 v1, v4 offset:56
	s_waitcnt lgkmcnt(0)
	s_barrier
	s_waitcnt lgkmcnt(0)
                                        ; implicit-def: $vgpr43
	s_and_saveexec_b64 s[34:35], vcc
	s_cbranch_execz .LBB960_51
; %bb.38:
	v_lshlrev_b32_e32 v28, 1, v0
	v_add_co_u32_e32 v28, vcc, v26, v28
	v_addc_co_u32_e32 v29, vcc, 0, v27, vcc
	flat_load_ushort v43, v[28:29]
	s_or_b64 exec, exec, s[34:35]
                                        ; implicit-def: $vgpr44
	s_and_saveexec_b64 s[34:35], s[4:5]
	s_cbranch_execnz .LBB960_52
.LBB960_39:
	s_or_b64 exec, exec, s[34:35]
                                        ; implicit-def: $vgpr45
	s_and_saveexec_b64 s[4:5], s[6:7]
	s_cbranch_execz .LBB960_53
.LBB960_40:
	v_lshlrev_b32_e32 v28, 1, v0
	v_add_co_u32_e32 v28, vcc, v26, v28
	v_addc_co_u32_e32 v29, vcc, 0, v27, vcc
	flat_load_ushort v45, v[28:29] offset:1024
	s_or_b64 exec, exec, s[4:5]
                                        ; implicit-def: $vgpr46
	s_and_saveexec_b64 s[4:5], s[8:9]
	s_cbranch_execnz .LBB960_54
.LBB960_41:
	s_or_b64 exec, exec, s[4:5]
                                        ; implicit-def: $vgpr47
	s_and_saveexec_b64 s[4:5], s[10:11]
	s_cbranch_execz .LBB960_55
.LBB960_42:
	v_lshlrev_b32_e32 v28, 1, v0
	v_add_co_u32_e32 v28, vcc, v26, v28
	v_addc_co_u32_e32 v29, vcc, 0, v27, vcc
	flat_load_ushort v47, v[28:29] offset:2048
	s_or_b64 exec, exec, s[4:5]
                                        ; implicit-def: $vgpr48
	s_and_saveexec_b64 s[4:5], s[12:13]
	s_cbranch_execnz .LBB960_56
.LBB960_43:
	s_or_b64 exec, exec, s[4:5]
                                        ; implicit-def: $vgpr49
	s_and_saveexec_b64 s[4:5], s[14:15]
	s_cbranch_execz .LBB960_57
.LBB960_44:
	v_lshlrev_b32_e32 v28, 1, v0
	v_add_co_u32_e32 v28, vcc, v26, v28
	v_addc_co_u32_e32 v29, vcc, 0, v27, vcc
	flat_load_ushort v49, v[28:29] offset:3072
	s_or_b64 exec, exec, s[4:5]
                                        ; implicit-def: $vgpr50
	s_and_saveexec_b64 s[4:5], s[16:17]
	s_cbranch_execnz .LBB960_58
.LBB960_45:
	s_or_b64 exec, exec, s[4:5]
                                        ; implicit-def: $vgpr51
	s_and_saveexec_b64 s[4:5], s[18:19]
	s_cbranch_execz .LBB960_59
.LBB960_46:
	v_lshlrev_b32_e32 v2, 1, v2
	v_add_co_u32_e32 v28, vcc, v26, v2
	v_addc_co_u32_e32 v29, vcc, 0, v27, vcc
	flat_load_ushort v51, v[28:29]
	s_or_b64 exec, exec, s[4:5]
                                        ; implicit-def: $vgpr2
	s_and_saveexec_b64 s[4:5], s[20:21]
	s_cbranch_execnz .LBB960_60
.LBB960_47:
	s_or_b64 exec, exec, s[4:5]
                                        ; implicit-def: $vgpr3
	s_and_saveexec_b64 s[4:5], s[22:23]
	s_cbranch_execz .LBB960_61
.LBB960_48:
	v_lshlrev_b32_e32 v3, 1, v5
	v_add_co_u32_e32 v28, vcc, v26, v3
	v_addc_co_u32_e32 v29, vcc, 0, v27, vcc
	flat_load_ushort v3, v[28:29]
	s_or_b64 exec, exec, s[4:5]
                                        ; implicit-def: $vgpr5
	s_and_saveexec_b64 s[4:5], s[24:25]
	s_cbranch_execnz .LBB960_62
.LBB960_49:
	s_or_b64 exec, exec, s[4:5]
                                        ; implicit-def: $vgpr6
	s_and_saveexec_b64 s[4:5], s[26:27]
	s_cbranch_execz .LBB960_63
.LBB960_50:
	v_lshlrev_b32_e32 v6, 1, v7
	v_add_co_u32_e32 v6, vcc, v26, v6
	v_addc_co_u32_e32 v7, vcc, 0, v27, vcc
	flat_load_ushort v6, v[6:7]
	s_or_b64 exec, exec, s[4:5]
                                        ; implicit-def: $vgpr7
	s_and_saveexec_b64 s[4:5], s[28:29]
	s_cbranch_execz .LBB960_65
	s_branch .LBB960_64
.LBB960_51:
	s_or_b64 exec, exec, s[34:35]
                                        ; implicit-def: $vgpr44
	s_and_saveexec_b64 s[34:35], s[4:5]
	s_cbranch_execz .LBB960_39
.LBB960_52:
	v_lshlrev_b32_e32 v28, 1, v0
	v_add_co_u32_e32 v28, vcc, v26, v28
	v_addc_co_u32_e32 v29, vcc, 0, v27, vcc
	flat_load_ushort v44, v[28:29] offset:512
	s_or_b64 exec, exec, s[34:35]
                                        ; implicit-def: $vgpr45
	s_and_saveexec_b64 s[4:5], s[6:7]
	s_cbranch_execnz .LBB960_40
.LBB960_53:
	s_or_b64 exec, exec, s[4:5]
                                        ; implicit-def: $vgpr46
	s_and_saveexec_b64 s[4:5], s[8:9]
	s_cbranch_execz .LBB960_41
.LBB960_54:
	v_lshlrev_b32_e32 v28, 1, v0
	v_add_co_u32_e32 v28, vcc, v26, v28
	v_addc_co_u32_e32 v29, vcc, 0, v27, vcc
	flat_load_ushort v46, v[28:29] offset:1536
	s_or_b64 exec, exec, s[4:5]
                                        ; implicit-def: $vgpr47
	s_and_saveexec_b64 s[4:5], s[10:11]
	s_cbranch_execnz .LBB960_42
.LBB960_55:
	s_or_b64 exec, exec, s[4:5]
                                        ; implicit-def: $vgpr48
	s_and_saveexec_b64 s[4:5], s[12:13]
	s_cbranch_execz .LBB960_43
.LBB960_56:
	v_lshlrev_b32_e32 v28, 1, v0
	v_add_co_u32_e32 v28, vcc, v26, v28
	v_addc_co_u32_e32 v29, vcc, 0, v27, vcc
	flat_load_ushort v48, v[28:29] offset:2560
	s_or_b64 exec, exec, s[4:5]
                                        ; implicit-def: $vgpr49
	s_and_saveexec_b64 s[4:5], s[14:15]
	s_cbranch_execnz .LBB960_44
.LBB960_57:
	s_or_b64 exec, exec, s[4:5]
                                        ; implicit-def: $vgpr50
	s_and_saveexec_b64 s[4:5], s[16:17]
	s_cbranch_execz .LBB960_45
.LBB960_58:
	v_lshlrev_b32_e32 v28, 1, v0
	v_add_co_u32_e32 v28, vcc, v26, v28
	v_addc_co_u32_e32 v29, vcc, 0, v27, vcc
	flat_load_ushort v50, v[28:29] offset:3584
	s_or_b64 exec, exec, s[4:5]
                                        ; implicit-def: $vgpr51
	s_and_saveexec_b64 s[4:5], s[18:19]
	s_cbranch_execnz .LBB960_46
.LBB960_59:
	s_or_b64 exec, exec, s[4:5]
                                        ; implicit-def: $vgpr2
	s_and_saveexec_b64 s[4:5], s[20:21]
	s_cbranch_execz .LBB960_47
.LBB960_60:
	v_lshlrev_b32_e32 v2, 1, v3
	v_add_co_u32_e32 v2, vcc, v26, v2
	v_addc_co_u32_e32 v3, vcc, 0, v27, vcc
	flat_load_ushort v2, v[2:3]
	s_or_b64 exec, exec, s[4:5]
                                        ; implicit-def: $vgpr3
	s_and_saveexec_b64 s[4:5], s[22:23]
	s_cbranch_execnz .LBB960_48
.LBB960_61:
	s_or_b64 exec, exec, s[4:5]
                                        ; implicit-def: $vgpr5
	s_and_saveexec_b64 s[4:5], s[24:25]
	s_cbranch_execz .LBB960_49
.LBB960_62:
	v_lshlrev_b32_e32 v5, 1, v6
	v_add_co_u32_e32 v28, vcc, v26, v5
	v_addc_co_u32_e32 v29, vcc, 0, v27, vcc
	flat_load_ushort v5, v[28:29]
	s_or_b64 exec, exec, s[4:5]
                                        ; implicit-def: $vgpr6
	s_and_saveexec_b64 s[4:5], s[26:27]
	s_cbranch_execnz .LBB960_50
.LBB960_63:
	s_or_b64 exec, exec, s[4:5]
                                        ; implicit-def: $vgpr7
	s_and_saveexec_b64 s[4:5], s[28:29]
	s_cbranch_execz .LBB960_65
.LBB960_64:
	v_lshlrev_b32_e32 v7, 1, v8
	v_add_co_u32_e32 v28, vcc, v26, v7
	v_addc_co_u32_e32 v29, vcc, 0, v27, vcc
	flat_load_ushort v7, v[28:29]
.LBB960_65:
	s_or_b64 exec, exec, s[4:5]
	v_mul_u32_u24_e32 v28, 15, v0
                                        ; implicit-def: $vgpr8
	s_and_saveexec_b64 s[4:5], s[30:31]
	s_cbranch_execz .LBB960_67
; %bb.66:
	v_lshlrev_b32_e32 v8, 1, v9
	v_add_co_u32_e32 v8, vcc, v26, v8
	v_addc_co_u32_e32 v9, vcc, 0, v27, vcc
	flat_load_ushort v8, v[8:9]
.LBB960_67:
	s_or_b64 exec, exec, s[4:5]
	s_movk_i32 s4, 0xffc6
	v_mad_i32_i24 v4, v0, s4, v4
	v_add_u32_e32 v42, 1, v28
	v_add_u32_e32 v38, 2, v28
	v_add_u32_e32 v41, 3, v28
	v_add_u32_e32 v37, 4, v28
	v_add_u32_e32 v40, 5, v28
	v_add_u32_e32 v36, 6, v28
	v_add_u32_e32 v39, 7, v28
	v_add_u32_e32 v32, 8, v28
	v_add_u32_e32 v35, 9, v28
	v_add_u32_e32 v31, 10, v28
	v_add_u32_e32 v34, 11, v28
	v_add_u32_e32 v30, 12, v28
	v_add_u32_e32 v33, 13, v28
	v_add_u32_e32 v29, 14, v28
	s_waitcnt vmcnt(0) lgkmcnt(0)
	ds_write_b16 v4, v43
	ds_write_b16 v4, v44 offset:512
	ds_write_b16 v4, v45 offset:1024
	;; [unrolled: 1-line block ×14, first 2 shown]
	v_mov_b32_e32 v8, v22
	v_mov_b32_e32 v9, v20
	;; [unrolled: 1-line block ×7, first 2 shown]
	s_waitcnt lgkmcnt(0)
	s_barrier
.LBB960_68:
	v_lshlrev_b32_e32 v7, 1, v28
	v_lshlrev_b32_e32 v26, 1, v42
	;; [unrolled: 1-line block ×8, first 2 shown]
	ds_read_u16 v79, v7
	ds_read_u16 v78, v26
	;; [unrolled: 1-line block ×8, first 2 shown]
	v_lshlrev_b32_e32 v7, 1, v32
	v_lshlrev_b32_e32 v26, 1, v35
	;; [unrolled: 1-line block ×7, first 2 shown]
	ds_read_u16 v77, v7
	ds_read_u16 v75, v26
	;; [unrolled: 1-line block ×7, first 2 shown]
	s_cmp_eq_u64 s[54:55], 0
	s_cselect_b64 s[30:31], -1, 0
	s_cmp_lg_u64 s[54:55], 0
	s_mov_b64 s[6:7], 0
	s_cselect_b64 s[8:9], -1, 0
	s_and_b64 vcc, exec, s[42:43]
	s_waitcnt lgkmcnt(0)
	s_barrier
	s_cbranch_vccz .LBB960_74
; %bb.69:
	s_and_b64 vcc, exec, s[8:9]
	s_cbranch_vccz .LBB960_139
; %bb.70:
	v_add_co_u32_e32 v26, vcc, -4, v24
	v_addc_co_u32_e32 v27, vcc, -1, v25, vcc
	flat_load_dword v7, v[26:27]
	v_lshlrev_b32_e32 v26, 2, v0
	ds_write_b32 v26, v1
	s_waitcnt lgkmcnt(0)
	s_barrier
	s_and_saveexec_b64 s[4:5], s[2:3]
	s_cbranch_execz .LBB960_72
; %bb.71:
	s_waitcnt vmcnt(0)
	v_add_u32_e32 v7, -4, v26
	ds_read_b32 v7, v7
.LBB960_72:
	s_or_b64 exec, exec, s[4:5]
	v_cmp_ne_u32_e32 vcc, v8, v23
	v_cndmask_b32_e64 v65, 0, 1, vcc
	v_cmp_ne_u32_e32 vcc, v9, v23
	v_cndmask_b32_e64 v64, 0, 1, vcc
	;; [unrolled: 2-line block ×14, first 2 shown]
	s_waitcnt vmcnt(0) lgkmcnt(0)
	v_cmp_ne_u32_e64 s[4:5], v7, v22
	s_mov_b64 s[6:7], -1
.LBB960_73:
                                        ; implicit-def: $sgpr12
	s_branch .LBB960_75
.LBB960_74:
                                        ; implicit-def: $sgpr4_sgpr5
                                        ; implicit-def: $vgpr52
                                        ; implicit-def: $vgpr53
                                        ; implicit-def: $vgpr54
                                        ; implicit-def: $vgpr55
                                        ; implicit-def: $vgpr56
                                        ; implicit-def: $vgpr57
                                        ; implicit-def: $vgpr58
                                        ; implicit-def: $vgpr59
                                        ; implicit-def: $vgpr60
                                        ; implicit-def: $vgpr61
                                        ; implicit-def: $vgpr62
                                        ; implicit-def: $vgpr63
                                        ; implicit-def: $vgpr64
                                        ; implicit-def: $vgpr65
                                        ; implicit-def: $sgpr12
	s_cbranch_execnz .LBB960_143
.LBB960_75:
	v_mov_b32_e32 v82, s12
	s_and_saveexec_b64 s[2:3], s[6:7]
.LBB960_76:
	v_cndmask_b32_e64 v82, 0, 1, s[4:5]
.LBB960_77:
	s_or_b64 exec, exec, s[2:3]
	s_cmp_eq_u64 s[38:39], 0
	v_add3_u32 v2, v65, v82, v64
	s_cselect_b64 s[34:35], -1, 0
	s_cmp_lg_u32 s58, 0
	v_cmp_eq_u32_e64 s[26:27], 0, v65
	v_cmp_eq_u32_e64 s[24:25], 0, v64
	;; [unrolled: 1-line block ×3, first 2 shown]
	v_add3_u32 v86, v2, v63, v62
	v_cmp_eq_u32_e64 s[20:21], 0, v62
	v_cmp_eq_u32_e64 s[18:19], 0, v61
	;; [unrolled: 1-line block ×10, first 2 shown]
	v_cmp_eq_u32_e32 vcc, 0, v52
	v_mbcnt_lo_u32_b32 v85, -1, 0
	v_lshrrev_b32_e32 v83, 6, v0
	v_or_b32_e32 v84, 63, v0
	s_cbranch_scc0 .LBB960_108
; %bb.78:
	v_cndmask_b32_e64 v2, 0, v79, s[26:27]
	v_add_u16_e32 v2, v2, v78
	v_cndmask_b32_e64 v2, 0, v2, s[24:25]
	v_add_u16_e32 v2, v2, v76
	;; [unrolled: 2-line block ×11, first 2 shown]
	v_cndmask_b32_e64 v2, 0, v2, s[4:5]
	v_add3_u32 v3, v86, v61, v60
	v_add_u16_e32 v2, v2, v69
	v_add3_u32 v3, v3, v59, v58
	v_cndmask_b32_e64 v2, 0, v2, s[2:3]
	v_add3_u32 v3, v3, v57, v56
	v_add_u16_e32 v2, v2, v66
	v_add3_u32 v3, v3, v55, v54
	v_cndmask_b32_e32 v2, 0, v2, vcc
	v_add3_u32 v3, v3, v53, v52
	v_add_u16_e32 v2, v2, v80
	v_mbcnt_hi_u32_b32 v25, -1, v85
	v_and_b32_e32 v4, 15, v25
	v_mov_b32_dpp v6, v2 row_shr:1 row_mask:0xf bank_mask:0xf
	v_cmp_eq_u32_e32 vcc, 0, v3
	v_mov_b32_dpp v5, v3 row_shr:1 row_mask:0xf bank_mask:0xf
	v_cndmask_b32_e32 v6, 0, v6, vcc
	v_cmp_eq_u32_e32 vcc, 0, v4
	v_add_u16_e32 v6, v6, v2
	v_cndmask_b32_e64 v5, v5, 0, vcc
	v_add_u32_e32 v3, v5, v3
	v_cndmask_b32_e32 v2, v6, v2, vcc
	v_cmp_eq_u32_e32 vcc, 0, v3
	v_mov_b32_dpp v5, v3 row_shr:2 row_mask:0xf bank_mask:0xf
	v_mov_b32_dpp v6, v2 row_shr:2 row_mask:0xf bank_mask:0xf
	v_cndmask_b32_e32 v6, 0, v6, vcc
	v_cmp_lt_u32_e32 vcc, 1, v4
	v_add_u16_e32 v6, v6, v2
	v_cndmask_b32_e32 v5, 0, v5, vcc
	v_cndmask_b32_e32 v2, v2, v6, vcc
	v_add_u32_e32 v3, v3, v5
	v_cmp_eq_u32_e32 vcc, 0, v3
	v_mov_b32_dpp v6, v2 row_shr:4 row_mask:0xf bank_mask:0xf
	v_mov_b32_dpp v5, v3 row_shr:4 row_mask:0xf bank_mask:0xf
	v_cndmask_b32_e32 v6, 0, v6, vcc
	v_cmp_lt_u32_e32 vcc, 3, v4
	v_add_u16_e32 v6, v6, v2
	v_cndmask_b32_e32 v5, 0, v5, vcc
	v_cndmask_b32_e32 v2, v2, v6, vcc
	v_add_u32_e32 v3, v5, v3
	;; [unrolled: 9-line block ×3, first 2 shown]
	v_bfe_i32 v6, v25, 4, 1
	v_mov_b32_dpp v5, v2 row_bcast:15 row_mask:0xf bank_mask:0xf
	v_mov_b32_dpp v4, v3 row_bcast:15 row_mask:0xf bank_mask:0xf
	v_cmp_eq_u32_e32 vcc, 0, v3
	v_and_b32_e32 v7, 16, v25
	v_cndmask_b32_e32 v5, 0, v5, vcc
	v_and_b32_e32 v4, v6, v4
	v_add_u16_e32 v5, v5, v2
	v_add_u32_e32 v3, v4, v3
	v_cmp_eq_u32_e32 vcc, 0, v7
	v_cndmask_b32_e32 v4, v5, v2, vcc
	v_mov_b32_dpp v2, v3 row_bcast:31 row_mask:0xf bank_mask:0xf
	v_cmp_eq_u32_e32 vcc, 0, v3
	v_cmp_lt_u32_e64 s[28:29], 31, v25
	v_mov_b32_dpp v5, v4 row_bcast:31 row_mask:0xf bank_mask:0xf
	v_cndmask_b32_e64 v2, 0, v2, s[28:29]
	s_and_b64 vcc, s[28:29], vcc
	v_add_u32_e32 v2, v2, v3
	v_cndmask_b32_e32 v3, 0, v5, vcc
	v_add_u16_e32 v3, v3, v4
	v_cmp_eq_u32_e32 vcc, v84, v0
	v_lshlrev_b32_e32 v4, 3, v83
	s_and_saveexec_b64 s[28:29], vcc
	s_cbranch_execz .LBB960_80
; %bb.79:
	ds_write_b32 v4, v2 offset:2064
	ds_write_b16 v4, v3 offset:2068
.LBB960_80:
	s_or_b64 exec, exec, s[28:29]
	v_cmp_gt_u32_e32 vcc, 4, v0
	s_waitcnt lgkmcnt(0)
	s_barrier
	s_and_saveexec_b64 s[38:39], vcc
	s_cbranch_execz .LBB960_82
; %bb.81:
	v_lshlrev_b32_e32 v5, 3, v0
	ds_read_b64 v[6:7], v5 offset:2064
	v_and_b32_e32 v8, 3, v25
	s_mov_b32 s28, 0xffff0000
	s_waitcnt lgkmcnt(0)
	v_mov_b32_dpp v24, v7 row_shr:1 row_mask:0xf bank_mask:0xf
	v_cmp_eq_u32_e32 vcc, 0, v6
	v_mov_b32_dpp v9, v6 row_shr:1 row_mask:0xf bank_mask:0xf
	v_cndmask_b32_e32 v24, 0, v24, vcc
	v_cmp_eq_u32_e32 vcc, 0, v8
	v_add_u16_e32 v24, v24, v7
	v_cndmask_b32_e64 v9, v9, 0, vcc
	v_and_or_b32 v26, v7, s28, v24
	v_add_u32_e32 v6, v9, v6
	v_cndmask_b32_e32 v9, v24, v7, vcc
	v_cndmask_b32_e32 v7, v26, v7, vcc
	v_mov_b32_dpp v24, v6 row_shr:2 row_mask:0xf bank_mask:0xf
	v_cmp_eq_u32_e32 vcc, 0, v6
	v_cmp_lt_u32_e64 s[28:29], 1, v8
	v_mov_b32_dpp v7, v7 row_shr:2 row_mask:0xf bank_mask:0xf
	v_cndmask_b32_e64 v8, 0, v24, s[28:29]
	s_and_b64 vcc, s[28:29], vcc
	v_add_u32_e32 v6, v8, v6
	v_cndmask_b32_e32 v7, 0, v7, vcc
	v_add_u16_e32 v7, v9, v7
	ds_write_b32 v5, v6 offset:2064
	ds_write_b16 v5, v7 offset:2068
.LBB960_82:
	s_or_b64 exec, exec, s[38:39]
	v_cmp_gt_u32_e32 vcc, 64, v0
	v_cmp_lt_u32_e64 s[28:29], 63, v0
	v_mov_b32_e32 v28, 0
	v_mov_b32_e32 v29, 0
	s_waitcnt lgkmcnt(0)
	s_barrier
	s_and_saveexec_b64 s[38:39], s[28:29]
	s_cbranch_execz .LBB960_84
; %bb.83:
	ds_read_b32 v28, v4 offset:2056
	ds_read_u16 v29, v4 offset:2060
	v_cmp_eq_u32_e64 s[28:29], 0, v2
	s_waitcnt lgkmcnt(1)
	v_add_u32_e32 v4, v28, v2
	s_waitcnt lgkmcnt(0)
	v_cndmask_b32_e64 v2, 0, v29, s[28:29]
	v_add_u16_e32 v3, v2, v3
	v_mov_b32_e32 v2, v4
.LBB960_84:
	s_or_b64 exec, exec, s[38:39]
	v_add_u32_e32 v4, -1, v25
	v_and_b32_e32 v5, 64, v25
	v_cmp_lt_i32_e64 s[28:29], v4, v5
	v_cndmask_b32_e64 v4, v4, v25, s[28:29]
	v_and_b32_e32 v3, 0xffff, v3
	v_lshlrev_b32_e32 v4, 2, v4
	ds_bpermute_b32 v30, v4, v2
	ds_bpermute_b32 v31, v4, v3
	v_cmp_eq_u32_e64 s[28:29], 0, v25
	s_and_saveexec_b64 s[38:39], vcc
	s_cbranch_execz .LBB960_107
; %bb.85:
	v_mov_b32_e32 v5, 0
	ds_read_b64 v[2:3], v5 offset:2088
	s_waitcnt lgkmcnt(0)
	v_readfirstlane_b32 s54, v3
	s_and_saveexec_b64 s[42:43], s[28:29]
	s_cbranch_execz .LBB960_87
; %bb.86:
	s_add_i32 s48, s58, 64
	s_mov_b32 s49, 0
	s_lshl_b64 s[56:57], s[48:49], 4
	s_add_u32 s56, s36, s56
	s_addc_u32 s57, s37, s57
	s_and_b32 s61, s54, 0xff000000
	s_mov_b32 s60, s49
	s_and_b32 s63, s54, 0xff0000
	s_mov_b32 s62, s49
	s_or_b64 s[60:61], s[62:63], s[60:61]
	s_and_b32 s63, s54, 0xff00
	s_or_b64 s[60:61], s[60:61], s[62:63]
	s_and_b32 s63, s54, 0xff
	s_or_b64 s[48:49], s[60:61], s[62:63]
	v_mov_b32_e32 v3, s49
	v_mov_b32_e32 v4, 1
	v_pk_mov_b32 v[6:7], s[56:57], s[56:57] op_sel:[0,1]
	;;#ASMSTART
	global_store_dwordx4 v[6:7], v[2:5] off	
s_waitcnt vmcnt(0)
	;;#ASMEND
.LBB960_87:
	s_or_b64 exec, exec, s[42:43]
	v_xad_u32 v24, v25, -1, s58
	v_add_u32_e32 v4, 64, v24
	v_lshlrev_b64 v[6:7], 4, v[4:5]
	v_mov_b32_e32 v3, s37
	v_add_co_u32_e32 v26, vcc, s36, v6
	v_addc_co_u32_e32 v27, vcc, v3, v7, vcc
	;;#ASMSTART
	global_load_dwordx4 v[6:9], v[26:27] off glc	
s_waitcnt vmcnt(0)
	;;#ASMEND
	v_and_b32_e32 v3, 0xffffff, v6
	v_and_b32_e32 v4, 0xff000000, v6
	v_or_b32_e32 v3, v3, v4
	v_and_b32_e32 v4, 0xff, v7
	v_and_b32_e32 v6, 0xff00, v7
	v_or3_b32 v7, 0, v4, v6
	v_or3_b32 v6, v3, 0, 0
	v_cmp_eq_u16_sdwa s[48:49], v8, v5 src0_sel:BYTE_0 src1_sel:DWORD
	s_and_saveexec_b64 s[42:43], s[48:49]
	s_cbranch_execz .LBB960_93
; %bb.88:
	s_mov_b32 s55, 1
	s_mov_b64 s[48:49], 0
	v_mov_b32_e32 v3, 0
.LBB960_89:                             ; =>This Loop Header: Depth=1
                                        ;     Child Loop BB960_90 Depth 2
	s_max_u32 s56, s55, 1
.LBB960_90:                             ;   Parent Loop BB960_89 Depth=1
                                        ; =>  This Inner Loop Header: Depth=2
	s_add_i32 s56, s56, -1
	s_cmp_eq_u32 s56, 0
	s_sleep 1
	s_cbranch_scc0 .LBB960_90
; %bb.91:                               ;   in Loop: Header=BB960_89 Depth=1
	s_cmp_lt_u32 s55, 32
	s_cselect_b64 s[56:57], -1, 0
	s_cmp_lg_u64 s[56:57], 0
	s_addc_u32 s55, s55, 0
	;;#ASMSTART
	global_load_dwordx4 v[6:9], v[26:27] off glc	
s_waitcnt vmcnt(0)
	;;#ASMEND
	v_cmp_ne_u16_sdwa s[56:57], v8, v3 src0_sel:BYTE_0 src1_sel:DWORD
	s_or_b64 s[48:49], s[56:57], s[48:49]
	s_andn2_b64 exec, exec, s[48:49]
	s_cbranch_execnz .LBB960_89
; %bb.92:
	s_or_b64 exec, exec, s[48:49]
	v_and_b32_e32 v7, 0xffff, v7
.LBB960_93:
	s_or_b64 exec, exec, s[42:43]
	v_mov_b32_e32 v3, 2
	v_and_b32_e32 v32, 63, v25
	v_cmp_eq_u16_sdwa s[42:43], v8, v3 src0_sel:BYTE_0 src1_sel:DWORD
	v_lshlrev_b64 v[4:5], v25, -1
	v_cmp_ne_u32_e32 vcc, 63, v32
	v_and_b32_e32 v9, s43, v5
	v_addc_co_u32_e32 v27, vcc, 0, v25, vcc
	v_or_b32_e32 v9, 0x80000000, v9
	v_lshlrev_b32_e32 v33, 2, v27
	v_and_b32_e32 v26, s42, v4
	v_ffbl_b32_e32 v9, v9
	ds_bpermute_b32 v27, v33, v7
	v_add_u32_e32 v9, 32, v9
	v_ffbl_b32_e32 v26, v26
	v_min_u32_e32 v9, v26, v9
	ds_bpermute_b32 v26, v33, v6
	v_cmp_eq_u32_e32 vcc, 0, v6
	s_waitcnt lgkmcnt(1)
	v_cndmask_b32_e32 v27, 0, v27, vcc
	v_add_u16_e32 v27, v27, v7
	v_cmp_lt_u32_e32 vcc, v32, v9
	v_cndmask_b32_e32 v7, v7, v27, vcc
	s_waitcnt lgkmcnt(0)
	v_cndmask_b32_e32 v26, 0, v26, vcc
	v_cmp_gt_u32_e32 vcc, 62, v32
	v_cndmask_b32_e64 v27, 0, 1, vcc
	v_lshlrev_b32_e32 v27, 1, v27
	v_add_lshl_u32 v34, v27, v25, 2
	ds_bpermute_b32 v27, v34, v7
	v_add_u32_e32 v6, v26, v6
	ds_bpermute_b32 v26, v34, v6
	v_cmp_eq_u32_e32 vcc, 0, v6
	v_add_u32_e32 v35, 2, v32
	s_waitcnt lgkmcnt(1)
	v_cndmask_b32_e32 v27, 0, v27, vcc
	v_add_u16_e32 v27, v27, v7
	v_cmp_gt_u32_e32 vcc, v35, v9
	v_cndmask_b32_e32 v7, v27, v7, vcc
	s_waitcnt lgkmcnt(0)
	v_cndmask_b32_e64 v26, v26, 0, vcc
	v_cmp_gt_u32_e32 vcc, 60, v32
	v_cndmask_b32_e64 v27, 0, 1, vcc
	v_lshlrev_b32_e32 v27, 2, v27
	v_add_lshl_u32 v36, v27, v25, 2
	ds_bpermute_b32 v27, v36, v7
	v_add_u32_e32 v6, v6, v26
	ds_bpermute_b32 v26, v36, v6
	v_cmp_eq_u32_e32 vcc, 0, v6
	v_add_u32_e32 v37, 4, v32
	s_waitcnt lgkmcnt(1)
	v_cndmask_b32_e32 v27, 0, v27, vcc
	v_add_u16_e32 v27, v7, v27
	v_cmp_gt_u32_e32 vcc, v37, v9
	v_cndmask_b32_e32 v7, v27, v7, vcc
	s_waitcnt lgkmcnt(0)
	v_cndmask_b32_e64 v26, v26, 0, vcc
	;; [unrolled: 16-line block ×4, first 2 shown]
	v_cmp_gt_u32_e32 vcc, 32, v32
	v_cndmask_b32_e64 v27, 0, 1, vcc
	v_lshlrev_b32_e32 v27, 5, v27
	v_add_lshl_u32 v44, v27, v25, 2
	ds_bpermute_b32 v25, v44, v7
	v_add_u32_e32 v6, v6, v26
	ds_bpermute_b32 v26, v44, v6
	v_add_u32_e32 v45, 32, v32
	v_cmp_eq_u32_e32 vcc, 0, v6
	s_waitcnt lgkmcnt(1)
	v_cndmask_b32_e32 v25, 0, v25, vcc
	v_cmp_gt_u32_e32 vcc, v45, v9
	v_cndmask_b32_e64 v9, v25, 0, vcc
	v_add_u16_e32 v7, v7, v9
	s_waitcnt lgkmcnt(0)
	v_cndmask_b32_e64 v9, v26, 0, vcc
	v_add_u32_e32 v6, v9, v6
	v_mov_b32_e32 v25, 0
	s_branch .LBB960_95
.LBB960_94:                             ;   in Loop: Header=BB960_95 Depth=1
	s_or_b64 exec, exec, s[42:43]
	v_cmp_eq_u16_sdwa s[42:43], v8, v3 src0_sel:BYTE_0 src1_sel:DWORD
	ds_bpermute_b32 v27, v33, v7
	v_and_b32_e32 v9, s43, v5
	v_or_b32_e32 v9, 0x80000000, v9
	v_and_b32_e32 v26, s42, v4
	v_ffbl_b32_e32 v9, v9
	v_add_u32_e32 v9, 32, v9
	v_ffbl_b32_e32 v26, v26
	v_cmp_eq_u32_e32 vcc, 0, v6
	v_min_u32_e32 v9, v26, v9
	ds_bpermute_b32 v26, v33, v6
	s_waitcnt lgkmcnt(1)
	v_cndmask_b32_e32 v27, 0, v27, vcc
	v_add_u16_e32 v27, v27, v7
	v_cmp_lt_u32_e32 vcc, v32, v9
	v_cndmask_b32_e32 v7, v7, v27, vcc
	ds_bpermute_b32 v27, v34, v7
	s_waitcnt lgkmcnt(1)
	v_cndmask_b32_e32 v26, 0, v26, vcc
	v_add_u32_e32 v6, v26, v6
	v_cmp_eq_u32_e32 vcc, 0, v6
	ds_bpermute_b32 v26, v34, v6
	s_waitcnt lgkmcnt(1)
	v_cndmask_b32_e32 v27, 0, v27, vcc
	v_add_u16_e32 v27, v27, v7
	v_cmp_gt_u32_e32 vcc, v35, v9
	v_cndmask_b32_e32 v7, v27, v7, vcc
	ds_bpermute_b32 v27, v36, v7
	s_waitcnt lgkmcnt(1)
	v_cndmask_b32_e64 v26, v26, 0, vcc
	v_add_u32_e32 v6, v6, v26
	v_cmp_eq_u32_e32 vcc, 0, v6
	ds_bpermute_b32 v26, v36, v6
	s_waitcnt lgkmcnt(1)
	v_cndmask_b32_e32 v27, 0, v27, vcc
	v_add_u16_e32 v27, v7, v27
	v_cmp_gt_u32_e32 vcc, v37, v9
	v_cndmask_b32_e32 v7, v27, v7, vcc
	ds_bpermute_b32 v27, v38, v7
	s_waitcnt lgkmcnt(1)
	v_cndmask_b32_e64 v26, v26, 0, vcc
	v_add_u32_e32 v6, v6, v26
	ds_bpermute_b32 v26, v38, v6
	v_cmp_eq_u32_e32 vcc, 0, v6
	s_waitcnt lgkmcnt(1)
	v_cndmask_b32_e32 v27, 0, v27, vcc
	v_add_u16_e32 v27, v7, v27
	v_cmp_gt_u32_e32 vcc, v39, v9
	v_cndmask_b32_e32 v7, v27, v7, vcc
	ds_bpermute_b32 v27, v41, v7
	s_waitcnt lgkmcnt(1)
	v_cndmask_b32_e64 v26, v26, 0, vcc
	v_add_u32_e32 v6, v6, v26
	ds_bpermute_b32 v26, v41, v6
	v_cmp_eq_u32_e32 vcc, 0, v6
	;; [unrolled: 11-line block ×3, first 2 shown]
	s_waitcnt lgkmcnt(1)
	v_cndmask_b32_e32 v27, 0, v27, vcc
	v_cmp_gt_u32_e32 vcc, v45, v9
	v_cndmask_b32_e64 v9, v27, 0, vcc
	v_add_u16_e32 v7, v7, v9
	s_waitcnt lgkmcnt(0)
	v_cndmask_b32_e64 v9, v26, 0, vcc
	v_cmp_eq_u32_e32 vcc, 0, v42
	v_cndmask_b32_e32 v7, 0, v7, vcc
	v_subrev_u32_e32 v24, 64, v24
	v_add3_u32 v6, v6, v42, v9
	v_add_u16_e32 v7, v7, v40
.LBB960_95:                             ; =>This Loop Header: Depth=1
                                        ;     Child Loop BB960_98 Depth 2
                                        ;       Child Loop BB960_99 Depth 3
	v_cmp_ne_u16_sdwa s[42:43], v8, v3 src0_sel:BYTE_0 src1_sel:DWORD
	v_mov_b32_e32 v40, v7
	v_cndmask_b32_e64 v7, 0, 1, s[42:43]
	;;#ASMSTART
	;;#ASMEND
	v_cmp_ne_u32_e32 vcc, 0, v7
	s_cmp_lg_u64 vcc, exec
	v_mov_b32_e32 v42, v6
	s_cbranch_scc1 .LBB960_102
; %bb.96:                               ;   in Loop: Header=BB960_95 Depth=1
	v_lshlrev_b64 v[6:7], 4, v[24:25]
	v_mov_b32_e32 v8, s37
	v_add_co_u32_e32 v26, vcc, s36, v6
	v_addc_co_u32_e32 v27, vcc, v8, v7, vcc
	;;#ASMSTART
	global_load_dwordx4 v[6:9], v[26:27] off glc	
s_waitcnt vmcnt(0)
	;;#ASMEND
	v_and_b32_e32 v9, 0xffffff, v6
	v_and_b32_e32 v6, 0xff000000, v6
	v_or_b32_e32 v6, v9, v6
	v_and_b32_e32 v9, 0xff, v7
	v_and_b32_e32 v7, 0xff00, v7
	v_or3_b32 v7, 0, v9, v7
	v_or3_b32 v6, v6, 0, 0
	v_cmp_eq_u16_sdwa s[48:49], v8, v25 src0_sel:BYTE_0 src1_sel:DWORD
	s_and_saveexec_b64 s[42:43], s[48:49]
	s_cbranch_execz .LBB960_94
; %bb.97:                               ;   in Loop: Header=BB960_95 Depth=1
	s_mov_b32 s55, 1
	s_mov_b64 s[48:49], 0
.LBB960_98:                             ;   Parent Loop BB960_95 Depth=1
                                        ; =>  This Loop Header: Depth=2
                                        ;       Child Loop BB960_99 Depth 3
	s_max_u32 s56, s55, 1
.LBB960_99:                             ;   Parent Loop BB960_95 Depth=1
                                        ;     Parent Loop BB960_98 Depth=2
                                        ; =>    This Inner Loop Header: Depth=3
	s_add_i32 s56, s56, -1
	s_cmp_eq_u32 s56, 0
	s_sleep 1
	s_cbranch_scc0 .LBB960_99
; %bb.100:                              ;   in Loop: Header=BB960_98 Depth=2
	s_cmp_lt_u32 s55, 32
	s_cselect_b64 s[56:57], -1, 0
	s_cmp_lg_u64 s[56:57], 0
	s_addc_u32 s55, s55, 0
	;;#ASMSTART
	global_load_dwordx4 v[6:9], v[26:27] off glc	
s_waitcnt vmcnt(0)
	;;#ASMEND
	v_cmp_ne_u16_sdwa s[56:57], v8, v25 src0_sel:BYTE_0 src1_sel:DWORD
	s_or_b64 s[48:49], s[56:57], s[48:49]
	s_andn2_b64 exec, exec, s[48:49]
	s_cbranch_execnz .LBB960_98
; %bb.101:                              ;   in Loop: Header=BB960_95 Depth=1
	s_or_b64 exec, exec, s[48:49]
	v_and_b32_e32 v7, 0xffff, v7
	s_branch .LBB960_94
.LBB960_102:                            ;   in Loop: Header=BB960_95 Depth=1
                                        ; implicit-def: $vgpr7
                                        ; implicit-def: $vgpr6
                                        ; implicit-def: $vgpr8
	s_cbranch_execz .LBB960_95
; %bb.103:
	s_and_saveexec_b64 s[42:43], s[28:29]
	s_cbranch_execz .LBB960_105
; %bb.104:
	s_mov_b32 s49, 0
	v_cmp_eq_u32_e32 vcc, 0, v2
	s_add_i32 s48, s58, 64
	v_cndmask_b32_e32 v3, 0, v40, vcc
	s_lshl_b64 s[48:49], s[48:49], 4
	v_add_u16_e32 v3, s54, v3
	s_add_u32 s48, s36, s48
	s_addc_u32 s49, s37, s49
	v_and_b32_e32 v5, 0xff00, v3
	v_add_u32_e32 v4, v42, v2
	v_mov_b32_e32 v7, 0
	v_or_b32_sdwa v5, v5, v3 dst_sel:DWORD dst_unused:UNUSED_PAD src0_sel:DWORD src1_sel:BYTE_0
	v_mov_b32_e32 v6, 2
	v_pk_mov_b32 v[8:9], s[48:49], s[48:49] op_sel:[0,1]
	;;#ASMSTART
	global_store_dwordx4 v[8:9], v[4:7] off	
s_waitcnt vmcnt(0)
	;;#ASMEND
	v_mov_b32_e32 v3, s54
	s_movk_i32 s48, 0x800
	ds_write_b16 v7, v3 offset:2052
	v_add_u32_e64 v3, s48, 0
	ds_write2_b32 v3, v2, v42 offset1:2
	ds_write_b16 v7, v40 offset:2060
.LBB960_105:
	s_or_b64 exec, exec, s[42:43]
	s_and_b64 exec, exec, s[0:1]
	s_cbranch_execz .LBB960_107
; %bb.106:
	v_mov_b32_e32 v2, 0
	ds_write_b32 v2, v42 offset:2088
	ds_write_b16 v2, v40 offset:2092
.LBB960_107:
	s_or_b64 exec, exec, s[38:39]
	v_mov_b32_e32 v4, 0
	s_waitcnt lgkmcnt(0)
	s_barrier
	ds_read_b64 v[2:3], v4 offset:2088
	v_cndmask_b32_e64 v6, v30, v28, s[28:29]
	v_cmp_eq_u32_e32 vcc, 0, v6
	v_cndmask_b32_e64 v5, v31, v29, s[28:29]
	s_waitcnt lgkmcnt(0)
	v_cndmask_b32_e32 v7, 0, v3, vcc
	v_add_u16_e32 v5, v7, v5
	v_cndmask_b32_e64 v3, v5, v3, s[0:1]
	v_cndmask_b32_e64 v5, v6, 0, s[0:1]
	v_cmp_eq_u32_e32 vcc, 0, v82
	v_add_u32_e32 v50, v2, v5
	v_cndmask_b32_e32 v2, 0, v3, vcc
	v_add_u16_e32 v49, v2, v79
	v_cndmask_b32_e64 v2, 0, v49, s[26:27]
	v_add_u16_e32 v47, v2, v78
	v_cndmask_b32_e64 v2, 0, v47, s[24:25]
	;; [unrolled: 2-line block ×6, first 2 shown]
	v_add_u16_e32 v37, v2, v68
	v_add_u32_e32 v48, v50, v82
	v_cndmask_b32_e64 v2, 0, v37, s[14:15]
	v_add_u32_e32 v46, v48, v65
	v_add_u16_e32 v35, v2, v67
	v_add_u32_e32 v44, v46, v64
	v_cndmask_b32_e64 v2, 0, v35, s[12:13]
	v_add_u32_e32 v42, v44, v63
	;; [unrolled: 4-line block ×3, first 2 shown]
	v_add_u16_e32 v31, v2, v75
	v_add_u32_e32 v36, v38, v60
	v_cndmask_b32_e64 v2, 0, v31, s[8:9]
	s_barrier
	ds_read_b128 v[4:7], v4 offset:2048
	v_add_u32_e32 v34, v36, v59
	v_add_u16_e32 v29, v2, v73
	v_add_u32_e32 v32, v34, v58
	v_cndmask_b32_e64 v2, 0, v29, s[6:7]
	v_add_u32_e32 v30, v32, v57
	v_add_u16_e32 v27, v2, v71
	v_add_u32_e32 v28, v30, v56
	v_cndmask_b32_e64 v2, 0, v27, s[4:5]
	v_add_u32_e32 v26, v28, v55
	v_add_u16_e32 v9, v2, v69
	s_waitcnt lgkmcnt(0)
	v_cmp_eq_u32_e32 vcc, 0, v4
	v_and_b32_e32 v51, 0xffff, v3
	v_add_u32_e32 v8, v26, v54
	v_cndmask_b32_e64 v3, 0, v9, s[2:3]
	v_cndmask_b32_e32 v7, 0, v7, vcc
	v_add_u32_e32 v2, v8, v53
	v_add_u16_e32 v3, v3, v66
	v_add_u32_e32 v81, v7, v5
	s_branch .LBB960_120
.LBB960_108:
                                        ; implicit-def: $vgpr4
                                        ; implicit-def: $vgpr81
                                        ; implicit-def: $vgpr50_vgpr51
                                        ; implicit-def: $vgpr48_vgpr49
                                        ; implicit-def: $vgpr46_vgpr47
                                        ; implicit-def: $vgpr44_vgpr45
                                        ; implicit-def: $vgpr42_vgpr43
                                        ; implicit-def: $vgpr40_vgpr41
                                        ; implicit-def: $vgpr38_vgpr39
                                        ; implicit-def: $vgpr36_vgpr37
                                        ; implicit-def: $vgpr34_vgpr35
                                        ; implicit-def: $vgpr32_vgpr33
                                        ; implicit-def: $vgpr30_vgpr31
                                        ; implicit-def: $vgpr28_vgpr29
                                        ; implicit-def: $vgpr26_vgpr27
                                        ; implicit-def: $vgpr8_vgpr9
                                        ; implicit-def: $vgpr2_vgpr3
	s_cbranch_execz .LBB960_120
; %bb.109:
	s_and_b64 s[2:3], s[34:35], exec
	s_cselect_b32 s3, 0, s53
	s_cselect_b32 s2, 0, s52
	s_cmp_eq_u64 s[2:3], 0
	v_mov_b32_e32 v5, v79
	s_cbranch_scc1 .LBB960_111
; %bb.110:
	v_mov_b32_e32 v2, 0
	global_load_ushort v5, v2, s[2:3]
.LBB960_111:
	v_cmp_eq_u32_e64 s[2:3], 0, v65
	v_cndmask_b32_e64 v2, 0, v79, s[2:3]
	v_add_u16_e32 v2, v2, v78
	v_cmp_eq_u32_e64 s[4:5], 0, v64
	v_cndmask_b32_e64 v2, 0, v2, s[4:5]
	v_add_u16_e32 v2, v2, v76
	v_cmp_eq_u32_e64 s[6:7], 0, v63
	v_cndmask_b32_e64 v2, 0, v2, s[6:7]
	v_add_u16_e32 v2, v2, v74
	v_cmp_eq_u32_e64 s[8:9], 0, v62
	v_cndmask_b32_e64 v2, 0, v2, s[8:9]
	v_add_u16_e32 v2, v2, v72
	v_cmp_eq_u32_e64 s[10:11], 0, v61
	v_cndmask_b32_e64 v2, 0, v2, s[10:11]
	v_add_u16_e32 v2, v2, v70
	v_cmp_eq_u32_e64 s[12:13], 0, v60
	v_cndmask_b32_e64 v2, 0, v2, s[12:13]
	v_add_u16_e32 v2, v2, v68
	v_cmp_eq_u32_e64 s[14:15], 0, v59
	v_cndmask_b32_e64 v2, 0, v2, s[14:15]
	v_add_u16_e32 v2, v2, v67
	v_cmp_eq_u32_e64 s[16:17], 0, v58
	v_cndmask_b32_e64 v2, 0, v2, s[16:17]
	v_add_u16_e32 v2, v2, v77
	v_cmp_eq_u32_e64 s[18:19], 0, v57
	v_cndmask_b32_e64 v2, 0, v2, s[18:19]
	v_add_u16_e32 v2, v2, v75
	v_cmp_eq_u32_e64 s[20:21], 0, v56
	v_cndmask_b32_e64 v2, 0, v2, s[20:21]
	v_add_u16_e32 v2, v2, v73
	v_cmp_eq_u32_e64 s[22:23], 0, v55
	v_cndmask_b32_e64 v2, 0, v2, s[22:23]
	v_add_u16_e32 v2, v2, v71
	v_cmp_eq_u32_e64 s[24:25], 0, v54
	v_cndmask_b32_e64 v2, 0, v2, s[24:25]
	v_add3_u32 v3, v86, v61, v60
	v_add_u16_e32 v2, v2, v69
	v_cmp_eq_u32_e32 vcc, 0, v53
	v_add3_u32 v3, v3, v59, v58
	v_cndmask_b32_e32 v2, 0, v2, vcc
	v_add3_u32 v3, v3, v57, v56
	v_add_u16_e32 v2, v2, v66
	v_cmp_eq_u32_e64 s[26:27], 0, v52
	v_add3_u32 v3, v3, v55, v54
	v_cndmask_b32_e64 v2, 0, v2, s[26:27]
	v_add3_u32 v3, v3, v53, v52
	v_add_u16_e32 v4, v2, v80
	v_mbcnt_hi_u32_b32 v2, -1, v85
	v_and_b32_e32 v6, 15, v2
	v_mov_b32_dpp v8, v4 row_shr:1 row_mask:0xf bank_mask:0xf
	v_cmp_eq_u32_e64 s[26:27], 0, v3
	v_mov_b32_dpp v7, v3 row_shr:1 row_mask:0xf bank_mask:0xf
	v_cndmask_b32_e64 v8, 0, v8, s[26:27]
	v_cmp_eq_u32_e64 s[26:27], 0, v6
	v_add_u16_e32 v8, v8, v4
	v_cndmask_b32_e64 v7, v7, 0, s[26:27]
	v_add_u32_e32 v3, v7, v3
	v_cndmask_b32_e64 v4, v8, v4, s[26:27]
	v_cmp_eq_u32_e64 s[26:27], 0, v3
	v_mov_b32_dpp v7, v3 row_shr:2 row_mask:0xf bank_mask:0xf
	v_mov_b32_dpp v8, v4 row_shr:2 row_mask:0xf bank_mask:0xf
	v_cndmask_b32_e64 v8, 0, v8, s[26:27]
	v_cmp_lt_u32_e64 s[26:27], 1, v6
	v_add_u16_e32 v8, v8, v4
	v_cndmask_b32_e64 v7, 0, v7, s[26:27]
	v_cndmask_b32_e64 v4, v4, v8, s[26:27]
	v_add_u32_e32 v3, v3, v7
	v_cmp_eq_u32_e64 s[26:27], 0, v3
	v_mov_b32_dpp v8, v4 row_shr:4 row_mask:0xf bank_mask:0xf
	v_mov_b32_dpp v7, v3 row_shr:4 row_mask:0xf bank_mask:0xf
	v_cndmask_b32_e64 v8, 0, v8, s[26:27]
	v_cmp_lt_u32_e64 s[26:27], 3, v6
	v_add_u16_e32 v8, v8, v4
	v_cndmask_b32_e64 v7, 0, v7, s[26:27]
	v_cndmask_b32_e64 v4, v4, v8, s[26:27]
	v_add_u32_e32 v3, v7, v3
	;; [unrolled: 9-line block ×3, first 2 shown]
	v_bfe_i32 v8, v2, 4, 1
	v_mov_b32_dpp v7, v4 row_bcast:15 row_mask:0xf bank_mask:0xf
	v_mov_b32_dpp v6, v3 row_bcast:15 row_mask:0xf bank_mask:0xf
	v_cmp_eq_u32_e64 s[26:27], 0, v3
	v_and_b32_e32 v9, 16, v2
	v_cndmask_b32_e64 v7, 0, v7, s[26:27]
	v_and_b32_e32 v6, v8, v6
	v_add_u16_e32 v7, v7, v4
	v_add_u32_e32 v3, v6, v3
	v_cmp_eq_u32_e64 s[26:27], 0, v9
	v_cndmask_b32_e64 v4, v7, v4, s[26:27]
	v_mov_b32_dpp v6, v3 row_bcast:31 row_mask:0xf bank_mask:0xf
	v_cmp_eq_u32_e64 s[26:27], 0, v3
	v_cmp_lt_u32_e64 s[28:29], 31, v2
	v_mov_b32_dpp v7, v4 row_bcast:31 row_mask:0xf bank_mask:0xf
	v_cndmask_b32_e64 v6, 0, v6, s[28:29]
	s_and_b64 s[26:27], s[28:29], s[26:27]
	v_add_u32_e32 v3, v6, v3
	v_cndmask_b32_e64 v6, 0, v7, s[26:27]
	v_add_u16_e32 v4, v6, v4
	v_cmp_eq_u32_e64 s[26:27], v84, v0
	s_and_saveexec_b64 s[28:29], s[26:27]
	s_cbranch_execz .LBB960_113
; %bb.112:
	v_lshlrev_b32_e32 v6, 3, v83
	ds_write_b32 v6, v3 offset:2064
	ds_write_b16 v6, v4 offset:2068
.LBB960_113:
	s_or_b64 exec, exec, s[28:29]
	v_cmp_gt_u32_e64 s[26:27], 4, v0
	s_waitcnt lgkmcnt(0)
	s_barrier
	s_and_saveexec_b64 s[38:39], s[26:27]
	s_cbranch_execz .LBB960_115
; %bb.114:
	v_lshlrev_b32_e32 v8, 3, v0
	ds_read_b64 v[6:7], v8 offset:2064
	v_and_b32_e32 v9, 3, v2
	s_mov_b32 s28, 0xffff0000
	s_waitcnt lgkmcnt(0)
	v_mov_b32_dpp v25, v7 row_shr:1 row_mask:0xf bank_mask:0xf
	v_cmp_eq_u32_e64 s[26:27], 0, v6
	v_mov_b32_dpp v24, v6 row_shr:1 row_mask:0xf bank_mask:0xf
	v_cndmask_b32_e64 v25, 0, v25, s[26:27]
	v_cmp_eq_u32_e64 s[26:27], 0, v9
	v_add_u16_e32 v25, v25, v7
	v_cndmask_b32_e64 v24, v24, 0, s[26:27]
	v_and_or_b32 v26, v7, s28, v25
	v_add_u32_e32 v6, v24, v6
	v_cndmask_b32_e64 v24, v25, v7, s[26:27]
	v_cndmask_b32_e64 v7, v26, v7, s[26:27]
	v_mov_b32_dpp v25, v6 row_shr:2 row_mask:0xf bank_mask:0xf
	v_cmp_eq_u32_e64 s[26:27], 0, v6
	v_cmp_lt_u32_e64 s[28:29], 1, v9
	v_mov_b32_dpp v7, v7 row_shr:2 row_mask:0xf bank_mask:0xf
	v_cndmask_b32_e64 v9, 0, v25, s[28:29]
	s_and_b64 s[26:27], s[28:29], s[26:27]
	v_add_u32_e32 v6, v9, v6
	v_cndmask_b32_e64 v7, 0, v7, s[26:27]
	v_add_u16_e32 v7, v24, v7
	ds_write_b32 v8, v6 offset:2064
	ds_write_b16 v8, v7 offset:2068
.LBB960_115:
	s_or_b64 exec, exec, s[38:39]
	v_cmp_lt_u32_e64 s[26:27], 63, v0
	v_mov_b32_e32 v6, 0
	v_mov_b32_e32 v7, 0
	s_waitcnt vmcnt(0)
	v_mov_b32_e32 v8, v5
	s_waitcnt lgkmcnt(0)
	s_barrier
	s_and_saveexec_b64 s[28:29], s[26:27]
	s_cbranch_execz .LBB960_117
; %bb.116:
	v_lshlrev_b32_e32 v8, 3, v83
	ds_read_b32 v7, v8 offset:2056
	ds_read_u16 v8, v8 offset:2060
	s_waitcnt lgkmcnt(1)
	v_cmp_eq_u32_e64 s[26:27], 0, v7
	v_cndmask_b32_e64 v9, 0, v5, s[26:27]
	s_waitcnt lgkmcnt(0)
	v_add_u16_e32 v8, v9, v8
.LBB960_117:
	s_or_b64 exec, exec, s[28:29]
	v_cmp_eq_u32_e64 s[26:27], 0, v3
	v_add_u32_e32 v9, v7, v3
	v_cndmask_b32_e64 v3, 0, v8, s[26:27]
	v_add_u16_e32 v3, v3, v4
	v_add_u32_e32 v4, -1, v2
	v_and_b32_e32 v24, 64, v2
	v_cmp_lt_i32_e64 s[26:27], v4, v24
	v_cndmask_b32_e64 v4, v4, v2, s[26:27]
	v_lshlrev_b32_e32 v4, 2, v4
	ds_bpermute_b32 v3, v4, v3
	ds_bpermute_b32 v9, v4, v9
	v_cmp_eq_u32_e64 s[26:27], 0, v2
	ds_read_b32 v4, v6 offset:2088
	ds_read_u16 v6, v6 offset:2092
	s_waitcnt lgkmcnt(3)
	v_cndmask_b32_e64 v3, v3, v8, s[26:27]
	s_waitcnt lgkmcnt(2)
	v_cndmask_b32_e64 v2, v9, v7, s[26:27]
	v_cndmask_b32_e64 v3, v3, v5, s[0:1]
	v_cmp_eq_u32_e64 s[26:27], 0, v82
	v_cndmask_b32_e64 v50, v2, 0, s[0:1]
	v_cndmask_b32_e64 v2, 0, v3, s[26:27]
	v_add_u16_e32 v49, v2, v79
	v_cndmask_b32_e64 v2, 0, v49, s[2:3]
	v_add_u16_e32 v47, v2, v78
	v_cndmask_b32_e64 v2, 0, v47, s[4:5]
	v_add_u16_e32 v45, v2, v76
	v_cndmask_b32_e64 v2, 0, v45, s[6:7]
	v_add_u16_e32 v43, v2, v74
	v_cndmask_b32_e64 v2, 0, v43, s[8:9]
	v_add_u16_e32 v41, v2, v72
	v_cndmask_b32_e64 v2, 0, v41, s[10:11]
	v_add_u16_e32 v39, v2, v70
	v_cndmask_b32_e64 v2, 0, v39, s[12:13]
	v_add_u16_e32 v37, v2, v68
	v_cndmask_b32_e64 v2, 0, v37, s[14:15]
	v_add_u32_e32 v48, v50, v82
	v_add_u16_e32 v35, v2, v67
	v_add_u32_e32 v46, v48, v65
	v_cndmask_b32_e64 v2, 0, v35, s[16:17]
	v_add_u32_e32 v44, v46, v64
	v_add_u16_e32 v33, v2, v77
	v_add_u32_e32 v42, v44, v63
	;; [unrolled: 4-line block ×5, first 2 shown]
	v_cndmask_b32_e64 v2, 0, v27, s[24:25]
	v_add_u32_e32 v28, v30, v56
	v_add_u16_e32 v9, v2, v69
	v_and_b32_e32 v51, 0xffff, v3
	v_add_u32_e32 v26, v28, v55
	v_cndmask_b32_e32 v3, 0, v9, vcc
	s_waitcnt lgkmcnt(1)
	v_cmp_eq_u32_e32 vcc, 0, v4
	v_add_u32_e32 v8, v26, v54
	v_cndmask_b32_e32 v5, 0, v5, vcc
	v_add_u32_e32 v2, v8, v53
	v_add_u16_e32 v3, v3, v66
	s_waitcnt lgkmcnt(0)
	v_add_u16_e32 v81, v5, v6
	s_and_saveexec_b64 s[2:3], s[0:1]
	s_cbranch_execz .LBB960_119
; %bb.118:
	s_add_u32 s4, s36, 0x400
	s_addc_u32 s5, s37, 0
	v_and_b32_e32 v5, 0xff00, v81
	v_mov_b32_e32 v7, 0
	v_or_b32_sdwa v5, v5, v81 dst_sel:DWORD dst_unused:UNUSED_PAD src0_sel:DWORD src1_sel:BYTE_0
	v_mov_b32_e32 v6, 2
	v_pk_mov_b32 v[24:25], s[4:5], s[4:5] op_sel:[0,1]
	;;#ASMSTART
	global_store_dwordx4 v[24:25], v[4:7] off	
s_waitcnt vmcnt(0)
	;;#ASMEND
.LBB960_119:
	s_or_b64 exec, exec, s[2:3]
	v_mov_b32_e32 v6, 0
.LBB960_120:
	s_and_b64 s[2:3], s[34:35], exec
	s_cselect_b32 s3, 0, s51
	s_cselect_b32 s2, 0, s50
	s_cmp_eq_u64 s[2:3], 0
	v_pk_mov_b32 v[24:25], 0, 0
	s_barrier
	s_cbranch_scc1 .LBB960_122
; %bb.121:
	v_mov_b32_e32 v5, 0
	global_load_dwordx2 v[24:25], v5, s[2:3]
.LBB960_122:
	s_movk_i32 s38, 0x100
	v_cmp_gt_u32_e32 vcc, s38, v4
	s_cbranch_vccnz .LBB960_171
; %bb.123:
	v_cmp_eq_u32_e64 s[28:29], 0, v65
	v_cndmask_b32_e64 v77, 1, 2, s[28:29]
	v_cmp_eq_u32_e64 s[28:29], 0, v82
	v_cmp_eq_u32_e64 s[26:27], 0, v64
	v_cndmask_b32_e64 v78, 1, 2, s[28:29]
	v_cmp_eq_u32_e64 s[24:25], 0, v63
	v_cndmask_b32_e64 v76, 1, 2, s[26:27]
	v_and_b32_e32 v77, v77, v78
	v_cmp_eq_u32_e64 s[22:23], 0, v62
	v_cndmask_b32_e64 v75, 1, 2, s[24:25]
	v_and_b32_e32 v76, v77, v76
	;; [unrolled: 3-line block ×11, first 2 shown]
	v_cmp_eq_u32_e32 vcc, 0, v52
	v_cndmask_b32_e64 v7, 1, 2, s[2:3]
	v_and_b32_e32 v66, v67, v66
	v_cndmask_b32_e64 v5, 1, 2, vcc
	v_and_b32_e32 v7, v66, v7
	v_and_b32_e32 v5, v7, v5
	v_cmp_ne_u32_e64 s[20:21], 0, v82
	v_cmp_ne_u32_e32 vcc, 0, v53
	v_cmp_ne_u32_e64 s[2:3], 0, v54
	v_cmp_ne_u32_e64 s[4:5], 0, v55
	;; [unrolled: 1-line block ×12, first 2 shown]
	v_cmp_gt_i16_e64 s[28:29], 2, v5
	s_and_saveexec_b64 s[34:35], s[28:29]
	s_cbranch_execz .LBB960_170
; %bb.124:
	v_cmp_ne_u16_e64 s[28:29], 1, v5
	s_mov_b64 s[36:37], 0
	s_and_saveexec_b64 s[42:43], s[28:29]
	s_xor_b64 s[28:29], exec, s[42:43]
	s_cbranch_execz .LBB960_148
; %bb.125:
	s_and_saveexec_b64 s[36:37], s[20:21]
	s_cbranch_execz .LBB960_153
; %bb.126:
	v_sub_u32_e32 v5, v50, v6
	v_lshlrev_b32_e32 v5, 2, v5
	ds_write_b32 v5, v22
	s_or_b64 exec, exec, s[36:37]
	s_and_saveexec_b64 s[20:21], s[26:27]
	s_cbranch_execnz .LBB960_154
.LBB960_127:
	s_or_b64 exec, exec, s[20:21]
	s_and_saveexec_b64 s[20:21], s[24:25]
	s_cbranch_execz .LBB960_155
.LBB960_128:
	v_sub_u32_e32 v5, v46, v6
	v_lshlrev_b32_e32 v5, 2, v5
	ds_write_b32 v5, v20
	s_or_b64 exec, exec, s[20:21]
	s_and_saveexec_b64 s[20:21], s[22:23]
	s_cbranch_execnz .LBB960_156
.LBB960_129:
	s_or_b64 exec, exec, s[20:21]
	s_and_saveexec_b64 s[20:21], s[18:19]
	s_cbranch_execz .LBB960_157
.LBB960_130:
	v_sub_u32_e32 v5, v42, v6
	v_lshlrev_b32_e32 v5, 2, v5
	ds_write_b32 v5, v18
	s_or_b64 exec, exec, s[20:21]
	s_and_saveexec_b64 s[18:19], s[16:17]
	s_cbranch_execnz .LBB960_158
.LBB960_131:
	s_or_b64 exec, exec, s[18:19]
	s_and_saveexec_b64 s[16:17], s[14:15]
	s_cbranch_execz .LBB960_159
.LBB960_132:
	v_sub_u32_e32 v5, v38, v6
	v_lshlrev_b32_e32 v5, 2, v5
	ds_write_b32 v5, v16
	s_or_b64 exec, exec, s[16:17]
	s_and_saveexec_b64 s[14:15], s[12:13]
	s_cbranch_execnz .LBB960_160
.LBB960_133:
	s_or_b64 exec, exec, s[14:15]
	s_and_saveexec_b64 s[12:13], s[10:11]
	s_cbranch_execz .LBB960_161
.LBB960_134:
	v_sub_u32_e32 v5, v34, v6
	v_lshlrev_b32_e32 v5, 2, v5
	ds_write_b32 v5, v14
	s_or_b64 exec, exec, s[12:13]
	s_and_saveexec_b64 s[10:11], s[8:9]
	s_cbranch_execnz .LBB960_162
.LBB960_135:
	s_or_b64 exec, exec, s[10:11]
	s_and_saveexec_b64 s[8:9], s[6:7]
	s_cbranch_execz .LBB960_163
.LBB960_136:
	v_sub_u32_e32 v5, v30, v6
	v_lshlrev_b32_e32 v5, 2, v5
	ds_write_b32 v5, v12
	s_or_b64 exec, exec, s[8:9]
	s_and_saveexec_b64 s[6:7], s[4:5]
	s_cbranch_execnz .LBB960_164
.LBB960_137:
	s_or_b64 exec, exec, s[6:7]
	s_and_saveexec_b64 s[4:5], s[2:3]
	s_cbranch_execz .LBB960_165
.LBB960_138:
	v_sub_u32_e32 v5, v26, v6
	v_lshlrev_b32_e32 v5, 2, v5
	ds_write_b32 v5, v10
	s_or_b64 exec, exec, s[4:5]
	v_cmp_ne_u32_e64 s[2:3], 0, v52
	s_and_saveexec_b64 s[4:5], vcc
	s_cbranch_execnz .LBB960_166
	s_branch .LBB960_167
.LBB960_139:
                                        ; implicit-def: $sgpr4_sgpr5
                                        ; implicit-def: $vgpr52
                                        ; implicit-def: $vgpr53
                                        ; implicit-def: $vgpr54
                                        ; implicit-def: $vgpr55
                                        ; implicit-def: $vgpr56
                                        ; implicit-def: $vgpr57
                                        ; implicit-def: $vgpr58
                                        ; implicit-def: $vgpr59
                                        ; implicit-def: $vgpr60
                                        ; implicit-def: $vgpr61
                                        ; implicit-def: $vgpr62
                                        ; implicit-def: $vgpr63
                                        ; implicit-def: $vgpr64
                                        ; implicit-def: $vgpr65
	s_cbranch_execz .LBB960_73
; %bb.140:
	v_cmp_ne_u32_e32 vcc, v23, v8
	v_cndmask_b32_e64 v65, 0, 1, vcc
	v_cmp_ne_u32_e32 vcc, v23, v9
	v_cndmask_b32_e64 v64, 0, 1, vcc
	v_cmp_ne_u32_e32 vcc, v9, v21
	v_cndmask_b32_e64 v63, 0, 1, vcc
	v_cmp_ne_u32_e32 vcc, v4, v21
	v_cndmask_b32_e64 v62, 0, 1, vcc
	v_cmp_ne_u32_e32 vcc, v19, v4
	v_cndmask_b32_e64 v61, 0, 1, vcc
	v_cmp_ne_u32_e32 vcc, v19, v5
	v_cndmask_b32_e64 v60, 0, 1, vcc
	v_cmp_ne_u32_e32 vcc, v5, v17
	v_cndmask_b32_e64 v59, 0, 1, vcc
	v_cmp_ne_u32_e32 vcc, v2, v17
	v_cndmask_b32_e64 v58, 0, 1, vcc
	v_cmp_ne_u32_e32 vcc, v15, v2
	v_cndmask_b32_e64 v57, 0, 1, vcc
	v_cmp_ne_u32_e32 vcc, v15, v3
	v_cndmask_b32_e64 v56, 0, 1, vcc
	v_cmp_ne_u32_e32 vcc, v3, v13
	v_cndmask_b32_e64 v55, 0, 1, vcc
	v_cmp_ne_u32_e32 vcc, v6, v13
	v_cndmask_b32_e64 v54, 0, 1, vcc
	v_cmp_ne_u32_e32 vcc, v11, v6
	v_cndmask_b32_e64 v53, 0, 1, vcc
	v_cmp_ne_u32_e32 vcc, v11, v1
	v_lshlrev_b32_e32 v7, 2, v0
	v_cndmask_b32_e64 v52, 0, 1, vcc
	ds_write_b32 v7, v1
	s_waitcnt lgkmcnt(0)
	s_barrier
	s_waitcnt lgkmcnt(0)
                                        ; implicit-def: $sgpr4_sgpr5
	s_and_saveexec_b64 s[10:11], s[2:3]
	s_xor_b64 s[10:11], exec, s[10:11]
	s_cbranch_execz .LBB960_142
; %bb.141:
	v_add_u32_e32 v2, -4, v7
	ds_read_b32 v2, v2
	s_or_b64 s[6:7], s[6:7], exec
	s_waitcnt lgkmcnt(0)
	v_cmp_ne_u32_e32 vcc, v2, v22
	s_and_b64 s[4:5], vcc, exec
.LBB960_142:
	s_or_b64 exec, exec, s[10:11]
	s_mov_b32 s12, 1
	s_branch .LBB960_75
.LBB960_143:
	s_mul_hi_u32 s5, s54, 0xfffff100
	s_mul_i32 s4, s55, 0xfffff100
	s_sub_i32 s5, s5, s54
	s_add_i32 s5, s5, s4
	s_mul_i32 s4, s54, 0xfffff100
	s_add_u32 s10, s4, s48
	s_addc_u32 s11, s5, s49
	s_and_b64 vcc, exec, s[8:9]
	s_cbranch_vccz .LBB960_150
; %bb.144:
	v_add_co_u32_e32 v2, vcc, -4, v24
	v_addc_co_u32_e32 v3, vcc, -1, v25, vcc
	flat_load_dword v6, v[2:3]
	v_mad_u32_u24 v4, v0, 15, 14
	v_mov_b32_e32 v5, 0
	v_cmp_gt_u64_e32 vcc, s[10:11], v[4:5]
	v_cmp_ne_u32_e64 s[4:5], v11, v1
	v_mad_u32_u24 v4, v0, 15, 13
	s_and_b64 s[6:7], vcc, s[4:5]
	v_cmp_gt_u64_e32 vcc, s[10:11], v[4:5]
	v_cmp_ne_u32_e64 s[4:5], v10, v11
	v_mad_u32_u24 v4, v0, 15, 12
	s_and_b64 s[8:9], vcc, s[4:5]
	;; [unrolled: 4-line block ×13, first 2 shown]
	v_cmp_gt_u64_e32 vcc, s[10:11], v[4:5]
	v_cmp_ne_u32_e64 s[4:5], v22, v23
	v_lshlrev_b32_e32 v3, 2, v0
	v_mul_u32_u24_e32 v2, 15, v0
	s_and_b64 s[4:5], vcc, s[4:5]
	ds_write_b32 v3, v1
	s_waitcnt lgkmcnt(0)
	s_barrier
	s_and_saveexec_b64 s[48:49], s[2:3]
	s_cbranch_execz .LBB960_146
; %bb.145:
	v_add_u32_e32 v3, -4, v3
	s_waitcnt vmcnt(0)
	ds_read_b32 v6, v3
.LBB960_146:
	s_or_b64 exec, exec, s[48:49]
	v_mov_b32_e32 v3, v5
	v_cndmask_b32_e64 v65, 0, 1, s[4:5]
	v_cmp_gt_u64_e32 vcc, s[10:11], v[2:3]
	s_waitcnt vmcnt(0) lgkmcnt(0)
	v_cmp_ne_u32_e64 s[4:5], v6, v22
	v_cndmask_b32_e64 v52, 0, 1, s[6:7]
	v_cndmask_b32_e64 v53, 0, 1, s[8:9]
	;; [unrolled: 1-line block ×13, first 2 shown]
	s_and_b64 s[4:5], vcc, s[4:5]
	s_mov_b64 s[6:7], -1
.LBB960_147:
                                        ; implicit-def: $sgpr12
	v_mov_b32_e32 v82, s12
	s_and_saveexec_b64 s[2:3], s[6:7]
	s_cbranch_execnz .LBB960_76
	s_branch .LBB960_77
.LBB960_148:
	s_andn2_saveexec_b64 s[2:3], s[28:29]
	s_cbranch_execz .LBB960_168
.LBB960_149:
	v_sub_u32_e32 v5, v50, v6
	v_lshlrev_b32_e32 v5, 2, v5
	ds_write_b32 v5, v22
	v_sub_u32_e32 v5, v48, v6
	v_lshlrev_b32_e32 v5, 2, v5
	ds_write_b32 v5, v23
	;; [unrolled: 3-line block ×13, first 2 shown]
	v_sub_u32_e32 v5, v8, v6
	v_lshlrev_b32_e32 v5, 2, v5
	s_or_b64 s[36:37], s[36:37], exec
	ds_write_b32 v5, v11
	s_or_b64 exec, exec, s[2:3]
	s_and_b64 exec, exec, s[36:37]
	s_cbranch_execnz .LBB960_169
	s_branch .LBB960_170
.LBB960_150:
                                        ; implicit-def: $sgpr4_sgpr5
                                        ; implicit-def: $vgpr52
                                        ; implicit-def: $vgpr53
                                        ; implicit-def: $vgpr54
                                        ; implicit-def: $vgpr55
                                        ; implicit-def: $vgpr56
                                        ; implicit-def: $vgpr57
                                        ; implicit-def: $vgpr58
                                        ; implicit-def: $vgpr59
                                        ; implicit-def: $vgpr60
                                        ; implicit-def: $vgpr61
                                        ; implicit-def: $vgpr62
                                        ; implicit-def: $vgpr63
                                        ; implicit-def: $vgpr64
                                        ; implicit-def: $vgpr65
	s_cbranch_execz .LBB960_147
; %bb.151:
	v_mad_u32_u24 v2, v0, 15, 14
	v_mov_b32_e32 v3, 0
	v_cmp_gt_u64_e32 vcc, s[10:11], v[2:3]
	v_cmp_ne_u32_e64 s[4:5], v11, v1
	s_and_b64 s[4:5], vcc, s[4:5]
	v_mad_u32_u24 v2, v0, 15, 13
	v_cndmask_b32_e64 v52, 0, 1, s[4:5]
	v_cmp_gt_u64_e32 vcc, s[10:11], v[2:3]
	v_cmp_ne_u32_e64 s[4:5], v10, v11
	s_and_b64 s[4:5], vcc, s[4:5]
	v_mad_u32_u24 v2, v0, 15, 12
	v_cndmask_b32_e64 v53, 0, 1, s[4:5]
	;; [unrolled: 5-line block ×13, first 2 shown]
	v_cmp_gt_u64_e32 vcc, s[10:11], v[2:3]
	v_cmp_ne_u32_e64 s[4:5], v22, v23
	s_and_b64 s[4:5], vcc, s[4:5]
	v_lshlrev_b32_e32 v4, 2, v0
	s_mov_b32 s12, 1
	v_cndmask_b32_e64 v65, 0, 1, s[4:5]
	ds_write_b32 v4, v1
	s_waitcnt lgkmcnt(0)
	s_barrier
	s_waitcnt lgkmcnt(0)
                                        ; implicit-def: $sgpr4_sgpr5
	s_and_saveexec_b64 s[8:9], s[2:3]
	s_cbranch_execz .LBB960_190
; %bb.152:
	v_add_u32_e32 v2, -4, v4
	ds_read_b32 v4, v2
	v_mul_u32_u24_e32 v2, 15, v0
	v_cmp_gt_u64_e32 vcc, s[10:11], v[2:3]
	s_or_b64 s[6:7], s[6:7], exec
	s_waitcnt lgkmcnt(0)
	v_cmp_ne_u32_e64 s[2:3], v4, v22
	s_and_b64 s[2:3], vcc, s[2:3]
	s_and_b64 s[4:5], s[2:3], exec
	s_or_b64 exec, exec, s[8:9]
	v_mov_b32_e32 v82, s12
	s_and_saveexec_b64 s[2:3], s[6:7]
	s_cbranch_execz .LBB960_77
	s_branch .LBB960_76
.LBB960_153:
	s_or_b64 exec, exec, s[36:37]
	s_and_saveexec_b64 s[20:21], s[26:27]
	s_cbranch_execz .LBB960_127
.LBB960_154:
	v_sub_u32_e32 v5, v48, v6
	v_lshlrev_b32_e32 v5, 2, v5
	ds_write_b32 v5, v23
	s_or_b64 exec, exec, s[20:21]
	s_and_saveexec_b64 s[20:21], s[24:25]
	s_cbranch_execnz .LBB960_128
.LBB960_155:
	s_or_b64 exec, exec, s[20:21]
	s_and_saveexec_b64 s[20:21], s[22:23]
	s_cbranch_execz .LBB960_129
.LBB960_156:
	v_sub_u32_e32 v5, v44, v6
	v_lshlrev_b32_e32 v5, 2, v5
	ds_write_b32 v5, v21
	s_or_b64 exec, exec, s[20:21]
	s_and_saveexec_b64 s[20:21], s[18:19]
	s_cbranch_execnz .LBB960_130
.LBB960_157:
	s_or_b64 exec, exec, s[20:21]
	s_and_saveexec_b64 s[18:19], s[16:17]
	s_cbranch_execz .LBB960_131
.LBB960_158:
	v_sub_u32_e32 v5, v40, v6
	v_lshlrev_b32_e32 v5, 2, v5
	ds_write_b32 v5, v19
	s_or_b64 exec, exec, s[18:19]
	s_and_saveexec_b64 s[16:17], s[14:15]
	s_cbranch_execnz .LBB960_132
.LBB960_159:
	s_or_b64 exec, exec, s[16:17]
	s_and_saveexec_b64 s[14:15], s[12:13]
	s_cbranch_execz .LBB960_133
.LBB960_160:
	v_sub_u32_e32 v5, v36, v6
	v_lshlrev_b32_e32 v5, 2, v5
	ds_write_b32 v5, v17
	s_or_b64 exec, exec, s[14:15]
	s_and_saveexec_b64 s[12:13], s[10:11]
	s_cbranch_execnz .LBB960_134
.LBB960_161:
	s_or_b64 exec, exec, s[12:13]
	s_and_saveexec_b64 s[10:11], s[8:9]
	s_cbranch_execz .LBB960_135
.LBB960_162:
	v_sub_u32_e32 v5, v32, v6
	v_lshlrev_b32_e32 v5, 2, v5
	ds_write_b32 v5, v15
	s_or_b64 exec, exec, s[10:11]
	s_and_saveexec_b64 s[8:9], s[6:7]
	s_cbranch_execnz .LBB960_136
.LBB960_163:
	s_or_b64 exec, exec, s[8:9]
	s_and_saveexec_b64 s[6:7], s[4:5]
	s_cbranch_execz .LBB960_137
.LBB960_164:
	v_sub_u32_e32 v5, v28, v6
	v_lshlrev_b32_e32 v5, 2, v5
	ds_write_b32 v5, v13
	s_or_b64 exec, exec, s[6:7]
	s_and_saveexec_b64 s[4:5], s[2:3]
	s_cbranch_execnz .LBB960_138
.LBB960_165:
	s_or_b64 exec, exec, s[4:5]
	v_cmp_ne_u32_e64 s[2:3], 0, v52
	s_and_saveexec_b64 s[4:5], vcc
	s_cbranch_execz .LBB960_167
.LBB960_166:
	v_sub_u32_e32 v5, v8, v6
	v_lshlrev_b32_e32 v5, 2, v5
	ds_write_b32 v5, v11
.LBB960_167:
	s_or_b64 exec, exec, s[4:5]
	s_and_b64 s[36:37], s[2:3], exec
                                        ; implicit-def: $vgpr10
                                        ; implicit-def: $vgpr12
                                        ; implicit-def: $vgpr14
                                        ; implicit-def: $vgpr16
                                        ; implicit-def: $vgpr18
                                        ; implicit-def: $vgpr20
                                        ; implicit-def: $vgpr22
	s_andn2_saveexec_b64 s[2:3], s[28:29]
	s_cbranch_execnz .LBB960_149
.LBB960_168:
	s_or_b64 exec, exec, s[2:3]
	s_and_b64 exec, exec, s[36:37]
	s_cbranch_execz .LBB960_170
.LBB960_169:
	v_sub_u32_e32 v5, v2, v6
	v_lshlrev_b32_e32 v5, 2, v5
	ds_write_b32 v5, v1
.LBB960_170:
	s_or_b64 exec, exec, s[34:35]
	s_waitcnt lgkmcnt(0)
	s_barrier
.LBB960_171:
	s_cmpk_lg_i32 s33, 0xf00
	s_cselect_b64 s[2:3], -1, 0
	s_and_b64 s[0:1], s[0:1], s[30:31]
	v_cndmask_b32_e64 v11, v82, 0, s[0:1]
	s_mul_hi_u32 s0, s33, 0x88888889
	s_lshr_b32 s0, s0, 3
	v_mad_i32_i24 v12, v0, -15, s33
	v_cmp_eq_u32_e32 vcc, s0, v0
	v_cmp_ne_u32_e64 s[0:1], 0, v12
	v_cndmask_b32_e64 v13, 1, v11, s[0:1]
	v_cmp_ne_u32_e64 s[0:1], 1, v12
	v_cndmask_b32_e64 v14, 1, v65, s[0:1]
	;; [unrolled: 2-line block ×15, first 2 shown]
	s_and_b64 vcc, vcc, s[40:41]
	v_cndmask_b32_e32 v52, v52, v12, vcc
	v_cndmask_b32_e32 v20, v59, v20, vcc
	;; [unrolled: 1-line block ×3, first 2 shown]
	s_waitcnt vmcnt(0)
	v_lshlrev_b64 v[12:13], 1, v[24:25]
	v_mov_b32_e32 v7, 0
	v_cndmask_b32_e32 v53, v53, v68, vcc
	v_cndmask_b32_e32 v54, v54, v67, vcc
	;; [unrolled: 1-line block ×12, first 2 shown]
	v_mov_b32_e32 v11, s45
	v_add_co_u32_e32 v14, vcc, s44, v12
	v_addc_co_u32_e32 v11, vcc, v11, v13, vcc
	v_lshlrev_b64 v[12:13], 1, v[6:7]
	v_cndmask_b32_e64 v1, 0, 1, s[30:31]
	v_add_co_u32_e32 v7, vcc, v14, v12
	v_addc_co_u32_e32 v14, vcc, v11, v13, vcc
	v_lshlrev_b32_e32 v11, 1, v1
	v_add_co_u32_e32 v11, vcc, v11, v7
	v_addc_co_u32_e32 v12, vcc, 0, v14, vcc
	v_add_co_u32_e32 v15, vcc, -2, v11
	v_addc_co_u32_e32 v16, vcc, -1, v12, vcc
	v_cmp_eq_u32_e32 vcc, 0, v59
	v_cndmask_b32_e64 v12, 1, 2, vcc
	v_cmp_eq_u32_e32 vcc, 0, v58
	v_cndmask_b32_e64 v13, 1, 2, vcc
	v_cmp_eq_u32_e32 vcc, 0, v57
	v_and_b32_e32 v12, v13, v12
	v_cndmask_b32_e64 v13, 1, 2, vcc
	v_cmp_eq_u32_e32 vcc, 0, v56
	v_and_b32_e32 v12, v12, v13
	;; [unrolled: 3-line block ×10, first 2 shown]
	v_cndmask_b32_e64 v13, 1, 2, vcc
	v_cmp_eq_u32_e32 vcc, 0, v54
	s_and_b64 s[2:3], s[2:3], s[40:41]
	v_and_b32_e32 v12, v12, v13
	v_cndmask_b32_e64 v13, 1, 2, vcc
	v_cmp_eq_u32_e32 vcc, 0, v53
	v_sub_u32_e32 v5, v4, v1
	v_cndmask_b32_e64 v10, 0, 1, s[2:3]
	v_and_b32_e32 v12, v12, v13
	v_cndmask_b32_e64 v13, 1, 2, vcc
	v_cmp_eq_u32_e32 vcc, 0, v52
	v_add_u32_e32 v5, v5, v10
	v_and_b32_e32 v12, v12, v13
	v_cndmask_b32_e64 v13, 1, 2, vcc
	v_and_b32_e32 v12, v12, v13
	v_cmp_gt_u32_e32 vcc, s38, v5
	v_add_u32_e32 v11, v6, v1
	v_cmp_ne_u32_e64 s[28:29], 0, v59
	v_cmp_ne_u32_e64 s[26:27], 0, v58
	;; [unrolled: 1-line block ×15, first 2 shown]
	s_mov_b64 s[34:35], -1
	v_cmp_gt_i16_e64 s[30:31], 2, v12
	s_barrier
	s_cbranch_vccz .LBB960_209
; %bb.172:
	s_and_saveexec_b64 s[34:35], s[30:31]
	s_cbranch_execz .LBB960_208
; %bb.173:
	v_cmp_ne_u16_e32 vcc, 1, v12
	s_mov_b64 s[36:37], 0
	s_and_saveexec_b64 s[30:31], vcc
	s_xor_b64 s[30:31], exec, s[30:31]
	s_cbranch_execz .LBB960_188
; %bb.174:
	s_and_saveexec_b64 s[36:37], s[28:29]
	s_cbranch_execz .LBB960_191
; %bb.175:
	v_sub_u32_e32 v18, v50, v11
	v_mov_b32_e32 v19, 0
	v_lshlrev_b64 v[18:19], 1, v[18:19]
	v_add_co_u32_e32 v18, vcc, v15, v18
	v_addc_co_u32_e32 v19, vcc, v16, v19, vcc
	global_store_short v[18:19], v51, off
	s_or_b64 exec, exec, s[36:37]
	s_and_saveexec_b64 s[36:37], s[26:27]
	s_cbranch_execnz .LBB960_192
.LBB960_176:
	s_or_b64 exec, exec, s[36:37]
	s_and_saveexec_b64 s[36:37], s[24:25]
	s_cbranch_execz .LBB960_193
.LBB960_177:
	v_sub_u32_e32 v18, v46, v11
	v_mov_b32_e32 v19, 0
	v_lshlrev_b64 v[18:19], 1, v[18:19]
	v_add_co_u32_e32 v18, vcc, v15, v18
	v_addc_co_u32_e32 v19, vcc, v16, v19, vcc
	global_store_short v[18:19], v47, off
	s_or_b64 exec, exec, s[36:37]
	s_and_saveexec_b64 s[36:37], s[22:23]
	s_cbranch_execnz .LBB960_194
.LBB960_178:
	s_or_b64 exec, exec, s[36:37]
	s_and_saveexec_b64 s[36:37], s[20:21]
	s_cbranch_execz .LBB960_195
.LBB960_179:
	v_sub_u32_e32 v18, v42, v11
	v_mov_b32_e32 v19, 0
	v_lshlrev_b64 v[18:19], 1, v[18:19]
	v_add_co_u32_e32 v18, vcc, v15, v18
	v_addc_co_u32_e32 v19, vcc, v16, v19, vcc
	global_store_short v[18:19], v43, off
	s_or_b64 exec, exec, s[36:37]
	s_and_saveexec_b64 s[36:37], s[18:19]
	s_cbranch_execnz .LBB960_196
.LBB960_180:
	s_or_b64 exec, exec, s[36:37]
	s_and_saveexec_b64 s[36:37], s[16:17]
	s_cbranch_execz .LBB960_197
.LBB960_181:
	v_sub_u32_e32 v18, v38, v11
	v_mov_b32_e32 v19, 0
	v_lshlrev_b64 v[18:19], 1, v[18:19]
	v_add_co_u32_e32 v18, vcc, v15, v18
	v_addc_co_u32_e32 v19, vcc, v16, v19, vcc
	global_store_short v[18:19], v39, off
	s_or_b64 exec, exec, s[36:37]
	s_and_saveexec_b64 s[36:37], s[14:15]
	s_cbranch_execnz .LBB960_198
.LBB960_182:
	s_or_b64 exec, exec, s[36:37]
	s_and_saveexec_b64 s[36:37], s[12:13]
	s_cbranch_execz .LBB960_199
.LBB960_183:
	v_sub_u32_e32 v18, v34, v11
	v_mov_b32_e32 v19, 0
	v_lshlrev_b64 v[18:19], 1, v[18:19]
	v_add_co_u32_e32 v18, vcc, v15, v18
	v_addc_co_u32_e32 v19, vcc, v16, v19, vcc
	global_store_short v[18:19], v35, off
	s_or_b64 exec, exec, s[36:37]
	s_and_saveexec_b64 s[36:37], s[10:11]
	s_cbranch_execnz .LBB960_200
.LBB960_184:
	s_or_b64 exec, exec, s[36:37]
	s_and_saveexec_b64 s[36:37], s[8:9]
	s_cbranch_execz .LBB960_201
.LBB960_185:
	v_sub_u32_e32 v18, v30, v11
	v_mov_b32_e32 v19, 0
	v_lshlrev_b64 v[18:19], 1, v[18:19]
	v_add_co_u32_e32 v18, vcc, v15, v18
	v_addc_co_u32_e32 v19, vcc, v16, v19, vcc
	global_store_short v[18:19], v31, off
	s_or_b64 exec, exec, s[36:37]
	s_and_saveexec_b64 s[36:37], s[6:7]
	s_cbranch_execnz .LBB960_202
.LBB960_186:
	s_or_b64 exec, exec, s[36:37]
	s_and_saveexec_b64 s[36:37], s[4:5]
	s_cbranch_execz .LBB960_203
.LBB960_187:
	v_sub_u32_e32 v18, v26, v11
	v_mov_b32_e32 v19, 0
	v_lshlrev_b64 v[18:19], 1, v[18:19]
	v_add_co_u32_e32 v18, vcc, v15, v18
	v_addc_co_u32_e32 v19, vcc, v16, v19, vcc
	global_store_short v[18:19], v27, off
	s_or_b64 exec, exec, s[36:37]
	s_and_saveexec_b64 s[36:37], s[2:3]
	s_cbranch_execnz .LBB960_204
	s_branch .LBB960_205
.LBB960_188:
	s_andn2_saveexec_b64 s[30:31], s[30:31]
	s_cbranch_execz .LBB960_206
.LBB960_189:
	v_sub_u32_e32 v18, v50, v11
	v_mov_b32_e32 v19, 0
	v_lshlrev_b64 v[20:21], 1, v[18:19]
	v_add_co_u32_e32 v20, vcc, v15, v20
	v_addc_co_u32_e32 v21, vcc, v16, v21, vcc
	v_sub_u32_e32 v18, v48, v11
	global_store_short v[20:21], v51, off
	v_lshlrev_b64 v[20:21], 1, v[18:19]
	v_add_co_u32_e32 v20, vcc, v15, v20
	v_addc_co_u32_e32 v21, vcc, v16, v21, vcc
	v_sub_u32_e32 v18, v46, v11
	global_store_short v[20:21], v49, off
	;; [unrolled: 5-line block ×12, first 2 shown]
	v_lshlrev_b64 v[20:21], 1, v[18:19]
	v_add_co_u32_e32 v20, vcc, v15, v20
	v_sub_u32_e32 v18, v8, v11
	v_addc_co_u32_e32 v21, vcc, v16, v21, vcc
	v_lshlrev_b64 v[18:19], 1, v[18:19]
	v_add_co_u32_e32 v18, vcc, v15, v18
	v_addc_co_u32_e32 v19, vcc, v16, v19, vcc
	s_or_b64 s[36:37], s[36:37], exec
	global_store_short v[20:21], v27, off
	global_store_short v[18:19], v9, off
	s_or_b64 exec, exec, s[30:31]
	s_and_b64 exec, exec, s[36:37]
	s_cbranch_execnz .LBB960_207
	s_branch .LBB960_208
.LBB960_190:
	s_or_b64 exec, exec, s[8:9]
	v_mov_b32_e32 v82, s12
	s_and_saveexec_b64 s[2:3], s[6:7]
	s_cbranch_execnz .LBB960_76
	s_branch .LBB960_77
.LBB960_191:
	s_or_b64 exec, exec, s[36:37]
	s_and_saveexec_b64 s[36:37], s[26:27]
	s_cbranch_execz .LBB960_176
.LBB960_192:
	v_sub_u32_e32 v18, v48, v11
	v_mov_b32_e32 v19, 0
	v_lshlrev_b64 v[18:19], 1, v[18:19]
	v_add_co_u32_e32 v18, vcc, v15, v18
	v_addc_co_u32_e32 v19, vcc, v16, v19, vcc
	global_store_short v[18:19], v49, off
	s_or_b64 exec, exec, s[36:37]
	s_and_saveexec_b64 s[36:37], s[24:25]
	s_cbranch_execnz .LBB960_177
.LBB960_193:
	s_or_b64 exec, exec, s[36:37]
	s_and_saveexec_b64 s[36:37], s[22:23]
	s_cbranch_execz .LBB960_178
.LBB960_194:
	v_sub_u32_e32 v18, v44, v11
	v_mov_b32_e32 v19, 0
	v_lshlrev_b64 v[18:19], 1, v[18:19]
	v_add_co_u32_e32 v18, vcc, v15, v18
	v_addc_co_u32_e32 v19, vcc, v16, v19, vcc
	global_store_short v[18:19], v45, off
	s_or_b64 exec, exec, s[36:37]
	s_and_saveexec_b64 s[36:37], s[20:21]
	s_cbranch_execnz .LBB960_179
.LBB960_195:
	s_or_b64 exec, exec, s[36:37]
	s_and_saveexec_b64 s[36:37], s[18:19]
	s_cbranch_execz .LBB960_180
.LBB960_196:
	v_sub_u32_e32 v18, v40, v11
	v_mov_b32_e32 v19, 0
	v_lshlrev_b64 v[18:19], 1, v[18:19]
	v_add_co_u32_e32 v18, vcc, v15, v18
	v_addc_co_u32_e32 v19, vcc, v16, v19, vcc
	global_store_short v[18:19], v41, off
	s_or_b64 exec, exec, s[36:37]
	s_and_saveexec_b64 s[36:37], s[16:17]
	s_cbranch_execnz .LBB960_181
.LBB960_197:
	s_or_b64 exec, exec, s[36:37]
	s_and_saveexec_b64 s[36:37], s[14:15]
	s_cbranch_execz .LBB960_182
.LBB960_198:
	v_sub_u32_e32 v18, v36, v11
	v_mov_b32_e32 v19, 0
	v_lshlrev_b64 v[18:19], 1, v[18:19]
	v_add_co_u32_e32 v18, vcc, v15, v18
	v_addc_co_u32_e32 v19, vcc, v16, v19, vcc
	global_store_short v[18:19], v37, off
	s_or_b64 exec, exec, s[36:37]
	s_and_saveexec_b64 s[36:37], s[12:13]
	s_cbranch_execnz .LBB960_183
.LBB960_199:
	s_or_b64 exec, exec, s[36:37]
	s_and_saveexec_b64 s[36:37], s[10:11]
	s_cbranch_execz .LBB960_184
.LBB960_200:
	v_sub_u32_e32 v18, v32, v11
	v_mov_b32_e32 v19, 0
	v_lshlrev_b64 v[18:19], 1, v[18:19]
	v_add_co_u32_e32 v18, vcc, v15, v18
	v_addc_co_u32_e32 v19, vcc, v16, v19, vcc
	global_store_short v[18:19], v33, off
	s_or_b64 exec, exec, s[36:37]
	s_and_saveexec_b64 s[36:37], s[8:9]
	s_cbranch_execnz .LBB960_185
.LBB960_201:
	s_or_b64 exec, exec, s[36:37]
	s_and_saveexec_b64 s[36:37], s[6:7]
	s_cbranch_execz .LBB960_186
.LBB960_202:
	v_sub_u32_e32 v18, v28, v11
	v_mov_b32_e32 v19, 0
	v_lshlrev_b64 v[18:19], 1, v[18:19]
	v_add_co_u32_e32 v18, vcc, v15, v18
	v_addc_co_u32_e32 v19, vcc, v16, v19, vcc
	global_store_short v[18:19], v29, off
	s_or_b64 exec, exec, s[36:37]
	s_and_saveexec_b64 s[36:37], s[4:5]
	s_cbranch_execnz .LBB960_187
.LBB960_203:
	s_or_b64 exec, exec, s[36:37]
	s_and_saveexec_b64 s[36:37], s[2:3]
	s_cbranch_execz .LBB960_205
.LBB960_204:
	v_sub_u32_e32 v18, v8, v11
	v_mov_b32_e32 v19, 0
	v_lshlrev_b64 v[18:19], 1, v[18:19]
	v_add_co_u32_e32 v18, vcc, v15, v18
	v_addc_co_u32_e32 v19, vcc, v16, v19, vcc
	global_store_short v[18:19], v9, off
.LBB960_205:
	s_or_b64 exec, exec, s[36:37]
	s_and_b64 s[36:37], s[0:1], exec
	s_andn2_saveexec_b64 s[30:31], s[30:31]
	s_cbranch_execnz .LBB960_189
.LBB960_206:
	s_or_b64 exec, exec, s[30:31]
	s_and_b64 exec, exec, s[36:37]
	s_cbranch_execz .LBB960_208
.LBB960_207:
	v_sub_u32_e32 v18, v2, v11
	v_mov_b32_e32 v19, 0
	v_lshlrev_b64 v[18:19], 1, v[18:19]
	v_add_co_u32_e32 v18, vcc, v15, v18
	v_addc_co_u32_e32 v19, vcc, v16, v19, vcc
	global_store_short v[18:19], v3, off
.LBB960_208:
	s_or_b64 exec, exec, s[34:35]
	s_mov_b64 s[34:35], 0
.LBB960_209:
	s_and_b64 vcc, exec, s[34:35]
	s_cbranch_vccz .LBB960_261
; %bb.210:
	v_cmp_gt_i16_e32 vcc, 2, v12
	s_and_saveexec_b64 s[30:31], vcc
	s_cbranch_execz .LBB960_245
; %bb.211:
	v_cmp_ne_u16_e32 vcc, 1, v12
	s_mov_b64 s[36:37], 0
	s_and_saveexec_b64 s[34:35], vcc
	s_xor_b64 s[34:35], exec, s[34:35]
	s_cbranch_execz .LBB960_226
; %bb.212:
	s_and_saveexec_b64 s[36:37], s[28:29]
	s_cbranch_execz .LBB960_228
; %bb.213:
	v_sub_u32_e32 v12, v50, v11
	v_lshlrev_b32_e32 v12, 1, v12
	ds_write_b16 v12, v51
	s_or_b64 exec, exec, s[36:37]
	s_and_saveexec_b64 s[28:29], s[26:27]
	s_cbranch_execnz .LBB960_229
.LBB960_214:
	s_or_b64 exec, exec, s[28:29]
	s_and_saveexec_b64 s[26:27], s[24:25]
	s_cbranch_execz .LBB960_230
.LBB960_215:
	v_sub_u32_e32 v12, v46, v11
	v_lshlrev_b32_e32 v12, 1, v12
	ds_write_b16 v12, v47
	s_or_b64 exec, exec, s[26:27]
	s_and_saveexec_b64 s[24:25], s[22:23]
	s_cbranch_execnz .LBB960_231
.LBB960_216:
	s_or_b64 exec, exec, s[24:25]
	s_and_saveexec_b64 s[22:23], s[20:21]
	s_cbranch_execz .LBB960_232
.LBB960_217:
	v_sub_u32_e32 v12, v42, v11
	v_lshlrev_b32_e32 v12, 1, v12
	ds_write_b16 v12, v43
	s_or_b64 exec, exec, s[22:23]
	s_and_saveexec_b64 s[20:21], s[18:19]
	s_cbranch_execnz .LBB960_233
.LBB960_218:
	s_or_b64 exec, exec, s[20:21]
	s_and_saveexec_b64 s[18:19], s[16:17]
	s_cbranch_execz .LBB960_234
.LBB960_219:
	v_sub_u32_e32 v12, v38, v11
	v_lshlrev_b32_e32 v12, 1, v12
	ds_write_b16 v12, v39
	s_or_b64 exec, exec, s[18:19]
	s_and_saveexec_b64 s[16:17], s[14:15]
	s_cbranch_execnz .LBB960_235
.LBB960_220:
	s_or_b64 exec, exec, s[16:17]
	s_and_saveexec_b64 s[14:15], s[12:13]
	s_cbranch_execz .LBB960_236
.LBB960_221:
	v_sub_u32_e32 v12, v34, v11
	v_lshlrev_b32_e32 v12, 1, v12
	ds_write_b16 v12, v35
	s_or_b64 exec, exec, s[14:15]
	s_and_saveexec_b64 s[12:13], s[10:11]
	s_cbranch_execnz .LBB960_237
.LBB960_222:
	s_or_b64 exec, exec, s[12:13]
	s_and_saveexec_b64 s[10:11], s[8:9]
	s_cbranch_execz .LBB960_238
.LBB960_223:
	v_sub_u32_e32 v12, v30, v11
	v_lshlrev_b32_e32 v12, 1, v12
	ds_write_b16 v12, v31
	s_or_b64 exec, exec, s[10:11]
	s_and_saveexec_b64 s[8:9], s[6:7]
	s_cbranch_execnz .LBB960_239
.LBB960_224:
	s_or_b64 exec, exec, s[8:9]
	s_and_saveexec_b64 s[6:7], s[4:5]
	s_cbranch_execz .LBB960_240
.LBB960_225:
	v_sub_u32_e32 v12, v26, v11
	v_lshlrev_b32_e32 v12, 1, v12
	ds_write_b16 v12, v27
	s_or_b64 exec, exec, s[6:7]
	s_and_saveexec_b64 s[4:5], s[2:3]
	s_cbranch_execnz .LBB960_241
	s_branch .LBB960_242
.LBB960_226:
	s_andn2_saveexec_b64 s[0:1], s[34:35]
	s_cbranch_execz .LBB960_243
.LBB960_227:
	v_sub_u32_e32 v12, v50, v11
	v_lshlrev_b32_e32 v12, 1, v12
	ds_write_b16 v12, v51
	v_sub_u32_e32 v12, v48, v11
	v_lshlrev_b32_e32 v12, 1, v12
	ds_write_b16 v12, v49
	;; [unrolled: 3-line block ×12, first 2 shown]
	v_sub_u32_e32 v12, v26, v11
	v_sub_u32_e32 v8, v8, v11
	v_lshlrev_b32_e32 v12, 1, v12
	v_lshlrev_b32_e32 v8, 1, v8
	s_or_b64 s[36:37], s[36:37], exec
	ds_write_b16 v12, v27
	ds_write_b16 v8, v9
	s_or_b64 exec, exec, s[0:1]
	s_and_b64 exec, exec, s[36:37]
	s_cbranch_execnz .LBB960_244
	s_branch .LBB960_245
.LBB960_228:
	s_or_b64 exec, exec, s[36:37]
	s_and_saveexec_b64 s[28:29], s[26:27]
	s_cbranch_execz .LBB960_214
.LBB960_229:
	v_sub_u32_e32 v12, v48, v11
	v_lshlrev_b32_e32 v12, 1, v12
	ds_write_b16 v12, v49
	s_or_b64 exec, exec, s[28:29]
	s_and_saveexec_b64 s[26:27], s[24:25]
	s_cbranch_execnz .LBB960_215
.LBB960_230:
	s_or_b64 exec, exec, s[26:27]
	s_and_saveexec_b64 s[24:25], s[22:23]
	s_cbranch_execz .LBB960_216
.LBB960_231:
	v_sub_u32_e32 v12, v44, v11
	v_lshlrev_b32_e32 v12, 1, v12
	ds_write_b16 v12, v45
	s_or_b64 exec, exec, s[24:25]
	s_and_saveexec_b64 s[22:23], s[20:21]
	s_cbranch_execnz .LBB960_217
.LBB960_232:
	s_or_b64 exec, exec, s[22:23]
	s_and_saveexec_b64 s[20:21], s[18:19]
	s_cbranch_execz .LBB960_218
.LBB960_233:
	v_sub_u32_e32 v12, v40, v11
	v_lshlrev_b32_e32 v12, 1, v12
	ds_write_b16 v12, v41
	s_or_b64 exec, exec, s[20:21]
	s_and_saveexec_b64 s[18:19], s[16:17]
	s_cbranch_execnz .LBB960_219
.LBB960_234:
	s_or_b64 exec, exec, s[18:19]
	s_and_saveexec_b64 s[16:17], s[14:15]
	s_cbranch_execz .LBB960_220
.LBB960_235:
	v_sub_u32_e32 v12, v36, v11
	v_lshlrev_b32_e32 v12, 1, v12
	ds_write_b16 v12, v37
	s_or_b64 exec, exec, s[16:17]
	s_and_saveexec_b64 s[14:15], s[12:13]
	s_cbranch_execnz .LBB960_221
.LBB960_236:
	s_or_b64 exec, exec, s[14:15]
	s_and_saveexec_b64 s[12:13], s[10:11]
	s_cbranch_execz .LBB960_222
.LBB960_237:
	v_sub_u32_e32 v12, v32, v11
	v_lshlrev_b32_e32 v12, 1, v12
	ds_write_b16 v12, v33
	s_or_b64 exec, exec, s[12:13]
	s_and_saveexec_b64 s[10:11], s[8:9]
	s_cbranch_execnz .LBB960_223
.LBB960_238:
	s_or_b64 exec, exec, s[10:11]
	s_and_saveexec_b64 s[8:9], s[6:7]
	s_cbranch_execz .LBB960_224
.LBB960_239:
	v_sub_u32_e32 v12, v28, v11
	v_lshlrev_b32_e32 v12, 1, v12
	ds_write_b16 v12, v29
	s_or_b64 exec, exec, s[8:9]
	s_and_saveexec_b64 s[6:7], s[4:5]
	s_cbranch_execnz .LBB960_225
.LBB960_240:
	s_or_b64 exec, exec, s[6:7]
	s_and_saveexec_b64 s[4:5], s[2:3]
	s_cbranch_execz .LBB960_242
.LBB960_241:
	v_sub_u32_e32 v8, v8, v11
	v_lshlrev_b32_e32 v8, 1, v8
	ds_write_b16 v8, v9
.LBB960_242:
	s_or_b64 exec, exec, s[4:5]
	s_and_b64 s[36:37], s[0:1], exec
                                        ; implicit-def: $vgpr50_vgpr51
                                        ; implicit-def: $vgpr48_vgpr49
                                        ; implicit-def: $vgpr46_vgpr47
                                        ; implicit-def: $vgpr44_vgpr45
                                        ; implicit-def: $vgpr42_vgpr43
                                        ; implicit-def: $vgpr40_vgpr41
                                        ; implicit-def: $vgpr38_vgpr39
                                        ; implicit-def: $vgpr36_vgpr37
                                        ; implicit-def: $vgpr34_vgpr35
                                        ; implicit-def: $vgpr32_vgpr33
                                        ; implicit-def: $vgpr30_vgpr31
                                        ; implicit-def: $vgpr28_vgpr29
                                        ; implicit-def: $vgpr26_vgpr27
                                        ; implicit-def: $vgpr8_vgpr9
	s_andn2_saveexec_b64 s[0:1], s[34:35]
	s_cbranch_execnz .LBB960_227
.LBB960_243:
	s_or_b64 exec, exec, s[0:1]
	s_and_b64 exec, exec, s[36:37]
	s_cbranch_execz .LBB960_245
.LBB960_244:
	v_sub_u32_e32 v2, v2, v11
	v_lshlrev_b32_e32 v2, 1, v2
	ds_write_b16 v2, v3
.LBB960_245:
	s_or_b64 exec, exec, s[30:31]
	v_cmp_lt_u32_e32 vcc, v0, v5
	s_waitcnt lgkmcnt(0)
	s_barrier
	s_and_saveexec_b64 s[2:3], vcc
	s_cbranch_execz .LBB960_260
; %bb.246:
	v_add_u32_e32 v8, v4, v10
	v_xad_u32 v2, v0, -1, v8
	v_sub_u32_e32 v3, v2, v1
	s_movk_i32 s0, 0x1b00
	v_cmp_gt_u32_e64 s[4:5], s0, v3
	s_movk_i32 s0, 0x1aff
	v_cmp_lt_u32_e32 vcc, s0, v3
	v_mov_b32_e32 v2, v0
	s_and_saveexec_b64 s[6:7], vcc
	s_cbranch_execz .LBB960_257
; %bb.247:
	v_sub_u32_e32 v2, v0, v8
	v_add_u32_e32 v1, v2, v1
	v_or_b32_e32 v1, 0xff, v1
	v_cmp_ge_u32_e32 vcc, v1, v0
	s_mov_b64 s[0:1], -1
	v_mov_b32_e32 v2, v0
	s_and_saveexec_b64 s[8:9], vcc
	s_cbranch_execz .LBB960_256
; %bb.248:
	v_lshrrev_b32_e32 v17, 8, v3
	v_add_u32_e32 v8, -3, v17
	v_or_b32_e32 v3, 0x300, v0
	v_or_b32_e32 v2, 0x200, v0
	v_lshrrev_b32_e32 v9, 2, v8
	v_or_b32_e32 v1, 0x100, v0
	v_add_u32_e32 v19, 1, v9
	v_cmp_lt_u32_e32 vcc, 11, v8
	v_pk_mov_b32 v[10:11], v[2:3], v[2:3] op_sel:[0,1]
	v_mov_b32_e32 v22, 0
	v_lshlrev_b32_e32 v18, 1, v0
	v_pk_mov_b32 v[8:9], v[0:1], v[0:1] op_sel:[0,1]
	s_and_saveexec_b64 s[10:11], vcc
	s_cbranch_execz .LBB960_252
; %bb.249:
	v_pk_mov_b32 v[10:11], v[2:3], v[2:3] op_sel:[0,1]
	v_and_b32_e32 v20, 0x7ffffffc, v19
	s_mov_b32 s14, 0
	s_mov_b64 s[12:13], 0
	v_mov_b32_e32 v13, 0
	v_mov_b32_e32 v21, v18
	v_pk_mov_b32 v[8:9], v[0:1], v[0:1] op_sel:[0,1]
.LBB960_250:                            ; =>This Inner Loop Header: Depth=1
	v_mov_b32_e32 v12, v8
	v_lshlrev_b64 v[40:41], 1, v[12:13]
	v_add_u32_e32 v26, 0x400, v9
	v_mov_b32_e32 v27, v13
	v_add_co_u32_e64 v40, s[0:1], v15, v40
	v_lshlrev_b64 v[26:27], 1, v[26:27]
	v_addc_co_u32_e64 v41, s[0:1], v16, v41, s[0:1]
	v_add_u32_e32 v22, 0x400, v10
	v_mov_b32_e32 v23, v13
	v_add_co_u32_e64 v26, s[0:1], v15, v26
	v_lshlrev_b64 v[42:43], 1, v[22:23]
	v_addc_co_u32_e64 v27, s[0:1], v16, v27, s[0:1]
	v_add_u32_e32 v2, 0x400, v11
	v_mov_b32_e32 v3, v13
	v_add_co_u32_e64 v42, s[0:1], v15, v42
	v_add_u32_e32 v20, -4, v20
	v_mov_b32_e32 v12, v9
	v_lshlrev_b64 v[2:3], 1, v[2:3]
	v_addc_co_u32_e64 v43, s[0:1], v16, v43, s[0:1]
	v_add_u32_e32 v32, 0x800, v9
	v_mov_b32_e32 v33, v13
	s_add_i32 s14, s14, 16
	v_cmp_eq_u32_e32 vcc, 0, v20
	v_lshlrev_b64 v[44:45], 1, v[12:13]
	v_add_co_u32_e64 v2, s[0:1], v15, v2
	v_lshlrev_b64 v[32:33], 1, v[32:33]
	v_mov_b32_e32 v12, v10
	v_addc_co_u32_e64 v3, s[0:1], v16, v3, s[0:1]
	s_or_b64 s[12:13], vcc, s[12:13]
	v_add_co_u32_e32 v44, vcc, v15, v44
	v_add_u32_e32 v30, 0x800, v10
	v_mov_b32_e32 v31, v13
	v_add_co_u32_e64 v32, s[0:1], v15, v32
	v_addc_co_u32_e32 v45, vcc, v16, v45, vcc
	v_lshlrev_b64 v[46:47], 1, v[12:13]
	v_lshlrev_b64 v[30:31], 1, v[30:31]
	v_addc_co_u32_e64 v33, s[0:1], v16, v33, s[0:1]
	v_mov_b32_e32 v12, v11
	v_add_co_u32_e32 v46, vcc, v15, v46
	ds_read_u16 v1, v21
	ds_read_u16 v50, v21 offset:512
	ds_read_u16 v51, v21 offset:1024
	ds_read_u16 v52, v21 offset:1536
	ds_read_u16 v53, v21 offset:2048
	ds_read_u16 v54, v21 offset:2560
	ds_read_u16 v55, v21 offset:3072
	ds_read_u16 v56, v21 offset:3584
	v_add_u32_e32 v28, 0x800, v11
	v_mov_b32_e32 v29, v13
	v_add_co_u32_e64 v30, s[0:1], v15, v30
	v_addc_co_u32_e32 v47, vcc, v16, v47, vcc
	v_lshlrev_b64 v[48:49], 1, v[12:13]
	v_lshlrev_b64 v[28:29], 1, v[28:29]
	v_addc_co_u32_e64 v31, s[0:1], v16, v31, s[0:1]
	v_add_u32_e32 v12, 0x400, v8
	v_add_co_u32_e32 v48, vcc, v15, v48
	v_add_u32_e32 v38, 0xc00, v9
	v_mov_b32_e32 v39, v13
	ds_read_u16 v57, v21 offset:4096
	ds_read_u16 v58, v21 offset:4608
	;; [unrolled: 1-line block ×8, first 2 shown]
	v_add_co_u32_e64 v28, s[0:1], v15, v28
	v_addc_co_u32_e32 v49, vcc, v16, v49, vcc
	s_waitcnt lgkmcnt(14)
	global_store_short v[40:41], v1, off
	global_store_short v[44:45], v50, off
	s_waitcnt lgkmcnt(13)
	global_store_short v[46:47], v51, off
	v_lshlrev_b64 v[40:41], 1, v[12:13]
	v_lshlrev_b64 v[38:39], 1, v[38:39]
	v_addc_co_u32_e64 v29, s[0:1], v16, v29, s[0:1]
	v_add_u32_e32 v12, 0x800, v8
	v_add_co_u32_e32 v40, vcc, v15, v40
	v_add_u32_e32 v36, 0xc00, v10
	v_mov_b32_e32 v37, v13
	v_add_co_u32_e64 v38, s[0:1], v15, v38
	v_addc_co_u32_e32 v41, vcc, v16, v41, vcc
	v_lshlrev_b64 v[44:45], 1, v[12:13]
	v_lshlrev_b64 v[36:37], 1, v[36:37]
	v_addc_co_u32_e64 v39, s[0:1], v16, v39, s[0:1]
	s_waitcnt lgkmcnt(12)
	global_store_short v[48:49], v52, off
	v_add_u32_e32 v12, 0xc00, v8
	s_waitcnt lgkmcnt(11)
	global_store_short v[40:41], v53, off
	s_waitcnt lgkmcnt(10)
	global_store_short v[26:27], v54, off
	;; [unrolled: 2-line block ×4, first 2 shown]
	v_add_co_u32_e32 v2, vcc, v15, v44
	v_add_u32_e32 v34, 0xc00, v11
	v_mov_b32_e32 v35, v13
	v_add_co_u32_e64 v36, s[0:1], v15, v36
	v_addc_co_u32_e32 v3, vcc, v16, v45, vcc
	v_lshlrev_b64 v[26:27], 1, v[12:13]
	v_lshlrev_b64 v[34:35], 1, v[34:35]
	v_addc_co_u32_e64 v37, s[0:1], v16, v37, s[0:1]
	s_waitcnt lgkmcnt(7)
	global_store_short v[2:3], v57, off
	s_waitcnt lgkmcnt(6)
	global_store_short v[32:33], v58, off
	;; [unrolled: 2-line block ×4, first 2 shown]
	v_add_co_u32_e32 v2, vcc, v15, v26
	v_add_u32_e32 v21, 0x2000, v21
	v_add_u32_e32 v9, 0x1000, v9
	v_mov_b32_e32 v22, s14
	v_add_co_u32_e64 v34, s[0:1], v15, v34
	v_add_u32_e32 v10, 0x1000, v10
	v_add_u32_e32 v11, 0x1000, v11
	;; [unrolled: 1-line block ×3, first 2 shown]
	v_addc_co_u32_e32 v3, vcc, v16, v27, vcc
	v_addc_co_u32_e64 v35, s[0:1], v16, v35, s[0:1]
	s_waitcnt lgkmcnt(3)
	global_store_short v[2:3], v61, off
	s_waitcnt lgkmcnt(2)
	global_store_short v[38:39], v62, off
	;; [unrolled: 2-line block ×4, first 2 shown]
	s_andn2_b64 exec, exec, s[12:13]
	s_cbranch_execnz .LBB960_250
; %bb.251:
	s_or_b64 exec, exec, s[12:13]
.LBB960_252:
	s_or_b64 exec, exec, s[10:11]
	v_and_b32_e32 v1, 3, v19
	v_cmp_ne_u32_e32 vcc, 0, v1
	s_and_saveexec_b64 s[10:11], vcc
	s_cbranch_execz .LBB960_255
; %bb.253:
	v_lshl_or_b32 v12, v22, 9, v18
	s_mov_b64 s[12:13], 0
	v_mov_b32_e32 v3, 0
.LBB960_254:                            ; =>This Inner Loop Header: Depth=1
	v_mov_b32_e32 v2, v8
	v_add_u32_e32 v1, -1, v1
	v_lshlrev_b64 v[18:19], 1, v[2:3]
	v_mov_b32_e32 v2, v9
	v_cmp_eq_u32_e32 vcc, 0, v1
	v_lshlrev_b64 v[20:21], 1, v[2:3]
	ds_read_u16 v13, v12
	ds_read_u16 v28, v12 offset:512
	ds_read_u16 v29, v12 offset:1024
	ds_read_u16 v30, v12 offset:1536
	v_mov_b32_e32 v2, v10
	s_or_b64 s[12:13], vcc, s[12:13]
	v_add_co_u32_e32 v20, vcc, v15, v20
	v_addc_co_u32_e32 v21, vcc, v16, v21, vcc
	v_lshlrev_b64 v[22:23], 1, v[2:3]
	v_mov_b32_e32 v2, v11
	v_add_co_u32_e32 v22, vcc, v15, v22
	v_add_co_u32_e64 v18, s[0:1], v15, v18
	v_addc_co_u32_e32 v23, vcc, v16, v23, vcc
	v_lshlrev_b64 v[26:27], 1, v[2:3]
	v_add_u32_e32 v8, 0x400, v8
	v_add_u32_e32 v12, 0x800, v12
	;; [unrolled: 1-line block ×3, first 2 shown]
	v_addc_co_u32_e64 v19, s[0:1], v16, v19, s[0:1]
	v_add_u32_e32 v10, 0x400, v10
	v_add_u32_e32 v11, 0x400, v11
	v_add_co_u32_e32 v26, vcc, v15, v26
	v_addc_co_u32_e32 v27, vcc, v16, v27, vcc
	s_waitcnt lgkmcnt(3)
	global_store_short v[18:19], v13, off
	s_waitcnt lgkmcnt(2)
	global_store_short v[20:21], v28, off
	;; [unrolled: 2-line block ×4, first 2 shown]
	s_andn2_b64 exec, exec, s[12:13]
	s_cbranch_execnz .LBB960_254
.LBB960_255:
	s_or_b64 exec, exec, s[10:11]
	v_add_u32_e32 v1, 1, v17
	v_and_b32_e32 v3, 0x1fffffc, v1
	v_cmp_ne_u32_e32 vcc, v1, v3
	v_lshl_or_b32 v2, v3, 8, v0
	s_orn2_b64 s[0:1], vcc, exec
.LBB960_256:
	s_or_b64 exec, exec, s[8:9]
	s_andn2_b64 s[4:5], s[4:5], exec
	s_and_b64 s[0:1], s[0:1], exec
	s_or_b64 s[4:5], s[4:5], s[0:1]
.LBB960_257:
	s_or_b64 exec, exec, s[6:7]
	s_and_b64 exec, exec, s[4:5]
	s_cbranch_execz .LBB960_260
; %bb.258:
	v_lshlrev_b32_e32 v1, 1, v2
	s_mov_b64 s[0:1], 0
	v_mov_b32_e32 v3, 0
.LBB960_259:                            ; =>This Inner Loop Header: Depth=1
	v_lshlrev_b64 v[8:9], 1, v[2:3]
	ds_read_u16 v10, v1
	v_add_co_u32_e32 v8, vcc, v15, v8
	v_add_u32_e32 v2, 0x100, v2
	v_addc_co_u32_e32 v9, vcc, v16, v9, vcc
	v_cmp_ge_u32_e32 vcc, v2, v5
	v_add_u32_e32 v1, 0x200, v1
	s_or_b64 s[0:1], vcc, s[0:1]
	s_waitcnt lgkmcnt(0)
	global_store_short v[8:9], v10, off
	s_andn2_b64 exec, exec, s[0:1]
	s_cbranch_execnz .LBB960_259
.LBB960_260:
	s_or_b64 exec, exec, s[2:3]
.LBB960_261:
	s_movk_i32 s0, 0xff
	v_cmp_eq_u32_e32 vcc, s0, v0
	s_and_b64 s[0:1], vcc, s[40:41]
	s_and_saveexec_b64 s[2:3], s[0:1]
	s_cbranch_execz .LBB960_264
; %bb.262:
	v_add_co_u32_e32 v0, vcc, v4, v6
	v_addc_co_u32_e64 v1, s[0:1], 0, 0, vcc
	v_add_co_u32_e32 v0, vcc, v0, v24
	v_mov_b32_e32 v5, 0
	v_addc_co_u32_e32 v1, vcc, v1, v25, vcc
	s_cmpk_lg_i32 s33, 0xf00
	global_store_dwordx2 v5, v[0:1], s[46:47]
	s_cbranch_scc1 .LBB960_264
; %bb.263:
	v_lshlrev_b64 v[0:1], 1, v[4:5]
	v_add_co_u32_e32 v0, vcc, v7, v0
	v_addc_co_u32_e32 v1, vcc, v14, v1, vcc
	global_store_short v[0:1], v81, off offset:-2
.LBB960_264:
	s_endpgm
	.section	.rodata,"a",@progbits
	.p2align	6, 0x0
	.amdhsa_kernel _ZN7rocprim17ROCPRIM_400000_NS6detail17trampoline_kernelINS0_14default_configENS1_29reduce_by_key_config_selectorIjtN6thrust23THRUST_200600_302600_NS4plusItEEEEZZNS1_33reduce_by_key_impl_wrapped_configILNS1_25lookback_scan_determinismE0ES3_S9_NS6_6detail15normal_iteratorINS6_10device_ptrIjEEEENSD_INSE_ItEEEENS6_16discard_iteratorINS6_11use_defaultEEESI_PmS8_NS6_8equal_toIjEEEE10hipError_tPvRmT2_T3_mT4_T5_T6_T7_T8_P12ihipStream_tbENKUlT_T0_E_clISt17integral_constantIbLb1EES16_EEDaS11_S12_EUlS11_E_NS1_11comp_targetILNS1_3genE4ELNS1_11target_archE910ELNS1_3gpuE8ELNS1_3repE0EEENS1_30default_config_static_selectorELNS0_4arch9wavefront6targetE1EEEvT1_
		.amdhsa_group_segment_fixed_size 15360
		.amdhsa_private_segment_fixed_size 0
		.amdhsa_kernarg_size 128
		.amdhsa_user_sgpr_count 6
		.amdhsa_user_sgpr_private_segment_buffer 1
		.amdhsa_user_sgpr_dispatch_ptr 0
		.amdhsa_user_sgpr_queue_ptr 0
		.amdhsa_user_sgpr_kernarg_segment_ptr 1
		.amdhsa_user_sgpr_dispatch_id 0
		.amdhsa_user_sgpr_flat_scratch_init 0
		.amdhsa_user_sgpr_kernarg_preload_length 0
		.amdhsa_user_sgpr_kernarg_preload_offset 0
		.amdhsa_user_sgpr_private_segment_size 0
		.amdhsa_uses_dynamic_stack 0
		.amdhsa_system_sgpr_private_segment_wavefront_offset 0
		.amdhsa_system_sgpr_workgroup_id_x 1
		.amdhsa_system_sgpr_workgroup_id_y 0
		.amdhsa_system_sgpr_workgroup_id_z 0
		.amdhsa_system_sgpr_workgroup_info 0
		.amdhsa_system_vgpr_workitem_id 0
		.amdhsa_next_free_vgpr 87
		.amdhsa_next_free_sgpr 64
		.amdhsa_accum_offset 88
		.amdhsa_reserve_vcc 1
		.amdhsa_reserve_flat_scratch 0
		.amdhsa_float_round_mode_32 0
		.amdhsa_float_round_mode_16_64 0
		.amdhsa_float_denorm_mode_32 3
		.amdhsa_float_denorm_mode_16_64 3
		.amdhsa_dx10_clamp 1
		.amdhsa_ieee_mode 1
		.amdhsa_fp16_overflow 0
		.amdhsa_tg_split 0
		.amdhsa_exception_fp_ieee_invalid_op 0
		.amdhsa_exception_fp_denorm_src 0
		.amdhsa_exception_fp_ieee_div_zero 0
		.amdhsa_exception_fp_ieee_overflow 0
		.amdhsa_exception_fp_ieee_underflow 0
		.amdhsa_exception_fp_ieee_inexact 0
		.amdhsa_exception_int_div_zero 0
	.end_amdhsa_kernel
	.section	.text._ZN7rocprim17ROCPRIM_400000_NS6detail17trampoline_kernelINS0_14default_configENS1_29reduce_by_key_config_selectorIjtN6thrust23THRUST_200600_302600_NS4plusItEEEEZZNS1_33reduce_by_key_impl_wrapped_configILNS1_25lookback_scan_determinismE0ES3_S9_NS6_6detail15normal_iteratorINS6_10device_ptrIjEEEENSD_INSE_ItEEEENS6_16discard_iteratorINS6_11use_defaultEEESI_PmS8_NS6_8equal_toIjEEEE10hipError_tPvRmT2_T3_mT4_T5_T6_T7_T8_P12ihipStream_tbENKUlT_T0_E_clISt17integral_constantIbLb1EES16_EEDaS11_S12_EUlS11_E_NS1_11comp_targetILNS1_3genE4ELNS1_11target_archE910ELNS1_3gpuE8ELNS1_3repE0EEENS1_30default_config_static_selectorELNS0_4arch9wavefront6targetE1EEEvT1_,"axG",@progbits,_ZN7rocprim17ROCPRIM_400000_NS6detail17trampoline_kernelINS0_14default_configENS1_29reduce_by_key_config_selectorIjtN6thrust23THRUST_200600_302600_NS4plusItEEEEZZNS1_33reduce_by_key_impl_wrapped_configILNS1_25lookback_scan_determinismE0ES3_S9_NS6_6detail15normal_iteratorINS6_10device_ptrIjEEEENSD_INSE_ItEEEENS6_16discard_iteratorINS6_11use_defaultEEESI_PmS8_NS6_8equal_toIjEEEE10hipError_tPvRmT2_T3_mT4_T5_T6_T7_T8_P12ihipStream_tbENKUlT_T0_E_clISt17integral_constantIbLb1EES16_EEDaS11_S12_EUlS11_E_NS1_11comp_targetILNS1_3genE4ELNS1_11target_archE910ELNS1_3gpuE8ELNS1_3repE0EEENS1_30default_config_static_selectorELNS0_4arch9wavefront6targetE1EEEvT1_,comdat
.Lfunc_end960:
	.size	_ZN7rocprim17ROCPRIM_400000_NS6detail17trampoline_kernelINS0_14default_configENS1_29reduce_by_key_config_selectorIjtN6thrust23THRUST_200600_302600_NS4plusItEEEEZZNS1_33reduce_by_key_impl_wrapped_configILNS1_25lookback_scan_determinismE0ES3_S9_NS6_6detail15normal_iteratorINS6_10device_ptrIjEEEENSD_INSE_ItEEEENS6_16discard_iteratorINS6_11use_defaultEEESI_PmS8_NS6_8equal_toIjEEEE10hipError_tPvRmT2_T3_mT4_T5_T6_T7_T8_P12ihipStream_tbENKUlT_T0_E_clISt17integral_constantIbLb1EES16_EEDaS11_S12_EUlS11_E_NS1_11comp_targetILNS1_3genE4ELNS1_11target_archE910ELNS1_3gpuE8ELNS1_3repE0EEENS1_30default_config_static_selectorELNS0_4arch9wavefront6targetE1EEEvT1_, .Lfunc_end960-_ZN7rocprim17ROCPRIM_400000_NS6detail17trampoline_kernelINS0_14default_configENS1_29reduce_by_key_config_selectorIjtN6thrust23THRUST_200600_302600_NS4plusItEEEEZZNS1_33reduce_by_key_impl_wrapped_configILNS1_25lookback_scan_determinismE0ES3_S9_NS6_6detail15normal_iteratorINS6_10device_ptrIjEEEENSD_INSE_ItEEEENS6_16discard_iteratorINS6_11use_defaultEEESI_PmS8_NS6_8equal_toIjEEEE10hipError_tPvRmT2_T3_mT4_T5_T6_T7_T8_P12ihipStream_tbENKUlT_T0_E_clISt17integral_constantIbLb1EES16_EEDaS11_S12_EUlS11_E_NS1_11comp_targetILNS1_3genE4ELNS1_11target_archE910ELNS1_3gpuE8ELNS1_3repE0EEENS1_30default_config_static_selectorELNS0_4arch9wavefront6targetE1EEEvT1_
                                        ; -- End function
	.section	.AMDGPU.csdata,"",@progbits
; Kernel info:
; codeLenInByte = 15536
; NumSgprs: 68
; NumVgprs: 87
; NumAgprs: 0
; TotalNumVgprs: 87
; ScratchSize: 0
; MemoryBound: 0
; FloatMode: 240
; IeeeMode: 1
; LDSByteSize: 15360 bytes/workgroup (compile time only)
; SGPRBlocks: 8
; VGPRBlocks: 10
; NumSGPRsForWavesPerEU: 68
; NumVGPRsForWavesPerEU: 87
; AccumOffset: 88
; Occupancy: 4
; WaveLimiterHint : 1
; COMPUTE_PGM_RSRC2:SCRATCH_EN: 0
; COMPUTE_PGM_RSRC2:USER_SGPR: 6
; COMPUTE_PGM_RSRC2:TRAP_HANDLER: 0
; COMPUTE_PGM_RSRC2:TGID_X_EN: 1
; COMPUTE_PGM_RSRC2:TGID_Y_EN: 0
; COMPUTE_PGM_RSRC2:TGID_Z_EN: 0
; COMPUTE_PGM_RSRC2:TIDIG_COMP_CNT: 0
; COMPUTE_PGM_RSRC3_GFX90A:ACCUM_OFFSET: 21
; COMPUTE_PGM_RSRC3_GFX90A:TG_SPLIT: 0
	.section	.text._ZN7rocprim17ROCPRIM_400000_NS6detail17trampoline_kernelINS0_14default_configENS1_29reduce_by_key_config_selectorIjtN6thrust23THRUST_200600_302600_NS4plusItEEEEZZNS1_33reduce_by_key_impl_wrapped_configILNS1_25lookback_scan_determinismE0ES3_S9_NS6_6detail15normal_iteratorINS6_10device_ptrIjEEEENSD_INSE_ItEEEENS6_16discard_iteratorINS6_11use_defaultEEESI_PmS8_NS6_8equal_toIjEEEE10hipError_tPvRmT2_T3_mT4_T5_T6_T7_T8_P12ihipStream_tbENKUlT_T0_E_clISt17integral_constantIbLb1EES16_EEDaS11_S12_EUlS11_E_NS1_11comp_targetILNS1_3genE3ELNS1_11target_archE908ELNS1_3gpuE7ELNS1_3repE0EEENS1_30default_config_static_selectorELNS0_4arch9wavefront6targetE1EEEvT1_,"axG",@progbits,_ZN7rocprim17ROCPRIM_400000_NS6detail17trampoline_kernelINS0_14default_configENS1_29reduce_by_key_config_selectorIjtN6thrust23THRUST_200600_302600_NS4plusItEEEEZZNS1_33reduce_by_key_impl_wrapped_configILNS1_25lookback_scan_determinismE0ES3_S9_NS6_6detail15normal_iteratorINS6_10device_ptrIjEEEENSD_INSE_ItEEEENS6_16discard_iteratorINS6_11use_defaultEEESI_PmS8_NS6_8equal_toIjEEEE10hipError_tPvRmT2_T3_mT4_T5_T6_T7_T8_P12ihipStream_tbENKUlT_T0_E_clISt17integral_constantIbLb1EES16_EEDaS11_S12_EUlS11_E_NS1_11comp_targetILNS1_3genE3ELNS1_11target_archE908ELNS1_3gpuE7ELNS1_3repE0EEENS1_30default_config_static_selectorELNS0_4arch9wavefront6targetE1EEEvT1_,comdat
	.protected	_ZN7rocprim17ROCPRIM_400000_NS6detail17trampoline_kernelINS0_14default_configENS1_29reduce_by_key_config_selectorIjtN6thrust23THRUST_200600_302600_NS4plusItEEEEZZNS1_33reduce_by_key_impl_wrapped_configILNS1_25lookback_scan_determinismE0ES3_S9_NS6_6detail15normal_iteratorINS6_10device_ptrIjEEEENSD_INSE_ItEEEENS6_16discard_iteratorINS6_11use_defaultEEESI_PmS8_NS6_8equal_toIjEEEE10hipError_tPvRmT2_T3_mT4_T5_T6_T7_T8_P12ihipStream_tbENKUlT_T0_E_clISt17integral_constantIbLb1EES16_EEDaS11_S12_EUlS11_E_NS1_11comp_targetILNS1_3genE3ELNS1_11target_archE908ELNS1_3gpuE7ELNS1_3repE0EEENS1_30default_config_static_selectorELNS0_4arch9wavefront6targetE1EEEvT1_ ; -- Begin function _ZN7rocprim17ROCPRIM_400000_NS6detail17trampoline_kernelINS0_14default_configENS1_29reduce_by_key_config_selectorIjtN6thrust23THRUST_200600_302600_NS4plusItEEEEZZNS1_33reduce_by_key_impl_wrapped_configILNS1_25lookback_scan_determinismE0ES3_S9_NS6_6detail15normal_iteratorINS6_10device_ptrIjEEEENSD_INSE_ItEEEENS6_16discard_iteratorINS6_11use_defaultEEESI_PmS8_NS6_8equal_toIjEEEE10hipError_tPvRmT2_T3_mT4_T5_T6_T7_T8_P12ihipStream_tbENKUlT_T0_E_clISt17integral_constantIbLb1EES16_EEDaS11_S12_EUlS11_E_NS1_11comp_targetILNS1_3genE3ELNS1_11target_archE908ELNS1_3gpuE7ELNS1_3repE0EEENS1_30default_config_static_selectorELNS0_4arch9wavefront6targetE1EEEvT1_
	.globl	_ZN7rocprim17ROCPRIM_400000_NS6detail17trampoline_kernelINS0_14default_configENS1_29reduce_by_key_config_selectorIjtN6thrust23THRUST_200600_302600_NS4plusItEEEEZZNS1_33reduce_by_key_impl_wrapped_configILNS1_25lookback_scan_determinismE0ES3_S9_NS6_6detail15normal_iteratorINS6_10device_ptrIjEEEENSD_INSE_ItEEEENS6_16discard_iteratorINS6_11use_defaultEEESI_PmS8_NS6_8equal_toIjEEEE10hipError_tPvRmT2_T3_mT4_T5_T6_T7_T8_P12ihipStream_tbENKUlT_T0_E_clISt17integral_constantIbLb1EES16_EEDaS11_S12_EUlS11_E_NS1_11comp_targetILNS1_3genE3ELNS1_11target_archE908ELNS1_3gpuE7ELNS1_3repE0EEENS1_30default_config_static_selectorELNS0_4arch9wavefront6targetE1EEEvT1_
	.p2align	8
	.type	_ZN7rocprim17ROCPRIM_400000_NS6detail17trampoline_kernelINS0_14default_configENS1_29reduce_by_key_config_selectorIjtN6thrust23THRUST_200600_302600_NS4plusItEEEEZZNS1_33reduce_by_key_impl_wrapped_configILNS1_25lookback_scan_determinismE0ES3_S9_NS6_6detail15normal_iteratorINS6_10device_ptrIjEEEENSD_INSE_ItEEEENS6_16discard_iteratorINS6_11use_defaultEEESI_PmS8_NS6_8equal_toIjEEEE10hipError_tPvRmT2_T3_mT4_T5_T6_T7_T8_P12ihipStream_tbENKUlT_T0_E_clISt17integral_constantIbLb1EES16_EEDaS11_S12_EUlS11_E_NS1_11comp_targetILNS1_3genE3ELNS1_11target_archE908ELNS1_3gpuE7ELNS1_3repE0EEENS1_30default_config_static_selectorELNS0_4arch9wavefront6targetE1EEEvT1_,@function
_ZN7rocprim17ROCPRIM_400000_NS6detail17trampoline_kernelINS0_14default_configENS1_29reduce_by_key_config_selectorIjtN6thrust23THRUST_200600_302600_NS4plusItEEEEZZNS1_33reduce_by_key_impl_wrapped_configILNS1_25lookback_scan_determinismE0ES3_S9_NS6_6detail15normal_iteratorINS6_10device_ptrIjEEEENSD_INSE_ItEEEENS6_16discard_iteratorINS6_11use_defaultEEESI_PmS8_NS6_8equal_toIjEEEE10hipError_tPvRmT2_T3_mT4_T5_T6_T7_T8_P12ihipStream_tbENKUlT_T0_E_clISt17integral_constantIbLb1EES16_EEDaS11_S12_EUlS11_E_NS1_11comp_targetILNS1_3genE3ELNS1_11target_archE908ELNS1_3gpuE7ELNS1_3repE0EEENS1_30default_config_static_selectorELNS0_4arch9wavefront6targetE1EEEvT1_: ; @_ZN7rocprim17ROCPRIM_400000_NS6detail17trampoline_kernelINS0_14default_configENS1_29reduce_by_key_config_selectorIjtN6thrust23THRUST_200600_302600_NS4plusItEEEEZZNS1_33reduce_by_key_impl_wrapped_configILNS1_25lookback_scan_determinismE0ES3_S9_NS6_6detail15normal_iteratorINS6_10device_ptrIjEEEENSD_INSE_ItEEEENS6_16discard_iteratorINS6_11use_defaultEEESI_PmS8_NS6_8equal_toIjEEEE10hipError_tPvRmT2_T3_mT4_T5_T6_T7_T8_P12ihipStream_tbENKUlT_T0_E_clISt17integral_constantIbLb1EES16_EEDaS11_S12_EUlS11_E_NS1_11comp_targetILNS1_3genE3ELNS1_11target_archE908ELNS1_3gpuE7ELNS1_3repE0EEENS1_30default_config_static_selectorELNS0_4arch9wavefront6targetE1EEEvT1_
; %bb.0:
	.section	.rodata,"a",@progbits
	.p2align	6, 0x0
	.amdhsa_kernel _ZN7rocprim17ROCPRIM_400000_NS6detail17trampoline_kernelINS0_14default_configENS1_29reduce_by_key_config_selectorIjtN6thrust23THRUST_200600_302600_NS4plusItEEEEZZNS1_33reduce_by_key_impl_wrapped_configILNS1_25lookback_scan_determinismE0ES3_S9_NS6_6detail15normal_iteratorINS6_10device_ptrIjEEEENSD_INSE_ItEEEENS6_16discard_iteratorINS6_11use_defaultEEESI_PmS8_NS6_8equal_toIjEEEE10hipError_tPvRmT2_T3_mT4_T5_T6_T7_T8_P12ihipStream_tbENKUlT_T0_E_clISt17integral_constantIbLb1EES16_EEDaS11_S12_EUlS11_E_NS1_11comp_targetILNS1_3genE3ELNS1_11target_archE908ELNS1_3gpuE7ELNS1_3repE0EEENS1_30default_config_static_selectorELNS0_4arch9wavefront6targetE1EEEvT1_
		.amdhsa_group_segment_fixed_size 0
		.amdhsa_private_segment_fixed_size 0
		.amdhsa_kernarg_size 128
		.amdhsa_user_sgpr_count 6
		.amdhsa_user_sgpr_private_segment_buffer 1
		.amdhsa_user_sgpr_dispatch_ptr 0
		.amdhsa_user_sgpr_queue_ptr 0
		.amdhsa_user_sgpr_kernarg_segment_ptr 1
		.amdhsa_user_sgpr_dispatch_id 0
		.amdhsa_user_sgpr_flat_scratch_init 0
		.amdhsa_user_sgpr_kernarg_preload_length 0
		.amdhsa_user_sgpr_kernarg_preload_offset 0
		.amdhsa_user_sgpr_private_segment_size 0
		.amdhsa_uses_dynamic_stack 0
		.amdhsa_system_sgpr_private_segment_wavefront_offset 0
		.amdhsa_system_sgpr_workgroup_id_x 1
		.amdhsa_system_sgpr_workgroup_id_y 0
		.amdhsa_system_sgpr_workgroup_id_z 0
		.amdhsa_system_sgpr_workgroup_info 0
		.amdhsa_system_vgpr_workitem_id 0
		.amdhsa_next_free_vgpr 1
		.amdhsa_next_free_sgpr 0
		.amdhsa_accum_offset 4
		.amdhsa_reserve_vcc 0
		.amdhsa_reserve_flat_scratch 0
		.amdhsa_float_round_mode_32 0
		.amdhsa_float_round_mode_16_64 0
		.amdhsa_float_denorm_mode_32 3
		.amdhsa_float_denorm_mode_16_64 3
		.amdhsa_dx10_clamp 1
		.amdhsa_ieee_mode 1
		.amdhsa_fp16_overflow 0
		.amdhsa_tg_split 0
		.amdhsa_exception_fp_ieee_invalid_op 0
		.amdhsa_exception_fp_denorm_src 0
		.amdhsa_exception_fp_ieee_div_zero 0
		.amdhsa_exception_fp_ieee_overflow 0
		.amdhsa_exception_fp_ieee_underflow 0
		.amdhsa_exception_fp_ieee_inexact 0
		.amdhsa_exception_int_div_zero 0
	.end_amdhsa_kernel
	.section	.text._ZN7rocprim17ROCPRIM_400000_NS6detail17trampoline_kernelINS0_14default_configENS1_29reduce_by_key_config_selectorIjtN6thrust23THRUST_200600_302600_NS4plusItEEEEZZNS1_33reduce_by_key_impl_wrapped_configILNS1_25lookback_scan_determinismE0ES3_S9_NS6_6detail15normal_iteratorINS6_10device_ptrIjEEEENSD_INSE_ItEEEENS6_16discard_iteratorINS6_11use_defaultEEESI_PmS8_NS6_8equal_toIjEEEE10hipError_tPvRmT2_T3_mT4_T5_T6_T7_T8_P12ihipStream_tbENKUlT_T0_E_clISt17integral_constantIbLb1EES16_EEDaS11_S12_EUlS11_E_NS1_11comp_targetILNS1_3genE3ELNS1_11target_archE908ELNS1_3gpuE7ELNS1_3repE0EEENS1_30default_config_static_selectorELNS0_4arch9wavefront6targetE1EEEvT1_,"axG",@progbits,_ZN7rocprim17ROCPRIM_400000_NS6detail17trampoline_kernelINS0_14default_configENS1_29reduce_by_key_config_selectorIjtN6thrust23THRUST_200600_302600_NS4plusItEEEEZZNS1_33reduce_by_key_impl_wrapped_configILNS1_25lookback_scan_determinismE0ES3_S9_NS6_6detail15normal_iteratorINS6_10device_ptrIjEEEENSD_INSE_ItEEEENS6_16discard_iteratorINS6_11use_defaultEEESI_PmS8_NS6_8equal_toIjEEEE10hipError_tPvRmT2_T3_mT4_T5_T6_T7_T8_P12ihipStream_tbENKUlT_T0_E_clISt17integral_constantIbLb1EES16_EEDaS11_S12_EUlS11_E_NS1_11comp_targetILNS1_3genE3ELNS1_11target_archE908ELNS1_3gpuE7ELNS1_3repE0EEENS1_30default_config_static_selectorELNS0_4arch9wavefront6targetE1EEEvT1_,comdat
.Lfunc_end961:
	.size	_ZN7rocprim17ROCPRIM_400000_NS6detail17trampoline_kernelINS0_14default_configENS1_29reduce_by_key_config_selectorIjtN6thrust23THRUST_200600_302600_NS4plusItEEEEZZNS1_33reduce_by_key_impl_wrapped_configILNS1_25lookback_scan_determinismE0ES3_S9_NS6_6detail15normal_iteratorINS6_10device_ptrIjEEEENSD_INSE_ItEEEENS6_16discard_iteratorINS6_11use_defaultEEESI_PmS8_NS6_8equal_toIjEEEE10hipError_tPvRmT2_T3_mT4_T5_T6_T7_T8_P12ihipStream_tbENKUlT_T0_E_clISt17integral_constantIbLb1EES16_EEDaS11_S12_EUlS11_E_NS1_11comp_targetILNS1_3genE3ELNS1_11target_archE908ELNS1_3gpuE7ELNS1_3repE0EEENS1_30default_config_static_selectorELNS0_4arch9wavefront6targetE1EEEvT1_, .Lfunc_end961-_ZN7rocprim17ROCPRIM_400000_NS6detail17trampoline_kernelINS0_14default_configENS1_29reduce_by_key_config_selectorIjtN6thrust23THRUST_200600_302600_NS4plusItEEEEZZNS1_33reduce_by_key_impl_wrapped_configILNS1_25lookback_scan_determinismE0ES3_S9_NS6_6detail15normal_iteratorINS6_10device_ptrIjEEEENSD_INSE_ItEEEENS6_16discard_iteratorINS6_11use_defaultEEESI_PmS8_NS6_8equal_toIjEEEE10hipError_tPvRmT2_T3_mT4_T5_T6_T7_T8_P12ihipStream_tbENKUlT_T0_E_clISt17integral_constantIbLb1EES16_EEDaS11_S12_EUlS11_E_NS1_11comp_targetILNS1_3genE3ELNS1_11target_archE908ELNS1_3gpuE7ELNS1_3repE0EEENS1_30default_config_static_selectorELNS0_4arch9wavefront6targetE1EEEvT1_
                                        ; -- End function
	.section	.AMDGPU.csdata,"",@progbits
; Kernel info:
; codeLenInByte = 0
; NumSgprs: 4
; NumVgprs: 0
; NumAgprs: 0
; TotalNumVgprs: 0
; ScratchSize: 0
; MemoryBound: 0
; FloatMode: 240
; IeeeMode: 1
; LDSByteSize: 0 bytes/workgroup (compile time only)
; SGPRBlocks: 0
; VGPRBlocks: 0
; NumSGPRsForWavesPerEU: 4
; NumVGPRsForWavesPerEU: 1
; AccumOffset: 4
; Occupancy: 8
; WaveLimiterHint : 0
; COMPUTE_PGM_RSRC2:SCRATCH_EN: 0
; COMPUTE_PGM_RSRC2:USER_SGPR: 6
; COMPUTE_PGM_RSRC2:TRAP_HANDLER: 0
; COMPUTE_PGM_RSRC2:TGID_X_EN: 1
; COMPUTE_PGM_RSRC2:TGID_Y_EN: 0
; COMPUTE_PGM_RSRC2:TGID_Z_EN: 0
; COMPUTE_PGM_RSRC2:TIDIG_COMP_CNT: 0
; COMPUTE_PGM_RSRC3_GFX90A:ACCUM_OFFSET: 0
; COMPUTE_PGM_RSRC3_GFX90A:TG_SPLIT: 0
	.section	.text._ZN7rocprim17ROCPRIM_400000_NS6detail17trampoline_kernelINS0_14default_configENS1_29reduce_by_key_config_selectorIjtN6thrust23THRUST_200600_302600_NS4plusItEEEEZZNS1_33reduce_by_key_impl_wrapped_configILNS1_25lookback_scan_determinismE0ES3_S9_NS6_6detail15normal_iteratorINS6_10device_ptrIjEEEENSD_INSE_ItEEEENS6_16discard_iteratorINS6_11use_defaultEEESI_PmS8_NS6_8equal_toIjEEEE10hipError_tPvRmT2_T3_mT4_T5_T6_T7_T8_P12ihipStream_tbENKUlT_T0_E_clISt17integral_constantIbLb1EES16_EEDaS11_S12_EUlS11_E_NS1_11comp_targetILNS1_3genE2ELNS1_11target_archE906ELNS1_3gpuE6ELNS1_3repE0EEENS1_30default_config_static_selectorELNS0_4arch9wavefront6targetE1EEEvT1_,"axG",@progbits,_ZN7rocprim17ROCPRIM_400000_NS6detail17trampoline_kernelINS0_14default_configENS1_29reduce_by_key_config_selectorIjtN6thrust23THRUST_200600_302600_NS4plusItEEEEZZNS1_33reduce_by_key_impl_wrapped_configILNS1_25lookback_scan_determinismE0ES3_S9_NS6_6detail15normal_iteratorINS6_10device_ptrIjEEEENSD_INSE_ItEEEENS6_16discard_iteratorINS6_11use_defaultEEESI_PmS8_NS6_8equal_toIjEEEE10hipError_tPvRmT2_T3_mT4_T5_T6_T7_T8_P12ihipStream_tbENKUlT_T0_E_clISt17integral_constantIbLb1EES16_EEDaS11_S12_EUlS11_E_NS1_11comp_targetILNS1_3genE2ELNS1_11target_archE906ELNS1_3gpuE6ELNS1_3repE0EEENS1_30default_config_static_selectorELNS0_4arch9wavefront6targetE1EEEvT1_,comdat
	.protected	_ZN7rocprim17ROCPRIM_400000_NS6detail17trampoline_kernelINS0_14default_configENS1_29reduce_by_key_config_selectorIjtN6thrust23THRUST_200600_302600_NS4plusItEEEEZZNS1_33reduce_by_key_impl_wrapped_configILNS1_25lookback_scan_determinismE0ES3_S9_NS6_6detail15normal_iteratorINS6_10device_ptrIjEEEENSD_INSE_ItEEEENS6_16discard_iteratorINS6_11use_defaultEEESI_PmS8_NS6_8equal_toIjEEEE10hipError_tPvRmT2_T3_mT4_T5_T6_T7_T8_P12ihipStream_tbENKUlT_T0_E_clISt17integral_constantIbLb1EES16_EEDaS11_S12_EUlS11_E_NS1_11comp_targetILNS1_3genE2ELNS1_11target_archE906ELNS1_3gpuE6ELNS1_3repE0EEENS1_30default_config_static_selectorELNS0_4arch9wavefront6targetE1EEEvT1_ ; -- Begin function _ZN7rocprim17ROCPRIM_400000_NS6detail17trampoline_kernelINS0_14default_configENS1_29reduce_by_key_config_selectorIjtN6thrust23THRUST_200600_302600_NS4plusItEEEEZZNS1_33reduce_by_key_impl_wrapped_configILNS1_25lookback_scan_determinismE0ES3_S9_NS6_6detail15normal_iteratorINS6_10device_ptrIjEEEENSD_INSE_ItEEEENS6_16discard_iteratorINS6_11use_defaultEEESI_PmS8_NS6_8equal_toIjEEEE10hipError_tPvRmT2_T3_mT4_T5_T6_T7_T8_P12ihipStream_tbENKUlT_T0_E_clISt17integral_constantIbLb1EES16_EEDaS11_S12_EUlS11_E_NS1_11comp_targetILNS1_3genE2ELNS1_11target_archE906ELNS1_3gpuE6ELNS1_3repE0EEENS1_30default_config_static_selectorELNS0_4arch9wavefront6targetE1EEEvT1_
	.globl	_ZN7rocprim17ROCPRIM_400000_NS6detail17trampoline_kernelINS0_14default_configENS1_29reduce_by_key_config_selectorIjtN6thrust23THRUST_200600_302600_NS4plusItEEEEZZNS1_33reduce_by_key_impl_wrapped_configILNS1_25lookback_scan_determinismE0ES3_S9_NS6_6detail15normal_iteratorINS6_10device_ptrIjEEEENSD_INSE_ItEEEENS6_16discard_iteratorINS6_11use_defaultEEESI_PmS8_NS6_8equal_toIjEEEE10hipError_tPvRmT2_T3_mT4_T5_T6_T7_T8_P12ihipStream_tbENKUlT_T0_E_clISt17integral_constantIbLb1EES16_EEDaS11_S12_EUlS11_E_NS1_11comp_targetILNS1_3genE2ELNS1_11target_archE906ELNS1_3gpuE6ELNS1_3repE0EEENS1_30default_config_static_selectorELNS0_4arch9wavefront6targetE1EEEvT1_
	.p2align	8
	.type	_ZN7rocprim17ROCPRIM_400000_NS6detail17trampoline_kernelINS0_14default_configENS1_29reduce_by_key_config_selectorIjtN6thrust23THRUST_200600_302600_NS4plusItEEEEZZNS1_33reduce_by_key_impl_wrapped_configILNS1_25lookback_scan_determinismE0ES3_S9_NS6_6detail15normal_iteratorINS6_10device_ptrIjEEEENSD_INSE_ItEEEENS6_16discard_iteratorINS6_11use_defaultEEESI_PmS8_NS6_8equal_toIjEEEE10hipError_tPvRmT2_T3_mT4_T5_T6_T7_T8_P12ihipStream_tbENKUlT_T0_E_clISt17integral_constantIbLb1EES16_EEDaS11_S12_EUlS11_E_NS1_11comp_targetILNS1_3genE2ELNS1_11target_archE906ELNS1_3gpuE6ELNS1_3repE0EEENS1_30default_config_static_selectorELNS0_4arch9wavefront6targetE1EEEvT1_,@function
_ZN7rocprim17ROCPRIM_400000_NS6detail17trampoline_kernelINS0_14default_configENS1_29reduce_by_key_config_selectorIjtN6thrust23THRUST_200600_302600_NS4plusItEEEEZZNS1_33reduce_by_key_impl_wrapped_configILNS1_25lookback_scan_determinismE0ES3_S9_NS6_6detail15normal_iteratorINS6_10device_ptrIjEEEENSD_INSE_ItEEEENS6_16discard_iteratorINS6_11use_defaultEEESI_PmS8_NS6_8equal_toIjEEEE10hipError_tPvRmT2_T3_mT4_T5_T6_T7_T8_P12ihipStream_tbENKUlT_T0_E_clISt17integral_constantIbLb1EES16_EEDaS11_S12_EUlS11_E_NS1_11comp_targetILNS1_3genE2ELNS1_11target_archE906ELNS1_3gpuE6ELNS1_3repE0EEENS1_30default_config_static_selectorELNS0_4arch9wavefront6targetE1EEEvT1_: ; @_ZN7rocprim17ROCPRIM_400000_NS6detail17trampoline_kernelINS0_14default_configENS1_29reduce_by_key_config_selectorIjtN6thrust23THRUST_200600_302600_NS4plusItEEEEZZNS1_33reduce_by_key_impl_wrapped_configILNS1_25lookback_scan_determinismE0ES3_S9_NS6_6detail15normal_iteratorINS6_10device_ptrIjEEEENSD_INSE_ItEEEENS6_16discard_iteratorINS6_11use_defaultEEESI_PmS8_NS6_8equal_toIjEEEE10hipError_tPvRmT2_T3_mT4_T5_T6_T7_T8_P12ihipStream_tbENKUlT_T0_E_clISt17integral_constantIbLb1EES16_EEDaS11_S12_EUlS11_E_NS1_11comp_targetILNS1_3genE2ELNS1_11target_archE906ELNS1_3gpuE6ELNS1_3repE0EEENS1_30default_config_static_selectorELNS0_4arch9wavefront6targetE1EEEvT1_
; %bb.0:
	.section	.rodata,"a",@progbits
	.p2align	6, 0x0
	.amdhsa_kernel _ZN7rocprim17ROCPRIM_400000_NS6detail17trampoline_kernelINS0_14default_configENS1_29reduce_by_key_config_selectorIjtN6thrust23THRUST_200600_302600_NS4plusItEEEEZZNS1_33reduce_by_key_impl_wrapped_configILNS1_25lookback_scan_determinismE0ES3_S9_NS6_6detail15normal_iteratorINS6_10device_ptrIjEEEENSD_INSE_ItEEEENS6_16discard_iteratorINS6_11use_defaultEEESI_PmS8_NS6_8equal_toIjEEEE10hipError_tPvRmT2_T3_mT4_T5_T6_T7_T8_P12ihipStream_tbENKUlT_T0_E_clISt17integral_constantIbLb1EES16_EEDaS11_S12_EUlS11_E_NS1_11comp_targetILNS1_3genE2ELNS1_11target_archE906ELNS1_3gpuE6ELNS1_3repE0EEENS1_30default_config_static_selectorELNS0_4arch9wavefront6targetE1EEEvT1_
		.amdhsa_group_segment_fixed_size 0
		.amdhsa_private_segment_fixed_size 0
		.amdhsa_kernarg_size 128
		.amdhsa_user_sgpr_count 6
		.amdhsa_user_sgpr_private_segment_buffer 1
		.amdhsa_user_sgpr_dispatch_ptr 0
		.amdhsa_user_sgpr_queue_ptr 0
		.amdhsa_user_sgpr_kernarg_segment_ptr 1
		.amdhsa_user_sgpr_dispatch_id 0
		.amdhsa_user_sgpr_flat_scratch_init 0
		.amdhsa_user_sgpr_kernarg_preload_length 0
		.amdhsa_user_sgpr_kernarg_preload_offset 0
		.amdhsa_user_sgpr_private_segment_size 0
		.amdhsa_uses_dynamic_stack 0
		.amdhsa_system_sgpr_private_segment_wavefront_offset 0
		.amdhsa_system_sgpr_workgroup_id_x 1
		.amdhsa_system_sgpr_workgroup_id_y 0
		.amdhsa_system_sgpr_workgroup_id_z 0
		.amdhsa_system_sgpr_workgroup_info 0
		.amdhsa_system_vgpr_workitem_id 0
		.amdhsa_next_free_vgpr 1
		.amdhsa_next_free_sgpr 0
		.amdhsa_accum_offset 4
		.amdhsa_reserve_vcc 0
		.amdhsa_reserve_flat_scratch 0
		.amdhsa_float_round_mode_32 0
		.amdhsa_float_round_mode_16_64 0
		.amdhsa_float_denorm_mode_32 3
		.amdhsa_float_denorm_mode_16_64 3
		.amdhsa_dx10_clamp 1
		.amdhsa_ieee_mode 1
		.amdhsa_fp16_overflow 0
		.amdhsa_tg_split 0
		.amdhsa_exception_fp_ieee_invalid_op 0
		.amdhsa_exception_fp_denorm_src 0
		.amdhsa_exception_fp_ieee_div_zero 0
		.amdhsa_exception_fp_ieee_overflow 0
		.amdhsa_exception_fp_ieee_underflow 0
		.amdhsa_exception_fp_ieee_inexact 0
		.amdhsa_exception_int_div_zero 0
	.end_amdhsa_kernel
	.section	.text._ZN7rocprim17ROCPRIM_400000_NS6detail17trampoline_kernelINS0_14default_configENS1_29reduce_by_key_config_selectorIjtN6thrust23THRUST_200600_302600_NS4plusItEEEEZZNS1_33reduce_by_key_impl_wrapped_configILNS1_25lookback_scan_determinismE0ES3_S9_NS6_6detail15normal_iteratorINS6_10device_ptrIjEEEENSD_INSE_ItEEEENS6_16discard_iteratorINS6_11use_defaultEEESI_PmS8_NS6_8equal_toIjEEEE10hipError_tPvRmT2_T3_mT4_T5_T6_T7_T8_P12ihipStream_tbENKUlT_T0_E_clISt17integral_constantIbLb1EES16_EEDaS11_S12_EUlS11_E_NS1_11comp_targetILNS1_3genE2ELNS1_11target_archE906ELNS1_3gpuE6ELNS1_3repE0EEENS1_30default_config_static_selectorELNS0_4arch9wavefront6targetE1EEEvT1_,"axG",@progbits,_ZN7rocprim17ROCPRIM_400000_NS6detail17trampoline_kernelINS0_14default_configENS1_29reduce_by_key_config_selectorIjtN6thrust23THRUST_200600_302600_NS4plusItEEEEZZNS1_33reduce_by_key_impl_wrapped_configILNS1_25lookback_scan_determinismE0ES3_S9_NS6_6detail15normal_iteratorINS6_10device_ptrIjEEEENSD_INSE_ItEEEENS6_16discard_iteratorINS6_11use_defaultEEESI_PmS8_NS6_8equal_toIjEEEE10hipError_tPvRmT2_T3_mT4_T5_T6_T7_T8_P12ihipStream_tbENKUlT_T0_E_clISt17integral_constantIbLb1EES16_EEDaS11_S12_EUlS11_E_NS1_11comp_targetILNS1_3genE2ELNS1_11target_archE906ELNS1_3gpuE6ELNS1_3repE0EEENS1_30default_config_static_selectorELNS0_4arch9wavefront6targetE1EEEvT1_,comdat
.Lfunc_end962:
	.size	_ZN7rocprim17ROCPRIM_400000_NS6detail17trampoline_kernelINS0_14default_configENS1_29reduce_by_key_config_selectorIjtN6thrust23THRUST_200600_302600_NS4plusItEEEEZZNS1_33reduce_by_key_impl_wrapped_configILNS1_25lookback_scan_determinismE0ES3_S9_NS6_6detail15normal_iteratorINS6_10device_ptrIjEEEENSD_INSE_ItEEEENS6_16discard_iteratorINS6_11use_defaultEEESI_PmS8_NS6_8equal_toIjEEEE10hipError_tPvRmT2_T3_mT4_T5_T6_T7_T8_P12ihipStream_tbENKUlT_T0_E_clISt17integral_constantIbLb1EES16_EEDaS11_S12_EUlS11_E_NS1_11comp_targetILNS1_3genE2ELNS1_11target_archE906ELNS1_3gpuE6ELNS1_3repE0EEENS1_30default_config_static_selectorELNS0_4arch9wavefront6targetE1EEEvT1_, .Lfunc_end962-_ZN7rocprim17ROCPRIM_400000_NS6detail17trampoline_kernelINS0_14default_configENS1_29reduce_by_key_config_selectorIjtN6thrust23THRUST_200600_302600_NS4plusItEEEEZZNS1_33reduce_by_key_impl_wrapped_configILNS1_25lookback_scan_determinismE0ES3_S9_NS6_6detail15normal_iteratorINS6_10device_ptrIjEEEENSD_INSE_ItEEEENS6_16discard_iteratorINS6_11use_defaultEEESI_PmS8_NS6_8equal_toIjEEEE10hipError_tPvRmT2_T3_mT4_T5_T6_T7_T8_P12ihipStream_tbENKUlT_T0_E_clISt17integral_constantIbLb1EES16_EEDaS11_S12_EUlS11_E_NS1_11comp_targetILNS1_3genE2ELNS1_11target_archE906ELNS1_3gpuE6ELNS1_3repE0EEENS1_30default_config_static_selectorELNS0_4arch9wavefront6targetE1EEEvT1_
                                        ; -- End function
	.section	.AMDGPU.csdata,"",@progbits
; Kernel info:
; codeLenInByte = 0
; NumSgprs: 4
; NumVgprs: 0
; NumAgprs: 0
; TotalNumVgprs: 0
; ScratchSize: 0
; MemoryBound: 0
; FloatMode: 240
; IeeeMode: 1
; LDSByteSize: 0 bytes/workgroup (compile time only)
; SGPRBlocks: 0
; VGPRBlocks: 0
; NumSGPRsForWavesPerEU: 4
; NumVGPRsForWavesPerEU: 1
; AccumOffset: 4
; Occupancy: 8
; WaveLimiterHint : 0
; COMPUTE_PGM_RSRC2:SCRATCH_EN: 0
; COMPUTE_PGM_RSRC2:USER_SGPR: 6
; COMPUTE_PGM_RSRC2:TRAP_HANDLER: 0
; COMPUTE_PGM_RSRC2:TGID_X_EN: 1
; COMPUTE_PGM_RSRC2:TGID_Y_EN: 0
; COMPUTE_PGM_RSRC2:TGID_Z_EN: 0
; COMPUTE_PGM_RSRC2:TIDIG_COMP_CNT: 0
; COMPUTE_PGM_RSRC3_GFX90A:ACCUM_OFFSET: 0
; COMPUTE_PGM_RSRC3_GFX90A:TG_SPLIT: 0
	.section	.text._ZN7rocprim17ROCPRIM_400000_NS6detail17trampoline_kernelINS0_14default_configENS1_29reduce_by_key_config_selectorIjtN6thrust23THRUST_200600_302600_NS4plusItEEEEZZNS1_33reduce_by_key_impl_wrapped_configILNS1_25lookback_scan_determinismE0ES3_S9_NS6_6detail15normal_iteratorINS6_10device_ptrIjEEEENSD_INSE_ItEEEENS6_16discard_iteratorINS6_11use_defaultEEESI_PmS8_NS6_8equal_toIjEEEE10hipError_tPvRmT2_T3_mT4_T5_T6_T7_T8_P12ihipStream_tbENKUlT_T0_E_clISt17integral_constantIbLb1EES16_EEDaS11_S12_EUlS11_E_NS1_11comp_targetILNS1_3genE10ELNS1_11target_archE1201ELNS1_3gpuE5ELNS1_3repE0EEENS1_30default_config_static_selectorELNS0_4arch9wavefront6targetE1EEEvT1_,"axG",@progbits,_ZN7rocprim17ROCPRIM_400000_NS6detail17trampoline_kernelINS0_14default_configENS1_29reduce_by_key_config_selectorIjtN6thrust23THRUST_200600_302600_NS4plusItEEEEZZNS1_33reduce_by_key_impl_wrapped_configILNS1_25lookback_scan_determinismE0ES3_S9_NS6_6detail15normal_iteratorINS6_10device_ptrIjEEEENSD_INSE_ItEEEENS6_16discard_iteratorINS6_11use_defaultEEESI_PmS8_NS6_8equal_toIjEEEE10hipError_tPvRmT2_T3_mT4_T5_T6_T7_T8_P12ihipStream_tbENKUlT_T0_E_clISt17integral_constantIbLb1EES16_EEDaS11_S12_EUlS11_E_NS1_11comp_targetILNS1_3genE10ELNS1_11target_archE1201ELNS1_3gpuE5ELNS1_3repE0EEENS1_30default_config_static_selectorELNS0_4arch9wavefront6targetE1EEEvT1_,comdat
	.protected	_ZN7rocprim17ROCPRIM_400000_NS6detail17trampoline_kernelINS0_14default_configENS1_29reduce_by_key_config_selectorIjtN6thrust23THRUST_200600_302600_NS4plusItEEEEZZNS1_33reduce_by_key_impl_wrapped_configILNS1_25lookback_scan_determinismE0ES3_S9_NS6_6detail15normal_iteratorINS6_10device_ptrIjEEEENSD_INSE_ItEEEENS6_16discard_iteratorINS6_11use_defaultEEESI_PmS8_NS6_8equal_toIjEEEE10hipError_tPvRmT2_T3_mT4_T5_T6_T7_T8_P12ihipStream_tbENKUlT_T0_E_clISt17integral_constantIbLb1EES16_EEDaS11_S12_EUlS11_E_NS1_11comp_targetILNS1_3genE10ELNS1_11target_archE1201ELNS1_3gpuE5ELNS1_3repE0EEENS1_30default_config_static_selectorELNS0_4arch9wavefront6targetE1EEEvT1_ ; -- Begin function _ZN7rocprim17ROCPRIM_400000_NS6detail17trampoline_kernelINS0_14default_configENS1_29reduce_by_key_config_selectorIjtN6thrust23THRUST_200600_302600_NS4plusItEEEEZZNS1_33reduce_by_key_impl_wrapped_configILNS1_25lookback_scan_determinismE0ES3_S9_NS6_6detail15normal_iteratorINS6_10device_ptrIjEEEENSD_INSE_ItEEEENS6_16discard_iteratorINS6_11use_defaultEEESI_PmS8_NS6_8equal_toIjEEEE10hipError_tPvRmT2_T3_mT4_T5_T6_T7_T8_P12ihipStream_tbENKUlT_T0_E_clISt17integral_constantIbLb1EES16_EEDaS11_S12_EUlS11_E_NS1_11comp_targetILNS1_3genE10ELNS1_11target_archE1201ELNS1_3gpuE5ELNS1_3repE0EEENS1_30default_config_static_selectorELNS0_4arch9wavefront6targetE1EEEvT1_
	.globl	_ZN7rocprim17ROCPRIM_400000_NS6detail17trampoline_kernelINS0_14default_configENS1_29reduce_by_key_config_selectorIjtN6thrust23THRUST_200600_302600_NS4plusItEEEEZZNS1_33reduce_by_key_impl_wrapped_configILNS1_25lookback_scan_determinismE0ES3_S9_NS6_6detail15normal_iteratorINS6_10device_ptrIjEEEENSD_INSE_ItEEEENS6_16discard_iteratorINS6_11use_defaultEEESI_PmS8_NS6_8equal_toIjEEEE10hipError_tPvRmT2_T3_mT4_T5_T6_T7_T8_P12ihipStream_tbENKUlT_T0_E_clISt17integral_constantIbLb1EES16_EEDaS11_S12_EUlS11_E_NS1_11comp_targetILNS1_3genE10ELNS1_11target_archE1201ELNS1_3gpuE5ELNS1_3repE0EEENS1_30default_config_static_selectorELNS0_4arch9wavefront6targetE1EEEvT1_
	.p2align	8
	.type	_ZN7rocprim17ROCPRIM_400000_NS6detail17trampoline_kernelINS0_14default_configENS1_29reduce_by_key_config_selectorIjtN6thrust23THRUST_200600_302600_NS4plusItEEEEZZNS1_33reduce_by_key_impl_wrapped_configILNS1_25lookback_scan_determinismE0ES3_S9_NS6_6detail15normal_iteratorINS6_10device_ptrIjEEEENSD_INSE_ItEEEENS6_16discard_iteratorINS6_11use_defaultEEESI_PmS8_NS6_8equal_toIjEEEE10hipError_tPvRmT2_T3_mT4_T5_T6_T7_T8_P12ihipStream_tbENKUlT_T0_E_clISt17integral_constantIbLb1EES16_EEDaS11_S12_EUlS11_E_NS1_11comp_targetILNS1_3genE10ELNS1_11target_archE1201ELNS1_3gpuE5ELNS1_3repE0EEENS1_30default_config_static_selectorELNS0_4arch9wavefront6targetE1EEEvT1_,@function
_ZN7rocprim17ROCPRIM_400000_NS6detail17trampoline_kernelINS0_14default_configENS1_29reduce_by_key_config_selectorIjtN6thrust23THRUST_200600_302600_NS4plusItEEEEZZNS1_33reduce_by_key_impl_wrapped_configILNS1_25lookback_scan_determinismE0ES3_S9_NS6_6detail15normal_iteratorINS6_10device_ptrIjEEEENSD_INSE_ItEEEENS6_16discard_iteratorINS6_11use_defaultEEESI_PmS8_NS6_8equal_toIjEEEE10hipError_tPvRmT2_T3_mT4_T5_T6_T7_T8_P12ihipStream_tbENKUlT_T0_E_clISt17integral_constantIbLb1EES16_EEDaS11_S12_EUlS11_E_NS1_11comp_targetILNS1_3genE10ELNS1_11target_archE1201ELNS1_3gpuE5ELNS1_3repE0EEENS1_30default_config_static_selectorELNS0_4arch9wavefront6targetE1EEEvT1_: ; @_ZN7rocprim17ROCPRIM_400000_NS6detail17trampoline_kernelINS0_14default_configENS1_29reduce_by_key_config_selectorIjtN6thrust23THRUST_200600_302600_NS4plusItEEEEZZNS1_33reduce_by_key_impl_wrapped_configILNS1_25lookback_scan_determinismE0ES3_S9_NS6_6detail15normal_iteratorINS6_10device_ptrIjEEEENSD_INSE_ItEEEENS6_16discard_iteratorINS6_11use_defaultEEESI_PmS8_NS6_8equal_toIjEEEE10hipError_tPvRmT2_T3_mT4_T5_T6_T7_T8_P12ihipStream_tbENKUlT_T0_E_clISt17integral_constantIbLb1EES16_EEDaS11_S12_EUlS11_E_NS1_11comp_targetILNS1_3genE10ELNS1_11target_archE1201ELNS1_3gpuE5ELNS1_3repE0EEENS1_30default_config_static_selectorELNS0_4arch9wavefront6targetE1EEEvT1_
; %bb.0:
	.section	.rodata,"a",@progbits
	.p2align	6, 0x0
	.amdhsa_kernel _ZN7rocprim17ROCPRIM_400000_NS6detail17trampoline_kernelINS0_14default_configENS1_29reduce_by_key_config_selectorIjtN6thrust23THRUST_200600_302600_NS4plusItEEEEZZNS1_33reduce_by_key_impl_wrapped_configILNS1_25lookback_scan_determinismE0ES3_S9_NS6_6detail15normal_iteratorINS6_10device_ptrIjEEEENSD_INSE_ItEEEENS6_16discard_iteratorINS6_11use_defaultEEESI_PmS8_NS6_8equal_toIjEEEE10hipError_tPvRmT2_T3_mT4_T5_T6_T7_T8_P12ihipStream_tbENKUlT_T0_E_clISt17integral_constantIbLb1EES16_EEDaS11_S12_EUlS11_E_NS1_11comp_targetILNS1_3genE10ELNS1_11target_archE1201ELNS1_3gpuE5ELNS1_3repE0EEENS1_30default_config_static_selectorELNS0_4arch9wavefront6targetE1EEEvT1_
		.amdhsa_group_segment_fixed_size 0
		.amdhsa_private_segment_fixed_size 0
		.amdhsa_kernarg_size 128
		.amdhsa_user_sgpr_count 6
		.amdhsa_user_sgpr_private_segment_buffer 1
		.amdhsa_user_sgpr_dispatch_ptr 0
		.amdhsa_user_sgpr_queue_ptr 0
		.amdhsa_user_sgpr_kernarg_segment_ptr 1
		.amdhsa_user_sgpr_dispatch_id 0
		.amdhsa_user_sgpr_flat_scratch_init 0
		.amdhsa_user_sgpr_kernarg_preload_length 0
		.amdhsa_user_sgpr_kernarg_preload_offset 0
		.amdhsa_user_sgpr_private_segment_size 0
		.amdhsa_uses_dynamic_stack 0
		.amdhsa_system_sgpr_private_segment_wavefront_offset 0
		.amdhsa_system_sgpr_workgroup_id_x 1
		.amdhsa_system_sgpr_workgroup_id_y 0
		.amdhsa_system_sgpr_workgroup_id_z 0
		.amdhsa_system_sgpr_workgroup_info 0
		.amdhsa_system_vgpr_workitem_id 0
		.amdhsa_next_free_vgpr 1
		.amdhsa_next_free_sgpr 0
		.amdhsa_accum_offset 4
		.amdhsa_reserve_vcc 0
		.amdhsa_reserve_flat_scratch 0
		.amdhsa_float_round_mode_32 0
		.amdhsa_float_round_mode_16_64 0
		.amdhsa_float_denorm_mode_32 3
		.amdhsa_float_denorm_mode_16_64 3
		.amdhsa_dx10_clamp 1
		.amdhsa_ieee_mode 1
		.amdhsa_fp16_overflow 0
		.amdhsa_tg_split 0
		.amdhsa_exception_fp_ieee_invalid_op 0
		.amdhsa_exception_fp_denorm_src 0
		.amdhsa_exception_fp_ieee_div_zero 0
		.amdhsa_exception_fp_ieee_overflow 0
		.amdhsa_exception_fp_ieee_underflow 0
		.amdhsa_exception_fp_ieee_inexact 0
		.amdhsa_exception_int_div_zero 0
	.end_amdhsa_kernel
	.section	.text._ZN7rocprim17ROCPRIM_400000_NS6detail17trampoline_kernelINS0_14default_configENS1_29reduce_by_key_config_selectorIjtN6thrust23THRUST_200600_302600_NS4plusItEEEEZZNS1_33reduce_by_key_impl_wrapped_configILNS1_25lookback_scan_determinismE0ES3_S9_NS6_6detail15normal_iteratorINS6_10device_ptrIjEEEENSD_INSE_ItEEEENS6_16discard_iteratorINS6_11use_defaultEEESI_PmS8_NS6_8equal_toIjEEEE10hipError_tPvRmT2_T3_mT4_T5_T6_T7_T8_P12ihipStream_tbENKUlT_T0_E_clISt17integral_constantIbLb1EES16_EEDaS11_S12_EUlS11_E_NS1_11comp_targetILNS1_3genE10ELNS1_11target_archE1201ELNS1_3gpuE5ELNS1_3repE0EEENS1_30default_config_static_selectorELNS0_4arch9wavefront6targetE1EEEvT1_,"axG",@progbits,_ZN7rocprim17ROCPRIM_400000_NS6detail17trampoline_kernelINS0_14default_configENS1_29reduce_by_key_config_selectorIjtN6thrust23THRUST_200600_302600_NS4plusItEEEEZZNS1_33reduce_by_key_impl_wrapped_configILNS1_25lookback_scan_determinismE0ES3_S9_NS6_6detail15normal_iteratorINS6_10device_ptrIjEEEENSD_INSE_ItEEEENS6_16discard_iteratorINS6_11use_defaultEEESI_PmS8_NS6_8equal_toIjEEEE10hipError_tPvRmT2_T3_mT4_T5_T6_T7_T8_P12ihipStream_tbENKUlT_T0_E_clISt17integral_constantIbLb1EES16_EEDaS11_S12_EUlS11_E_NS1_11comp_targetILNS1_3genE10ELNS1_11target_archE1201ELNS1_3gpuE5ELNS1_3repE0EEENS1_30default_config_static_selectorELNS0_4arch9wavefront6targetE1EEEvT1_,comdat
.Lfunc_end963:
	.size	_ZN7rocprim17ROCPRIM_400000_NS6detail17trampoline_kernelINS0_14default_configENS1_29reduce_by_key_config_selectorIjtN6thrust23THRUST_200600_302600_NS4plusItEEEEZZNS1_33reduce_by_key_impl_wrapped_configILNS1_25lookback_scan_determinismE0ES3_S9_NS6_6detail15normal_iteratorINS6_10device_ptrIjEEEENSD_INSE_ItEEEENS6_16discard_iteratorINS6_11use_defaultEEESI_PmS8_NS6_8equal_toIjEEEE10hipError_tPvRmT2_T3_mT4_T5_T6_T7_T8_P12ihipStream_tbENKUlT_T0_E_clISt17integral_constantIbLb1EES16_EEDaS11_S12_EUlS11_E_NS1_11comp_targetILNS1_3genE10ELNS1_11target_archE1201ELNS1_3gpuE5ELNS1_3repE0EEENS1_30default_config_static_selectorELNS0_4arch9wavefront6targetE1EEEvT1_, .Lfunc_end963-_ZN7rocprim17ROCPRIM_400000_NS6detail17trampoline_kernelINS0_14default_configENS1_29reduce_by_key_config_selectorIjtN6thrust23THRUST_200600_302600_NS4plusItEEEEZZNS1_33reduce_by_key_impl_wrapped_configILNS1_25lookback_scan_determinismE0ES3_S9_NS6_6detail15normal_iteratorINS6_10device_ptrIjEEEENSD_INSE_ItEEEENS6_16discard_iteratorINS6_11use_defaultEEESI_PmS8_NS6_8equal_toIjEEEE10hipError_tPvRmT2_T3_mT4_T5_T6_T7_T8_P12ihipStream_tbENKUlT_T0_E_clISt17integral_constantIbLb1EES16_EEDaS11_S12_EUlS11_E_NS1_11comp_targetILNS1_3genE10ELNS1_11target_archE1201ELNS1_3gpuE5ELNS1_3repE0EEENS1_30default_config_static_selectorELNS0_4arch9wavefront6targetE1EEEvT1_
                                        ; -- End function
	.section	.AMDGPU.csdata,"",@progbits
; Kernel info:
; codeLenInByte = 0
; NumSgprs: 4
; NumVgprs: 0
; NumAgprs: 0
; TotalNumVgprs: 0
; ScratchSize: 0
; MemoryBound: 0
; FloatMode: 240
; IeeeMode: 1
; LDSByteSize: 0 bytes/workgroup (compile time only)
; SGPRBlocks: 0
; VGPRBlocks: 0
; NumSGPRsForWavesPerEU: 4
; NumVGPRsForWavesPerEU: 1
; AccumOffset: 4
; Occupancy: 8
; WaveLimiterHint : 0
; COMPUTE_PGM_RSRC2:SCRATCH_EN: 0
; COMPUTE_PGM_RSRC2:USER_SGPR: 6
; COMPUTE_PGM_RSRC2:TRAP_HANDLER: 0
; COMPUTE_PGM_RSRC2:TGID_X_EN: 1
; COMPUTE_PGM_RSRC2:TGID_Y_EN: 0
; COMPUTE_PGM_RSRC2:TGID_Z_EN: 0
; COMPUTE_PGM_RSRC2:TIDIG_COMP_CNT: 0
; COMPUTE_PGM_RSRC3_GFX90A:ACCUM_OFFSET: 0
; COMPUTE_PGM_RSRC3_GFX90A:TG_SPLIT: 0
	.section	.text._ZN7rocprim17ROCPRIM_400000_NS6detail17trampoline_kernelINS0_14default_configENS1_29reduce_by_key_config_selectorIjtN6thrust23THRUST_200600_302600_NS4plusItEEEEZZNS1_33reduce_by_key_impl_wrapped_configILNS1_25lookback_scan_determinismE0ES3_S9_NS6_6detail15normal_iteratorINS6_10device_ptrIjEEEENSD_INSE_ItEEEENS6_16discard_iteratorINS6_11use_defaultEEESI_PmS8_NS6_8equal_toIjEEEE10hipError_tPvRmT2_T3_mT4_T5_T6_T7_T8_P12ihipStream_tbENKUlT_T0_E_clISt17integral_constantIbLb1EES16_EEDaS11_S12_EUlS11_E_NS1_11comp_targetILNS1_3genE10ELNS1_11target_archE1200ELNS1_3gpuE4ELNS1_3repE0EEENS1_30default_config_static_selectorELNS0_4arch9wavefront6targetE1EEEvT1_,"axG",@progbits,_ZN7rocprim17ROCPRIM_400000_NS6detail17trampoline_kernelINS0_14default_configENS1_29reduce_by_key_config_selectorIjtN6thrust23THRUST_200600_302600_NS4plusItEEEEZZNS1_33reduce_by_key_impl_wrapped_configILNS1_25lookback_scan_determinismE0ES3_S9_NS6_6detail15normal_iteratorINS6_10device_ptrIjEEEENSD_INSE_ItEEEENS6_16discard_iteratorINS6_11use_defaultEEESI_PmS8_NS6_8equal_toIjEEEE10hipError_tPvRmT2_T3_mT4_T5_T6_T7_T8_P12ihipStream_tbENKUlT_T0_E_clISt17integral_constantIbLb1EES16_EEDaS11_S12_EUlS11_E_NS1_11comp_targetILNS1_3genE10ELNS1_11target_archE1200ELNS1_3gpuE4ELNS1_3repE0EEENS1_30default_config_static_selectorELNS0_4arch9wavefront6targetE1EEEvT1_,comdat
	.protected	_ZN7rocprim17ROCPRIM_400000_NS6detail17trampoline_kernelINS0_14default_configENS1_29reduce_by_key_config_selectorIjtN6thrust23THRUST_200600_302600_NS4plusItEEEEZZNS1_33reduce_by_key_impl_wrapped_configILNS1_25lookback_scan_determinismE0ES3_S9_NS6_6detail15normal_iteratorINS6_10device_ptrIjEEEENSD_INSE_ItEEEENS6_16discard_iteratorINS6_11use_defaultEEESI_PmS8_NS6_8equal_toIjEEEE10hipError_tPvRmT2_T3_mT4_T5_T6_T7_T8_P12ihipStream_tbENKUlT_T0_E_clISt17integral_constantIbLb1EES16_EEDaS11_S12_EUlS11_E_NS1_11comp_targetILNS1_3genE10ELNS1_11target_archE1200ELNS1_3gpuE4ELNS1_3repE0EEENS1_30default_config_static_selectorELNS0_4arch9wavefront6targetE1EEEvT1_ ; -- Begin function _ZN7rocprim17ROCPRIM_400000_NS6detail17trampoline_kernelINS0_14default_configENS1_29reduce_by_key_config_selectorIjtN6thrust23THRUST_200600_302600_NS4plusItEEEEZZNS1_33reduce_by_key_impl_wrapped_configILNS1_25lookback_scan_determinismE0ES3_S9_NS6_6detail15normal_iteratorINS6_10device_ptrIjEEEENSD_INSE_ItEEEENS6_16discard_iteratorINS6_11use_defaultEEESI_PmS8_NS6_8equal_toIjEEEE10hipError_tPvRmT2_T3_mT4_T5_T6_T7_T8_P12ihipStream_tbENKUlT_T0_E_clISt17integral_constantIbLb1EES16_EEDaS11_S12_EUlS11_E_NS1_11comp_targetILNS1_3genE10ELNS1_11target_archE1200ELNS1_3gpuE4ELNS1_3repE0EEENS1_30default_config_static_selectorELNS0_4arch9wavefront6targetE1EEEvT1_
	.globl	_ZN7rocprim17ROCPRIM_400000_NS6detail17trampoline_kernelINS0_14default_configENS1_29reduce_by_key_config_selectorIjtN6thrust23THRUST_200600_302600_NS4plusItEEEEZZNS1_33reduce_by_key_impl_wrapped_configILNS1_25lookback_scan_determinismE0ES3_S9_NS6_6detail15normal_iteratorINS6_10device_ptrIjEEEENSD_INSE_ItEEEENS6_16discard_iteratorINS6_11use_defaultEEESI_PmS8_NS6_8equal_toIjEEEE10hipError_tPvRmT2_T3_mT4_T5_T6_T7_T8_P12ihipStream_tbENKUlT_T0_E_clISt17integral_constantIbLb1EES16_EEDaS11_S12_EUlS11_E_NS1_11comp_targetILNS1_3genE10ELNS1_11target_archE1200ELNS1_3gpuE4ELNS1_3repE0EEENS1_30default_config_static_selectorELNS0_4arch9wavefront6targetE1EEEvT1_
	.p2align	8
	.type	_ZN7rocprim17ROCPRIM_400000_NS6detail17trampoline_kernelINS0_14default_configENS1_29reduce_by_key_config_selectorIjtN6thrust23THRUST_200600_302600_NS4plusItEEEEZZNS1_33reduce_by_key_impl_wrapped_configILNS1_25lookback_scan_determinismE0ES3_S9_NS6_6detail15normal_iteratorINS6_10device_ptrIjEEEENSD_INSE_ItEEEENS6_16discard_iteratorINS6_11use_defaultEEESI_PmS8_NS6_8equal_toIjEEEE10hipError_tPvRmT2_T3_mT4_T5_T6_T7_T8_P12ihipStream_tbENKUlT_T0_E_clISt17integral_constantIbLb1EES16_EEDaS11_S12_EUlS11_E_NS1_11comp_targetILNS1_3genE10ELNS1_11target_archE1200ELNS1_3gpuE4ELNS1_3repE0EEENS1_30default_config_static_selectorELNS0_4arch9wavefront6targetE1EEEvT1_,@function
_ZN7rocprim17ROCPRIM_400000_NS6detail17trampoline_kernelINS0_14default_configENS1_29reduce_by_key_config_selectorIjtN6thrust23THRUST_200600_302600_NS4plusItEEEEZZNS1_33reduce_by_key_impl_wrapped_configILNS1_25lookback_scan_determinismE0ES3_S9_NS6_6detail15normal_iteratorINS6_10device_ptrIjEEEENSD_INSE_ItEEEENS6_16discard_iteratorINS6_11use_defaultEEESI_PmS8_NS6_8equal_toIjEEEE10hipError_tPvRmT2_T3_mT4_T5_T6_T7_T8_P12ihipStream_tbENKUlT_T0_E_clISt17integral_constantIbLb1EES16_EEDaS11_S12_EUlS11_E_NS1_11comp_targetILNS1_3genE10ELNS1_11target_archE1200ELNS1_3gpuE4ELNS1_3repE0EEENS1_30default_config_static_selectorELNS0_4arch9wavefront6targetE1EEEvT1_: ; @_ZN7rocprim17ROCPRIM_400000_NS6detail17trampoline_kernelINS0_14default_configENS1_29reduce_by_key_config_selectorIjtN6thrust23THRUST_200600_302600_NS4plusItEEEEZZNS1_33reduce_by_key_impl_wrapped_configILNS1_25lookback_scan_determinismE0ES3_S9_NS6_6detail15normal_iteratorINS6_10device_ptrIjEEEENSD_INSE_ItEEEENS6_16discard_iteratorINS6_11use_defaultEEESI_PmS8_NS6_8equal_toIjEEEE10hipError_tPvRmT2_T3_mT4_T5_T6_T7_T8_P12ihipStream_tbENKUlT_T0_E_clISt17integral_constantIbLb1EES16_EEDaS11_S12_EUlS11_E_NS1_11comp_targetILNS1_3genE10ELNS1_11target_archE1200ELNS1_3gpuE4ELNS1_3repE0EEENS1_30default_config_static_selectorELNS0_4arch9wavefront6targetE1EEEvT1_
; %bb.0:
	.section	.rodata,"a",@progbits
	.p2align	6, 0x0
	.amdhsa_kernel _ZN7rocprim17ROCPRIM_400000_NS6detail17trampoline_kernelINS0_14default_configENS1_29reduce_by_key_config_selectorIjtN6thrust23THRUST_200600_302600_NS4plusItEEEEZZNS1_33reduce_by_key_impl_wrapped_configILNS1_25lookback_scan_determinismE0ES3_S9_NS6_6detail15normal_iteratorINS6_10device_ptrIjEEEENSD_INSE_ItEEEENS6_16discard_iteratorINS6_11use_defaultEEESI_PmS8_NS6_8equal_toIjEEEE10hipError_tPvRmT2_T3_mT4_T5_T6_T7_T8_P12ihipStream_tbENKUlT_T0_E_clISt17integral_constantIbLb1EES16_EEDaS11_S12_EUlS11_E_NS1_11comp_targetILNS1_3genE10ELNS1_11target_archE1200ELNS1_3gpuE4ELNS1_3repE0EEENS1_30default_config_static_selectorELNS0_4arch9wavefront6targetE1EEEvT1_
		.amdhsa_group_segment_fixed_size 0
		.amdhsa_private_segment_fixed_size 0
		.amdhsa_kernarg_size 128
		.amdhsa_user_sgpr_count 6
		.amdhsa_user_sgpr_private_segment_buffer 1
		.amdhsa_user_sgpr_dispatch_ptr 0
		.amdhsa_user_sgpr_queue_ptr 0
		.amdhsa_user_sgpr_kernarg_segment_ptr 1
		.amdhsa_user_sgpr_dispatch_id 0
		.amdhsa_user_sgpr_flat_scratch_init 0
		.amdhsa_user_sgpr_kernarg_preload_length 0
		.amdhsa_user_sgpr_kernarg_preload_offset 0
		.amdhsa_user_sgpr_private_segment_size 0
		.amdhsa_uses_dynamic_stack 0
		.amdhsa_system_sgpr_private_segment_wavefront_offset 0
		.amdhsa_system_sgpr_workgroup_id_x 1
		.amdhsa_system_sgpr_workgroup_id_y 0
		.amdhsa_system_sgpr_workgroup_id_z 0
		.amdhsa_system_sgpr_workgroup_info 0
		.amdhsa_system_vgpr_workitem_id 0
		.amdhsa_next_free_vgpr 1
		.amdhsa_next_free_sgpr 0
		.amdhsa_accum_offset 4
		.amdhsa_reserve_vcc 0
		.amdhsa_reserve_flat_scratch 0
		.amdhsa_float_round_mode_32 0
		.amdhsa_float_round_mode_16_64 0
		.amdhsa_float_denorm_mode_32 3
		.amdhsa_float_denorm_mode_16_64 3
		.amdhsa_dx10_clamp 1
		.amdhsa_ieee_mode 1
		.amdhsa_fp16_overflow 0
		.amdhsa_tg_split 0
		.amdhsa_exception_fp_ieee_invalid_op 0
		.amdhsa_exception_fp_denorm_src 0
		.amdhsa_exception_fp_ieee_div_zero 0
		.amdhsa_exception_fp_ieee_overflow 0
		.amdhsa_exception_fp_ieee_underflow 0
		.amdhsa_exception_fp_ieee_inexact 0
		.amdhsa_exception_int_div_zero 0
	.end_amdhsa_kernel
	.section	.text._ZN7rocprim17ROCPRIM_400000_NS6detail17trampoline_kernelINS0_14default_configENS1_29reduce_by_key_config_selectorIjtN6thrust23THRUST_200600_302600_NS4plusItEEEEZZNS1_33reduce_by_key_impl_wrapped_configILNS1_25lookback_scan_determinismE0ES3_S9_NS6_6detail15normal_iteratorINS6_10device_ptrIjEEEENSD_INSE_ItEEEENS6_16discard_iteratorINS6_11use_defaultEEESI_PmS8_NS6_8equal_toIjEEEE10hipError_tPvRmT2_T3_mT4_T5_T6_T7_T8_P12ihipStream_tbENKUlT_T0_E_clISt17integral_constantIbLb1EES16_EEDaS11_S12_EUlS11_E_NS1_11comp_targetILNS1_3genE10ELNS1_11target_archE1200ELNS1_3gpuE4ELNS1_3repE0EEENS1_30default_config_static_selectorELNS0_4arch9wavefront6targetE1EEEvT1_,"axG",@progbits,_ZN7rocprim17ROCPRIM_400000_NS6detail17trampoline_kernelINS0_14default_configENS1_29reduce_by_key_config_selectorIjtN6thrust23THRUST_200600_302600_NS4plusItEEEEZZNS1_33reduce_by_key_impl_wrapped_configILNS1_25lookback_scan_determinismE0ES3_S9_NS6_6detail15normal_iteratorINS6_10device_ptrIjEEEENSD_INSE_ItEEEENS6_16discard_iteratorINS6_11use_defaultEEESI_PmS8_NS6_8equal_toIjEEEE10hipError_tPvRmT2_T3_mT4_T5_T6_T7_T8_P12ihipStream_tbENKUlT_T0_E_clISt17integral_constantIbLb1EES16_EEDaS11_S12_EUlS11_E_NS1_11comp_targetILNS1_3genE10ELNS1_11target_archE1200ELNS1_3gpuE4ELNS1_3repE0EEENS1_30default_config_static_selectorELNS0_4arch9wavefront6targetE1EEEvT1_,comdat
.Lfunc_end964:
	.size	_ZN7rocprim17ROCPRIM_400000_NS6detail17trampoline_kernelINS0_14default_configENS1_29reduce_by_key_config_selectorIjtN6thrust23THRUST_200600_302600_NS4plusItEEEEZZNS1_33reduce_by_key_impl_wrapped_configILNS1_25lookback_scan_determinismE0ES3_S9_NS6_6detail15normal_iteratorINS6_10device_ptrIjEEEENSD_INSE_ItEEEENS6_16discard_iteratorINS6_11use_defaultEEESI_PmS8_NS6_8equal_toIjEEEE10hipError_tPvRmT2_T3_mT4_T5_T6_T7_T8_P12ihipStream_tbENKUlT_T0_E_clISt17integral_constantIbLb1EES16_EEDaS11_S12_EUlS11_E_NS1_11comp_targetILNS1_3genE10ELNS1_11target_archE1200ELNS1_3gpuE4ELNS1_3repE0EEENS1_30default_config_static_selectorELNS0_4arch9wavefront6targetE1EEEvT1_, .Lfunc_end964-_ZN7rocprim17ROCPRIM_400000_NS6detail17trampoline_kernelINS0_14default_configENS1_29reduce_by_key_config_selectorIjtN6thrust23THRUST_200600_302600_NS4plusItEEEEZZNS1_33reduce_by_key_impl_wrapped_configILNS1_25lookback_scan_determinismE0ES3_S9_NS6_6detail15normal_iteratorINS6_10device_ptrIjEEEENSD_INSE_ItEEEENS6_16discard_iteratorINS6_11use_defaultEEESI_PmS8_NS6_8equal_toIjEEEE10hipError_tPvRmT2_T3_mT4_T5_T6_T7_T8_P12ihipStream_tbENKUlT_T0_E_clISt17integral_constantIbLb1EES16_EEDaS11_S12_EUlS11_E_NS1_11comp_targetILNS1_3genE10ELNS1_11target_archE1200ELNS1_3gpuE4ELNS1_3repE0EEENS1_30default_config_static_selectorELNS0_4arch9wavefront6targetE1EEEvT1_
                                        ; -- End function
	.section	.AMDGPU.csdata,"",@progbits
; Kernel info:
; codeLenInByte = 0
; NumSgprs: 4
; NumVgprs: 0
; NumAgprs: 0
; TotalNumVgprs: 0
; ScratchSize: 0
; MemoryBound: 0
; FloatMode: 240
; IeeeMode: 1
; LDSByteSize: 0 bytes/workgroup (compile time only)
; SGPRBlocks: 0
; VGPRBlocks: 0
; NumSGPRsForWavesPerEU: 4
; NumVGPRsForWavesPerEU: 1
; AccumOffset: 4
; Occupancy: 8
; WaveLimiterHint : 0
; COMPUTE_PGM_RSRC2:SCRATCH_EN: 0
; COMPUTE_PGM_RSRC2:USER_SGPR: 6
; COMPUTE_PGM_RSRC2:TRAP_HANDLER: 0
; COMPUTE_PGM_RSRC2:TGID_X_EN: 1
; COMPUTE_PGM_RSRC2:TGID_Y_EN: 0
; COMPUTE_PGM_RSRC2:TGID_Z_EN: 0
; COMPUTE_PGM_RSRC2:TIDIG_COMP_CNT: 0
; COMPUTE_PGM_RSRC3_GFX90A:ACCUM_OFFSET: 0
; COMPUTE_PGM_RSRC3_GFX90A:TG_SPLIT: 0
	.section	.text._ZN7rocprim17ROCPRIM_400000_NS6detail17trampoline_kernelINS0_14default_configENS1_29reduce_by_key_config_selectorIjtN6thrust23THRUST_200600_302600_NS4plusItEEEEZZNS1_33reduce_by_key_impl_wrapped_configILNS1_25lookback_scan_determinismE0ES3_S9_NS6_6detail15normal_iteratorINS6_10device_ptrIjEEEENSD_INSE_ItEEEENS6_16discard_iteratorINS6_11use_defaultEEESI_PmS8_NS6_8equal_toIjEEEE10hipError_tPvRmT2_T3_mT4_T5_T6_T7_T8_P12ihipStream_tbENKUlT_T0_E_clISt17integral_constantIbLb1EES16_EEDaS11_S12_EUlS11_E_NS1_11comp_targetILNS1_3genE9ELNS1_11target_archE1100ELNS1_3gpuE3ELNS1_3repE0EEENS1_30default_config_static_selectorELNS0_4arch9wavefront6targetE1EEEvT1_,"axG",@progbits,_ZN7rocprim17ROCPRIM_400000_NS6detail17trampoline_kernelINS0_14default_configENS1_29reduce_by_key_config_selectorIjtN6thrust23THRUST_200600_302600_NS4plusItEEEEZZNS1_33reduce_by_key_impl_wrapped_configILNS1_25lookback_scan_determinismE0ES3_S9_NS6_6detail15normal_iteratorINS6_10device_ptrIjEEEENSD_INSE_ItEEEENS6_16discard_iteratorINS6_11use_defaultEEESI_PmS8_NS6_8equal_toIjEEEE10hipError_tPvRmT2_T3_mT4_T5_T6_T7_T8_P12ihipStream_tbENKUlT_T0_E_clISt17integral_constantIbLb1EES16_EEDaS11_S12_EUlS11_E_NS1_11comp_targetILNS1_3genE9ELNS1_11target_archE1100ELNS1_3gpuE3ELNS1_3repE0EEENS1_30default_config_static_selectorELNS0_4arch9wavefront6targetE1EEEvT1_,comdat
	.protected	_ZN7rocprim17ROCPRIM_400000_NS6detail17trampoline_kernelINS0_14default_configENS1_29reduce_by_key_config_selectorIjtN6thrust23THRUST_200600_302600_NS4plusItEEEEZZNS1_33reduce_by_key_impl_wrapped_configILNS1_25lookback_scan_determinismE0ES3_S9_NS6_6detail15normal_iteratorINS6_10device_ptrIjEEEENSD_INSE_ItEEEENS6_16discard_iteratorINS6_11use_defaultEEESI_PmS8_NS6_8equal_toIjEEEE10hipError_tPvRmT2_T3_mT4_T5_T6_T7_T8_P12ihipStream_tbENKUlT_T0_E_clISt17integral_constantIbLb1EES16_EEDaS11_S12_EUlS11_E_NS1_11comp_targetILNS1_3genE9ELNS1_11target_archE1100ELNS1_3gpuE3ELNS1_3repE0EEENS1_30default_config_static_selectorELNS0_4arch9wavefront6targetE1EEEvT1_ ; -- Begin function _ZN7rocprim17ROCPRIM_400000_NS6detail17trampoline_kernelINS0_14default_configENS1_29reduce_by_key_config_selectorIjtN6thrust23THRUST_200600_302600_NS4plusItEEEEZZNS1_33reduce_by_key_impl_wrapped_configILNS1_25lookback_scan_determinismE0ES3_S9_NS6_6detail15normal_iteratorINS6_10device_ptrIjEEEENSD_INSE_ItEEEENS6_16discard_iteratorINS6_11use_defaultEEESI_PmS8_NS6_8equal_toIjEEEE10hipError_tPvRmT2_T3_mT4_T5_T6_T7_T8_P12ihipStream_tbENKUlT_T0_E_clISt17integral_constantIbLb1EES16_EEDaS11_S12_EUlS11_E_NS1_11comp_targetILNS1_3genE9ELNS1_11target_archE1100ELNS1_3gpuE3ELNS1_3repE0EEENS1_30default_config_static_selectorELNS0_4arch9wavefront6targetE1EEEvT1_
	.globl	_ZN7rocprim17ROCPRIM_400000_NS6detail17trampoline_kernelINS0_14default_configENS1_29reduce_by_key_config_selectorIjtN6thrust23THRUST_200600_302600_NS4plusItEEEEZZNS1_33reduce_by_key_impl_wrapped_configILNS1_25lookback_scan_determinismE0ES3_S9_NS6_6detail15normal_iteratorINS6_10device_ptrIjEEEENSD_INSE_ItEEEENS6_16discard_iteratorINS6_11use_defaultEEESI_PmS8_NS6_8equal_toIjEEEE10hipError_tPvRmT2_T3_mT4_T5_T6_T7_T8_P12ihipStream_tbENKUlT_T0_E_clISt17integral_constantIbLb1EES16_EEDaS11_S12_EUlS11_E_NS1_11comp_targetILNS1_3genE9ELNS1_11target_archE1100ELNS1_3gpuE3ELNS1_3repE0EEENS1_30default_config_static_selectorELNS0_4arch9wavefront6targetE1EEEvT1_
	.p2align	8
	.type	_ZN7rocprim17ROCPRIM_400000_NS6detail17trampoline_kernelINS0_14default_configENS1_29reduce_by_key_config_selectorIjtN6thrust23THRUST_200600_302600_NS4plusItEEEEZZNS1_33reduce_by_key_impl_wrapped_configILNS1_25lookback_scan_determinismE0ES3_S9_NS6_6detail15normal_iteratorINS6_10device_ptrIjEEEENSD_INSE_ItEEEENS6_16discard_iteratorINS6_11use_defaultEEESI_PmS8_NS6_8equal_toIjEEEE10hipError_tPvRmT2_T3_mT4_T5_T6_T7_T8_P12ihipStream_tbENKUlT_T0_E_clISt17integral_constantIbLb1EES16_EEDaS11_S12_EUlS11_E_NS1_11comp_targetILNS1_3genE9ELNS1_11target_archE1100ELNS1_3gpuE3ELNS1_3repE0EEENS1_30default_config_static_selectorELNS0_4arch9wavefront6targetE1EEEvT1_,@function
_ZN7rocprim17ROCPRIM_400000_NS6detail17trampoline_kernelINS0_14default_configENS1_29reduce_by_key_config_selectorIjtN6thrust23THRUST_200600_302600_NS4plusItEEEEZZNS1_33reduce_by_key_impl_wrapped_configILNS1_25lookback_scan_determinismE0ES3_S9_NS6_6detail15normal_iteratorINS6_10device_ptrIjEEEENSD_INSE_ItEEEENS6_16discard_iteratorINS6_11use_defaultEEESI_PmS8_NS6_8equal_toIjEEEE10hipError_tPvRmT2_T3_mT4_T5_T6_T7_T8_P12ihipStream_tbENKUlT_T0_E_clISt17integral_constantIbLb1EES16_EEDaS11_S12_EUlS11_E_NS1_11comp_targetILNS1_3genE9ELNS1_11target_archE1100ELNS1_3gpuE3ELNS1_3repE0EEENS1_30default_config_static_selectorELNS0_4arch9wavefront6targetE1EEEvT1_: ; @_ZN7rocprim17ROCPRIM_400000_NS6detail17trampoline_kernelINS0_14default_configENS1_29reduce_by_key_config_selectorIjtN6thrust23THRUST_200600_302600_NS4plusItEEEEZZNS1_33reduce_by_key_impl_wrapped_configILNS1_25lookback_scan_determinismE0ES3_S9_NS6_6detail15normal_iteratorINS6_10device_ptrIjEEEENSD_INSE_ItEEEENS6_16discard_iteratorINS6_11use_defaultEEESI_PmS8_NS6_8equal_toIjEEEE10hipError_tPvRmT2_T3_mT4_T5_T6_T7_T8_P12ihipStream_tbENKUlT_T0_E_clISt17integral_constantIbLb1EES16_EEDaS11_S12_EUlS11_E_NS1_11comp_targetILNS1_3genE9ELNS1_11target_archE1100ELNS1_3gpuE3ELNS1_3repE0EEENS1_30default_config_static_selectorELNS0_4arch9wavefront6targetE1EEEvT1_
; %bb.0:
	.section	.rodata,"a",@progbits
	.p2align	6, 0x0
	.amdhsa_kernel _ZN7rocprim17ROCPRIM_400000_NS6detail17trampoline_kernelINS0_14default_configENS1_29reduce_by_key_config_selectorIjtN6thrust23THRUST_200600_302600_NS4plusItEEEEZZNS1_33reduce_by_key_impl_wrapped_configILNS1_25lookback_scan_determinismE0ES3_S9_NS6_6detail15normal_iteratorINS6_10device_ptrIjEEEENSD_INSE_ItEEEENS6_16discard_iteratorINS6_11use_defaultEEESI_PmS8_NS6_8equal_toIjEEEE10hipError_tPvRmT2_T3_mT4_T5_T6_T7_T8_P12ihipStream_tbENKUlT_T0_E_clISt17integral_constantIbLb1EES16_EEDaS11_S12_EUlS11_E_NS1_11comp_targetILNS1_3genE9ELNS1_11target_archE1100ELNS1_3gpuE3ELNS1_3repE0EEENS1_30default_config_static_selectorELNS0_4arch9wavefront6targetE1EEEvT1_
		.amdhsa_group_segment_fixed_size 0
		.amdhsa_private_segment_fixed_size 0
		.amdhsa_kernarg_size 128
		.amdhsa_user_sgpr_count 6
		.amdhsa_user_sgpr_private_segment_buffer 1
		.amdhsa_user_sgpr_dispatch_ptr 0
		.amdhsa_user_sgpr_queue_ptr 0
		.amdhsa_user_sgpr_kernarg_segment_ptr 1
		.amdhsa_user_sgpr_dispatch_id 0
		.amdhsa_user_sgpr_flat_scratch_init 0
		.amdhsa_user_sgpr_kernarg_preload_length 0
		.amdhsa_user_sgpr_kernarg_preload_offset 0
		.amdhsa_user_sgpr_private_segment_size 0
		.amdhsa_uses_dynamic_stack 0
		.amdhsa_system_sgpr_private_segment_wavefront_offset 0
		.amdhsa_system_sgpr_workgroup_id_x 1
		.amdhsa_system_sgpr_workgroup_id_y 0
		.amdhsa_system_sgpr_workgroup_id_z 0
		.amdhsa_system_sgpr_workgroup_info 0
		.amdhsa_system_vgpr_workitem_id 0
		.amdhsa_next_free_vgpr 1
		.amdhsa_next_free_sgpr 0
		.amdhsa_accum_offset 4
		.amdhsa_reserve_vcc 0
		.amdhsa_reserve_flat_scratch 0
		.amdhsa_float_round_mode_32 0
		.amdhsa_float_round_mode_16_64 0
		.amdhsa_float_denorm_mode_32 3
		.amdhsa_float_denorm_mode_16_64 3
		.amdhsa_dx10_clamp 1
		.amdhsa_ieee_mode 1
		.amdhsa_fp16_overflow 0
		.amdhsa_tg_split 0
		.amdhsa_exception_fp_ieee_invalid_op 0
		.amdhsa_exception_fp_denorm_src 0
		.amdhsa_exception_fp_ieee_div_zero 0
		.amdhsa_exception_fp_ieee_overflow 0
		.amdhsa_exception_fp_ieee_underflow 0
		.amdhsa_exception_fp_ieee_inexact 0
		.amdhsa_exception_int_div_zero 0
	.end_amdhsa_kernel
	.section	.text._ZN7rocprim17ROCPRIM_400000_NS6detail17trampoline_kernelINS0_14default_configENS1_29reduce_by_key_config_selectorIjtN6thrust23THRUST_200600_302600_NS4plusItEEEEZZNS1_33reduce_by_key_impl_wrapped_configILNS1_25lookback_scan_determinismE0ES3_S9_NS6_6detail15normal_iteratorINS6_10device_ptrIjEEEENSD_INSE_ItEEEENS6_16discard_iteratorINS6_11use_defaultEEESI_PmS8_NS6_8equal_toIjEEEE10hipError_tPvRmT2_T3_mT4_T5_T6_T7_T8_P12ihipStream_tbENKUlT_T0_E_clISt17integral_constantIbLb1EES16_EEDaS11_S12_EUlS11_E_NS1_11comp_targetILNS1_3genE9ELNS1_11target_archE1100ELNS1_3gpuE3ELNS1_3repE0EEENS1_30default_config_static_selectorELNS0_4arch9wavefront6targetE1EEEvT1_,"axG",@progbits,_ZN7rocprim17ROCPRIM_400000_NS6detail17trampoline_kernelINS0_14default_configENS1_29reduce_by_key_config_selectorIjtN6thrust23THRUST_200600_302600_NS4plusItEEEEZZNS1_33reduce_by_key_impl_wrapped_configILNS1_25lookback_scan_determinismE0ES3_S9_NS6_6detail15normal_iteratorINS6_10device_ptrIjEEEENSD_INSE_ItEEEENS6_16discard_iteratorINS6_11use_defaultEEESI_PmS8_NS6_8equal_toIjEEEE10hipError_tPvRmT2_T3_mT4_T5_T6_T7_T8_P12ihipStream_tbENKUlT_T0_E_clISt17integral_constantIbLb1EES16_EEDaS11_S12_EUlS11_E_NS1_11comp_targetILNS1_3genE9ELNS1_11target_archE1100ELNS1_3gpuE3ELNS1_3repE0EEENS1_30default_config_static_selectorELNS0_4arch9wavefront6targetE1EEEvT1_,comdat
.Lfunc_end965:
	.size	_ZN7rocprim17ROCPRIM_400000_NS6detail17trampoline_kernelINS0_14default_configENS1_29reduce_by_key_config_selectorIjtN6thrust23THRUST_200600_302600_NS4plusItEEEEZZNS1_33reduce_by_key_impl_wrapped_configILNS1_25lookback_scan_determinismE0ES3_S9_NS6_6detail15normal_iteratorINS6_10device_ptrIjEEEENSD_INSE_ItEEEENS6_16discard_iteratorINS6_11use_defaultEEESI_PmS8_NS6_8equal_toIjEEEE10hipError_tPvRmT2_T3_mT4_T5_T6_T7_T8_P12ihipStream_tbENKUlT_T0_E_clISt17integral_constantIbLb1EES16_EEDaS11_S12_EUlS11_E_NS1_11comp_targetILNS1_3genE9ELNS1_11target_archE1100ELNS1_3gpuE3ELNS1_3repE0EEENS1_30default_config_static_selectorELNS0_4arch9wavefront6targetE1EEEvT1_, .Lfunc_end965-_ZN7rocprim17ROCPRIM_400000_NS6detail17trampoline_kernelINS0_14default_configENS1_29reduce_by_key_config_selectorIjtN6thrust23THRUST_200600_302600_NS4plusItEEEEZZNS1_33reduce_by_key_impl_wrapped_configILNS1_25lookback_scan_determinismE0ES3_S9_NS6_6detail15normal_iteratorINS6_10device_ptrIjEEEENSD_INSE_ItEEEENS6_16discard_iteratorINS6_11use_defaultEEESI_PmS8_NS6_8equal_toIjEEEE10hipError_tPvRmT2_T3_mT4_T5_T6_T7_T8_P12ihipStream_tbENKUlT_T0_E_clISt17integral_constantIbLb1EES16_EEDaS11_S12_EUlS11_E_NS1_11comp_targetILNS1_3genE9ELNS1_11target_archE1100ELNS1_3gpuE3ELNS1_3repE0EEENS1_30default_config_static_selectorELNS0_4arch9wavefront6targetE1EEEvT1_
                                        ; -- End function
	.section	.AMDGPU.csdata,"",@progbits
; Kernel info:
; codeLenInByte = 0
; NumSgprs: 4
; NumVgprs: 0
; NumAgprs: 0
; TotalNumVgprs: 0
; ScratchSize: 0
; MemoryBound: 0
; FloatMode: 240
; IeeeMode: 1
; LDSByteSize: 0 bytes/workgroup (compile time only)
; SGPRBlocks: 0
; VGPRBlocks: 0
; NumSGPRsForWavesPerEU: 4
; NumVGPRsForWavesPerEU: 1
; AccumOffset: 4
; Occupancy: 8
; WaveLimiterHint : 0
; COMPUTE_PGM_RSRC2:SCRATCH_EN: 0
; COMPUTE_PGM_RSRC2:USER_SGPR: 6
; COMPUTE_PGM_RSRC2:TRAP_HANDLER: 0
; COMPUTE_PGM_RSRC2:TGID_X_EN: 1
; COMPUTE_PGM_RSRC2:TGID_Y_EN: 0
; COMPUTE_PGM_RSRC2:TGID_Z_EN: 0
; COMPUTE_PGM_RSRC2:TIDIG_COMP_CNT: 0
; COMPUTE_PGM_RSRC3_GFX90A:ACCUM_OFFSET: 0
; COMPUTE_PGM_RSRC3_GFX90A:TG_SPLIT: 0
	.section	.text._ZN7rocprim17ROCPRIM_400000_NS6detail17trampoline_kernelINS0_14default_configENS1_29reduce_by_key_config_selectorIjtN6thrust23THRUST_200600_302600_NS4plusItEEEEZZNS1_33reduce_by_key_impl_wrapped_configILNS1_25lookback_scan_determinismE0ES3_S9_NS6_6detail15normal_iteratorINS6_10device_ptrIjEEEENSD_INSE_ItEEEENS6_16discard_iteratorINS6_11use_defaultEEESI_PmS8_NS6_8equal_toIjEEEE10hipError_tPvRmT2_T3_mT4_T5_T6_T7_T8_P12ihipStream_tbENKUlT_T0_E_clISt17integral_constantIbLb1EES16_EEDaS11_S12_EUlS11_E_NS1_11comp_targetILNS1_3genE8ELNS1_11target_archE1030ELNS1_3gpuE2ELNS1_3repE0EEENS1_30default_config_static_selectorELNS0_4arch9wavefront6targetE1EEEvT1_,"axG",@progbits,_ZN7rocprim17ROCPRIM_400000_NS6detail17trampoline_kernelINS0_14default_configENS1_29reduce_by_key_config_selectorIjtN6thrust23THRUST_200600_302600_NS4plusItEEEEZZNS1_33reduce_by_key_impl_wrapped_configILNS1_25lookback_scan_determinismE0ES3_S9_NS6_6detail15normal_iteratorINS6_10device_ptrIjEEEENSD_INSE_ItEEEENS6_16discard_iteratorINS6_11use_defaultEEESI_PmS8_NS6_8equal_toIjEEEE10hipError_tPvRmT2_T3_mT4_T5_T6_T7_T8_P12ihipStream_tbENKUlT_T0_E_clISt17integral_constantIbLb1EES16_EEDaS11_S12_EUlS11_E_NS1_11comp_targetILNS1_3genE8ELNS1_11target_archE1030ELNS1_3gpuE2ELNS1_3repE0EEENS1_30default_config_static_selectorELNS0_4arch9wavefront6targetE1EEEvT1_,comdat
	.protected	_ZN7rocprim17ROCPRIM_400000_NS6detail17trampoline_kernelINS0_14default_configENS1_29reduce_by_key_config_selectorIjtN6thrust23THRUST_200600_302600_NS4plusItEEEEZZNS1_33reduce_by_key_impl_wrapped_configILNS1_25lookback_scan_determinismE0ES3_S9_NS6_6detail15normal_iteratorINS6_10device_ptrIjEEEENSD_INSE_ItEEEENS6_16discard_iteratorINS6_11use_defaultEEESI_PmS8_NS6_8equal_toIjEEEE10hipError_tPvRmT2_T3_mT4_T5_T6_T7_T8_P12ihipStream_tbENKUlT_T0_E_clISt17integral_constantIbLb1EES16_EEDaS11_S12_EUlS11_E_NS1_11comp_targetILNS1_3genE8ELNS1_11target_archE1030ELNS1_3gpuE2ELNS1_3repE0EEENS1_30default_config_static_selectorELNS0_4arch9wavefront6targetE1EEEvT1_ ; -- Begin function _ZN7rocprim17ROCPRIM_400000_NS6detail17trampoline_kernelINS0_14default_configENS1_29reduce_by_key_config_selectorIjtN6thrust23THRUST_200600_302600_NS4plusItEEEEZZNS1_33reduce_by_key_impl_wrapped_configILNS1_25lookback_scan_determinismE0ES3_S9_NS6_6detail15normal_iteratorINS6_10device_ptrIjEEEENSD_INSE_ItEEEENS6_16discard_iteratorINS6_11use_defaultEEESI_PmS8_NS6_8equal_toIjEEEE10hipError_tPvRmT2_T3_mT4_T5_T6_T7_T8_P12ihipStream_tbENKUlT_T0_E_clISt17integral_constantIbLb1EES16_EEDaS11_S12_EUlS11_E_NS1_11comp_targetILNS1_3genE8ELNS1_11target_archE1030ELNS1_3gpuE2ELNS1_3repE0EEENS1_30default_config_static_selectorELNS0_4arch9wavefront6targetE1EEEvT1_
	.globl	_ZN7rocprim17ROCPRIM_400000_NS6detail17trampoline_kernelINS0_14default_configENS1_29reduce_by_key_config_selectorIjtN6thrust23THRUST_200600_302600_NS4plusItEEEEZZNS1_33reduce_by_key_impl_wrapped_configILNS1_25lookback_scan_determinismE0ES3_S9_NS6_6detail15normal_iteratorINS6_10device_ptrIjEEEENSD_INSE_ItEEEENS6_16discard_iteratorINS6_11use_defaultEEESI_PmS8_NS6_8equal_toIjEEEE10hipError_tPvRmT2_T3_mT4_T5_T6_T7_T8_P12ihipStream_tbENKUlT_T0_E_clISt17integral_constantIbLb1EES16_EEDaS11_S12_EUlS11_E_NS1_11comp_targetILNS1_3genE8ELNS1_11target_archE1030ELNS1_3gpuE2ELNS1_3repE0EEENS1_30default_config_static_selectorELNS0_4arch9wavefront6targetE1EEEvT1_
	.p2align	8
	.type	_ZN7rocprim17ROCPRIM_400000_NS6detail17trampoline_kernelINS0_14default_configENS1_29reduce_by_key_config_selectorIjtN6thrust23THRUST_200600_302600_NS4plusItEEEEZZNS1_33reduce_by_key_impl_wrapped_configILNS1_25lookback_scan_determinismE0ES3_S9_NS6_6detail15normal_iteratorINS6_10device_ptrIjEEEENSD_INSE_ItEEEENS6_16discard_iteratorINS6_11use_defaultEEESI_PmS8_NS6_8equal_toIjEEEE10hipError_tPvRmT2_T3_mT4_T5_T6_T7_T8_P12ihipStream_tbENKUlT_T0_E_clISt17integral_constantIbLb1EES16_EEDaS11_S12_EUlS11_E_NS1_11comp_targetILNS1_3genE8ELNS1_11target_archE1030ELNS1_3gpuE2ELNS1_3repE0EEENS1_30default_config_static_selectorELNS0_4arch9wavefront6targetE1EEEvT1_,@function
_ZN7rocprim17ROCPRIM_400000_NS6detail17trampoline_kernelINS0_14default_configENS1_29reduce_by_key_config_selectorIjtN6thrust23THRUST_200600_302600_NS4plusItEEEEZZNS1_33reduce_by_key_impl_wrapped_configILNS1_25lookback_scan_determinismE0ES3_S9_NS6_6detail15normal_iteratorINS6_10device_ptrIjEEEENSD_INSE_ItEEEENS6_16discard_iteratorINS6_11use_defaultEEESI_PmS8_NS6_8equal_toIjEEEE10hipError_tPvRmT2_T3_mT4_T5_T6_T7_T8_P12ihipStream_tbENKUlT_T0_E_clISt17integral_constantIbLb1EES16_EEDaS11_S12_EUlS11_E_NS1_11comp_targetILNS1_3genE8ELNS1_11target_archE1030ELNS1_3gpuE2ELNS1_3repE0EEENS1_30default_config_static_selectorELNS0_4arch9wavefront6targetE1EEEvT1_: ; @_ZN7rocprim17ROCPRIM_400000_NS6detail17trampoline_kernelINS0_14default_configENS1_29reduce_by_key_config_selectorIjtN6thrust23THRUST_200600_302600_NS4plusItEEEEZZNS1_33reduce_by_key_impl_wrapped_configILNS1_25lookback_scan_determinismE0ES3_S9_NS6_6detail15normal_iteratorINS6_10device_ptrIjEEEENSD_INSE_ItEEEENS6_16discard_iteratorINS6_11use_defaultEEESI_PmS8_NS6_8equal_toIjEEEE10hipError_tPvRmT2_T3_mT4_T5_T6_T7_T8_P12ihipStream_tbENKUlT_T0_E_clISt17integral_constantIbLb1EES16_EEDaS11_S12_EUlS11_E_NS1_11comp_targetILNS1_3genE8ELNS1_11target_archE1030ELNS1_3gpuE2ELNS1_3repE0EEENS1_30default_config_static_selectorELNS0_4arch9wavefront6targetE1EEEvT1_
; %bb.0:
	.section	.rodata,"a",@progbits
	.p2align	6, 0x0
	.amdhsa_kernel _ZN7rocprim17ROCPRIM_400000_NS6detail17trampoline_kernelINS0_14default_configENS1_29reduce_by_key_config_selectorIjtN6thrust23THRUST_200600_302600_NS4plusItEEEEZZNS1_33reduce_by_key_impl_wrapped_configILNS1_25lookback_scan_determinismE0ES3_S9_NS6_6detail15normal_iteratorINS6_10device_ptrIjEEEENSD_INSE_ItEEEENS6_16discard_iteratorINS6_11use_defaultEEESI_PmS8_NS6_8equal_toIjEEEE10hipError_tPvRmT2_T3_mT4_T5_T6_T7_T8_P12ihipStream_tbENKUlT_T0_E_clISt17integral_constantIbLb1EES16_EEDaS11_S12_EUlS11_E_NS1_11comp_targetILNS1_3genE8ELNS1_11target_archE1030ELNS1_3gpuE2ELNS1_3repE0EEENS1_30default_config_static_selectorELNS0_4arch9wavefront6targetE1EEEvT1_
		.amdhsa_group_segment_fixed_size 0
		.amdhsa_private_segment_fixed_size 0
		.amdhsa_kernarg_size 128
		.amdhsa_user_sgpr_count 6
		.amdhsa_user_sgpr_private_segment_buffer 1
		.amdhsa_user_sgpr_dispatch_ptr 0
		.amdhsa_user_sgpr_queue_ptr 0
		.amdhsa_user_sgpr_kernarg_segment_ptr 1
		.amdhsa_user_sgpr_dispatch_id 0
		.amdhsa_user_sgpr_flat_scratch_init 0
		.amdhsa_user_sgpr_kernarg_preload_length 0
		.amdhsa_user_sgpr_kernarg_preload_offset 0
		.amdhsa_user_sgpr_private_segment_size 0
		.amdhsa_uses_dynamic_stack 0
		.amdhsa_system_sgpr_private_segment_wavefront_offset 0
		.amdhsa_system_sgpr_workgroup_id_x 1
		.amdhsa_system_sgpr_workgroup_id_y 0
		.amdhsa_system_sgpr_workgroup_id_z 0
		.amdhsa_system_sgpr_workgroup_info 0
		.amdhsa_system_vgpr_workitem_id 0
		.amdhsa_next_free_vgpr 1
		.amdhsa_next_free_sgpr 0
		.amdhsa_accum_offset 4
		.amdhsa_reserve_vcc 0
		.amdhsa_reserve_flat_scratch 0
		.amdhsa_float_round_mode_32 0
		.amdhsa_float_round_mode_16_64 0
		.amdhsa_float_denorm_mode_32 3
		.amdhsa_float_denorm_mode_16_64 3
		.amdhsa_dx10_clamp 1
		.amdhsa_ieee_mode 1
		.amdhsa_fp16_overflow 0
		.amdhsa_tg_split 0
		.amdhsa_exception_fp_ieee_invalid_op 0
		.amdhsa_exception_fp_denorm_src 0
		.amdhsa_exception_fp_ieee_div_zero 0
		.amdhsa_exception_fp_ieee_overflow 0
		.amdhsa_exception_fp_ieee_underflow 0
		.amdhsa_exception_fp_ieee_inexact 0
		.amdhsa_exception_int_div_zero 0
	.end_amdhsa_kernel
	.section	.text._ZN7rocprim17ROCPRIM_400000_NS6detail17trampoline_kernelINS0_14default_configENS1_29reduce_by_key_config_selectorIjtN6thrust23THRUST_200600_302600_NS4plusItEEEEZZNS1_33reduce_by_key_impl_wrapped_configILNS1_25lookback_scan_determinismE0ES3_S9_NS6_6detail15normal_iteratorINS6_10device_ptrIjEEEENSD_INSE_ItEEEENS6_16discard_iteratorINS6_11use_defaultEEESI_PmS8_NS6_8equal_toIjEEEE10hipError_tPvRmT2_T3_mT4_T5_T6_T7_T8_P12ihipStream_tbENKUlT_T0_E_clISt17integral_constantIbLb1EES16_EEDaS11_S12_EUlS11_E_NS1_11comp_targetILNS1_3genE8ELNS1_11target_archE1030ELNS1_3gpuE2ELNS1_3repE0EEENS1_30default_config_static_selectorELNS0_4arch9wavefront6targetE1EEEvT1_,"axG",@progbits,_ZN7rocprim17ROCPRIM_400000_NS6detail17trampoline_kernelINS0_14default_configENS1_29reduce_by_key_config_selectorIjtN6thrust23THRUST_200600_302600_NS4plusItEEEEZZNS1_33reduce_by_key_impl_wrapped_configILNS1_25lookback_scan_determinismE0ES3_S9_NS6_6detail15normal_iteratorINS6_10device_ptrIjEEEENSD_INSE_ItEEEENS6_16discard_iteratorINS6_11use_defaultEEESI_PmS8_NS6_8equal_toIjEEEE10hipError_tPvRmT2_T3_mT4_T5_T6_T7_T8_P12ihipStream_tbENKUlT_T0_E_clISt17integral_constantIbLb1EES16_EEDaS11_S12_EUlS11_E_NS1_11comp_targetILNS1_3genE8ELNS1_11target_archE1030ELNS1_3gpuE2ELNS1_3repE0EEENS1_30default_config_static_selectorELNS0_4arch9wavefront6targetE1EEEvT1_,comdat
.Lfunc_end966:
	.size	_ZN7rocprim17ROCPRIM_400000_NS6detail17trampoline_kernelINS0_14default_configENS1_29reduce_by_key_config_selectorIjtN6thrust23THRUST_200600_302600_NS4plusItEEEEZZNS1_33reduce_by_key_impl_wrapped_configILNS1_25lookback_scan_determinismE0ES3_S9_NS6_6detail15normal_iteratorINS6_10device_ptrIjEEEENSD_INSE_ItEEEENS6_16discard_iteratorINS6_11use_defaultEEESI_PmS8_NS6_8equal_toIjEEEE10hipError_tPvRmT2_T3_mT4_T5_T6_T7_T8_P12ihipStream_tbENKUlT_T0_E_clISt17integral_constantIbLb1EES16_EEDaS11_S12_EUlS11_E_NS1_11comp_targetILNS1_3genE8ELNS1_11target_archE1030ELNS1_3gpuE2ELNS1_3repE0EEENS1_30default_config_static_selectorELNS0_4arch9wavefront6targetE1EEEvT1_, .Lfunc_end966-_ZN7rocprim17ROCPRIM_400000_NS6detail17trampoline_kernelINS0_14default_configENS1_29reduce_by_key_config_selectorIjtN6thrust23THRUST_200600_302600_NS4plusItEEEEZZNS1_33reduce_by_key_impl_wrapped_configILNS1_25lookback_scan_determinismE0ES3_S9_NS6_6detail15normal_iteratorINS6_10device_ptrIjEEEENSD_INSE_ItEEEENS6_16discard_iteratorINS6_11use_defaultEEESI_PmS8_NS6_8equal_toIjEEEE10hipError_tPvRmT2_T3_mT4_T5_T6_T7_T8_P12ihipStream_tbENKUlT_T0_E_clISt17integral_constantIbLb1EES16_EEDaS11_S12_EUlS11_E_NS1_11comp_targetILNS1_3genE8ELNS1_11target_archE1030ELNS1_3gpuE2ELNS1_3repE0EEENS1_30default_config_static_selectorELNS0_4arch9wavefront6targetE1EEEvT1_
                                        ; -- End function
	.section	.AMDGPU.csdata,"",@progbits
; Kernel info:
; codeLenInByte = 0
; NumSgprs: 4
; NumVgprs: 0
; NumAgprs: 0
; TotalNumVgprs: 0
; ScratchSize: 0
; MemoryBound: 0
; FloatMode: 240
; IeeeMode: 1
; LDSByteSize: 0 bytes/workgroup (compile time only)
; SGPRBlocks: 0
; VGPRBlocks: 0
; NumSGPRsForWavesPerEU: 4
; NumVGPRsForWavesPerEU: 1
; AccumOffset: 4
; Occupancy: 8
; WaveLimiterHint : 0
; COMPUTE_PGM_RSRC2:SCRATCH_EN: 0
; COMPUTE_PGM_RSRC2:USER_SGPR: 6
; COMPUTE_PGM_RSRC2:TRAP_HANDLER: 0
; COMPUTE_PGM_RSRC2:TGID_X_EN: 1
; COMPUTE_PGM_RSRC2:TGID_Y_EN: 0
; COMPUTE_PGM_RSRC2:TGID_Z_EN: 0
; COMPUTE_PGM_RSRC2:TIDIG_COMP_CNT: 0
; COMPUTE_PGM_RSRC3_GFX90A:ACCUM_OFFSET: 0
; COMPUTE_PGM_RSRC3_GFX90A:TG_SPLIT: 0
	.section	.text._ZN7rocprim17ROCPRIM_400000_NS6detail17trampoline_kernelINS0_14default_configENS1_29reduce_by_key_config_selectorIjtN6thrust23THRUST_200600_302600_NS4plusItEEEEZZNS1_33reduce_by_key_impl_wrapped_configILNS1_25lookback_scan_determinismE0ES3_S9_NS6_6detail15normal_iteratorINS6_10device_ptrIjEEEENSD_INSE_ItEEEENS6_16discard_iteratorINS6_11use_defaultEEESI_PmS8_NS6_8equal_toIjEEEE10hipError_tPvRmT2_T3_mT4_T5_T6_T7_T8_P12ihipStream_tbENKUlT_T0_E_clISt17integral_constantIbLb1EES15_IbLb0EEEEDaS11_S12_EUlS11_E_NS1_11comp_targetILNS1_3genE0ELNS1_11target_archE4294967295ELNS1_3gpuE0ELNS1_3repE0EEENS1_30default_config_static_selectorELNS0_4arch9wavefront6targetE1EEEvT1_,"axG",@progbits,_ZN7rocprim17ROCPRIM_400000_NS6detail17trampoline_kernelINS0_14default_configENS1_29reduce_by_key_config_selectorIjtN6thrust23THRUST_200600_302600_NS4plusItEEEEZZNS1_33reduce_by_key_impl_wrapped_configILNS1_25lookback_scan_determinismE0ES3_S9_NS6_6detail15normal_iteratorINS6_10device_ptrIjEEEENSD_INSE_ItEEEENS6_16discard_iteratorINS6_11use_defaultEEESI_PmS8_NS6_8equal_toIjEEEE10hipError_tPvRmT2_T3_mT4_T5_T6_T7_T8_P12ihipStream_tbENKUlT_T0_E_clISt17integral_constantIbLb1EES15_IbLb0EEEEDaS11_S12_EUlS11_E_NS1_11comp_targetILNS1_3genE0ELNS1_11target_archE4294967295ELNS1_3gpuE0ELNS1_3repE0EEENS1_30default_config_static_selectorELNS0_4arch9wavefront6targetE1EEEvT1_,comdat
	.protected	_ZN7rocprim17ROCPRIM_400000_NS6detail17trampoline_kernelINS0_14default_configENS1_29reduce_by_key_config_selectorIjtN6thrust23THRUST_200600_302600_NS4plusItEEEEZZNS1_33reduce_by_key_impl_wrapped_configILNS1_25lookback_scan_determinismE0ES3_S9_NS6_6detail15normal_iteratorINS6_10device_ptrIjEEEENSD_INSE_ItEEEENS6_16discard_iteratorINS6_11use_defaultEEESI_PmS8_NS6_8equal_toIjEEEE10hipError_tPvRmT2_T3_mT4_T5_T6_T7_T8_P12ihipStream_tbENKUlT_T0_E_clISt17integral_constantIbLb1EES15_IbLb0EEEEDaS11_S12_EUlS11_E_NS1_11comp_targetILNS1_3genE0ELNS1_11target_archE4294967295ELNS1_3gpuE0ELNS1_3repE0EEENS1_30default_config_static_selectorELNS0_4arch9wavefront6targetE1EEEvT1_ ; -- Begin function _ZN7rocprim17ROCPRIM_400000_NS6detail17trampoline_kernelINS0_14default_configENS1_29reduce_by_key_config_selectorIjtN6thrust23THRUST_200600_302600_NS4plusItEEEEZZNS1_33reduce_by_key_impl_wrapped_configILNS1_25lookback_scan_determinismE0ES3_S9_NS6_6detail15normal_iteratorINS6_10device_ptrIjEEEENSD_INSE_ItEEEENS6_16discard_iteratorINS6_11use_defaultEEESI_PmS8_NS6_8equal_toIjEEEE10hipError_tPvRmT2_T3_mT4_T5_T6_T7_T8_P12ihipStream_tbENKUlT_T0_E_clISt17integral_constantIbLb1EES15_IbLb0EEEEDaS11_S12_EUlS11_E_NS1_11comp_targetILNS1_3genE0ELNS1_11target_archE4294967295ELNS1_3gpuE0ELNS1_3repE0EEENS1_30default_config_static_selectorELNS0_4arch9wavefront6targetE1EEEvT1_
	.globl	_ZN7rocprim17ROCPRIM_400000_NS6detail17trampoline_kernelINS0_14default_configENS1_29reduce_by_key_config_selectorIjtN6thrust23THRUST_200600_302600_NS4plusItEEEEZZNS1_33reduce_by_key_impl_wrapped_configILNS1_25lookback_scan_determinismE0ES3_S9_NS6_6detail15normal_iteratorINS6_10device_ptrIjEEEENSD_INSE_ItEEEENS6_16discard_iteratorINS6_11use_defaultEEESI_PmS8_NS6_8equal_toIjEEEE10hipError_tPvRmT2_T3_mT4_T5_T6_T7_T8_P12ihipStream_tbENKUlT_T0_E_clISt17integral_constantIbLb1EES15_IbLb0EEEEDaS11_S12_EUlS11_E_NS1_11comp_targetILNS1_3genE0ELNS1_11target_archE4294967295ELNS1_3gpuE0ELNS1_3repE0EEENS1_30default_config_static_selectorELNS0_4arch9wavefront6targetE1EEEvT1_
	.p2align	8
	.type	_ZN7rocprim17ROCPRIM_400000_NS6detail17trampoline_kernelINS0_14default_configENS1_29reduce_by_key_config_selectorIjtN6thrust23THRUST_200600_302600_NS4plusItEEEEZZNS1_33reduce_by_key_impl_wrapped_configILNS1_25lookback_scan_determinismE0ES3_S9_NS6_6detail15normal_iteratorINS6_10device_ptrIjEEEENSD_INSE_ItEEEENS6_16discard_iteratorINS6_11use_defaultEEESI_PmS8_NS6_8equal_toIjEEEE10hipError_tPvRmT2_T3_mT4_T5_T6_T7_T8_P12ihipStream_tbENKUlT_T0_E_clISt17integral_constantIbLb1EES15_IbLb0EEEEDaS11_S12_EUlS11_E_NS1_11comp_targetILNS1_3genE0ELNS1_11target_archE4294967295ELNS1_3gpuE0ELNS1_3repE0EEENS1_30default_config_static_selectorELNS0_4arch9wavefront6targetE1EEEvT1_,@function
_ZN7rocprim17ROCPRIM_400000_NS6detail17trampoline_kernelINS0_14default_configENS1_29reduce_by_key_config_selectorIjtN6thrust23THRUST_200600_302600_NS4plusItEEEEZZNS1_33reduce_by_key_impl_wrapped_configILNS1_25lookback_scan_determinismE0ES3_S9_NS6_6detail15normal_iteratorINS6_10device_ptrIjEEEENSD_INSE_ItEEEENS6_16discard_iteratorINS6_11use_defaultEEESI_PmS8_NS6_8equal_toIjEEEE10hipError_tPvRmT2_T3_mT4_T5_T6_T7_T8_P12ihipStream_tbENKUlT_T0_E_clISt17integral_constantIbLb1EES15_IbLb0EEEEDaS11_S12_EUlS11_E_NS1_11comp_targetILNS1_3genE0ELNS1_11target_archE4294967295ELNS1_3gpuE0ELNS1_3repE0EEENS1_30default_config_static_selectorELNS0_4arch9wavefront6targetE1EEEvT1_: ; @_ZN7rocprim17ROCPRIM_400000_NS6detail17trampoline_kernelINS0_14default_configENS1_29reduce_by_key_config_selectorIjtN6thrust23THRUST_200600_302600_NS4plusItEEEEZZNS1_33reduce_by_key_impl_wrapped_configILNS1_25lookback_scan_determinismE0ES3_S9_NS6_6detail15normal_iteratorINS6_10device_ptrIjEEEENSD_INSE_ItEEEENS6_16discard_iteratorINS6_11use_defaultEEESI_PmS8_NS6_8equal_toIjEEEE10hipError_tPvRmT2_T3_mT4_T5_T6_T7_T8_P12ihipStream_tbENKUlT_T0_E_clISt17integral_constantIbLb1EES15_IbLb0EEEEDaS11_S12_EUlS11_E_NS1_11comp_targetILNS1_3genE0ELNS1_11target_archE4294967295ELNS1_3gpuE0ELNS1_3repE0EEENS1_30default_config_static_selectorELNS0_4arch9wavefront6targetE1EEEvT1_
; %bb.0:
	.section	.rodata,"a",@progbits
	.p2align	6, 0x0
	.amdhsa_kernel _ZN7rocprim17ROCPRIM_400000_NS6detail17trampoline_kernelINS0_14default_configENS1_29reduce_by_key_config_selectorIjtN6thrust23THRUST_200600_302600_NS4plusItEEEEZZNS1_33reduce_by_key_impl_wrapped_configILNS1_25lookback_scan_determinismE0ES3_S9_NS6_6detail15normal_iteratorINS6_10device_ptrIjEEEENSD_INSE_ItEEEENS6_16discard_iteratorINS6_11use_defaultEEESI_PmS8_NS6_8equal_toIjEEEE10hipError_tPvRmT2_T3_mT4_T5_T6_T7_T8_P12ihipStream_tbENKUlT_T0_E_clISt17integral_constantIbLb1EES15_IbLb0EEEEDaS11_S12_EUlS11_E_NS1_11comp_targetILNS1_3genE0ELNS1_11target_archE4294967295ELNS1_3gpuE0ELNS1_3repE0EEENS1_30default_config_static_selectorELNS0_4arch9wavefront6targetE1EEEvT1_
		.amdhsa_group_segment_fixed_size 0
		.amdhsa_private_segment_fixed_size 0
		.amdhsa_kernarg_size 128
		.amdhsa_user_sgpr_count 6
		.amdhsa_user_sgpr_private_segment_buffer 1
		.amdhsa_user_sgpr_dispatch_ptr 0
		.amdhsa_user_sgpr_queue_ptr 0
		.amdhsa_user_sgpr_kernarg_segment_ptr 1
		.amdhsa_user_sgpr_dispatch_id 0
		.amdhsa_user_sgpr_flat_scratch_init 0
		.amdhsa_user_sgpr_kernarg_preload_length 0
		.amdhsa_user_sgpr_kernarg_preload_offset 0
		.amdhsa_user_sgpr_private_segment_size 0
		.amdhsa_uses_dynamic_stack 0
		.amdhsa_system_sgpr_private_segment_wavefront_offset 0
		.amdhsa_system_sgpr_workgroup_id_x 1
		.amdhsa_system_sgpr_workgroup_id_y 0
		.amdhsa_system_sgpr_workgroup_id_z 0
		.amdhsa_system_sgpr_workgroup_info 0
		.amdhsa_system_vgpr_workitem_id 0
		.amdhsa_next_free_vgpr 1
		.amdhsa_next_free_sgpr 0
		.amdhsa_accum_offset 4
		.amdhsa_reserve_vcc 0
		.amdhsa_reserve_flat_scratch 0
		.amdhsa_float_round_mode_32 0
		.amdhsa_float_round_mode_16_64 0
		.amdhsa_float_denorm_mode_32 3
		.amdhsa_float_denorm_mode_16_64 3
		.amdhsa_dx10_clamp 1
		.amdhsa_ieee_mode 1
		.amdhsa_fp16_overflow 0
		.amdhsa_tg_split 0
		.amdhsa_exception_fp_ieee_invalid_op 0
		.amdhsa_exception_fp_denorm_src 0
		.amdhsa_exception_fp_ieee_div_zero 0
		.amdhsa_exception_fp_ieee_overflow 0
		.amdhsa_exception_fp_ieee_underflow 0
		.amdhsa_exception_fp_ieee_inexact 0
		.amdhsa_exception_int_div_zero 0
	.end_amdhsa_kernel
	.section	.text._ZN7rocprim17ROCPRIM_400000_NS6detail17trampoline_kernelINS0_14default_configENS1_29reduce_by_key_config_selectorIjtN6thrust23THRUST_200600_302600_NS4plusItEEEEZZNS1_33reduce_by_key_impl_wrapped_configILNS1_25lookback_scan_determinismE0ES3_S9_NS6_6detail15normal_iteratorINS6_10device_ptrIjEEEENSD_INSE_ItEEEENS6_16discard_iteratorINS6_11use_defaultEEESI_PmS8_NS6_8equal_toIjEEEE10hipError_tPvRmT2_T3_mT4_T5_T6_T7_T8_P12ihipStream_tbENKUlT_T0_E_clISt17integral_constantIbLb1EES15_IbLb0EEEEDaS11_S12_EUlS11_E_NS1_11comp_targetILNS1_3genE0ELNS1_11target_archE4294967295ELNS1_3gpuE0ELNS1_3repE0EEENS1_30default_config_static_selectorELNS0_4arch9wavefront6targetE1EEEvT1_,"axG",@progbits,_ZN7rocprim17ROCPRIM_400000_NS6detail17trampoline_kernelINS0_14default_configENS1_29reduce_by_key_config_selectorIjtN6thrust23THRUST_200600_302600_NS4plusItEEEEZZNS1_33reduce_by_key_impl_wrapped_configILNS1_25lookback_scan_determinismE0ES3_S9_NS6_6detail15normal_iteratorINS6_10device_ptrIjEEEENSD_INSE_ItEEEENS6_16discard_iteratorINS6_11use_defaultEEESI_PmS8_NS6_8equal_toIjEEEE10hipError_tPvRmT2_T3_mT4_T5_T6_T7_T8_P12ihipStream_tbENKUlT_T0_E_clISt17integral_constantIbLb1EES15_IbLb0EEEEDaS11_S12_EUlS11_E_NS1_11comp_targetILNS1_3genE0ELNS1_11target_archE4294967295ELNS1_3gpuE0ELNS1_3repE0EEENS1_30default_config_static_selectorELNS0_4arch9wavefront6targetE1EEEvT1_,comdat
.Lfunc_end967:
	.size	_ZN7rocprim17ROCPRIM_400000_NS6detail17trampoline_kernelINS0_14default_configENS1_29reduce_by_key_config_selectorIjtN6thrust23THRUST_200600_302600_NS4plusItEEEEZZNS1_33reduce_by_key_impl_wrapped_configILNS1_25lookback_scan_determinismE0ES3_S9_NS6_6detail15normal_iteratorINS6_10device_ptrIjEEEENSD_INSE_ItEEEENS6_16discard_iteratorINS6_11use_defaultEEESI_PmS8_NS6_8equal_toIjEEEE10hipError_tPvRmT2_T3_mT4_T5_T6_T7_T8_P12ihipStream_tbENKUlT_T0_E_clISt17integral_constantIbLb1EES15_IbLb0EEEEDaS11_S12_EUlS11_E_NS1_11comp_targetILNS1_3genE0ELNS1_11target_archE4294967295ELNS1_3gpuE0ELNS1_3repE0EEENS1_30default_config_static_selectorELNS0_4arch9wavefront6targetE1EEEvT1_, .Lfunc_end967-_ZN7rocprim17ROCPRIM_400000_NS6detail17trampoline_kernelINS0_14default_configENS1_29reduce_by_key_config_selectorIjtN6thrust23THRUST_200600_302600_NS4plusItEEEEZZNS1_33reduce_by_key_impl_wrapped_configILNS1_25lookback_scan_determinismE0ES3_S9_NS6_6detail15normal_iteratorINS6_10device_ptrIjEEEENSD_INSE_ItEEEENS6_16discard_iteratorINS6_11use_defaultEEESI_PmS8_NS6_8equal_toIjEEEE10hipError_tPvRmT2_T3_mT4_T5_T6_T7_T8_P12ihipStream_tbENKUlT_T0_E_clISt17integral_constantIbLb1EES15_IbLb0EEEEDaS11_S12_EUlS11_E_NS1_11comp_targetILNS1_3genE0ELNS1_11target_archE4294967295ELNS1_3gpuE0ELNS1_3repE0EEENS1_30default_config_static_selectorELNS0_4arch9wavefront6targetE1EEEvT1_
                                        ; -- End function
	.section	.AMDGPU.csdata,"",@progbits
; Kernel info:
; codeLenInByte = 0
; NumSgprs: 4
; NumVgprs: 0
; NumAgprs: 0
; TotalNumVgprs: 0
; ScratchSize: 0
; MemoryBound: 0
; FloatMode: 240
; IeeeMode: 1
; LDSByteSize: 0 bytes/workgroup (compile time only)
; SGPRBlocks: 0
; VGPRBlocks: 0
; NumSGPRsForWavesPerEU: 4
; NumVGPRsForWavesPerEU: 1
; AccumOffset: 4
; Occupancy: 8
; WaveLimiterHint : 0
; COMPUTE_PGM_RSRC2:SCRATCH_EN: 0
; COMPUTE_PGM_RSRC2:USER_SGPR: 6
; COMPUTE_PGM_RSRC2:TRAP_HANDLER: 0
; COMPUTE_PGM_RSRC2:TGID_X_EN: 1
; COMPUTE_PGM_RSRC2:TGID_Y_EN: 0
; COMPUTE_PGM_RSRC2:TGID_Z_EN: 0
; COMPUTE_PGM_RSRC2:TIDIG_COMP_CNT: 0
; COMPUTE_PGM_RSRC3_GFX90A:ACCUM_OFFSET: 0
; COMPUTE_PGM_RSRC3_GFX90A:TG_SPLIT: 0
	.section	.text._ZN7rocprim17ROCPRIM_400000_NS6detail17trampoline_kernelINS0_14default_configENS1_29reduce_by_key_config_selectorIjtN6thrust23THRUST_200600_302600_NS4plusItEEEEZZNS1_33reduce_by_key_impl_wrapped_configILNS1_25lookback_scan_determinismE0ES3_S9_NS6_6detail15normal_iteratorINS6_10device_ptrIjEEEENSD_INSE_ItEEEENS6_16discard_iteratorINS6_11use_defaultEEESI_PmS8_NS6_8equal_toIjEEEE10hipError_tPvRmT2_T3_mT4_T5_T6_T7_T8_P12ihipStream_tbENKUlT_T0_E_clISt17integral_constantIbLb1EES15_IbLb0EEEEDaS11_S12_EUlS11_E_NS1_11comp_targetILNS1_3genE5ELNS1_11target_archE942ELNS1_3gpuE9ELNS1_3repE0EEENS1_30default_config_static_selectorELNS0_4arch9wavefront6targetE1EEEvT1_,"axG",@progbits,_ZN7rocprim17ROCPRIM_400000_NS6detail17trampoline_kernelINS0_14default_configENS1_29reduce_by_key_config_selectorIjtN6thrust23THRUST_200600_302600_NS4plusItEEEEZZNS1_33reduce_by_key_impl_wrapped_configILNS1_25lookback_scan_determinismE0ES3_S9_NS6_6detail15normal_iteratorINS6_10device_ptrIjEEEENSD_INSE_ItEEEENS6_16discard_iteratorINS6_11use_defaultEEESI_PmS8_NS6_8equal_toIjEEEE10hipError_tPvRmT2_T3_mT4_T5_T6_T7_T8_P12ihipStream_tbENKUlT_T0_E_clISt17integral_constantIbLb1EES15_IbLb0EEEEDaS11_S12_EUlS11_E_NS1_11comp_targetILNS1_3genE5ELNS1_11target_archE942ELNS1_3gpuE9ELNS1_3repE0EEENS1_30default_config_static_selectorELNS0_4arch9wavefront6targetE1EEEvT1_,comdat
	.protected	_ZN7rocprim17ROCPRIM_400000_NS6detail17trampoline_kernelINS0_14default_configENS1_29reduce_by_key_config_selectorIjtN6thrust23THRUST_200600_302600_NS4plusItEEEEZZNS1_33reduce_by_key_impl_wrapped_configILNS1_25lookback_scan_determinismE0ES3_S9_NS6_6detail15normal_iteratorINS6_10device_ptrIjEEEENSD_INSE_ItEEEENS6_16discard_iteratorINS6_11use_defaultEEESI_PmS8_NS6_8equal_toIjEEEE10hipError_tPvRmT2_T3_mT4_T5_T6_T7_T8_P12ihipStream_tbENKUlT_T0_E_clISt17integral_constantIbLb1EES15_IbLb0EEEEDaS11_S12_EUlS11_E_NS1_11comp_targetILNS1_3genE5ELNS1_11target_archE942ELNS1_3gpuE9ELNS1_3repE0EEENS1_30default_config_static_selectorELNS0_4arch9wavefront6targetE1EEEvT1_ ; -- Begin function _ZN7rocprim17ROCPRIM_400000_NS6detail17trampoline_kernelINS0_14default_configENS1_29reduce_by_key_config_selectorIjtN6thrust23THRUST_200600_302600_NS4plusItEEEEZZNS1_33reduce_by_key_impl_wrapped_configILNS1_25lookback_scan_determinismE0ES3_S9_NS6_6detail15normal_iteratorINS6_10device_ptrIjEEEENSD_INSE_ItEEEENS6_16discard_iteratorINS6_11use_defaultEEESI_PmS8_NS6_8equal_toIjEEEE10hipError_tPvRmT2_T3_mT4_T5_T6_T7_T8_P12ihipStream_tbENKUlT_T0_E_clISt17integral_constantIbLb1EES15_IbLb0EEEEDaS11_S12_EUlS11_E_NS1_11comp_targetILNS1_3genE5ELNS1_11target_archE942ELNS1_3gpuE9ELNS1_3repE0EEENS1_30default_config_static_selectorELNS0_4arch9wavefront6targetE1EEEvT1_
	.globl	_ZN7rocprim17ROCPRIM_400000_NS6detail17trampoline_kernelINS0_14default_configENS1_29reduce_by_key_config_selectorIjtN6thrust23THRUST_200600_302600_NS4plusItEEEEZZNS1_33reduce_by_key_impl_wrapped_configILNS1_25lookback_scan_determinismE0ES3_S9_NS6_6detail15normal_iteratorINS6_10device_ptrIjEEEENSD_INSE_ItEEEENS6_16discard_iteratorINS6_11use_defaultEEESI_PmS8_NS6_8equal_toIjEEEE10hipError_tPvRmT2_T3_mT4_T5_T6_T7_T8_P12ihipStream_tbENKUlT_T0_E_clISt17integral_constantIbLb1EES15_IbLb0EEEEDaS11_S12_EUlS11_E_NS1_11comp_targetILNS1_3genE5ELNS1_11target_archE942ELNS1_3gpuE9ELNS1_3repE0EEENS1_30default_config_static_selectorELNS0_4arch9wavefront6targetE1EEEvT1_
	.p2align	8
	.type	_ZN7rocprim17ROCPRIM_400000_NS6detail17trampoline_kernelINS0_14default_configENS1_29reduce_by_key_config_selectorIjtN6thrust23THRUST_200600_302600_NS4plusItEEEEZZNS1_33reduce_by_key_impl_wrapped_configILNS1_25lookback_scan_determinismE0ES3_S9_NS6_6detail15normal_iteratorINS6_10device_ptrIjEEEENSD_INSE_ItEEEENS6_16discard_iteratorINS6_11use_defaultEEESI_PmS8_NS6_8equal_toIjEEEE10hipError_tPvRmT2_T3_mT4_T5_T6_T7_T8_P12ihipStream_tbENKUlT_T0_E_clISt17integral_constantIbLb1EES15_IbLb0EEEEDaS11_S12_EUlS11_E_NS1_11comp_targetILNS1_3genE5ELNS1_11target_archE942ELNS1_3gpuE9ELNS1_3repE0EEENS1_30default_config_static_selectorELNS0_4arch9wavefront6targetE1EEEvT1_,@function
_ZN7rocprim17ROCPRIM_400000_NS6detail17trampoline_kernelINS0_14default_configENS1_29reduce_by_key_config_selectorIjtN6thrust23THRUST_200600_302600_NS4plusItEEEEZZNS1_33reduce_by_key_impl_wrapped_configILNS1_25lookback_scan_determinismE0ES3_S9_NS6_6detail15normal_iteratorINS6_10device_ptrIjEEEENSD_INSE_ItEEEENS6_16discard_iteratorINS6_11use_defaultEEESI_PmS8_NS6_8equal_toIjEEEE10hipError_tPvRmT2_T3_mT4_T5_T6_T7_T8_P12ihipStream_tbENKUlT_T0_E_clISt17integral_constantIbLb1EES15_IbLb0EEEEDaS11_S12_EUlS11_E_NS1_11comp_targetILNS1_3genE5ELNS1_11target_archE942ELNS1_3gpuE9ELNS1_3repE0EEENS1_30default_config_static_selectorELNS0_4arch9wavefront6targetE1EEEvT1_: ; @_ZN7rocprim17ROCPRIM_400000_NS6detail17trampoline_kernelINS0_14default_configENS1_29reduce_by_key_config_selectorIjtN6thrust23THRUST_200600_302600_NS4plusItEEEEZZNS1_33reduce_by_key_impl_wrapped_configILNS1_25lookback_scan_determinismE0ES3_S9_NS6_6detail15normal_iteratorINS6_10device_ptrIjEEEENSD_INSE_ItEEEENS6_16discard_iteratorINS6_11use_defaultEEESI_PmS8_NS6_8equal_toIjEEEE10hipError_tPvRmT2_T3_mT4_T5_T6_T7_T8_P12ihipStream_tbENKUlT_T0_E_clISt17integral_constantIbLb1EES15_IbLb0EEEEDaS11_S12_EUlS11_E_NS1_11comp_targetILNS1_3genE5ELNS1_11target_archE942ELNS1_3gpuE9ELNS1_3repE0EEENS1_30default_config_static_selectorELNS0_4arch9wavefront6targetE1EEEvT1_
; %bb.0:
	.section	.rodata,"a",@progbits
	.p2align	6, 0x0
	.amdhsa_kernel _ZN7rocprim17ROCPRIM_400000_NS6detail17trampoline_kernelINS0_14default_configENS1_29reduce_by_key_config_selectorIjtN6thrust23THRUST_200600_302600_NS4plusItEEEEZZNS1_33reduce_by_key_impl_wrapped_configILNS1_25lookback_scan_determinismE0ES3_S9_NS6_6detail15normal_iteratorINS6_10device_ptrIjEEEENSD_INSE_ItEEEENS6_16discard_iteratorINS6_11use_defaultEEESI_PmS8_NS6_8equal_toIjEEEE10hipError_tPvRmT2_T3_mT4_T5_T6_T7_T8_P12ihipStream_tbENKUlT_T0_E_clISt17integral_constantIbLb1EES15_IbLb0EEEEDaS11_S12_EUlS11_E_NS1_11comp_targetILNS1_3genE5ELNS1_11target_archE942ELNS1_3gpuE9ELNS1_3repE0EEENS1_30default_config_static_selectorELNS0_4arch9wavefront6targetE1EEEvT1_
		.amdhsa_group_segment_fixed_size 0
		.amdhsa_private_segment_fixed_size 0
		.amdhsa_kernarg_size 128
		.amdhsa_user_sgpr_count 6
		.amdhsa_user_sgpr_private_segment_buffer 1
		.amdhsa_user_sgpr_dispatch_ptr 0
		.amdhsa_user_sgpr_queue_ptr 0
		.amdhsa_user_sgpr_kernarg_segment_ptr 1
		.amdhsa_user_sgpr_dispatch_id 0
		.amdhsa_user_sgpr_flat_scratch_init 0
		.amdhsa_user_sgpr_kernarg_preload_length 0
		.amdhsa_user_sgpr_kernarg_preload_offset 0
		.amdhsa_user_sgpr_private_segment_size 0
		.amdhsa_uses_dynamic_stack 0
		.amdhsa_system_sgpr_private_segment_wavefront_offset 0
		.amdhsa_system_sgpr_workgroup_id_x 1
		.amdhsa_system_sgpr_workgroup_id_y 0
		.amdhsa_system_sgpr_workgroup_id_z 0
		.amdhsa_system_sgpr_workgroup_info 0
		.amdhsa_system_vgpr_workitem_id 0
		.amdhsa_next_free_vgpr 1
		.amdhsa_next_free_sgpr 0
		.amdhsa_accum_offset 4
		.amdhsa_reserve_vcc 0
		.amdhsa_reserve_flat_scratch 0
		.amdhsa_float_round_mode_32 0
		.amdhsa_float_round_mode_16_64 0
		.amdhsa_float_denorm_mode_32 3
		.amdhsa_float_denorm_mode_16_64 3
		.amdhsa_dx10_clamp 1
		.amdhsa_ieee_mode 1
		.amdhsa_fp16_overflow 0
		.amdhsa_tg_split 0
		.amdhsa_exception_fp_ieee_invalid_op 0
		.amdhsa_exception_fp_denorm_src 0
		.amdhsa_exception_fp_ieee_div_zero 0
		.amdhsa_exception_fp_ieee_overflow 0
		.amdhsa_exception_fp_ieee_underflow 0
		.amdhsa_exception_fp_ieee_inexact 0
		.amdhsa_exception_int_div_zero 0
	.end_amdhsa_kernel
	.section	.text._ZN7rocprim17ROCPRIM_400000_NS6detail17trampoline_kernelINS0_14default_configENS1_29reduce_by_key_config_selectorIjtN6thrust23THRUST_200600_302600_NS4plusItEEEEZZNS1_33reduce_by_key_impl_wrapped_configILNS1_25lookback_scan_determinismE0ES3_S9_NS6_6detail15normal_iteratorINS6_10device_ptrIjEEEENSD_INSE_ItEEEENS6_16discard_iteratorINS6_11use_defaultEEESI_PmS8_NS6_8equal_toIjEEEE10hipError_tPvRmT2_T3_mT4_T5_T6_T7_T8_P12ihipStream_tbENKUlT_T0_E_clISt17integral_constantIbLb1EES15_IbLb0EEEEDaS11_S12_EUlS11_E_NS1_11comp_targetILNS1_3genE5ELNS1_11target_archE942ELNS1_3gpuE9ELNS1_3repE0EEENS1_30default_config_static_selectorELNS0_4arch9wavefront6targetE1EEEvT1_,"axG",@progbits,_ZN7rocprim17ROCPRIM_400000_NS6detail17trampoline_kernelINS0_14default_configENS1_29reduce_by_key_config_selectorIjtN6thrust23THRUST_200600_302600_NS4plusItEEEEZZNS1_33reduce_by_key_impl_wrapped_configILNS1_25lookback_scan_determinismE0ES3_S9_NS6_6detail15normal_iteratorINS6_10device_ptrIjEEEENSD_INSE_ItEEEENS6_16discard_iteratorINS6_11use_defaultEEESI_PmS8_NS6_8equal_toIjEEEE10hipError_tPvRmT2_T3_mT4_T5_T6_T7_T8_P12ihipStream_tbENKUlT_T0_E_clISt17integral_constantIbLb1EES15_IbLb0EEEEDaS11_S12_EUlS11_E_NS1_11comp_targetILNS1_3genE5ELNS1_11target_archE942ELNS1_3gpuE9ELNS1_3repE0EEENS1_30default_config_static_selectorELNS0_4arch9wavefront6targetE1EEEvT1_,comdat
.Lfunc_end968:
	.size	_ZN7rocprim17ROCPRIM_400000_NS6detail17trampoline_kernelINS0_14default_configENS1_29reduce_by_key_config_selectorIjtN6thrust23THRUST_200600_302600_NS4plusItEEEEZZNS1_33reduce_by_key_impl_wrapped_configILNS1_25lookback_scan_determinismE0ES3_S9_NS6_6detail15normal_iteratorINS6_10device_ptrIjEEEENSD_INSE_ItEEEENS6_16discard_iteratorINS6_11use_defaultEEESI_PmS8_NS6_8equal_toIjEEEE10hipError_tPvRmT2_T3_mT4_T5_T6_T7_T8_P12ihipStream_tbENKUlT_T0_E_clISt17integral_constantIbLb1EES15_IbLb0EEEEDaS11_S12_EUlS11_E_NS1_11comp_targetILNS1_3genE5ELNS1_11target_archE942ELNS1_3gpuE9ELNS1_3repE0EEENS1_30default_config_static_selectorELNS0_4arch9wavefront6targetE1EEEvT1_, .Lfunc_end968-_ZN7rocprim17ROCPRIM_400000_NS6detail17trampoline_kernelINS0_14default_configENS1_29reduce_by_key_config_selectorIjtN6thrust23THRUST_200600_302600_NS4plusItEEEEZZNS1_33reduce_by_key_impl_wrapped_configILNS1_25lookback_scan_determinismE0ES3_S9_NS6_6detail15normal_iteratorINS6_10device_ptrIjEEEENSD_INSE_ItEEEENS6_16discard_iteratorINS6_11use_defaultEEESI_PmS8_NS6_8equal_toIjEEEE10hipError_tPvRmT2_T3_mT4_T5_T6_T7_T8_P12ihipStream_tbENKUlT_T0_E_clISt17integral_constantIbLb1EES15_IbLb0EEEEDaS11_S12_EUlS11_E_NS1_11comp_targetILNS1_3genE5ELNS1_11target_archE942ELNS1_3gpuE9ELNS1_3repE0EEENS1_30default_config_static_selectorELNS0_4arch9wavefront6targetE1EEEvT1_
                                        ; -- End function
	.section	.AMDGPU.csdata,"",@progbits
; Kernel info:
; codeLenInByte = 0
; NumSgprs: 4
; NumVgprs: 0
; NumAgprs: 0
; TotalNumVgprs: 0
; ScratchSize: 0
; MemoryBound: 0
; FloatMode: 240
; IeeeMode: 1
; LDSByteSize: 0 bytes/workgroup (compile time only)
; SGPRBlocks: 0
; VGPRBlocks: 0
; NumSGPRsForWavesPerEU: 4
; NumVGPRsForWavesPerEU: 1
; AccumOffset: 4
; Occupancy: 8
; WaveLimiterHint : 0
; COMPUTE_PGM_RSRC2:SCRATCH_EN: 0
; COMPUTE_PGM_RSRC2:USER_SGPR: 6
; COMPUTE_PGM_RSRC2:TRAP_HANDLER: 0
; COMPUTE_PGM_RSRC2:TGID_X_EN: 1
; COMPUTE_PGM_RSRC2:TGID_Y_EN: 0
; COMPUTE_PGM_RSRC2:TGID_Z_EN: 0
; COMPUTE_PGM_RSRC2:TIDIG_COMP_CNT: 0
; COMPUTE_PGM_RSRC3_GFX90A:ACCUM_OFFSET: 0
; COMPUTE_PGM_RSRC3_GFX90A:TG_SPLIT: 0
	.section	.text._ZN7rocprim17ROCPRIM_400000_NS6detail17trampoline_kernelINS0_14default_configENS1_29reduce_by_key_config_selectorIjtN6thrust23THRUST_200600_302600_NS4plusItEEEEZZNS1_33reduce_by_key_impl_wrapped_configILNS1_25lookback_scan_determinismE0ES3_S9_NS6_6detail15normal_iteratorINS6_10device_ptrIjEEEENSD_INSE_ItEEEENS6_16discard_iteratorINS6_11use_defaultEEESI_PmS8_NS6_8equal_toIjEEEE10hipError_tPvRmT2_T3_mT4_T5_T6_T7_T8_P12ihipStream_tbENKUlT_T0_E_clISt17integral_constantIbLb1EES15_IbLb0EEEEDaS11_S12_EUlS11_E_NS1_11comp_targetILNS1_3genE4ELNS1_11target_archE910ELNS1_3gpuE8ELNS1_3repE0EEENS1_30default_config_static_selectorELNS0_4arch9wavefront6targetE1EEEvT1_,"axG",@progbits,_ZN7rocprim17ROCPRIM_400000_NS6detail17trampoline_kernelINS0_14default_configENS1_29reduce_by_key_config_selectorIjtN6thrust23THRUST_200600_302600_NS4plusItEEEEZZNS1_33reduce_by_key_impl_wrapped_configILNS1_25lookback_scan_determinismE0ES3_S9_NS6_6detail15normal_iteratorINS6_10device_ptrIjEEEENSD_INSE_ItEEEENS6_16discard_iteratorINS6_11use_defaultEEESI_PmS8_NS6_8equal_toIjEEEE10hipError_tPvRmT2_T3_mT4_T5_T6_T7_T8_P12ihipStream_tbENKUlT_T0_E_clISt17integral_constantIbLb1EES15_IbLb0EEEEDaS11_S12_EUlS11_E_NS1_11comp_targetILNS1_3genE4ELNS1_11target_archE910ELNS1_3gpuE8ELNS1_3repE0EEENS1_30default_config_static_selectorELNS0_4arch9wavefront6targetE1EEEvT1_,comdat
	.protected	_ZN7rocprim17ROCPRIM_400000_NS6detail17trampoline_kernelINS0_14default_configENS1_29reduce_by_key_config_selectorIjtN6thrust23THRUST_200600_302600_NS4plusItEEEEZZNS1_33reduce_by_key_impl_wrapped_configILNS1_25lookback_scan_determinismE0ES3_S9_NS6_6detail15normal_iteratorINS6_10device_ptrIjEEEENSD_INSE_ItEEEENS6_16discard_iteratorINS6_11use_defaultEEESI_PmS8_NS6_8equal_toIjEEEE10hipError_tPvRmT2_T3_mT4_T5_T6_T7_T8_P12ihipStream_tbENKUlT_T0_E_clISt17integral_constantIbLb1EES15_IbLb0EEEEDaS11_S12_EUlS11_E_NS1_11comp_targetILNS1_3genE4ELNS1_11target_archE910ELNS1_3gpuE8ELNS1_3repE0EEENS1_30default_config_static_selectorELNS0_4arch9wavefront6targetE1EEEvT1_ ; -- Begin function _ZN7rocprim17ROCPRIM_400000_NS6detail17trampoline_kernelINS0_14default_configENS1_29reduce_by_key_config_selectorIjtN6thrust23THRUST_200600_302600_NS4plusItEEEEZZNS1_33reduce_by_key_impl_wrapped_configILNS1_25lookback_scan_determinismE0ES3_S9_NS6_6detail15normal_iteratorINS6_10device_ptrIjEEEENSD_INSE_ItEEEENS6_16discard_iteratorINS6_11use_defaultEEESI_PmS8_NS6_8equal_toIjEEEE10hipError_tPvRmT2_T3_mT4_T5_T6_T7_T8_P12ihipStream_tbENKUlT_T0_E_clISt17integral_constantIbLb1EES15_IbLb0EEEEDaS11_S12_EUlS11_E_NS1_11comp_targetILNS1_3genE4ELNS1_11target_archE910ELNS1_3gpuE8ELNS1_3repE0EEENS1_30default_config_static_selectorELNS0_4arch9wavefront6targetE1EEEvT1_
	.globl	_ZN7rocprim17ROCPRIM_400000_NS6detail17trampoline_kernelINS0_14default_configENS1_29reduce_by_key_config_selectorIjtN6thrust23THRUST_200600_302600_NS4plusItEEEEZZNS1_33reduce_by_key_impl_wrapped_configILNS1_25lookback_scan_determinismE0ES3_S9_NS6_6detail15normal_iteratorINS6_10device_ptrIjEEEENSD_INSE_ItEEEENS6_16discard_iteratorINS6_11use_defaultEEESI_PmS8_NS6_8equal_toIjEEEE10hipError_tPvRmT2_T3_mT4_T5_T6_T7_T8_P12ihipStream_tbENKUlT_T0_E_clISt17integral_constantIbLb1EES15_IbLb0EEEEDaS11_S12_EUlS11_E_NS1_11comp_targetILNS1_3genE4ELNS1_11target_archE910ELNS1_3gpuE8ELNS1_3repE0EEENS1_30default_config_static_selectorELNS0_4arch9wavefront6targetE1EEEvT1_
	.p2align	8
	.type	_ZN7rocprim17ROCPRIM_400000_NS6detail17trampoline_kernelINS0_14default_configENS1_29reduce_by_key_config_selectorIjtN6thrust23THRUST_200600_302600_NS4plusItEEEEZZNS1_33reduce_by_key_impl_wrapped_configILNS1_25lookback_scan_determinismE0ES3_S9_NS6_6detail15normal_iteratorINS6_10device_ptrIjEEEENSD_INSE_ItEEEENS6_16discard_iteratorINS6_11use_defaultEEESI_PmS8_NS6_8equal_toIjEEEE10hipError_tPvRmT2_T3_mT4_T5_T6_T7_T8_P12ihipStream_tbENKUlT_T0_E_clISt17integral_constantIbLb1EES15_IbLb0EEEEDaS11_S12_EUlS11_E_NS1_11comp_targetILNS1_3genE4ELNS1_11target_archE910ELNS1_3gpuE8ELNS1_3repE0EEENS1_30default_config_static_selectorELNS0_4arch9wavefront6targetE1EEEvT1_,@function
_ZN7rocprim17ROCPRIM_400000_NS6detail17trampoline_kernelINS0_14default_configENS1_29reduce_by_key_config_selectorIjtN6thrust23THRUST_200600_302600_NS4plusItEEEEZZNS1_33reduce_by_key_impl_wrapped_configILNS1_25lookback_scan_determinismE0ES3_S9_NS6_6detail15normal_iteratorINS6_10device_ptrIjEEEENSD_INSE_ItEEEENS6_16discard_iteratorINS6_11use_defaultEEESI_PmS8_NS6_8equal_toIjEEEE10hipError_tPvRmT2_T3_mT4_T5_T6_T7_T8_P12ihipStream_tbENKUlT_T0_E_clISt17integral_constantIbLb1EES15_IbLb0EEEEDaS11_S12_EUlS11_E_NS1_11comp_targetILNS1_3genE4ELNS1_11target_archE910ELNS1_3gpuE8ELNS1_3repE0EEENS1_30default_config_static_selectorELNS0_4arch9wavefront6targetE1EEEvT1_: ; @_ZN7rocprim17ROCPRIM_400000_NS6detail17trampoline_kernelINS0_14default_configENS1_29reduce_by_key_config_selectorIjtN6thrust23THRUST_200600_302600_NS4plusItEEEEZZNS1_33reduce_by_key_impl_wrapped_configILNS1_25lookback_scan_determinismE0ES3_S9_NS6_6detail15normal_iteratorINS6_10device_ptrIjEEEENSD_INSE_ItEEEENS6_16discard_iteratorINS6_11use_defaultEEESI_PmS8_NS6_8equal_toIjEEEE10hipError_tPvRmT2_T3_mT4_T5_T6_T7_T8_P12ihipStream_tbENKUlT_T0_E_clISt17integral_constantIbLb1EES15_IbLb0EEEEDaS11_S12_EUlS11_E_NS1_11comp_targetILNS1_3genE4ELNS1_11target_archE910ELNS1_3gpuE8ELNS1_3repE0EEENS1_30default_config_static_selectorELNS0_4arch9wavefront6targetE1EEEvT1_
; %bb.0:
	s_load_dwordx4 s[0:3], s[4:5], 0x0
	s_load_dwordx2 s[8:9], s[4:5], 0x10
	s_load_dwordx2 s[50:51], s[4:5], 0x70
	s_load_dwordx4 s[44:47], s[4:5], 0x60
	s_load_dwordx8 s[36:43], s[4:5], 0x40
	s_waitcnt lgkmcnt(0)
	s_lshl_b64 s[10:11], s[2:3], 2
	s_add_u32 s7, s0, s10
	s_addc_u32 s10, s1, s11
	s_lshl_b64 s[0:1], s[2:3], 1
	s_add_u32 s8, s8, s0
	s_addc_u32 s9, s9, s1
	s_mul_i32 s0, s40, s39
	s_mul_hi_u32 s1, s40, s38
	s_add_i32 s0, s1, s0
	s_mul_i32 s1, s41, s38
	s_add_i32 s11, s0, s1
	s_mul_i32 s0, s6, 0xf00
	s_mov_b32 s1, 0
	s_lshl_b64 s[2:3], s[0:1], 2
	s_add_u32 s7, s7, s2
	s_addc_u32 s56, s10, s3
	s_lshl_b64 s[0:1], s[0:1], 1
	s_add_u32 s57, s8, s0
	s_mul_i32 s12, s40, s38
	s_addc_u32 s58, s9, s1
	s_add_u32 s52, s12, s6
	s_addc_u32 s53, s11, 0
	s_add_u32 s2, s42, -1
	s_addc_u32 s3, s43, -1
	s_cmp_eq_u64 s[52:53], s[2:3]
	s_cselect_b64 s[48:49], -1, 0
	s_cmp_lg_u64 s[52:53], s[2:3]
	s_mov_b64 s[0:1], -1
	s_cselect_b64 s[54:55], -1, 0
	s_mul_i32 s33, s2, 0xfffff100
	s_and_b64 vcc, exec, s[48:49]
	s_cbranch_vccnz .LBB969_2
; %bb.1:
	v_lshlrev_b32_e32 v1, 2, v0
	v_mov_b32_e32 v3, s56
	v_add_co_u32_e32 v2, vcc, s7, v1
	v_addc_co_u32_e32 v3, vcc, 0, v3, vcc
	v_add_co_u32_e32 v4, vcc, 0x1000, v2
	v_addc_co_u32_e32 v5, vcc, 0, v3, vcc
	flat_load_dword v6, v[2:3]
	flat_load_dword v7, v[2:3] offset:1024
	flat_load_dword v8, v[2:3] offset:2048
	;; [unrolled: 1-line block ×3, first 2 shown]
	flat_load_dword v10, v[4:5]
	flat_load_dword v11, v[4:5] offset:1024
	flat_load_dword v12, v[4:5] offset:2048
	flat_load_dword v13, v[4:5] offset:3072
	v_add_co_u32_e32 v4, vcc, 0x2000, v2
	v_addc_co_u32_e32 v5, vcc, 0, v3, vcc
	v_add_co_u32_e32 v2, vcc, 0x3000, v2
	v_addc_co_u32_e32 v3, vcc, 0, v3, vcc
	flat_load_dword v14, v[4:5]
	flat_load_dword v15, v[4:5] offset:1024
	flat_load_dword v16, v[4:5] offset:2048
	;; [unrolled: 1-line block ×3, first 2 shown]
	flat_load_dword v18, v[2:3]
	flat_load_dword v19, v[2:3] offset:1024
	flat_load_dword v20, v[2:3] offset:2048
	v_lshlrev_b32_e32 v2, 1, v0
	v_mov_b32_e32 v3, s58
	v_add_co_u32_e32 v2, vcc, s57, v2
	s_movk_i32 s0, 0x1000
	v_addc_co_u32_e32 v3, vcc, 0, v3, vcc
	v_mad_u32_u24 v39, v0, 56, v1
	v_add_co_u32_e32 v4, vcc, s0, v2
	v_addc_co_u32_e32 v5, vcc, 0, v3, vcc
	s_movk_i32 s0, 0xffc6
	v_mul_u32_u24_e32 v24, 15, v0
	v_mad_u32_u24 v38, v0, 15, 1
	v_mad_u32_u24 v34, v0, 15, 2
	;; [unrolled: 1-line block ×14, first 2 shown]
	s_waitcnt vmcnt(0) lgkmcnt(0)
	ds_write2st64_b32 v1, v6, v7 offset1:4
	ds_write2st64_b32 v1, v8, v9 offset0:8 offset1:12
	ds_write2st64_b32 v1, v10, v11 offset0:16 offset1:20
	ds_write2st64_b32 v1, v12, v13 offset0:24 offset1:28
	ds_write2st64_b32 v1, v14, v15 offset0:32 offset1:36
	ds_write2st64_b32 v1, v16, v17 offset0:40 offset1:44
	ds_write2st64_b32 v1, v18, v19 offset0:48 offset1:52
	ds_write_b32 v1, v20 offset:14336
	s_waitcnt lgkmcnt(0)
	s_barrier
	ds_read2_b32 v[22:23], v39 offset1:1
	ds_read2_b32 v[20:21], v39 offset0:2 offset1:3
	ds_read2_b32 v[18:19], v39 offset0:4 offset1:5
	ds_read2_b32 v[16:17], v39 offset0:6 offset1:7
	ds_read2_b32 v[14:15], v39 offset0:8 offset1:9
	ds_read2_b32 v[12:13], v39 offset0:10 offset1:11
	ds_read2_b32 v[10:11], v39 offset0:12 offset1:13
	ds_read_b32 v1, v39 offset:56
	s_waitcnt lgkmcnt(0)
	s_barrier
	flat_load_ushort v7, v[2:3]
	flat_load_ushort v40, v[2:3] offset:512
	flat_load_ushort v41, v[2:3] offset:1024
	;; [unrolled: 1-line block ×7, first 2 shown]
	flat_load_ushort v47, v[4:5]
	flat_load_ushort v48, v[4:5] offset:512
	flat_load_ushort v49, v[4:5] offset:1024
	;; [unrolled: 1-line block ×6, first 2 shown]
	v_mad_i32_i24 v39, v0, s0, v39
	v_mov_b32_e32 v8, v22
	v_mov_b32_e32 v9, v20
	;; [unrolled: 1-line block ×7, first 2 shown]
	s_waitcnt vmcnt(0) lgkmcnt(0)
	ds_write_b16 v39, v7
	ds_write_b16 v39, v40 offset:512
	ds_write_b16 v39, v41 offset:1024
	;; [unrolled: 1-line block ×14, first 2 shown]
	s_waitcnt lgkmcnt(0)
	s_barrier
	s_add_i32 s33, s33, s44
	s_cbranch_execz .LBB969_3
	s_branch .LBB969_64
.LBB969_2:
                                        ; implicit-def: $vgpr1
                                        ; implicit-def: $vgpr10
                                        ; implicit-def: $vgpr12
                                        ; implicit-def: $vgpr14
                                        ; implicit-def: $vgpr16
                                        ; implicit-def: $vgpr18
                                        ; implicit-def: $vgpr20
                                        ; implicit-def: $vgpr22
                                        ; implicit-def: $vgpr25
                                        ; implicit-def: $vgpr29
                                        ; implicit-def: $vgpr26
                                        ; implicit-def: $vgpr30
                                        ; implicit-def: $vgpr27
                                        ; implicit-def: $vgpr31
                                        ; implicit-def: $vgpr28
                                        ; implicit-def: $vgpr35
                                        ; implicit-def: $vgpr32
                                        ; implicit-def: $vgpr36
                                        ; implicit-def: $vgpr33
                                        ; implicit-def: $vgpr37
                                        ; implicit-def: $vgpr34
                                        ; implicit-def: $vgpr38
                                        ; implicit-def: $vgpr24
                                        ; implicit-def: $vgpr2_vgpr3
                                        ; implicit-def: $vgpr4_vgpr5
                                        ; implicit-def: $vgpr8_vgpr9
                                        ; implicit-def: $vgpr6_vgpr7
	s_andn2_b64 vcc, exec, s[0:1]
	s_add_i32 s33, s33, s44
	s_cbranch_vccnz .LBB969_64
.LBB969_3:
	v_cmp_gt_u32_e32 vcc, s33, v0
                                        ; implicit-def: $vgpr1
	s_and_saveexec_b64 s[2:3], vcc
	s_cbranch_execz .LBB969_5
; %bb.4:
	v_lshlrev_b32_e32 v1, 2, v0
	v_mov_b32_e32 v3, s56
	v_add_co_u32_e64 v2, s[0:1], s7, v1
	v_addc_co_u32_e64 v3, s[0:1], 0, v3, s[0:1]
	flat_load_dword v1, v[2:3]
.LBB969_5:
	s_or_b64 exec, exec, s[2:3]
	v_or_b32_e32 v2, 0x100, v0
	v_cmp_gt_u32_e64 s[0:1], s33, v2
                                        ; implicit-def: $vgpr4
	s_and_saveexec_b64 s[8:9], s[0:1]
	s_cbranch_execz .LBB969_7
; %bb.6:
	v_lshlrev_b32_e32 v2, 2, v0
	v_mov_b32_e32 v3, s56
	v_add_co_u32_e64 v2, s[2:3], s7, v2
	v_addc_co_u32_e64 v3, s[2:3], 0, v3, s[2:3]
	flat_load_dword v4, v[2:3] offset:1024
.LBB969_7:
	s_or_b64 exec, exec, s[8:9]
	v_or_b32_e32 v2, 0x200, v0
	v_cmp_gt_u32_e64 s[2:3], s33, v2
                                        ; implicit-def: $vgpr10
	s_and_saveexec_b64 s[10:11], s[2:3]
	s_cbranch_execz .LBB969_9
; %bb.8:
	v_lshlrev_b32_e32 v2, 2, v0
	v_mov_b32_e32 v3, s56
	v_add_co_u32_e64 v2, s[8:9], s7, v2
	v_addc_co_u32_e64 v3, s[8:9], 0, v3, s[8:9]
	flat_load_dword v10, v[2:3] offset:2048
.LBB969_9:
	s_or_b64 exec, exec, s[10:11]
	v_or_b32_e32 v2, 0x300, v0
	v_cmp_gt_u32_e64 s[30:31], s33, v2
                                        ; implicit-def: $vgpr11
	s_and_saveexec_b64 s[10:11], s[30:31]
	s_cbranch_execz .LBB969_11
; %bb.10:
	v_lshlrev_b32_e32 v2, 2, v0
	v_mov_b32_e32 v3, s56
	v_add_co_u32_e64 v2, s[8:9], s7, v2
	v_addc_co_u32_e64 v3, s[8:9], 0, v3, s[8:9]
	flat_load_dword v11, v[2:3] offset:3072
.LBB969_11:
	s_or_b64 exec, exec, s[10:11]
	v_or_b32_e32 v2, 0x400, v0
	v_cmp_gt_u32_e64 s[8:9], s33, v2
                                        ; implicit-def: $vgpr12
	s_and_saveexec_b64 s[12:13], s[8:9]
	s_cbranch_execz .LBB969_13
; %bb.12:
	v_lshlrev_b32_e32 v2, 2, v2
	v_mov_b32_e32 v3, s56
	v_add_co_u32_e64 v2, s[10:11], s7, v2
	v_addc_co_u32_e64 v3, s[10:11], 0, v3, s[10:11]
	flat_load_dword v12, v[2:3]
.LBB969_13:
	s_or_b64 exec, exec, s[12:13]
	v_or_b32_e32 v2, 0x500, v0
	v_cmp_gt_u32_e64 s[10:11], s33, v2
                                        ; implicit-def: $vgpr13
	s_and_saveexec_b64 s[14:15], s[10:11]
	s_cbranch_execz .LBB969_15
; %bb.14:
	v_lshlrev_b32_e32 v2, 2, v2
	v_mov_b32_e32 v3, s56
	v_add_co_u32_e64 v2, s[12:13], s7, v2
	v_addc_co_u32_e64 v3, s[12:13], 0, v3, s[12:13]
	flat_load_dword v13, v[2:3]
.LBB969_15:
	s_or_b64 exec, exec, s[14:15]
	v_or_b32_e32 v2, 0x600, v0
	v_cmp_gt_u32_e64 s[12:13], s33, v2
                                        ; implicit-def: $vgpr14
	s_and_saveexec_b64 s[16:17], s[12:13]
	s_cbranch_execz .LBB969_17
; %bb.16:
	v_lshlrev_b32_e32 v2, 2, v2
	v_mov_b32_e32 v3, s56
	v_add_co_u32_e64 v2, s[14:15], s7, v2
	v_addc_co_u32_e64 v3, s[14:15], 0, v3, s[14:15]
	flat_load_dword v14, v[2:3]
.LBB969_17:
	s_or_b64 exec, exec, s[16:17]
	v_or_b32_e32 v2, 0x700, v0
	v_cmp_gt_u32_e64 s[14:15], s33, v2
                                        ; implicit-def: $vgpr15
	s_and_saveexec_b64 s[18:19], s[14:15]
	s_cbranch_execz .LBB969_19
; %bb.18:
	v_lshlrev_b32_e32 v2, 2, v2
	v_mov_b32_e32 v3, s56
	v_add_co_u32_e64 v2, s[16:17], s7, v2
	v_addc_co_u32_e64 v3, s[16:17], 0, v3, s[16:17]
	flat_load_dword v15, v[2:3]
.LBB969_19:
	s_or_b64 exec, exec, s[18:19]
	v_or_b32_e32 v2, 0x800, v0
	v_cmp_gt_u32_e64 s[16:17], s33, v2
                                        ; implicit-def: $vgpr16
	s_and_saveexec_b64 s[20:21], s[16:17]
	s_cbranch_execz .LBB969_21
; %bb.20:
	v_lshlrev_b32_e32 v3, 2, v2
	v_mov_b32_e32 v5, s56
	v_add_co_u32_e64 v6, s[18:19], s7, v3
	v_addc_co_u32_e64 v7, s[18:19], 0, v5, s[18:19]
	flat_load_dword v16, v[6:7]
.LBB969_21:
	s_or_b64 exec, exec, s[20:21]
	v_or_b32_e32 v3, 0x900, v0
	v_cmp_gt_u32_e64 s[18:19], s33, v3
                                        ; implicit-def: $vgpr17
	s_and_saveexec_b64 s[22:23], s[18:19]
	s_cbranch_execz .LBB969_23
; %bb.22:
	v_lshlrev_b32_e32 v5, 2, v3
	v_mov_b32_e32 v7, s56
	v_add_co_u32_e64 v6, s[20:21], s7, v5
	v_addc_co_u32_e64 v7, s[20:21], 0, v7, s[20:21]
	flat_load_dword v17, v[6:7]
.LBB969_23:
	s_or_b64 exec, exec, s[22:23]
	v_or_b32_e32 v5, 0xa00, v0
	v_cmp_gt_u32_e64 s[20:21], s33, v5
                                        ; implicit-def: $vgpr18
	s_and_saveexec_b64 s[24:25], s[20:21]
	s_cbranch_execz .LBB969_25
; %bb.24:
	v_lshlrev_b32_e32 v6, 2, v5
	v_mov_b32_e32 v7, s56
	v_add_co_u32_e64 v6, s[22:23], s7, v6
	v_addc_co_u32_e64 v7, s[22:23], 0, v7, s[22:23]
	flat_load_dword v18, v[6:7]
.LBB969_25:
	s_or_b64 exec, exec, s[24:25]
	v_or_b32_e32 v6, 0xb00, v0
	v_cmp_gt_u32_e64 s[22:23], s33, v6
                                        ; implicit-def: $vgpr19
	s_and_saveexec_b64 s[26:27], s[22:23]
	s_cbranch_execz .LBB969_27
; %bb.26:
	v_lshlrev_b32_e32 v7, 2, v6
	v_mov_b32_e32 v9, s56
	v_add_co_u32_e64 v8, s[24:25], s7, v7
	v_addc_co_u32_e64 v9, s[24:25], 0, v9, s[24:25]
	flat_load_dword v19, v[8:9]
.LBB969_27:
	s_or_b64 exec, exec, s[26:27]
	v_or_b32_e32 v7, 0xc00, v0
	v_cmp_gt_u32_e64 s[24:25], s33, v7
                                        ; implicit-def: $vgpr20
	s_and_saveexec_b64 s[28:29], s[24:25]
	s_cbranch_execz .LBB969_29
; %bb.28:
	v_lshlrev_b32_e32 v8, 2, v7
	v_mov_b32_e32 v9, s56
	v_add_co_u32_e64 v8, s[26:27], s7, v8
	v_addc_co_u32_e64 v9, s[26:27], 0, v9, s[26:27]
	flat_load_dword v20, v[8:9]
.LBB969_29:
	s_or_b64 exec, exec, s[28:29]
	v_or_b32_e32 v8, 0xd00, v0
	v_cmp_gt_u32_e64 s[26:27], s33, v8
                                        ; implicit-def: $vgpr21
	s_and_saveexec_b64 s[34:35], s[26:27]
	s_cbranch_execz .LBB969_31
; %bb.30:
	v_lshlrev_b32_e32 v9, 2, v8
	v_mov_b32_e32 v21, s56
	v_add_co_u32_e64 v22, s[28:29], s7, v9
	v_addc_co_u32_e64 v23, s[28:29], 0, v21, s[28:29]
	flat_load_dword v21, v[22:23]
.LBB969_31:
	s_or_b64 exec, exec, s[34:35]
	v_or_b32_e32 v9, 0xe00, v0
	v_cmp_gt_u32_e64 s[28:29], s33, v9
                                        ; implicit-def: $vgpr22
	s_and_saveexec_b64 s[40:41], s[28:29]
	s_cbranch_execz .LBB969_33
; %bb.32:
	v_lshlrev_b32_e32 v22, 2, v9
	v_mov_b32_e32 v23, s56
	v_add_co_u32_e64 v22, s[34:35], s7, v22
	v_addc_co_u32_e64 v23, s[34:35], 0, v23, s[34:35]
	flat_load_dword v22, v[22:23]
.LBB969_33:
	s_or_b64 exec, exec, s[40:41]
	v_lshlrev_b32_e32 v23, 2, v0
	s_waitcnt vmcnt(0) lgkmcnt(0)
	ds_write2st64_b32 v23, v1, v4 offset1:4
	ds_write2st64_b32 v23, v10, v11 offset0:8 offset1:12
	ds_write2st64_b32 v23, v12, v13 offset0:16 offset1:20
	;; [unrolled: 1-line block ×6, first 2 shown]
	ds_write_b32 v23, v22 offset:14336
	v_mad_u32_u24 v4, v0, 56, v23
	s_waitcnt lgkmcnt(0)
	s_barrier
	ds_read2_b32 v[22:23], v4 offset1:1
	ds_read2_b32 v[20:21], v4 offset0:2 offset1:3
	ds_read2_b32 v[18:19], v4 offset0:4 offset1:5
	;; [unrolled: 1-line block ×6, first 2 shown]
	ds_read_b32 v1, v4 offset:56
	s_waitcnt lgkmcnt(0)
	s_barrier
	s_waitcnt lgkmcnt(0)
                                        ; implicit-def: $vgpr39
	s_and_saveexec_b64 s[34:35], vcc
	s_cbranch_execz .LBB969_47
; %bb.34:
	v_lshlrev_b32_e32 v24, 1, v0
	v_mov_b32_e32 v25, s58
	v_add_co_u32_e32 v24, vcc, s57, v24
	v_addc_co_u32_e32 v25, vcc, 0, v25, vcc
	flat_load_ushort v39, v[24:25]
	s_or_b64 exec, exec, s[34:35]
                                        ; implicit-def: $vgpr40
	s_and_saveexec_b64 s[34:35], s[0:1]
	s_cbranch_execnz .LBB969_48
.LBB969_35:
	s_or_b64 exec, exec, s[34:35]
                                        ; implicit-def: $vgpr41
	s_and_saveexec_b64 s[0:1], s[2:3]
	s_cbranch_execz .LBB969_49
.LBB969_36:
	v_lshlrev_b32_e32 v24, 1, v0
	v_mov_b32_e32 v25, s58
	v_add_co_u32_e32 v24, vcc, s57, v24
	v_addc_co_u32_e32 v25, vcc, 0, v25, vcc
	flat_load_ushort v41, v[24:25] offset:1024
	s_or_b64 exec, exec, s[0:1]
                                        ; implicit-def: $vgpr42
	s_and_saveexec_b64 s[0:1], s[30:31]
	s_cbranch_execnz .LBB969_50
.LBB969_37:
	s_or_b64 exec, exec, s[0:1]
                                        ; implicit-def: $vgpr43
	s_and_saveexec_b64 s[0:1], s[8:9]
	s_cbranch_execz .LBB969_51
.LBB969_38:
	v_lshlrev_b32_e32 v24, 1, v0
	v_mov_b32_e32 v25, s58
	v_add_co_u32_e32 v24, vcc, s57, v24
	v_addc_co_u32_e32 v25, vcc, 0, v25, vcc
	flat_load_ushort v43, v[24:25] offset:2048
	s_or_b64 exec, exec, s[0:1]
                                        ; implicit-def: $vgpr44
	s_and_saveexec_b64 s[0:1], s[10:11]
	s_cbranch_execnz .LBB969_52
.LBB969_39:
	s_or_b64 exec, exec, s[0:1]
                                        ; implicit-def: $vgpr45
	s_and_saveexec_b64 s[0:1], s[12:13]
	s_cbranch_execz .LBB969_53
.LBB969_40:
	v_lshlrev_b32_e32 v24, 1, v0
	v_mov_b32_e32 v25, s58
	v_add_co_u32_e32 v24, vcc, s57, v24
	v_addc_co_u32_e32 v25, vcc, 0, v25, vcc
	flat_load_ushort v45, v[24:25] offset:3072
	s_or_b64 exec, exec, s[0:1]
                                        ; implicit-def: $vgpr46
	s_and_saveexec_b64 s[0:1], s[14:15]
	s_cbranch_execnz .LBB969_54
.LBB969_41:
	s_or_b64 exec, exec, s[0:1]
                                        ; implicit-def: $vgpr47
	s_and_saveexec_b64 s[0:1], s[16:17]
	s_cbranch_execz .LBB969_55
.LBB969_42:
	v_lshlrev_b32_e32 v2, 1, v2
	v_mov_b32_e32 v25, s58
	v_add_co_u32_e32 v24, vcc, s57, v2
	v_addc_co_u32_e32 v25, vcc, 0, v25, vcc
	flat_load_ushort v47, v[24:25]
	s_or_b64 exec, exec, s[0:1]
                                        ; implicit-def: $vgpr2
	s_and_saveexec_b64 s[0:1], s[18:19]
	s_cbranch_execnz .LBB969_56
.LBB969_43:
	s_or_b64 exec, exec, s[0:1]
                                        ; implicit-def: $vgpr3
	s_and_saveexec_b64 s[0:1], s[20:21]
	s_cbranch_execz .LBB969_57
.LBB969_44:
	v_lshlrev_b32_e32 v3, 1, v5
	v_mov_b32_e32 v5, s58
	v_add_co_u32_e32 v24, vcc, s57, v3
	v_addc_co_u32_e32 v25, vcc, 0, v5, vcc
	flat_load_ushort v3, v[24:25]
	s_or_b64 exec, exec, s[0:1]
                                        ; implicit-def: $vgpr5
	s_and_saveexec_b64 s[0:1], s[22:23]
	s_cbranch_execnz .LBB969_58
.LBB969_45:
	s_or_b64 exec, exec, s[0:1]
                                        ; implicit-def: $vgpr6
	s_and_saveexec_b64 s[0:1], s[24:25]
	s_cbranch_execz .LBB969_59
.LBB969_46:
	v_lshlrev_b32_e32 v6, 1, v7
	v_mov_b32_e32 v7, s58
	v_add_co_u32_e32 v6, vcc, s57, v6
	v_addc_co_u32_e32 v7, vcc, 0, v7, vcc
	flat_load_ushort v6, v[6:7]
	s_or_b64 exec, exec, s[0:1]
                                        ; implicit-def: $vgpr7
	s_and_saveexec_b64 s[0:1], s[26:27]
	s_cbranch_execz .LBB969_61
	s_branch .LBB969_60
.LBB969_47:
	s_or_b64 exec, exec, s[34:35]
                                        ; implicit-def: $vgpr40
	s_and_saveexec_b64 s[34:35], s[0:1]
	s_cbranch_execz .LBB969_35
.LBB969_48:
	v_lshlrev_b32_e32 v24, 1, v0
	v_mov_b32_e32 v25, s58
	v_add_co_u32_e32 v24, vcc, s57, v24
	v_addc_co_u32_e32 v25, vcc, 0, v25, vcc
	flat_load_ushort v40, v[24:25] offset:512
	s_or_b64 exec, exec, s[34:35]
                                        ; implicit-def: $vgpr41
	s_and_saveexec_b64 s[0:1], s[2:3]
	s_cbranch_execnz .LBB969_36
.LBB969_49:
	s_or_b64 exec, exec, s[0:1]
                                        ; implicit-def: $vgpr42
	s_and_saveexec_b64 s[0:1], s[30:31]
	s_cbranch_execz .LBB969_37
.LBB969_50:
	v_lshlrev_b32_e32 v24, 1, v0
	v_mov_b32_e32 v25, s58
	v_add_co_u32_e32 v24, vcc, s57, v24
	v_addc_co_u32_e32 v25, vcc, 0, v25, vcc
	flat_load_ushort v42, v[24:25] offset:1536
	s_or_b64 exec, exec, s[0:1]
                                        ; implicit-def: $vgpr43
	s_and_saveexec_b64 s[0:1], s[8:9]
	s_cbranch_execnz .LBB969_38
.LBB969_51:
	s_or_b64 exec, exec, s[0:1]
                                        ; implicit-def: $vgpr44
	s_and_saveexec_b64 s[0:1], s[10:11]
	s_cbranch_execz .LBB969_39
.LBB969_52:
	v_lshlrev_b32_e32 v24, 1, v0
	v_mov_b32_e32 v25, s58
	v_add_co_u32_e32 v24, vcc, s57, v24
	v_addc_co_u32_e32 v25, vcc, 0, v25, vcc
	flat_load_ushort v44, v[24:25] offset:2560
	s_or_b64 exec, exec, s[0:1]
                                        ; implicit-def: $vgpr45
	s_and_saveexec_b64 s[0:1], s[12:13]
	s_cbranch_execnz .LBB969_40
.LBB969_53:
	s_or_b64 exec, exec, s[0:1]
                                        ; implicit-def: $vgpr46
	s_and_saveexec_b64 s[0:1], s[14:15]
	s_cbranch_execz .LBB969_41
.LBB969_54:
	v_lshlrev_b32_e32 v24, 1, v0
	v_mov_b32_e32 v25, s58
	v_add_co_u32_e32 v24, vcc, s57, v24
	v_addc_co_u32_e32 v25, vcc, 0, v25, vcc
	flat_load_ushort v46, v[24:25] offset:3584
	s_or_b64 exec, exec, s[0:1]
                                        ; implicit-def: $vgpr47
	s_and_saveexec_b64 s[0:1], s[16:17]
	s_cbranch_execnz .LBB969_42
.LBB969_55:
	s_or_b64 exec, exec, s[0:1]
                                        ; implicit-def: $vgpr2
	s_and_saveexec_b64 s[0:1], s[18:19]
	s_cbranch_execz .LBB969_43
.LBB969_56:
	v_lshlrev_b32_e32 v2, 1, v3
	v_mov_b32_e32 v3, s58
	v_add_co_u32_e32 v2, vcc, s57, v2
	v_addc_co_u32_e32 v3, vcc, 0, v3, vcc
	flat_load_ushort v2, v[2:3]
	s_or_b64 exec, exec, s[0:1]
                                        ; implicit-def: $vgpr3
	s_and_saveexec_b64 s[0:1], s[20:21]
	s_cbranch_execnz .LBB969_44
.LBB969_57:
	s_or_b64 exec, exec, s[0:1]
                                        ; implicit-def: $vgpr5
	s_and_saveexec_b64 s[0:1], s[22:23]
	s_cbranch_execz .LBB969_45
.LBB969_58:
	v_lshlrev_b32_e32 v5, 1, v6
	v_mov_b32_e32 v6, s58
	v_add_co_u32_e32 v24, vcc, s57, v5
	v_addc_co_u32_e32 v25, vcc, 0, v6, vcc
	flat_load_ushort v5, v[24:25]
	s_or_b64 exec, exec, s[0:1]
                                        ; implicit-def: $vgpr6
	s_and_saveexec_b64 s[0:1], s[24:25]
	s_cbranch_execnz .LBB969_46
.LBB969_59:
	s_or_b64 exec, exec, s[0:1]
                                        ; implicit-def: $vgpr7
	s_and_saveexec_b64 s[0:1], s[26:27]
	s_cbranch_execz .LBB969_61
.LBB969_60:
	v_lshlrev_b32_e32 v7, 1, v8
	v_mov_b32_e32 v8, s58
	v_add_co_u32_e32 v24, vcc, s57, v7
	v_addc_co_u32_e32 v25, vcc, 0, v8, vcc
	flat_load_ushort v7, v[24:25]
.LBB969_61:
	s_or_b64 exec, exec, s[0:1]
	v_mul_u32_u24_e32 v24, 15, v0
                                        ; implicit-def: $vgpr8
	s_and_saveexec_b64 s[0:1], s[28:29]
	s_cbranch_execz .LBB969_63
; %bb.62:
	v_lshlrev_b32_e32 v8, 1, v9
	v_mov_b32_e32 v9, s58
	v_add_co_u32_e32 v8, vcc, s57, v8
	v_addc_co_u32_e32 v9, vcc, 0, v9, vcc
	flat_load_ushort v8, v[8:9]
.LBB969_63:
	s_or_b64 exec, exec, s[0:1]
	s_movk_i32 s0, 0xffc6
	v_mad_i32_i24 v4, v0, s0, v4
	v_add_u32_e32 v38, 1, v24
	v_add_u32_e32 v34, 2, v24
	;; [unrolled: 1-line block ×14, first 2 shown]
	s_waitcnt vmcnt(0) lgkmcnt(0)
	ds_write_b16 v4, v39
	ds_write_b16 v4, v40 offset:512
	ds_write_b16 v4, v41 offset:1024
	;; [unrolled: 1-line block ×14, first 2 shown]
	v_mov_b32_e32 v8, v22
	v_mov_b32_e32 v9, v20
	;; [unrolled: 1-line block ×7, first 2 shown]
	s_waitcnt lgkmcnt(0)
	s_barrier
.LBB969_64:
	v_lshlrev_b32_e32 v7, 1, v24
	v_lshlrev_b32_e32 v24, 1, v38
	v_lshlrev_b32_e32 v34, 1, v34
	v_lshlrev_b32_e32 v37, 1, v37
	v_lshlrev_b32_e32 v33, 1, v33
	v_lshlrev_b32_e32 v36, 1, v36
	v_lshlrev_b32_e32 v32, 1, v32
	v_lshlrev_b32_e32 v35, 1, v35
	ds_read_u16 v79, v7
	ds_read_u16 v78, v24
	;; [unrolled: 1-line block ×8, first 2 shown]
	v_lshlrev_b32_e32 v7, 1, v28
	v_lshlrev_b32_e32 v24, 1, v31
	;; [unrolled: 1-line block ×7, first 2 shown]
	ds_read_u16 v77, v7
	ds_read_u16 v75, v24
	;; [unrolled: 1-line block ×7, first 2 shown]
	s_load_dwordx4 s[40:43], s[4:5], 0x28
	s_cmp_eq_u64 s[52:53], 0
	s_cselect_b64 s[30:31], -1, 0
	s_cmp_lg_u64 s[52:53], 0
	s_mov_b64 s[2:3], 0
	s_cselect_b64 s[4:5], -1, 0
	s_and_b64 vcc, exec, s[54:55]
	s_waitcnt lgkmcnt(0)
	s_barrier
	s_cbranch_vccz .LBB969_70
; %bb.65:
	s_and_b64 vcc, exec, s[4:5]
	s_cbranch_vccz .LBB969_135
; %bb.66:
	v_mov_b32_e32 v7, s56
	v_add_co_u32_e64 v24, vcc, -4, s7
	v_addc_co_u32_e32 v25, vcc, -1, v7, vcc
	flat_load_dword v7, v[24:25]
	v_lshlrev_b32_e32 v24, 2, v0
	v_cmp_ne_u32_e32 vcc, 0, v0
	ds_write_b32 v24, v1
	s_waitcnt lgkmcnt(0)
	s_barrier
	s_and_saveexec_b64 s[0:1], vcc
	s_cbranch_execz .LBB969_68
; %bb.67:
	s_waitcnt vmcnt(0)
	v_add_u32_e32 v7, -4, v24
	ds_read_b32 v7, v7
.LBB969_68:
	s_or_b64 exec, exec, s[0:1]
	v_cmp_ne_u32_e32 vcc, v8, v23
	v_cndmask_b32_e64 v65, 0, 1, vcc
	v_cmp_ne_u32_e32 vcc, v9, v23
	v_cndmask_b32_e64 v64, 0, 1, vcc
	;; [unrolled: 2-line block ×14, first 2 shown]
	s_waitcnt vmcnt(0) lgkmcnt(0)
	v_cmp_ne_u32_e64 s[0:1], v7, v22
	s_mov_b64 s[2:3], -1
.LBB969_69:
                                        ; implicit-def: $sgpr10
	s_branch .LBB969_71
.LBB969_70:
                                        ; implicit-def: $sgpr0_sgpr1
                                        ; implicit-def: $vgpr52
                                        ; implicit-def: $vgpr53
                                        ; implicit-def: $vgpr54
                                        ; implicit-def: $vgpr55
                                        ; implicit-def: $vgpr56
                                        ; implicit-def: $vgpr57
                                        ; implicit-def: $vgpr58
                                        ; implicit-def: $vgpr59
                                        ; implicit-def: $vgpr60
                                        ; implicit-def: $vgpr61
                                        ; implicit-def: $vgpr62
                                        ; implicit-def: $vgpr63
                                        ; implicit-def: $vgpr64
                                        ; implicit-def: $vgpr65
                                        ; implicit-def: $sgpr10
	s_cbranch_execnz .LBB969_139
.LBB969_71:
	v_mov_b32_e32 v82, s10
	s_and_saveexec_b64 s[4:5], s[2:3]
.LBB969_72:
	v_cndmask_b32_e64 v82, 0, 1, s[0:1]
.LBB969_73:
	s_or_b64 exec, exec, s[4:5]
	s_cmp_eq_u64 s[38:39], 0
	v_add3_u32 v2, v65, v82, v64
	s_cselect_b64 s[34:35], -1, 0
	s_cmp_lg_u32 s6, 0
	v_cmp_eq_u32_e64 s[24:25], 0, v65
	v_cmp_eq_u32_e64 s[22:23], 0, v64
	;; [unrolled: 1-line block ×3, first 2 shown]
	v_add3_u32 v86, v2, v63, v62
	v_cmp_eq_u32_e64 s[18:19], 0, v62
	v_cmp_eq_u32_e64 s[16:17], 0, v61
	;; [unrolled: 1-line block ×10, first 2 shown]
	v_cmp_eq_u32_e32 vcc, 0, v52
	v_mbcnt_lo_u32_b32 v85, -1, 0
	v_lshrrev_b32_e32 v83, 6, v0
	v_or_b32_e32 v84, 63, v0
	s_cbranch_scc0 .LBB969_104
; %bb.74:
	v_cndmask_b32_e64 v2, 0, v79, s[24:25]
	v_add_u16_e32 v2, v2, v78
	v_cndmask_b32_e64 v2, 0, v2, s[22:23]
	v_add_u16_e32 v2, v2, v76
	;; [unrolled: 2-line block ×11, first 2 shown]
	v_cndmask_b32_e64 v2, 0, v2, s[2:3]
	v_add3_u32 v3, v86, v61, v60
	v_add_u16_e32 v2, v2, v69
	v_add3_u32 v3, v3, v59, v58
	v_cndmask_b32_e64 v2, 0, v2, s[0:1]
	v_add3_u32 v3, v3, v57, v56
	v_add_u16_e32 v2, v2, v66
	v_add3_u32 v3, v3, v55, v54
	v_cndmask_b32_e32 v2, 0, v2, vcc
	v_add3_u32 v3, v3, v53, v52
	v_add_u16_e32 v2, v2, v80
	v_mbcnt_hi_u32_b32 v25, -1, v85
	v_and_b32_e32 v4, 15, v25
	v_mov_b32_dpp v6, v2 row_shr:1 row_mask:0xf bank_mask:0xf
	v_cmp_eq_u32_e32 vcc, 0, v3
	v_mov_b32_dpp v5, v3 row_shr:1 row_mask:0xf bank_mask:0xf
	v_cndmask_b32_e32 v6, 0, v6, vcc
	v_cmp_eq_u32_e32 vcc, 0, v4
	v_add_u16_e32 v6, v6, v2
	v_cndmask_b32_e64 v5, v5, 0, vcc
	v_add_u32_e32 v3, v5, v3
	v_cndmask_b32_e32 v2, v6, v2, vcc
	v_cmp_eq_u32_e32 vcc, 0, v3
	v_mov_b32_dpp v5, v3 row_shr:2 row_mask:0xf bank_mask:0xf
	v_mov_b32_dpp v6, v2 row_shr:2 row_mask:0xf bank_mask:0xf
	v_cndmask_b32_e32 v6, 0, v6, vcc
	v_cmp_lt_u32_e32 vcc, 1, v4
	v_add_u16_e32 v6, v6, v2
	v_cndmask_b32_e32 v5, 0, v5, vcc
	v_cndmask_b32_e32 v2, v2, v6, vcc
	v_add_u32_e32 v3, v3, v5
	v_cmp_eq_u32_e32 vcc, 0, v3
	v_mov_b32_dpp v6, v2 row_shr:4 row_mask:0xf bank_mask:0xf
	v_mov_b32_dpp v5, v3 row_shr:4 row_mask:0xf bank_mask:0xf
	v_cndmask_b32_e32 v6, 0, v6, vcc
	v_cmp_lt_u32_e32 vcc, 3, v4
	v_add_u16_e32 v6, v6, v2
	v_cndmask_b32_e32 v5, 0, v5, vcc
	v_cndmask_b32_e32 v2, v2, v6, vcc
	v_add_u32_e32 v3, v5, v3
	;; [unrolled: 9-line block ×3, first 2 shown]
	v_bfe_i32 v6, v25, 4, 1
	v_mov_b32_dpp v5, v2 row_bcast:15 row_mask:0xf bank_mask:0xf
	v_mov_b32_dpp v4, v3 row_bcast:15 row_mask:0xf bank_mask:0xf
	v_cmp_eq_u32_e32 vcc, 0, v3
	v_and_b32_e32 v7, 16, v25
	v_cndmask_b32_e32 v5, 0, v5, vcc
	v_and_b32_e32 v4, v6, v4
	v_add_u16_e32 v5, v5, v2
	v_add_u32_e32 v3, v4, v3
	v_cmp_eq_u32_e32 vcc, 0, v7
	v_cndmask_b32_e32 v4, v5, v2, vcc
	v_mov_b32_dpp v2, v3 row_bcast:31 row_mask:0xf bank_mask:0xf
	v_cmp_eq_u32_e32 vcc, 0, v3
	v_cmp_lt_u32_e64 s[26:27], 31, v25
	v_mov_b32_dpp v5, v4 row_bcast:31 row_mask:0xf bank_mask:0xf
	v_cndmask_b32_e64 v2, 0, v2, s[26:27]
	s_and_b64 vcc, s[26:27], vcc
	v_add_u32_e32 v2, v2, v3
	v_cndmask_b32_e32 v3, 0, v5, vcc
	v_add_u16_e32 v3, v3, v4
	v_cmp_eq_u32_e32 vcc, v84, v0
	v_lshlrev_b32_e32 v4, 3, v83
	s_and_saveexec_b64 s[26:27], vcc
	s_cbranch_execz .LBB969_76
; %bb.75:
	ds_write_b32 v4, v2 offset:2064
	ds_write_b16 v4, v3 offset:2068
.LBB969_76:
	s_or_b64 exec, exec, s[26:27]
	v_cmp_gt_u32_e32 vcc, 4, v0
	s_waitcnt lgkmcnt(0)
	s_barrier
	s_and_saveexec_b64 s[38:39], vcc
	s_cbranch_execz .LBB969_78
; %bb.77:
	v_lshlrev_b32_e32 v5, 3, v0
	ds_read_b64 v[6:7], v5 offset:2064
	v_and_b32_e32 v8, 3, v25
	s_mov_b32 s7, 0xffff0000
	v_cmp_lt_u32_e64 s[26:27], 1, v8
	s_waitcnt lgkmcnt(0)
	v_mov_b32_dpp v24, v7 row_shr:1 row_mask:0xf bank_mask:0xf
	v_cmp_eq_u32_e32 vcc, 0, v6
	v_mov_b32_dpp v9, v6 row_shr:1 row_mask:0xf bank_mask:0xf
	v_cndmask_b32_e32 v24, 0, v24, vcc
	v_cmp_eq_u32_e32 vcc, 0, v8
	v_add_u16_e32 v24, v24, v7
	v_cndmask_b32_e64 v9, v9, 0, vcc
	v_and_or_b32 v26, v7, s7, v24
	v_add_u32_e32 v6, v9, v6
	v_cndmask_b32_e32 v9, v24, v7, vcc
	v_cndmask_b32_e32 v7, v26, v7, vcc
	v_mov_b32_dpp v24, v6 row_shr:2 row_mask:0xf bank_mask:0xf
	v_cmp_eq_u32_e32 vcc, 0, v6
	v_mov_b32_dpp v7, v7 row_shr:2 row_mask:0xf bank_mask:0xf
	v_cndmask_b32_e64 v8, 0, v24, s[26:27]
	s_and_b64 vcc, s[26:27], vcc
	v_add_u32_e32 v6, v8, v6
	v_cndmask_b32_e32 v7, 0, v7, vcc
	v_add_u16_e32 v7, v9, v7
	ds_write_b32 v5, v6 offset:2064
	ds_write_b16 v5, v7 offset:2068
.LBB969_78:
	s_or_b64 exec, exec, s[38:39]
	v_cmp_gt_u32_e32 vcc, 64, v0
	v_cmp_lt_u32_e64 s[26:27], 63, v0
	v_mov_b32_e32 v28, 0
	v_mov_b32_e32 v29, 0
	s_waitcnt lgkmcnt(0)
	s_barrier
	s_and_saveexec_b64 s[38:39], s[26:27]
	s_cbranch_execz .LBB969_80
; %bb.79:
	ds_read_b32 v28, v4 offset:2056
	ds_read_u16 v29, v4 offset:2060
	v_cmp_eq_u32_e64 s[26:27], 0, v2
	s_waitcnt lgkmcnt(1)
	v_add_u32_e32 v4, v28, v2
	s_waitcnt lgkmcnt(0)
	v_cndmask_b32_e64 v2, 0, v29, s[26:27]
	v_add_u16_e32 v3, v2, v3
	v_mov_b32_e32 v2, v4
.LBB969_80:
	s_or_b64 exec, exec, s[38:39]
	v_add_u32_e32 v4, -1, v25
	v_and_b32_e32 v5, 64, v25
	v_cmp_lt_i32_e64 s[26:27], v4, v5
	v_cndmask_b32_e64 v4, v4, v25, s[26:27]
	v_and_b32_e32 v3, 0xffff, v3
	v_lshlrev_b32_e32 v4, 2, v4
	ds_bpermute_b32 v30, v4, v2
	ds_bpermute_b32 v31, v4, v3
	v_cmp_eq_u32_e64 s[26:27], 0, v25
	s_and_saveexec_b64 s[38:39], vcc
	s_cbranch_execz .LBB969_103
; %bb.81:
	v_mov_b32_e32 v5, 0
	ds_read_b64 v[2:3], v5 offset:2088
	s_waitcnt lgkmcnt(0)
	v_readfirstlane_b32 s7, v3
	s_and_saveexec_b64 s[44:45], s[26:27]
	s_cbranch_execz .LBB969_83
; %bb.82:
	s_add_i32 s52, s6, 64
	s_mov_b32 s53, 0
	s_lshl_b64 s[54:55], s[52:53], 4
	s_add_u32 s54, s36, s54
	s_addc_u32 s55, s37, s55
	s_and_b32 s57, s7, 0xff000000
	s_mov_b32 s56, s53
	s_and_b32 s59, s7, 0xff0000
	s_mov_b32 s58, s53
	s_or_b64 s[56:57], s[58:59], s[56:57]
	s_and_b32 s59, s7, 0xff00
	s_or_b64 s[56:57], s[56:57], s[58:59]
	s_and_b32 s59, s7, 0xff
	s_or_b64 s[52:53], s[56:57], s[58:59]
	v_mov_b32_e32 v3, s53
	v_mov_b32_e32 v4, 1
	v_pk_mov_b32 v[6:7], s[54:55], s[54:55] op_sel:[0,1]
	;;#ASMSTART
	global_store_dwordx4 v[6:7], v[2:5] off	
s_waitcnt vmcnt(0)
	;;#ASMEND
.LBB969_83:
	s_or_b64 exec, exec, s[44:45]
	v_xad_u32 v24, v25, -1, s6
	v_add_u32_e32 v4, 64, v24
	v_lshlrev_b64 v[6:7], 4, v[4:5]
	v_mov_b32_e32 v3, s37
	v_add_co_u32_e32 v26, vcc, s36, v6
	v_addc_co_u32_e32 v27, vcc, v3, v7, vcc
	;;#ASMSTART
	global_load_dwordx4 v[6:9], v[26:27] off glc	
s_waitcnt vmcnt(0)
	;;#ASMEND
	v_and_b32_e32 v3, 0xffffff, v6
	v_and_b32_e32 v4, 0xff000000, v6
	v_or_b32_e32 v3, v3, v4
	v_and_b32_e32 v4, 0xff, v7
	v_and_b32_e32 v6, 0xff00, v7
	v_or3_b32 v7, 0, v4, v6
	v_or3_b32 v6, v3, 0, 0
	v_cmp_eq_u16_sdwa s[52:53], v8, v5 src0_sel:BYTE_0 src1_sel:DWORD
	s_and_saveexec_b64 s[44:45], s[52:53]
	s_cbranch_execz .LBB969_89
; %bb.84:
	s_mov_b32 s54, 1
	s_mov_b64 s[52:53], 0
	v_mov_b32_e32 v3, 0
.LBB969_85:                             ; =>This Loop Header: Depth=1
                                        ;     Child Loop BB969_86 Depth 2
	s_max_u32 s55, s54, 1
.LBB969_86:                             ;   Parent Loop BB969_85 Depth=1
                                        ; =>  This Inner Loop Header: Depth=2
	s_add_i32 s55, s55, -1
	s_cmp_eq_u32 s55, 0
	s_sleep 1
	s_cbranch_scc0 .LBB969_86
; %bb.87:                               ;   in Loop: Header=BB969_85 Depth=1
	s_cmp_lt_u32 s54, 32
	s_cselect_b64 s[56:57], -1, 0
	s_cmp_lg_u64 s[56:57], 0
	s_addc_u32 s54, s54, 0
	;;#ASMSTART
	global_load_dwordx4 v[6:9], v[26:27] off glc	
s_waitcnt vmcnt(0)
	;;#ASMEND
	v_cmp_ne_u16_sdwa s[56:57], v8, v3 src0_sel:BYTE_0 src1_sel:DWORD
	s_or_b64 s[52:53], s[56:57], s[52:53]
	s_andn2_b64 exec, exec, s[52:53]
	s_cbranch_execnz .LBB969_85
; %bb.88:
	s_or_b64 exec, exec, s[52:53]
	v_and_b32_e32 v7, 0xffff, v7
.LBB969_89:
	s_or_b64 exec, exec, s[44:45]
	v_mov_b32_e32 v3, 2
	v_and_b32_e32 v32, 63, v25
	v_cmp_eq_u16_sdwa s[44:45], v8, v3 src0_sel:BYTE_0 src1_sel:DWORD
	v_lshlrev_b64 v[4:5], v25, -1
	v_cmp_ne_u32_e32 vcc, 63, v32
	v_and_b32_e32 v9, s45, v5
	v_addc_co_u32_e32 v27, vcc, 0, v25, vcc
	v_or_b32_e32 v9, 0x80000000, v9
	v_lshlrev_b32_e32 v33, 2, v27
	v_and_b32_e32 v26, s44, v4
	v_ffbl_b32_e32 v9, v9
	ds_bpermute_b32 v27, v33, v7
	v_add_u32_e32 v9, 32, v9
	v_ffbl_b32_e32 v26, v26
	v_min_u32_e32 v9, v26, v9
	ds_bpermute_b32 v26, v33, v6
	v_cmp_eq_u32_e32 vcc, 0, v6
	s_waitcnt lgkmcnt(1)
	v_cndmask_b32_e32 v27, 0, v27, vcc
	v_add_u16_e32 v27, v27, v7
	v_cmp_lt_u32_e32 vcc, v32, v9
	v_cndmask_b32_e32 v7, v7, v27, vcc
	s_waitcnt lgkmcnt(0)
	v_cndmask_b32_e32 v26, 0, v26, vcc
	v_cmp_gt_u32_e32 vcc, 62, v32
	v_cndmask_b32_e64 v27, 0, 1, vcc
	v_lshlrev_b32_e32 v27, 1, v27
	v_add_lshl_u32 v34, v27, v25, 2
	ds_bpermute_b32 v27, v34, v7
	v_add_u32_e32 v6, v26, v6
	ds_bpermute_b32 v26, v34, v6
	v_cmp_eq_u32_e32 vcc, 0, v6
	v_add_u32_e32 v35, 2, v32
	s_waitcnt lgkmcnt(1)
	v_cndmask_b32_e32 v27, 0, v27, vcc
	v_add_u16_e32 v27, v27, v7
	v_cmp_gt_u32_e32 vcc, v35, v9
	v_cndmask_b32_e32 v7, v27, v7, vcc
	s_waitcnt lgkmcnt(0)
	v_cndmask_b32_e64 v26, v26, 0, vcc
	v_cmp_gt_u32_e32 vcc, 60, v32
	v_cndmask_b32_e64 v27, 0, 1, vcc
	v_lshlrev_b32_e32 v27, 2, v27
	v_add_lshl_u32 v36, v27, v25, 2
	ds_bpermute_b32 v27, v36, v7
	v_add_u32_e32 v6, v6, v26
	ds_bpermute_b32 v26, v36, v6
	v_cmp_eq_u32_e32 vcc, 0, v6
	v_add_u32_e32 v37, 4, v32
	s_waitcnt lgkmcnt(1)
	v_cndmask_b32_e32 v27, 0, v27, vcc
	v_add_u16_e32 v27, v7, v27
	v_cmp_gt_u32_e32 vcc, v37, v9
	v_cndmask_b32_e32 v7, v27, v7, vcc
	s_waitcnt lgkmcnt(0)
	v_cndmask_b32_e64 v26, v26, 0, vcc
	;; [unrolled: 16-line block ×4, first 2 shown]
	v_cmp_gt_u32_e32 vcc, 32, v32
	v_cndmask_b32_e64 v27, 0, 1, vcc
	v_lshlrev_b32_e32 v27, 5, v27
	v_add_lshl_u32 v44, v27, v25, 2
	ds_bpermute_b32 v25, v44, v7
	v_add_u32_e32 v6, v6, v26
	ds_bpermute_b32 v26, v44, v6
	v_add_u32_e32 v45, 32, v32
	v_cmp_eq_u32_e32 vcc, 0, v6
	s_waitcnt lgkmcnt(1)
	v_cndmask_b32_e32 v25, 0, v25, vcc
	v_cmp_gt_u32_e32 vcc, v45, v9
	v_cndmask_b32_e64 v9, v25, 0, vcc
	v_add_u16_e32 v7, v7, v9
	s_waitcnt lgkmcnt(0)
	v_cndmask_b32_e64 v9, v26, 0, vcc
	v_add_u32_e32 v6, v9, v6
	v_mov_b32_e32 v25, 0
	s_branch .LBB969_91
.LBB969_90:                             ;   in Loop: Header=BB969_91 Depth=1
	s_or_b64 exec, exec, s[44:45]
	v_cmp_eq_u16_sdwa s[44:45], v8, v3 src0_sel:BYTE_0 src1_sel:DWORD
	ds_bpermute_b32 v27, v33, v7
	v_and_b32_e32 v9, s45, v5
	v_or_b32_e32 v9, 0x80000000, v9
	v_and_b32_e32 v26, s44, v4
	v_ffbl_b32_e32 v9, v9
	v_add_u32_e32 v9, 32, v9
	v_ffbl_b32_e32 v26, v26
	v_cmp_eq_u32_e32 vcc, 0, v6
	v_min_u32_e32 v9, v26, v9
	ds_bpermute_b32 v26, v33, v6
	s_waitcnt lgkmcnt(1)
	v_cndmask_b32_e32 v27, 0, v27, vcc
	v_add_u16_e32 v27, v27, v7
	v_cmp_lt_u32_e32 vcc, v32, v9
	v_cndmask_b32_e32 v7, v7, v27, vcc
	ds_bpermute_b32 v27, v34, v7
	s_waitcnt lgkmcnt(1)
	v_cndmask_b32_e32 v26, 0, v26, vcc
	v_add_u32_e32 v6, v26, v6
	v_cmp_eq_u32_e32 vcc, 0, v6
	ds_bpermute_b32 v26, v34, v6
	s_waitcnt lgkmcnt(1)
	v_cndmask_b32_e32 v27, 0, v27, vcc
	v_add_u16_e32 v27, v27, v7
	v_cmp_gt_u32_e32 vcc, v35, v9
	v_cndmask_b32_e32 v7, v27, v7, vcc
	ds_bpermute_b32 v27, v36, v7
	s_waitcnt lgkmcnt(1)
	v_cndmask_b32_e64 v26, v26, 0, vcc
	v_add_u32_e32 v6, v6, v26
	v_cmp_eq_u32_e32 vcc, 0, v6
	ds_bpermute_b32 v26, v36, v6
	s_waitcnt lgkmcnt(1)
	v_cndmask_b32_e32 v27, 0, v27, vcc
	v_add_u16_e32 v27, v7, v27
	v_cmp_gt_u32_e32 vcc, v37, v9
	v_cndmask_b32_e32 v7, v27, v7, vcc
	ds_bpermute_b32 v27, v38, v7
	s_waitcnt lgkmcnt(1)
	v_cndmask_b32_e64 v26, v26, 0, vcc
	v_add_u32_e32 v6, v6, v26
	ds_bpermute_b32 v26, v38, v6
	v_cmp_eq_u32_e32 vcc, 0, v6
	s_waitcnt lgkmcnt(1)
	v_cndmask_b32_e32 v27, 0, v27, vcc
	v_add_u16_e32 v27, v7, v27
	v_cmp_gt_u32_e32 vcc, v39, v9
	v_cndmask_b32_e32 v7, v27, v7, vcc
	ds_bpermute_b32 v27, v41, v7
	s_waitcnt lgkmcnt(1)
	v_cndmask_b32_e64 v26, v26, 0, vcc
	v_add_u32_e32 v6, v6, v26
	ds_bpermute_b32 v26, v41, v6
	v_cmp_eq_u32_e32 vcc, 0, v6
	;; [unrolled: 11-line block ×3, first 2 shown]
	s_waitcnt lgkmcnt(1)
	v_cndmask_b32_e32 v27, 0, v27, vcc
	v_cmp_gt_u32_e32 vcc, v45, v9
	v_cndmask_b32_e64 v9, v27, 0, vcc
	v_add_u16_e32 v7, v7, v9
	s_waitcnt lgkmcnt(0)
	v_cndmask_b32_e64 v9, v26, 0, vcc
	v_cmp_eq_u32_e32 vcc, 0, v42
	v_cndmask_b32_e32 v7, 0, v7, vcc
	v_subrev_u32_e32 v24, 64, v24
	v_add3_u32 v6, v6, v42, v9
	v_add_u16_e32 v7, v7, v40
.LBB969_91:                             ; =>This Loop Header: Depth=1
                                        ;     Child Loop BB969_94 Depth 2
                                        ;       Child Loop BB969_95 Depth 3
	v_cmp_ne_u16_sdwa s[44:45], v8, v3 src0_sel:BYTE_0 src1_sel:DWORD
	v_mov_b32_e32 v40, v7
	v_cndmask_b32_e64 v7, 0, 1, s[44:45]
	;;#ASMSTART
	;;#ASMEND
	v_cmp_ne_u32_e32 vcc, 0, v7
	s_cmp_lg_u64 vcc, exec
	v_mov_b32_e32 v42, v6
	s_cbranch_scc1 .LBB969_98
; %bb.92:                               ;   in Loop: Header=BB969_91 Depth=1
	v_lshlrev_b64 v[6:7], 4, v[24:25]
	v_mov_b32_e32 v8, s37
	v_add_co_u32_e32 v26, vcc, s36, v6
	v_addc_co_u32_e32 v27, vcc, v8, v7, vcc
	;;#ASMSTART
	global_load_dwordx4 v[6:9], v[26:27] off glc	
s_waitcnt vmcnt(0)
	;;#ASMEND
	v_and_b32_e32 v9, 0xffffff, v6
	v_and_b32_e32 v6, 0xff000000, v6
	v_or_b32_e32 v6, v9, v6
	v_and_b32_e32 v9, 0xff, v7
	v_and_b32_e32 v7, 0xff00, v7
	v_or3_b32 v7, 0, v9, v7
	v_or3_b32 v6, v6, 0, 0
	v_cmp_eq_u16_sdwa s[52:53], v8, v25 src0_sel:BYTE_0 src1_sel:DWORD
	s_and_saveexec_b64 s[44:45], s[52:53]
	s_cbranch_execz .LBB969_90
; %bb.93:                               ;   in Loop: Header=BB969_91 Depth=1
	s_mov_b32 s54, 1
	s_mov_b64 s[52:53], 0
.LBB969_94:                             ;   Parent Loop BB969_91 Depth=1
                                        ; =>  This Loop Header: Depth=2
                                        ;       Child Loop BB969_95 Depth 3
	s_max_u32 s55, s54, 1
.LBB969_95:                             ;   Parent Loop BB969_91 Depth=1
                                        ;     Parent Loop BB969_94 Depth=2
                                        ; =>    This Inner Loop Header: Depth=3
	s_add_i32 s55, s55, -1
	s_cmp_eq_u32 s55, 0
	s_sleep 1
	s_cbranch_scc0 .LBB969_95
; %bb.96:                               ;   in Loop: Header=BB969_94 Depth=2
	s_cmp_lt_u32 s54, 32
	s_cselect_b64 s[56:57], -1, 0
	s_cmp_lg_u64 s[56:57], 0
	s_addc_u32 s54, s54, 0
	;;#ASMSTART
	global_load_dwordx4 v[6:9], v[26:27] off glc	
s_waitcnt vmcnt(0)
	;;#ASMEND
	v_cmp_ne_u16_sdwa s[56:57], v8, v25 src0_sel:BYTE_0 src1_sel:DWORD
	s_or_b64 s[52:53], s[56:57], s[52:53]
	s_andn2_b64 exec, exec, s[52:53]
	s_cbranch_execnz .LBB969_94
; %bb.97:                               ;   in Loop: Header=BB969_91 Depth=1
	s_or_b64 exec, exec, s[52:53]
	v_and_b32_e32 v7, 0xffff, v7
	s_branch .LBB969_90
.LBB969_98:                             ;   in Loop: Header=BB969_91 Depth=1
                                        ; implicit-def: $vgpr7
                                        ; implicit-def: $vgpr6
                                        ; implicit-def: $vgpr8
	s_cbranch_execz .LBB969_91
; %bb.99:
	s_and_saveexec_b64 s[44:45], s[26:27]
	s_cbranch_execz .LBB969_101
; %bb.100:
	s_mov_b32 s53, 0
	v_cmp_eq_u32_e32 vcc, 0, v2
	s_add_i32 s52, s6, 64
	v_cndmask_b32_e32 v3, 0, v40, vcc
	s_lshl_b64 s[52:53], s[52:53], 4
	v_add_u16_e32 v3, s7, v3
	s_add_u32 s52, s36, s52
	s_addc_u32 s53, s37, s53
	v_and_b32_e32 v5, 0xff00, v3
	v_add_u32_e32 v4, v42, v2
	v_mov_b32_e32 v7, 0
	v_or_b32_sdwa v5, v5, v3 dst_sel:DWORD dst_unused:UNUSED_PAD src0_sel:DWORD src1_sel:BYTE_0
	v_mov_b32_e32 v6, 2
	v_pk_mov_b32 v[8:9], s[52:53], s[52:53] op_sel:[0,1]
	;;#ASMSTART
	global_store_dwordx4 v[8:9], v[4:7] off	
s_waitcnt vmcnt(0)
	;;#ASMEND
	v_mov_b32_e32 v3, s7
	s_movk_i32 s6, 0x800
	ds_write_b16 v7, v3 offset:2052
	v_add_u32_e64 v3, s6, 0
	ds_write2_b32 v3, v2, v42 offset1:2
	ds_write_b16 v7, v40 offset:2060
.LBB969_101:
	s_or_b64 exec, exec, s[44:45]
	v_cmp_eq_u32_e32 vcc, 0, v0
	s_and_b64 exec, exec, vcc
	s_cbranch_execz .LBB969_103
; %bb.102:
	v_mov_b32_e32 v2, 0
	ds_write_b32 v2, v42 offset:2088
	ds_write_b16 v2, v40 offset:2092
.LBB969_103:
	s_or_b64 exec, exec, s[38:39]
	v_mov_b32_e32 v4, 0
	s_waitcnt lgkmcnt(0)
	s_barrier
	ds_read_b64 v[2:3], v4 offset:2088
	v_cndmask_b32_e64 v6, v30, v28, s[26:27]
	v_cmp_eq_u32_e32 vcc, 0, v6
	v_cndmask_b32_e64 v5, v31, v29, s[26:27]
	s_waitcnt lgkmcnt(0)
	v_cndmask_b32_e32 v7, 0, v3, vcc
	v_add_u16_e32 v5, v7, v5
	v_cmp_eq_u32_e32 vcc, 0, v0
	v_cndmask_b32_e32 v3, v5, v3, vcc
	v_cndmask_b32_e64 v5, v6, 0, vcc
	v_cmp_eq_u32_e32 vcc, 0, v82
	v_add_u32_e32 v50, v2, v5
	v_cndmask_b32_e32 v2, 0, v3, vcc
	v_add_u16_e32 v49, v2, v79
	v_cndmask_b32_e64 v2, 0, v49, s[24:25]
	v_add_u16_e32 v47, v2, v78
	v_cndmask_b32_e64 v2, 0, v47, s[22:23]
	;; [unrolled: 2-line block ×6, first 2 shown]
	v_add_u16_e32 v37, v2, v68
	v_add_u32_e32 v48, v50, v82
	v_cndmask_b32_e64 v2, 0, v37, s[12:13]
	v_add_u32_e32 v46, v48, v65
	v_add_u16_e32 v35, v2, v67
	v_add_u32_e32 v44, v46, v64
	v_cndmask_b32_e64 v2, 0, v35, s[10:11]
	v_add_u32_e32 v42, v44, v63
	;; [unrolled: 4-line block ×3, first 2 shown]
	v_add_u16_e32 v31, v2, v75
	v_add_u32_e32 v36, v38, v60
	v_cndmask_b32_e64 v2, 0, v31, s[28:29]
	s_barrier
	ds_read_b128 v[4:7], v4 offset:2048
	v_add_u32_e32 v34, v36, v59
	v_add_u16_e32 v29, v2, v73
	v_add_u32_e32 v32, v34, v58
	v_cndmask_b32_e64 v2, 0, v29, s[4:5]
	v_add_u32_e32 v30, v32, v57
	v_add_u16_e32 v27, v2, v71
	v_add_u32_e32 v28, v30, v56
	v_cndmask_b32_e64 v2, 0, v27, s[2:3]
	v_add_u32_e32 v26, v28, v55
	v_add_u16_e32 v9, v2, v69
	s_waitcnt lgkmcnt(0)
	v_cmp_eq_u32_e32 vcc, 0, v4
	v_and_b32_e32 v51, 0xffff, v3
	v_add_u32_e32 v8, v26, v54
	v_cndmask_b32_e64 v3, 0, v9, s[0:1]
	v_cndmask_b32_e32 v7, 0, v7, vcc
	v_add_u32_e32 v2, v8, v53
	v_add_u16_e32 v3, v3, v66
	v_add_u32_e32 v81, v7, v5
	s_branch .LBB969_116
.LBB969_104:
                                        ; implicit-def: $vgpr4
                                        ; implicit-def: $vgpr81
                                        ; implicit-def: $vgpr50_vgpr51
                                        ; implicit-def: $vgpr48_vgpr49
                                        ; implicit-def: $vgpr46_vgpr47
                                        ; implicit-def: $vgpr44_vgpr45
                                        ; implicit-def: $vgpr42_vgpr43
                                        ; implicit-def: $vgpr40_vgpr41
                                        ; implicit-def: $vgpr38_vgpr39
                                        ; implicit-def: $vgpr36_vgpr37
                                        ; implicit-def: $vgpr34_vgpr35
                                        ; implicit-def: $vgpr32_vgpr33
                                        ; implicit-def: $vgpr30_vgpr31
                                        ; implicit-def: $vgpr28_vgpr29
                                        ; implicit-def: $vgpr26_vgpr27
                                        ; implicit-def: $vgpr8_vgpr9
                                        ; implicit-def: $vgpr2_vgpr3
	s_cbranch_execz .LBB969_116
; %bb.105:
	s_and_b64 s[0:1], s[34:35], exec
	s_cselect_b32 s1, 0, s51
	s_cselect_b32 s0, 0, s50
	s_cmp_eq_u64 s[0:1], 0
	v_mov_b32_e32 v5, v79
	s_cbranch_scc1 .LBB969_107
; %bb.106:
	v_mov_b32_e32 v2, 0
	global_load_ushort v5, v2, s[0:1]
.LBB969_107:
	v_cmp_eq_u32_e64 s[0:1], 0, v65
	v_cndmask_b32_e64 v2, 0, v79, s[0:1]
	v_add_u16_e32 v2, v2, v78
	v_cmp_eq_u32_e64 s[2:3], 0, v64
	v_cndmask_b32_e64 v2, 0, v2, s[2:3]
	v_add_u16_e32 v2, v2, v76
	;; [unrolled: 3-line block ×11, first 2 shown]
	v_cmp_eq_u32_e64 s[22:23], 0, v54
	v_cndmask_b32_e64 v2, 0, v2, s[22:23]
	v_add3_u32 v3, v86, v61, v60
	v_add_u16_e32 v2, v2, v69
	v_cmp_eq_u32_e32 vcc, 0, v53
	v_add3_u32 v3, v3, v59, v58
	v_cndmask_b32_e32 v2, 0, v2, vcc
	v_add3_u32 v3, v3, v57, v56
	v_add_u16_e32 v2, v2, v66
	v_cmp_eq_u32_e64 s[24:25], 0, v52
	v_add3_u32 v3, v3, v55, v54
	v_cndmask_b32_e64 v2, 0, v2, s[24:25]
	v_add3_u32 v3, v3, v53, v52
	v_add_u16_e32 v4, v2, v80
	v_mbcnt_hi_u32_b32 v2, -1, v85
	v_and_b32_e32 v6, 15, v2
	v_mov_b32_dpp v8, v4 row_shr:1 row_mask:0xf bank_mask:0xf
	v_cmp_eq_u32_e64 s[24:25], 0, v3
	v_mov_b32_dpp v7, v3 row_shr:1 row_mask:0xf bank_mask:0xf
	v_cndmask_b32_e64 v8, 0, v8, s[24:25]
	v_cmp_eq_u32_e64 s[24:25], 0, v6
	v_add_u16_e32 v8, v8, v4
	v_cndmask_b32_e64 v7, v7, 0, s[24:25]
	v_add_u32_e32 v3, v7, v3
	v_cndmask_b32_e64 v4, v8, v4, s[24:25]
	v_cmp_eq_u32_e64 s[24:25], 0, v3
	v_mov_b32_dpp v7, v3 row_shr:2 row_mask:0xf bank_mask:0xf
	v_mov_b32_dpp v8, v4 row_shr:2 row_mask:0xf bank_mask:0xf
	v_cndmask_b32_e64 v8, 0, v8, s[24:25]
	v_cmp_lt_u32_e64 s[24:25], 1, v6
	v_add_u16_e32 v8, v8, v4
	v_cndmask_b32_e64 v7, 0, v7, s[24:25]
	v_cndmask_b32_e64 v4, v4, v8, s[24:25]
	v_add_u32_e32 v3, v3, v7
	v_cmp_eq_u32_e64 s[24:25], 0, v3
	v_mov_b32_dpp v8, v4 row_shr:4 row_mask:0xf bank_mask:0xf
	v_mov_b32_dpp v7, v3 row_shr:4 row_mask:0xf bank_mask:0xf
	v_cndmask_b32_e64 v8, 0, v8, s[24:25]
	v_cmp_lt_u32_e64 s[24:25], 3, v6
	v_add_u16_e32 v8, v8, v4
	v_cndmask_b32_e64 v7, 0, v7, s[24:25]
	v_cndmask_b32_e64 v4, v4, v8, s[24:25]
	v_add_u32_e32 v3, v7, v3
	;; [unrolled: 9-line block ×3, first 2 shown]
	v_bfe_i32 v8, v2, 4, 1
	v_mov_b32_dpp v7, v4 row_bcast:15 row_mask:0xf bank_mask:0xf
	v_mov_b32_dpp v6, v3 row_bcast:15 row_mask:0xf bank_mask:0xf
	v_cmp_eq_u32_e64 s[24:25], 0, v3
	v_and_b32_e32 v9, 16, v2
	v_cndmask_b32_e64 v7, 0, v7, s[24:25]
	v_and_b32_e32 v6, v8, v6
	v_add_u16_e32 v7, v7, v4
	v_add_u32_e32 v3, v6, v3
	v_cmp_eq_u32_e64 s[24:25], 0, v9
	v_cndmask_b32_e64 v4, v7, v4, s[24:25]
	v_mov_b32_dpp v6, v3 row_bcast:31 row_mask:0xf bank_mask:0xf
	v_cmp_eq_u32_e64 s[24:25], 0, v3
	v_cmp_lt_u32_e64 s[26:27], 31, v2
	v_mov_b32_dpp v7, v4 row_bcast:31 row_mask:0xf bank_mask:0xf
	v_cndmask_b32_e64 v6, 0, v6, s[26:27]
	s_and_b64 s[24:25], s[26:27], s[24:25]
	v_add_u32_e32 v3, v6, v3
	v_cndmask_b32_e64 v6, 0, v7, s[24:25]
	v_add_u16_e32 v4, v6, v4
	v_cmp_eq_u32_e64 s[24:25], v84, v0
	s_and_saveexec_b64 s[26:27], s[24:25]
	s_cbranch_execz .LBB969_109
; %bb.108:
	v_lshlrev_b32_e32 v6, 3, v83
	ds_write_b32 v6, v3 offset:2064
	ds_write_b16 v6, v4 offset:2068
.LBB969_109:
	s_or_b64 exec, exec, s[26:27]
	v_cmp_gt_u32_e64 s[24:25], 4, v0
	s_waitcnt lgkmcnt(0)
	s_barrier
	s_and_saveexec_b64 s[28:29], s[24:25]
	s_cbranch_execz .LBB969_111
; %bb.110:
	v_lshlrev_b32_e32 v8, 3, v0
	ds_read_b64 v[6:7], v8 offset:2064
	v_and_b32_e32 v9, 3, v2
	s_mov_b32 s26, 0xffff0000
	s_waitcnt lgkmcnt(0)
	v_mov_b32_dpp v25, v7 row_shr:1 row_mask:0xf bank_mask:0xf
	v_cmp_eq_u32_e64 s[24:25], 0, v6
	v_mov_b32_dpp v24, v6 row_shr:1 row_mask:0xf bank_mask:0xf
	v_cndmask_b32_e64 v25, 0, v25, s[24:25]
	v_cmp_eq_u32_e64 s[24:25], 0, v9
	v_add_u16_e32 v25, v25, v7
	v_cndmask_b32_e64 v24, v24, 0, s[24:25]
	v_and_or_b32 v26, v7, s26, v25
	v_add_u32_e32 v6, v24, v6
	v_cndmask_b32_e64 v24, v25, v7, s[24:25]
	v_cndmask_b32_e64 v7, v26, v7, s[24:25]
	v_mov_b32_dpp v25, v6 row_shr:2 row_mask:0xf bank_mask:0xf
	v_cmp_eq_u32_e64 s[24:25], 0, v6
	v_cmp_lt_u32_e64 s[26:27], 1, v9
	v_mov_b32_dpp v7, v7 row_shr:2 row_mask:0xf bank_mask:0xf
	v_cndmask_b32_e64 v9, 0, v25, s[26:27]
	s_and_b64 s[24:25], s[26:27], s[24:25]
	v_add_u32_e32 v6, v9, v6
	v_cndmask_b32_e64 v7, 0, v7, s[24:25]
	v_add_u16_e32 v7, v24, v7
	ds_write_b32 v8, v6 offset:2064
	ds_write_b16 v8, v7 offset:2068
.LBB969_111:
	s_or_b64 exec, exec, s[28:29]
	v_cmp_lt_u32_e64 s[24:25], 63, v0
	v_mov_b32_e32 v6, 0
	v_mov_b32_e32 v7, 0
	s_waitcnt vmcnt(0)
	v_mov_b32_e32 v8, v5
	s_waitcnt lgkmcnt(0)
	s_barrier
	s_and_saveexec_b64 s[26:27], s[24:25]
	s_cbranch_execz .LBB969_113
; %bb.112:
	v_lshlrev_b32_e32 v8, 3, v83
	ds_read_b32 v7, v8 offset:2056
	ds_read_u16 v8, v8 offset:2060
	s_waitcnt lgkmcnt(1)
	v_cmp_eq_u32_e64 s[24:25], 0, v7
	v_cndmask_b32_e64 v9, 0, v5, s[24:25]
	s_waitcnt lgkmcnt(0)
	v_add_u16_e32 v8, v9, v8
.LBB969_113:
	s_or_b64 exec, exec, s[26:27]
	v_cmp_eq_u32_e64 s[24:25], 0, v3
	v_add_u32_e32 v9, v7, v3
	v_cndmask_b32_e64 v3, 0, v8, s[24:25]
	v_add_u16_e32 v3, v3, v4
	v_add_u32_e32 v4, -1, v2
	v_and_b32_e32 v24, 64, v2
	v_cmp_lt_i32_e64 s[24:25], v4, v24
	v_cndmask_b32_e64 v4, v4, v2, s[24:25]
	v_lshlrev_b32_e32 v4, 2, v4
	ds_bpermute_b32 v9, v4, v9
	ds_bpermute_b32 v3, v4, v3
	v_cmp_eq_u32_e64 s[24:25], 0, v2
	v_cmp_eq_u32_e64 s[26:27], 0, v82
	ds_read_b32 v4, v6 offset:2088
	s_waitcnt lgkmcnt(2)
	v_cndmask_b32_e64 v2, v9, v7, s[24:25]
	s_waitcnt lgkmcnt(1)
	v_cndmask_b32_e64 v3, v3, v8, s[24:25]
	v_cmp_eq_u32_e64 s[24:25], 0, v0
	v_cndmask_b32_e64 v3, v3, v5, s[24:25]
	v_cndmask_b32_e64 v50, v2, 0, s[24:25]
	;; [unrolled: 1-line block ×3, first 2 shown]
	v_add_u16_e32 v49, v2, v79
	v_cndmask_b32_e64 v2, 0, v49, s[0:1]
	v_add_u16_e32 v47, v2, v78
	v_cndmask_b32_e64 v2, 0, v47, s[2:3]
	;; [unrolled: 2-line block ×7, first 2 shown]
	v_add_u32_e32 v48, v50, v82
	v_add_u16_e32 v35, v2, v67
	v_add_u32_e32 v46, v48, v65
	v_cndmask_b32_e64 v2, 0, v35, s[14:15]
	v_add_u32_e32 v44, v46, v64
	v_add_u16_e32 v33, v2, v77
	v_add_u32_e32 v42, v44, v63
	v_cndmask_b32_e64 v2, 0, v33, s[16:17]
	v_add_u32_e32 v40, v42, v62
	v_add_u16_e32 v31, v2, v75
	v_add_u32_e32 v38, v40, v61
	v_cndmask_b32_e64 v2, 0, v31, s[18:19]
	v_add_u32_e32 v36, v38, v60
	v_add_u16_e32 v29, v2, v73
	v_add_u32_e32 v34, v36, v59
	v_cndmask_b32_e64 v2, 0, v29, s[20:21]
	v_add_u32_e32 v32, v34, v58
	v_add_u16_e32 v27, v2, v71
	ds_read_u16 v6, v6 offset:2092
	v_add_u32_e32 v30, v32, v57
	v_cndmask_b32_e64 v2, 0, v27, s[22:23]
	v_add_u32_e32 v28, v30, v56
	v_add_u16_e32 v9, v2, v69
	v_and_b32_e32 v51, 0xffff, v3
	v_add_u32_e32 v26, v28, v55
	v_cndmask_b32_e32 v3, 0, v9, vcc
	s_waitcnt lgkmcnt(1)
	v_cmp_eq_u32_e32 vcc, 0, v4
	v_add_u32_e32 v8, v26, v54
	v_cndmask_b32_e32 v5, 0, v5, vcc
	v_add_u32_e32 v2, v8, v53
	v_add_u16_e32 v3, v3, v66
	s_waitcnt lgkmcnt(0)
	v_add_u16_e32 v81, v5, v6
	s_and_saveexec_b64 s[0:1], s[24:25]
	s_cbranch_execz .LBB969_115
; %bb.114:
	s_add_u32 s2, s36, 0x400
	s_addc_u32 s3, s37, 0
	v_and_b32_e32 v5, 0xff00, v81
	v_mov_b32_e32 v7, 0
	v_or_b32_sdwa v5, v5, v81 dst_sel:DWORD dst_unused:UNUSED_PAD src0_sel:DWORD src1_sel:BYTE_0
	v_mov_b32_e32 v6, 2
	v_pk_mov_b32 v[24:25], s[2:3], s[2:3] op_sel:[0,1]
	;;#ASMSTART
	global_store_dwordx4 v[24:25], v[4:7] off	
s_waitcnt vmcnt(0)
	;;#ASMEND
.LBB969_115:
	s_or_b64 exec, exec, s[0:1]
	v_mov_b32_e32 v6, 0
.LBB969_116:
	s_and_b64 s[0:1], s[34:35], exec
	s_cselect_b32 s1, 0, s47
	s_cselect_b32 s0, 0, s46
	s_cmp_eq_u64 s[0:1], 0
	v_pk_mov_b32 v[24:25], 0, 0
	s_barrier
	s_cbranch_scc1 .LBB969_118
; %bb.117:
	v_mov_b32_e32 v5, 0
	global_load_dwordx2 v[24:25], v5, s[0:1]
.LBB969_118:
	s_movk_i32 s36, 0x100
	v_cmp_gt_u32_e32 vcc, s36, v4
	s_cbranch_vccnz .LBB969_167
; %bb.119:
	v_cmp_eq_u32_e64 s[26:27], 0, v65
	v_cndmask_b32_e64 v77, 1, 2, s[26:27]
	v_cmp_eq_u32_e64 s[26:27], 0, v82
	v_cmp_eq_u32_e64 s[24:25], 0, v64
	v_cndmask_b32_e64 v78, 1, 2, s[26:27]
	v_cmp_eq_u32_e64 s[22:23], 0, v63
	v_cndmask_b32_e64 v76, 1, 2, s[24:25]
	v_and_b32_e32 v77, v77, v78
	v_cmp_eq_u32_e64 s[20:21], 0, v62
	v_cndmask_b32_e64 v75, 1, 2, s[22:23]
	v_and_b32_e32 v76, v77, v76
	;; [unrolled: 3-line block ×11, first 2 shown]
	v_cmp_eq_u32_e32 vcc, 0, v52
	v_cndmask_b32_e64 v7, 1, 2, s[0:1]
	v_and_b32_e32 v66, v67, v66
	v_cndmask_b32_e64 v5, 1, 2, vcc
	v_and_b32_e32 v7, v66, v7
	v_and_b32_e32 v5, v7, v5
	v_cmp_ne_u32_e64 s[18:19], 0, v82
	v_cmp_ne_u32_e32 vcc, 0, v53
	v_cmp_ne_u32_e64 s[0:1], 0, v54
	v_cmp_ne_u32_e64 s[2:3], 0, v55
	;; [unrolled: 1-line block ×12, first 2 shown]
	v_cmp_gt_i16_e64 s[26:27], 2, v5
	s_and_saveexec_b64 s[28:29], s[26:27]
	s_cbranch_execz .LBB969_166
; %bb.120:
	v_cmp_ne_u16_e64 s[26:27], 1, v5
	s_mov_b64 s[34:35], 0
	s_and_saveexec_b64 s[38:39], s[26:27]
	s_xor_b64 s[26:27], exec, s[38:39]
	s_cbranch_execz .LBB969_144
; %bb.121:
	s_and_saveexec_b64 s[34:35], s[18:19]
	s_cbranch_execz .LBB969_149
; %bb.122:
	v_sub_u32_e32 v5, v50, v6
	v_lshlrev_b32_e32 v5, 2, v5
	ds_write_b32 v5, v22
	s_or_b64 exec, exec, s[34:35]
	s_and_saveexec_b64 s[18:19], s[24:25]
	s_cbranch_execnz .LBB969_150
.LBB969_123:
	s_or_b64 exec, exec, s[18:19]
	s_and_saveexec_b64 s[18:19], s[22:23]
	s_cbranch_execz .LBB969_151
.LBB969_124:
	v_sub_u32_e32 v5, v46, v6
	v_lshlrev_b32_e32 v5, 2, v5
	ds_write_b32 v5, v20
	s_or_b64 exec, exec, s[18:19]
	s_and_saveexec_b64 s[18:19], s[20:21]
	s_cbranch_execnz .LBB969_152
.LBB969_125:
	s_or_b64 exec, exec, s[18:19]
	s_and_saveexec_b64 s[18:19], s[16:17]
	s_cbranch_execz .LBB969_153
.LBB969_126:
	v_sub_u32_e32 v5, v42, v6
	v_lshlrev_b32_e32 v5, 2, v5
	ds_write_b32 v5, v18
	s_or_b64 exec, exec, s[18:19]
	s_and_saveexec_b64 s[16:17], s[14:15]
	s_cbranch_execnz .LBB969_154
.LBB969_127:
	s_or_b64 exec, exec, s[16:17]
	s_and_saveexec_b64 s[14:15], s[12:13]
	s_cbranch_execz .LBB969_155
.LBB969_128:
	v_sub_u32_e32 v5, v38, v6
	v_lshlrev_b32_e32 v5, 2, v5
	ds_write_b32 v5, v16
	s_or_b64 exec, exec, s[14:15]
	s_and_saveexec_b64 s[12:13], s[10:11]
	s_cbranch_execnz .LBB969_156
.LBB969_129:
	s_or_b64 exec, exec, s[12:13]
	s_and_saveexec_b64 s[10:11], s[8:9]
	s_cbranch_execz .LBB969_157
.LBB969_130:
	v_sub_u32_e32 v5, v34, v6
	v_lshlrev_b32_e32 v5, 2, v5
	ds_write_b32 v5, v14
	s_or_b64 exec, exec, s[10:11]
	s_and_saveexec_b64 s[8:9], s[6:7]
	s_cbranch_execnz .LBB969_158
.LBB969_131:
	s_or_b64 exec, exec, s[8:9]
	s_and_saveexec_b64 s[6:7], s[4:5]
	s_cbranch_execz .LBB969_159
.LBB969_132:
	v_sub_u32_e32 v5, v30, v6
	v_lshlrev_b32_e32 v5, 2, v5
	ds_write_b32 v5, v12
	s_or_b64 exec, exec, s[6:7]
	s_and_saveexec_b64 s[4:5], s[2:3]
	s_cbranch_execnz .LBB969_160
.LBB969_133:
	s_or_b64 exec, exec, s[4:5]
	s_and_saveexec_b64 s[2:3], s[0:1]
	s_cbranch_execz .LBB969_161
.LBB969_134:
	v_sub_u32_e32 v5, v26, v6
	v_lshlrev_b32_e32 v5, 2, v5
	ds_write_b32 v5, v10
	s_or_b64 exec, exec, s[2:3]
	v_cmp_ne_u32_e64 s[0:1], 0, v52
	s_and_saveexec_b64 s[2:3], vcc
	s_cbranch_execnz .LBB969_162
	s_branch .LBB969_163
.LBB969_135:
                                        ; implicit-def: $sgpr0_sgpr1
                                        ; implicit-def: $vgpr52
                                        ; implicit-def: $vgpr53
                                        ; implicit-def: $vgpr54
                                        ; implicit-def: $vgpr55
                                        ; implicit-def: $vgpr56
                                        ; implicit-def: $vgpr57
                                        ; implicit-def: $vgpr58
                                        ; implicit-def: $vgpr59
                                        ; implicit-def: $vgpr60
                                        ; implicit-def: $vgpr61
                                        ; implicit-def: $vgpr62
                                        ; implicit-def: $vgpr63
                                        ; implicit-def: $vgpr64
                                        ; implicit-def: $vgpr65
	s_cbranch_execz .LBB969_69
; %bb.136:
	v_cmp_ne_u32_e32 vcc, v23, v8
	v_cndmask_b32_e64 v65, 0, 1, vcc
	v_cmp_ne_u32_e32 vcc, v23, v9
	v_cndmask_b32_e64 v64, 0, 1, vcc
	;; [unrolled: 2-line block ×13, first 2 shown]
	v_cmp_ne_u32_e32 vcc, v11, v1
	v_lshlrev_b32_e32 v7, 2, v0
	v_cndmask_b32_e64 v52, 0, 1, vcc
	v_cmp_ne_u32_e32 vcc, 0, v0
	ds_write_b32 v7, v1
	s_waitcnt lgkmcnt(0)
	s_barrier
	s_waitcnt lgkmcnt(0)
                                        ; implicit-def: $sgpr0_sgpr1
	s_and_saveexec_b64 s[8:9], vcc
	s_xor_b64 s[8:9], exec, s[8:9]
	s_cbranch_execz .LBB969_138
; %bb.137:
	v_add_u32_e32 v2, -4, v7
	ds_read_b32 v2, v2
	s_or_b64 s[2:3], s[2:3], exec
	s_waitcnt lgkmcnt(0)
	v_cmp_ne_u32_e32 vcc, v2, v22
	s_and_b64 s[0:1], vcc, exec
.LBB969_138:
	s_or_b64 exec, exec, s[8:9]
	s_mov_b32 s10, 1
	s_branch .LBB969_71
.LBB969_139:
	s_mul_hi_u32 s1, s52, 0xfffff100
	s_mul_i32 s0, s53, 0xfffff100
	s_sub_i32 s1, s1, s52
	s_add_i32 s1, s1, s0
	s_mul_i32 s0, s52, 0xfffff100
	s_add_u32 s8, s0, s44
	s_addc_u32 s9, s1, s45
	s_and_b64 vcc, exec, s[4:5]
	s_cbranch_vccz .LBB969_146
; %bb.140:
	v_mov_b32_e32 v3, s56
	v_add_co_u32_e64 v2, vcc, -4, s7
	v_addc_co_u32_e32 v3, vcc, -1, v3, vcc
	flat_load_dword v6, v[2:3]
	v_mad_u32_u24 v4, v0, 15, 14
	v_mov_b32_e32 v5, 0
	v_cmp_gt_u64_e32 vcc, s[8:9], v[4:5]
	v_cmp_ne_u32_e64 s[0:1], v11, v1
	v_mad_u32_u24 v4, v0, 15, 13
	s_and_b64 s[2:3], vcc, s[0:1]
	v_cmp_gt_u64_e32 vcc, s[8:9], v[4:5]
	v_cmp_ne_u32_e64 s[0:1], v10, v11
	v_mad_u32_u24 v4, v0, 15, 12
	s_and_b64 s[4:5], vcc, s[0:1]
	;; [unrolled: 4-line block ×13, first 2 shown]
	v_cmp_gt_u64_e32 vcc, s[8:9], v[4:5]
	v_cmp_ne_u32_e64 s[0:1], v22, v23
	v_lshlrev_b32_e32 v3, 2, v0
	v_mul_u32_u24_e32 v2, 15, v0
	s_and_b64 s[0:1], vcc, s[0:1]
	v_cmp_ne_u32_e32 vcc, 0, v0
	ds_write_b32 v3, v1
	s_waitcnt lgkmcnt(0)
	s_barrier
	s_and_saveexec_b64 s[44:45], vcc
	s_cbranch_execz .LBB969_142
; %bb.141:
	v_add_u32_e32 v3, -4, v3
	s_waitcnt vmcnt(0)
	ds_read_b32 v6, v3
.LBB969_142:
	s_or_b64 exec, exec, s[44:45]
	v_mov_b32_e32 v3, v5
	v_cndmask_b32_e64 v65, 0, 1, s[0:1]
	v_cmp_gt_u64_e32 vcc, s[8:9], v[2:3]
	s_waitcnt vmcnt(0) lgkmcnt(0)
	v_cmp_ne_u32_e64 s[0:1], v6, v22
	v_cndmask_b32_e64 v52, 0, 1, s[2:3]
	v_cndmask_b32_e64 v53, 0, 1, s[4:5]
	;; [unrolled: 1-line block ×13, first 2 shown]
	s_and_b64 s[0:1], vcc, s[0:1]
	s_mov_b64 s[2:3], -1
.LBB969_143:
                                        ; implicit-def: $sgpr10
	v_mov_b32_e32 v82, s10
	s_and_saveexec_b64 s[4:5], s[2:3]
	s_cbranch_execnz .LBB969_72
	s_branch .LBB969_73
.LBB969_144:
	s_andn2_saveexec_b64 s[0:1], s[26:27]
	s_cbranch_execz .LBB969_164
.LBB969_145:
	v_sub_u32_e32 v5, v50, v6
	v_lshlrev_b32_e32 v5, 2, v5
	ds_write_b32 v5, v22
	v_sub_u32_e32 v5, v48, v6
	v_lshlrev_b32_e32 v5, 2, v5
	ds_write_b32 v5, v23
	;; [unrolled: 3-line block ×13, first 2 shown]
	v_sub_u32_e32 v5, v8, v6
	v_lshlrev_b32_e32 v5, 2, v5
	s_or_b64 s[34:35], s[34:35], exec
	ds_write_b32 v5, v11
	s_or_b64 exec, exec, s[0:1]
	s_and_b64 exec, exec, s[34:35]
	s_cbranch_execnz .LBB969_165
	s_branch .LBB969_166
.LBB969_146:
                                        ; implicit-def: $sgpr0_sgpr1
                                        ; implicit-def: $vgpr52
                                        ; implicit-def: $vgpr53
                                        ; implicit-def: $vgpr54
                                        ; implicit-def: $vgpr55
                                        ; implicit-def: $vgpr56
                                        ; implicit-def: $vgpr57
                                        ; implicit-def: $vgpr58
                                        ; implicit-def: $vgpr59
                                        ; implicit-def: $vgpr60
                                        ; implicit-def: $vgpr61
                                        ; implicit-def: $vgpr62
                                        ; implicit-def: $vgpr63
                                        ; implicit-def: $vgpr64
                                        ; implicit-def: $vgpr65
	s_cbranch_execz .LBB969_143
; %bb.147:
	v_mad_u32_u24 v2, v0, 15, 14
	v_mov_b32_e32 v3, 0
	v_cmp_gt_u64_e32 vcc, s[8:9], v[2:3]
	v_cmp_ne_u32_e64 s[0:1], v11, v1
	s_and_b64 s[0:1], vcc, s[0:1]
	v_mad_u32_u24 v2, v0, 15, 13
	v_cndmask_b32_e64 v52, 0, 1, s[0:1]
	v_cmp_gt_u64_e32 vcc, s[8:9], v[2:3]
	v_cmp_ne_u32_e64 s[0:1], v10, v11
	s_and_b64 s[0:1], vcc, s[0:1]
	v_mad_u32_u24 v2, v0, 15, 12
	v_cndmask_b32_e64 v53, 0, 1, s[0:1]
	;; [unrolled: 5-line block ×13, first 2 shown]
	v_cmp_gt_u64_e32 vcc, s[8:9], v[2:3]
	v_cmp_ne_u32_e64 s[0:1], v22, v23
	s_and_b64 s[0:1], vcc, s[0:1]
	v_lshlrev_b32_e32 v4, 2, v0
	s_mov_b32 s10, 1
	v_cndmask_b32_e64 v65, 0, 1, s[0:1]
	v_cmp_ne_u32_e32 vcc, 0, v0
	ds_write_b32 v4, v1
	s_waitcnt lgkmcnt(0)
	s_barrier
	s_waitcnt lgkmcnt(0)
                                        ; implicit-def: $sgpr0_sgpr1
	s_and_saveexec_b64 s[4:5], vcc
	s_cbranch_execz .LBB969_186
; %bb.148:
	v_add_u32_e32 v2, -4, v4
	ds_read_b32 v4, v2
	v_mul_u32_u24_e32 v2, 15, v0
	v_cmp_gt_u64_e32 vcc, s[8:9], v[2:3]
	s_or_b64 s[2:3], s[2:3], exec
	s_waitcnt lgkmcnt(0)
	v_cmp_ne_u32_e64 s[0:1], v4, v22
	s_and_b64 s[0:1], vcc, s[0:1]
	s_and_b64 s[0:1], s[0:1], exec
	s_or_b64 exec, exec, s[4:5]
	v_mov_b32_e32 v82, s10
	s_and_saveexec_b64 s[4:5], s[2:3]
	s_cbranch_execz .LBB969_73
	s_branch .LBB969_72
.LBB969_149:
	s_or_b64 exec, exec, s[34:35]
	s_and_saveexec_b64 s[18:19], s[24:25]
	s_cbranch_execz .LBB969_123
.LBB969_150:
	v_sub_u32_e32 v5, v48, v6
	v_lshlrev_b32_e32 v5, 2, v5
	ds_write_b32 v5, v23
	s_or_b64 exec, exec, s[18:19]
	s_and_saveexec_b64 s[18:19], s[22:23]
	s_cbranch_execnz .LBB969_124
.LBB969_151:
	s_or_b64 exec, exec, s[18:19]
	s_and_saveexec_b64 s[18:19], s[20:21]
	s_cbranch_execz .LBB969_125
.LBB969_152:
	v_sub_u32_e32 v5, v44, v6
	v_lshlrev_b32_e32 v5, 2, v5
	ds_write_b32 v5, v21
	s_or_b64 exec, exec, s[18:19]
	s_and_saveexec_b64 s[18:19], s[16:17]
	s_cbranch_execnz .LBB969_126
.LBB969_153:
	s_or_b64 exec, exec, s[18:19]
	s_and_saveexec_b64 s[16:17], s[14:15]
	s_cbranch_execz .LBB969_127
.LBB969_154:
	v_sub_u32_e32 v5, v40, v6
	v_lshlrev_b32_e32 v5, 2, v5
	ds_write_b32 v5, v19
	s_or_b64 exec, exec, s[16:17]
	s_and_saveexec_b64 s[14:15], s[12:13]
	s_cbranch_execnz .LBB969_128
.LBB969_155:
	s_or_b64 exec, exec, s[14:15]
	s_and_saveexec_b64 s[12:13], s[10:11]
	s_cbranch_execz .LBB969_129
.LBB969_156:
	v_sub_u32_e32 v5, v36, v6
	v_lshlrev_b32_e32 v5, 2, v5
	ds_write_b32 v5, v17
	s_or_b64 exec, exec, s[12:13]
	s_and_saveexec_b64 s[10:11], s[8:9]
	s_cbranch_execnz .LBB969_130
.LBB969_157:
	s_or_b64 exec, exec, s[10:11]
	s_and_saveexec_b64 s[8:9], s[6:7]
	s_cbranch_execz .LBB969_131
.LBB969_158:
	v_sub_u32_e32 v5, v32, v6
	v_lshlrev_b32_e32 v5, 2, v5
	ds_write_b32 v5, v15
	s_or_b64 exec, exec, s[8:9]
	s_and_saveexec_b64 s[6:7], s[4:5]
	s_cbranch_execnz .LBB969_132
.LBB969_159:
	s_or_b64 exec, exec, s[6:7]
	s_and_saveexec_b64 s[4:5], s[2:3]
	s_cbranch_execz .LBB969_133
.LBB969_160:
	v_sub_u32_e32 v5, v28, v6
	v_lshlrev_b32_e32 v5, 2, v5
	ds_write_b32 v5, v13
	s_or_b64 exec, exec, s[4:5]
	s_and_saveexec_b64 s[2:3], s[0:1]
	s_cbranch_execnz .LBB969_134
.LBB969_161:
	s_or_b64 exec, exec, s[2:3]
	v_cmp_ne_u32_e64 s[0:1], 0, v52
	s_and_saveexec_b64 s[2:3], vcc
	s_cbranch_execz .LBB969_163
.LBB969_162:
	v_sub_u32_e32 v5, v8, v6
	v_lshlrev_b32_e32 v5, 2, v5
	ds_write_b32 v5, v11
.LBB969_163:
	s_or_b64 exec, exec, s[2:3]
	s_and_b64 s[34:35], s[0:1], exec
                                        ; implicit-def: $vgpr10
                                        ; implicit-def: $vgpr12
                                        ; implicit-def: $vgpr14
                                        ; implicit-def: $vgpr16
                                        ; implicit-def: $vgpr18
                                        ; implicit-def: $vgpr20
                                        ; implicit-def: $vgpr22
	s_andn2_saveexec_b64 s[0:1], s[26:27]
	s_cbranch_execnz .LBB969_145
.LBB969_164:
	s_or_b64 exec, exec, s[0:1]
	s_and_b64 exec, exec, s[34:35]
	s_cbranch_execz .LBB969_166
.LBB969_165:
	v_sub_u32_e32 v5, v2, v6
	v_lshlrev_b32_e32 v5, 2, v5
	ds_write_b32 v5, v1
.LBB969_166:
	s_or_b64 exec, exec, s[28:29]
	s_waitcnt lgkmcnt(0)
	s_barrier
.LBB969_167:
	s_cmpk_lg_i32 s33, 0xf00
	s_cselect_b64 s[0:1], -1, 0
	s_and_b64 s[0:1], s[48:49], s[0:1]
	v_cmp_eq_u32_e32 vcc, 0, v0
	v_cndmask_b32_e64 v10, 0, 1, s[0:1]
	s_and_b64 s[0:1], vcc, s[30:31]
	v_cndmask_b32_e64 v11, v82, 0, s[0:1]
	s_mul_hi_u32 s0, s33, 0x88888889
	s_lshr_b32 s0, s0, 3
	v_mad_i32_i24 v12, v0, -15, s33
	v_cmp_eq_u32_e32 vcc, s0, v0
	v_cmp_ne_u32_e64 s[0:1], 0, v12
	v_cndmask_b32_e64 v13, 1, v11, s[0:1]
	v_cmp_ne_u32_e64 s[0:1], 1, v12
	v_cndmask_b32_e64 v14, 1, v65, s[0:1]
	;; [unrolled: 2-line block ×15, first 2 shown]
	s_and_b64 vcc, s[48:49], vcc
	v_cndmask_b32_e32 v52, v52, v12, vcc
	v_cndmask_b32_e32 v20, v59, v20, vcc
	;; [unrolled: 1-line block ×3, first 2 shown]
	s_waitcnt vmcnt(0)
	v_lshlrev_b64 v[12:13], 1, v[24:25]
	v_mov_b32_e32 v7, 0
	v_cndmask_b32_e32 v53, v53, v68, vcc
	v_cndmask_b32_e32 v54, v54, v67, vcc
	v_cndmask_b32_e32 v55, v55, v66, vcc
	v_cndmask_b32_e32 v23, v56, v23, vcc
	v_cndmask_b32_e32 v22, v57, v22, vcc
	v_cndmask_b32_e32 v21, v58, v21, vcc
	v_cndmask_b32_e32 v19, v60, v19, vcc
	v_cndmask_b32_e32 v18, v61, v18, vcc
	v_cndmask_b32_e32 v17, v62, v17, vcc
	v_cndmask_b32_e32 v56, v63, v16, vcc
	v_cndmask_b32_e32 v57, v64, v15, vcc
	v_cndmask_b32_e32 v58, v65, v14, vcc
	v_mov_b32_e32 v11, s41
	v_add_co_u32_e32 v14, vcc, s40, v12
	v_addc_co_u32_e32 v11, vcc, v11, v13, vcc
	v_lshlrev_b64 v[12:13], 1, v[6:7]
	v_cndmask_b32_e64 v1, 0, 1, s[30:31]
	v_add_co_u32_e32 v7, vcc, v14, v12
	v_addc_co_u32_e32 v14, vcc, v11, v13, vcc
	v_lshlrev_b32_e32 v11, 1, v1
	v_add_co_u32_e32 v11, vcc, v11, v7
	v_addc_co_u32_e32 v12, vcc, 0, v14, vcc
	v_add_co_u32_e32 v15, vcc, -2, v11
	v_addc_co_u32_e32 v16, vcc, -1, v12, vcc
	v_cmp_eq_u32_e32 vcc, 0, v59
	v_cndmask_b32_e64 v12, 1, 2, vcc
	v_cmp_eq_u32_e32 vcc, 0, v58
	v_cndmask_b32_e64 v13, 1, 2, vcc
	v_cmp_eq_u32_e32 vcc, 0, v57
	v_and_b32_e32 v12, v13, v12
	v_cndmask_b32_e64 v13, 1, 2, vcc
	v_cmp_eq_u32_e32 vcc, 0, v56
	v_and_b32_e32 v12, v12, v13
	;; [unrolled: 3-line block ×11, first 2 shown]
	v_cndmask_b32_e64 v13, 1, 2, vcc
	v_cmp_eq_u32_e32 vcc, 0, v53
	v_sub_u32_e32 v5, v4, v1
	v_and_b32_e32 v12, v12, v13
	v_cndmask_b32_e64 v13, 1, 2, vcc
	v_cmp_eq_u32_e32 vcc, 0, v52
	v_add_u32_e32 v5, v5, v10
	v_and_b32_e32 v12, v12, v13
	v_cndmask_b32_e64 v13, 1, 2, vcc
	v_and_b32_e32 v12, v12, v13
	v_cmp_gt_u32_e32 vcc, s36, v5
	v_add_u32_e32 v11, v6, v1
	v_cmp_ne_u32_e64 s[28:29], 0, v59
	v_cmp_ne_u32_e64 s[26:27], 0, v58
	;; [unrolled: 1-line block ×15, first 2 shown]
	s_mov_b64 s[34:35], -1
	v_cmp_gt_i16_e64 s[30:31], 2, v12
	s_barrier
	s_cbranch_vccz .LBB969_205
; %bb.168:
	s_and_saveexec_b64 s[34:35], s[30:31]
	s_cbranch_execz .LBB969_204
; %bb.169:
	v_cmp_ne_u16_e32 vcc, 1, v12
	s_mov_b64 s[36:37], 0
	s_and_saveexec_b64 s[30:31], vcc
	s_xor_b64 s[30:31], exec, s[30:31]
	s_cbranch_execz .LBB969_184
; %bb.170:
	s_and_saveexec_b64 s[36:37], s[28:29]
	s_cbranch_execz .LBB969_187
; %bb.171:
	v_sub_u32_e32 v18, v50, v11
	v_mov_b32_e32 v19, 0
	v_lshlrev_b64 v[18:19], 1, v[18:19]
	v_add_co_u32_e32 v18, vcc, v15, v18
	v_addc_co_u32_e32 v19, vcc, v16, v19, vcc
	global_store_short v[18:19], v51, off
	s_or_b64 exec, exec, s[36:37]
	s_and_saveexec_b64 s[36:37], s[26:27]
	s_cbranch_execnz .LBB969_188
.LBB969_172:
	s_or_b64 exec, exec, s[36:37]
	s_and_saveexec_b64 s[36:37], s[24:25]
	s_cbranch_execz .LBB969_189
.LBB969_173:
	v_sub_u32_e32 v18, v46, v11
	v_mov_b32_e32 v19, 0
	v_lshlrev_b64 v[18:19], 1, v[18:19]
	v_add_co_u32_e32 v18, vcc, v15, v18
	v_addc_co_u32_e32 v19, vcc, v16, v19, vcc
	global_store_short v[18:19], v47, off
	s_or_b64 exec, exec, s[36:37]
	s_and_saveexec_b64 s[36:37], s[22:23]
	s_cbranch_execnz .LBB969_190
.LBB969_174:
	s_or_b64 exec, exec, s[36:37]
	s_and_saveexec_b64 s[36:37], s[20:21]
	s_cbranch_execz .LBB969_191
.LBB969_175:
	v_sub_u32_e32 v18, v42, v11
	v_mov_b32_e32 v19, 0
	v_lshlrev_b64 v[18:19], 1, v[18:19]
	v_add_co_u32_e32 v18, vcc, v15, v18
	v_addc_co_u32_e32 v19, vcc, v16, v19, vcc
	global_store_short v[18:19], v43, off
	s_or_b64 exec, exec, s[36:37]
	s_and_saveexec_b64 s[36:37], s[18:19]
	s_cbranch_execnz .LBB969_192
.LBB969_176:
	s_or_b64 exec, exec, s[36:37]
	s_and_saveexec_b64 s[36:37], s[16:17]
	s_cbranch_execz .LBB969_193
.LBB969_177:
	v_sub_u32_e32 v18, v38, v11
	v_mov_b32_e32 v19, 0
	v_lshlrev_b64 v[18:19], 1, v[18:19]
	v_add_co_u32_e32 v18, vcc, v15, v18
	v_addc_co_u32_e32 v19, vcc, v16, v19, vcc
	global_store_short v[18:19], v39, off
	s_or_b64 exec, exec, s[36:37]
	s_and_saveexec_b64 s[36:37], s[14:15]
	s_cbranch_execnz .LBB969_194
.LBB969_178:
	s_or_b64 exec, exec, s[36:37]
	s_and_saveexec_b64 s[36:37], s[12:13]
	s_cbranch_execz .LBB969_195
.LBB969_179:
	v_sub_u32_e32 v18, v34, v11
	v_mov_b32_e32 v19, 0
	v_lshlrev_b64 v[18:19], 1, v[18:19]
	v_add_co_u32_e32 v18, vcc, v15, v18
	v_addc_co_u32_e32 v19, vcc, v16, v19, vcc
	global_store_short v[18:19], v35, off
	s_or_b64 exec, exec, s[36:37]
	s_and_saveexec_b64 s[36:37], s[10:11]
	s_cbranch_execnz .LBB969_196
.LBB969_180:
	s_or_b64 exec, exec, s[36:37]
	s_and_saveexec_b64 s[36:37], s[8:9]
	s_cbranch_execz .LBB969_197
.LBB969_181:
	v_sub_u32_e32 v18, v30, v11
	v_mov_b32_e32 v19, 0
	v_lshlrev_b64 v[18:19], 1, v[18:19]
	v_add_co_u32_e32 v18, vcc, v15, v18
	v_addc_co_u32_e32 v19, vcc, v16, v19, vcc
	global_store_short v[18:19], v31, off
	s_or_b64 exec, exec, s[36:37]
	s_and_saveexec_b64 s[36:37], s[6:7]
	s_cbranch_execnz .LBB969_198
.LBB969_182:
	s_or_b64 exec, exec, s[36:37]
	s_and_saveexec_b64 s[36:37], s[4:5]
	s_cbranch_execz .LBB969_199
.LBB969_183:
	v_sub_u32_e32 v18, v26, v11
	v_mov_b32_e32 v19, 0
	v_lshlrev_b64 v[18:19], 1, v[18:19]
	v_add_co_u32_e32 v18, vcc, v15, v18
	v_addc_co_u32_e32 v19, vcc, v16, v19, vcc
	global_store_short v[18:19], v27, off
	s_or_b64 exec, exec, s[36:37]
	s_and_saveexec_b64 s[36:37], s[2:3]
	s_cbranch_execnz .LBB969_200
	s_branch .LBB969_201
.LBB969_184:
	s_andn2_saveexec_b64 s[30:31], s[30:31]
	s_cbranch_execz .LBB969_202
.LBB969_185:
	v_sub_u32_e32 v18, v50, v11
	v_mov_b32_e32 v19, 0
	v_lshlrev_b64 v[20:21], 1, v[18:19]
	v_add_co_u32_e32 v20, vcc, v15, v20
	v_addc_co_u32_e32 v21, vcc, v16, v21, vcc
	v_sub_u32_e32 v18, v48, v11
	global_store_short v[20:21], v51, off
	v_lshlrev_b64 v[20:21], 1, v[18:19]
	v_add_co_u32_e32 v20, vcc, v15, v20
	v_addc_co_u32_e32 v21, vcc, v16, v21, vcc
	v_sub_u32_e32 v18, v46, v11
	global_store_short v[20:21], v49, off
	;; [unrolled: 5-line block ×12, first 2 shown]
	v_lshlrev_b64 v[20:21], 1, v[18:19]
	v_add_co_u32_e32 v20, vcc, v15, v20
	v_sub_u32_e32 v18, v8, v11
	v_addc_co_u32_e32 v21, vcc, v16, v21, vcc
	v_lshlrev_b64 v[18:19], 1, v[18:19]
	v_add_co_u32_e32 v18, vcc, v15, v18
	v_addc_co_u32_e32 v19, vcc, v16, v19, vcc
	s_or_b64 s[36:37], s[36:37], exec
	global_store_short v[20:21], v27, off
	global_store_short v[18:19], v9, off
	s_or_b64 exec, exec, s[30:31]
	s_and_b64 exec, exec, s[36:37]
	s_cbranch_execnz .LBB969_203
	s_branch .LBB969_204
.LBB969_186:
	s_or_b64 exec, exec, s[4:5]
	v_mov_b32_e32 v82, s10
	s_and_saveexec_b64 s[4:5], s[2:3]
	s_cbranch_execnz .LBB969_72
	s_branch .LBB969_73
.LBB969_187:
	s_or_b64 exec, exec, s[36:37]
	s_and_saveexec_b64 s[36:37], s[26:27]
	s_cbranch_execz .LBB969_172
.LBB969_188:
	v_sub_u32_e32 v18, v48, v11
	v_mov_b32_e32 v19, 0
	v_lshlrev_b64 v[18:19], 1, v[18:19]
	v_add_co_u32_e32 v18, vcc, v15, v18
	v_addc_co_u32_e32 v19, vcc, v16, v19, vcc
	global_store_short v[18:19], v49, off
	s_or_b64 exec, exec, s[36:37]
	s_and_saveexec_b64 s[36:37], s[24:25]
	s_cbranch_execnz .LBB969_173
.LBB969_189:
	s_or_b64 exec, exec, s[36:37]
	s_and_saveexec_b64 s[36:37], s[22:23]
	s_cbranch_execz .LBB969_174
.LBB969_190:
	v_sub_u32_e32 v18, v44, v11
	v_mov_b32_e32 v19, 0
	v_lshlrev_b64 v[18:19], 1, v[18:19]
	v_add_co_u32_e32 v18, vcc, v15, v18
	v_addc_co_u32_e32 v19, vcc, v16, v19, vcc
	global_store_short v[18:19], v45, off
	s_or_b64 exec, exec, s[36:37]
	s_and_saveexec_b64 s[36:37], s[20:21]
	s_cbranch_execnz .LBB969_175
.LBB969_191:
	s_or_b64 exec, exec, s[36:37]
	s_and_saveexec_b64 s[36:37], s[18:19]
	s_cbranch_execz .LBB969_176
.LBB969_192:
	v_sub_u32_e32 v18, v40, v11
	v_mov_b32_e32 v19, 0
	v_lshlrev_b64 v[18:19], 1, v[18:19]
	v_add_co_u32_e32 v18, vcc, v15, v18
	v_addc_co_u32_e32 v19, vcc, v16, v19, vcc
	global_store_short v[18:19], v41, off
	s_or_b64 exec, exec, s[36:37]
	s_and_saveexec_b64 s[36:37], s[16:17]
	s_cbranch_execnz .LBB969_177
.LBB969_193:
	s_or_b64 exec, exec, s[36:37]
	s_and_saveexec_b64 s[36:37], s[14:15]
	s_cbranch_execz .LBB969_178
.LBB969_194:
	v_sub_u32_e32 v18, v36, v11
	v_mov_b32_e32 v19, 0
	v_lshlrev_b64 v[18:19], 1, v[18:19]
	v_add_co_u32_e32 v18, vcc, v15, v18
	v_addc_co_u32_e32 v19, vcc, v16, v19, vcc
	global_store_short v[18:19], v37, off
	s_or_b64 exec, exec, s[36:37]
	s_and_saveexec_b64 s[36:37], s[12:13]
	s_cbranch_execnz .LBB969_179
.LBB969_195:
	s_or_b64 exec, exec, s[36:37]
	s_and_saveexec_b64 s[36:37], s[10:11]
	s_cbranch_execz .LBB969_180
.LBB969_196:
	v_sub_u32_e32 v18, v32, v11
	v_mov_b32_e32 v19, 0
	v_lshlrev_b64 v[18:19], 1, v[18:19]
	v_add_co_u32_e32 v18, vcc, v15, v18
	v_addc_co_u32_e32 v19, vcc, v16, v19, vcc
	global_store_short v[18:19], v33, off
	s_or_b64 exec, exec, s[36:37]
	s_and_saveexec_b64 s[36:37], s[8:9]
	s_cbranch_execnz .LBB969_181
.LBB969_197:
	s_or_b64 exec, exec, s[36:37]
	s_and_saveexec_b64 s[36:37], s[6:7]
	s_cbranch_execz .LBB969_182
.LBB969_198:
	v_sub_u32_e32 v18, v28, v11
	v_mov_b32_e32 v19, 0
	v_lshlrev_b64 v[18:19], 1, v[18:19]
	v_add_co_u32_e32 v18, vcc, v15, v18
	v_addc_co_u32_e32 v19, vcc, v16, v19, vcc
	global_store_short v[18:19], v29, off
	s_or_b64 exec, exec, s[36:37]
	s_and_saveexec_b64 s[36:37], s[4:5]
	s_cbranch_execnz .LBB969_183
.LBB969_199:
	s_or_b64 exec, exec, s[36:37]
	s_and_saveexec_b64 s[36:37], s[2:3]
	s_cbranch_execz .LBB969_201
.LBB969_200:
	v_sub_u32_e32 v18, v8, v11
	v_mov_b32_e32 v19, 0
	v_lshlrev_b64 v[18:19], 1, v[18:19]
	v_add_co_u32_e32 v18, vcc, v15, v18
	v_addc_co_u32_e32 v19, vcc, v16, v19, vcc
	global_store_short v[18:19], v9, off
.LBB969_201:
	s_or_b64 exec, exec, s[36:37]
	s_and_b64 s[36:37], s[0:1], exec
	s_andn2_saveexec_b64 s[30:31], s[30:31]
	s_cbranch_execnz .LBB969_185
.LBB969_202:
	s_or_b64 exec, exec, s[30:31]
	s_and_b64 exec, exec, s[36:37]
	s_cbranch_execz .LBB969_204
.LBB969_203:
	v_sub_u32_e32 v18, v2, v11
	v_mov_b32_e32 v19, 0
	v_lshlrev_b64 v[18:19], 1, v[18:19]
	v_add_co_u32_e32 v18, vcc, v15, v18
	v_addc_co_u32_e32 v19, vcc, v16, v19, vcc
	global_store_short v[18:19], v3, off
.LBB969_204:
	s_or_b64 exec, exec, s[34:35]
	s_mov_b64 s[34:35], 0
.LBB969_205:
	s_and_b64 vcc, exec, s[34:35]
	s_cbranch_vccz .LBB969_257
; %bb.206:
	v_cmp_gt_i16_e32 vcc, 2, v12
	s_and_saveexec_b64 s[30:31], vcc
	s_cbranch_execz .LBB969_241
; %bb.207:
	v_cmp_ne_u16_e32 vcc, 1, v12
	s_mov_b64 s[36:37], 0
	s_and_saveexec_b64 s[34:35], vcc
	s_xor_b64 s[34:35], exec, s[34:35]
	s_cbranch_execz .LBB969_222
; %bb.208:
	s_and_saveexec_b64 s[36:37], s[28:29]
	s_cbranch_execz .LBB969_224
; %bb.209:
	v_sub_u32_e32 v12, v50, v11
	v_lshlrev_b32_e32 v12, 1, v12
	ds_write_b16 v12, v51
	s_or_b64 exec, exec, s[36:37]
	s_and_saveexec_b64 s[28:29], s[26:27]
	s_cbranch_execnz .LBB969_225
.LBB969_210:
	s_or_b64 exec, exec, s[28:29]
	s_and_saveexec_b64 s[26:27], s[24:25]
	s_cbranch_execz .LBB969_226
.LBB969_211:
	v_sub_u32_e32 v12, v46, v11
	v_lshlrev_b32_e32 v12, 1, v12
	ds_write_b16 v12, v47
	s_or_b64 exec, exec, s[26:27]
	s_and_saveexec_b64 s[24:25], s[22:23]
	s_cbranch_execnz .LBB969_227
.LBB969_212:
	s_or_b64 exec, exec, s[24:25]
	s_and_saveexec_b64 s[22:23], s[20:21]
	s_cbranch_execz .LBB969_228
.LBB969_213:
	v_sub_u32_e32 v12, v42, v11
	v_lshlrev_b32_e32 v12, 1, v12
	ds_write_b16 v12, v43
	s_or_b64 exec, exec, s[22:23]
	s_and_saveexec_b64 s[20:21], s[18:19]
	s_cbranch_execnz .LBB969_229
.LBB969_214:
	s_or_b64 exec, exec, s[20:21]
	s_and_saveexec_b64 s[18:19], s[16:17]
	s_cbranch_execz .LBB969_230
.LBB969_215:
	v_sub_u32_e32 v12, v38, v11
	v_lshlrev_b32_e32 v12, 1, v12
	ds_write_b16 v12, v39
	s_or_b64 exec, exec, s[18:19]
	s_and_saveexec_b64 s[16:17], s[14:15]
	s_cbranch_execnz .LBB969_231
.LBB969_216:
	s_or_b64 exec, exec, s[16:17]
	s_and_saveexec_b64 s[14:15], s[12:13]
	s_cbranch_execz .LBB969_232
.LBB969_217:
	v_sub_u32_e32 v12, v34, v11
	v_lshlrev_b32_e32 v12, 1, v12
	ds_write_b16 v12, v35
	s_or_b64 exec, exec, s[14:15]
	s_and_saveexec_b64 s[12:13], s[10:11]
	s_cbranch_execnz .LBB969_233
.LBB969_218:
	s_or_b64 exec, exec, s[12:13]
	s_and_saveexec_b64 s[10:11], s[8:9]
	s_cbranch_execz .LBB969_234
.LBB969_219:
	v_sub_u32_e32 v12, v30, v11
	v_lshlrev_b32_e32 v12, 1, v12
	ds_write_b16 v12, v31
	s_or_b64 exec, exec, s[10:11]
	s_and_saveexec_b64 s[8:9], s[6:7]
	s_cbranch_execnz .LBB969_235
.LBB969_220:
	s_or_b64 exec, exec, s[8:9]
	s_and_saveexec_b64 s[6:7], s[4:5]
	s_cbranch_execz .LBB969_236
.LBB969_221:
	v_sub_u32_e32 v12, v26, v11
	v_lshlrev_b32_e32 v12, 1, v12
	ds_write_b16 v12, v27
	s_or_b64 exec, exec, s[6:7]
	s_and_saveexec_b64 s[4:5], s[2:3]
	s_cbranch_execnz .LBB969_237
	s_branch .LBB969_238
.LBB969_222:
	s_andn2_saveexec_b64 s[0:1], s[34:35]
	s_cbranch_execz .LBB969_239
.LBB969_223:
	v_sub_u32_e32 v12, v50, v11
	v_lshlrev_b32_e32 v12, 1, v12
	ds_write_b16 v12, v51
	v_sub_u32_e32 v12, v48, v11
	v_lshlrev_b32_e32 v12, 1, v12
	ds_write_b16 v12, v49
	;; [unrolled: 3-line block ×12, first 2 shown]
	v_sub_u32_e32 v12, v26, v11
	v_sub_u32_e32 v8, v8, v11
	v_lshlrev_b32_e32 v12, 1, v12
	v_lshlrev_b32_e32 v8, 1, v8
	s_or_b64 s[36:37], s[36:37], exec
	ds_write_b16 v12, v27
	ds_write_b16 v8, v9
	s_or_b64 exec, exec, s[0:1]
	s_and_b64 exec, exec, s[36:37]
	s_cbranch_execnz .LBB969_240
	s_branch .LBB969_241
.LBB969_224:
	s_or_b64 exec, exec, s[36:37]
	s_and_saveexec_b64 s[28:29], s[26:27]
	s_cbranch_execz .LBB969_210
.LBB969_225:
	v_sub_u32_e32 v12, v48, v11
	v_lshlrev_b32_e32 v12, 1, v12
	ds_write_b16 v12, v49
	s_or_b64 exec, exec, s[28:29]
	s_and_saveexec_b64 s[26:27], s[24:25]
	s_cbranch_execnz .LBB969_211
.LBB969_226:
	s_or_b64 exec, exec, s[26:27]
	s_and_saveexec_b64 s[24:25], s[22:23]
	s_cbranch_execz .LBB969_212
.LBB969_227:
	v_sub_u32_e32 v12, v44, v11
	v_lshlrev_b32_e32 v12, 1, v12
	ds_write_b16 v12, v45
	s_or_b64 exec, exec, s[24:25]
	s_and_saveexec_b64 s[22:23], s[20:21]
	s_cbranch_execnz .LBB969_213
.LBB969_228:
	s_or_b64 exec, exec, s[22:23]
	s_and_saveexec_b64 s[20:21], s[18:19]
	s_cbranch_execz .LBB969_214
.LBB969_229:
	v_sub_u32_e32 v12, v40, v11
	v_lshlrev_b32_e32 v12, 1, v12
	ds_write_b16 v12, v41
	s_or_b64 exec, exec, s[20:21]
	s_and_saveexec_b64 s[18:19], s[16:17]
	s_cbranch_execnz .LBB969_215
.LBB969_230:
	s_or_b64 exec, exec, s[18:19]
	s_and_saveexec_b64 s[16:17], s[14:15]
	s_cbranch_execz .LBB969_216
.LBB969_231:
	v_sub_u32_e32 v12, v36, v11
	v_lshlrev_b32_e32 v12, 1, v12
	ds_write_b16 v12, v37
	s_or_b64 exec, exec, s[16:17]
	s_and_saveexec_b64 s[14:15], s[12:13]
	s_cbranch_execnz .LBB969_217
.LBB969_232:
	s_or_b64 exec, exec, s[14:15]
	s_and_saveexec_b64 s[12:13], s[10:11]
	s_cbranch_execz .LBB969_218
.LBB969_233:
	v_sub_u32_e32 v12, v32, v11
	v_lshlrev_b32_e32 v12, 1, v12
	ds_write_b16 v12, v33
	s_or_b64 exec, exec, s[12:13]
	s_and_saveexec_b64 s[10:11], s[8:9]
	s_cbranch_execnz .LBB969_219
.LBB969_234:
	s_or_b64 exec, exec, s[10:11]
	s_and_saveexec_b64 s[8:9], s[6:7]
	s_cbranch_execz .LBB969_220
.LBB969_235:
	v_sub_u32_e32 v12, v28, v11
	v_lshlrev_b32_e32 v12, 1, v12
	ds_write_b16 v12, v29
	s_or_b64 exec, exec, s[8:9]
	s_and_saveexec_b64 s[6:7], s[4:5]
	s_cbranch_execnz .LBB969_221
.LBB969_236:
	s_or_b64 exec, exec, s[6:7]
	s_and_saveexec_b64 s[4:5], s[2:3]
	s_cbranch_execz .LBB969_238
.LBB969_237:
	v_sub_u32_e32 v8, v8, v11
	v_lshlrev_b32_e32 v8, 1, v8
	ds_write_b16 v8, v9
.LBB969_238:
	s_or_b64 exec, exec, s[4:5]
	s_and_b64 s[36:37], s[0:1], exec
                                        ; implicit-def: $vgpr50_vgpr51
                                        ; implicit-def: $vgpr48_vgpr49
                                        ; implicit-def: $vgpr46_vgpr47
                                        ; implicit-def: $vgpr44_vgpr45
                                        ; implicit-def: $vgpr42_vgpr43
                                        ; implicit-def: $vgpr40_vgpr41
                                        ; implicit-def: $vgpr38_vgpr39
                                        ; implicit-def: $vgpr36_vgpr37
                                        ; implicit-def: $vgpr34_vgpr35
                                        ; implicit-def: $vgpr32_vgpr33
                                        ; implicit-def: $vgpr30_vgpr31
                                        ; implicit-def: $vgpr28_vgpr29
                                        ; implicit-def: $vgpr26_vgpr27
                                        ; implicit-def: $vgpr8_vgpr9
	s_andn2_saveexec_b64 s[0:1], s[34:35]
	s_cbranch_execnz .LBB969_223
.LBB969_239:
	s_or_b64 exec, exec, s[0:1]
	s_and_b64 exec, exec, s[36:37]
	s_cbranch_execz .LBB969_241
.LBB969_240:
	v_sub_u32_e32 v2, v2, v11
	v_lshlrev_b32_e32 v2, 1, v2
	ds_write_b16 v2, v3
.LBB969_241:
	s_or_b64 exec, exec, s[30:31]
	v_cmp_lt_u32_e32 vcc, v0, v5
	s_waitcnt lgkmcnt(0)
	s_barrier
	s_and_saveexec_b64 s[2:3], vcc
	s_cbranch_execz .LBB969_256
; %bb.242:
	v_add_u32_e32 v8, v4, v10
	v_xad_u32 v2, v0, -1, v8
	v_sub_u32_e32 v3, v2, v1
	s_movk_i32 s0, 0x1b00
	v_cmp_gt_u32_e64 s[4:5], s0, v3
	s_movk_i32 s0, 0x1aff
	v_cmp_lt_u32_e32 vcc, s0, v3
	v_mov_b32_e32 v2, v0
	s_and_saveexec_b64 s[6:7], vcc
	s_cbranch_execz .LBB969_253
; %bb.243:
	v_sub_u32_e32 v2, v0, v8
	v_add_u32_e32 v1, v2, v1
	v_or_b32_e32 v1, 0xff, v1
	v_cmp_ge_u32_e32 vcc, v1, v0
	s_mov_b64 s[0:1], -1
	v_mov_b32_e32 v2, v0
	s_and_saveexec_b64 s[8:9], vcc
	s_cbranch_execz .LBB969_252
; %bb.244:
	v_lshrrev_b32_e32 v17, 8, v3
	v_add_u32_e32 v8, -3, v17
	v_or_b32_e32 v3, 0x300, v0
	v_or_b32_e32 v2, 0x200, v0
	v_lshrrev_b32_e32 v9, 2, v8
	v_or_b32_e32 v1, 0x100, v0
	v_add_u32_e32 v19, 1, v9
	v_cmp_lt_u32_e32 vcc, 11, v8
	v_pk_mov_b32 v[10:11], v[2:3], v[2:3] op_sel:[0,1]
	v_mov_b32_e32 v22, 0
	v_lshlrev_b32_e32 v18, 1, v0
	v_pk_mov_b32 v[8:9], v[0:1], v[0:1] op_sel:[0,1]
	s_and_saveexec_b64 s[10:11], vcc
	s_cbranch_execz .LBB969_248
; %bb.245:
	v_pk_mov_b32 v[10:11], v[2:3], v[2:3] op_sel:[0,1]
	v_and_b32_e32 v20, 0x7ffffffc, v19
	s_mov_b32 s14, 0
	s_mov_b64 s[12:13], 0
	v_mov_b32_e32 v13, 0
	v_mov_b32_e32 v21, v18
	v_pk_mov_b32 v[8:9], v[0:1], v[0:1] op_sel:[0,1]
.LBB969_246:                            ; =>This Inner Loop Header: Depth=1
	v_mov_b32_e32 v12, v8
	v_lshlrev_b64 v[40:41], 1, v[12:13]
	v_add_u32_e32 v26, 0x400, v9
	v_mov_b32_e32 v27, v13
	v_add_co_u32_e64 v40, s[0:1], v15, v40
	v_lshlrev_b64 v[26:27], 1, v[26:27]
	v_addc_co_u32_e64 v41, s[0:1], v16, v41, s[0:1]
	v_add_u32_e32 v22, 0x400, v10
	v_mov_b32_e32 v23, v13
	v_add_co_u32_e64 v26, s[0:1], v15, v26
	v_lshlrev_b64 v[42:43], 1, v[22:23]
	v_addc_co_u32_e64 v27, s[0:1], v16, v27, s[0:1]
	v_add_u32_e32 v2, 0x400, v11
	v_mov_b32_e32 v3, v13
	v_add_co_u32_e64 v42, s[0:1], v15, v42
	v_add_u32_e32 v20, -4, v20
	v_mov_b32_e32 v12, v9
	v_lshlrev_b64 v[2:3], 1, v[2:3]
	v_addc_co_u32_e64 v43, s[0:1], v16, v43, s[0:1]
	v_add_u32_e32 v32, 0x800, v9
	v_mov_b32_e32 v33, v13
	s_add_i32 s14, s14, 16
	v_cmp_eq_u32_e32 vcc, 0, v20
	v_lshlrev_b64 v[44:45], 1, v[12:13]
	v_add_co_u32_e64 v2, s[0:1], v15, v2
	v_lshlrev_b64 v[32:33], 1, v[32:33]
	v_mov_b32_e32 v12, v10
	v_addc_co_u32_e64 v3, s[0:1], v16, v3, s[0:1]
	s_or_b64 s[12:13], vcc, s[12:13]
	v_add_co_u32_e32 v44, vcc, v15, v44
	v_add_u32_e32 v30, 0x800, v10
	v_mov_b32_e32 v31, v13
	v_add_co_u32_e64 v32, s[0:1], v15, v32
	v_addc_co_u32_e32 v45, vcc, v16, v45, vcc
	v_lshlrev_b64 v[46:47], 1, v[12:13]
	v_lshlrev_b64 v[30:31], 1, v[30:31]
	v_addc_co_u32_e64 v33, s[0:1], v16, v33, s[0:1]
	v_mov_b32_e32 v12, v11
	v_add_co_u32_e32 v46, vcc, v15, v46
	ds_read_u16 v1, v21
	ds_read_u16 v50, v21 offset:512
	ds_read_u16 v51, v21 offset:1024
	;; [unrolled: 1-line block ×7, first 2 shown]
	v_add_u32_e32 v28, 0x800, v11
	v_mov_b32_e32 v29, v13
	v_add_co_u32_e64 v30, s[0:1], v15, v30
	v_addc_co_u32_e32 v47, vcc, v16, v47, vcc
	v_lshlrev_b64 v[48:49], 1, v[12:13]
	v_lshlrev_b64 v[28:29], 1, v[28:29]
	v_addc_co_u32_e64 v31, s[0:1], v16, v31, s[0:1]
	v_add_u32_e32 v12, 0x400, v8
	v_add_co_u32_e32 v48, vcc, v15, v48
	v_add_u32_e32 v38, 0xc00, v9
	v_mov_b32_e32 v39, v13
	ds_read_u16 v57, v21 offset:4096
	ds_read_u16 v58, v21 offset:4608
	;; [unrolled: 1-line block ×8, first 2 shown]
	v_add_co_u32_e64 v28, s[0:1], v15, v28
	v_addc_co_u32_e32 v49, vcc, v16, v49, vcc
	s_waitcnt lgkmcnt(14)
	global_store_short v[40:41], v1, off
	global_store_short v[44:45], v50, off
	s_waitcnt lgkmcnt(13)
	global_store_short v[46:47], v51, off
	v_lshlrev_b64 v[40:41], 1, v[12:13]
	v_lshlrev_b64 v[38:39], 1, v[38:39]
	v_addc_co_u32_e64 v29, s[0:1], v16, v29, s[0:1]
	v_add_u32_e32 v12, 0x800, v8
	v_add_co_u32_e32 v40, vcc, v15, v40
	v_add_u32_e32 v36, 0xc00, v10
	v_mov_b32_e32 v37, v13
	v_add_co_u32_e64 v38, s[0:1], v15, v38
	v_addc_co_u32_e32 v41, vcc, v16, v41, vcc
	v_lshlrev_b64 v[44:45], 1, v[12:13]
	v_lshlrev_b64 v[36:37], 1, v[36:37]
	v_addc_co_u32_e64 v39, s[0:1], v16, v39, s[0:1]
	s_waitcnt lgkmcnt(12)
	global_store_short v[48:49], v52, off
	v_add_u32_e32 v12, 0xc00, v8
	s_waitcnt lgkmcnt(11)
	global_store_short v[40:41], v53, off
	s_waitcnt lgkmcnt(10)
	global_store_short v[26:27], v54, off
	;; [unrolled: 2-line block ×4, first 2 shown]
	v_add_co_u32_e32 v2, vcc, v15, v44
	v_add_u32_e32 v34, 0xc00, v11
	v_mov_b32_e32 v35, v13
	v_add_co_u32_e64 v36, s[0:1], v15, v36
	v_addc_co_u32_e32 v3, vcc, v16, v45, vcc
	v_lshlrev_b64 v[26:27], 1, v[12:13]
	v_lshlrev_b64 v[34:35], 1, v[34:35]
	v_addc_co_u32_e64 v37, s[0:1], v16, v37, s[0:1]
	s_waitcnt lgkmcnt(7)
	global_store_short v[2:3], v57, off
	s_waitcnt lgkmcnt(6)
	global_store_short v[32:33], v58, off
	;; [unrolled: 2-line block ×4, first 2 shown]
	v_add_co_u32_e32 v2, vcc, v15, v26
	v_add_u32_e32 v21, 0x2000, v21
	v_add_u32_e32 v9, 0x1000, v9
	v_mov_b32_e32 v22, s14
	v_add_co_u32_e64 v34, s[0:1], v15, v34
	v_add_u32_e32 v10, 0x1000, v10
	v_add_u32_e32 v11, 0x1000, v11
	;; [unrolled: 1-line block ×3, first 2 shown]
	v_addc_co_u32_e32 v3, vcc, v16, v27, vcc
	v_addc_co_u32_e64 v35, s[0:1], v16, v35, s[0:1]
	s_waitcnt lgkmcnt(3)
	global_store_short v[2:3], v61, off
	s_waitcnt lgkmcnt(2)
	global_store_short v[38:39], v62, off
	;; [unrolled: 2-line block ×4, first 2 shown]
	s_andn2_b64 exec, exec, s[12:13]
	s_cbranch_execnz .LBB969_246
; %bb.247:
	s_or_b64 exec, exec, s[12:13]
.LBB969_248:
	s_or_b64 exec, exec, s[10:11]
	v_and_b32_e32 v1, 3, v19
	v_cmp_ne_u32_e32 vcc, 0, v1
	s_and_saveexec_b64 s[10:11], vcc
	s_cbranch_execz .LBB969_251
; %bb.249:
	v_lshl_or_b32 v12, v22, 9, v18
	s_mov_b64 s[12:13], 0
	v_mov_b32_e32 v3, 0
.LBB969_250:                            ; =>This Inner Loop Header: Depth=1
	v_mov_b32_e32 v2, v8
	v_add_u32_e32 v1, -1, v1
	v_lshlrev_b64 v[18:19], 1, v[2:3]
	v_mov_b32_e32 v2, v9
	v_cmp_eq_u32_e32 vcc, 0, v1
	v_lshlrev_b64 v[20:21], 1, v[2:3]
	ds_read_u16 v13, v12
	ds_read_u16 v28, v12 offset:512
	ds_read_u16 v29, v12 offset:1024
	;; [unrolled: 1-line block ×3, first 2 shown]
	v_mov_b32_e32 v2, v10
	s_or_b64 s[12:13], vcc, s[12:13]
	v_add_co_u32_e32 v20, vcc, v15, v20
	v_addc_co_u32_e32 v21, vcc, v16, v21, vcc
	v_lshlrev_b64 v[22:23], 1, v[2:3]
	v_mov_b32_e32 v2, v11
	v_add_co_u32_e32 v22, vcc, v15, v22
	v_add_co_u32_e64 v18, s[0:1], v15, v18
	v_addc_co_u32_e32 v23, vcc, v16, v23, vcc
	v_lshlrev_b64 v[26:27], 1, v[2:3]
	v_add_u32_e32 v8, 0x400, v8
	v_add_u32_e32 v12, 0x800, v12
	;; [unrolled: 1-line block ×3, first 2 shown]
	v_addc_co_u32_e64 v19, s[0:1], v16, v19, s[0:1]
	v_add_u32_e32 v10, 0x400, v10
	v_add_u32_e32 v11, 0x400, v11
	v_add_co_u32_e32 v26, vcc, v15, v26
	v_addc_co_u32_e32 v27, vcc, v16, v27, vcc
	s_waitcnt lgkmcnt(3)
	global_store_short v[18:19], v13, off
	s_waitcnt lgkmcnt(2)
	global_store_short v[20:21], v28, off
	;; [unrolled: 2-line block ×4, first 2 shown]
	s_andn2_b64 exec, exec, s[12:13]
	s_cbranch_execnz .LBB969_250
.LBB969_251:
	s_or_b64 exec, exec, s[10:11]
	v_add_u32_e32 v1, 1, v17
	v_and_b32_e32 v3, 0x1fffffc, v1
	v_cmp_ne_u32_e32 vcc, v1, v3
	v_lshl_or_b32 v2, v3, 8, v0
	s_orn2_b64 s[0:1], vcc, exec
.LBB969_252:
	s_or_b64 exec, exec, s[8:9]
	s_andn2_b64 s[4:5], s[4:5], exec
	s_and_b64 s[0:1], s[0:1], exec
	s_or_b64 s[4:5], s[4:5], s[0:1]
.LBB969_253:
	s_or_b64 exec, exec, s[6:7]
	s_and_b64 exec, exec, s[4:5]
	s_cbranch_execz .LBB969_256
; %bb.254:
	v_lshlrev_b32_e32 v1, 1, v2
	s_mov_b64 s[0:1], 0
	v_mov_b32_e32 v3, 0
.LBB969_255:                            ; =>This Inner Loop Header: Depth=1
	v_lshlrev_b64 v[8:9], 1, v[2:3]
	ds_read_u16 v10, v1
	v_add_co_u32_e32 v8, vcc, v15, v8
	v_add_u32_e32 v2, 0x100, v2
	v_addc_co_u32_e32 v9, vcc, v16, v9, vcc
	v_cmp_ge_u32_e32 vcc, v2, v5
	v_add_u32_e32 v1, 0x200, v1
	s_or_b64 s[0:1], vcc, s[0:1]
	s_waitcnt lgkmcnt(0)
	global_store_short v[8:9], v10, off
	s_andn2_b64 exec, exec, s[0:1]
	s_cbranch_execnz .LBB969_255
.LBB969_256:
	s_or_b64 exec, exec, s[2:3]
.LBB969_257:
	s_movk_i32 s0, 0xff
	v_cmp_eq_u32_e32 vcc, s0, v0
	s_and_b64 s[0:1], vcc, s[48:49]
	s_and_saveexec_b64 s[2:3], s[0:1]
	s_cbranch_execz .LBB969_260
; %bb.258:
	v_add_co_u32_e32 v0, vcc, v4, v6
	v_addc_co_u32_e64 v1, s[0:1], 0, 0, vcc
	v_add_co_u32_e32 v0, vcc, v0, v24
	v_mov_b32_e32 v5, 0
	v_addc_co_u32_e32 v1, vcc, v1, v25, vcc
	s_cmpk_lg_i32 s33, 0xf00
	global_store_dwordx2 v5, v[0:1], s[42:43]
	s_cbranch_scc1 .LBB969_260
; %bb.259:
	v_lshlrev_b64 v[0:1], 1, v[4:5]
	v_add_co_u32_e32 v0, vcc, v7, v0
	v_addc_co_u32_e32 v1, vcc, v14, v1, vcc
	global_store_short v[0:1], v81, off offset:-2
.LBB969_260:
	s_endpgm
	.section	.rodata,"a",@progbits
	.p2align	6, 0x0
	.amdhsa_kernel _ZN7rocprim17ROCPRIM_400000_NS6detail17trampoline_kernelINS0_14default_configENS1_29reduce_by_key_config_selectorIjtN6thrust23THRUST_200600_302600_NS4plusItEEEEZZNS1_33reduce_by_key_impl_wrapped_configILNS1_25lookback_scan_determinismE0ES3_S9_NS6_6detail15normal_iteratorINS6_10device_ptrIjEEEENSD_INSE_ItEEEENS6_16discard_iteratorINS6_11use_defaultEEESI_PmS8_NS6_8equal_toIjEEEE10hipError_tPvRmT2_T3_mT4_T5_T6_T7_T8_P12ihipStream_tbENKUlT_T0_E_clISt17integral_constantIbLb1EES15_IbLb0EEEEDaS11_S12_EUlS11_E_NS1_11comp_targetILNS1_3genE4ELNS1_11target_archE910ELNS1_3gpuE8ELNS1_3repE0EEENS1_30default_config_static_selectorELNS0_4arch9wavefront6targetE1EEEvT1_
		.amdhsa_group_segment_fixed_size 15360
		.amdhsa_private_segment_fixed_size 0
		.amdhsa_kernarg_size 128
		.amdhsa_user_sgpr_count 6
		.amdhsa_user_sgpr_private_segment_buffer 1
		.amdhsa_user_sgpr_dispatch_ptr 0
		.amdhsa_user_sgpr_queue_ptr 0
		.amdhsa_user_sgpr_kernarg_segment_ptr 1
		.amdhsa_user_sgpr_dispatch_id 0
		.amdhsa_user_sgpr_flat_scratch_init 0
		.amdhsa_user_sgpr_kernarg_preload_length 0
		.amdhsa_user_sgpr_kernarg_preload_offset 0
		.amdhsa_user_sgpr_private_segment_size 0
		.amdhsa_uses_dynamic_stack 0
		.amdhsa_system_sgpr_private_segment_wavefront_offset 0
		.amdhsa_system_sgpr_workgroup_id_x 1
		.amdhsa_system_sgpr_workgroup_id_y 0
		.amdhsa_system_sgpr_workgroup_id_z 0
		.amdhsa_system_sgpr_workgroup_info 0
		.amdhsa_system_vgpr_workitem_id 0
		.amdhsa_next_free_vgpr 87
		.amdhsa_next_free_sgpr 60
		.amdhsa_accum_offset 88
		.amdhsa_reserve_vcc 1
		.amdhsa_reserve_flat_scratch 0
		.amdhsa_float_round_mode_32 0
		.amdhsa_float_round_mode_16_64 0
		.amdhsa_float_denorm_mode_32 3
		.amdhsa_float_denorm_mode_16_64 3
		.amdhsa_dx10_clamp 1
		.amdhsa_ieee_mode 1
		.amdhsa_fp16_overflow 0
		.amdhsa_tg_split 0
		.amdhsa_exception_fp_ieee_invalid_op 0
		.amdhsa_exception_fp_denorm_src 0
		.amdhsa_exception_fp_ieee_div_zero 0
		.amdhsa_exception_fp_ieee_overflow 0
		.amdhsa_exception_fp_ieee_underflow 0
		.amdhsa_exception_fp_ieee_inexact 0
		.amdhsa_exception_int_div_zero 0
	.end_amdhsa_kernel
	.section	.text._ZN7rocprim17ROCPRIM_400000_NS6detail17trampoline_kernelINS0_14default_configENS1_29reduce_by_key_config_selectorIjtN6thrust23THRUST_200600_302600_NS4plusItEEEEZZNS1_33reduce_by_key_impl_wrapped_configILNS1_25lookback_scan_determinismE0ES3_S9_NS6_6detail15normal_iteratorINS6_10device_ptrIjEEEENSD_INSE_ItEEEENS6_16discard_iteratorINS6_11use_defaultEEESI_PmS8_NS6_8equal_toIjEEEE10hipError_tPvRmT2_T3_mT4_T5_T6_T7_T8_P12ihipStream_tbENKUlT_T0_E_clISt17integral_constantIbLb1EES15_IbLb0EEEEDaS11_S12_EUlS11_E_NS1_11comp_targetILNS1_3genE4ELNS1_11target_archE910ELNS1_3gpuE8ELNS1_3repE0EEENS1_30default_config_static_selectorELNS0_4arch9wavefront6targetE1EEEvT1_,"axG",@progbits,_ZN7rocprim17ROCPRIM_400000_NS6detail17trampoline_kernelINS0_14default_configENS1_29reduce_by_key_config_selectorIjtN6thrust23THRUST_200600_302600_NS4plusItEEEEZZNS1_33reduce_by_key_impl_wrapped_configILNS1_25lookback_scan_determinismE0ES3_S9_NS6_6detail15normal_iteratorINS6_10device_ptrIjEEEENSD_INSE_ItEEEENS6_16discard_iteratorINS6_11use_defaultEEESI_PmS8_NS6_8equal_toIjEEEE10hipError_tPvRmT2_T3_mT4_T5_T6_T7_T8_P12ihipStream_tbENKUlT_T0_E_clISt17integral_constantIbLb1EES15_IbLb0EEEEDaS11_S12_EUlS11_E_NS1_11comp_targetILNS1_3genE4ELNS1_11target_archE910ELNS1_3gpuE8ELNS1_3repE0EEENS1_30default_config_static_selectorELNS0_4arch9wavefront6targetE1EEEvT1_,comdat
.Lfunc_end969:
	.size	_ZN7rocprim17ROCPRIM_400000_NS6detail17trampoline_kernelINS0_14default_configENS1_29reduce_by_key_config_selectorIjtN6thrust23THRUST_200600_302600_NS4plusItEEEEZZNS1_33reduce_by_key_impl_wrapped_configILNS1_25lookback_scan_determinismE0ES3_S9_NS6_6detail15normal_iteratorINS6_10device_ptrIjEEEENSD_INSE_ItEEEENS6_16discard_iteratorINS6_11use_defaultEEESI_PmS8_NS6_8equal_toIjEEEE10hipError_tPvRmT2_T3_mT4_T5_T6_T7_T8_P12ihipStream_tbENKUlT_T0_E_clISt17integral_constantIbLb1EES15_IbLb0EEEEDaS11_S12_EUlS11_E_NS1_11comp_targetILNS1_3genE4ELNS1_11target_archE910ELNS1_3gpuE8ELNS1_3repE0EEENS1_30default_config_static_selectorELNS0_4arch9wavefront6targetE1EEEvT1_, .Lfunc_end969-_ZN7rocprim17ROCPRIM_400000_NS6detail17trampoline_kernelINS0_14default_configENS1_29reduce_by_key_config_selectorIjtN6thrust23THRUST_200600_302600_NS4plusItEEEEZZNS1_33reduce_by_key_impl_wrapped_configILNS1_25lookback_scan_determinismE0ES3_S9_NS6_6detail15normal_iteratorINS6_10device_ptrIjEEEENSD_INSE_ItEEEENS6_16discard_iteratorINS6_11use_defaultEEESI_PmS8_NS6_8equal_toIjEEEE10hipError_tPvRmT2_T3_mT4_T5_T6_T7_T8_P12ihipStream_tbENKUlT_T0_E_clISt17integral_constantIbLb1EES15_IbLb0EEEEDaS11_S12_EUlS11_E_NS1_11comp_targetILNS1_3genE4ELNS1_11target_archE910ELNS1_3gpuE8ELNS1_3repE0EEENS1_30default_config_static_selectorELNS0_4arch9wavefront6targetE1EEEvT1_
                                        ; -- End function
	.section	.AMDGPU.csdata,"",@progbits
; Kernel info:
; codeLenInByte = 15548
; NumSgprs: 64
; NumVgprs: 87
; NumAgprs: 0
; TotalNumVgprs: 87
; ScratchSize: 0
; MemoryBound: 0
; FloatMode: 240
; IeeeMode: 1
; LDSByteSize: 15360 bytes/workgroup (compile time only)
; SGPRBlocks: 7
; VGPRBlocks: 10
; NumSGPRsForWavesPerEU: 64
; NumVGPRsForWavesPerEU: 87
; AccumOffset: 88
; Occupancy: 4
; WaveLimiterHint : 1
; COMPUTE_PGM_RSRC2:SCRATCH_EN: 0
; COMPUTE_PGM_RSRC2:USER_SGPR: 6
; COMPUTE_PGM_RSRC2:TRAP_HANDLER: 0
; COMPUTE_PGM_RSRC2:TGID_X_EN: 1
; COMPUTE_PGM_RSRC2:TGID_Y_EN: 0
; COMPUTE_PGM_RSRC2:TGID_Z_EN: 0
; COMPUTE_PGM_RSRC2:TIDIG_COMP_CNT: 0
; COMPUTE_PGM_RSRC3_GFX90A:ACCUM_OFFSET: 21
; COMPUTE_PGM_RSRC3_GFX90A:TG_SPLIT: 0
	.section	.text._ZN7rocprim17ROCPRIM_400000_NS6detail17trampoline_kernelINS0_14default_configENS1_29reduce_by_key_config_selectorIjtN6thrust23THRUST_200600_302600_NS4plusItEEEEZZNS1_33reduce_by_key_impl_wrapped_configILNS1_25lookback_scan_determinismE0ES3_S9_NS6_6detail15normal_iteratorINS6_10device_ptrIjEEEENSD_INSE_ItEEEENS6_16discard_iteratorINS6_11use_defaultEEESI_PmS8_NS6_8equal_toIjEEEE10hipError_tPvRmT2_T3_mT4_T5_T6_T7_T8_P12ihipStream_tbENKUlT_T0_E_clISt17integral_constantIbLb1EES15_IbLb0EEEEDaS11_S12_EUlS11_E_NS1_11comp_targetILNS1_3genE3ELNS1_11target_archE908ELNS1_3gpuE7ELNS1_3repE0EEENS1_30default_config_static_selectorELNS0_4arch9wavefront6targetE1EEEvT1_,"axG",@progbits,_ZN7rocprim17ROCPRIM_400000_NS6detail17trampoline_kernelINS0_14default_configENS1_29reduce_by_key_config_selectorIjtN6thrust23THRUST_200600_302600_NS4plusItEEEEZZNS1_33reduce_by_key_impl_wrapped_configILNS1_25lookback_scan_determinismE0ES3_S9_NS6_6detail15normal_iteratorINS6_10device_ptrIjEEEENSD_INSE_ItEEEENS6_16discard_iteratorINS6_11use_defaultEEESI_PmS8_NS6_8equal_toIjEEEE10hipError_tPvRmT2_T3_mT4_T5_T6_T7_T8_P12ihipStream_tbENKUlT_T0_E_clISt17integral_constantIbLb1EES15_IbLb0EEEEDaS11_S12_EUlS11_E_NS1_11comp_targetILNS1_3genE3ELNS1_11target_archE908ELNS1_3gpuE7ELNS1_3repE0EEENS1_30default_config_static_selectorELNS0_4arch9wavefront6targetE1EEEvT1_,comdat
	.protected	_ZN7rocprim17ROCPRIM_400000_NS6detail17trampoline_kernelINS0_14default_configENS1_29reduce_by_key_config_selectorIjtN6thrust23THRUST_200600_302600_NS4plusItEEEEZZNS1_33reduce_by_key_impl_wrapped_configILNS1_25lookback_scan_determinismE0ES3_S9_NS6_6detail15normal_iteratorINS6_10device_ptrIjEEEENSD_INSE_ItEEEENS6_16discard_iteratorINS6_11use_defaultEEESI_PmS8_NS6_8equal_toIjEEEE10hipError_tPvRmT2_T3_mT4_T5_T6_T7_T8_P12ihipStream_tbENKUlT_T0_E_clISt17integral_constantIbLb1EES15_IbLb0EEEEDaS11_S12_EUlS11_E_NS1_11comp_targetILNS1_3genE3ELNS1_11target_archE908ELNS1_3gpuE7ELNS1_3repE0EEENS1_30default_config_static_selectorELNS0_4arch9wavefront6targetE1EEEvT1_ ; -- Begin function _ZN7rocprim17ROCPRIM_400000_NS6detail17trampoline_kernelINS0_14default_configENS1_29reduce_by_key_config_selectorIjtN6thrust23THRUST_200600_302600_NS4plusItEEEEZZNS1_33reduce_by_key_impl_wrapped_configILNS1_25lookback_scan_determinismE0ES3_S9_NS6_6detail15normal_iteratorINS6_10device_ptrIjEEEENSD_INSE_ItEEEENS6_16discard_iteratorINS6_11use_defaultEEESI_PmS8_NS6_8equal_toIjEEEE10hipError_tPvRmT2_T3_mT4_T5_T6_T7_T8_P12ihipStream_tbENKUlT_T0_E_clISt17integral_constantIbLb1EES15_IbLb0EEEEDaS11_S12_EUlS11_E_NS1_11comp_targetILNS1_3genE3ELNS1_11target_archE908ELNS1_3gpuE7ELNS1_3repE0EEENS1_30default_config_static_selectorELNS0_4arch9wavefront6targetE1EEEvT1_
	.globl	_ZN7rocprim17ROCPRIM_400000_NS6detail17trampoline_kernelINS0_14default_configENS1_29reduce_by_key_config_selectorIjtN6thrust23THRUST_200600_302600_NS4plusItEEEEZZNS1_33reduce_by_key_impl_wrapped_configILNS1_25lookback_scan_determinismE0ES3_S9_NS6_6detail15normal_iteratorINS6_10device_ptrIjEEEENSD_INSE_ItEEEENS6_16discard_iteratorINS6_11use_defaultEEESI_PmS8_NS6_8equal_toIjEEEE10hipError_tPvRmT2_T3_mT4_T5_T6_T7_T8_P12ihipStream_tbENKUlT_T0_E_clISt17integral_constantIbLb1EES15_IbLb0EEEEDaS11_S12_EUlS11_E_NS1_11comp_targetILNS1_3genE3ELNS1_11target_archE908ELNS1_3gpuE7ELNS1_3repE0EEENS1_30default_config_static_selectorELNS0_4arch9wavefront6targetE1EEEvT1_
	.p2align	8
	.type	_ZN7rocprim17ROCPRIM_400000_NS6detail17trampoline_kernelINS0_14default_configENS1_29reduce_by_key_config_selectorIjtN6thrust23THRUST_200600_302600_NS4plusItEEEEZZNS1_33reduce_by_key_impl_wrapped_configILNS1_25lookback_scan_determinismE0ES3_S9_NS6_6detail15normal_iteratorINS6_10device_ptrIjEEEENSD_INSE_ItEEEENS6_16discard_iteratorINS6_11use_defaultEEESI_PmS8_NS6_8equal_toIjEEEE10hipError_tPvRmT2_T3_mT4_T5_T6_T7_T8_P12ihipStream_tbENKUlT_T0_E_clISt17integral_constantIbLb1EES15_IbLb0EEEEDaS11_S12_EUlS11_E_NS1_11comp_targetILNS1_3genE3ELNS1_11target_archE908ELNS1_3gpuE7ELNS1_3repE0EEENS1_30default_config_static_selectorELNS0_4arch9wavefront6targetE1EEEvT1_,@function
_ZN7rocprim17ROCPRIM_400000_NS6detail17trampoline_kernelINS0_14default_configENS1_29reduce_by_key_config_selectorIjtN6thrust23THRUST_200600_302600_NS4plusItEEEEZZNS1_33reduce_by_key_impl_wrapped_configILNS1_25lookback_scan_determinismE0ES3_S9_NS6_6detail15normal_iteratorINS6_10device_ptrIjEEEENSD_INSE_ItEEEENS6_16discard_iteratorINS6_11use_defaultEEESI_PmS8_NS6_8equal_toIjEEEE10hipError_tPvRmT2_T3_mT4_T5_T6_T7_T8_P12ihipStream_tbENKUlT_T0_E_clISt17integral_constantIbLb1EES15_IbLb0EEEEDaS11_S12_EUlS11_E_NS1_11comp_targetILNS1_3genE3ELNS1_11target_archE908ELNS1_3gpuE7ELNS1_3repE0EEENS1_30default_config_static_selectorELNS0_4arch9wavefront6targetE1EEEvT1_: ; @_ZN7rocprim17ROCPRIM_400000_NS6detail17trampoline_kernelINS0_14default_configENS1_29reduce_by_key_config_selectorIjtN6thrust23THRUST_200600_302600_NS4plusItEEEEZZNS1_33reduce_by_key_impl_wrapped_configILNS1_25lookback_scan_determinismE0ES3_S9_NS6_6detail15normal_iteratorINS6_10device_ptrIjEEEENSD_INSE_ItEEEENS6_16discard_iteratorINS6_11use_defaultEEESI_PmS8_NS6_8equal_toIjEEEE10hipError_tPvRmT2_T3_mT4_T5_T6_T7_T8_P12ihipStream_tbENKUlT_T0_E_clISt17integral_constantIbLb1EES15_IbLb0EEEEDaS11_S12_EUlS11_E_NS1_11comp_targetILNS1_3genE3ELNS1_11target_archE908ELNS1_3gpuE7ELNS1_3repE0EEENS1_30default_config_static_selectorELNS0_4arch9wavefront6targetE1EEEvT1_
; %bb.0:
	.section	.rodata,"a",@progbits
	.p2align	6, 0x0
	.amdhsa_kernel _ZN7rocprim17ROCPRIM_400000_NS6detail17trampoline_kernelINS0_14default_configENS1_29reduce_by_key_config_selectorIjtN6thrust23THRUST_200600_302600_NS4plusItEEEEZZNS1_33reduce_by_key_impl_wrapped_configILNS1_25lookback_scan_determinismE0ES3_S9_NS6_6detail15normal_iteratorINS6_10device_ptrIjEEEENSD_INSE_ItEEEENS6_16discard_iteratorINS6_11use_defaultEEESI_PmS8_NS6_8equal_toIjEEEE10hipError_tPvRmT2_T3_mT4_T5_T6_T7_T8_P12ihipStream_tbENKUlT_T0_E_clISt17integral_constantIbLb1EES15_IbLb0EEEEDaS11_S12_EUlS11_E_NS1_11comp_targetILNS1_3genE3ELNS1_11target_archE908ELNS1_3gpuE7ELNS1_3repE0EEENS1_30default_config_static_selectorELNS0_4arch9wavefront6targetE1EEEvT1_
		.amdhsa_group_segment_fixed_size 0
		.amdhsa_private_segment_fixed_size 0
		.amdhsa_kernarg_size 128
		.amdhsa_user_sgpr_count 6
		.amdhsa_user_sgpr_private_segment_buffer 1
		.amdhsa_user_sgpr_dispatch_ptr 0
		.amdhsa_user_sgpr_queue_ptr 0
		.amdhsa_user_sgpr_kernarg_segment_ptr 1
		.amdhsa_user_sgpr_dispatch_id 0
		.amdhsa_user_sgpr_flat_scratch_init 0
		.amdhsa_user_sgpr_kernarg_preload_length 0
		.amdhsa_user_sgpr_kernarg_preload_offset 0
		.amdhsa_user_sgpr_private_segment_size 0
		.amdhsa_uses_dynamic_stack 0
		.amdhsa_system_sgpr_private_segment_wavefront_offset 0
		.amdhsa_system_sgpr_workgroup_id_x 1
		.amdhsa_system_sgpr_workgroup_id_y 0
		.amdhsa_system_sgpr_workgroup_id_z 0
		.amdhsa_system_sgpr_workgroup_info 0
		.amdhsa_system_vgpr_workitem_id 0
		.amdhsa_next_free_vgpr 1
		.amdhsa_next_free_sgpr 0
		.amdhsa_accum_offset 4
		.amdhsa_reserve_vcc 0
		.amdhsa_reserve_flat_scratch 0
		.amdhsa_float_round_mode_32 0
		.amdhsa_float_round_mode_16_64 0
		.amdhsa_float_denorm_mode_32 3
		.amdhsa_float_denorm_mode_16_64 3
		.amdhsa_dx10_clamp 1
		.amdhsa_ieee_mode 1
		.amdhsa_fp16_overflow 0
		.amdhsa_tg_split 0
		.amdhsa_exception_fp_ieee_invalid_op 0
		.amdhsa_exception_fp_denorm_src 0
		.amdhsa_exception_fp_ieee_div_zero 0
		.amdhsa_exception_fp_ieee_overflow 0
		.amdhsa_exception_fp_ieee_underflow 0
		.amdhsa_exception_fp_ieee_inexact 0
		.amdhsa_exception_int_div_zero 0
	.end_amdhsa_kernel
	.section	.text._ZN7rocprim17ROCPRIM_400000_NS6detail17trampoline_kernelINS0_14default_configENS1_29reduce_by_key_config_selectorIjtN6thrust23THRUST_200600_302600_NS4plusItEEEEZZNS1_33reduce_by_key_impl_wrapped_configILNS1_25lookback_scan_determinismE0ES3_S9_NS6_6detail15normal_iteratorINS6_10device_ptrIjEEEENSD_INSE_ItEEEENS6_16discard_iteratorINS6_11use_defaultEEESI_PmS8_NS6_8equal_toIjEEEE10hipError_tPvRmT2_T3_mT4_T5_T6_T7_T8_P12ihipStream_tbENKUlT_T0_E_clISt17integral_constantIbLb1EES15_IbLb0EEEEDaS11_S12_EUlS11_E_NS1_11comp_targetILNS1_3genE3ELNS1_11target_archE908ELNS1_3gpuE7ELNS1_3repE0EEENS1_30default_config_static_selectorELNS0_4arch9wavefront6targetE1EEEvT1_,"axG",@progbits,_ZN7rocprim17ROCPRIM_400000_NS6detail17trampoline_kernelINS0_14default_configENS1_29reduce_by_key_config_selectorIjtN6thrust23THRUST_200600_302600_NS4plusItEEEEZZNS1_33reduce_by_key_impl_wrapped_configILNS1_25lookback_scan_determinismE0ES3_S9_NS6_6detail15normal_iteratorINS6_10device_ptrIjEEEENSD_INSE_ItEEEENS6_16discard_iteratorINS6_11use_defaultEEESI_PmS8_NS6_8equal_toIjEEEE10hipError_tPvRmT2_T3_mT4_T5_T6_T7_T8_P12ihipStream_tbENKUlT_T0_E_clISt17integral_constantIbLb1EES15_IbLb0EEEEDaS11_S12_EUlS11_E_NS1_11comp_targetILNS1_3genE3ELNS1_11target_archE908ELNS1_3gpuE7ELNS1_3repE0EEENS1_30default_config_static_selectorELNS0_4arch9wavefront6targetE1EEEvT1_,comdat
.Lfunc_end970:
	.size	_ZN7rocprim17ROCPRIM_400000_NS6detail17trampoline_kernelINS0_14default_configENS1_29reduce_by_key_config_selectorIjtN6thrust23THRUST_200600_302600_NS4plusItEEEEZZNS1_33reduce_by_key_impl_wrapped_configILNS1_25lookback_scan_determinismE0ES3_S9_NS6_6detail15normal_iteratorINS6_10device_ptrIjEEEENSD_INSE_ItEEEENS6_16discard_iteratorINS6_11use_defaultEEESI_PmS8_NS6_8equal_toIjEEEE10hipError_tPvRmT2_T3_mT4_T5_T6_T7_T8_P12ihipStream_tbENKUlT_T0_E_clISt17integral_constantIbLb1EES15_IbLb0EEEEDaS11_S12_EUlS11_E_NS1_11comp_targetILNS1_3genE3ELNS1_11target_archE908ELNS1_3gpuE7ELNS1_3repE0EEENS1_30default_config_static_selectorELNS0_4arch9wavefront6targetE1EEEvT1_, .Lfunc_end970-_ZN7rocprim17ROCPRIM_400000_NS6detail17trampoline_kernelINS0_14default_configENS1_29reduce_by_key_config_selectorIjtN6thrust23THRUST_200600_302600_NS4plusItEEEEZZNS1_33reduce_by_key_impl_wrapped_configILNS1_25lookback_scan_determinismE0ES3_S9_NS6_6detail15normal_iteratorINS6_10device_ptrIjEEEENSD_INSE_ItEEEENS6_16discard_iteratorINS6_11use_defaultEEESI_PmS8_NS6_8equal_toIjEEEE10hipError_tPvRmT2_T3_mT4_T5_T6_T7_T8_P12ihipStream_tbENKUlT_T0_E_clISt17integral_constantIbLb1EES15_IbLb0EEEEDaS11_S12_EUlS11_E_NS1_11comp_targetILNS1_3genE3ELNS1_11target_archE908ELNS1_3gpuE7ELNS1_3repE0EEENS1_30default_config_static_selectorELNS0_4arch9wavefront6targetE1EEEvT1_
                                        ; -- End function
	.section	.AMDGPU.csdata,"",@progbits
; Kernel info:
; codeLenInByte = 0
; NumSgprs: 4
; NumVgprs: 0
; NumAgprs: 0
; TotalNumVgprs: 0
; ScratchSize: 0
; MemoryBound: 0
; FloatMode: 240
; IeeeMode: 1
; LDSByteSize: 0 bytes/workgroup (compile time only)
; SGPRBlocks: 0
; VGPRBlocks: 0
; NumSGPRsForWavesPerEU: 4
; NumVGPRsForWavesPerEU: 1
; AccumOffset: 4
; Occupancy: 8
; WaveLimiterHint : 0
; COMPUTE_PGM_RSRC2:SCRATCH_EN: 0
; COMPUTE_PGM_RSRC2:USER_SGPR: 6
; COMPUTE_PGM_RSRC2:TRAP_HANDLER: 0
; COMPUTE_PGM_RSRC2:TGID_X_EN: 1
; COMPUTE_PGM_RSRC2:TGID_Y_EN: 0
; COMPUTE_PGM_RSRC2:TGID_Z_EN: 0
; COMPUTE_PGM_RSRC2:TIDIG_COMP_CNT: 0
; COMPUTE_PGM_RSRC3_GFX90A:ACCUM_OFFSET: 0
; COMPUTE_PGM_RSRC3_GFX90A:TG_SPLIT: 0
	.section	.text._ZN7rocprim17ROCPRIM_400000_NS6detail17trampoline_kernelINS0_14default_configENS1_29reduce_by_key_config_selectorIjtN6thrust23THRUST_200600_302600_NS4plusItEEEEZZNS1_33reduce_by_key_impl_wrapped_configILNS1_25lookback_scan_determinismE0ES3_S9_NS6_6detail15normal_iteratorINS6_10device_ptrIjEEEENSD_INSE_ItEEEENS6_16discard_iteratorINS6_11use_defaultEEESI_PmS8_NS6_8equal_toIjEEEE10hipError_tPvRmT2_T3_mT4_T5_T6_T7_T8_P12ihipStream_tbENKUlT_T0_E_clISt17integral_constantIbLb1EES15_IbLb0EEEEDaS11_S12_EUlS11_E_NS1_11comp_targetILNS1_3genE2ELNS1_11target_archE906ELNS1_3gpuE6ELNS1_3repE0EEENS1_30default_config_static_selectorELNS0_4arch9wavefront6targetE1EEEvT1_,"axG",@progbits,_ZN7rocprim17ROCPRIM_400000_NS6detail17trampoline_kernelINS0_14default_configENS1_29reduce_by_key_config_selectorIjtN6thrust23THRUST_200600_302600_NS4plusItEEEEZZNS1_33reduce_by_key_impl_wrapped_configILNS1_25lookback_scan_determinismE0ES3_S9_NS6_6detail15normal_iteratorINS6_10device_ptrIjEEEENSD_INSE_ItEEEENS6_16discard_iteratorINS6_11use_defaultEEESI_PmS8_NS6_8equal_toIjEEEE10hipError_tPvRmT2_T3_mT4_T5_T6_T7_T8_P12ihipStream_tbENKUlT_T0_E_clISt17integral_constantIbLb1EES15_IbLb0EEEEDaS11_S12_EUlS11_E_NS1_11comp_targetILNS1_3genE2ELNS1_11target_archE906ELNS1_3gpuE6ELNS1_3repE0EEENS1_30default_config_static_selectorELNS0_4arch9wavefront6targetE1EEEvT1_,comdat
	.protected	_ZN7rocprim17ROCPRIM_400000_NS6detail17trampoline_kernelINS0_14default_configENS1_29reduce_by_key_config_selectorIjtN6thrust23THRUST_200600_302600_NS4plusItEEEEZZNS1_33reduce_by_key_impl_wrapped_configILNS1_25lookback_scan_determinismE0ES3_S9_NS6_6detail15normal_iteratorINS6_10device_ptrIjEEEENSD_INSE_ItEEEENS6_16discard_iteratorINS6_11use_defaultEEESI_PmS8_NS6_8equal_toIjEEEE10hipError_tPvRmT2_T3_mT4_T5_T6_T7_T8_P12ihipStream_tbENKUlT_T0_E_clISt17integral_constantIbLb1EES15_IbLb0EEEEDaS11_S12_EUlS11_E_NS1_11comp_targetILNS1_3genE2ELNS1_11target_archE906ELNS1_3gpuE6ELNS1_3repE0EEENS1_30default_config_static_selectorELNS0_4arch9wavefront6targetE1EEEvT1_ ; -- Begin function _ZN7rocprim17ROCPRIM_400000_NS6detail17trampoline_kernelINS0_14default_configENS1_29reduce_by_key_config_selectorIjtN6thrust23THRUST_200600_302600_NS4plusItEEEEZZNS1_33reduce_by_key_impl_wrapped_configILNS1_25lookback_scan_determinismE0ES3_S9_NS6_6detail15normal_iteratorINS6_10device_ptrIjEEEENSD_INSE_ItEEEENS6_16discard_iteratorINS6_11use_defaultEEESI_PmS8_NS6_8equal_toIjEEEE10hipError_tPvRmT2_T3_mT4_T5_T6_T7_T8_P12ihipStream_tbENKUlT_T0_E_clISt17integral_constantIbLb1EES15_IbLb0EEEEDaS11_S12_EUlS11_E_NS1_11comp_targetILNS1_3genE2ELNS1_11target_archE906ELNS1_3gpuE6ELNS1_3repE0EEENS1_30default_config_static_selectorELNS0_4arch9wavefront6targetE1EEEvT1_
	.globl	_ZN7rocprim17ROCPRIM_400000_NS6detail17trampoline_kernelINS0_14default_configENS1_29reduce_by_key_config_selectorIjtN6thrust23THRUST_200600_302600_NS4plusItEEEEZZNS1_33reduce_by_key_impl_wrapped_configILNS1_25lookback_scan_determinismE0ES3_S9_NS6_6detail15normal_iteratorINS6_10device_ptrIjEEEENSD_INSE_ItEEEENS6_16discard_iteratorINS6_11use_defaultEEESI_PmS8_NS6_8equal_toIjEEEE10hipError_tPvRmT2_T3_mT4_T5_T6_T7_T8_P12ihipStream_tbENKUlT_T0_E_clISt17integral_constantIbLb1EES15_IbLb0EEEEDaS11_S12_EUlS11_E_NS1_11comp_targetILNS1_3genE2ELNS1_11target_archE906ELNS1_3gpuE6ELNS1_3repE0EEENS1_30default_config_static_selectorELNS0_4arch9wavefront6targetE1EEEvT1_
	.p2align	8
	.type	_ZN7rocprim17ROCPRIM_400000_NS6detail17trampoline_kernelINS0_14default_configENS1_29reduce_by_key_config_selectorIjtN6thrust23THRUST_200600_302600_NS4plusItEEEEZZNS1_33reduce_by_key_impl_wrapped_configILNS1_25lookback_scan_determinismE0ES3_S9_NS6_6detail15normal_iteratorINS6_10device_ptrIjEEEENSD_INSE_ItEEEENS6_16discard_iteratorINS6_11use_defaultEEESI_PmS8_NS6_8equal_toIjEEEE10hipError_tPvRmT2_T3_mT4_T5_T6_T7_T8_P12ihipStream_tbENKUlT_T0_E_clISt17integral_constantIbLb1EES15_IbLb0EEEEDaS11_S12_EUlS11_E_NS1_11comp_targetILNS1_3genE2ELNS1_11target_archE906ELNS1_3gpuE6ELNS1_3repE0EEENS1_30default_config_static_selectorELNS0_4arch9wavefront6targetE1EEEvT1_,@function
_ZN7rocprim17ROCPRIM_400000_NS6detail17trampoline_kernelINS0_14default_configENS1_29reduce_by_key_config_selectorIjtN6thrust23THRUST_200600_302600_NS4plusItEEEEZZNS1_33reduce_by_key_impl_wrapped_configILNS1_25lookback_scan_determinismE0ES3_S9_NS6_6detail15normal_iteratorINS6_10device_ptrIjEEEENSD_INSE_ItEEEENS6_16discard_iteratorINS6_11use_defaultEEESI_PmS8_NS6_8equal_toIjEEEE10hipError_tPvRmT2_T3_mT4_T5_T6_T7_T8_P12ihipStream_tbENKUlT_T0_E_clISt17integral_constantIbLb1EES15_IbLb0EEEEDaS11_S12_EUlS11_E_NS1_11comp_targetILNS1_3genE2ELNS1_11target_archE906ELNS1_3gpuE6ELNS1_3repE0EEENS1_30default_config_static_selectorELNS0_4arch9wavefront6targetE1EEEvT1_: ; @_ZN7rocprim17ROCPRIM_400000_NS6detail17trampoline_kernelINS0_14default_configENS1_29reduce_by_key_config_selectorIjtN6thrust23THRUST_200600_302600_NS4plusItEEEEZZNS1_33reduce_by_key_impl_wrapped_configILNS1_25lookback_scan_determinismE0ES3_S9_NS6_6detail15normal_iteratorINS6_10device_ptrIjEEEENSD_INSE_ItEEEENS6_16discard_iteratorINS6_11use_defaultEEESI_PmS8_NS6_8equal_toIjEEEE10hipError_tPvRmT2_T3_mT4_T5_T6_T7_T8_P12ihipStream_tbENKUlT_T0_E_clISt17integral_constantIbLb1EES15_IbLb0EEEEDaS11_S12_EUlS11_E_NS1_11comp_targetILNS1_3genE2ELNS1_11target_archE906ELNS1_3gpuE6ELNS1_3repE0EEENS1_30default_config_static_selectorELNS0_4arch9wavefront6targetE1EEEvT1_
; %bb.0:
	.section	.rodata,"a",@progbits
	.p2align	6, 0x0
	.amdhsa_kernel _ZN7rocprim17ROCPRIM_400000_NS6detail17trampoline_kernelINS0_14default_configENS1_29reduce_by_key_config_selectorIjtN6thrust23THRUST_200600_302600_NS4plusItEEEEZZNS1_33reduce_by_key_impl_wrapped_configILNS1_25lookback_scan_determinismE0ES3_S9_NS6_6detail15normal_iteratorINS6_10device_ptrIjEEEENSD_INSE_ItEEEENS6_16discard_iteratorINS6_11use_defaultEEESI_PmS8_NS6_8equal_toIjEEEE10hipError_tPvRmT2_T3_mT4_T5_T6_T7_T8_P12ihipStream_tbENKUlT_T0_E_clISt17integral_constantIbLb1EES15_IbLb0EEEEDaS11_S12_EUlS11_E_NS1_11comp_targetILNS1_3genE2ELNS1_11target_archE906ELNS1_3gpuE6ELNS1_3repE0EEENS1_30default_config_static_selectorELNS0_4arch9wavefront6targetE1EEEvT1_
		.amdhsa_group_segment_fixed_size 0
		.amdhsa_private_segment_fixed_size 0
		.amdhsa_kernarg_size 128
		.amdhsa_user_sgpr_count 6
		.amdhsa_user_sgpr_private_segment_buffer 1
		.amdhsa_user_sgpr_dispatch_ptr 0
		.amdhsa_user_sgpr_queue_ptr 0
		.amdhsa_user_sgpr_kernarg_segment_ptr 1
		.amdhsa_user_sgpr_dispatch_id 0
		.amdhsa_user_sgpr_flat_scratch_init 0
		.amdhsa_user_sgpr_kernarg_preload_length 0
		.amdhsa_user_sgpr_kernarg_preload_offset 0
		.amdhsa_user_sgpr_private_segment_size 0
		.amdhsa_uses_dynamic_stack 0
		.amdhsa_system_sgpr_private_segment_wavefront_offset 0
		.amdhsa_system_sgpr_workgroup_id_x 1
		.amdhsa_system_sgpr_workgroup_id_y 0
		.amdhsa_system_sgpr_workgroup_id_z 0
		.amdhsa_system_sgpr_workgroup_info 0
		.amdhsa_system_vgpr_workitem_id 0
		.amdhsa_next_free_vgpr 1
		.amdhsa_next_free_sgpr 0
		.amdhsa_accum_offset 4
		.amdhsa_reserve_vcc 0
		.amdhsa_reserve_flat_scratch 0
		.amdhsa_float_round_mode_32 0
		.amdhsa_float_round_mode_16_64 0
		.amdhsa_float_denorm_mode_32 3
		.amdhsa_float_denorm_mode_16_64 3
		.amdhsa_dx10_clamp 1
		.amdhsa_ieee_mode 1
		.amdhsa_fp16_overflow 0
		.amdhsa_tg_split 0
		.amdhsa_exception_fp_ieee_invalid_op 0
		.amdhsa_exception_fp_denorm_src 0
		.amdhsa_exception_fp_ieee_div_zero 0
		.amdhsa_exception_fp_ieee_overflow 0
		.amdhsa_exception_fp_ieee_underflow 0
		.amdhsa_exception_fp_ieee_inexact 0
		.amdhsa_exception_int_div_zero 0
	.end_amdhsa_kernel
	.section	.text._ZN7rocprim17ROCPRIM_400000_NS6detail17trampoline_kernelINS0_14default_configENS1_29reduce_by_key_config_selectorIjtN6thrust23THRUST_200600_302600_NS4plusItEEEEZZNS1_33reduce_by_key_impl_wrapped_configILNS1_25lookback_scan_determinismE0ES3_S9_NS6_6detail15normal_iteratorINS6_10device_ptrIjEEEENSD_INSE_ItEEEENS6_16discard_iteratorINS6_11use_defaultEEESI_PmS8_NS6_8equal_toIjEEEE10hipError_tPvRmT2_T3_mT4_T5_T6_T7_T8_P12ihipStream_tbENKUlT_T0_E_clISt17integral_constantIbLb1EES15_IbLb0EEEEDaS11_S12_EUlS11_E_NS1_11comp_targetILNS1_3genE2ELNS1_11target_archE906ELNS1_3gpuE6ELNS1_3repE0EEENS1_30default_config_static_selectorELNS0_4arch9wavefront6targetE1EEEvT1_,"axG",@progbits,_ZN7rocprim17ROCPRIM_400000_NS6detail17trampoline_kernelINS0_14default_configENS1_29reduce_by_key_config_selectorIjtN6thrust23THRUST_200600_302600_NS4plusItEEEEZZNS1_33reduce_by_key_impl_wrapped_configILNS1_25lookback_scan_determinismE0ES3_S9_NS6_6detail15normal_iteratorINS6_10device_ptrIjEEEENSD_INSE_ItEEEENS6_16discard_iteratorINS6_11use_defaultEEESI_PmS8_NS6_8equal_toIjEEEE10hipError_tPvRmT2_T3_mT4_T5_T6_T7_T8_P12ihipStream_tbENKUlT_T0_E_clISt17integral_constantIbLb1EES15_IbLb0EEEEDaS11_S12_EUlS11_E_NS1_11comp_targetILNS1_3genE2ELNS1_11target_archE906ELNS1_3gpuE6ELNS1_3repE0EEENS1_30default_config_static_selectorELNS0_4arch9wavefront6targetE1EEEvT1_,comdat
.Lfunc_end971:
	.size	_ZN7rocprim17ROCPRIM_400000_NS6detail17trampoline_kernelINS0_14default_configENS1_29reduce_by_key_config_selectorIjtN6thrust23THRUST_200600_302600_NS4plusItEEEEZZNS1_33reduce_by_key_impl_wrapped_configILNS1_25lookback_scan_determinismE0ES3_S9_NS6_6detail15normal_iteratorINS6_10device_ptrIjEEEENSD_INSE_ItEEEENS6_16discard_iteratorINS6_11use_defaultEEESI_PmS8_NS6_8equal_toIjEEEE10hipError_tPvRmT2_T3_mT4_T5_T6_T7_T8_P12ihipStream_tbENKUlT_T0_E_clISt17integral_constantIbLb1EES15_IbLb0EEEEDaS11_S12_EUlS11_E_NS1_11comp_targetILNS1_3genE2ELNS1_11target_archE906ELNS1_3gpuE6ELNS1_3repE0EEENS1_30default_config_static_selectorELNS0_4arch9wavefront6targetE1EEEvT1_, .Lfunc_end971-_ZN7rocprim17ROCPRIM_400000_NS6detail17trampoline_kernelINS0_14default_configENS1_29reduce_by_key_config_selectorIjtN6thrust23THRUST_200600_302600_NS4plusItEEEEZZNS1_33reduce_by_key_impl_wrapped_configILNS1_25lookback_scan_determinismE0ES3_S9_NS6_6detail15normal_iteratorINS6_10device_ptrIjEEEENSD_INSE_ItEEEENS6_16discard_iteratorINS6_11use_defaultEEESI_PmS8_NS6_8equal_toIjEEEE10hipError_tPvRmT2_T3_mT4_T5_T6_T7_T8_P12ihipStream_tbENKUlT_T0_E_clISt17integral_constantIbLb1EES15_IbLb0EEEEDaS11_S12_EUlS11_E_NS1_11comp_targetILNS1_3genE2ELNS1_11target_archE906ELNS1_3gpuE6ELNS1_3repE0EEENS1_30default_config_static_selectorELNS0_4arch9wavefront6targetE1EEEvT1_
                                        ; -- End function
	.section	.AMDGPU.csdata,"",@progbits
; Kernel info:
; codeLenInByte = 0
; NumSgprs: 4
; NumVgprs: 0
; NumAgprs: 0
; TotalNumVgprs: 0
; ScratchSize: 0
; MemoryBound: 0
; FloatMode: 240
; IeeeMode: 1
; LDSByteSize: 0 bytes/workgroup (compile time only)
; SGPRBlocks: 0
; VGPRBlocks: 0
; NumSGPRsForWavesPerEU: 4
; NumVGPRsForWavesPerEU: 1
; AccumOffset: 4
; Occupancy: 8
; WaveLimiterHint : 0
; COMPUTE_PGM_RSRC2:SCRATCH_EN: 0
; COMPUTE_PGM_RSRC2:USER_SGPR: 6
; COMPUTE_PGM_RSRC2:TRAP_HANDLER: 0
; COMPUTE_PGM_RSRC2:TGID_X_EN: 1
; COMPUTE_PGM_RSRC2:TGID_Y_EN: 0
; COMPUTE_PGM_RSRC2:TGID_Z_EN: 0
; COMPUTE_PGM_RSRC2:TIDIG_COMP_CNT: 0
; COMPUTE_PGM_RSRC3_GFX90A:ACCUM_OFFSET: 0
; COMPUTE_PGM_RSRC3_GFX90A:TG_SPLIT: 0
	.section	.text._ZN7rocprim17ROCPRIM_400000_NS6detail17trampoline_kernelINS0_14default_configENS1_29reduce_by_key_config_selectorIjtN6thrust23THRUST_200600_302600_NS4plusItEEEEZZNS1_33reduce_by_key_impl_wrapped_configILNS1_25lookback_scan_determinismE0ES3_S9_NS6_6detail15normal_iteratorINS6_10device_ptrIjEEEENSD_INSE_ItEEEENS6_16discard_iteratorINS6_11use_defaultEEESI_PmS8_NS6_8equal_toIjEEEE10hipError_tPvRmT2_T3_mT4_T5_T6_T7_T8_P12ihipStream_tbENKUlT_T0_E_clISt17integral_constantIbLb1EES15_IbLb0EEEEDaS11_S12_EUlS11_E_NS1_11comp_targetILNS1_3genE10ELNS1_11target_archE1201ELNS1_3gpuE5ELNS1_3repE0EEENS1_30default_config_static_selectorELNS0_4arch9wavefront6targetE1EEEvT1_,"axG",@progbits,_ZN7rocprim17ROCPRIM_400000_NS6detail17trampoline_kernelINS0_14default_configENS1_29reduce_by_key_config_selectorIjtN6thrust23THRUST_200600_302600_NS4plusItEEEEZZNS1_33reduce_by_key_impl_wrapped_configILNS1_25lookback_scan_determinismE0ES3_S9_NS6_6detail15normal_iteratorINS6_10device_ptrIjEEEENSD_INSE_ItEEEENS6_16discard_iteratorINS6_11use_defaultEEESI_PmS8_NS6_8equal_toIjEEEE10hipError_tPvRmT2_T3_mT4_T5_T6_T7_T8_P12ihipStream_tbENKUlT_T0_E_clISt17integral_constantIbLb1EES15_IbLb0EEEEDaS11_S12_EUlS11_E_NS1_11comp_targetILNS1_3genE10ELNS1_11target_archE1201ELNS1_3gpuE5ELNS1_3repE0EEENS1_30default_config_static_selectorELNS0_4arch9wavefront6targetE1EEEvT1_,comdat
	.protected	_ZN7rocprim17ROCPRIM_400000_NS6detail17trampoline_kernelINS0_14default_configENS1_29reduce_by_key_config_selectorIjtN6thrust23THRUST_200600_302600_NS4plusItEEEEZZNS1_33reduce_by_key_impl_wrapped_configILNS1_25lookback_scan_determinismE0ES3_S9_NS6_6detail15normal_iteratorINS6_10device_ptrIjEEEENSD_INSE_ItEEEENS6_16discard_iteratorINS6_11use_defaultEEESI_PmS8_NS6_8equal_toIjEEEE10hipError_tPvRmT2_T3_mT4_T5_T6_T7_T8_P12ihipStream_tbENKUlT_T0_E_clISt17integral_constantIbLb1EES15_IbLb0EEEEDaS11_S12_EUlS11_E_NS1_11comp_targetILNS1_3genE10ELNS1_11target_archE1201ELNS1_3gpuE5ELNS1_3repE0EEENS1_30default_config_static_selectorELNS0_4arch9wavefront6targetE1EEEvT1_ ; -- Begin function _ZN7rocprim17ROCPRIM_400000_NS6detail17trampoline_kernelINS0_14default_configENS1_29reduce_by_key_config_selectorIjtN6thrust23THRUST_200600_302600_NS4plusItEEEEZZNS1_33reduce_by_key_impl_wrapped_configILNS1_25lookback_scan_determinismE0ES3_S9_NS6_6detail15normal_iteratorINS6_10device_ptrIjEEEENSD_INSE_ItEEEENS6_16discard_iteratorINS6_11use_defaultEEESI_PmS8_NS6_8equal_toIjEEEE10hipError_tPvRmT2_T3_mT4_T5_T6_T7_T8_P12ihipStream_tbENKUlT_T0_E_clISt17integral_constantIbLb1EES15_IbLb0EEEEDaS11_S12_EUlS11_E_NS1_11comp_targetILNS1_3genE10ELNS1_11target_archE1201ELNS1_3gpuE5ELNS1_3repE0EEENS1_30default_config_static_selectorELNS0_4arch9wavefront6targetE1EEEvT1_
	.globl	_ZN7rocprim17ROCPRIM_400000_NS6detail17trampoline_kernelINS0_14default_configENS1_29reduce_by_key_config_selectorIjtN6thrust23THRUST_200600_302600_NS4plusItEEEEZZNS1_33reduce_by_key_impl_wrapped_configILNS1_25lookback_scan_determinismE0ES3_S9_NS6_6detail15normal_iteratorINS6_10device_ptrIjEEEENSD_INSE_ItEEEENS6_16discard_iteratorINS6_11use_defaultEEESI_PmS8_NS6_8equal_toIjEEEE10hipError_tPvRmT2_T3_mT4_T5_T6_T7_T8_P12ihipStream_tbENKUlT_T0_E_clISt17integral_constantIbLb1EES15_IbLb0EEEEDaS11_S12_EUlS11_E_NS1_11comp_targetILNS1_3genE10ELNS1_11target_archE1201ELNS1_3gpuE5ELNS1_3repE0EEENS1_30default_config_static_selectorELNS0_4arch9wavefront6targetE1EEEvT1_
	.p2align	8
	.type	_ZN7rocprim17ROCPRIM_400000_NS6detail17trampoline_kernelINS0_14default_configENS1_29reduce_by_key_config_selectorIjtN6thrust23THRUST_200600_302600_NS4plusItEEEEZZNS1_33reduce_by_key_impl_wrapped_configILNS1_25lookback_scan_determinismE0ES3_S9_NS6_6detail15normal_iteratorINS6_10device_ptrIjEEEENSD_INSE_ItEEEENS6_16discard_iteratorINS6_11use_defaultEEESI_PmS8_NS6_8equal_toIjEEEE10hipError_tPvRmT2_T3_mT4_T5_T6_T7_T8_P12ihipStream_tbENKUlT_T0_E_clISt17integral_constantIbLb1EES15_IbLb0EEEEDaS11_S12_EUlS11_E_NS1_11comp_targetILNS1_3genE10ELNS1_11target_archE1201ELNS1_3gpuE5ELNS1_3repE0EEENS1_30default_config_static_selectorELNS0_4arch9wavefront6targetE1EEEvT1_,@function
_ZN7rocprim17ROCPRIM_400000_NS6detail17trampoline_kernelINS0_14default_configENS1_29reduce_by_key_config_selectorIjtN6thrust23THRUST_200600_302600_NS4plusItEEEEZZNS1_33reduce_by_key_impl_wrapped_configILNS1_25lookback_scan_determinismE0ES3_S9_NS6_6detail15normal_iteratorINS6_10device_ptrIjEEEENSD_INSE_ItEEEENS6_16discard_iteratorINS6_11use_defaultEEESI_PmS8_NS6_8equal_toIjEEEE10hipError_tPvRmT2_T3_mT4_T5_T6_T7_T8_P12ihipStream_tbENKUlT_T0_E_clISt17integral_constantIbLb1EES15_IbLb0EEEEDaS11_S12_EUlS11_E_NS1_11comp_targetILNS1_3genE10ELNS1_11target_archE1201ELNS1_3gpuE5ELNS1_3repE0EEENS1_30default_config_static_selectorELNS0_4arch9wavefront6targetE1EEEvT1_: ; @_ZN7rocprim17ROCPRIM_400000_NS6detail17trampoline_kernelINS0_14default_configENS1_29reduce_by_key_config_selectorIjtN6thrust23THRUST_200600_302600_NS4plusItEEEEZZNS1_33reduce_by_key_impl_wrapped_configILNS1_25lookback_scan_determinismE0ES3_S9_NS6_6detail15normal_iteratorINS6_10device_ptrIjEEEENSD_INSE_ItEEEENS6_16discard_iteratorINS6_11use_defaultEEESI_PmS8_NS6_8equal_toIjEEEE10hipError_tPvRmT2_T3_mT4_T5_T6_T7_T8_P12ihipStream_tbENKUlT_T0_E_clISt17integral_constantIbLb1EES15_IbLb0EEEEDaS11_S12_EUlS11_E_NS1_11comp_targetILNS1_3genE10ELNS1_11target_archE1201ELNS1_3gpuE5ELNS1_3repE0EEENS1_30default_config_static_selectorELNS0_4arch9wavefront6targetE1EEEvT1_
; %bb.0:
	.section	.rodata,"a",@progbits
	.p2align	6, 0x0
	.amdhsa_kernel _ZN7rocprim17ROCPRIM_400000_NS6detail17trampoline_kernelINS0_14default_configENS1_29reduce_by_key_config_selectorIjtN6thrust23THRUST_200600_302600_NS4plusItEEEEZZNS1_33reduce_by_key_impl_wrapped_configILNS1_25lookback_scan_determinismE0ES3_S9_NS6_6detail15normal_iteratorINS6_10device_ptrIjEEEENSD_INSE_ItEEEENS6_16discard_iteratorINS6_11use_defaultEEESI_PmS8_NS6_8equal_toIjEEEE10hipError_tPvRmT2_T3_mT4_T5_T6_T7_T8_P12ihipStream_tbENKUlT_T0_E_clISt17integral_constantIbLb1EES15_IbLb0EEEEDaS11_S12_EUlS11_E_NS1_11comp_targetILNS1_3genE10ELNS1_11target_archE1201ELNS1_3gpuE5ELNS1_3repE0EEENS1_30default_config_static_selectorELNS0_4arch9wavefront6targetE1EEEvT1_
		.amdhsa_group_segment_fixed_size 0
		.amdhsa_private_segment_fixed_size 0
		.amdhsa_kernarg_size 128
		.amdhsa_user_sgpr_count 6
		.amdhsa_user_sgpr_private_segment_buffer 1
		.amdhsa_user_sgpr_dispatch_ptr 0
		.amdhsa_user_sgpr_queue_ptr 0
		.amdhsa_user_sgpr_kernarg_segment_ptr 1
		.amdhsa_user_sgpr_dispatch_id 0
		.amdhsa_user_sgpr_flat_scratch_init 0
		.amdhsa_user_sgpr_kernarg_preload_length 0
		.amdhsa_user_sgpr_kernarg_preload_offset 0
		.amdhsa_user_sgpr_private_segment_size 0
		.amdhsa_uses_dynamic_stack 0
		.amdhsa_system_sgpr_private_segment_wavefront_offset 0
		.amdhsa_system_sgpr_workgroup_id_x 1
		.amdhsa_system_sgpr_workgroup_id_y 0
		.amdhsa_system_sgpr_workgroup_id_z 0
		.amdhsa_system_sgpr_workgroup_info 0
		.amdhsa_system_vgpr_workitem_id 0
		.amdhsa_next_free_vgpr 1
		.amdhsa_next_free_sgpr 0
		.amdhsa_accum_offset 4
		.amdhsa_reserve_vcc 0
		.amdhsa_reserve_flat_scratch 0
		.amdhsa_float_round_mode_32 0
		.amdhsa_float_round_mode_16_64 0
		.amdhsa_float_denorm_mode_32 3
		.amdhsa_float_denorm_mode_16_64 3
		.amdhsa_dx10_clamp 1
		.amdhsa_ieee_mode 1
		.amdhsa_fp16_overflow 0
		.amdhsa_tg_split 0
		.amdhsa_exception_fp_ieee_invalid_op 0
		.amdhsa_exception_fp_denorm_src 0
		.amdhsa_exception_fp_ieee_div_zero 0
		.amdhsa_exception_fp_ieee_overflow 0
		.amdhsa_exception_fp_ieee_underflow 0
		.amdhsa_exception_fp_ieee_inexact 0
		.amdhsa_exception_int_div_zero 0
	.end_amdhsa_kernel
	.section	.text._ZN7rocprim17ROCPRIM_400000_NS6detail17trampoline_kernelINS0_14default_configENS1_29reduce_by_key_config_selectorIjtN6thrust23THRUST_200600_302600_NS4plusItEEEEZZNS1_33reduce_by_key_impl_wrapped_configILNS1_25lookback_scan_determinismE0ES3_S9_NS6_6detail15normal_iteratorINS6_10device_ptrIjEEEENSD_INSE_ItEEEENS6_16discard_iteratorINS6_11use_defaultEEESI_PmS8_NS6_8equal_toIjEEEE10hipError_tPvRmT2_T3_mT4_T5_T6_T7_T8_P12ihipStream_tbENKUlT_T0_E_clISt17integral_constantIbLb1EES15_IbLb0EEEEDaS11_S12_EUlS11_E_NS1_11comp_targetILNS1_3genE10ELNS1_11target_archE1201ELNS1_3gpuE5ELNS1_3repE0EEENS1_30default_config_static_selectorELNS0_4arch9wavefront6targetE1EEEvT1_,"axG",@progbits,_ZN7rocprim17ROCPRIM_400000_NS6detail17trampoline_kernelINS0_14default_configENS1_29reduce_by_key_config_selectorIjtN6thrust23THRUST_200600_302600_NS4plusItEEEEZZNS1_33reduce_by_key_impl_wrapped_configILNS1_25lookback_scan_determinismE0ES3_S9_NS6_6detail15normal_iteratorINS6_10device_ptrIjEEEENSD_INSE_ItEEEENS6_16discard_iteratorINS6_11use_defaultEEESI_PmS8_NS6_8equal_toIjEEEE10hipError_tPvRmT2_T3_mT4_T5_T6_T7_T8_P12ihipStream_tbENKUlT_T0_E_clISt17integral_constantIbLb1EES15_IbLb0EEEEDaS11_S12_EUlS11_E_NS1_11comp_targetILNS1_3genE10ELNS1_11target_archE1201ELNS1_3gpuE5ELNS1_3repE0EEENS1_30default_config_static_selectorELNS0_4arch9wavefront6targetE1EEEvT1_,comdat
.Lfunc_end972:
	.size	_ZN7rocprim17ROCPRIM_400000_NS6detail17trampoline_kernelINS0_14default_configENS1_29reduce_by_key_config_selectorIjtN6thrust23THRUST_200600_302600_NS4plusItEEEEZZNS1_33reduce_by_key_impl_wrapped_configILNS1_25lookback_scan_determinismE0ES3_S9_NS6_6detail15normal_iteratorINS6_10device_ptrIjEEEENSD_INSE_ItEEEENS6_16discard_iteratorINS6_11use_defaultEEESI_PmS8_NS6_8equal_toIjEEEE10hipError_tPvRmT2_T3_mT4_T5_T6_T7_T8_P12ihipStream_tbENKUlT_T0_E_clISt17integral_constantIbLb1EES15_IbLb0EEEEDaS11_S12_EUlS11_E_NS1_11comp_targetILNS1_3genE10ELNS1_11target_archE1201ELNS1_3gpuE5ELNS1_3repE0EEENS1_30default_config_static_selectorELNS0_4arch9wavefront6targetE1EEEvT1_, .Lfunc_end972-_ZN7rocprim17ROCPRIM_400000_NS6detail17trampoline_kernelINS0_14default_configENS1_29reduce_by_key_config_selectorIjtN6thrust23THRUST_200600_302600_NS4plusItEEEEZZNS1_33reduce_by_key_impl_wrapped_configILNS1_25lookback_scan_determinismE0ES3_S9_NS6_6detail15normal_iteratorINS6_10device_ptrIjEEEENSD_INSE_ItEEEENS6_16discard_iteratorINS6_11use_defaultEEESI_PmS8_NS6_8equal_toIjEEEE10hipError_tPvRmT2_T3_mT4_T5_T6_T7_T8_P12ihipStream_tbENKUlT_T0_E_clISt17integral_constantIbLb1EES15_IbLb0EEEEDaS11_S12_EUlS11_E_NS1_11comp_targetILNS1_3genE10ELNS1_11target_archE1201ELNS1_3gpuE5ELNS1_3repE0EEENS1_30default_config_static_selectorELNS0_4arch9wavefront6targetE1EEEvT1_
                                        ; -- End function
	.section	.AMDGPU.csdata,"",@progbits
; Kernel info:
; codeLenInByte = 0
; NumSgprs: 4
; NumVgprs: 0
; NumAgprs: 0
; TotalNumVgprs: 0
; ScratchSize: 0
; MemoryBound: 0
; FloatMode: 240
; IeeeMode: 1
; LDSByteSize: 0 bytes/workgroup (compile time only)
; SGPRBlocks: 0
; VGPRBlocks: 0
; NumSGPRsForWavesPerEU: 4
; NumVGPRsForWavesPerEU: 1
; AccumOffset: 4
; Occupancy: 8
; WaveLimiterHint : 0
; COMPUTE_PGM_RSRC2:SCRATCH_EN: 0
; COMPUTE_PGM_RSRC2:USER_SGPR: 6
; COMPUTE_PGM_RSRC2:TRAP_HANDLER: 0
; COMPUTE_PGM_RSRC2:TGID_X_EN: 1
; COMPUTE_PGM_RSRC2:TGID_Y_EN: 0
; COMPUTE_PGM_RSRC2:TGID_Z_EN: 0
; COMPUTE_PGM_RSRC2:TIDIG_COMP_CNT: 0
; COMPUTE_PGM_RSRC3_GFX90A:ACCUM_OFFSET: 0
; COMPUTE_PGM_RSRC3_GFX90A:TG_SPLIT: 0
	.section	.text._ZN7rocprim17ROCPRIM_400000_NS6detail17trampoline_kernelINS0_14default_configENS1_29reduce_by_key_config_selectorIjtN6thrust23THRUST_200600_302600_NS4plusItEEEEZZNS1_33reduce_by_key_impl_wrapped_configILNS1_25lookback_scan_determinismE0ES3_S9_NS6_6detail15normal_iteratorINS6_10device_ptrIjEEEENSD_INSE_ItEEEENS6_16discard_iteratorINS6_11use_defaultEEESI_PmS8_NS6_8equal_toIjEEEE10hipError_tPvRmT2_T3_mT4_T5_T6_T7_T8_P12ihipStream_tbENKUlT_T0_E_clISt17integral_constantIbLb1EES15_IbLb0EEEEDaS11_S12_EUlS11_E_NS1_11comp_targetILNS1_3genE10ELNS1_11target_archE1200ELNS1_3gpuE4ELNS1_3repE0EEENS1_30default_config_static_selectorELNS0_4arch9wavefront6targetE1EEEvT1_,"axG",@progbits,_ZN7rocprim17ROCPRIM_400000_NS6detail17trampoline_kernelINS0_14default_configENS1_29reduce_by_key_config_selectorIjtN6thrust23THRUST_200600_302600_NS4plusItEEEEZZNS1_33reduce_by_key_impl_wrapped_configILNS1_25lookback_scan_determinismE0ES3_S9_NS6_6detail15normal_iteratorINS6_10device_ptrIjEEEENSD_INSE_ItEEEENS6_16discard_iteratorINS6_11use_defaultEEESI_PmS8_NS6_8equal_toIjEEEE10hipError_tPvRmT2_T3_mT4_T5_T6_T7_T8_P12ihipStream_tbENKUlT_T0_E_clISt17integral_constantIbLb1EES15_IbLb0EEEEDaS11_S12_EUlS11_E_NS1_11comp_targetILNS1_3genE10ELNS1_11target_archE1200ELNS1_3gpuE4ELNS1_3repE0EEENS1_30default_config_static_selectorELNS0_4arch9wavefront6targetE1EEEvT1_,comdat
	.protected	_ZN7rocprim17ROCPRIM_400000_NS6detail17trampoline_kernelINS0_14default_configENS1_29reduce_by_key_config_selectorIjtN6thrust23THRUST_200600_302600_NS4plusItEEEEZZNS1_33reduce_by_key_impl_wrapped_configILNS1_25lookback_scan_determinismE0ES3_S9_NS6_6detail15normal_iteratorINS6_10device_ptrIjEEEENSD_INSE_ItEEEENS6_16discard_iteratorINS6_11use_defaultEEESI_PmS8_NS6_8equal_toIjEEEE10hipError_tPvRmT2_T3_mT4_T5_T6_T7_T8_P12ihipStream_tbENKUlT_T0_E_clISt17integral_constantIbLb1EES15_IbLb0EEEEDaS11_S12_EUlS11_E_NS1_11comp_targetILNS1_3genE10ELNS1_11target_archE1200ELNS1_3gpuE4ELNS1_3repE0EEENS1_30default_config_static_selectorELNS0_4arch9wavefront6targetE1EEEvT1_ ; -- Begin function _ZN7rocprim17ROCPRIM_400000_NS6detail17trampoline_kernelINS0_14default_configENS1_29reduce_by_key_config_selectorIjtN6thrust23THRUST_200600_302600_NS4plusItEEEEZZNS1_33reduce_by_key_impl_wrapped_configILNS1_25lookback_scan_determinismE0ES3_S9_NS6_6detail15normal_iteratorINS6_10device_ptrIjEEEENSD_INSE_ItEEEENS6_16discard_iteratorINS6_11use_defaultEEESI_PmS8_NS6_8equal_toIjEEEE10hipError_tPvRmT2_T3_mT4_T5_T6_T7_T8_P12ihipStream_tbENKUlT_T0_E_clISt17integral_constantIbLb1EES15_IbLb0EEEEDaS11_S12_EUlS11_E_NS1_11comp_targetILNS1_3genE10ELNS1_11target_archE1200ELNS1_3gpuE4ELNS1_3repE0EEENS1_30default_config_static_selectorELNS0_4arch9wavefront6targetE1EEEvT1_
	.globl	_ZN7rocprim17ROCPRIM_400000_NS6detail17trampoline_kernelINS0_14default_configENS1_29reduce_by_key_config_selectorIjtN6thrust23THRUST_200600_302600_NS4plusItEEEEZZNS1_33reduce_by_key_impl_wrapped_configILNS1_25lookback_scan_determinismE0ES3_S9_NS6_6detail15normal_iteratorINS6_10device_ptrIjEEEENSD_INSE_ItEEEENS6_16discard_iteratorINS6_11use_defaultEEESI_PmS8_NS6_8equal_toIjEEEE10hipError_tPvRmT2_T3_mT4_T5_T6_T7_T8_P12ihipStream_tbENKUlT_T0_E_clISt17integral_constantIbLb1EES15_IbLb0EEEEDaS11_S12_EUlS11_E_NS1_11comp_targetILNS1_3genE10ELNS1_11target_archE1200ELNS1_3gpuE4ELNS1_3repE0EEENS1_30default_config_static_selectorELNS0_4arch9wavefront6targetE1EEEvT1_
	.p2align	8
	.type	_ZN7rocprim17ROCPRIM_400000_NS6detail17trampoline_kernelINS0_14default_configENS1_29reduce_by_key_config_selectorIjtN6thrust23THRUST_200600_302600_NS4plusItEEEEZZNS1_33reduce_by_key_impl_wrapped_configILNS1_25lookback_scan_determinismE0ES3_S9_NS6_6detail15normal_iteratorINS6_10device_ptrIjEEEENSD_INSE_ItEEEENS6_16discard_iteratorINS6_11use_defaultEEESI_PmS8_NS6_8equal_toIjEEEE10hipError_tPvRmT2_T3_mT4_T5_T6_T7_T8_P12ihipStream_tbENKUlT_T0_E_clISt17integral_constantIbLb1EES15_IbLb0EEEEDaS11_S12_EUlS11_E_NS1_11comp_targetILNS1_3genE10ELNS1_11target_archE1200ELNS1_3gpuE4ELNS1_3repE0EEENS1_30default_config_static_selectorELNS0_4arch9wavefront6targetE1EEEvT1_,@function
_ZN7rocprim17ROCPRIM_400000_NS6detail17trampoline_kernelINS0_14default_configENS1_29reduce_by_key_config_selectorIjtN6thrust23THRUST_200600_302600_NS4plusItEEEEZZNS1_33reduce_by_key_impl_wrapped_configILNS1_25lookback_scan_determinismE0ES3_S9_NS6_6detail15normal_iteratorINS6_10device_ptrIjEEEENSD_INSE_ItEEEENS6_16discard_iteratorINS6_11use_defaultEEESI_PmS8_NS6_8equal_toIjEEEE10hipError_tPvRmT2_T3_mT4_T5_T6_T7_T8_P12ihipStream_tbENKUlT_T0_E_clISt17integral_constantIbLb1EES15_IbLb0EEEEDaS11_S12_EUlS11_E_NS1_11comp_targetILNS1_3genE10ELNS1_11target_archE1200ELNS1_3gpuE4ELNS1_3repE0EEENS1_30default_config_static_selectorELNS0_4arch9wavefront6targetE1EEEvT1_: ; @_ZN7rocprim17ROCPRIM_400000_NS6detail17trampoline_kernelINS0_14default_configENS1_29reduce_by_key_config_selectorIjtN6thrust23THRUST_200600_302600_NS4plusItEEEEZZNS1_33reduce_by_key_impl_wrapped_configILNS1_25lookback_scan_determinismE0ES3_S9_NS6_6detail15normal_iteratorINS6_10device_ptrIjEEEENSD_INSE_ItEEEENS6_16discard_iteratorINS6_11use_defaultEEESI_PmS8_NS6_8equal_toIjEEEE10hipError_tPvRmT2_T3_mT4_T5_T6_T7_T8_P12ihipStream_tbENKUlT_T0_E_clISt17integral_constantIbLb1EES15_IbLb0EEEEDaS11_S12_EUlS11_E_NS1_11comp_targetILNS1_3genE10ELNS1_11target_archE1200ELNS1_3gpuE4ELNS1_3repE0EEENS1_30default_config_static_selectorELNS0_4arch9wavefront6targetE1EEEvT1_
; %bb.0:
	.section	.rodata,"a",@progbits
	.p2align	6, 0x0
	.amdhsa_kernel _ZN7rocprim17ROCPRIM_400000_NS6detail17trampoline_kernelINS0_14default_configENS1_29reduce_by_key_config_selectorIjtN6thrust23THRUST_200600_302600_NS4plusItEEEEZZNS1_33reduce_by_key_impl_wrapped_configILNS1_25lookback_scan_determinismE0ES3_S9_NS6_6detail15normal_iteratorINS6_10device_ptrIjEEEENSD_INSE_ItEEEENS6_16discard_iteratorINS6_11use_defaultEEESI_PmS8_NS6_8equal_toIjEEEE10hipError_tPvRmT2_T3_mT4_T5_T6_T7_T8_P12ihipStream_tbENKUlT_T0_E_clISt17integral_constantIbLb1EES15_IbLb0EEEEDaS11_S12_EUlS11_E_NS1_11comp_targetILNS1_3genE10ELNS1_11target_archE1200ELNS1_3gpuE4ELNS1_3repE0EEENS1_30default_config_static_selectorELNS0_4arch9wavefront6targetE1EEEvT1_
		.amdhsa_group_segment_fixed_size 0
		.amdhsa_private_segment_fixed_size 0
		.amdhsa_kernarg_size 128
		.amdhsa_user_sgpr_count 6
		.amdhsa_user_sgpr_private_segment_buffer 1
		.amdhsa_user_sgpr_dispatch_ptr 0
		.amdhsa_user_sgpr_queue_ptr 0
		.amdhsa_user_sgpr_kernarg_segment_ptr 1
		.amdhsa_user_sgpr_dispatch_id 0
		.amdhsa_user_sgpr_flat_scratch_init 0
		.amdhsa_user_sgpr_kernarg_preload_length 0
		.amdhsa_user_sgpr_kernarg_preload_offset 0
		.amdhsa_user_sgpr_private_segment_size 0
		.amdhsa_uses_dynamic_stack 0
		.amdhsa_system_sgpr_private_segment_wavefront_offset 0
		.amdhsa_system_sgpr_workgroup_id_x 1
		.amdhsa_system_sgpr_workgroup_id_y 0
		.amdhsa_system_sgpr_workgroup_id_z 0
		.amdhsa_system_sgpr_workgroup_info 0
		.amdhsa_system_vgpr_workitem_id 0
		.amdhsa_next_free_vgpr 1
		.amdhsa_next_free_sgpr 0
		.amdhsa_accum_offset 4
		.amdhsa_reserve_vcc 0
		.amdhsa_reserve_flat_scratch 0
		.amdhsa_float_round_mode_32 0
		.amdhsa_float_round_mode_16_64 0
		.amdhsa_float_denorm_mode_32 3
		.amdhsa_float_denorm_mode_16_64 3
		.amdhsa_dx10_clamp 1
		.amdhsa_ieee_mode 1
		.amdhsa_fp16_overflow 0
		.amdhsa_tg_split 0
		.amdhsa_exception_fp_ieee_invalid_op 0
		.amdhsa_exception_fp_denorm_src 0
		.amdhsa_exception_fp_ieee_div_zero 0
		.amdhsa_exception_fp_ieee_overflow 0
		.amdhsa_exception_fp_ieee_underflow 0
		.amdhsa_exception_fp_ieee_inexact 0
		.amdhsa_exception_int_div_zero 0
	.end_amdhsa_kernel
	.section	.text._ZN7rocprim17ROCPRIM_400000_NS6detail17trampoline_kernelINS0_14default_configENS1_29reduce_by_key_config_selectorIjtN6thrust23THRUST_200600_302600_NS4plusItEEEEZZNS1_33reduce_by_key_impl_wrapped_configILNS1_25lookback_scan_determinismE0ES3_S9_NS6_6detail15normal_iteratorINS6_10device_ptrIjEEEENSD_INSE_ItEEEENS6_16discard_iteratorINS6_11use_defaultEEESI_PmS8_NS6_8equal_toIjEEEE10hipError_tPvRmT2_T3_mT4_T5_T6_T7_T8_P12ihipStream_tbENKUlT_T0_E_clISt17integral_constantIbLb1EES15_IbLb0EEEEDaS11_S12_EUlS11_E_NS1_11comp_targetILNS1_3genE10ELNS1_11target_archE1200ELNS1_3gpuE4ELNS1_3repE0EEENS1_30default_config_static_selectorELNS0_4arch9wavefront6targetE1EEEvT1_,"axG",@progbits,_ZN7rocprim17ROCPRIM_400000_NS6detail17trampoline_kernelINS0_14default_configENS1_29reduce_by_key_config_selectorIjtN6thrust23THRUST_200600_302600_NS4plusItEEEEZZNS1_33reduce_by_key_impl_wrapped_configILNS1_25lookback_scan_determinismE0ES3_S9_NS6_6detail15normal_iteratorINS6_10device_ptrIjEEEENSD_INSE_ItEEEENS6_16discard_iteratorINS6_11use_defaultEEESI_PmS8_NS6_8equal_toIjEEEE10hipError_tPvRmT2_T3_mT4_T5_T6_T7_T8_P12ihipStream_tbENKUlT_T0_E_clISt17integral_constantIbLb1EES15_IbLb0EEEEDaS11_S12_EUlS11_E_NS1_11comp_targetILNS1_3genE10ELNS1_11target_archE1200ELNS1_3gpuE4ELNS1_3repE0EEENS1_30default_config_static_selectorELNS0_4arch9wavefront6targetE1EEEvT1_,comdat
.Lfunc_end973:
	.size	_ZN7rocprim17ROCPRIM_400000_NS6detail17trampoline_kernelINS0_14default_configENS1_29reduce_by_key_config_selectorIjtN6thrust23THRUST_200600_302600_NS4plusItEEEEZZNS1_33reduce_by_key_impl_wrapped_configILNS1_25lookback_scan_determinismE0ES3_S9_NS6_6detail15normal_iteratorINS6_10device_ptrIjEEEENSD_INSE_ItEEEENS6_16discard_iteratorINS6_11use_defaultEEESI_PmS8_NS6_8equal_toIjEEEE10hipError_tPvRmT2_T3_mT4_T5_T6_T7_T8_P12ihipStream_tbENKUlT_T0_E_clISt17integral_constantIbLb1EES15_IbLb0EEEEDaS11_S12_EUlS11_E_NS1_11comp_targetILNS1_3genE10ELNS1_11target_archE1200ELNS1_3gpuE4ELNS1_3repE0EEENS1_30default_config_static_selectorELNS0_4arch9wavefront6targetE1EEEvT1_, .Lfunc_end973-_ZN7rocprim17ROCPRIM_400000_NS6detail17trampoline_kernelINS0_14default_configENS1_29reduce_by_key_config_selectorIjtN6thrust23THRUST_200600_302600_NS4plusItEEEEZZNS1_33reduce_by_key_impl_wrapped_configILNS1_25lookback_scan_determinismE0ES3_S9_NS6_6detail15normal_iteratorINS6_10device_ptrIjEEEENSD_INSE_ItEEEENS6_16discard_iteratorINS6_11use_defaultEEESI_PmS8_NS6_8equal_toIjEEEE10hipError_tPvRmT2_T3_mT4_T5_T6_T7_T8_P12ihipStream_tbENKUlT_T0_E_clISt17integral_constantIbLb1EES15_IbLb0EEEEDaS11_S12_EUlS11_E_NS1_11comp_targetILNS1_3genE10ELNS1_11target_archE1200ELNS1_3gpuE4ELNS1_3repE0EEENS1_30default_config_static_selectorELNS0_4arch9wavefront6targetE1EEEvT1_
                                        ; -- End function
	.section	.AMDGPU.csdata,"",@progbits
; Kernel info:
; codeLenInByte = 0
; NumSgprs: 4
; NumVgprs: 0
; NumAgprs: 0
; TotalNumVgprs: 0
; ScratchSize: 0
; MemoryBound: 0
; FloatMode: 240
; IeeeMode: 1
; LDSByteSize: 0 bytes/workgroup (compile time only)
; SGPRBlocks: 0
; VGPRBlocks: 0
; NumSGPRsForWavesPerEU: 4
; NumVGPRsForWavesPerEU: 1
; AccumOffset: 4
; Occupancy: 8
; WaveLimiterHint : 0
; COMPUTE_PGM_RSRC2:SCRATCH_EN: 0
; COMPUTE_PGM_RSRC2:USER_SGPR: 6
; COMPUTE_PGM_RSRC2:TRAP_HANDLER: 0
; COMPUTE_PGM_RSRC2:TGID_X_EN: 1
; COMPUTE_PGM_RSRC2:TGID_Y_EN: 0
; COMPUTE_PGM_RSRC2:TGID_Z_EN: 0
; COMPUTE_PGM_RSRC2:TIDIG_COMP_CNT: 0
; COMPUTE_PGM_RSRC3_GFX90A:ACCUM_OFFSET: 0
; COMPUTE_PGM_RSRC3_GFX90A:TG_SPLIT: 0
	.section	.text._ZN7rocprim17ROCPRIM_400000_NS6detail17trampoline_kernelINS0_14default_configENS1_29reduce_by_key_config_selectorIjtN6thrust23THRUST_200600_302600_NS4plusItEEEEZZNS1_33reduce_by_key_impl_wrapped_configILNS1_25lookback_scan_determinismE0ES3_S9_NS6_6detail15normal_iteratorINS6_10device_ptrIjEEEENSD_INSE_ItEEEENS6_16discard_iteratorINS6_11use_defaultEEESI_PmS8_NS6_8equal_toIjEEEE10hipError_tPvRmT2_T3_mT4_T5_T6_T7_T8_P12ihipStream_tbENKUlT_T0_E_clISt17integral_constantIbLb1EES15_IbLb0EEEEDaS11_S12_EUlS11_E_NS1_11comp_targetILNS1_3genE9ELNS1_11target_archE1100ELNS1_3gpuE3ELNS1_3repE0EEENS1_30default_config_static_selectorELNS0_4arch9wavefront6targetE1EEEvT1_,"axG",@progbits,_ZN7rocprim17ROCPRIM_400000_NS6detail17trampoline_kernelINS0_14default_configENS1_29reduce_by_key_config_selectorIjtN6thrust23THRUST_200600_302600_NS4plusItEEEEZZNS1_33reduce_by_key_impl_wrapped_configILNS1_25lookback_scan_determinismE0ES3_S9_NS6_6detail15normal_iteratorINS6_10device_ptrIjEEEENSD_INSE_ItEEEENS6_16discard_iteratorINS6_11use_defaultEEESI_PmS8_NS6_8equal_toIjEEEE10hipError_tPvRmT2_T3_mT4_T5_T6_T7_T8_P12ihipStream_tbENKUlT_T0_E_clISt17integral_constantIbLb1EES15_IbLb0EEEEDaS11_S12_EUlS11_E_NS1_11comp_targetILNS1_3genE9ELNS1_11target_archE1100ELNS1_3gpuE3ELNS1_3repE0EEENS1_30default_config_static_selectorELNS0_4arch9wavefront6targetE1EEEvT1_,comdat
	.protected	_ZN7rocprim17ROCPRIM_400000_NS6detail17trampoline_kernelINS0_14default_configENS1_29reduce_by_key_config_selectorIjtN6thrust23THRUST_200600_302600_NS4plusItEEEEZZNS1_33reduce_by_key_impl_wrapped_configILNS1_25lookback_scan_determinismE0ES3_S9_NS6_6detail15normal_iteratorINS6_10device_ptrIjEEEENSD_INSE_ItEEEENS6_16discard_iteratorINS6_11use_defaultEEESI_PmS8_NS6_8equal_toIjEEEE10hipError_tPvRmT2_T3_mT4_T5_T6_T7_T8_P12ihipStream_tbENKUlT_T0_E_clISt17integral_constantIbLb1EES15_IbLb0EEEEDaS11_S12_EUlS11_E_NS1_11comp_targetILNS1_3genE9ELNS1_11target_archE1100ELNS1_3gpuE3ELNS1_3repE0EEENS1_30default_config_static_selectorELNS0_4arch9wavefront6targetE1EEEvT1_ ; -- Begin function _ZN7rocprim17ROCPRIM_400000_NS6detail17trampoline_kernelINS0_14default_configENS1_29reduce_by_key_config_selectorIjtN6thrust23THRUST_200600_302600_NS4plusItEEEEZZNS1_33reduce_by_key_impl_wrapped_configILNS1_25lookback_scan_determinismE0ES3_S9_NS6_6detail15normal_iteratorINS6_10device_ptrIjEEEENSD_INSE_ItEEEENS6_16discard_iteratorINS6_11use_defaultEEESI_PmS8_NS6_8equal_toIjEEEE10hipError_tPvRmT2_T3_mT4_T5_T6_T7_T8_P12ihipStream_tbENKUlT_T0_E_clISt17integral_constantIbLb1EES15_IbLb0EEEEDaS11_S12_EUlS11_E_NS1_11comp_targetILNS1_3genE9ELNS1_11target_archE1100ELNS1_3gpuE3ELNS1_3repE0EEENS1_30default_config_static_selectorELNS0_4arch9wavefront6targetE1EEEvT1_
	.globl	_ZN7rocprim17ROCPRIM_400000_NS6detail17trampoline_kernelINS0_14default_configENS1_29reduce_by_key_config_selectorIjtN6thrust23THRUST_200600_302600_NS4plusItEEEEZZNS1_33reduce_by_key_impl_wrapped_configILNS1_25lookback_scan_determinismE0ES3_S9_NS6_6detail15normal_iteratorINS6_10device_ptrIjEEEENSD_INSE_ItEEEENS6_16discard_iteratorINS6_11use_defaultEEESI_PmS8_NS6_8equal_toIjEEEE10hipError_tPvRmT2_T3_mT4_T5_T6_T7_T8_P12ihipStream_tbENKUlT_T0_E_clISt17integral_constantIbLb1EES15_IbLb0EEEEDaS11_S12_EUlS11_E_NS1_11comp_targetILNS1_3genE9ELNS1_11target_archE1100ELNS1_3gpuE3ELNS1_3repE0EEENS1_30default_config_static_selectorELNS0_4arch9wavefront6targetE1EEEvT1_
	.p2align	8
	.type	_ZN7rocprim17ROCPRIM_400000_NS6detail17trampoline_kernelINS0_14default_configENS1_29reduce_by_key_config_selectorIjtN6thrust23THRUST_200600_302600_NS4plusItEEEEZZNS1_33reduce_by_key_impl_wrapped_configILNS1_25lookback_scan_determinismE0ES3_S9_NS6_6detail15normal_iteratorINS6_10device_ptrIjEEEENSD_INSE_ItEEEENS6_16discard_iteratorINS6_11use_defaultEEESI_PmS8_NS6_8equal_toIjEEEE10hipError_tPvRmT2_T3_mT4_T5_T6_T7_T8_P12ihipStream_tbENKUlT_T0_E_clISt17integral_constantIbLb1EES15_IbLb0EEEEDaS11_S12_EUlS11_E_NS1_11comp_targetILNS1_3genE9ELNS1_11target_archE1100ELNS1_3gpuE3ELNS1_3repE0EEENS1_30default_config_static_selectorELNS0_4arch9wavefront6targetE1EEEvT1_,@function
_ZN7rocprim17ROCPRIM_400000_NS6detail17trampoline_kernelINS0_14default_configENS1_29reduce_by_key_config_selectorIjtN6thrust23THRUST_200600_302600_NS4plusItEEEEZZNS1_33reduce_by_key_impl_wrapped_configILNS1_25lookback_scan_determinismE0ES3_S9_NS6_6detail15normal_iteratorINS6_10device_ptrIjEEEENSD_INSE_ItEEEENS6_16discard_iteratorINS6_11use_defaultEEESI_PmS8_NS6_8equal_toIjEEEE10hipError_tPvRmT2_T3_mT4_T5_T6_T7_T8_P12ihipStream_tbENKUlT_T0_E_clISt17integral_constantIbLb1EES15_IbLb0EEEEDaS11_S12_EUlS11_E_NS1_11comp_targetILNS1_3genE9ELNS1_11target_archE1100ELNS1_3gpuE3ELNS1_3repE0EEENS1_30default_config_static_selectorELNS0_4arch9wavefront6targetE1EEEvT1_: ; @_ZN7rocprim17ROCPRIM_400000_NS6detail17trampoline_kernelINS0_14default_configENS1_29reduce_by_key_config_selectorIjtN6thrust23THRUST_200600_302600_NS4plusItEEEEZZNS1_33reduce_by_key_impl_wrapped_configILNS1_25lookback_scan_determinismE0ES3_S9_NS6_6detail15normal_iteratorINS6_10device_ptrIjEEEENSD_INSE_ItEEEENS6_16discard_iteratorINS6_11use_defaultEEESI_PmS8_NS6_8equal_toIjEEEE10hipError_tPvRmT2_T3_mT4_T5_T6_T7_T8_P12ihipStream_tbENKUlT_T0_E_clISt17integral_constantIbLb1EES15_IbLb0EEEEDaS11_S12_EUlS11_E_NS1_11comp_targetILNS1_3genE9ELNS1_11target_archE1100ELNS1_3gpuE3ELNS1_3repE0EEENS1_30default_config_static_selectorELNS0_4arch9wavefront6targetE1EEEvT1_
; %bb.0:
	.section	.rodata,"a",@progbits
	.p2align	6, 0x0
	.amdhsa_kernel _ZN7rocprim17ROCPRIM_400000_NS6detail17trampoline_kernelINS0_14default_configENS1_29reduce_by_key_config_selectorIjtN6thrust23THRUST_200600_302600_NS4plusItEEEEZZNS1_33reduce_by_key_impl_wrapped_configILNS1_25lookback_scan_determinismE0ES3_S9_NS6_6detail15normal_iteratorINS6_10device_ptrIjEEEENSD_INSE_ItEEEENS6_16discard_iteratorINS6_11use_defaultEEESI_PmS8_NS6_8equal_toIjEEEE10hipError_tPvRmT2_T3_mT4_T5_T6_T7_T8_P12ihipStream_tbENKUlT_T0_E_clISt17integral_constantIbLb1EES15_IbLb0EEEEDaS11_S12_EUlS11_E_NS1_11comp_targetILNS1_3genE9ELNS1_11target_archE1100ELNS1_3gpuE3ELNS1_3repE0EEENS1_30default_config_static_selectorELNS0_4arch9wavefront6targetE1EEEvT1_
		.amdhsa_group_segment_fixed_size 0
		.amdhsa_private_segment_fixed_size 0
		.amdhsa_kernarg_size 128
		.amdhsa_user_sgpr_count 6
		.amdhsa_user_sgpr_private_segment_buffer 1
		.amdhsa_user_sgpr_dispatch_ptr 0
		.amdhsa_user_sgpr_queue_ptr 0
		.amdhsa_user_sgpr_kernarg_segment_ptr 1
		.amdhsa_user_sgpr_dispatch_id 0
		.amdhsa_user_sgpr_flat_scratch_init 0
		.amdhsa_user_sgpr_kernarg_preload_length 0
		.amdhsa_user_sgpr_kernarg_preload_offset 0
		.amdhsa_user_sgpr_private_segment_size 0
		.amdhsa_uses_dynamic_stack 0
		.amdhsa_system_sgpr_private_segment_wavefront_offset 0
		.amdhsa_system_sgpr_workgroup_id_x 1
		.amdhsa_system_sgpr_workgroup_id_y 0
		.amdhsa_system_sgpr_workgroup_id_z 0
		.amdhsa_system_sgpr_workgroup_info 0
		.amdhsa_system_vgpr_workitem_id 0
		.amdhsa_next_free_vgpr 1
		.amdhsa_next_free_sgpr 0
		.amdhsa_accum_offset 4
		.amdhsa_reserve_vcc 0
		.amdhsa_reserve_flat_scratch 0
		.amdhsa_float_round_mode_32 0
		.amdhsa_float_round_mode_16_64 0
		.amdhsa_float_denorm_mode_32 3
		.amdhsa_float_denorm_mode_16_64 3
		.amdhsa_dx10_clamp 1
		.amdhsa_ieee_mode 1
		.amdhsa_fp16_overflow 0
		.amdhsa_tg_split 0
		.amdhsa_exception_fp_ieee_invalid_op 0
		.amdhsa_exception_fp_denorm_src 0
		.amdhsa_exception_fp_ieee_div_zero 0
		.amdhsa_exception_fp_ieee_overflow 0
		.amdhsa_exception_fp_ieee_underflow 0
		.amdhsa_exception_fp_ieee_inexact 0
		.amdhsa_exception_int_div_zero 0
	.end_amdhsa_kernel
	.section	.text._ZN7rocprim17ROCPRIM_400000_NS6detail17trampoline_kernelINS0_14default_configENS1_29reduce_by_key_config_selectorIjtN6thrust23THRUST_200600_302600_NS4plusItEEEEZZNS1_33reduce_by_key_impl_wrapped_configILNS1_25lookback_scan_determinismE0ES3_S9_NS6_6detail15normal_iteratorINS6_10device_ptrIjEEEENSD_INSE_ItEEEENS6_16discard_iteratorINS6_11use_defaultEEESI_PmS8_NS6_8equal_toIjEEEE10hipError_tPvRmT2_T3_mT4_T5_T6_T7_T8_P12ihipStream_tbENKUlT_T0_E_clISt17integral_constantIbLb1EES15_IbLb0EEEEDaS11_S12_EUlS11_E_NS1_11comp_targetILNS1_3genE9ELNS1_11target_archE1100ELNS1_3gpuE3ELNS1_3repE0EEENS1_30default_config_static_selectorELNS0_4arch9wavefront6targetE1EEEvT1_,"axG",@progbits,_ZN7rocprim17ROCPRIM_400000_NS6detail17trampoline_kernelINS0_14default_configENS1_29reduce_by_key_config_selectorIjtN6thrust23THRUST_200600_302600_NS4plusItEEEEZZNS1_33reduce_by_key_impl_wrapped_configILNS1_25lookback_scan_determinismE0ES3_S9_NS6_6detail15normal_iteratorINS6_10device_ptrIjEEEENSD_INSE_ItEEEENS6_16discard_iteratorINS6_11use_defaultEEESI_PmS8_NS6_8equal_toIjEEEE10hipError_tPvRmT2_T3_mT4_T5_T6_T7_T8_P12ihipStream_tbENKUlT_T0_E_clISt17integral_constantIbLb1EES15_IbLb0EEEEDaS11_S12_EUlS11_E_NS1_11comp_targetILNS1_3genE9ELNS1_11target_archE1100ELNS1_3gpuE3ELNS1_3repE0EEENS1_30default_config_static_selectorELNS0_4arch9wavefront6targetE1EEEvT1_,comdat
.Lfunc_end974:
	.size	_ZN7rocprim17ROCPRIM_400000_NS6detail17trampoline_kernelINS0_14default_configENS1_29reduce_by_key_config_selectorIjtN6thrust23THRUST_200600_302600_NS4plusItEEEEZZNS1_33reduce_by_key_impl_wrapped_configILNS1_25lookback_scan_determinismE0ES3_S9_NS6_6detail15normal_iteratorINS6_10device_ptrIjEEEENSD_INSE_ItEEEENS6_16discard_iteratorINS6_11use_defaultEEESI_PmS8_NS6_8equal_toIjEEEE10hipError_tPvRmT2_T3_mT4_T5_T6_T7_T8_P12ihipStream_tbENKUlT_T0_E_clISt17integral_constantIbLb1EES15_IbLb0EEEEDaS11_S12_EUlS11_E_NS1_11comp_targetILNS1_3genE9ELNS1_11target_archE1100ELNS1_3gpuE3ELNS1_3repE0EEENS1_30default_config_static_selectorELNS0_4arch9wavefront6targetE1EEEvT1_, .Lfunc_end974-_ZN7rocprim17ROCPRIM_400000_NS6detail17trampoline_kernelINS0_14default_configENS1_29reduce_by_key_config_selectorIjtN6thrust23THRUST_200600_302600_NS4plusItEEEEZZNS1_33reduce_by_key_impl_wrapped_configILNS1_25lookback_scan_determinismE0ES3_S9_NS6_6detail15normal_iteratorINS6_10device_ptrIjEEEENSD_INSE_ItEEEENS6_16discard_iteratorINS6_11use_defaultEEESI_PmS8_NS6_8equal_toIjEEEE10hipError_tPvRmT2_T3_mT4_T5_T6_T7_T8_P12ihipStream_tbENKUlT_T0_E_clISt17integral_constantIbLb1EES15_IbLb0EEEEDaS11_S12_EUlS11_E_NS1_11comp_targetILNS1_3genE9ELNS1_11target_archE1100ELNS1_3gpuE3ELNS1_3repE0EEENS1_30default_config_static_selectorELNS0_4arch9wavefront6targetE1EEEvT1_
                                        ; -- End function
	.section	.AMDGPU.csdata,"",@progbits
; Kernel info:
; codeLenInByte = 0
; NumSgprs: 4
; NumVgprs: 0
; NumAgprs: 0
; TotalNumVgprs: 0
; ScratchSize: 0
; MemoryBound: 0
; FloatMode: 240
; IeeeMode: 1
; LDSByteSize: 0 bytes/workgroup (compile time only)
; SGPRBlocks: 0
; VGPRBlocks: 0
; NumSGPRsForWavesPerEU: 4
; NumVGPRsForWavesPerEU: 1
; AccumOffset: 4
; Occupancy: 8
; WaveLimiterHint : 0
; COMPUTE_PGM_RSRC2:SCRATCH_EN: 0
; COMPUTE_PGM_RSRC2:USER_SGPR: 6
; COMPUTE_PGM_RSRC2:TRAP_HANDLER: 0
; COMPUTE_PGM_RSRC2:TGID_X_EN: 1
; COMPUTE_PGM_RSRC2:TGID_Y_EN: 0
; COMPUTE_PGM_RSRC2:TGID_Z_EN: 0
; COMPUTE_PGM_RSRC2:TIDIG_COMP_CNT: 0
; COMPUTE_PGM_RSRC3_GFX90A:ACCUM_OFFSET: 0
; COMPUTE_PGM_RSRC3_GFX90A:TG_SPLIT: 0
	.section	.text._ZN7rocprim17ROCPRIM_400000_NS6detail17trampoline_kernelINS0_14default_configENS1_29reduce_by_key_config_selectorIjtN6thrust23THRUST_200600_302600_NS4plusItEEEEZZNS1_33reduce_by_key_impl_wrapped_configILNS1_25lookback_scan_determinismE0ES3_S9_NS6_6detail15normal_iteratorINS6_10device_ptrIjEEEENSD_INSE_ItEEEENS6_16discard_iteratorINS6_11use_defaultEEESI_PmS8_NS6_8equal_toIjEEEE10hipError_tPvRmT2_T3_mT4_T5_T6_T7_T8_P12ihipStream_tbENKUlT_T0_E_clISt17integral_constantIbLb1EES15_IbLb0EEEEDaS11_S12_EUlS11_E_NS1_11comp_targetILNS1_3genE8ELNS1_11target_archE1030ELNS1_3gpuE2ELNS1_3repE0EEENS1_30default_config_static_selectorELNS0_4arch9wavefront6targetE1EEEvT1_,"axG",@progbits,_ZN7rocprim17ROCPRIM_400000_NS6detail17trampoline_kernelINS0_14default_configENS1_29reduce_by_key_config_selectorIjtN6thrust23THRUST_200600_302600_NS4plusItEEEEZZNS1_33reduce_by_key_impl_wrapped_configILNS1_25lookback_scan_determinismE0ES3_S9_NS6_6detail15normal_iteratorINS6_10device_ptrIjEEEENSD_INSE_ItEEEENS6_16discard_iteratorINS6_11use_defaultEEESI_PmS8_NS6_8equal_toIjEEEE10hipError_tPvRmT2_T3_mT4_T5_T6_T7_T8_P12ihipStream_tbENKUlT_T0_E_clISt17integral_constantIbLb1EES15_IbLb0EEEEDaS11_S12_EUlS11_E_NS1_11comp_targetILNS1_3genE8ELNS1_11target_archE1030ELNS1_3gpuE2ELNS1_3repE0EEENS1_30default_config_static_selectorELNS0_4arch9wavefront6targetE1EEEvT1_,comdat
	.protected	_ZN7rocprim17ROCPRIM_400000_NS6detail17trampoline_kernelINS0_14default_configENS1_29reduce_by_key_config_selectorIjtN6thrust23THRUST_200600_302600_NS4plusItEEEEZZNS1_33reduce_by_key_impl_wrapped_configILNS1_25lookback_scan_determinismE0ES3_S9_NS6_6detail15normal_iteratorINS6_10device_ptrIjEEEENSD_INSE_ItEEEENS6_16discard_iteratorINS6_11use_defaultEEESI_PmS8_NS6_8equal_toIjEEEE10hipError_tPvRmT2_T3_mT4_T5_T6_T7_T8_P12ihipStream_tbENKUlT_T0_E_clISt17integral_constantIbLb1EES15_IbLb0EEEEDaS11_S12_EUlS11_E_NS1_11comp_targetILNS1_3genE8ELNS1_11target_archE1030ELNS1_3gpuE2ELNS1_3repE0EEENS1_30default_config_static_selectorELNS0_4arch9wavefront6targetE1EEEvT1_ ; -- Begin function _ZN7rocprim17ROCPRIM_400000_NS6detail17trampoline_kernelINS0_14default_configENS1_29reduce_by_key_config_selectorIjtN6thrust23THRUST_200600_302600_NS4plusItEEEEZZNS1_33reduce_by_key_impl_wrapped_configILNS1_25lookback_scan_determinismE0ES3_S9_NS6_6detail15normal_iteratorINS6_10device_ptrIjEEEENSD_INSE_ItEEEENS6_16discard_iteratorINS6_11use_defaultEEESI_PmS8_NS6_8equal_toIjEEEE10hipError_tPvRmT2_T3_mT4_T5_T6_T7_T8_P12ihipStream_tbENKUlT_T0_E_clISt17integral_constantIbLb1EES15_IbLb0EEEEDaS11_S12_EUlS11_E_NS1_11comp_targetILNS1_3genE8ELNS1_11target_archE1030ELNS1_3gpuE2ELNS1_3repE0EEENS1_30default_config_static_selectorELNS0_4arch9wavefront6targetE1EEEvT1_
	.globl	_ZN7rocprim17ROCPRIM_400000_NS6detail17trampoline_kernelINS0_14default_configENS1_29reduce_by_key_config_selectorIjtN6thrust23THRUST_200600_302600_NS4plusItEEEEZZNS1_33reduce_by_key_impl_wrapped_configILNS1_25lookback_scan_determinismE0ES3_S9_NS6_6detail15normal_iteratorINS6_10device_ptrIjEEEENSD_INSE_ItEEEENS6_16discard_iteratorINS6_11use_defaultEEESI_PmS8_NS6_8equal_toIjEEEE10hipError_tPvRmT2_T3_mT4_T5_T6_T7_T8_P12ihipStream_tbENKUlT_T0_E_clISt17integral_constantIbLb1EES15_IbLb0EEEEDaS11_S12_EUlS11_E_NS1_11comp_targetILNS1_3genE8ELNS1_11target_archE1030ELNS1_3gpuE2ELNS1_3repE0EEENS1_30default_config_static_selectorELNS0_4arch9wavefront6targetE1EEEvT1_
	.p2align	8
	.type	_ZN7rocprim17ROCPRIM_400000_NS6detail17trampoline_kernelINS0_14default_configENS1_29reduce_by_key_config_selectorIjtN6thrust23THRUST_200600_302600_NS4plusItEEEEZZNS1_33reduce_by_key_impl_wrapped_configILNS1_25lookback_scan_determinismE0ES3_S9_NS6_6detail15normal_iteratorINS6_10device_ptrIjEEEENSD_INSE_ItEEEENS6_16discard_iteratorINS6_11use_defaultEEESI_PmS8_NS6_8equal_toIjEEEE10hipError_tPvRmT2_T3_mT4_T5_T6_T7_T8_P12ihipStream_tbENKUlT_T0_E_clISt17integral_constantIbLb1EES15_IbLb0EEEEDaS11_S12_EUlS11_E_NS1_11comp_targetILNS1_3genE8ELNS1_11target_archE1030ELNS1_3gpuE2ELNS1_3repE0EEENS1_30default_config_static_selectorELNS0_4arch9wavefront6targetE1EEEvT1_,@function
_ZN7rocprim17ROCPRIM_400000_NS6detail17trampoline_kernelINS0_14default_configENS1_29reduce_by_key_config_selectorIjtN6thrust23THRUST_200600_302600_NS4plusItEEEEZZNS1_33reduce_by_key_impl_wrapped_configILNS1_25lookback_scan_determinismE0ES3_S9_NS6_6detail15normal_iteratorINS6_10device_ptrIjEEEENSD_INSE_ItEEEENS6_16discard_iteratorINS6_11use_defaultEEESI_PmS8_NS6_8equal_toIjEEEE10hipError_tPvRmT2_T3_mT4_T5_T6_T7_T8_P12ihipStream_tbENKUlT_T0_E_clISt17integral_constantIbLb1EES15_IbLb0EEEEDaS11_S12_EUlS11_E_NS1_11comp_targetILNS1_3genE8ELNS1_11target_archE1030ELNS1_3gpuE2ELNS1_3repE0EEENS1_30default_config_static_selectorELNS0_4arch9wavefront6targetE1EEEvT1_: ; @_ZN7rocprim17ROCPRIM_400000_NS6detail17trampoline_kernelINS0_14default_configENS1_29reduce_by_key_config_selectorIjtN6thrust23THRUST_200600_302600_NS4plusItEEEEZZNS1_33reduce_by_key_impl_wrapped_configILNS1_25lookback_scan_determinismE0ES3_S9_NS6_6detail15normal_iteratorINS6_10device_ptrIjEEEENSD_INSE_ItEEEENS6_16discard_iteratorINS6_11use_defaultEEESI_PmS8_NS6_8equal_toIjEEEE10hipError_tPvRmT2_T3_mT4_T5_T6_T7_T8_P12ihipStream_tbENKUlT_T0_E_clISt17integral_constantIbLb1EES15_IbLb0EEEEDaS11_S12_EUlS11_E_NS1_11comp_targetILNS1_3genE8ELNS1_11target_archE1030ELNS1_3gpuE2ELNS1_3repE0EEENS1_30default_config_static_selectorELNS0_4arch9wavefront6targetE1EEEvT1_
; %bb.0:
	.section	.rodata,"a",@progbits
	.p2align	6, 0x0
	.amdhsa_kernel _ZN7rocprim17ROCPRIM_400000_NS6detail17trampoline_kernelINS0_14default_configENS1_29reduce_by_key_config_selectorIjtN6thrust23THRUST_200600_302600_NS4plusItEEEEZZNS1_33reduce_by_key_impl_wrapped_configILNS1_25lookback_scan_determinismE0ES3_S9_NS6_6detail15normal_iteratorINS6_10device_ptrIjEEEENSD_INSE_ItEEEENS6_16discard_iteratorINS6_11use_defaultEEESI_PmS8_NS6_8equal_toIjEEEE10hipError_tPvRmT2_T3_mT4_T5_T6_T7_T8_P12ihipStream_tbENKUlT_T0_E_clISt17integral_constantIbLb1EES15_IbLb0EEEEDaS11_S12_EUlS11_E_NS1_11comp_targetILNS1_3genE8ELNS1_11target_archE1030ELNS1_3gpuE2ELNS1_3repE0EEENS1_30default_config_static_selectorELNS0_4arch9wavefront6targetE1EEEvT1_
		.amdhsa_group_segment_fixed_size 0
		.amdhsa_private_segment_fixed_size 0
		.amdhsa_kernarg_size 128
		.amdhsa_user_sgpr_count 6
		.amdhsa_user_sgpr_private_segment_buffer 1
		.amdhsa_user_sgpr_dispatch_ptr 0
		.amdhsa_user_sgpr_queue_ptr 0
		.amdhsa_user_sgpr_kernarg_segment_ptr 1
		.amdhsa_user_sgpr_dispatch_id 0
		.amdhsa_user_sgpr_flat_scratch_init 0
		.amdhsa_user_sgpr_kernarg_preload_length 0
		.amdhsa_user_sgpr_kernarg_preload_offset 0
		.amdhsa_user_sgpr_private_segment_size 0
		.amdhsa_uses_dynamic_stack 0
		.amdhsa_system_sgpr_private_segment_wavefront_offset 0
		.amdhsa_system_sgpr_workgroup_id_x 1
		.amdhsa_system_sgpr_workgroup_id_y 0
		.amdhsa_system_sgpr_workgroup_id_z 0
		.amdhsa_system_sgpr_workgroup_info 0
		.amdhsa_system_vgpr_workitem_id 0
		.amdhsa_next_free_vgpr 1
		.amdhsa_next_free_sgpr 0
		.amdhsa_accum_offset 4
		.amdhsa_reserve_vcc 0
		.amdhsa_reserve_flat_scratch 0
		.amdhsa_float_round_mode_32 0
		.amdhsa_float_round_mode_16_64 0
		.amdhsa_float_denorm_mode_32 3
		.amdhsa_float_denorm_mode_16_64 3
		.amdhsa_dx10_clamp 1
		.amdhsa_ieee_mode 1
		.amdhsa_fp16_overflow 0
		.amdhsa_tg_split 0
		.amdhsa_exception_fp_ieee_invalid_op 0
		.amdhsa_exception_fp_denorm_src 0
		.amdhsa_exception_fp_ieee_div_zero 0
		.amdhsa_exception_fp_ieee_overflow 0
		.amdhsa_exception_fp_ieee_underflow 0
		.amdhsa_exception_fp_ieee_inexact 0
		.amdhsa_exception_int_div_zero 0
	.end_amdhsa_kernel
	.section	.text._ZN7rocprim17ROCPRIM_400000_NS6detail17trampoline_kernelINS0_14default_configENS1_29reduce_by_key_config_selectorIjtN6thrust23THRUST_200600_302600_NS4plusItEEEEZZNS1_33reduce_by_key_impl_wrapped_configILNS1_25lookback_scan_determinismE0ES3_S9_NS6_6detail15normal_iteratorINS6_10device_ptrIjEEEENSD_INSE_ItEEEENS6_16discard_iteratorINS6_11use_defaultEEESI_PmS8_NS6_8equal_toIjEEEE10hipError_tPvRmT2_T3_mT4_T5_T6_T7_T8_P12ihipStream_tbENKUlT_T0_E_clISt17integral_constantIbLb1EES15_IbLb0EEEEDaS11_S12_EUlS11_E_NS1_11comp_targetILNS1_3genE8ELNS1_11target_archE1030ELNS1_3gpuE2ELNS1_3repE0EEENS1_30default_config_static_selectorELNS0_4arch9wavefront6targetE1EEEvT1_,"axG",@progbits,_ZN7rocprim17ROCPRIM_400000_NS6detail17trampoline_kernelINS0_14default_configENS1_29reduce_by_key_config_selectorIjtN6thrust23THRUST_200600_302600_NS4plusItEEEEZZNS1_33reduce_by_key_impl_wrapped_configILNS1_25lookback_scan_determinismE0ES3_S9_NS6_6detail15normal_iteratorINS6_10device_ptrIjEEEENSD_INSE_ItEEEENS6_16discard_iteratorINS6_11use_defaultEEESI_PmS8_NS6_8equal_toIjEEEE10hipError_tPvRmT2_T3_mT4_T5_T6_T7_T8_P12ihipStream_tbENKUlT_T0_E_clISt17integral_constantIbLb1EES15_IbLb0EEEEDaS11_S12_EUlS11_E_NS1_11comp_targetILNS1_3genE8ELNS1_11target_archE1030ELNS1_3gpuE2ELNS1_3repE0EEENS1_30default_config_static_selectorELNS0_4arch9wavefront6targetE1EEEvT1_,comdat
.Lfunc_end975:
	.size	_ZN7rocprim17ROCPRIM_400000_NS6detail17trampoline_kernelINS0_14default_configENS1_29reduce_by_key_config_selectorIjtN6thrust23THRUST_200600_302600_NS4plusItEEEEZZNS1_33reduce_by_key_impl_wrapped_configILNS1_25lookback_scan_determinismE0ES3_S9_NS6_6detail15normal_iteratorINS6_10device_ptrIjEEEENSD_INSE_ItEEEENS6_16discard_iteratorINS6_11use_defaultEEESI_PmS8_NS6_8equal_toIjEEEE10hipError_tPvRmT2_T3_mT4_T5_T6_T7_T8_P12ihipStream_tbENKUlT_T0_E_clISt17integral_constantIbLb1EES15_IbLb0EEEEDaS11_S12_EUlS11_E_NS1_11comp_targetILNS1_3genE8ELNS1_11target_archE1030ELNS1_3gpuE2ELNS1_3repE0EEENS1_30default_config_static_selectorELNS0_4arch9wavefront6targetE1EEEvT1_, .Lfunc_end975-_ZN7rocprim17ROCPRIM_400000_NS6detail17trampoline_kernelINS0_14default_configENS1_29reduce_by_key_config_selectorIjtN6thrust23THRUST_200600_302600_NS4plusItEEEEZZNS1_33reduce_by_key_impl_wrapped_configILNS1_25lookback_scan_determinismE0ES3_S9_NS6_6detail15normal_iteratorINS6_10device_ptrIjEEEENSD_INSE_ItEEEENS6_16discard_iteratorINS6_11use_defaultEEESI_PmS8_NS6_8equal_toIjEEEE10hipError_tPvRmT2_T3_mT4_T5_T6_T7_T8_P12ihipStream_tbENKUlT_T0_E_clISt17integral_constantIbLb1EES15_IbLb0EEEEDaS11_S12_EUlS11_E_NS1_11comp_targetILNS1_3genE8ELNS1_11target_archE1030ELNS1_3gpuE2ELNS1_3repE0EEENS1_30default_config_static_selectorELNS0_4arch9wavefront6targetE1EEEvT1_
                                        ; -- End function
	.section	.AMDGPU.csdata,"",@progbits
; Kernel info:
; codeLenInByte = 0
; NumSgprs: 4
; NumVgprs: 0
; NumAgprs: 0
; TotalNumVgprs: 0
; ScratchSize: 0
; MemoryBound: 0
; FloatMode: 240
; IeeeMode: 1
; LDSByteSize: 0 bytes/workgroup (compile time only)
; SGPRBlocks: 0
; VGPRBlocks: 0
; NumSGPRsForWavesPerEU: 4
; NumVGPRsForWavesPerEU: 1
; AccumOffset: 4
; Occupancy: 8
; WaveLimiterHint : 0
; COMPUTE_PGM_RSRC2:SCRATCH_EN: 0
; COMPUTE_PGM_RSRC2:USER_SGPR: 6
; COMPUTE_PGM_RSRC2:TRAP_HANDLER: 0
; COMPUTE_PGM_RSRC2:TGID_X_EN: 1
; COMPUTE_PGM_RSRC2:TGID_Y_EN: 0
; COMPUTE_PGM_RSRC2:TGID_Z_EN: 0
; COMPUTE_PGM_RSRC2:TIDIG_COMP_CNT: 0
; COMPUTE_PGM_RSRC3_GFX90A:ACCUM_OFFSET: 0
; COMPUTE_PGM_RSRC3_GFX90A:TG_SPLIT: 0
	.section	.text._ZN7rocprim17ROCPRIM_400000_NS6detail17trampoline_kernelINS0_14default_configENS1_29reduce_by_key_config_selectorIjtN6thrust23THRUST_200600_302600_NS4plusItEEEEZZNS1_33reduce_by_key_impl_wrapped_configILNS1_25lookback_scan_determinismE0ES3_S9_NS6_6detail15normal_iteratorINS6_10device_ptrIjEEEENSD_INSE_ItEEEENS6_16discard_iteratorINS6_11use_defaultEEESI_PmS8_NS6_8equal_toIjEEEE10hipError_tPvRmT2_T3_mT4_T5_T6_T7_T8_P12ihipStream_tbENKUlT_T0_E_clISt17integral_constantIbLb0EES15_IbLb1EEEEDaS11_S12_EUlS11_E_NS1_11comp_targetILNS1_3genE0ELNS1_11target_archE4294967295ELNS1_3gpuE0ELNS1_3repE0EEENS1_30default_config_static_selectorELNS0_4arch9wavefront6targetE1EEEvT1_,"axG",@progbits,_ZN7rocprim17ROCPRIM_400000_NS6detail17trampoline_kernelINS0_14default_configENS1_29reduce_by_key_config_selectorIjtN6thrust23THRUST_200600_302600_NS4plusItEEEEZZNS1_33reduce_by_key_impl_wrapped_configILNS1_25lookback_scan_determinismE0ES3_S9_NS6_6detail15normal_iteratorINS6_10device_ptrIjEEEENSD_INSE_ItEEEENS6_16discard_iteratorINS6_11use_defaultEEESI_PmS8_NS6_8equal_toIjEEEE10hipError_tPvRmT2_T3_mT4_T5_T6_T7_T8_P12ihipStream_tbENKUlT_T0_E_clISt17integral_constantIbLb0EES15_IbLb1EEEEDaS11_S12_EUlS11_E_NS1_11comp_targetILNS1_3genE0ELNS1_11target_archE4294967295ELNS1_3gpuE0ELNS1_3repE0EEENS1_30default_config_static_selectorELNS0_4arch9wavefront6targetE1EEEvT1_,comdat
	.protected	_ZN7rocprim17ROCPRIM_400000_NS6detail17trampoline_kernelINS0_14default_configENS1_29reduce_by_key_config_selectorIjtN6thrust23THRUST_200600_302600_NS4plusItEEEEZZNS1_33reduce_by_key_impl_wrapped_configILNS1_25lookback_scan_determinismE0ES3_S9_NS6_6detail15normal_iteratorINS6_10device_ptrIjEEEENSD_INSE_ItEEEENS6_16discard_iteratorINS6_11use_defaultEEESI_PmS8_NS6_8equal_toIjEEEE10hipError_tPvRmT2_T3_mT4_T5_T6_T7_T8_P12ihipStream_tbENKUlT_T0_E_clISt17integral_constantIbLb0EES15_IbLb1EEEEDaS11_S12_EUlS11_E_NS1_11comp_targetILNS1_3genE0ELNS1_11target_archE4294967295ELNS1_3gpuE0ELNS1_3repE0EEENS1_30default_config_static_selectorELNS0_4arch9wavefront6targetE1EEEvT1_ ; -- Begin function _ZN7rocprim17ROCPRIM_400000_NS6detail17trampoline_kernelINS0_14default_configENS1_29reduce_by_key_config_selectorIjtN6thrust23THRUST_200600_302600_NS4plusItEEEEZZNS1_33reduce_by_key_impl_wrapped_configILNS1_25lookback_scan_determinismE0ES3_S9_NS6_6detail15normal_iteratorINS6_10device_ptrIjEEEENSD_INSE_ItEEEENS6_16discard_iteratorINS6_11use_defaultEEESI_PmS8_NS6_8equal_toIjEEEE10hipError_tPvRmT2_T3_mT4_T5_T6_T7_T8_P12ihipStream_tbENKUlT_T0_E_clISt17integral_constantIbLb0EES15_IbLb1EEEEDaS11_S12_EUlS11_E_NS1_11comp_targetILNS1_3genE0ELNS1_11target_archE4294967295ELNS1_3gpuE0ELNS1_3repE0EEENS1_30default_config_static_selectorELNS0_4arch9wavefront6targetE1EEEvT1_
	.globl	_ZN7rocprim17ROCPRIM_400000_NS6detail17trampoline_kernelINS0_14default_configENS1_29reduce_by_key_config_selectorIjtN6thrust23THRUST_200600_302600_NS4plusItEEEEZZNS1_33reduce_by_key_impl_wrapped_configILNS1_25lookback_scan_determinismE0ES3_S9_NS6_6detail15normal_iteratorINS6_10device_ptrIjEEEENSD_INSE_ItEEEENS6_16discard_iteratorINS6_11use_defaultEEESI_PmS8_NS6_8equal_toIjEEEE10hipError_tPvRmT2_T3_mT4_T5_T6_T7_T8_P12ihipStream_tbENKUlT_T0_E_clISt17integral_constantIbLb0EES15_IbLb1EEEEDaS11_S12_EUlS11_E_NS1_11comp_targetILNS1_3genE0ELNS1_11target_archE4294967295ELNS1_3gpuE0ELNS1_3repE0EEENS1_30default_config_static_selectorELNS0_4arch9wavefront6targetE1EEEvT1_
	.p2align	8
	.type	_ZN7rocprim17ROCPRIM_400000_NS6detail17trampoline_kernelINS0_14default_configENS1_29reduce_by_key_config_selectorIjtN6thrust23THRUST_200600_302600_NS4plusItEEEEZZNS1_33reduce_by_key_impl_wrapped_configILNS1_25lookback_scan_determinismE0ES3_S9_NS6_6detail15normal_iteratorINS6_10device_ptrIjEEEENSD_INSE_ItEEEENS6_16discard_iteratorINS6_11use_defaultEEESI_PmS8_NS6_8equal_toIjEEEE10hipError_tPvRmT2_T3_mT4_T5_T6_T7_T8_P12ihipStream_tbENKUlT_T0_E_clISt17integral_constantIbLb0EES15_IbLb1EEEEDaS11_S12_EUlS11_E_NS1_11comp_targetILNS1_3genE0ELNS1_11target_archE4294967295ELNS1_3gpuE0ELNS1_3repE0EEENS1_30default_config_static_selectorELNS0_4arch9wavefront6targetE1EEEvT1_,@function
_ZN7rocprim17ROCPRIM_400000_NS6detail17trampoline_kernelINS0_14default_configENS1_29reduce_by_key_config_selectorIjtN6thrust23THRUST_200600_302600_NS4plusItEEEEZZNS1_33reduce_by_key_impl_wrapped_configILNS1_25lookback_scan_determinismE0ES3_S9_NS6_6detail15normal_iteratorINS6_10device_ptrIjEEEENSD_INSE_ItEEEENS6_16discard_iteratorINS6_11use_defaultEEESI_PmS8_NS6_8equal_toIjEEEE10hipError_tPvRmT2_T3_mT4_T5_T6_T7_T8_P12ihipStream_tbENKUlT_T0_E_clISt17integral_constantIbLb0EES15_IbLb1EEEEDaS11_S12_EUlS11_E_NS1_11comp_targetILNS1_3genE0ELNS1_11target_archE4294967295ELNS1_3gpuE0ELNS1_3repE0EEENS1_30default_config_static_selectorELNS0_4arch9wavefront6targetE1EEEvT1_: ; @_ZN7rocprim17ROCPRIM_400000_NS6detail17trampoline_kernelINS0_14default_configENS1_29reduce_by_key_config_selectorIjtN6thrust23THRUST_200600_302600_NS4plusItEEEEZZNS1_33reduce_by_key_impl_wrapped_configILNS1_25lookback_scan_determinismE0ES3_S9_NS6_6detail15normal_iteratorINS6_10device_ptrIjEEEENSD_INSE_ItEEEENS6_16discard_iteratorINS6_11use_defaultEEESI_PmS8_NS6_8equal_toIjEEEE10hipError_tPvRmT2_T3_mT4_T5_T6_T7_T8_P12ihipStream_tbENKUlT_T0_E_clISt17integral_constantIbLb0EES15_IbLb1EEEEDaS11_S12_EUlS11_E_NS1_11comp_targetILNS1_3genE0ELNS1_11target_archE4294967295ELNS1_3gpuE0ELNS1_3repE0EEENS1_30default_config_static_selectorELNS0_4arch9wavefront6targetE1EEEvT1_
; %bb.0:
	.section	.rodata,"a",@progbits
	.p2align	6, 0x0
	.amdhsa_kernel _ZN7rocprim17ROCPRIM_400000_NS6detail17trampoline_kernelINS0_14default_configENS1_29reduce_by_key_config_selectorIjtN6thrust23THRUST_200600_302600_NS4plusItEEEEZZNS1_33reduce_by_key_impl_wrapped_configILNS1_25lookback_scan_determinismE0ES3_S9_NS6_6detail15normal_iteratorINS6_10device_ptrIjEEEENSD_INSE_ItEEEENS6_16discard_iteratorINS6_11use_defaultEEESI_PmS8_NS6_8equal_toIjEEEE10hipError_tPvRmT2_T3_mT4_T5_T6_T7_T8_P12ihipStream_tbENKUlT_T0_E_clISt17integral_constantIbLb0EES15_IbLb1EEEEDaS11_S12_EUlS11_E_NS1_11comp_targetILNS1_3genE0ELNS1_11target_archE4294967295ELNS1_3gpuE0ELNS1_3repE0EEENS1_30default_config_static_selectorELNS0_4arch9wavefront6targetE1EEEvT1_
		.amdhsa_group_segment_fixed_size 0
		.amdhsa_private_segment_fixed_size 0
		.amdhsa_kernarg_size 128
		.amdhsa_user_sgpr_count 6
		.amdhsa_user_sgpr_private_segment_buffer 1
		.amdhsa_user_sgpr_dispatch_ptr 0
		.amdhsa_user_sgpr_queue_ptr 0
		.amdhsa_user_sgpr_kernarg_segment_ptr 1
		.amdhsa_user_sgpr_dispatch_id 0
		.amdhsa_user_sgpr_flat_scratch_init 0
		.amdhsa_user_sgpr_kernarg_preload_length 0
		.amdhsa_user_sgpr_kernarg_preload_offset 0
		.amdhsa_user_sgpr_private_segment_size 0
		.amdhsa_uses_dynamic_stack 0
		.amdhsa_system_sgpr_private_segment_wavefront_offset 0
		.amdhsa_system_sgpr_workgroup_id_x 1
		.amdhsa_system_sgpr_workgroup_id_y 0
		.amdhsa_system_sgpr_workgroup_id_z 0
		.amdhsa_system_sgpr_workgroup_info 0
		.amdhsa_system_vgpr_workitem_id 0
		.amdhsa_next_free_vgpr 1
		.amdhsa_next_free_sgpr 0
		.amdhsa_accum_offset 4
		.amdhsa_reserve_vcc 0
		.amdhsa_reserve_flat_scratch 0
		.amdhsa_float_round_mode_32 0
		.amdhsa_float_round_mode_16_64 0
		.amdhsa_float_denorm_mode_32 3
		.amdhsa_float_denorm_mode_16_64 3
		.amdhsa_dx10_clamp 1
		.amdhsa_ieee_mode 1
		.amdhsa_fp16_overflow 0
		.amdhsa_tg_split 0
		.amdhsa_exception_fp_ieee_invalid_op 0
		.amdhsa_exception_fp_denorm_src 0
		.amdhsa_exception_fp_ieee_div_zero 0
		.amdhsa_exception_fp_ieee_overflow 0
		.amdhsa_exception_fp_ieee_underflow 0
		.amdhsa_exception_fp_ieee_inexact 0
		.amdhsa_exception_int_div_zero 0
	.end_amdhsa_kernel
	.section	.text._ZN7rocprim17ROCPRIM_400000_NS6detail17trampoline_kernelINS0_14default_configENS1_29reduce_by_key_config_selectorIjtN6thrust23THRUST_200600_302600_NS4plusItEEEEZZNS1_33reduce_by_key_impl_wrapped_configILNS1_25lookback_scan_determinismE0ES3_S9_NS6_6detail15normal_iteratorINS6_10device_ptrIjEEEENSD_INSE_ItEEEENS6_16discard_iteratorINS6_11use_defaultEEESI_PmS8_NS6_8equal_toIjEEEE10hipError_tPvRmT2_T3_mT4_T5_T6_T7_T8_P12ihipStream_tbENKUlT_T0_E_clISt17integral_constantIbLb0EES15_IbLb1EEEEDaS11_S12_EUlS11_E_NS1_11comp_targetILNS1_3genE0ELNS1_11target_archE4294967295ELNS1_3gpuE0ELNS1_3repE0EEENS1_30default_config_static_selectorELNS0_4arch9wavefront6targetE1EEEvT1_,"axG",@progbits,_ZN7rocprim17ROCPRIM_400000_NS6detail17trampoline_kernelINS0_14default_configENS1_29reduce_by_key_config_selectorIjtN6thrust23THRUST_200600_302600_NS4plusItEEEEZZNS1_33reduce_by_key_impl_wrapped_configILNS1_25lookback_scan_determinismE0ES3_S9_NS6_6detail15normal_iteratorINS6_10device_ptrIjEEEENSD_INSE_ItEEEENS6_16discard_iteratorINS6_11use_defaultEEESI_PmS8_NS6_8equal_toIjEEEE10hipError_tPvRmT2_T3_mT4_T5_T6_T7_T8_P12ihipStream_tbENKUlT_T0_E_clISt17integral_constantIbLb0EES15_IbLb1EEEEDaS11_S12_EUlS11_E_NS1_11comp_targetILNS1_3genE0ELNS1_11target_archE4294967295ELNS1_3gpuE0ELNS1_3repE0EEENS1_30default_config_static_selectorELNS0_4arch9wavefront6targetE1EEEvT1_,comdat
.Lfunc_end976:
	.size	_ZN7rocprim17ROCPRIM_400000_NS6detail17trampoline_kernelINS0_14default_configENS1_29reduce_by_key_config_selectorIjtN6thrust23THRUST_200600_302600_NS4plusItEEEEZZNS1_33reduce_by_key_impl_wrapped_configILNS1_25lookback_scan_determinismE0ES3_S9_NS6_6detail15normal_iteratorINS6_10device_ptrIjEEEENSD_INSE_ItEEEENS6_16discard_iteratorINS6_11use_defaultEEESI_PmS8_NS6_8equal_toIjEEEE10hipError_tPvRmT2_T3_mT4_T5_T6_T7_T8_P12ihipStream_tbENKUlT_T0_E_clISt17integral_constantIbLb0EES15_IbLb1EEEEDaS11_S12_EUlS11_E_NS1_11comp_targetILNS1_3genE0ELNS1_11target_archE4294967295ELNS1_3gpuE0ELNS1_3repE0EEENS1_30default_config_static_selectorELNS0_4arch9wavefront6targetE1EEEvT1_, .Lfunc_end976-_ZN7rocprim17ROCPRIM_400000_NS6detail17trampoline_kernelINS0_14default_configENS1_29reduce_by_key_config_selectorIjtN6thrust23THRUST_200600_302600_NS4plusItEEEEZZNS1_33reduce_by_key_impl_wrapped_configILNS1_25lookback_scan_determinismE0ES3_S9_NS6_6detail15normal_iteratorINS6_10device_ptrIjEEEENSD_INSE_ItEEEENS6_16discard_iteratorINS6_11use_defaultEEESI_PmS8_NS6_8equal_toIjEEEE10hipError_tPvRmT2_T3_mT4_T5_T6_T7_T8_P12ihipStream_tbENKUlT_T0_E_clISt17integral_constantIbLb0EES15_IbLb1EEEEDaS11_S12_EUlS11_E_NS1_11comp_targetILNS1_3genE0ELNS1_11target_archE4294967295ELNS1_3gpuE0ELNS1_3repE0EEENS1_30default_config_static_selectorELNS0_4arch9wavefront6targetE1EEEvT1_
                                        ; -- End function
	.section	.AMDGPU.csdata,"",@progbits
; Kernel info:
; codeLenInByte = 0
; NumSgprs: 4
; NumVgprs: 0
; NumAgprs: 0
; TotalNumVgprs: 0
; ScratchSize: 0
; MemoryBound: 0
; FloatMode: 240
; IeeeMode: 1
; LDSByteSize: 0 bytes/workgroup (compile time only)
; SGPRBlocks: 0
; VGPRBlocks: 0
; NumSGPRsForWavesPerEU: 4
; NumVGPRsForWavesPerEU: 1
; AccumOffset: 4
; Occupancy: 8
; WaveLimiterHint : 0
; COMPUTE_PGM_RSRC2:SCRATCH_EN: 0
; COMPUTE_PGM_RSRC2:USER_SGPR: 6
; COMPUTE_PGM_RSRC2:TRAP_HANDLER: 0
; COMPUTE_PGM_RSRC2:TGID_X_EN: 1
; COMPUTE_PGM_RSRC2:TGID_Y_EN: 0
; COMPUTE_PGM_RSRC2:TGID_Z_EN: 0
; COMPUTE_PGM_RSRC2:TIDIG_COMP_CNT: 0
; COMPUTE_PGM_RSRC3_GFX90A:ACCUM_OFFSET: 0
; COMPUTE_PGM_RSRC3_GFX90A:TG_SPLIT: 0
	.section	.text._ZN7rocprim17ROCPRIM_400000_NS6detail17trampoline_kernelINS0_14default_configENS1_29reduce_by_key_config_selectorIjtN6thrust23THRUST_200600_302600_NS4plusItEEEEZZNS1_33reduce_by_key_impl_wrapped_configILNS1_25lookback_scan_determinismE0ES3_S9_NS6_6detail15normal_iteratorINS6_10device_ptrIjEEEENSD_INSE_ItEEEENS6_16discard_iteratorINS6_11use_defaultEEESI_PmS8_NS6_8equal_toIjEEEE10hipError_tPvRmT2_T3_mT4_T5_T6_T7_T8_P12ihipStream_tbENKUlT_T0_E_clISt17integral_constantIbLb0EES15_IbLb1EEEEDaS11_S12_EUlS11_E_NS1_11comp_targetILNS1_3genE5ELNS1_11target_archE942ELNS1_3gpuE9ELNS1_3repE0EEENS1_30default_config_static_selectorELNS0_4arch9wavefront6targetE1EEEvT1_,"axG",@progbits,_ZN7rocprim17ROCPRIM_400000_NS6detail17trampoline_kernelINS0_14default_configENS1_29reduce_by_key_config_selectorIjtN6thrust23THRUST_200600_302600_NS4plusItEEEEZZNS1_33reduce_by_key_impl_wrapped_configILNS1_25lookback_scan_determinismE0ES3_S9_NS6_6detail15normal_iteratorINS6_10device_ptrIjEEEENSD_INSE_ItEEEENS6_16discard_iteratorINS6_11use_defaultEEESI_PmS8_NS6_8equal_toIjEEEE10hipError_tPvRmT2_T3_mT4_T5_T6_T7_T8_P12ihipStream_tbENKUlT_T0_E_clISt17integral_constantIbLb0EES15_IbLb1EEEEDaS11_S12_EUlS11_E_NS1_11comp_targetILNS1_3genE5ELNS1_11target_archE942ELNS1_3gpuE9ELNS1_3repE0EEENS1_30default_config_static_selectorELNS0_4arch9wavefront6targetE1EEEvT1_,comdat
	.protected	_ZN7rocprim17ROCPRIM_400000_NS6detail17trampoline_kernelINS0_14default_configENS1_29reduce_by_key_config_selectorIjtN6thrust23THRUST_200600_302600_NS4plusItEEEEZZNS1_33reduce_by_key_impl_wrapped_configILNS1_25lookback_scan_determinismE0ES3_S9_NS6_6detail15normal_iteratorINS6_10device_ptrIjEEEENSD_INSE_ItEEEENS6_16discard_iteratorINS6_11use_defaultEEESI_PmS8_NS6_8equal_toIjEEEE10hipError_tPvRmT2_T3_mT4_T5_T6_T7_T8_P12ihipStream_tbENKUlT_T0_E_clISt17integral_constantIbLb0EES15_IbLb1EEEEDaS11_S12_EUlS11_E_NS1_11comp_targetILNS1_3genE5ELNS1_11target_archE942ELNS1_3gpuE9ELNS1_3repE0EEENS1_30default_config_static_selectorELNS0_4arch9wavefront6targetE1EEEvT1_ ; -- Begin function _ZN7rocprim17ROCPRIM_400000_NS6detail17trampoline_kernelINS0_14default_configENS1_29reduce_by_key_config_selectorIjtN6thrust23THRUST_200600_302600_NS4plusItEEEEZZNS1_33reduce_by_key_impl_wrapped_configILNS1_25lookback_scan_determinismE0ES3_S9_NS6_6detail15normal_iteratorINS6_10device_ptrIjEEEENSD_INSE_ItEEEENS6_16discard_iteratorINS6_11use_defaultEEESI_PmS8_NS6_8equal_toIjEEEE10hipError_tPvRmT2_T3_mT4_T5_T6_T7_T8_P12ihipStream_tbENKUlT_T0_E_clISt17integral_constantIbLb0EES15_IbLb1EEEEDaS11_S12_EUlS11_E_NS1_11comp_targetILNS1_3genE5ELNS1_11target_archE942ELNS1_3gpuE9ELNS1_3repE0EEENS1_30default_config_static_selectorELNS0_4arch9wavefront6targetE1EEEvT1_
	.globl	_ZN7rocprim17ROCPRIM_400000_NS6detail17trampoline_kernelINS0_14default_configENS1_29reduce_by_key_config_selectorIjtN6thrust23THRUST_200600_302600_NS4plusItEEEEZZNS1_33reduce_by_key_impl_wrapped_configILNS1_25lookback_scan_determinismE0ES3_S9_NS6_6detail15normal_iteratorINS6_10device_ptrIjEEEENSD_INSE_ItEEEENS6_16discard_iteratorINS6_11use_defaultEEESI_PmS8_NS6_8equal_toIjEEEE10hipError_tPvRmT2_T3_mT4_T5_T6_T7_T8_P12ihipStream_tbENKUlT_T0_E_clISt17integral_constantIbLb0EES15_IbLb1EEEEDaS11_S12_EUlS11_E_NS1_11comp_targetILNS1_3genE5ELNS1_11target_archE942ELNS1_3gpuE9ELNS1_3repE0EEENS1_30default_config_static_selectorELNS0_4arch9wavefront6targetE1EEEvT1_
	.p2align	8
	.type	_ZN7rocprim17ROCPRIM_400000_NS6detail17trampoline_kernelINS0_14default_configENS1_29reduce_by_key_config_selectorIjtN6thrust23THRUST_200600_302600_NS4plusItEEEEZZNS1_33reduce_by_key_impl_wrapped_configILNS1_25lookback_scan_determinismE0ES3_S9_NS6_6detail15normal_iteratorINS6_10device_ptrIjEEEENSD_INSE_ItEEEENS6_16discard_iteratorINS6_11use_defaultEEESI_PmS8_NS6_8equal_toIjEEEE10hipError_tPvRmT2_T3_mT4_T5_T6_T7_T8_P12ihipStream_tbENKUlT_T0_E_clISt17integral_constantIbLb0EES15_IbLb1EEEEDaS11_S12_EUlS11_E_NS1_11comp_targetILNS1_3genE5ELNS1_11target_archE942ELNS1_3gpuE9ELNS1_3repE0EEENS1_30default_config_static_selectorELNS0_4arch9wavefront6targetE1EEEvT1_,@function
_ZN7rocprim17ROCPRIM_400000_NS6detail17trampoline_kernelINS0_14default_configENS1_29reduce_by_key_config_selectorIjtN6thrust23THRUST_200600_302600_NS4plusItEEEEZZNS1_33reduce_by_key_impl_wrapped_configILNS1_25lookback_scan_determinismE0ES3_S9_NS6_6detail15normal_iteratorINS6_10device_ptrIjEEEENSD_INSE_ItEEEENS6_16discard_iteratorINS6_11use_defaultEEESI_PmS8_NS6_8equal_toIjEEEE10hipError_tPvRmT2_T3_mT4_T5_T6_T7_T8_P12ihipStream_tbENKUlT_T0_E_clISt17integral_constantIbLb0EES15_IbLb1EEEEDaS11_S12_EUlS11_E_NS1_11comp_targetILNS1_3genE5ELNS1_11target_archE942ELNS1_3gpuE9ELNS1_3repE0EEENS1_30default_config_static_selectorELNS0_4arch9wavefront6targetE1EEEvT1_: ; @_ZN7rocprim17ROCPRIM_400000_NS6detail17trampoline_kernelINS0_14default_configENS1_29reduce_by_key_config_selectorIjtN6thrust23THRUST_200600_302600_NS4plusItEEEEZZNS1_33reduce_by_key_impl_wrapped_configILNS1_25lookback_scan_determinismE0ES3_S9_NS6_6detail15normal_iteratorINS6_10device_ptrIjEEEENSD_INSE_ItEEEENS6_16discard_iteratorINS6_11use_defaultEEESI_PmS8_NS6_8equal_toIjEEEE10hipError_tPvRmT2_T3_mT4_T5_T6_T7_T8_P12ihipStream_tbENKUlT_T0_E_clISt17integral_constantIbLb0EES15_IbLb1EEEEDaS11_S12_EUlS11_E_NS1_11comp_targetILNS1_3genE5ELNS1_11target_archE942ELNS1_3gpuE9ELNS1_3repE0EEENS1_30default_config_static_selectorELNS0_4arch9wavefront6targetE1EEEvT1_
; %bb.0:
	.section	.rodata,"a",@progbits
	.p2align	6, 0x0
	.amdhsa_kernel _ZN7rocprim17ROCPRIM_400000_NS6detail17trampoline_kernelINS0_14default_configENS1_29reduce_by_key_config_selectorIjtN6thrust23THRUST_200600_302600_NS4plusItEEEEZZNS1_33reduce_by_key_impl_wrapped_configILNS1_25lookback_scan_determinismE0ES3_S9_NS6_6detail15normal_iteratorINS6_10device_ptrIjEEEENSD_INSE_ItEEEENS6_16discard_iteratorINS6_11use_defaultEEESI_PmS8_NS6_8equal_toIjEEEE10hipError_tPvRmT2_T3_mT4_T5_T6_T7_T8_P12ihipStream_tbENKUlT_T0_E_clISt17integral_constantIbLb0EES15_IbLb1EEEEDaS11_S12_EUlS11_E_NS1_11comp_targetILNS1_3genE5ELNS1_11target_archE942ELNS1_3gpuE9ELNS1_3repE0EEENS1_30default_config_static_selectorELNS0_4arch9wavefront6targetE1EEEvT1_
		.amdhsa_group_segment_fixed_size 0
		.amdhsa_private_segment_fixed_size 0
		.amdhsa_kernarg_size 128
		.amdhsa_user_sgpr_count 6
		.amdhsa_user_sgpr_private_segment_buffer 1
		.amdhsa_user_sgpr_dispatch_ptr 0
		.amdhsa_user_sgpr_queue_ptr 0
		.amdhsa_user_sgpr_kernarg_segment_ptr 1
		.amdhsa_user_sgpr_dispatch_id 0
		.amdhsa_user_sgpr_flat_scratch_init 0
		.amdhsa_user_sgpr_kernarg_preload_length 0
		.amdhsa_user_sgpr_kernarg_preload_offset 0
		.amdhsa_user_sgpr_private_segment_size 0
		.amdhsa_uses_dynamic_stack 0
		.amdhsa_system_sgpr_private_segment_wavefront_offset 0
		.amdhsa_system_sgpr_workgroup_id_x 1
		.amdhsa_system_sgpr_workgroup_id_y 0
		.amdhsa_system_sgpr_workgroup_id_z 0
		.amdhsa_system_sgpr_workgroup_info 0
		.amdhsa_system_vgpr_workitem_id 0
		.amdhsa_next_free_vgpr 1
		.amdhsa_next_free_sgpr 0
		.amdhsa_accum_offset 4
		.amdhsa_reserve_vcc 0
		.amdhsa_reserve_flat_scratch 0
		.amdhsa_float_round_mode_32 0
		.amdhsa_float_round_mode_16_64 0
		.amdhsa_float_denorm_mode_32 3
		.amdhsa_float_denorm_mode_16_64 3
		.amdhsa_dx10_clamp 1
		.amdhsa_ieee_mode 1
		.amdhsa_fp16_overflow 0
		.amdhsa_tg_split 0
		.amdhsa_exception_fp_ieee_invalid_op 0
		.amdhsa_exception_fp_denorm_src 0
		.amdhsa_exception_fp_ieee_div_zero 0
		.amdhsa_exception_fp_ieee_overflow 0
		.amdhsa_exception_fp_ieee_underflow 0
		.amdhsa_exception_fp_ieee_inexact 0
		.amdhsa_exception_int_div_zero 0
	.end_amdhsa_kernel
	.section	.text._ZN7rocprim17ROCPRIM_400000_NS6detail17trampoline_kernelINS0_14default_configENS1_29reduce_by_key_config_selectorIjtN6thrust23THRUST_200600_302600_NS4plusItEEEEZZNS1_33reduce_by_key_impl_wrapped_configILNS1_25lookback_scan_determinismE0ES3_S9_NS6_6detail15normal_iteratorINS6_10device_ptrIjEEEENSD_INSE_ItEEEENS6_16discard_iteratorINS6_11use_defaultEEESI_PmS8_NS6_8equal_toIjEEEE10hipError_tPvRmT2_T3_mT4_T5_T6_T7_T8_P12ihipStream_tbENKUlT_T0_E_clISt17integral_constantIbLb0EES15_IbLb1EEEEDaS11_S12_EUlS11_E_NS1_11comp_targetILNS1_3genE5ELNS1_11target_archE942ELNS1_3gpuE9ELNS1_3repE0EEENS1_30default_config_static_selectorELNS0_4arch9wavefront6targetE1EEEvT1_,"axG",@progbits,_ZN7rocprim17ROCPRIM_400000_NS6detail17trampoline_kernelINS0_14default_configENS1_29reduce_by_key_config_selectorIjtN6thrust23THRUST_200600_302600_NS4plusItEEEEZZNS1_33reduce_by_key_impl_wrapped_configILNS1_25lookback_scan_determinismE0ES3_S9_NS6_6detail15normal_iteratorINS6_10device_ptrIjEEEENSD_INSE_ItEEEENS6_16discard_iteratorINS6_11use_defaultEEESI_PmS8_NS6_8equal_toIjEEEE10hipError_tPvRmT2_T3_mT4_T5_T6_T7_T8_P12ihipStream_tbENKUlT_T0_E_clISt17integral_constantIbLb0EES15_IbLb1EEEEDaS11_S12_EUlS11_E_NS1_11comp_targetILNS1_3genE5ELNS1_11target_archE942ELNS1_3gpuE9ELNS1_3repE0EEENS1_30default_config_static_selectorELNS0_4arch9wavefront6targetE1EEEvT1_,comdat
.Lfunc_end977:
	.size	_ZN7rocprim17ROCPRIM_400000_NS6detail17trampoline_kernelINS0_14default_configENS1_29reduce_by_key_config_selectorIjtN6thrust23THRUST_200600_302600_NS4plusItEEEEZZNS1_33reduce_by_key_impl_wrapped_configILNS1_25lookback_scan_determinismE0ES3_S9_NS6_6detail15normal_iteratorINS6_10device_ptrIjEEEENSD_INSE_ItEEEENS6_16discard_iteratorINS6_11use_defaultEEESI_PmS8_NS6_8equal_toIjEEEE10hipError_tPvRmT2_T3_mT4_T5_T6_T7_T8_P12ihipStream_tbENKUlT_T0_E_clISt17integral_constantIbLb0EES15_IbLb1EEEEDaS11_S12_EUlS11_E_NS1_11comp_targetILNS1_3genE5ELNS1_11target_archE942ELNS1_3gpuE9ELNS1_3repE0EEENS1_30default_config_static_selectorELNS0_4arch9wavefront6targetE1EEEvT1_, .Lfunc_end977-_ZN7rocprim17ROCPRIM_400000_NS6detail17trampoline_kernelINS0_14default_configENS1_29reduce_by_key_config_selectorIjtN6thrust23THRUST_200600_302600_NS4plusItEEEEZZNS1_33reduce_by_key_impl_wrapped_configILNS1_25lookback_scan_determinismE0ES3_S9_NS6_6detail15normal_iteratorINS6_10device_ptrIjEEEENSD_INSE_ItEEEENS6_16discard_iteratorINS6_11use_defaultEEESI_PmS8_NS6_8equal_toIjEEEE10hipError_tPvRmT2_T3_mT4_T5_T6_T7_T8_P12ihipStream_tbENKUlT_T0_E_clISt17integral_constantIbLb0EES15_IbLb1EEEEDaS11_S12_EUlS11_E_NS1_11comp_targetILNS1_3genE5ELNS1_11target_archE942ELNS1_3gpuE9ELNS1_3repE0EEENS1_30default_config_static_selectorELNS0_4arch9wavefront6targetE1EEEvT1_
                                        ; -- End function
	.section	.AMDGPU.csdata,"",@progbits
; Kernel info:
; codeLenInByte = 0
; NumSgprs: 4
; NumVgprs: 0
; NumAgprs: 0
; TotalNumVgprs: 0
; ScratchSize: 0
; MemoryBound: 0
; FloatMode: 240
; IeeeMode: 1
; LDSByteSize: 0 bytes/workgroup (compile time only)
; SGPRBlocks: 0
; VGPRBlocks: 0
; NumSGPRsForWavesPerEU: 4
; NumVGPRsForWavesPerEU: 1
; AccumOffset: 4
; Occupancy: 8
; WaveLimiterHint : 0
; COMPUTE_PGM_RSRC2:SCRATCH_EN: 0
; COMPUTE_PGM_RSRC2:USER_SGPR: 6
; COMPUTE_PGM_RSRC2:TRAP_HANDLER: 0
; COMPUTE_PGM_RSRC2:TGID_X_EN: 1
; COMPUTE_PGM_RSRC2:TGID_Y_EN: 0
; COMPUTE_PGM_RSRC2:TGID_Z_EN: 0
; COMPUTE_PGM_RSRC2:TIDIG_COMP_CNT: 0
; COMPUTE_PGM_RSRC3_GFX90A:ACCUM_OFFSET: 0
; COMPUTE_PGM_RSRC3_GFX90A:TG_SPLIT: 0
	.section	.text._ZN7rocprim17ROCPRIM_400000_NS6detail17trampoline_kernelINS0_14default_configENS1_29reduce_by_key_config_selectorIjtN6thrust23THRUST_200600_302600_NS4plusItEEEEZZNS1_33reduce_by_key_impl_wrapped_configILNS1_25lookback_scan_determinismE0ES3_S9_NS6_6detail15normal_iteratorINS6_10device_ptrIjEEEENSD_INSE_ItEEEENS6_16discard_iteratorINS6_11use_defaultEEESI_PmS8_NS6_8equal_toIjEEEE10hipError_tPvRmT2_T3_mT4_T5_T6_T7_T8_P12ihipStream_tbENKUlT_T0_E_clISt17integral_constantIbLb0EES15_IbLb1EEEEDaS11_S12_EUlS11_E_NS1_11comp_targetILNS1_3genE4ELNS1_11target_archE910ELNS1_3gpuE8ELNS1_3repE0EEENS1_30default_config_static_selectorELNS0_4arch9wavefront6targetE1EEEvT1_,"axG",@progbits,_ZN7rocprim17ROCPRIM_400000_NS6detail17trampoline_kernelINS0_14default_configENS1_29reduce_by_key_config_selectorIjtN6thrust23THRUST_200600_302600_NS4plusItEEEEZZNS1_33reduce_by_key_impl_wrapped_configILNS1_25lookback_scan_determinismE0ES3_S9_NS6_6detail15normal_iteratorINS6_10device_ptrIjEEEENSD_INSE_ItEEEENS6_16discard_iteratorINS6_11use_defaultEEESI_PmS8_NS6_8equal_toIjEEEE10hipError_tPvRmT2_T3_mT4_T5_T6_T7_T8_P12ihipStream_tbENKUlT_T0_E_clISt17integral_constantIbLb0EES15_IbLb1EEEEDaS11_S12_EUlS11_E_NS1_11comp_targetILNS1_3genE4ELNS1_11target_archE910ELNS1_3gpuE8ELNS1_3repE0EEENS1_30default_config_static_selectorELNS0_4arch9wavefront6targetE1EEEvT1_,comdat
	.protected	_ZN7rocprim17ROCPRIM_400000_NS6detail17trampoline_kernelINS0_14default_configENS1_29reduce_by_key_config_selectorIjtN6thrust23THRUST_200600_302600_NS4plusItEEEEZZNS1_33reduce_by_key_impl_wrapped_configILNS1_25lookback_scan_determinismE0ES3_S9_NS6_6detail15normal_iteratorINS6_10device_ptrIjEEEENSD_INSE_ItEEEENS6_16discard_iteratorINS6_11use_defaultEEESI_PmS8_NS6_8equal_toIjEEEE10hipError_tPvRmT2_T3_mT4_T5_T6_T7_T8_P12ihipStream_tbENKUlT_T0_E_clISt17integral_constantIbLb0EES15_IbLb1EEEEDaS11_S12_EUlS11_E_NS1_11comp_targetILNS1_3genE4ELNS1_11target_archE910ELNS1_3gpuE8ELNS1_3repE0EEENS1_30default_config_static_selectorELNS0_4arch9wavefront6targetE1EEEvT1_ ; -- Begin function _ZN7rocprim17ROCPRIM_400000_NS6detail17trampoline_kernelINS0_14default_configENS1_29reduce_by_key_config_selectorIjtN6thrust23THRUST_200600_302600_NS4plusItEEEEZZNS1_33reduce_by_key_impl_wrapped_configILNS1_25lookback_scan_determinismE0ES3_S9_NS6_6detail15normal_iteratorINS6_10device_ptrIjEEEENSD_INSE_ItEEEENS6_16discard_iteratorINS6_11use_defaultEEESI_PmS8_NS6_8equal_toIjEEEE10hipError_tPvRmT2_T3_mT4_T5_T6_T7_T8_P12ihipStream_tbENKUlT_T0_E_clISt17integral_constantIbLb0EES15_IbLb1EEEEDaS11_S12_EUlS11_E_NS1_11comp_targetILNS1_3genE4ELNS1_11target_archE910ELNS1_3gpuE8ELNS1_3repE0EEENS1_30default_config_static_selectorELNS0_4arch9wavefront6targetE1EEEvT1_
	.globl	_ZN7rocprim17ROCPRIM_400000_NS6detail17trampoline_kernelINS0_14default_configENS1_29reduce_by_key_config_selectorIjtN6thrust23THRUST_200600_302600_NS4plusItEEEEZZNS1_33reduce_by_key_impl_wrapped_configILNS1_25lookback_scan_determinismE0ES3_S9_NS6_6detail15normal_iteratorINS6_10device_ptrIjEEEENSD_INSE_ItEEEENS6_16discard_iteratorINS6_11use_defaultEEESI_PmS8_NS6_8equal_toIjEEEE10hipError_tPvRmT2_T3_mT4_T5_T6_T7_T8_P12ihipStream_tbENKUlT_T0_E_clISt17integral_constantIbLb0EES15_IbLb1EEEEDaS11_S12_EUlS11_E_NS1_11comp_targetILNS1_3genE4ELNS1_11target_archE910ELNS1_3gpuE8ELNS1_3repE0EEENS1_30default_config_static_selectorELNS0_4arch9wavefront6targetE1EEEvT1_
	.p2align	8
	.type	_ZN7rocprim17ROCPRIM_400000_NS6detail17trampoline_kernelINS0_14default_configENS1_29reduce_by_key_config_selectorIjtN6thrust23THRUST_200600_302600_NS4plusItEEEEZZNS1_33reduce_by_key_impl_wrapped_configILNS1_25lookback_scan_determinismE0ES3_S9_NS6_6detail15normal_iteratorINS6_10device_ptrIjEEEENSD_INSE_ItEEEENS6_16discard_iteratorINS6_11use_defaultEEESI_PmS8_NS6_8equal_toIjEEEE10hipError_tPvRmT2_T3_mT4_T5_T6_T7_T8_P12ihipStream_tbENKUlT_T0_E_clISt17integral_constantIbLb0EES15_IbLb1EEEEDaS11_S12_EUlS11_E_NS1_11comp_targetILNS1_3genE4ELNS1_11target_archE910ELNS1_3gpuE8ELNS1_3repE0EEENS1_30default_config_static_selectorELNS0_4arch9wavefront6targetE1EEEvT1_,@function
_ZN7rocprim17ROCPRIM_400000_NS6detail17trampoline_kernelINS0_14default_configENS1_29reduce_by_key_config_selectorIjtN6thrust23THRUST_200600_302600_NS4plusItEEEEZZNS1_33reduce_by_key_impl_wrapped_configILNS1_25lookback_scan_determinismE0ES3_S9_NS6_6detail15normal_iteratorINS6_10device_ptrIjEEEENSD_INSE_ItEEEENS6_16discard_iteratorINS6_11use_defaultEEESI_PmS8_NS6_8equal_toIjEEEE10hipError_tPvRmT2_T3_mT4_T5_T6_T7_T8_P12ihipStream_tbENKUlT_T0_E_clISt17integral_constantIbLb0EES15_IbLb1EEEEDaS11_S12_EUlS11_E_NS1_11comp_targetILNS1_3genE4ELNS1_11target_archE910ELNS1_3gpuE8ELNS1_3repE0EEENS1_30default_config_static_selectorELNS0_4arch9wavefront6targetE1EEEvT1_: ; @_ZN7rocprim17ROCPRIM_400000_NS6detail17trampoline_kernelINS0_14default_configENS1_29reduce_by_key_config_selectorIjtN6thrust23THRUST_200600_302600_NS4plusItEEEEZZNS1_33reduce_by_key_impl_wrapped_configILNS1_25lookback_scan_determinismE0ES3_S9_NS6_6detail15normal_iteratorINS6_10device_ptrIjEEEENSD_INSE_ItEEEENS6_16discard_iteratorINS6_11use_defaultEEESI_PmS8_NS6_8equal_toIjEEEE10hipError_tPvRmT2_T3_mT4_T5_T6_T7_T8_P12ihipStream_tbENKUlT_T0_E_clISt17integral_constantIbLb0EES15_IbLb1EEEEDaS11_S12_EUlS11_E_NS1_11comp_targetILNS1_3genE4ELNS1_11target_archE910ELNS1_3gpuE8ELNS1_3repE0EEENS1_30default_config_static_selectorELNS0_4arch9wavefront6targetE1EEEvT1_
; %bb.0:
	s_load_dwordx4 s[8:11], s[4:5], 0x0
	s_load_dwordx2 s[6:7], s[4:5], 0x10
	s_load_dwordx2 s[52:53], s[4:5], 0x70
	s_load_dwordx4 s[48:51], s[4:5], 0x60
	s_load_dwordx8 s[36:43], s[4:5], 0x40
	v_cmp_ne_u32_e64 s[2:3], 0, v0
	v_cmp_eq_u32_e64 s[0:1], 0, v0
	s_and_saveexec_b64 s[12:13], s[0:1]
	s_cbranch_execz .LBB978_4
; %bb.1:
	s_mov_b64 s[16:17], exec
	v_mbcnt_lo_u32_b32 v1, s16, 0
	v_mbcnt_hi_u32_b32 v1, s17, v1
	v_cmp_eq_u32_e32 vcc, 0, v1
                                        ; implicit-def: $vgpr2
	s_and_saveexec_b64 s[14:15], vcc
	s_cbranch_execz .LBB978_3
; %bb.2:
	s_load_dwordx2 s[18:19], s[4:5], 0x78
	s_bcnt1_i32_b64 s16, s[16:17]
	v_mov_b32_e32 v2, 0
	v_mov_b32_e32 v3, s16
	s_waitcnt lgkmcnt(0)
	global_atomic_add v2, v2, v3, s[18:19] glc
.LBB978_3:
	s_or_b64 exec, exec, s[14:15]
	s_waitcnt vmcnt(0)
	v_readfirstlane_b32 s14, v2
	v_add_u32_e32 v1, s14, v1
	v_mov_b32_e32 v2, 0
	ds_write_b32 v2, v1
.LBB978_4:
	s_or_b64 exec, exec, s[12:13]
	s_load_dwordx4 s[44:47], s[4:5], 0x28
	s_waitcnt lgkmcnt(0)
	s_lshl_b64 s[4:5], s[10:11], 2
	v_mov_b32_e32 v7, 0
	s_add_u32 s8, s8, s4
	s_barrier
	ds_read_b32 v1, v7
	s_addc_u32 s9, s9, s5
	s_lshl_b64 s[4:5], s[10:11], 1
	s_add_u32 s4, s6, s4
	s_addc_u32 s5, s7, s5
	s_mul_i32 s6, s40, s39
	s_mul_hi_u32 s7, s40, s38
	s_add_i32 s6, s7, s6
	s_mul_i32 s7, s41, s38
	s_add_i32 s6, s6, s7
	s_mul_i32 s7, s40, s38
	s_waitcnt lgkmcnt(0)
	v_readfirstlane_b32 s58, v1
	s_movk_i32 s10, 0xf00
	v_mul_lo_u32 v6, v1, s10
	s_add_u32 s54, s7, s58
	v_lshlrev_b64 v[4:5], 2, v[6:7]
	s_addc_u32 s55, s6, 0
	v_mov_b32_e32 v1, s9
	v_add_co_u32_e32 v3, vcc, s8, v4
	s_add_u32 s6, s42, -1
	v_addc_co_u32_e32 v5, vcc, v1, v5, vcc
	v_lshlrev_b64 v[8:9], 1, v[6:7]
	s_addc_u32 s7, s43, -1
	v_mov_b32_e32 v1, s5
	v_add_co_u32_e32 v7, vcc, s4, v8
	s_cmp_eq_u64 s[54:55], s[6:7]
	v_addc_co_u32_e32 v9, vcc, v1, v9, vcc
	s_cselect_b64 s[40:41], -1, 0
	s_cmp_lg_u64 s[54:55], s[6:7]
	s_mov_b64 s[4:5], -1
	s_cselect_b64 s[42:43], -1, 0
	s_mul_i32 s33, s6, 0xfffff100
	s_and_b64 vcc, exec, s[40:41]
	v_lshlrev_b32_e32 v81, 2, v0
	v_mad_u32_u24 v4, v0, 15, 1
	v_mad_u32_u24 v6, v0, 15, 2
	;; [unrolled: 1-line block ×14, first 2 shown]
	s_barrier
	s_cbranch_vccnz .LBB978_6
; %bb.5:
	v_add_co_u32_e32 v10, vcc, v3, v81
	v_addc_co_u32_e32 v11, vcc, 0, v5, vcc
	v_add_co_u32_e32 v12, vcc, 0x1000, v10
	v_addc_co_u32_e32 v13, vcc, 0, v11, vcc
	flat_load_dword v1, v[10:11]
	flat_load_dword v14, v[10:11] offset:1024
	flat_load_dword v15, v[10:11] offset:2048
	;; [unrolled: 1-line block ×3, first 2 shown]
	flat_load_dword v17, v[12:13]
	flat_load_dword v18, v[12:13] offset:1024
	flat_load_dword v19, v[12:13] offset:2048
	;; [unrolled: 1-line block ×3, first 2 shown]
	v_add_co_u32_e32 v12, vcc, 0x2000, v10
	v_addc_co_u32_e32 v13, vcc, 0, v11, vcc
	v_add_co_u32_e32 v10, vcc, 0x3000, v10
	v_addc_co_u32_e32 v11, vcc, 0, v11, vcc
	flat_load_dword v21, v[12:13]
	flat_load_dword v22, v[12:13] offset:1024
	flat_load_dword v23, v[12:13] offset:2048
	;; [unrolled: 1-line block ×3, first 2 shown]
	flat_load_dword v27, v[10:11]
	flat_load_dword v29, v[10:11] offset:1024
	flat_load_dword v31, v[10:11] offset:2048
	v_lshlrev_b32_e32 v10, 1, v0
	v_add_co_u32_e32 v44, vcc, v7, v10
	s_movk_i32 s4, 0x1000
	v_addc_co_u32_e32 v45, vcc, 0, v9, vcc
	v_mad_u32_u24 v33, v0, 56, v81
	v_add_co_u32_e32 v46, vcc, s4, v44
	v_addc_co_u32_e32 v47, vcc, 0, v45, vcc
	s_movk_i32 s4, 0xffc6
	s_waitcnt vmcnt(0) lgkmcnt(0)
	ds_write2st64_b32 v81, v1, v14 offset1:4
	ds_write2st64_b32 v81, v15, v16 offset0:8 offset1:12
	ds_write2st64_b32 v81, v17, v18 offset0:16 offset1:20
	;; [unrolled: 1-line block ×6, first 2 shown]
	ds_write_b32 v81, v31 offset:14336
	s_waitcnt lgkmcnt(0)
	s_barrier
	ds_read2_b32 v[22:23], v33 offset1:1
	ds_read2_b32 v[20:21], v33 offset0:2 offset1:3
	ds_read2_b32 v[18:19], v33 offset0:4 offset1:5
	;; [unrolled: 1-line block ×6, first 2 shown]
	ds_read_b32 v1, v33 offset:56
	s_waitcnt lgkmcnt(0)
	s_barrier
	flat_load_ushort v27, v[44:45]
	flat_load_ushort v29, v[44:45] offset:512
	flat_load_ushort v31, v[44:45] offset:1024
	;; [unrolled: 1-line block ×7, first 2 shown]
	flat_load_ushort v49, v[46:47]
	flat_load_ushort v52, v[46:47] offset:512
	flat_load_ushort v53, v[46:47] offset:1024
	;; [unrolled: 1-line block ×6, first 2 shown]
	v_mul_u32_u24_e32 v25, 15, v0
	v_mad_i32_i24 v33, v0, s4, v33
	v_mov_b32_e32 v50, v22
	v_mov_b32_e32 v51, v20
	v_mov_b32_e32 v46, v18
	v_mov_b32_e32 v47, v16
	v_mov_b32_e32 v44, v14
	v_mov_b32_e32 v45, v12
	v_mov_b32_e32 v48, v10
	s_mov_b64 s[4:5], 0
	s_waitcnt vmcnt(0) lgkmcnt(0)
	ds_write_b16 v33, v27
	ds_write_b16 v33, v29 offset:512
	ds_write_b16 v33, v31 offset:1024
	;; [unrolled: 1-line block ×14, first 2 shown]
	s_waitcnt lgkmcnt(0)
	s_barrier
	s_branch .LBB978_7
.LBB978_6:
                                        ; implicit-def: $vgpr1
                                        ; implicit-def: $vgpr10
                                        ; implicit-def: $vgpr12
                                        ; implicit-def: $vgpr14
                                        ; implicit-def: $vgpr16
                                        ; implicit-def: $vgpr18
                                        ; implicit-def: $vgpr20
                                        ; implicit-def: $vgpr22
                                        ; implicit-def: $vgpr25
                                        ; implicit-def: $vgpr44_vgpr45
                                        ; implicit-def: $vgpr46_vgpr47
                                        ; implicit-def: $vgpr50_vgpr51
                                        ; implicit-def: $vgpr48_vgpr49
.LBB978_7:
	s_add_i32 s33, s33, s48
	s_andn2_b64 vcc, exec, s[4:5]
	v_mov_b32_e32 v27, v2
	v_mov_b32_e32 v31, v42
	;; [unrolled: 1-line block ×14, first 2 shown]
	s_cbranch_vccnz .LBB978_69
; %bb.8:
	v_cmp_gt_u32_e32 vcc, s33, v0
                                        ; implicit-def: $vgpr1
	s_and_saveexec_b64 s[6:7], vcc
	s_cbranch_execz .LBB978_10
; %bb.9:
	v_add_co_u32_e64 v10, s[4:5], v3, v81
	v_addc_co_u32_e64 v11, s[4:5], 0, v5, s[4:5]
	flat_load_dword v1, v[10:11]
.LBB978_10:
	s_or_b64 exec, exec, s[6:7]
	v_or_b32_e32 v10, 0x100, v0
	v_cmp_gt_u32_e64 s[4:5], s33, v10
                                        ; implicit-def: $vgpr10
	s_and_saveexec_b64 s[8:9], s[4:5]
	s_cbranch_execz .LBB978_12
; %bb.11:
	v_add_co_u32_e64 v10, s[6:7], v3, v81
	v_addc_co_u32_e64 v11, s[6:7], 0, v5, s[6:7]
	flat_load_dword v10, v[10:11] offset:1024
.LBB978_12:
	s_or_b64 exec, exec, s[8:9]
	v_or_b32_e32 v11, 0x200, v0
	v_cmp_gt_u32_e64 s[6:7], s33, v11
                                        ; implicit-def: $vgpr11
	s_and_saveexec_b64 s[10:11], s[6:7]
	s_cbranch_execz .LBB978_14
; %bb.13:
	v_add_co_u32_e64 v12, s[8:9], v3, v81
	v_addc_co_u32_e64 v13, s[8:9], 0, v5, s[8:9]
	flat_load_dword v11, v[12:13] offset:2048
.LBB978_14:
	s_or_b64 exec, exec, s[10:11]
	v_or_b32_e32 v12, 0x300, v0
	v_cmp_gt_u32_e64 s[8:9], s33, v12
                                        ; implicit-def: $vgpr12
	s_and_saveexec_b64 s[12:13], s[8:9]
	s_cbranch_execz .LBB978_16
; %bb.15:
	v_add_co_u32_e64 v12, s[10:11], v3, v81
	v_addc_co_u32_e64 v13, s[10:11], 0, v5, s[10:11]
	flat_load_dword v12, v[12:13] offset:3072
.LBB978_16:
	s_or_b64 exec, exec, s[12:13]
	v_or_b32_e32 v14, 0x400, v0
	v_cmp_gt_u32_e64 s[10:11], s33, v14
                                        ; implicit-def: $vgpr13
	s_and_saveexec_b64 s[14:15], s[10:11]
	s_cbranch_execz .LBB978_18
; %bb.17:
	v_lshlrev_b32_e32 v13, 2, v14
	v_add_co_u32_e64 v14, s[12:13], v3, v13
	v_addc_co_u32_e64 v15, s[12:13], 0, v5, s[12:13]
	flat_load_dword v13, v[14:15]
.LBB978_18:
	s_or_b64 exec, exec, s[14:15]
	v_or_b32_e32 v15, 0x500, v0
	v_cmp_gt_u32_e64 s[12:13], s33, v15
                                        ; implicit-def: $vgpr14
	s_and_saveexec_b64 s[16:17], s[12:13]
	s_cbranch_execz .LBB978_20
; %bb.19:
	v_lshlrev_b32_e32 v14, 2, v15
	v_add_co_u32_e64 v14, s[14:15], v3, v14
	v_addc_co_u32_e64 v15, s[14:15], 0, v5, s[14:15]
	flat_load_dword v14, v[14:15]
.LBB978_20:
	s_or_b64 exec, exec, s[16:17]
	v_or_b32_e32 v16, 0x600, v0
	v_cmp_gt_u32_e64 s[14:15], s33, v16
                                        ; implicit-def: $vgpr15
	s_and_saveexec_b64 s[18:19], s[14:15]
	s_cbranch_execz .LBB978_22
; %bb.21:
	v_lshlrev_b32_e32 v15, 2, v16
	v_add_co_u32_e64 v16, s[16:17], v3, v15
	v_addc_co_u32_e64 v17, s[16:17], 0, v5, s[16:17]
	flat_load_dword v15, v[16:17]
.LBB978_22:
	s_or_b64 exec, exec, s[18:19]
	v_or_b32_e32 v17, 0x700, v0
	v_cmp_gt_u32_e64 s[16:17], s33, v17
                                        ; implicit-def: $vgpr16
	s_and_saveexec_b64 s[20:21], s[16:17]
	s_cbranch_execz .LBB978_24
; %bb.23:
	v_lshlrev_b32_e32 v16, 2, v17
	v_add_co_u32_e64 v16, s[18:19], v3, v16
	v_addc_co_u32_e64 v17, s[18:19], 0, v5, s[18:19]
	flat_load_dword v16, v[16:17]
.LBB978_24:
	s_or_b64 exec, exec, s[20:21]
	v_or_b32_e32 v25, 0x800, v0
	v_cmp_gt_u32_e64 s[18:19], s33, v25
                                        ; implicit-def: $vgpr17
	s_and_saveexec_b64 s[22:23], s[18:19]
	s_cbranch_execz .LBB978_26
; %bb.25:
	v_lshlrev_b32_e32 v17, 2, v25
	v_add_co_u32_e64 v18, s[20:21], v3, v17
	v_addc_co_u32_e64 v19, s[20:21], 0, v5, s[20:21]
	flat_load_dword v17, v[18:19]
.LBB978_26:
	s_or_b64 exec, exec, s[22:23]
	v_or_b32_e32 v27, 0x900, v0
	v_cmp_gt_u32_e64 s[20:21], s33, v27
                                        ; implicit-def: $vgpr18
	s_and_saveexec_b64 s[24:25], s[20:21]
	s_cbranch_execz .LBB978_28
; %bb.27:
	v_lshlrev_b32_e32 v18, 2, v27
	v_add_co_u32_e64 v18, s[22:23], v3, v18
	v_addc_co_u32_e64 v19, s[22:23], 0, v5, s[22:23]
	flat_load_dword v18, v[18:19]
.LBB978_28:
	s_or_b64 exec, exec, s[24:25]
	v_or_b32_e32 v31, 0xa00, v0
	v_cmp_gt_u32_e64 s[22:23], s33, v31
                                        ; implicit-def: $vgpr19
	s_and_saveexec_b64 s[26:27], s[22:23]
	s_cbranch_execz .LBB978_30
; %bb.29:
	v_lshlrev_b32_e32 v19, 2, v31
	v_add_co_u32_e64 v20, s[24:25], v3, v19
	v_addc_co_u32_e64 v21, s[24:25], 0, v5, s[24:25]
	flat_load_dword v19, v[20:21]
.LBB978_30:
	s_or_b64 exec, exec, s[26:27]
	v_or_b32_e32 v33, 0xb00, v0
	v_cmp_gt_u32_e64 s[24:25], s33, v33
                                        ; implicit-def: $vgpr20
	s_and_saveexec_b64 s[28:29], s[24:25]
	s_cbranch_execz .LBB978_32
; %bb.31:
	v_lshlrev_b32_e32 v20, 2, v33
	v_add_co_u32_e64 v20, s[26:27], v3, v20
	v_addc_co_u32_e64 v21, s[26:27], 0, v5, s[26:27]
	flat_load_dword v20, v[20:21]
.LBB978_32:
	s_or_b64 exec, exec, s[28:29]
	v_or_b32_e32 v35, 0xc00, v0
	v_cmp_gt_u32_e64 s[26:27], s33, v35
                                        ; implicit-def: $vgpr21
	s_and_saveexec_b64 s[30:31], s[26:27]
	s_cbranch_execz .LBB978_34
; %bb.33:
	v_lshlrev_b32_e32 v21, 2, v35
	v_add_co_u32_e64 v22, s[28:29], v3, v21
	v_addc_co_u32_e64 v23, s[28:29], 0, v5, s[28:29]
	flat_load_dword v21, v[22:23]
.LBB978_34:
	s_or_b64 exec, exec, s[30:31]
	v_or_b32_e32 v37, 0xd00, v0
	v_cmp_gt_u32_e64 s[28:29], s33, v37
                                        ; implicit-def: $vgpr22
	s_and_saveexec_b64 s[34:35], s[28:29]
	s_cbranch_execz .LBB978_36
; %bb.35:
	v_lshlrev_b32_e32 v22, 2, v37
	v_add_co_u32_e64 v22, s[30:31], v3, v22
	v_addc_co_u32_e64 v23, s[30:31], 0, v5, s[30:31]
	flat_load_dword v22, v[22:23]
.LBB978_36:
	s_or_b64 exec, exec, s[34:35]
	v_or_b32_e32 v39, 0xe00, v0
	v_cmp_gt_u32_e64 s[30:31], s33, v39
                                        ; implicit-def: $vgpr23
	s_and_saveexec_b64 s[56:57], s[30:31]
	s_cbranch_execz .LBB978_38
; %bb.37:
	v_lshlrev_b32_e32 v23, 2, v39
	v_add_co_u32_e64 v44, s[34:35], v3, v23
	v_addc_co_u32_e64 v45, s[34:35], 0, v5, s[34:35]
	flat_load_dword v23, v[44:45]
.LBB978_38:
	s_or_b64 exec, exec, s[56:57]
	v_mad_u32_u24 v29, v0, 56, v81
	s_waitcnt vmcnt(0) lgkmcnt(0)
	ds_write2st64_b32 v81, v1, v10 offset1:4
	ds_write2st64_b32 v81, v11, v12 offset0:8 offset1:12
	ds_write2st64_b32 v81, v13, v14 offset0:16 offset1:20
	;; [unrolled: 1-line block ×6, first 2 shown]
	ds_write_b32 v81, v23 offset:14336
	s_waitcnt lgkmcnt(0)
	s_barrier
	ds_read2_b32 v[22:23], v29 offset1:1
	ds_read2_b32 v[20:21], v29 offset0:2 offset1:3
	ds_read2_b32 v[18:19], v29 offset0:4 offset1:5
	;; [unrolled: 1-line block ×6, first 2 shown]
	ds_read_b32 v1, v29 offset:56
	s_waitcnt lgkmcnt(0)
	s_barrier
	s_waitcnt lgkmcnt(0)
                                        ; implicit-def: $vgpr41
	s_and_saveexec_b64 s[34:35], vcc
	s_cbranch_execz .LBB978_52
; %bb.39:
	v_lshlrev_b32_e32 v41, 1, v0
	v_add_co_u32_e32 v44, vcc, v7, v41
	v_addc_co_u32_e32 v45, vcc, 0, v9, vcc
	flat_load_ushort v41, v[44:45]
	s_or_b64 exec, exec, s[34:35]
                                        ; implicit-def: $vgpr43
	s_and_saveexec_b64 s[34:35], s[4:5]
	s_cbranch_execnz .LBB978_53
.LBB978_40:
	s_or_b64 exec, exec, s[34:35]
                                        ; implicit-def: $vgpr44
	s_and_saveexec_b64 s[4:5], s[6:7]
	s_cbranch_execz .LBB978_54
.LBB978_41:
	v_lshlrev_b32_e32 v44, 1, v0
	v_add_co_u32_e32 v44, vcc, v7, v44
	v_addc_co_u32_e32 v45, vcc, 0, v9, vcc
	flat_load_ushort v44, v[44:45] offset:1024
	s_or_b64 exec, exec, s[4:5]
                                        ; implicit-def: $vgpr45
	s_and_saveexec_b64 s[4:5], s[8:9]
	s_cbranch_execnz .LBB978_55
.LBB978_42:
	s_or_b64 exec, exec, s[4:5]
                                        ; implicit-def: $vgpr46
	s_and_saveexec_b64 s[4:5], s[10:11]
	s_cbranch_execz .LBB978_56
.LBB978_43:
	v_lshlrev_b32_e32 v46, 1, v0
	v_add_co_u32_e32 v46, vcc, v7, v46
	v_addc_co_u32_e32 v47, vcc, 0, v9, vcc
	flat_load_ushort v46, v[46:47] offset:2048
	s_or_b64 exec, exec, s[4:5]
                                        ; implicit-def: $vgpr47
	s_and_saveexec_b64 s[4:5], s[12:13]
	s_cbranch_execnz .LBB978_57
.LBB978_44:
	s_or_b64 exec, exec, s[4:5]
                                        ; implicit-def: $vgpr48
	s_and_saveexec_b64 s[4:5], s[14:15]
	s_cbranch_execz .LBB978_58
.LBB978_45:
	v_lshlrev_b32_e32 v48, 1, v0
	v_add_co_u32_e32 v48, vcc, v7, v48
	v_addc_co_u32_e32 v49, vcc, 0, v9, vcc
	flat_load_ushort v48, v[48:49] offset:3072
	s_or_b64 exec, exec, s[4:5]
                                        ; implicit-def: $vgpr50
	s_and_saveexec_b64 s[4:5], s[16:17]
	s_cbranch_execnz .LBB978_59
.LBB978_46:
	s_or_b64 exec, exec, s[4:5]
                                        ; implicit-def: $vgpr51
	s_and_saveexec_b64 s[4:5], s[18:19]
	s_cbranch_execz .LBB978_60
.LBB978_47:
	v_lshlrev_b32_e32 v25, 1, v25
	v_add_co_u32_e32 v52, vcc, v7, v25
	v_addc_co_u32_e32 v53, vcc, 0, v9, vcc
	flat_load_ushort v51, v[52:53]
	s_or_b64 exec, exec, s[4:5]
                                        ; implicit-def: $vgpr59
	s_and_saveexec_b64 s[4:5], s[20:21]
	s_cbranch_execnz .LBB978_61
.LBB978_48:
	s_or_b64 exec, exec, s[4:5]
                                        ; implicit-def: $vgpr60
	s_and_saveexec_b64 s[4:5], s[22:23]
	s_cbranch_execz .LBB978_62
.LBB978_49:
	v_lshlrev_b32_e32 v25, 1, v31
	v_add_co_u32_e32 v52, vcc, v7, v25
	v_addc_co_u32_e32 v53, vcc, 0, v9, vcc
	flat_load_ushort v60, v[52:53]
	s_or_b64 exec, exec, s[4:5]
                                        ; implicit-def: $vgpr61
	s_and_saveexec_b64 s[4:5], s[24:25]
	s_cbranch_execnz .LBB978_63
.LBB978_50:
	s_or_b64 exec, exec, s[4:5]
                                        ; implicit-def: $vgpr62
	s_and_saveexec_b64 s[4:5], s[26:27]
	s_cbranch_execz .LBB978_64
.LBB978_51:
	v_lshlrev_b32_e32 v25, 1, v35
	v_add_co_u32_e32 v52, vcc, v7, v25
	v_addc_co_u32_e32 v53, vcc, 0, v9, vcc
	flat_load_ushort v62, v[52:53]
	s_or_b64 exec, exec, s[4:5]
                                        ; implicit-def: $vgpr63
	s_and_saveexec_b64 s[4:5], s[28:29]
	s_cbranch_execz .LBB978_66
	s_branch .LBB978_65
.LBB978_52:
	s_or_b64 exec, exec, s[34:35]
                                        ; implicit-def: $vgpr43
	s_and_saveexec_b64 s[34:35], s[4:5]
	s_cbranch_execz .LBB978_40
.LBB978_53:
	v_lshlrev_b32_e32 v43, 1, v0
	v_add_co_u32_e32 v44, vcc, v7, v43
	v_addc_co_u32_e32 v45, vcc, 0, v9, vcc
	flat_load_ushort v43, v[44:45] offset:512
	s_or_b64 exec, exec, s[34:35]
                                        ; implicit-def: $vgpr44
	s_and_saveexec_b64 s[4:5], s[6:7]
	s_cbranch_execnz .LBB978_41
.LBB978_54:
	s_or_b64 exec, exec, s[4:5]
                                        ; implicit-def: $vgpr45
	s_and_saveexec_b64 s[4:5], s[8:9]
	s_cbranch_execz .LBB978_42
.LBB978_55:
	v_lshlrev_b32_e32 v45, 1, v0
	v_add_co_u32_e32 v46, vcc, v7, v45
	v_addc_co_u32_e32 v47, vcc, 0, v9, vcc
	flat_load_ushort v45, v[46:47] offset:1536
	s_or_b64 exec, exec, s[4:5]
                                        ; implicit-def: $vgpr46
	s_and_saveexec_b64 s[4:5], s[10:11]
	s_cbranch_execnz .LBB978_43
.LBB978_56:
	s_or_b64 exec, exec, s[4:5]
                                        ; implicit-def: $vgpr47
	s_and_saveexec_b64 s[4:5], s[12:13]
	s_cbranch_execz .LBB978_44
.LBB978_57:
	v_lshlrev_b32_e32 v47, 1, v0
	v_add_co_u32_e32 v48, vcc, v7, v47
	v_addc_co_u32_e32 v49, vcc, 0, v9, vcc
	flat_load_ushort v47, v[48:49] offset:2560
	s_or_b64 exec, exec, s[4:5]
                                        ; implicit-def: $vgpr48
	s_and_saveexec_b64 s[4:5], s[14:15]
	s_cbranch_execnz .LBB978_45
.LBB978_58:
	s_or_b64 exec, exec, s[4:5]
                                        ; implicit-def: $vgpr50
	s_and_saveexec_b64 s[4:5], s[16:17]
	s_cbranch_execz .LBB978_46
.LBB978_59:
	v_lshlrev_b32_e32 v49, 1, v0
	v_add_co_u32_e32 v50, vcc, v7, v49
	v_addc_co_u32_e32 v51, vcc, 0, v9, vcc
	flat_load_ushort v50, v[50:51] offset:3584
	s_or_b64 exec, exec, s[4:5]
                                        ; implicit-def: $vgpr51
	s_and_saveexec_b64 s[4:5], s[18:19]
	s_cbranch_execnz .LBB978_47
.LBB978_60:
	s_or_b64 exec, exec, s[4:5]
                                        ; implicit-def: $vgpr59
	s_and_saveexec_b64 s[4:5], s[20:21]
	s_cbranch_execz .LBB978_48
.LBB978_61:
	v_lshlrev_b32_e32 v25, 1, v27
	v_add_co_u32_e32 v52, vcc, v7, v25
	v_addc_co_u32_e32 v53, vcc, 0, v9, vcc
	flat_load_ushort v59, v[52:53]
	s_or_b64 exec, exec, s[4:5]
                                        ; implicit-def: $vgpr60
	s_and_saveexec_b64 s[4:5], s[22:23]
	s_cbranch_execnz .LBB978_49
.LBB978_62:
	s_or_b64 exec, exec, s[4:5]
                                        ; implicit-def: $vgpr61
	s_and_saveexec_b64 s[4:5], s[24:25]
	s_cbranch_execz .LBB978_50
.LBB978_63:
	v_lshlrev_b32_e32 v25, 1, v33
	v_add_co_u32_e32 v52, vcc, v7, v25
	v_addc_co_u32_e32 v53, vcc, 0, v9, vcc
	flat_load_ushort v61, v[52:53]
	s_or_b64 exec, exec, s[4:5]
                                        ; implicit-def: $vgpr62
	s_and_saveexec_b64 s[4:5], s[26:27]
	s_cbranch_execnz .LBB978_51
.LBB978_64:
	s_or_b64 exec, exec, s[4:5]
                                        ; implicit-def: $vgpr63
	s_and_saveexec_b64 s[4:5], s[28:29]
	s_cbranch_execz .LBB978_66
.LBB978_65:
	v_lshlrev_b32_e32 v25, 1, v37
	v_add_co_u32_e32 v52, vcc, v7, v25
	v_addc_co_u32_e32 v53, vcc, 0, v9, vcc
	flat_load_ushort v63, v[52:53]
.LBB978_66:
	s_or_b64 exec, exec, s[4:5]
	v_mul_u32_u24_e32 v25, 15, v0
                                        ; implicit-def: $vgpr64
	s_and_saveexec_b64 s[4:5], s[30:31]
	s_cbranch_execz .LBB978_68
; %bb.67:
	v_lshlrev_b32_e32 v27, 1, v39
	v_add_co_u32_e32 v52, vcc, v7, v27
	v_addc_co_u32_e32 v53, vcc, 0, v9, vcc
	flat_load_ushort v64, v[52:53]
.LBB978_68:
	s_or_b64 exec, exec, s[4:5]
	s_movk_i32 s4, 0xffc6
	v_mad_i32_i24 v7, v0, s4, v29
	v_add_u32_e32 v58, 1, v25
	v_add_u32_e32 v57, 2, v25
	;; [unrolled: 1-line block ×14, first 2 shown]
	s_waitcnt vmcnt(0) lgkmcnt(0)
	ds_write_b16 v7, v41
	ds_write_b16 v7, v43 offset:512
	ds_write_b16 v7, v44 offset:1024
	;; [unrolled: 1-line block ×14, first 2 shown]
	v_mov_b32_e32 v50, v22
	v_mov_b32_e32 v51, v20
	;; [unrolled: 1-line block ×7, first 2 shown]
	s_waitcnt lgkmcnt(0)
	s_barrier
.LBB978_69:
	v_lshlrev_b32_e32 v7, 1, v25
	v_lshlrev_b32_e32 v9, 1, v58
	;; [unrolled: 1-line block ×8, first 2 shown]
	ds_read_u16 v79, v7
	ds_read_u16 v78, v9
	;; [unrolled: 1-line block ×8, first 2 shown]
	v_lshlrev_b32_e32 v7, 1, v49
	v_lshlrev_b32_e32 v9, 1, v39
	;; [unrolled: 1-line block ×7, first 2 shown]
	ds_read_u16 v77, v7
	ds_read_u16 v75, v9
	;; [unrolled: 1-line block ×7, first 2 shown]
	s_cmp_eq_u64 s[54:55], 0
	s_cselect_b64 s[34:35], -1, 0
	s_cmp_lg_u64 s[54:55], 0
	s_mov_b64 s[56:57], 0
	s_cselect_b64 s[6:7], -1, 0
	s_and_b64 vcc, exec, s[42:43]
	s_waitcnt lgkmcnt(0)
	s_barrier
	s_cbranch_vccz .LBB978_75
; %bb.70:
	s_and_b64 vcc, exec, s[6:7]
	s_cbranch_vccz .LBB978_136
; %bb.71:
	v_add_co_u32_e32 v52, vcc, -4, v3
	v_addc_co_u32_e32 v53, vcc, -1, v5, vcc
	flat_load_dword v7, v[52:53]
	ds_write_b32 v81, v1
	s_waitcnt lgkmcnt(0)
	s_barrier
	s_and_saveexec_b64 s[4:5], s[2:3]
	s_cbranch_execz .LBB978_73
; %bb.72:
	s_waitcnt vmcnt(0)
	v_add_u32_e32 v7, -4, v81
	ds_read_b32 v7, v7
.LBB978_73:
	s_or_b64 exec, exec, s[4:5]
	v_cmp_ne_u32_e32 vcc, v50, v23
	v_cndmask_b32_e64 v65, 0, 1, vcc
	v_cmp_ne_u32_e32 vcc, v51, v23
	v_cndmask_b32_e64 v64, 0, 1, vcc
	;; [unrolled: 2-line block ×14, first 2 shown]
	s_waitcnt vmcnt(0) lgkmcnt(0)
	v_cmp_ne_u32_e64 s[4:5], v7, v22
	s_mov_b64 s[56:57], -1
.LBB978_74:
                                        ; implicit-def: $sgpr10
	s_branch .LBB978_76
.LBB978_75:
                                        ; implicit-def: $sgpr4_sgpr5
                                        ; implicit-def: $vgpr52
                                        ; implicit-def: $vgpr53
                                        ; implicit-def: $vgpr54
                                        ; implicit-def: $vgpr55
                                        ; implicit-def: $vgpr56
                                        ; implicit-def: $vgpr57
                                        ; implicit-def: $vgpr58
                                        ; implicit-def: $vgpr59
                                        ; implicit-def: $vgpr60
                                        ; implicit-def: $vgpr61
                                        ; implicit-def: $vgpr62
                                        ; implicit-def: $vgpr63
                                        ; implicit-def: $vgpr64
                                        ; implicit-def: $vgpr65
                                        ; implicit-def: $sgpr10
	s_cbranch_execnz .LBB978_140
.LBB978_76:
	v_mov_b32_e32 v82, s10
	s_and_saveexec_b64 s[2:3], s[56:57]
.LBB978_77:
	v_cndmask_b32_e64 v82, 0, 1, s[4:5]
.LBB978_78:
	s_or_b64 exec, exec, s[2:3]
	s_cmp_eq_u64 s[38:39], 0
	v_add3_u32 v2, v65, v82, v64
	s_cselect_b64 s[30:31], -1, 0
	s_cmp_lg_u32 s58, 0
	v_cmp_eq_u32_e64 s[26:27], 0, v65
	v_cmp_eq_u32_e64 s[24:25], 0, v64
	;; [unrolled: 1-line block ×3, first 2 shown]
	v_add3_u32 v86, v2, v63, v62
	v_cmp_eq_u32_e64 s[20:21], 0, v62
	v_cmp_eq_u32_e64 s[18:19], 0, v61
	;; [unrolled: 1-line block ×10, first 2 shown]
	v_cmp_eq_u32_e32 vcc, 0, v52
	v_mbcnt_lo_u32_b32 v85, -1, 0
	v_lshrrev_b32_e32 v83, 6, v0
	v_or_b32_e32 v84, 63, v0
	s_cbranch_scc0 .LBB978_105
; %bb.79:
	v_cndmask_b32_e64 v2, 0, v79, s[26:27]
	v_add_u16_e32 v2, v2, v78
	v_cndmask_b32_e64 v2, 0, v2, s[24:25]
	v_add_u16_e32 v2, v2, v76
	;; [unrolled: 2-line block ×11, first 2 shown]
	v_cndmask_b32_e64 v2, 0, v2, s[4:5]
	v_add3_u32 v3, v86, v61, v60
	v_add_u16_e32 v2, v2, v69
	v_add3_u32 v3, v3, v59, v58
	v_cndmask_b32_e64 v2, 0, v2, s[2:3]
	v_add3_u32 v3, v3, v57, v56
	v_add_u16_e32 v2, v2, v66
	v_add3_u32 v3, v3, v55, v54
	v_cndmask_b32_e32 v2, 0, v2, vcc
	v_add3_u32 v3, v3, v53, v52
	v_add_u16_e32 v2, v2, v80
	v_mbcnt_hi_u32_b32 v25, -1, v85
	v_and_b32_e32 v4, 15, v25
	v_mov_b32_dpp v6, v2 row_shr:1 row_mask:0xf bank_mask:0xf
	v_cmp_eq_u32_e32 vcc, 0, v3
	v_mov_b32_dpp v5, v3 row_shr:1 row_mask:0xf bank_mask:0xf
	v_cndmask_b32_e32 v6, 0, v6, vcc
	v_cmp_eq_u32_e32 vcc, 0, v4
	v_add_u16_e32 v6, v6, v2
	v_cndmask_b32_e64 v5, v5, 0, vcc
	v_add_u32_e32 v3, v5, v3
	v_cndmask_b32_e32 v2, v6, v2, vcc
	v_cmp_eq_u32_e32 vcc, 0, v3
	v_mov_b32_dpp v5, v3 row_shr:2 row_mask:0xf bank_mask:0xf
	v_mov_b32_dpp v6, v2 row_shr:2 row_mask:0xf bank_mask:0xf
	v_cndmask_b32_e32 v6, 0, v6, vcc
	v_cmp_lt_u32_e32 vcc, 1, v4
	v_add_u16_e32 v6, v6, v2
	v_cndmask_b32_e32 v5, 0, v5, vcc
	v_cndmask_b32_e32 v2, v2, v6, vcc
	v_add_u32_e32 v3, v3, v5
	v_cmp_eq_u32_e32 vcc, 0, v3
	v_mov_b32_dpp v6, v2 row_shr:4 row_mask:0xf bank_mask:0xf
	v_mov_b32_dpp v5, v3 row_shr:4 row_mask:0xf bank_mask:0xf
	v_cndmask_b32_e32 v6, 0, v6, vcc
	v_cmp_lt_u32_e32 vcc, 3, v4
	v_add_u16_e32 v6, v6, v2
	v_cndmask_b32_e32 v5, 0, v5, vcc
	v_cndmask_b32_e32 v2, v2, v6, vcc
	v_add_u32_e32 v3, v5, v3
	;; [unrolled: 9-line block ×3, first 2 shown]
	v_bfe_i32 v6, v25, 4, 1
	v_mov_b32_dpp v5, v2 row_bcast:15 row_mask:0xf bank_mask:0xf
	v_mov_b32_dpp v4, v3 row_bcast:15 row_mask:0xf bank_mask:0xf
	v_cmp_eq_u32_e32 vcc, 0, v3
	v_and_b32_e32 v7, 16, v25
	v_cndmask_b32_e32 v5, 0, v5, vcc
	v_and_b32_e32 v4, v6, v4
	v_add_u16_e32 v5, v5, v2
	v_add_u32_e32 v3, v4, v3
	v_cmp_eq_u32_e32 vcc, 0, v7
	v_cndmask_b32_e32 v4, v5, v2, vcc
	v_mov_b32_dpp v2, v3 row_bcast:31 row_mask:0xf bank_mask:0xf
	v_cmp_eq_u32_e32 vcc, 0, v3
	v_cmp_lt_u32_e64 s[28:29], 31, v25
	v_mov_b32_dpp v5, v4 row_bcast:31 row_mask:0xf bank_mask:0xf
	v_cndmask_b32_e64 v2, 0, v2, s[28:29]
	s_and_b64 vcc, s[28:29], vcc
	v_add_u32_e32 v2, v2, v3
	v_cndmask_b32_e32 v3, 0, v5, vcc
	v_add_u16_e32 v3, v3, v4
	v_cmp_eq_u32_e32 vcc, v84, v0
	v_lshlrev_b32_e32 v4, 3, v83
	s_and_saveexec_b64 s[28:29], vcc
	s_cbranch_execz .LBB978_81
; %bb.80:
	ds_write_b32 v4, v2 offset:2064
	ds_write_b16 v4, v3 offset:2068
.LBB978_81:
	s_or_b64 exec, exec, s[28:29]
	v_cmp_gt_u32_e32 vcc, 4, v0
	s_waitcnt lgkmcnt(0)
	s_barrier
	s_and_saveexec_b64 s[38:39], vcc
	s_cbranch_execz .LBB978_83
; %bb.82:
	v_lshlrev_b32_e32 v5, 3, v0
	ds_read_b64 v[6:7], v5 offset:2064
	v_and_b32_e32 v8, 3, v25
	s_mov_b32 s28, 0xffff0000
	s_waitcnt lgkmcnt(0)
	v_mov_b32_dpp v24, v7 row_shr:1 row_mask:0xf bank_mask:0xf
	v_cmp_eq_u32_e32 vcc, 0, v6
	v_mov_b32_dpp v9, v6 row_shr:1 row_mask:0xf bank_mask:0xf
	v_cndmask_b32_e32 v24, 0, v24, vcc
	v_cmp_eq_u32_e32 vcc, 0, v8
	v_add_u16_e32 v24, v24, v7
	v_cndmask_b32_e64 v9, v9, 0, vcc
	v_and_or_b32 v26, v7, s28, v24
	v_add_u32_e32 v6, v9, v6
	v_cndmask_b32_e32 v9, v24, v7, vcc
	v_cndmask_b32_e32 v7, v26, v7, vcc
	v_mov_b32_dpp v24, v6 row_shr:2 row_mask:0xf bank_mask:0xf
	v_cmp_eq_u32_e32 vcc, 0, v6
	v_cmp_lt_u32_e64 s[28:29], 1, v8
	v_mov_b32_dpp v7, v7 row_shr:2 row_mask:0xf bank_mask:0xf
	v_cndmask_b32_e64 v8, 0, v24, s[28:29]
	s_and_b64 vcc, s[28:29], vcc
	v_add_u32_e32 v6, v8, v6
	v_cndmask_b32_e32 v7, 0, v7, vcc
	v_add_u16_e32 v7, v9, v7
	ds_write_b32 v5, v6 offset:2064
	ds_write_b16 v5, v7 offset:2068
.LBB978_83:
	s_or_b64 exec, exec, s[38:39]
	v_cmp_gt_u32_e32 vcc, 64, v0
	v_cmp_lt_u32_e64 s[28:29], 63, v0
	v_mov_b32_e32 v28, 0
	v_mov_b32_e32 v29, 0
	s_waitcnt lgkmcnt(0)
	s_barrier
	s_and_saveexec_b64 s[38:39], s[28:29]
	s_cbranch_execz .LBB978_85
; %bb.84:
	ds_read_b32 v28, v4 offset:2056
	ds_read_u16 v29, v4 offset:2060
	v_cmp_eq_u32_e64 s[28:29], 0, v2
	s_waitcnt lgkmcnt(1)
	v_add_u32_e32 v4, v28, v2
	s_waitcnt lgkmcnt(0)
	v_cndmask_b32_e64 v2, 0, v29, s[28:29]
	v_add_u16_e32 v3, v2, v3
	v_mov_b32_e32 v2, v4
.LBB978_85:
	s_or_b64 exec, exec, s[38:39]
	v_add_u32_e32 v4, -1, v25
	v_and_b32_e32 v5, 64, v25
	v_cmp_lt_i32_e64 s[28:29], v4, v5
	v_cndmask_b32_e64 v4, v4, v25, s[28:29]
	v_and_b32_e32 v3, 0xffff, v3
	v_lshlrev_b32_e32 v4, 2, v4
	ds_bpermute_b32 v30, v4, v2
	ds_bpermute_b32 v31, v4, v3
	v_cmp_eq_u32_e64 s[28:29], 0, v25
	s_and_saveexec_b64 s[38:39], vcc
	s_cbranch_execz .LBB978_104
; %bb.86:
	v_mov_b32_e32 v5, 0
	ds_read_b64 v[2:3], v5 offset:2088
	s_waitcnt lgkmcnt(0)
	v_readfirstlane_b32 s54, v3
	s_and_saveexec_b64 s[42:43], s[28:29]
	s_cbranch_execz .LBB978_88
; %bb.87:
	s_add_i32 s48, s58, 64
	s_mov_b32 s49, 0
	s_lshl_b64 s[56:57], s[48:49], 4
	s_add_u32 s56, s36, s56
	s_addc_u32 s57, s37, s57
	s_and_b32 s61, s54, 0xff000000
	s_mov_b32 s60, s49
	s_and_b32 s63, s54, 0xff0000
	s_mov_b32 s62, s49
	s_or_b64 s[60:61], s[62:63], s[60:61]
	s_and_b32 s63, s54, 0xff00
	s_or_b64 s[60:61], s[60:61], s[62:63]
	s_and_b32 s63, s54, 0xff
	s_or_b64 s[48:49], s[60:61], s[62:63]
	v_mov_b32_e32 v3, s49
	v_mov_b32_e32 v4, 1
	v_pk_mov_b32 v[6:7], s[56:57], s[56:57] op_sel:[0,1]
	;;#ASMSTART
	global_store_dwordx4 v[6:7], v[2:5] off	
s_waitcnt vmcnt(0)
	;;#ASMEND
.LBB978_88:
	s_or_b64 exec, exec, s[42:43]
	v_xad_u32 v24, v25, -1, s58
	v_add_u32_e32 v4, 64, v24
	v_lshlrev_b64 v[6:7], 4, v[4:5]
	v_mov_b32_e32 v3, s37
	v_add_co_u32_e32 v26, vcc, s36, v6
	v_addc_co_u32_e32 v27, vcc, v3, v7, vcc
	;;#ASMSTART
	global_load_dwordx4 v[6:9], v[26:27] off glc	
s_waitcnt vmcnt(0)
	;;#ASMEND
	v_and_b32_e32 v3, 0xffffff, v6
	v_and_b32_e32 v4, 0xff000000, v6
	v_or_b32_e32 v3, v3, v4
	v_and_b32_e32 v4, 0xff, v7
	v_and_b32_e32 v6, 0xff00, v7
	v_or3_b32 v7, 0, v4, v6
	v_or3_b32 v6, v3, 0, 0
	v_cmp_eq_u16_sdwa s[48:49], v8, v5 src0_sel:BYTE_0 src1_sel:DWORD
	s_and_saveexec_b64 s[42:43], s[48:49]
	s_cbranch_execz .LBB978_92
; %bb.89:
	s_mov_b64 s[48:49], 0
	v_mov_b32_e32 v3, 0
.LBB978_90:                             ; =>This Inner Loop Header: Depth=1
	;;#ASMSTART
	global_load_dwordx4 v[6:9], v[26:27] off glc	
s_waitcnt vmcnt(0)
	;;#ASMEND
	v_cmp_ne_u16_sdwa s[56:57], v8, v3 src0_sel:BYTE_0 src1_sel:DWORD
	s_or_b64 s[48:49], s[56:57], s[48:49]
	s_andn2_b64 exec, exec, s[48:49]
	s_cbranch_execnz .LBB978_90
; %bb.91:
	s_or_b64 exec, exec, s[48:49]
	v_and_b32_e32 v7, 0xffff, v7
.LBB978_92:
	s_or_b64 exec, exec, s[42:43]
	v_mov_b32_e32 v3, 2
	v_and_b32_e32 v32, 63, v25
	v_cmp_eq_u16_sdwa s[42:43], v8, v3 src0_sel:BYTE_0 src1_sel:DWORD
	v_lshlrev_b64 v[4:5], v25, -1
	v_cmp_ne_u32_e32 vcc, 63, v32
	v_and_b32_e32 v9, s43, v5
	v_addc_co_u32_e32 v27, vcc, 0, v25, vcc
	v_or_b32_e32 v9, 0x80000000, v9
	v_lshlrev_b32_e32 v33, 2, v27
	v_and_b32_e32 v26, s42, v4
	v_ffbl_b32_e32 v9, v9
	ds_bpermute_b32 v27, v33, v7
	v_add_u32_e32 v9, 32, v9
	v_ffbl_b32_e32 v26, v26
	v_min_u32_e32 v9, v26, v9
	ds_bpermute_b32 v26, v33, v6
	v_cmp_eq_u32_e32 vcc, 0, v6
	s_waitcnt lgkmcnt(1)
	v_cndmask_b32_e32 v27, 0, v27, vcc
	v_add_u16_e32 v27, v27, v7
	v_cmp_lt_u32_e32 vcc, v32, v9
	v_cndmask_b32_e32 v7, v7, v27, vcc
	s_waitcnt lgkmcnt(0)
	v_cndmask_b32_e32 v26, 0, v26, vcc
	v_cmp_gt_u32_e32 vcc, 62, v32
	v_cndmask_b32_e64 v27, 0, 1, vcc
	v_lshlrev_b32_e32 v27, 1, v27
	v_add_lshl_u32 v34, v27, v25, 2
	ds_bpermute_b32 v27, v34, v7
	v_add_u32_e32 v6, v26, v6
	ds_bpermute_b32 v26, v34, v6
	v_cmp_eq_u32_e32 vcc, 0, v6
	v_add_u32_e32 v35, 2, v32
	s_waitcnt lgkmcnt(1)
	v_cndmask_b32_e32 v27, 0, v27, vcc
	v_add_u16_e32 v27, v27, v7
	v_cmp_gt_u32_e32 vcc, v35, v9
	v_cndmask_b32_e32 v7, v27, v7, vcc
	s_waitcnt lgkmcnt(0)
	v_cndmask_b32_e64 v26, v26, 0, vcc
	v_cmp_gt_u32_e32 vcc, 60, v32
	v_cndmask_b32_e64 v27, 0, 1, vcc
	v_lshlrev_b32_e32 v27, 2, v27
	v_add_lshl_u32 v36, v27, v25, 2
	ds_bpermute_b32 v27, v36, v7
	v_add_u32_e32 v6, v6, v26
	ds_bpermute_b32 v26, v36, v6
	v_cmp_eq_u32_e32 vcc, 0, v6
	v_add_u32_e32 v37, 4, v32
	s_waitcnt lgkmcnt(1)
	v_cndmask_b32_e32 v27, 0, v27, vcc
	v_add_u16_e32 v27, v7, v27
	v_cmp_gt_u32_e32 vcc, v37, v9
	v_cndmask_b32_e32 v7, v27, v7, vcc
	s_waitcnt lgkmcnt(0)
	v_cndmask_b32_e64 v26, v26, 0, vcc
	v_cmp_gt_u32_e32 vcc, 56, v32
	v_cndmask_b32_e64 v27, 0, 1, vcc
	v_lshlrev_b32_e32 v27, 3, v27
	v_add_lshl_u32 v38, v27, v25, 2
	ds_bpermute_b32 v27, v38, v7
	v_add_u32_e32 v6, v6, v26
	ds_bpermute_b32 v26, v38, v6
	v_cmp_eq_u32_e32 vcc, 0, v6
	v_add_u32_e32 v39, 8, v32
	s_waitcnt lgkmcnt(1)
	v_cndmask_b32_e32 v27, 0, v27, vcc
	v_add_u16_e32 v27, v7, v27
	v_cmp_gt_u32_e32 vcc, v39, v9
	v_cndmask_b32_e32 v7, v27, v7, vcc
	s_waitcnt lgkmcnt(0)
	v_cndmask_b32_e64 v26, v26, 0, vcc
	v_cmp_gt_u32_e32 vcc, 48, v32
	v_cndmask_b32_e64 v27, 0, 1, vcc
	v_lshlrev_b32_e32 v27, 4, v27
	v_add_lshl_u32 v41, v27, v25, 2
	ds_bpermute_b32 v27, v41, v7
	v_add_u32_e32 v6, v6, v26
	ds_bpermute_b32 v26, v41, v6
	v_cmp_eq_u32_e32 vcc, 0, v6
	v_add_u32_e32 v43, 16, v32
	s_waitcnt lgkmcnt(1)
	v_cndmask_b32_e32 v27, 0, v27, vcc
	v_add_u16_e32 v27, v7, v27
	v_cmp_gt_u32_e32 vcc, v43, v9
	v_cndmask_b32_e32 v7, v27, v7, vcc
	s_waitcnt lgkmcnt(0)
	v_cndmask_b32_e64 v26, v26, 0, vcc
	v_cmp_gt_u32_e32 vcc, 32, v32
	v_cndmask_b32_e64 v27, 0, 1, vcc
	v_lshlrev_b32_e32 v27, 5, v27
	v_add_lshl_u32 v44, v27, v25, 2
	ds_bpermute_b32 v25, v44, v7
	v_add_u32_e32 v6, v6, v26
	ds_bpermute_b32 v26, v44, v6
	v_add_u32_e32 v45, 32, v32
	v_cmp_eq_u32_e32 vcc, 0, v6
	s_waitcnt lgkmcnt(1)
	v_cndmask_b32_e32 v25, 0, v25, vcc
	v_cmp_gt_u32_e32 vcc, v45, v9
	v_cndmask_b32_e64 v9, v25, 0, vcc
	v_add_u16_e32 v7, v7, v9
	s_waitcnt lgkmcnt(0)
	v_cndmask_b32_e64 v9, v26, 0, vcc
	v_add_u32_e32 v6, v9, v6
	v_mov_b32_e32 v25, 0
	s_branch .LBB978_94
.LBB978_93:                             ;   in Loop: Header=BB978_94 Depth=1
	s_or_b64 exec, exec, s[42:43]
	v_cmp_eq_u16_sdwa s[42:43], v8, v3 src0_sel:BYTE_0 src1_sel:DWORD
	ds_bpermute_b32 v27, v33, v7
	v_and_b32_e32 v9, s43, v5
	v_or_b32_e32 v9, 0x80000000, v9
	v_and_b32_e32 v26, s42, v4
	v_ffbl_b32_e32 v9, v9
	v_add_u32_e32 v9, 32, v9
	v_ffbl_b32_e32 v26, v26
	v_cmp_eq_u32_e32 vcc, 0, v6
	v_min_u32_e32 v9, v26, v9
	ds_bpermute_b32 v26, v33, v6
	s_waitcnt lgkmcnt(1)
	v_cndmask_b32_e32 v27, 0, v27, vcc
	v_add_u16_e32 v27, v27, v7
	v_cmp_lt_u32_e32 vcc, v32, v9
	v_cndmask_b32_e32 v7, v7, v27, vcc
	ds_bpermute_b32 v27, v34, v7
	s_waitcnt lgkmcnt(1)
	v_cndmask_b32_e32 v26, 0, v26, vcc
	v_add_u32_e32 v6, v26, v6
	v_cmp_eq_u32_e32 vcc, 0, v6
	ds_bpermute_b32 v26, v34, v6
	s_waitcnt lgkmcnt(1)
	v_cndmask_b32_e32 v27, 0, v27, vcc
	v_add_u16_e32 v27, v27, v7
	v_cmp_gt_u32_e32 vcc, v35, v9
	v_cndmask_b32_e32 v7, v27, v7, vcc
	ds_bpermute_b32 v27, v36, v7
	s_waitcnt lgkmcnt(1)
	v_cndmask_b32_e64 v26, v26, 0, vcc
	v_add_u32_e32 v6, v6, v26
	v_cmp_eq_u32_e32 vcc, 0, v6
	ds_bpermute_b32 v26, v36, v6
	s_waitcnt lgkmcnt(1)
	v_cndmask_b32_e32 v27, 0, v27, vcc
	v_add_u16_e32 v27, v7, v27
	v_cmp_gt_u32_e32 vcc, v37, v9
	v_cndmask_b32_e32 v7, v27, v7, vcc
	ds_bpermute_b32 v27, v38, v7
	s_waitcnt lgkmcnt(1)
	v_cndmask_b32_e64 v26, v26, 0, vcc
	v_add_u32_e32 v6, v6, v26
	ds_bpermute_b32 v26, v38, v6
	v_cmp_eq_u32_e32 vcc, 0, v6
	s_waitcnt lgkmcnt(1)
	v_cndmask_b32_e32 v27, 0, v27, vcc
	v_add_u16_e32 v27, v7, v27
	v_cmp_gt_u32_e32 vcc, v39, v9
	v_cndmask_b32_e32 v7, v27, v7, vcc
	ds_bpermute_b32 v27, v41, v7
	s_waitcnt lgkmcnt(1)
	v_cndmask_b32_e64 v26, v26, 0, vcc
	v_add_u32_e32 v6, v6, v26
	ds_bpermute_b32 v26, v41, v6
	v_cmp_eq_u32_e32 vcc, 0, v6
	;; [unrolled: 11-line block ×3, first 2 shown]
	s_waitcnt lgkmcnt(1)
	v_cndmask_b32_e32 v27, 0, v27, vcc
	v_cmp_gt_u32_e32 vcc, v45, v9
	v_cndmask_b32_e64 v9, v27, 0, vcc
	v_add_u16_e32 v7, v7, v9
	s_waitcnt lgkmcnt(0)
	v_cndmask_b32_e64 v9, v26, 0, vcc
	v_cmp_eq_u32_e32 vcc, 0, v42
	v_cndmask_b32_e32 v7, 0, v7, vcc
	v_subrev_u32_e32 v24, 64, v24
	v_add3_u32 v6, v6, v42, v9
	v_add_u16_e32 v7, v7, v40
.LBB978_94:                             ; =>This Loop Header: Depth=1
                                        ;     Child Loop BB978_97 Depth 2
	v_cmp_ne_u16_sdwa s[42:43], v8, v3 src0_sel:BYTE_0 src1_sel:DWORD
	v_mov_b32_e32 v40, v7
	v_cndmask_b32_e64 v7, 0, 1, s[42:43]
	;;#ASMSTART
	;;#ASMEND
	v_cmp_ne_u32_e32 vcc, 0, v7
	s_cmp_lg_u64 vcc, exec
	v_mov_b32_e32 v42, v6
	s_cbranch_scc1 .LBB978_99
; %bb.95:                               ;   in Loop: Header=BB978_94 Depth=1
	v_lshlrev_b64 v[6:7], 4, v[24:25]
	v_mov_b32_e32 v8, s37
	v_add_co_u32_e32 v26, vcc, s36, v6
	v_addc_co_u32_e32 v27, vcc, v8, v7, vcc
	;;#ASMSTART
	global_load_dwordx4 v[6:9], v[26:27] off glc	
s_waitcnt vmcnt(0)
	;;#ASMEND
	v_and_b32_e32 v9, 0xffffff, v6
	v_and_b32_e32 v6, 0xff000000, v6
	v_or_b32_e32 v6, v9, v6
	v_and_b32_e32 v9, 0xff, v7
	v_and_b32_e32 v7, 0xff00, v7
	v_or3_b32 v7, 0, v9, v7
	v_or3_b32 v6, v6, 0, 0
	v_cmp_eq_u16_sdwa s[48:49], v8, v25 src0_sel:BYTE_0 src1_sel:DWORD
	s_and_saveexec_b64 s[42:43], s[48:49]
	s_cbranch_execz .LBB978_93
; %bb.96:                               ;   in Loop: Header=BB978_94 Depth=1
	s_mov_b64 s[48:49], 0
.LBB978_97:                             ;   Parent Loop BB978_94 Depth=1
                                        ; =>  This Inner Loop Header: Depth=2
	;;#ASMSTART
	global_load_dwordx4 v[6:9], v[26:27] off glc	
s_waitcnt vmcnt(0)
	;;#ASMEND
	v_cmp_ne_u16_sdwa s[56:57], v8, v25 src0_sel:BYTE_0 src1_sel:DWORD
	s_or_b64 s[48:49], s[56:57], s[48:49]
	s_andn2_b64 exec, exec, s[48:49]
	s_cbranch_execnz .LBB978_97
; %bb.98:                               ;   in Loop: Header=BB978_94 Depth=1
	s_or_b64 exec, exec, s[48:49]
	v_and_b32_e32 v7, 0xffff, v7
	s_branch .LBB978_93
.LBB978_99:                             ;   in Loop: Header=BB978_94 Depth=1
                                        ; implicit-def: $vgpr7
                                        ; implicit-def: $vgpr6
                                        ; implicit-def: $vgpr8
	s_cbranch_execz .LBB978_94
; %bb.100:
	s_and_saveexec_b64 s[42:43], s[28:29]
	s_cbranch_execz .LBB978_102
; %bb.101:
	s_mov_b32 s49, 0
	v_cmp_eq_u32_e32 vcc, 0, v2
	s_add_i32 s48, s58, 64
	v_cndmask_b32_e32 v3, 0, v40, vcc
	s_lshl_b64 s[48:49], s[48:49], 4
	v_add_u16_e32 v3, s54, v3
	s_add_u32 s48, s36, s48
	s_addc_u32 s49, s37, s49
	v_and_b32_e32 v5, 0xff00, v3
	v_add_u32_e32 v4, v42, v2
	v_mov_b32_e32 v7, 0
	v_or_b32_sdwa v5, v5, v3 dst_sel:DWORD dst_unused:UNUSED_PAD src0_sel:DWORD src1_sel:BYTE_0
	v_mov_b32_e32 v6, 2
	v_pk_mov_b32 v[8:9], s[48:49], s[48:49] op_sel:[0,1]
	;;#ASMSTART
	global_store_dwordx4 v[8:9], v[4:7] off	
s_waitcnt vmcnt(0)
	;;#ASMEND
	v_mov_b32_e32 v3, s54
	s_movk_i32 s48, 0x800
	ds_write_b16 v7, v3 offset:2052
	v_add_u32_e64 v3, s48, 0
	ds_write2_b32 v3, v2, v42 offset1:2
	ds_write_b16 v7, v40 offset:2060
.LBB978_102:
	s_or_b64 exec, exec, s[42:43]
	s_and_b64 exec, exec, s[0:1]
	s_cbranch_execz .LBB978_104
; %bb.103:
	v_mov_b32_e32 v2, 0
	ds_write_b32 v2, v42 offset:2088
	ds_write_b16 v2, v40 offset:2092
.LBB978_104:
	s_or_b64 exec, exec, s[38:39]
	v_mov_b32_e32 v4, 0
	s_waitcnt lgkmcnt(0)
	s_barrier
	ds_read_b64 v[2:3], v4 offset:2088
	v_cndmask_b32_e64 v6, v30, v28, s[28:29]
	v_cmp_eq_u32_e32 vcc, 0, v6
	v_cndmask_b32_e64 v5, v31, v29, s[28:29]
	s_waitcnt lgkmcnt(0)
	v_cndmask_b32_e32 v7, 0, v3, vcc
	v_add_u16_e32 v5, v7, v5
	v_cndmask_b32_e64 v3, v5, v3, s[0:1]
	v_cndmask_b32_e64 v5, v6, 0, s[0:1]
	v_cmp_eq_u32_e32 vcc, 0, v82
	v_add_u32_e32 v50, v2, v5
	v_cndmask_b32_e32 v2, 0, v3, vcc
	v_add_u16_e32 v49, v2, v79
	v_cndmask_b32_e64 v2, 0, v49, s[26:27]
	v_add_u16_e32 v47, v2, v78
	v_cndmask_b32_e64 v2, 0, v47, s[24:25]
	v_add_u16_e32 v45, v2, v76
	v_cndmask_b32_e64 v2, 0, v45, s[22:23]
	v_add_u16_e32 v43, v2, v74
	v_cndmask_b32_e64 v2, 0, v43, s[20:21]
	v_add_u16_e32 v41, v2, v72
	v_cndmask_b32_e64 v2, 0, v41, s[18:19]
	v_add_u16_e32 v39, v2, v70
	v_cndmask_b32_e64 v2, 0, v39, s[16:17]
	v_add_u16_e32 v37, v2, v68
	v_add_u32_e32 v48, v50, v82
	v_cndmask_b32_e64 v2, 0, v37, s[14:15]
	v_add_u32_e32 v46, v48, v65
	v_add_u16_e32 v35, v2, v67
	v_add_u32_e32 v44, v46, v64
	v_cndmask_b32_e64 v2, 0, v35, s[12:13]
	v_add_u32_e32 v42, v44, v63
	;; [unrolled: 4-line block ×3, first 2 shown]
	v_add_u16_e32 v31, v2, v75
	v_add_u32_e32 v36, v38, v60
	v_cndmask_b32_e64 v2, 0, v31, s[8:9]
	s_barrier
	ds_read_b128 v[4:7], v4 offset:2048
	v_add_u32_e32 v34, v36, v59
	v_add_u16_e32 v29, v2, v73
	v_add_u32_e32 v32, v34, v58
	v_cndmask_b32_e64 v2, 0, v29, s[6:7]
	v_add_u32_e32 v30, v32, v57
	v_add_u16_e32 v27, v2, v71
	v_add_u32_e32 v28, v30, v56
	v_cndmask_b32_e64 v2, 0, v27, s[4:5]
	v_add_u32_e32 v26, v28, v55
	v_add_u16_e32 v9, v2, v69
	s_waitcnt lgkmcnt(0)
	v_cmp_eq_u32_e32 vcc, 0, v4
	v_and_b32_e32 v51, 0xffff, v3
	v_add_u32_e32 v8, v26, v54
	v_cndmask_b32_e64 v3, 0, v9, s[2:3]
	v_cndmask_b32_e32 v7, 0, v7, vcc
	v_add_u32_e32 v2, v8, v53
	v_add_u16_e32 v3, v3, v66
	v_add_u32_e32 v81, v7, v5
	s_branch .LBB978_117
.LBB978_105:
                                        ; implicit-def: $vgpr4
                                        ; implicit-def: $vgpr81
                                        ; implicit-def: $vgpr50_vgpr51
                                        ; implicit-def: $vgpr48_vgpr49
                                        ; implicit-def: $vgpr46_vgpr47
                                        ; implicit-def: $vgpr44_vgpr45
                                        ; implicit-def: $vgpr42_vgpr43
                                        ; implicit-def: $vgpr40_vgpr41
                                        ; implicit-def: $vgpr38_vgpr39
                                        ; implicit-def: $vgpr36_vgpr37
                                        ; implicit-def: $vgpr34_vgpr35
                                        ; implicit-def: $vgpr32_vgpr33
                                        ; implicit-def: $vgpr30_vgpr31
                                        ; implicit-def: $vgpr28_vgpr29
                                        ; implicit-def: $vgpr26_vgpr27
                                        ; implicit-def: $vgpr8_vgpr9
                                        ; implicit-def: $vgpr2_vgpr3
	s_cbranch_execz .LBB978_117
; %bb.106:
	s_and_b64 s[2:3], s[30:31], exec
	s_cselect_b32 s3, 0, s53
	s_cselect_b32 s2, 0, s52
	s_cmp_eq_u64 s[2:3], 0
	v_mov_b32_e32 v5, v79
	s_cbranch_scc1 .LBB978_108
; %bb.107:
	v_mov_b32_e32 v2, 0
	global_load_ushort v5, v2, s[2:3]
.LBB978_108:
	v_cmp_eq_u32_e64 s[2:3], 0, v65
	v_cndmask_b32_e64 v2, 0, v79, s[2:3]
	v_add_u16_e32 v2, v2, v78
	v_cmp_eq_u32_e64 s[4:5], 0, v64
	v_cndmask_b32_e64 v2, 0, v2, s[4:5]
	v_add_u16_e32 v2, v2, v76
	v_cmp_eq_u32_e64 s[6:7], 0, v63
	v_cndmask_b32_e64 v2, 0, v2, s[6:7]
	v_add_u16_e32 v2, v2, v74
	v_cmp_eq_u32_e64 s[8:9], 0, v62
	v_cndmask_b32_e64 v2, 0, v2, s[8:9]
	v_add_u16_e32 v2, v2, v72
	v_cmp_eq_u32_e64 s[10:11], 0, v61
	v_cndmask_b32_e64 v2, 0, v2, s[10:11]
	v_add_u16_e32 v2, v2, v70
	v_cmp_eq_u32_e64 s[12:13], 0, v60
	v_cndmask_b32_e64 v2, 0, v2, s[12:13]
	v_add_u16_e32 v2, v2, v68
	v_cmp_eq_u32_e64 s[14:15], 0, v59
	v_cndmask_b32_e64 v2, 0, v2, s[14:15]
	v_add_u16_e32 v2, v2, v67
	v_cmp_eq_u32_e64 s[16:17], 0, v58
	v_cndmask_b32_e64 v2, 0, v2, s[16:17]
	v_add_u16_e32 v2, v2, v77
	v_cmp_eq_u32_e64 s[18:19], 0, v57
	v_cndmask_b32_e64 v2, 0, v2, s[18:19]
	v_add_u16_e32 v2, v2, v75
	v_cmp_eq_u32_e64 s[20:21], 0, v56
	v_cndmask_b32_e64 v2, 0, v2, s[20:21]
	v_add_u16_e32 v2, v2, v73
	v_cmp_eq_u32_e64 s[22:23], 0, v55
	v_cndmask_b32_e64 v2, 0, v2, s[22:23]
	v_add_u16_e32 v2, v2, v71
	v_cmp_eq_u32_e64 s[24:25], 0, v54
	v_cndmask_b32_e64 v2, 0, v2, s[24:25]
	v_add3_u32 v3, v86, v61, v60
	v_add_u16_e32 v2, v2, v69
	v_cmp_eq_u32_e32 vcc, 0, v53
	v_add3_u32 v3, v3, v59, v58
	v_cndmask_b32_e32 v2, 0, v2, vcc
	v_add3_u32 v3, v3, v57, v56
	v_add_u16_e32 v2, v2, v66
	v_cmp_eq_u32_e64 s[26:27], 0, v52
	v_add3_u32 v3, v3, v55, v54
	v_cndmask_b32_e64 v2, 0, v2, s[26:27]
	v_add3_u32 v3, v3, v53, v52
	v_add_u16_e32 v4, v2, v80
	v_mbcnt_hi_u32_b32 v2, -1, v85
	v_and_b32_e32 v6, 15, v2
	v_mov_b32_dpp v8, v4 row_shr:1 row_mask:0xf bank_mask:0xf
	v_cmp_eq_u32_e64 s[26:27], 0, v3
	v_mov_b32_dpp v7, v3 row_shr:1 row_mask:0xf bank_mask:0xf
	v_cndmask_b32_e64 v8, 0, v8, s[26:27]
	v_cmp_eq_u32_e64 s[26:27], 0, v6
	v_add_u16_e32 v8, v8, v4
	v_cndmask_b32_e64 v7, v7, 0, s[26:27]
	v_add_u32_e32 v3, v7, v3
	v_cndmask_b32_e64 v4, v8, v4, s[26:27]
	v_cmp_eq_u32_e64 s[26:27], 0, v3
	v_mov_b32_dpp v7, v3 row_shr:2 row_mask:0xf bank_mask:0xf
	v_mov_b32_dpp v8, v4 row_shr:2 row_mask:0xf bank_mask:0xf
	v_cndmask_b32_e64 v8, 0, v8, s[26:27]
	v_cmp_lt_u32_e64 s[26:27], 1, v6
	v_add_u16_e32 v8, v8, v4
	v_cndmask_b32_e64 v7, 0, v7, s[26:27]
	v_cndmask_b32_e64 v4, v4, v8, s[26:27]
	v_add_u32_e32 v3, v3, v7
	v_cmp_eq_u32_e64 s[26:27], 0, v3
	v_mov_b32_dpp v8, v4 row_shr:4 row_mask:0xf bank_mask:0xf
	v_mov_b32_dpp v7, v3 row_shr:4 row_mask:0xf bank_mask:0xf
	v_cndmask_b32_e64 v8, 0, v8, s[26:27]
	v_cmp_lt_u32_e64 s[26:27], 3, v6
	v_add_u16_e32 v8, v8, v4
	v_cndmask_b32_e64 v7, 0, v7, s[26:27]
	v_cndmask_b32_e64 v4, v4, v8, s[26:27]
	v_add_u32_e32 v3, v7, v3
	;; [unrolled: 9-line block ×3, first 2 shown]
	v_bfe_i32 v8, v2, 4, 1
	v_mov_b32_dpp v7, v4 row_bcast:15 row_mask:0xf bank_mask:0xf
	v_mov_b32_dpp v6, v3 row_bcast:15 row_mask:0xf bank_mask:0xf
	v_cmp_eq_u32_e64 s[26:27], 0, v3
	v_and_b32_e32 v9, 16, v2
	v_cndmask_b32_e64 v7, 0, v7, s[26:27]
	v_and_b32_e32 v6, v8, v6
	v_add_u16_e32 v7, v7, v4
	v_add_u32_e32 v3, v6, v3
	v_cmp_eq_u32_e64 s[26:27], 0, v9
	v_cndmask_b32_e64 v4, v7, v4, s[26:27]
	v_mov_b32_dpp v6, v3 row_bcast:31 row_mask:0xf bank_mask:0xf
	v_cmp_eq_u32_e64 s[26:27], 0, v3
	v_cmp_lt_u32_e64 s[28:29], 31, v2
	v_mov_b32_dpp v7, v4 row_bcast:31 row_mask:0xf bank_mask:0xf
	v_cndmask_b32_e64 v6, 0, v6, s[28:29]
	s_and_b64 s[26:27], s[28:29], s[26:27]
	v_add_u32_e32 v3, v6, v3
	v_cndmask_b32_e64 v6, 0, v7, s[26:27]
	v_add_u16_e32 v4, v6, v4
	v_cmp_eq_u32_e64 s[26:27], v84, v0
	v_lshlrev_b32_e32 v7, 3, v83
	s_and_saveexec_b64 s[28:29], s[26:27]
	s_cbranch_execz .LBB978_110
; %bb.109:
	ds_write_b32 v7, v3 offset:2064
	ds_write_b16 v7, v4 offset:2068
.LBB978_110:
	s_or_b64 exec, exec, s[28:29]
	v_cmp_gt_u32_e64 s[26:27], 4, v0
	s_waitcnt lgkmcnt(0)
	s_barrier
	s_and_saveexec_b64 s[38:39], s[26:27]
	s_cbranch_execz .LBB978_112
; %bb.111:
	v_lshlrev_b32_e32 v6, 3, v0
	ds_read_b64 v[8:9], v6 offset:2064
	v_and_b32_e32 v24, 3, v2
	s_mov_b32 s28, 0xffff0000
	s_waitcnt lgkmcnt(0)
	v_mov_b32_dpp v26, v9 row_shr:1 row_mask:0xf bank_mask:0xf
	v_cmp_eq_u32_e64 s[26:27], 0, v8
	v_mov_b32_dpp v25, v8 row_shr:1 row_mask:0xf bank_mask:0xf
	v_cndmask_b32_e64 v26, 0, v26, s[26:27]
	v_cmp_eq_u32_e64 s[26:27], 0, v24
	v_add_u16_e32 v26, v26, v9
	v_cndmask_b32_e64 v25, v25, 0, s[26:27]
	v_and_or_b32 v27, v9, s28, v26
	v_add_u32_e32 v8, v25, v8
	v_cndmask_b32_e64 v25, v26, v9, s[26:27]
	v_cndmask_b32_e64 v9, v27, v9, s[26:27]
	v_mov_b32_dpp v26, v8 row_shr:2 row_mask:0xf bank_mask:0xf
	v_cmp_eq_u32_e64 s[26:27], 0, v8
	v_cmp_lt_u32_e64 s[28:29], 1, v24
	v_mov_b32_dpp v9, v9 row_shr:2 row_mask:0xf bank_mask:0xf
	v_cndmask_b32_e64 v24, 0, v26, s[28:29]
	s_and_b64 s[26:27], s[28:29], s[26:27]
	v_add_u32_e32 v8, v24, v8
	v_cndmask_b32_e64 v9, 0, v9, s[26:27]
	v_add_u16_e32 v9, v25, v9
	ds_write_b32 v6, v8 offset:2064
	ds_write_b16 v6, v9 offset:2068
.LBB978_112:
	s_or_b64 exec, exec, s[38:39]
	v_cmp_lt_u32_e64 s[26:27], 63, v0
	v_mov_b32_e32 v6, 0
	v_mov_b32_e32 v8, 0
	s_waitcnt vmcnt(0)
	v_mov_b32_e32 v9, v5
	s_waitcnt lgkmcnt(0)
	s_barrier
	s_and_saveexec_b64 s[28:29], s[26:27]
	s_cbranch_execz .LBB978_114
; %bb.113:
	ds_read_b32 v8, v7 offset:2056
	ds_read_u16 v7, v7 offset:2060
	s_waitcnt lgkmcnt(1)
	v_cmp_eq_u32_e64 s[26:27], 0, v8
	v_cndmask_b32_e64 v9, 0, v5, s[26:27]
	s_waitcnt lgkmcnt(0)
	v_add_u16_e32 v9, v9, v7
.LBB978_114:
	s_or_b64 exec, exec, s[28:29]
	v_cmp_eq_u32_e64 s[26:27], 0, v3
	v_add_u32_e32 v7, v8, v3
	v_cndmask_b32_e64 v3, 0, v9, s[26:27]
	v_add_u16_e32 v3, v3, v4
	v_add_u32_e32 v4, -1, v2
	v_and_b32_e32 v24, 64, v2
	v_cmp_lt_i32_e64 s[26:27], v4, v24
	v_cndmask_b32_e64 v4, v4, v2, s[26:27]
	v_lshlrev_b32_e32 v4, 2, v4
	ds_bpermute_b32 v3, v4, v3
	ds_bpermute_b32 v7, v4, v7
	v_cmp_eq_u32_e64 s[26:27], 0, v2
	ds_read_b32 v4, v6 offset:2088
	ds_read_u16 v6, v6 offset:2092
	s_waitcnt lgkmcnt(3)
	v_cndmask_b32_e64 v3, v3, v9, s[26:27]
	s_waitcnt lgkmcnt(2)
	v_cndmask_b32_e64 v2, v7, v8, s[26:27]
	v_cndmask_b32_e64 v3, v3, v5, s[0:1]
	v_cmp_eq_u32_e64 s[26:27], 0, v82
	v_cndmask_b32_e64 v50, v2, 0, s[0:1]
	v_cndmask_b32_e64 v2, 0, v3, s[26:27]
	v_add_u16_e32 v49, v2, v79
	v_cndmask_b32_e64 v2, 0, v49, s[2:3]
	v_add_u16_e32 v47, v2, v78
	;; [unrolled: 2-line block ×7, first 2 shown]
	v_cndmask_b32_e64 v2, 0, v37, s[14:15]
	v_add_u32_e32 v48, v50, v82
	v_add_u16_e32 v35, v2, v67
	v_add_u32_e32 v46, v48, v65
	v_cndmask_b32_e64 v2, 0, v35, s[16:17]
	v_add_u32_e32 v44, v46, v64
	v_add_u16_e32 v33, v2, v77
	v_add_u32_e32 v42, v44, v63
	;; [unrolled: 4-line block ×5, first 2 shown]
	v_cndmask_b32_e64 v2, 0, v27, s[24:25]
	v_add_u32_e32 v28, v30, v56
	v_add_u16_e32 v9, v2, v69
	v_and_b32_e32 v51, 0xffff, v3
	v_add_u32_e32 v26, v28, v55
	v_cndmask_b32_e32 v3, 0, v9, vcc
	s_waitcnt lgkmcnt(1)
	v_cmp_eq_u32_e32 vcc, 0, v4
	v_add_u32_e32 v8, v26, v54
	v_cndmask_b32_e32 v5, 0, v5, vcc
	v_add_u32_e32 v2, v8, v53
	v_add_u16_e32 v3, v3, v66
	s_waitcnt lgkmcnt(0)
	v_add_u16_e32 v81, v5, v6
	s_and_saveexec_b64 s[2:3], s[0:1]
	s_cbranch_execz .LBB978_116
; %bb.115:
	s_add_u32 s4, s36, 0x400
	s_addc_u32 s5, s37, 0
	v_and_b32_e32 v5, 0xff00, v81
	v_mov_b32_e32 v7, 0
	v_or_b32_sdwa v5, v5, v81 dst_sel:DWORD dst_unused:UNUSED_PAD src0_sel:DWORD src1_sel:BYTE_0
	v_mov_b32_e32 v6, 2
	v_pk_mov_b32 v[24:25], s[4:5], s[4:5] op_sel:[0,1]
	;;#ASMSTART
	global_store_dwordx4 v[24:25], v[4:7] off	
s_waitcnt vmcnt(0)
	;;#ASMEND
.LBB978_116:
	s_or_b64 exec, exec, s[2:3]
	v_mov_b32_e32 v6, 0
.LBB978_117:
	s_and_b64 s[2:3], s[30:31], exec
	s_cselect_b32 s3, 0, s51
	s_cselect_b32 s2, 0, s50
	s_cmp_eq_u64 s[2:3], 0
	v_pk_mov_b32 v[24:25], 0, 0
	s_barrier
	s_cbranch_scc1 .LBB978_119
; %bb.118:
	v_mov_b32_e32 v5, 0
	global_load_dwordx2 v[24:25], v5, s[2:3]
.LBB978_119:
	s_movk_i32 s38, 0x100
	v_cmp_gt_u32_e32 vcc, s38, v4
	s_cbranch_vccnz .LBB978_168
; %bb.120:
	v_cmp_eq_u32_e64 s[28:29], 0, v65
	v_cndmask_b32_e64 v77, 1, 2, s[28:29]
	v_cmp_eq_u32_e64 s[28:29], 0, v82
	v_cmp_eq_u32_e64 s[26:27], 0, v64
	v_cndmask_b32_e64 v78, 1, 2, s[28:29]
	v_cmp_eq_u32_e64 s[24:25], 0, v63
	v_cndmask_b32_e64 v76, 1, 2, s[26:27]
	v_and_b32_e32 v77, v77, v78
	v_cmp_eq_u32_e64 s[22:23], 0, v62
	v_cndmask_b32_e64 v75, 1, 2, s[24:25]
	v_and_b32_e32 v76, v77, v76
	v_cmp_eq_u32_e64 s[18:19], 0, v61
	v_cndmask_b32_e64 v74, 1, 2, s[22:23]
	v_and_b32_e32 v75, v76, v75
	v_cmp_eq_u32_e64 s[16:17], 0, v60
	v_cndmask_b32_e64 v73, 1, 2, s[18:19]
	v_and_b32_e32 v74, v75, v74
	v_cmp_eq_u32_e64 s[14:15], 0, v59
	v_cndmask_b32_e64 v72, 1, 2, s[16:17]
	v_and_b32_e32 v73, v74, v73
	v_cmp_eq_u32_e64 s[12:13], 0, v58
	v_cndmask_b32_e64 v71, 1, 2, s[14:15]
	v_and_b32_e32 v72, v73, v72
	v_cmp_eq_u32_e64 s[10:11], 0, v57
	v_cndmask_b32_e64 v70, 1, 2, s[12:13]
	v_and_b32_e32 v71, v72, v71
	v_cmp_eq_u32_e64 s[8:9], 0, v56
	v_cndmask_b32_e64 v69, 1, 2, s[10:11]
	v_and_b32_e32 v70, v71, v70
	v_cmp_eq_u32_e64 s[6:7], 0, v55
	v_cndmask_b32_e64 v68, 1, 2, s[8:9]
	v_and_b32_e32 v69, v70, v69
	v_cmp_eq_u32_e64 s[4:5], 0, v54
	v_cndmask_b32_e64 v67, 1, 2, s[6:7]
	v_and_b32_e32 v68, v69, v68
	v_cmp_eq_u32_e64 s[2:3], 0, v53
	v_cndmask_b32_e64 v66, 1, 2, s[4:5]
	v_and_b32_e32 v67, v68, v67
	v_cmp_eq_u32_e32 vcc, 0, v52
	v_cndmask_b32_e64 v7, 1, 2, s[2:3]
	v_and_b32_e32 v66, v67, v66
	v_cndmask_b32_e64 v5, 1, 2, vcc
	v_and_b32_e32 v7, v66, v7
	v_and_b32_e32 v5, v7, v5
	v_cmp_ne_u32_e64 s[20:21], 0, v82
	v_cmp_ne_u32_e32 vcc, 0, v53
	v_cmp_ne_u32_e64 s[2:3], 0, v54
	v_cmp_ne_u32_e64 s[4:5], 0, v55
	;; [unrolled: 1-line block ×12, first 2 shown]
	v_cmp_gt_i16_e64 s[28:29], 2, v5
	s_and_saveexec_b64 s[30:31], s[28:29]
	s_cbranch_execz .LBB978_167
; %bb.121:
	v_cmp_ne_u16_e64 s[28:29], 1, v5
	s_mov_b64 s[36:37], 0
	s_and_saveexec_b64 s[42:43], s[28:29]
	s_xor_b64 s[28:29], exec, s[42:43]
	s_cbranch_execz .LBB978_145
; %bb.122:
	s_and_saveexec_b64 s[36:37], s[20:21]
	s_cbranch_execz .LBB978_150
; %bb.123:
	v_sub_u32_e32 v5, v50, v6
	v_lshlrev_b32_e32 v5, 2, v5
	ds_write_b32 v5, v22
	s_or_b64 exec, exec, s[36:37]
	s_and_saveexec_b64 s[20:21], s[26:27]
	s_cbranch_execnz .LBB978_151
.LBB978_124:
	s_or_b64 exec, exec, s[20:21]
	s_and_saveexec_b64 s[20:21], s[24:25]
	s_cbranch_execz .LBB978_152
.LBB978_125:
	v_sub_u32_e32 v5, v46, v6
	v_lshlrev_b32_e32 v5, 2, v5
	ds_write_b32 v5, v20
	s_or_b64 exec, exec, s[20:21]
	s_and_saveexec_b64 s[20:21], s[22:23]
	s_cbranch_execnz .LBB978_153
.LBB978_126:
	s_or_b64 exec, exec, s[20:21]
	s_and_saveexec_b64 s[20:21], s[18:19]
	s_cbranch_execz .LBB978_154
.LBB978_127:
	v_sub_u32_e32 v5, v42, v6
	v_lshlrev_b32_e32 v5, 2, v5
	ds_write_b32 v5, v18
	s_or_b64 exec, exec, s[20:21]
	s_and_saveexec_b64 s[18:19], s[16:17]
	s_cbranch_execnz .LBB978_155
.LBB978_128:
	s_or_b64 exec, exec, s[18:19]
	s_and_saveexec_b64 s[16:17], s[14:15]
	s_cbranch_execz .LBB978_156
.LBB978_129:
	v_sub_u32_e32 v5, v38, v6
	v_lshlrev_b32_e32 v5, 2, v5
	ds_write_b32 v5, v16
	s_or_b64 exec, exec, s[16:17]
	s_and_saveexec_b64 s[14:15], s[12:13]
	s_cbranch_execnz .LBB978_157
.LBB978_130:
	s_or_b64 exec, exec, s[14:15]
	s_and_saveexec_b64 s[12:13], s[10:11]
	s_cbranch_execz .LBB978_158
.LBB978_131:
	v_sub_u32_e32 v5, v34, v6
	v_lshlrev_b32_e32 v5, 2, v5
	ds_write_b32 v5, v14
	s_or_b64 exec, exec, s[12:13]
	s_and_saveexec_b64 s[10:11], s[8:9]
	s_cbranch_execnz .LBB978_159
.LBB978_132:
	s_or_b64 exec, exec, s[10:11]
	s_and_saveexec_b64 s[8:9], s[6:7]
	s_cbranch_execz .LBB978_160
.LBB978_133:
	v_sub_u32_e32 v5, v30, v6
	v_lshlrev_b32_e32 v5, 2, v5
	ds_write_b32 v5, v12
	s_or_b64 exec, exec, s[8:9]
	s_and_saveexec_b64 s[6:7], s[4:5]
	s_cbranch_execnz .LBB978_161
.LBB978_134:
	s_or_b64 exec, exec, s[6:7]
	s_and_saveexec_b64 s[4:5], s[2:3]
	s_cbranch_execz .LBB978_162
.LBB978_135:
	v_sub_u32_e32 v5, v26, v6
	v_lshlrev_b32_e32 v5, 2, v5
	ds_write_b32 v5, v10
	s_or_b64 exec, exec, s[4:5]
	v_cmp_ne_u32_e64 s[2:3], 0, v52
	s_and_saveexec_b64 s[4:5], vcc
	s_cbranch_execnz .LBB978_163
	s_branch .LBB978_164
.LBB978_136:
                                        ; implicit-def: $sgpr4_sgpr5
                                        ; implicit-def: $vgpr52
                                        ; implicit-def: $vgpr53
                                        ; implicit-def: $vgpr54
                                        ; implicit-def: $vgpr55
                                        ; implicit-def: $vgpr56
                                        ; implicit-def: $vgpr57
                                        ; implicit-def: $vgpr58
                                        ; implicit-def: $vgpr59
                                        ; implicit-def: $vgpr60
                                        ; implicit-def: $vgpr61
                                        ; implicit-def: $vgpr62
                                        ; implicit-def: $vgpr63
                                        ; implicit-def: $vgpr64
                                        ; implicit-def: $vgpr65
	s_cbranch_execz .LBB978_74
; %bb.137:
	v_cmp_ne_u32_e32 vcc, v23, v50
	v_cndmask_b32_e64 v65, 0, 1, vcc
	v_cmp_ne_u32_e32 vcc, v23, v51
	v_cndmask_b32_e64 v64, 0, 1, vcc
	v_cmp_ne_u32_e32 vcc, v51, v21
	v_cndmask_b32_e64 v63, 0, 1, vcc
	v_cmp_ne_u32_e32 vcc, v46, v21
	v_cndmask_b32_e64 v62, 0, 1, vcc
	v_cmp_ne_u32_e32 vcc, v19, v46
	v_cndmask_b32_e64 v61, 0, 1, vcc
	v_cmp_ne_u32_e32 vcc, v19, v47
	v_cndmask_b32_e64 v60, 0, 1, vcc
	v_cmp_ne_u32_e32 vcc, v47, v17
	v_cndmask_b32_e64 v59, 0, 1, vcc
	v_cmp_ne_u32_e32 vcc, v44, v17
	v_cndmask_b32_e64 v58, 0, 1, vcc
	v_cmp_ne_u32_e32 vcc, v15, v44
	v_cndmask_b32_e64 v57, 0, 1, vcc
	v_cmp_ne_u32_e32 vcc, v15, v45
	v_cndmask_b32_e64 v56, 0, 1, vcc
	v_cmp_ne_u32_e32 vcc, v45, v13
	v_cndmask_b32_e64 v55, 0, 1, vcc
	v_cmp_ne_u32_e32 vcc, v48, v13
	v_cndmask_b32_e64 v54, 0, 1, vcc
	v_cmp_ne_u32_e32 vcc, v11, v48
	v_cndmask_b32_e64 v53, 0, 1, vcc
	v_cmp_ne_u32_e32 vcc, v11, v1
	v_cndmask_b32_e64 v52, 0, 1, vcc
	ds_write_b32 v81, v1
	s_waitcnt lgkmcnt(0)
	s_barrier
	s_waitcnt lgkmcnt(0)
                                        ; implicit-def: $sgpr4_sgpr5
	s_and_saveexec_b64 s[8:9], s[2:3]
	s_xor_b64 s[8:9], exec, s[8:9]
	s_cbranch_execz .LBB978_139
; %bb.138:
	v_add_u32_e32 v7, -4, v81
	ds_read_b32 v7, v7
	s_or_b64 s[56:57], s[56:57], exec
	s_waitcnt lgkmcnt(0)
	v_cmp_ne_u32_e32 vcc, v7, v22
	s_and_b64 s[4:5], vcc, exec
.LBB978_139:
	s_or_b64 exec, exec, s[8:9]
	s_mov_b32 s10, 1
	s_branch .LBB978_76
.LBB978_140:
	s_mul_hi_u32 s5, s54, 0xfffff100
	s_mul_i32 s4, s55, 0xfffff100
	s_sub_i32 s5, s5, s54
	s_add_i32 s5, s5, s4
	s_mul_i32 s4, s54, 0xfffff100
	s_add_u32 s42, s4, s48
	s_addc_u32 s43, s5, s49
	s_and_b64 vcc, exec, s[6:7]
	v_cmp_ne_u32_e64 s[30:31], v11, v1
	v_cmp_ne_u32_e64 s[28:29], v10, v11
	;; [unrolled: 1-line block ×14, first 2 shown]
	s_cbranch_vccz .LBB978_147
; %bb.141:
	v_add_co_u32_e32 v44, vcc, -4, v3
	v_addc_co_u32_e32 v45, vcc, -1, v5, vcc
	flat_load_dword v46, v[44:45]
	v_mov_b32_e32 v3, 0
	v_cmp_gt_u64_e32 vcc, s[42:43], v[2:3]
	v_mov_b32_e32 v43, v3
	s_and_b64 s[30:31], vcc, s[30:31]
	v_cmp_gt_u64_e32 vcc, s[42:43], v[42:43]
	v_mov_b32_e32 v41, v3
	s_and_b64 s[28:29], vcc, s[28:29]
	;; [unrolled: 3-line block ×13, first 2 shown]
	v_cmp_gt_u64_e32 vcc, s[42:43], v[4:5]
	v_mul_u32_u24_e32 v44, 15, v0
	s_and_b64 s[4:5], vcc, s[4:5]
	ds_write_b32 v81, v1
	s_waitcnt lgkmcnt(0)
	s_barrier
	s_and_saveexec_b64 s[48:49], s[2:3]
	s_cbranch_execz .LBB978_143
; %bb.142:
	v_add_u32_e32 v5, -4, v81
	s_waitcnt vmcnt(0)
	ds_read_b32 v46, v5
.LBB978_143:
	s_or_b64 exec, exec, s[48:49]
	v_mov_b32_e32 v45, v3
	v_cndmask_b32_e64 v65, 0, 1, s[4:5]
	v_cmp_gt_u64_e32 vcc, s[42:43], v[44:45]
	s_waitcnt vmcnt(0) lgkmcnt(0)
	v_cmp_ne_u32_e64 s[4:5], v46, v22
	v_cndmask_b32_e64 v52, 0, 1, s[30:31]
	v_cndmask_b32_e64 v53, 0, 1, s[28:29]
	;; [unrolled: 1-line block ×13, first 2 shown]
	s_and_b64 s[4:5], vcc, s[4:5]
	s_mov_b64 s[56:57], -1
.LBB978_144:
                                        ; implicit-def: $sgpr10
	v_mov_b32_e32 v82, s10
	s_and_saveexec_b64 s[2:3], s[56:57]
	s_cbranch_execnz .LBB978_77
	s_branch .LBB978_78
.LBB978_145:
	s_andn2_saveexec_b64 s[2:3], s[28:29]
	s_cbranch_execz .LBB978_165
.LBB978_146:
	v_sub_u32_e32 v5, v50, v6
	v_lshlrev_b32_e32 v5, 2, v5
	ds_write_b32 v5, v22
	v_sub_u32_e32 v5, v48, v6
	v_lshlrev_b32_e32 v5, 2, v5
	ds_write_b32 v5, v23
	;; [unrolled: 3-line block ×13, first 2 shown]
	v_sub_u32_e32 v5, v8, v6
	v_lshlrev_b32_e32 v5, 2, v5
	s_or_b64 s[36:37], s[36:37], exec
	ds_write_b32 v5, v11
	s_or_b64 exec, exec, s[2:3]
	s_and_b64 exec, exec, s[36:37]
	s_cbranch_execnz .LBB978_166
	s_branch .LBB978_167
.LBB978_147:
                                        ; implicit-def: $sgpr4_sgpr5
                                        ; implicit-def: $vgpr52
                                        ; implicit-def: $vgpr53
                                        ; implicit-def: $vgpr54
                                        ; implicit-def: $vgpr55
                                        ; implicit-def: $vgpr56
                                        ; implicit-def: $vgpr57
                                        ; implicit-def: $vgpr58
                                        ; implicit-def: $vgpr59
                                        ; implicit-def: $vgpr60
                                        ; implicit-def: $vgpr61
                                        ; implicit-def: $vgpr62
                                        ; implicit-def: $vgpr63
                                        ; implicit-def: $vgpr64
                                        ; implicit-def: $vgpr65
	s_cbranch_execz .LBB978_144
; %bb.148:
	v_mov_b32_e32 v3, 0
	v_cmp_gt_u64_e32 vcc, s[42:43], v[2:3]
	v_cmp_ne_u32_e64 s[4:5], v11, v1
	s_and_b64 s[4:5], vcc, s[4:5]
	v_mov_b32_e32 v43, v3
	v_cndmask_b32_e64 v52, 0, 1, s[4:5]
	v_cmp_gt_u64_e32 vcc, s[42:43], v[42:43]
	v_cmp_ne_u32_e64 s[4:5], v10, v11
	s_and_b64 s[4:5], vcc, s[4:5]
	v_mov_b32_e32 v41, v3
	v_cndmask_b32_e64 v53, 0, 1, s[4:5]
	;; [unrolled: 5-line block ×13, first 2 shown]
	v_cmp_gt_u64_e32 vcc, s[42:43], v[4:5]
	v_cmp_ne_u32_e64 s[4:5], v22, v23
	s_and_b64 s[4:5], vcc, s[4:5]
	s_mov_b32 s10, 1
	v_cndmask_b32_e64 v65, 0, 1, s[4:5]
	ds_write_b32 v81, v1
	s_waitcnt lgkmcnt(0)
	s_barrier
	s_waitcnt lgkmcnt(0)
                                        ; implicit-def: $sgpr4_sgpr5
	s_and_saveexec_b64 s[6:7], s[2:3]
	s_cbranch_execz .LBB978_187
; %bb.149:
	v_add_u32_e32 v2, -4, v81
	ds_read_b32 v4, v2
	v_mul_u32_u24_e32 v2, 15, v0
	v_cmp_gt_u64_e32 vcc, s[42:43], v[2:3]
	s_or_b64 s[56:57], s[56:57], exec
	s_waitcnt lgkmcnt(0)
	v_cmp_ne_u32_e64 s[2:3], v4, v22
	s_and_b64 s[2:3], vcc, s[2:3]
	s_and_b64 s[4:5], s[2:3], exec
	s_or_b64 exec, exec, s[6:7]
	v_mov_b32_e32 v82, s10
	s_and_saveexec_b64 s[2:3], s[56:57]
	s_cbranch_execz .LBB978_78
	s_branch .LBB978_77
.LBB978_150:
	s_or_b64 exec, exec, s[36:37]
	s_and_saveexec_b64 s[20:21], s[26:27]
	s_cbranch_execz .LBB978_124
.LBB978_151:
	v_sub_u32_e32 v5, v48, v6
	v_lshlrev_b32_e32 v5, 2, v5
	ds_write_b32 v5, v23
	s_or_b64 exec, exec, s[20:21]
	s_and_saveexec_b64 s[20:21], s[24:25]
	s_cbranch_execnz .LBB978_125
.LBB978_152:
	s_or_b64 exec, exec, s[20:21]
	s_and_saveexec_b64 s[20:21], s[22:23]
	s_cbranch_execz .LBB978_126
.LBB978_153:
	v_sub_u32_e32 v5, v44, v6
	v_lshlrev_b32_e32 v5, 2, v5
	ds_write_b32 v5, v21
	s_or_b64 exec, exec, s[20:21]
	s_and_saveexec_b64 s[20:21], s[18:19]
	s_cbranch_execnz .LBB978_127
.LBB978_154:
	s_or_b64 exec, exec, s[20:21]
	s_and_saveexec_b64 s[18:19], s[16:17]
	s_cbranch_execz .LBB978_128
.LBB978_155:
	v_sub_u32_e32 v5, v40, v6
	v_lshlrev_b32_e32 v5, 2, v5
	ds_write_b32 v5, v19
	s_or_b64 exec, exec, s[18:19]
	s_and_saveexec_b64 s[16:17], s[14:15]
	s_cbranch_execnz .LBB978_129
.LBB978_156:
	s_or_b64 exec, exec, s[16:17]
	s_and_saveexec_b64 s[14:15], s[12:13]
	s_cbranch_execz .LBB978_130
.LBB978_157:
	v_sub_u32_e32 v5, v36, v6
	v_lshlrev_b32_e32 v5, 2, v5
	ds_write_b32 v5, v17
	s_or_b64 exec, exec, s[14:15]
	s_and_saveexec_b64 s[12:13], s[10:11]
	s_cbranch_execnz .LBB978_131
.LBB978_158:
	s_or_b64 exec, exec, s[12:13]
	s_and_saveexec_b64 s[10:11], s[8:9]
	s_cbranch_execz .LBB978_132
.LBB978_159:
	v_sub_u32_e32 v5, v32, v6
	v_lshlrev_b32_e32 v5, 2, v5
	ds_write_b32 v5, v15
	s_or_b64 exec, exec, s[10:11]
	s_and_saveexec_b64 s[8:9], s[6:7]
	s_cbranch_execnz .LBB978_133
.LBB978_160:
	s_or_b64 exec, exec, s[8:9]
	s_and_saveexec_b64 s[6:7], s[4:5]
	s_cbranch_execz .LBB978_134
.LBB978_161:
	v_sub_u32_e32 v5, v28, v6
	v_lshlrev_b32_e32 v5, 2, v5
	ds_write_b32 v5, v13
	s_or_b64 exec, exec, s[6:7]
	s_and_saveexec_b64 s[4:5], s[2:3]
	s_cbranch_execnz .LBB978_135
.LBB978_162:
	s_or_b64 exec, exec, s[4:5]
	v_cmp_ne_u32_e64 s[2:3], 0, v52
	s_and_saveexec_b64 s[4:5], vcc
	s_cbranch_execz .LBB978_164
.LBB978_163:
	v_sub_u32_e32 v5, v8, v6
	v_lshlrev_b32_e32 v5, 2, v5
	ds_write_b32 v5, v11
.LBB978_164:
	s_or_b64 exec, exec, s[4:5]
	s_and_b64 s[36:37], s[2:3], exec
                                        ; implicit-def: $vgpr10
                                        ; implicit-def: $vgpr12
                                        ; implicit-def: $vgpr14
                                        ; implicit-def: $vgpr16
                                        ; implicit-def: $vgpr18
                                        ; implicit-def: $vgpr20
                                        ; implicit-def: $vgpr22
	s_andn2_saveexec_b64 s[2:3], s[28:29]
	s_cbranch_execnz .LBB978_146
.LBB978_165:
	s_or_b64 exec, exec, s[2:3]
	s_and_b64 exec, exec, s[36:37]
	s_cbranch_execz .LBB978_167
.LBB978_166:
	v_sub_u32_e32 v5, v2, v6
	v_lshlrev_b32_e32 v5, 2, v5
	ds_write_b32 v5, v1
.LBB978_167:
	s_or_b64 exec, exec, s[30:31]
	s_waitcnt lgkmcnt(0)
	s_barrier
.LBB978_168:
	s_cmpk_lg_i32 s33, 0xf00
	s_cselect_b64 s[2:3], -1, 0
	s_and_b64 s[0:1], s[0:1], s[34:35]
	v_cndmask_b32_e64 v11, v82, 0, s[0:1]
	s_mul_hi_u32 s0, s33, 0x88888889
	s_lshr_b32 s0, s0, 3
	v_mad_i32_i24 v12, v0, -15, s33
	v_cmp_eq_u32_e32 vcc, s0, v0
	v_cmp_ne_u32_e64 s[0:1], 0, v12
	v_cndmask_b32_e64 v13, 1, v11, s[0:1]
	v_cmp_ne_u32_e64 s[0:1], 1, v12
	v_cndmask_b32_e64 v14, 1, v65, s[0:1]
	;; [unrolled: 2-line block ×15, first 2 shown]
	s_and_b64 vcc, vcc, s[40:41]
	v_cndmask_b32_e32 v52, v52, v12, vcc
	v_cndmask_b32_e32 v20, v59, v20, vcc
	;; [unrolled: 1-line block ×3, first 2 shown]
	s_waitcnt vmcnt(0)
	v_lshlrev_b64 v[12:13], 1, v[24:25]
	v_mov_b32_e32 v7, 0
	v_cndmask_b32_e32 v53, v53, v68, vcc
	v_cndmask_b32_e32 v54, v54, v67, vcc
	;; [unrolled: 1-line block ×12, first 2 shown]
	v_mov_b32_e32 v11, s45
	v_add_co_u32_e32 v14, vcc, s44, v12
	v_addc_co_u32_e32 v11, vcc, v11, v13, vcc
	v_lshlrev_b64 v[12:13], 1, v[6:7]
	v_cndmask_b32_e64 v1, 0, 1, s[34:35]
	v_add_co_u32_e32 v7, vcc, v14, v12
	v_addc_co_u32_e32 v14, vcc, v11, v13, vcc
	v_lshlrev_b32_e32 v11, 1, v1
	v_add_co_u32_e32 v11, vcc, v11, v7
	v_addc_co_u32_e32 v12, vcc, 0, v14, vcc
	v_add_co_u32_e32 v15, vcc, -2, v11
	v_addc_co_u32_e32 v16, vcc, -1, v12, vcc
	v_cmp_eq_u32_e32 vcc, 0, v59
	v_cndmask_b32_e64 v12, 1, 2, vcc
	v_cmp_eq_u32_e32 vcc, 0, v58
	v_cndmask_b32_e64 v13, 1, 2, vcc
	v_cmp_eq_u32_e32 vcc, 0, v57
	v_and_b32_e32 v12, v13, v12
	v_cndmask_b32_e64 v13, 1, 2, vcc
	v_cmp_eq_u32_e32 vcc, 0, v56
	v_and_b32_e32 v12, v12, v13
	;; [unrolled: 3-line block ×10, first 2 shown]
	v_cndmask_b32_e64 v13, 1, 2, vcc
	v_cmp_eq_u32_e32 vcc, 0, v54
	s_and_b64 s[2:3], s[2:3], s[40:41]
	v_and_b32_e32 v12, v12, v13
	v_cndmask_b32_e64 v13, 1, 2, vcc
	v_cmp_eq_u32_e32 vcc, 0, v53
	v_sub_u32_e32 v5, v4, v1
	v_cndmask_b32_e64 v10, 0, 1, s[2:3]
	v_and_b32_e32 v12, v12, v13
	v_cndmask_b32_e64 v13, 1, 2, vcc
	v_cmp_eq_u32_e32 vcc, 0, v52
	v_add_u32_e32 v5, v5, v10
	v_and_b32_e32 v12, v12, v13
	v_cndmask_b32_e64 v13, 1, 2, vcc
	v_and_b32_e32 v12, v12, v13
	v_cmp_gt_u32_e32 vcc, s38, v5
	v_add_u32_e32 v11, v6, v1
	v_cmp_ne_u32_e64 s[28:29], 0, v59
	v_cmp_ne_u32_e64 s[26:27], 0, v58
	;; [unrolled: 1-line block ×15, first 2 shown]
	s_mov_b64 s[34:35], -1
	v_cmp_gt_i16_e64 s[30:31], 2, v12
	s_barrier
	s_cbranch_vccz .LBB978_206
; %bb.169:
	s_and_saveexec_b64 s[34:35], s[30:31]
	s_cbranch_execz .LBB978_205
; %bb.170:
	v_cmp_ne_u16_e32 vcc, 1, v12
	s_mov_b64 s[36:37], 0
	s_and_saveexec_b64 s[30:31], vcc
	s_xor_b64 s[30:31], exec, s[30:31]
	s_cbranch_execz .LBB978_185
; %bb.171:
	s_and_saveexec_b64 s[36:37], s[28:29]
	s_cbranch_execz .LBB978_188
; %bb.172:
	v_sub_u32_e32 v18, v50, v11
	v_mov_b32_e32 v19, 0
	v_lshlrev_b64 v[18:19], 1, v[18:19]
	v_add_co_u32_e32 v18, vcc, v15, v18
	v_addc_co_u32_e32 v19, vcc, v16, v19, vcc
	global_store_short v[18:19], v51, off
	s_or_b64 exec, exec, s[36:37]
	s_and_saveexec_b64 s[36:37], s[26:27]
	s_cbranch_execnz .LBB978_189
.LBB978_173:
	s_or_b64 exec, exec, s[36:37]
	s_and_saveexec_b64 s[36:37], s[24:25]
	s_cbranch_execz .LBB978_190
.LBB978_174:
	v_sub_u32_e32 v18, v46, v11
	v_mov_b32_e32 v19, 0
	v_lshlrev_b64 v[18:19], 1, v[18:19]
	v_add_co_u32_e32 v18, vcc, v15, v18
	v_addc_co_u32_e32 v19, vcc, v16, v19, vcc
	global_store_short v[18:19], v47, off
	s_or_b64 exec, exec, s[36:37]
	s_and_saveexec_b64 s[36:37], s[22:23]
	s_cbranch_execnz .LBB978_191
.LBB978_175:
	s_or_b64 exec, exec, s[36:37]
	s_and_saveexec_b64 s[36:37], s[20:21]
	s_cbranch_execz .LBB978_192
.LBB978_176:
	v_sub_u32_e32 v18, v42, v11
	v_mov_b32_e32 v19, 0
	v_lshlrev_b64 v[18:19], 1, v[18:19]
	v_add_co_u32_e32 v18, vcc, v15, v18
	v_addc_co_u32_e32 v19, vcc, v16, v19, vcc
	global_store_short v[18:19], v43, off
	s_or_b64 exec, exec, s[36:37]
	s_and_saveexec_b64 s[36:37], s[18:19]
	s_cbranch_execnz .LBB978_193
.LBB978_177:
	s_or_b64 exec, exec, s[36:37]
	s_and_saveexec_b64 s[36:37], s[16:17]
	s_cbranch_execz .LBB978_194
.LBB978_178:
	v_sub_u32_e32 v18, v38, v11
	v_mov_b32_e32 v19, 0
	v_lshlrev_b64 v[18:19], 1, v[18:19]
	v_add_co_u32_e32 v18, vcc, v15, v18
	v_addc_co_u32_e32 v19, vcc, v16, v19, vcc
	global_store_short v[18:19], v39, off
	s_or_b64 exec, exec, s[36:37]
	s_and_saveexec_b64 s[36:37], s[14:15]
	s_cbranch_execnz .LBB978_195
.LBB978_179:
	s_or_b64 exec, exec, s[36:37]
	s_and_saveexec_b64 s[36:37], s[12:13]
	s_cbranch_execz .LBB978_196
.LBB978_180:
	v_sub_u32_e32 v18, v34, v11
	v_mov_b32_e32 v19, 0
	v_lshlrev_b64 v[18:19], 1, v[18:19]
	v_add_co_u32_e32 v18, vcc, v15, v18
	v_addc_co_u32_e32 v19, vcc, v16, v19, vcc
	global_store_short v[18:19], v35, off
	s_or_b64 exec, exec, s[36:37]
	s_and_saveexec_b64 s[36:37], s[10:11]
	s_cbranch_execnz .LBB978_197
.LBB978_181:
	s_or_b64 exec, exec, s[36:37]
	s_and_saveexec_b64 s[36:37], s[8:9]
	s_cbranch_execz .LBB978_198
.LBB978_182:
	v_sub_u32_e32 v18, v30, v11
	v_mov_b32_e32 v19, 0
	v_lshlrev_b64 v[18:19], 1, v[18:19]
	v_add_co_u32_e32 v18, vcc, v15, v18
	v_addc_co_u32_e32 v19, vcc, v16, v19, vcc
	global_store_short v[18:19], v31, off
	s_or_b64 exec, exec, s[36:37]
	s_and_saveexec_b64 s[36:37], s[6:7]
	s_cbranch_execnz .LBB978_199
.LBB978_183:
	s_or_b64 exec, exec, s[36:37]
	s_and_saveexec_b64 s[36:37], s[4:5]
	s_cbranch_execz .LBB978_200
.LBB978_184:
	v_sub_u32_e32 v18, v26, v11
	v_mov_b32_e32 v19, 0
	v_lshlrev_b64 v[18:19], 1, v[18:19]
	v_add_co_u32_e32 v18, vcc, v15, v18
	v_addc_co_u32_e32 v19, vcc, v16, v19, vcc
	global_store_short v[18:19], v27, off
	s_or_b64 exec, exec, s[36:37]
	s_and_saveexec_b64 s[36:37], s[2:3]
	s_cbranch_execnz .LBB978_201
	s_branch .LBB978_202
.LBB978_185:
	s_andn2_saveexec_b64 s[30:31], s[30:31]
	s_cbranch_execz .LBB978_203
.LBB978_186:
	v_sub_u32_e32 v18, v50, v11
	v_mov_b32_e32 v19, 0
	v_lshlrev_b64 v[20:21], 1, v[18:19]
	v_add_co_u32_e32 v20, vcc, v15, v20
	v_addc_co_u32_e32 v21, vcc, v16, v21, vcc
	v_sub_u32_e32 v18, v48, v11
	global_store_short v[20:21], v51, off
	v_lshlrev_b64 v[20:21], 1, v[18:19]
	v_add_co_u32_e32 v20, vcc, v15, v20
	v_addc_co_u32_e32 v21, vcc, v16, v21, vcc
	v_sub_u32_e32 v18, v46, v11
	global_store_short v[20:21], v49, off
	;; [unrolled: 5-line block ×12, first 2 shown]
	v_lshlrev_b64 v[20:21], 1, v[18:19]
	v_add_co_u32_e32 v20, vcc, v15, v20
	v_sub_u32_e32 v18, v8, v11
	v_addc_co_u32_e32 v21, vcc, v16, v21, vcc
	v_lshlrev_b64 v[18:19], 1, v[18:19]
	v_add_co_u32_e32 v18, vcc, v15, v18
	v_addc_co_u32_e32 v19, vcc, v16, v19, vcc
	s_or_b64 s[36:37], s[36:37], exec
	global_store_short v[20:21], v27, off
	global_store_short v[18:19], v9, off
	s_or_b64 exec, exec, s[30:31]
	s_and_b64 exec, exec, s[36:37]
	s_cbranch_execnz .LBB978_204
	s_branch .LBB978_205
.LBB978_187:
	s_or_b64 exec, exec, s[6:7]
	v_mov_b32_e32 v82, s10
	s_and_saveexec_b64 s[2:3], s[56:57]
	s_cbranch_execnz .LBB978_77
	s_branch .LBB978_78
.LBB978_188:
	s_or_b64 exec, exec, s[36:37]
	s_and_saveexec_b64 s[36:37], s[26:27]
	s_cbranch_execz .LBB978_173
.LBB978_189:
	v_sub_u32_e32 v18, v48, v11
	v_mov_b32_e32 v19, 0
	v_lshlrev_b64 v[18:19], 1, v[18:19]
	v_add_co_u32_e32 v18, vcc, v15, v18
	v_addc_co_u32_e32 v19, vcc, v16, v19, vcc
	global_store_short v[18:19], v49, off
	s_or_b64 exec, exec, s[36:37]
	s_and_saveexec_b64 s[36:37], s[24:25]
	s_cbranch_execnz .LBB978_174
.LBB978_190:
	s_or_b64 exec, exec, s[36:37]
	s_and_saveexec_b64 s[36:37], s[22:23]
	s_cbranch_execz .LBB978_175
.LBB978_191:
	v_sub_u32_e32 v18, v44, v11
	v_mov_b32_e32 v19, 0
	v_lshlrev_b64 v[18:19], 1, v[18:19]
	v_add_co_u32_e32 v18, vcc, v15, v18
	v_addc_co_u32_e32 v19, vcc, v16, v19, vcc
	global_store_short v[18:19], v45, off
	s_or_b64 exec, exec, s[36:37]
	s_and_saveexec_b64 s[36:37], s[20:21]
	s_cbranch_execnz .LBB978_176
.LBB978_192:
	s_or_b64 exec, exec, s[36:37]
	s_and_saveexec_b64 s[36:37], s[18:19]
	s_cbranch_execz .LBB978_177
.LBB978_193:
	v_sub_u32_e32 v18, v40, v11
	v_mov_b32_e32 v19, 0
	v_lshlrev_b64 v[18:19], 1, v[18:19]
	v_add_co_u32_e32 v18, vcc, v15, v18
	v_addc_co_u32_e32 v19, vcc, v16, v19, vcc
	global_store_short v[18:19], v41, off
	s_or_b64 exec, exec, s[36:37]
	s_and_saveexec_b64 s[36:37], s[16:17]
	s_cbranch_execnz .LBB978_178
.LBB978_194:
	s_or_b64 exec, exec, s[36:37]
	s_and_saveexec_b64 s[36:37], s[14:15]
	s_cbranch_execz .LBB978_179
.LBB978_195:
	v_sub_u32_e32 v18, v36, v11
	v_mov_b32_e32 v19, 0
	v_lshlrev_b64 v[18:19], 1, v[18:19]
	v_add_co_u32_e32 v18, vcc, v15, v18
	v_addc_co_u32_e32 v19, vcc, v16, v19, vcc
	global_store_short v[18:19], v37, off
	s_or_b64 exec, exec, s[36:37]
	s_and_saveexec_b64 s[36:37], s[12:13]
	s_cbranch_execnz .LBB978_180
.LBB978_196:
	s_or_b64 exec, exec, s[36:37]
	s_and_saveexec_b64 s[36:37], s[10:11]
	s_cbranch_execz .LBB978_181
.LBB978_197:
	v_sub_u32_e32 v18, v32, v11
	v_mov_b32_e32 v19, 0
	v_lshlrev_b64 v[18:19], 1, v[18:19]
	v_add_co_u32_e32 v18, vcc, v15, v18
	v_addc_co_u32_e32 v19, vcc, v16, v19, vcc
	global_store_short v[18:19], v33, off
	s_or_b64 exec, exec, s[36:37]
	s_and_saveexec_b64 s[36:37], s[8:9]
	s_cbranch_execnz .LBB978_182
.LBB978_198:
	s_or_b64 exec, exec, s[36:37]
	s_and_saveexec_b64 s[36:37], s[6:7]
	s_cbranch_execz .LBB978_183
.LBB978_199:
	v_sub_u32_e32 v18, v28, v11
	v_mov_b32_e32 v19, 0
	v_lshlrev_b64 v[18:19], 1, v[18:19]
	v_add_co_u32_e32 v18, vcc, v15, v18
	v_addc_co_u32_e32 v19, vcc, v16, v19, vcc
	global_store_short v[18:19], v29, off
	s_or_b64 exec, exec, s[36:37]
	s_and_saveexec_b64 s[36:37], s[4:5]
	s_cbranch_execnz .LBB978_184
.LBB978_200:
	s_or_b64 exec, exec, s[36:37]
	s_and_saveexec_b64 s[36:37], s[2:3]
	s_cbranch_execz .LBB978_202
.LBB978_201:
	v_sub_u32_e32 v18, v8, v11
	v_mov_b32_e32 v19, 0
	v_lshlrev_b64 v[18:19], 1, v[18:19]
	v_add_co_u32_e32 v18, vcc, v15, v18
	v_addc_co_u32_e32 v19, vcc, v16, v19, vcc
	global_store_short v[18:19], v9, off
.LBB978_202:
	s_or_b64 exec, exec, s[36:37]
	s_and_b64 s[36:37], s[0:1], exec
	s_andn2_saveexec_b64 s[30:31], s[30:31]
	s_cbranch_execnz .LBB978_186
.LBB978_203:
	s_or_b64 exec, exec, s[30:31]
	s_and_b64 exec, exec, s[36:37]
	s_cbranch_execz .LBB978_205
.LBB978_204:
	v_sub_u32_e32 v18, v2, v11
	v_mov_b32_e32 v19, 0
	v_lshlrev_b64 v[18:19], 1, v[18:19]
	v_add_co_u32_e32 v18, vcc, v15, v18
	v_addc_co_u32_e32 v19, vcc, v16, v19, vcc
	global_store_short v[18:19], v3, off
.LBB978_205:
	s_or_b64 exec, exec, s[34:35]
	s_mov_b64 s[34:35], 0
.LBB978_206:
	s_and_b64 vcc, exec, s[34:35]
	s_cbranch_vccz .LBB978_258
; %bb.207:
	v_cmp_gt_i16_e32 vcc, 2, v12
	s_and_saveexec_b64 s[30:31], vcc
	s_cbranch_execz .LBB978_242
; %bb.208:
	v_cmp_ne_u16_e32 vcc, 1, v12
	s_mov_b64 s[36:37], 0
	s_and_saveexec_b64 s[34:35], vcc
	s_xor_b64 s[34:35], exec, s[34:35]
	s_cbranch_execz .LBB978_223
; %bb.209:
	s_and_saveexec_b64 s[36:37], s[28:29]
	s_cbranch_execz .LBB978_225
; %bb.210:
	v_sub_u32_e32 v12, v50, v11
	v_lshlrev_b32_e32 v12, 1, v12
	ds_write_b16 v12, v51
	s_or_b64 exec, exec, s[36:37]
	s_and_saveexec_b64 s[28:29], s[26:27]
	s_cbranch_execnz .LBB978_226
.LBB978_211:
	s_or_b64 exec, exec, s[28:29]
	s_and_saveexec_b64 s[26:27], s[24:25]
	s_cbranch_execz .LBB978_227
.LBB978_212:
	v_sub_u32_e32 v12, v46, v11
	v_lshlrev_b32_e32 v12, 1, v12
	ds_write_b16 v12, v47
	s_or_b64 exec, exec, s[26:27]
	s_and_saveexec_b64 s[24:25], s[22:23]
	s_cbranch_execnz .LBB978_228
.LBB978_213:
	s_or_b64 exec, exec, s[24:25]
	s_and_saveexec_b64 s[22:23], s[20:21]
	s_cbranch_execz .LBB978_229
.LBB978_214:
	v_sub_u32_e32 v12, v42, v11
	v_lshlrev_b32_e32 v12, 1, v12
	ds_write_b16 v12, v43
	s_or_b64 exec, exec, s[22:23]
	s_and_saveexec_b64 s[20:21], s[18:19]
	s_cbranch_execnz .LBB978_230
.LBB978_215:
	s_or_b64 exec, exec, s[20:21]
	s_and_saveexec_b64 s[18:19], s[16:17]
	s_cbranch_execz .LBB978_231
.LBB978_216:
	v_sub_u32_e32 v12, v38, v11
	v_lshlrev_b32_e32 v12, 1, v12
	ds_write_b16 v12, v39
	s_or_b64 exec, exec, s[18:19]
	s_and_saveexec_b64 s[16:17], s[14:15]
	s_cbranch_execnz .LBB978_232
.LBB978_217:
	s_or_b64 exec, exec, s[16:17]
	s_and_saveexec_b64 s[14:15], s[12:13]
	s_cbranch_execz .LBB978_233
.LBB978_218:
	v_sub_u32_e32 v12, v34, v11
	v_lshlrev_b32_e32 v12, 1, v12
	ds_write_b16 v12, v35
	s_or_b64 exec, exec, s[14:15]
	s_and_saveexec_b64 s[12:13], s[10:11]
	s_cbranch_execnz .LBB978_234
.LBB978_219:
	s_or_b64 exec, exec, s[12:13]
	s_and_saveexec_b64 s[10:11], s[8:9]
	s_cbranch_execz .LBB978_235
.LBB978_220:
	v_sub_u32_e32 v12, v30, v11
	v_lshlrev_b32_e32 v12, 1, v12
	ds_write_b16 v12, v31
	s_or_b64 exec, exec, s[10:11]
	s_and_saveexec_b64 s[8:9], s[6:7]
	s_cbranch_execnz .LBB978_236
.LBB978_221:
	s_or_b64 exec, exec, s[8:9]
	s_and_saveexec_b64 s[6:7], s[4:5]
	s_cbranch_execz .LBB978_237
.LBB978_222:
	v_sub_u32_e32 v12, v26, v11
	v_lshlrev_b32_e32 v12, 1, v12
	ds_write_b16 v12, v27
	s_or_b64 exec, exec, s[6:7]
	s_and_saveexec_b64 s[4:5], s[2:3]
	s_cbranch_execnz .LBB978_238
	s_branch .LBB978_239
.LBB978_223:
	s_andn2_saveexec_b64 s[0:1], s[34:35]
	s_cbranch_execz .LBB978_240
.LBB978_224:
	v_sub_u32_e32 v12, v50, v11
	v_lshlrev_b32_e32 v12, 1, v12
	ds_write_b16 v12, v51
	v_sub_u32_e32 v12, v48, v11
	v_lshlrev_b32_e32 v12, 1, v12
	ds_write_b16 v12, v49
	;; [unrolled: 3-line block ×12, first 2 shown]
	v_sub_u32_e32 v12, v26, v11
	v_sub_u32_e32 v8, v8, v11
	v_lshlrev_b32_e32 v12, 1, v12
	v_lshlrev_b32_e32 v8, 1, v8
	s_or_b64 s[36:37], s[36:37], exec
	ds_write_b16 v12, v27
	ds_write_b16 v8, v9
	s_or_b64 exec, exec, s[0:1]
	s_and_b64 exec, exec, s[36:37]
	s_cbranch_execnz .LBB978_241
	s_branch .LBB978_242
.LBB978_225:
	s_or_b64 exec, exec, s[36:37]
	s_and_saveexec_b64 s[28:29], s[26:27]
	s_cbranch_execz .LBB978_211
.LBB978_226:
	v_sub_u32_e32 v12, v48, v11
	v_lshlrev_b32_e32 v12, 1, v12
	ds_write_b16 v12, v49
	s_or_b64 exec, exec, s[28:29]
	s_and_saveexec_b64 s[26:27], s[24:25]
	s_cbranch_execnz .LBB978_212
.LBB978_227:
	s_or_b64 exec, exec, s[26:27]
	s_and_saveexec_b64 s[24:25], s[22:23]
	s_cbranch_execz .LBB978_213
.LBB978_228:
	v_sub_u32_e32 v12, v44, v11
	v_lshlrev_b32_e32 v12, 1, v12
	ds_write_b16 v12, v45
	s_or_b64 exec, exec, s[24:25]
	s_and_saveexec_b64 s[22:23], s[20:21]
	s_cbranch_execnz .LBB978_214
.LBB978_229:
	s_or_b64 exec, exec, s[22:23]
	s_and_saveexec_b64 s[20:21], s[18:19]
	s_cbranch_execz .LBB978_215
.LBB978_230:
	v_sub_u32_e32 v12, v40, v11
	v_lshlrev_b32_e32 v12, 1, v12
	ds_write_b16 v12, v41
	s_or_b64 exec, exec, s[20:21]
	s_and_saveexec_b64 s[18:19], s[16:17]
	s_cbranch_execnz .LBB978_216
.LBB978_231:
	s_or_b64 exec, exec, s[18:19]
	s_and_saveexec_b64 s[16:17], s[14:15]
	s_cbranch_execz .LBB978_217
.LBB978_232:
	v_sub_u32_e32 v12, v36, v11
	v_lshlrev_b32_e32 v12, 1, v12
	ds_write_b16 v12, v37
	s_or_b64 exec, exec, s[16:17]
	s_and_saveexec_b64 s[14:15], s[12:13]
	s_cbranch_execnz .LBB978_218
.LBB978_233:
	s_or_b64 exec, exec, s[14:15]
	s_and_saveexec_b64 s[12:13], s[10:11]
	s_cbranch_execz .LBB978_219
.LBB978_234:
	v_sub_u32_e32 v12, v32, v11
	v_lshlrev_b32_e32 v12, 1, v12
	ds_write_b16 v12, v33
	s_or_b64 exec, exec, s[12:13]
	s_and_saveexec_b64 s[10:11], s[8:9]
	s_cbranch_execnz .LBB978_220
.LBB978_235:
	s_or_b64 exec, exec, s[10:11]
	s_and_saveexec_b64 s[8:9], s[6:7]
	s_cbranch_execz .LBB978_221
.LBB978_236:
	v_sub_u32_e32 v12, v28, v11
	v_lshlrev_b32_e32 v12, 1, v12
	ds_write_b16 v12, v29
	s_or_b64 exec, exec, s[8:9]
	s_and_saveexec_b64 s[6:7], s[4:5]
	s_cbranch_execnz .LBB978_222
.LBB978_237:
	s_or_b64 exec, exec, s[6:7]
	s_and_saveexec_b64 s[4:5], s[2:3]
	s_cbranch_execz .LBB978_239
.LBB978_238:
	v_sub_u32_e32 v8, v8, v11
	v_lshlrev_b32_e32 v8, 1, v8
	ds_write_b16 v8, v9
.LBB978_239:
	s_or_b64 exec, exec, s[4:5]
	s_and_b64 s[36:37], s[0:1], exec
                                        ; implicit-def: $vgpr50_vgpr51
                                        ; implicit-def: $vgpr48_vgpr49
                                        ; implicit-def: $vgpr46_vgpr47
                                        ; implicit-def: $vgpr44_vgpr45
                                        ; implicit-def: $vgpr42_vgpr43
                                        ; implicit-def: $vgpr40_vgpr41
                                        ; implicit-def: $vgpr38_vgpr39
                                        ; implicit-def: $vgpr36_vgpr37
                                        ; implicit-def: $vgpr34_vgpr35
                                        ; implicit-def: $vgpr32_vgpr33
                                        ; implicit-def: $vgpr30_vgpr31
                                        ; implicit-def: $vgpr28_vgpr29
                                        ; implicit-def: $vgpr26_vgpr27
                                        ; implicit-def: $vgpr8_vgpr9
	s_andn2_saveexec_b64 s[0:1], s[34:35]
	s_cbranch_execnz .LBB978_224
.LBB978_240:
	s_or_b64 exec, exec, s[0:1]
	s_and_b64 exec, exec, s[36:37]
	s_cbranch_execz .LBB978_242
.LBB978_241:
	v_sub_u32_e32 v2, v2, v11
	v_lshlrev_b32_e32 v2, 1, v2
	ds_write_b16 v2, v3
.LBB978_242:
	s_or_b64 exec, exec, s[30:31]
	v_cmp_lt_u32_e32 vcc, v0, v5
	s_waitcnt lgkmcnt(0)
	s_barrier
	s_and_saveexec_b64 s[2:3], vcc
	s_cbranch_execz .LBB978_257
; %bb.243:
	v_add_u32_e32 v8, v4, v10
	v_xad_u32 v2, v0, -1, v8
	v_sub_u32_e32 v3, v2, v1
	s_movk_i32 s0, 0x1b00
	v_cmp_gt_u32_e64 s[4:5], s0, v3
	s_movk_i32 s0, 0x1aff
	v_cmp_lt_u32_e32 vcc, s0, v3
	v_mov_b32_e32 v2, v0
	s_and_saveexec_b64 s[6:7], vcc
	s_cbranch_execz .LBB978_254
; %bb.244:
	v_sub_u32_e32 v2, v0, v8
	v_add_u32_e32 v1, v2, v1
	v_or_b32_e32 v1, 0xff, v1
	v_cmp_ge_u32_e32 vcc, v1, v0
	s_mov_b64 s[0:1], -1
	v_mov_b32_e32 v2, v0
	s_and_saveexec_b64 s[8:9], vcc
	s_cbranch_execz .LBB978_253
; %bb.245:
	v_lshrrev_b32_e32 v17, 8, v3
	v_add_u32_e32 v8, -3, v17
	v_or_b32_e32 v3, 0x300, v0
	v_or_b32_e32 v2, 0x200, v0
	v_lshrrev_b32_e32 v9, 2, v8
	v_or_b32_e32 v1, 0x100, v0
	v_add_u32_e32 v19, 1, v9
	v_cmp_lt_u32_e32 vcc, 11, v8
	v_pk_mov_b32 v[10:11], v[2:3], v[2:3] op_sel:[0,1]
	v_mov_b32_e32 v22, 0
	v_lshlrev_b32_e32 v18, 1, v0
	v_pk_mov_b32 v[8:9], v[0:1], v[0:1] op_sel:[0,1]
	s_and_saveexec_b64 s[10:11], vcc
	s_cbranch_execz .LBB978_249
; %bb.246:
	v_pk_mov_b32 v[10:11], v[2:3], v[2:3] op_sel:[0,1]
	v_and_b32_e32 v20, 0x7ffffffc, v19
	s_mov_b32 s14, 0
	s_mov_b64 s[12:13], 0
	v_mov_b32_e32 v13, 0
	v_mov_b32_e32 v21, v18
	v_pk_mov_b32 v[8:9], v[0:1], v[0:1] op_sel:[0,1]
.LBB978_247:                            ; =>This Inner Loop Header: Depth=1
	v_mov_b32_e32 v12, v8
	v_lshlrev_b64 v[40:41], 1, v[12:13]
	v_add_u32_e32 v26, 0x400, v9
	v_mov_b32_e32 v27, v13
	v_add_co_u32_e64 v40, s[0:1], v15, v40
	v_lshlrev_b64 v[26:27], 1, v[26:27]
	v_addc_co_u32_e64 v41, s[0:1], v16, v41, s[0:1]
	v_add_u32_e32 v22, 0x400, v10
	v_mov_b32_e32 v23, v13
	v_add_co_u32_e64 v26, s[0:1], v15, v26
	v_lshlrev_b64 v[42:43], 1, v[22:23]
	v_addc_co_u32_e64 v27, s[0:1], v16, v27, s[0:1]
	v_add_u32_e32 v2, 0x400, v11
	v_mov_b32_e32 v3, v13
	v_add_co_u32_e64 v42, s[0:1], v15, v42
	v_add_u32_e32 v20, -4, v20
	v_mov_b32_e32 v12, v9
	v_lshlrev_b64 v[2:3], 1, v[2:3]
	v_addc_co_u32_e64 v43, s[0:1], v16, v43, s[0:1]
	v_add_u32_e32 v32, 0x800, v9
	v_mov_b32_e32 v33, v13
	s_add_i32 s14, s14, 16
	v_cmp_eq_u32_e32 vcc, 0, v20
	v_lshlrev_b64 v[44:45], 1, v[12:13]
	v_add_co_u32_e64 v2, s[0:1], v15, v2
	v_lshlrev_b64 v[32:33], 1, v[32:33]
	v_mov_b32_e32 v12, v10
	v_addc_co_u32_e64 v3, s[0:1], v16, v3, s[0:1]
	s_or_b64 s[12:13], vcc, s[12:13]
	v_add_co_u32_e32 v44, vcc, v15, v44
	v_add_u32_e32 v30, 0x800, v10
	v_mov_b32_e32 v31, v13
	v_add_co_u32_e64 v32, s[0:1], v15, v32
	v_addc_co_u32_e32 v45, vcc, v16, v45, vcc
	v_lshlrev_b64 v[46:47], 1, v[12:13]
	v_lshlrev_b64 v[30:31], 1, v[30:31]
	v_addc_co_u32_e64 v33, s[0:1], v16, v33, s[0:1]
	v_mov_b32_e32 v12, v11
	v_add_co_u32_e32 v46, vcc, v15, v46
	ds_read_u16 v1, v21
	ds_read_u16 v50, v21 offset:512
	ds_read_u16 v51, v21 offset:1024
	;; [unrolled: 1-line block ×7, first 2 shown]
	v_add_u32_e32 v28, 0x800, v11
	v_mov_b32_e32 v29, v13
	v_add_co_u32_e64 v30, s[0:1], v15, v30
	v_addc_co_u32_e32 v47, vcc, v16, v47, vcc
	v_lshlrev_b64 v[48:49], 1, v[12:13]
	v_lshlrev_b64 v[28:29], 1, v[28:29]
	v_addc_co_u32_e64 v31, s[0:1], v16, v31, s[0:1]
	v_add_u32_e32 v12, 0x400, v8
	v_add_co_u32_e32 v48, vcc, v15, v48
	v_add_u32_e32 v38, 0xc00, v9
	v_mov_b32_e32 v39, v13
	ds_read_u16 v57, v21 offset:4096
	ds_read_u16 v58, v21 offset:4608
	;; [unrolled: 1-line block ×8, first 2 shown]
	v_add_co_u32_e64 v28, s[0:1], v15, v28
	v_addc_co_u32_e32 v49, vcc, v16, v49, vcc
	s_waitcnt lgkmcnt(14)
	global_store_short v[40:41], v1, off
	global_store_short v[44:45], v50, off
	s_waitcnt lgkmcnt(13)
	global_store_short v[46:47], v51, off
	v_lshlrev_b64 v[40:41], 1, v[12:13]
	v_lshlrev_b64 v[38:39], 1, v[38:39]
	v_addc_co_u32_e64 v29, s[0:1], v16, v29, s[0:1]
	v_add_u32_e32 v12, 0x800, v8
	v_add_co_u32_e32 v40, vcc, v15, v40
	v_add_u32_e32 v36, 0xc00, v10
	v_mov_b32_e32 v37, v13
	v_add_co_u32_e64 v38, s[0:1], v15, v38
	v_addc_co_u32_e32 v41, vcc, v16, v41, vcc
	v_lshlrev_b64 v[44:45], 1, v[12:13]
	v_lshlrev_b64 v[36:37], 1, v[36:37]
	v_addc_co_u32_e64 v39, s[0:1], v16, v39, s[0:1]
	s_waitcnt lgkmcnt(12)
	global_store_short v[48:49], v52, off
	v_add_u32_e32 v12, 0xc00, v8
	s_waitcnt lgkmcnt(11)
	global_store_short v[40:41], v53, off
	s_waitcnt lgkmcnt(10)
	global_store_short v[26:27], v54, off
	;; [unrolled: 2-line block ×4, first 2 shown]
	v_add_co_u32_e32 v2, vcc, v15, v44
	v_add_u32_e32 v34, 0xc00, v11
	v_mov_b32_e32 v35, v13
	v_add_co_u32_e64 v36, s[0:1], v15, v36
	v_addc_co_u32_e32 v3, vcc, v16, v45, vcc
	v_lshlrev_b64 v[26:27], 1, v[12:13]
	v_lshlrev_b64 v[34:35], 1, v[34:35]
	v_addc_co_u32_e64 v37, s[0:1], v16, v37, s[0:1]
	s_waitcnt lgkmcnt(7)
	global_store_short v[2:3], v57, off
	s_waitcnt lgkmcnt(6)
	global_store_short v[32:33], v58, off
	;; [unrolled: 2-line block ×4, first 2 shown]
	v_add_co_u32_e32 v2, vcc, v15, v26
	v_add_u32_e32 v21, 0x2000, v21
	v_add_u32_e32 v9, 0x1000, v9
	v_mov_b32_e32 v22, s14
	v_add_co_u32_e64 v34, s[0:1], v15, v34
	v_add_u32_e32 v10, 0x1000, v10
	v_add_u32_e32 v11, 0x1000, v11
	;; [unrolled: 1-line block ×3, first 2 shown]
	v_addc_co_u32_e32 v3, vcc, v16, v27, vcc
	v_addc_co_u32_e64 v35, s[0:1], v16, v35, s[0:1]
	s_waitcnt lgkmcnt(3)
	global_store_short v[2:3], v61, off
	s_waitcnt lgkmcnt(2)
	global_store_short v[38:39], v62, off
	s_waitcnt lgkmcnt(1)
	global_store_short v[36:37], v63, off
	s_waitcnt lgkmcnt(0)
	global_store_short v[34:35], v64, off
	s_andn2_b64 exec, exec, s[12:13]
	s_cbranch_execnz .LBB978_247
; %bb.248:
	s_or_b64 exec, exec, s[12:13]
.LBB978_249:
	s_or_b64 exec, exec, s[10:11]
	v_and_b32_e32 v1, 3, v19
	v_cmp_ne_u32_e32 vcc, 0, v1
	s_and_saveexec_b64 s[10:11], vcc
	s_cbranch_execz .LBB978_252
; %bb.250:
	v_lshl_or_b32 v12, v22, 9, v18
	s_mov_b64 s[12:13], 0
	v_mov_b32_e32 v3, 0
.LBB978_251:                            ; =>This Inner Loop Header: Depth=1
	v_mov_b32_e32 v2, v8
	v_add_u32_e32 v1, -1, v1
	v_lshlrev_b64 v[18:19], 1, v[2:3]
	v_mov_b32_e32 v2, v9
	v_cmp_eq_u32_e32 vcc, 0, v1
	v_lshlrev_b64 v[20:21], 1, v[2:3]
	ds_read_u16 v13, v12
	ds_read_u16 v28, v12 offset:512
	ds_read_u16 v29, v12 offset:1024
	;; [unrolled: 1-line block ×3, first 2 shown]
	v_mov_b32_e32 v2, v10
	s_or_b64 s[12:13], vcc, s[12:13]
	v_add_co_u32_e32 v20, vcc, v15, v20
	v_addc_co_u32_e32 v21, vcc, v16, v21, vcc
	v_lshlrev_b64 v[22:23], 1, v[2:3]
	v_mov_b32_e32 v2, v11
	v_add_co_u32_e32 v22, vcc, v15, v22
	v_add_co_u32_e64 v18, s[0:1], v15, v18
	v_addc_co_u32_e32 v23, vcc, v16, v23, vcc
	v_lshlrev_b64 v[26:27], 1, v[2:3]
	v_add_u32_e32 v8, 0x400, v8
	v_add_u32_e32 v12, 0x800, v12
	;; [unrolled: 1-line block ×3, first 2 shown]
	v_addc_co_u32_e64 v19, s[0:1], v16, v19, s[0:1]
	v_add_u32_e32 v10, 0x400, v10
	v_add_u32_e32 v11, 0x400, v11
	v_add_co_u32_e32 v26, vcc, v15, v26
	v_addc_co_u32_e32 v27, vcc, v16, v27, vcc
	s_waitcnt lgkmcnt(3)
	global_store_short v[18:19], v13, off
	s_waitcnt lgkmcnt(2)
	global_store_short v[20:21], v28, off
	;; [unrolled: 2-line block ×4, first 2 shown]
	s_andn2_b64 exec, exec, s[12:13]
	s_cbranch_execnz .LBB978_251
.LBB978_252:
	s_or_b64 exec, exec, s[10:11]
	v_add_u32_e32 v1, 1, v17
	v_and_b32_e32 v3, 0x1fffffc, v1
	v_cmp_ne_u32_e32 vcc, v1, v3
	v_lshl_or_b32 v2, v3, 8, v0
	s_orn2_b64 s[0:1], vcc, exec
.LBB978_253:
	s_or_b64 exec, exec, s[8:9]
	s_andn2_b64 s[4:5], s[4:5], exec
	s_and_b64 s[0:1], s[0:1], exec
	s_or_b64 s[4:5], s[4:5], s[0:1]
.LBB978_254:
	s_or_b64 exec, exec, s[6:7]
	s_and_b64 exec, exec, s[4:5]
	s_cbranch_execz .LBB978_257
; %bb.255:
	v_lshlrev_b32_e32 v1, 1, v2
	s_mov_b64 s[0:1], 0
	v_mov_b32_e32 v3, 0
.LBB978_256:                            ; =>This Inner Loop Header: Depth=1
	v_lshlrev_b64 v[8:9], 1, v[2:3]
	ds_read_u16 v10, v1
	v_add_co_u32_e32 v8, vcc, v15, v8
	v_add_u32_e32 v2, 0x100, v2
	v_addc_co_u32_e32 v9, vcc, v16, v9, vcc
	v_cmp_ge_u32_e32 vcc, v2, v5
	v_add_u32_e32 v1, 0x200, v1
	s_or_b64 s[0:1], vcc, s[0:1]
	s_waitcnt lgkmcnt(0)
	global_store_short v[8:9], v10, off
	s_andn2_b64 exec, exec, s[0:1]
	s_cbranch_execnz .LBB978_256
.LBB978_257:
	s_or_b64 exec, exec, s[2:3]
.LBB978_258:
	s_movk_i32 s0, 0xff
	v_cmp_eq_u32_e32 vcc, s0, v0
	s_and_b64 s[0:1], vcc, s[40:41]
	s_and_saveexec_b64 s[2:3], s[0:1]
	s_cbranch_execz .LBB978_261
; %bb.259:
	v_add_co_u32_e32 v0, vcc, v4, v6
	v_addc_co_u32_e64 v1, s[0:1], 0, 0, vcc
	v_add_co_u32_e32 v0, vcc, v0, v24
	v_mov_b32_e32 v5, 0
	v_addc_co_u32_e32 v1, vcc, v1, v25, vcc
	s_cmpk_lg_i32 s33, 0xf00
	global_store_dwordx2 v5, v[0:1], s[46:47]
	s_cbranch_scc1 .LBB978_261
; %bb.260:
	v_lshlrev_b64 v[0:1], 1, v[4:5]
	v_add_co_u32_e32 v0, vcc, v7, v0
	v_addc_co_u32_e32 v1, vcc, v14, v1, vcc
	global_store_short v[0:1], v81, off offset:-2
.LBB978_261:
	s_endpgm
	.section	.rodata,"a",@progbits
	.p2align	6, 0x0
	.amdhsa_kernel _ZN7rocprim17ROCPRIM_400000_NS6detail17trampoline_kernelINS0_14default_configENS1_29reduce_by_key_config_selectorIjtN6thrust23THRUST_200600_302600_NS4plusItEEEEZZNS1_33reduce_by_key_impl_wrapped_configILNS1_25lookback_scan_determinismE0ES3_S9_NS6_6detail15normal_iteratorINS6_10device_ptrIjEEEENSD_INSE_ItEEEENS6_16discard_iteratorINS6_11use_defaultEEESI_PmS8_NS6_8equal_toIjEEEE10hipError_tPvRmT2_T3_mT4_T5_T6_T7_T8_P12ihipStream_tbENKUlT_T0_E_clISt17integral_constantIbLb0EES15_IbLb1EEEEDaS11_S12_EUlS11_E_NS1_11comp_targetILNS1_3genE4ELNS1_11target_archE910ELNS1_3gpuE8ELNS1_3repE0EEENS1_30default_config_static_selectorELNS0_4arch9wavefront6targetE1EEEvT1_
		.amdhsa_group_segment_fixed_size 15360
		.amdhsa_private_segment_fixed_size 0
		.amdhsa_kernarg_size 128
		.amdhsa_user_sgpr_count 6
		.amdhsa_user_sgpr_private_segment_buffer 1
		.amdhsa_user_sgpr_dispatch_ptr 0
		.amdhsa_user_sgpr_queue_ptr 0
		.amdhsa_user_sgpr_kernarg_segment_ptr 1
		.amdhsa_user_sgpr_dispatch_id 0
		.amdhsa_user_sgpr_flat_scratch_init 0
		.amdhsa_user_sgpr_kernarg_preload_length 0
		.amdhsa_user_sgpr_kernarg_preload_offset 0
		.amdhsa_user_sgpr_private_segment_size 0
		.amdhsa_uses_dynamic_stack 0
		.amdhsa_system_sgpr_private_segment_wavefront_offset 0
		.amdhsa_system_sgpr_workgroup_id_x 1
		.amdhsa_system_sgpr_workgroup_id_y 0
		.amdhsa_system_sgpr_workgroup_id_z 0
		.amdhsa_system_sgpr_workgroup_info 0
		.amdhsa_system_vgpr_workitem_id 0
		.amdhsa_next_free_vgpr 87
		.amdhsa_next_free_sgpr 64
		.amdhsa_accum_offset 88
		.amdhsa_reserve_vcc 1
		.amdhsa_reserve_flat_scratch 0
		.amdhsa_float_round_mode_32 0
		.amdhsa_float_round_mode_16_64 0
		.amdhsa_float_denorm_mode_32 3
		.amdhsa_float_denorm_mode_16_64 3
		.amdhsa_dx10_clamp 1
		.amdhsa_ieee_mode 1
		.amdhsa_fp16_overflow 0
		.amdhsa_tg_split 0
		.amdhsa_exception_fp_ieee_invalid_op 0
		.amdhsa_exception_fp_denorm_src 0
		.amdhsa_exception_fp_ieee_div_zero 0
		.amdhsa_exception_fp_ieee_overflow 0
		.amdhsa_exception_fp_ieee_underflow 0
		.amdhsa_exception_fp_ieee_inexact 0
		.amdhsa_exception_int_div_zero 0
	.end_amdhsa_kernel
	.section	.text._ZN7rocprim17ROCPRIM_400000_NS6detail17trampoline_kernelINS0_14default_configENS1_29reduce_by_key_config_selectorIjtN6thrust23THRUST_200600_302600_NS4plusItEEEEZZNS1_33reduce_by_key_impl_wrapped_configILNS1_25lookback_scan_determinismE0ES3_S9_NS6_6detail15normal_iteratorINS6_10device_ptrIjEEEENSD_INSE_ItEEEENS6_16discard_iteratorINS6_11use_defaultEEESI_PmS8_NS6_8equal_toIjEEEE10hipError_tPvRmT2_T3_mT4_T5_T6_T7_T8_P12ihipStream_tbENKUlT_T0_E_clISt17integral_constantIbLb0EES15_IbLb1EEEEDaS11_S12_EUlS11_E_NS1_11comp_targetILNS1_3genE4ELNS1_11target_archE910ELNS1_3gpuE8ELNS1_3repE0EEENS1_30default_config_static_selectorELNS0_4arch9wavefront6targetE1EEEvT1_,"axG",@progbits,_ZN7rocprim17ROCPRIM_400000_NS6detail17trampoline_kernelINS0_14default_configENS1_29reduce_by_key_config_selectorIjtN6thrust23THRUST_200600_302600_NS4plusItEEEEZZNS1_33reduce_by_key_impl_wrapped_configILNS1_25lookback_scan_determinismE0ES3_S9_NS6_6detail15normal_iteratorINS6_10device_ptrIjEEEENSD_INSE_ItEEEENS6_16discard_iteratorINS6_11use_defaultEEESI_PmS8_NS6_8equal_toIjEEEE10hipError_tPvRmT2_T3_mT4_T5_T6_T7_T8_P12ihipStream_tbENKUlT_T0_E_clISt17integral_constantIbLb0EES15_IbLb1EEEEDaS11_S12_EUlS11_E_NS1_11comp_targetILNS1_3genE4ELNS1_11target_archE910ELNS1_3gpuE8ELNS1_3repE0EEENS1_30default_config_static_selectorELNS0_4arch9wavefront6targetE1EEEvT1_,comdat
.Lfunc_end978:
	.size	_ZN7rocprim17ROCPRIM_400000_NS6detail17trampoline_kernelINS0_14default_configENS1_29reduce_by_key_config_selectorIjtN6thrust23THRUST_200600_302600_NS4plusItEEEEZZNS1_33reduce_by_key_impl_wrapped_configILNS1_25lookback_scan_determinismE0ES3_S9_NS6_6detail15normal_iteratorINS6_10device_ptrIjEEEENSD_INSE_ItEEEENS6_16discard_iteratorINS6_11use_defaultEEESI_PmS8_NS6_8equal_toIjEEEE10hipError_tPvRmT2_T3_mT4_T5_T6_T7_T8_P12ihipStream_tbENKUlT_T0_E_clISt17integral_constantIbLb0EES15_IbLb1EEEEDaS11_S12_EUlS11_E_NS1_11comp_targetILNS1_3genE4ELNS1_11target_archE910ELNS1_3gpuE8ELNS1_3repE0EEENS1_30default_config_static_selectorELNS0_4arch9wavefront6targetE1EEEvT1_, .Lfunc_end978-_ZN7rocprim17ROCPRIM_400000_NS6detail17trampoline_kernelINS0_14default_configENS1_29reduce_by_key_config_selectorIjtN6thrust23THRUST_200600_302600_NS4plusItEEEEZZNS1_33reduce_by_key_impl_wrapped_configILNS1_25lookback_scan_determinismE0ES3_S9_NS6_6detail15normal_iteratorINS6_10device_ptrIjEEEENSD_INSE_ItEEEENS6_16discard_iteratorINS6_11use_defaultEEESI_PmS8_NS6_8equal_toIjEEEE10hipError_tPvRmT2_T3_mT4_T5_T6_T7_T8_P12ihipStream_tbENKUlT_T0_E_clISt17integral_constantIbLb0EES15_IbLb1EEEEDaS11_S12_EUlS11_E_NS1_11comp_targetILNS1_3genE4ELNS1_11target_archE910ELNS1_3gpuE8ELNS1_3repE0EEENS1_30default_config_static_selectorELNS0_4arch9wavefront6targetE1EEEvT1_
                                        ; -- End function
	.section	.AMDGPU.csdata,"",@progbits
; Kernel info:
; codeLenInByte = 15348
; NumSgprs: 68
; NumVgprs: 87
; NumAgprs: 0
; TotalNumVgprs: 87
; ScratchSize: 0
; MemoryBound: 0
; FloatMode: 240
; IeeeMode: 1
; LDSByteSize: 15360 bytes/workgroup (compile time only)
; SGPRBlocks: 8
; VGPRBlocks: 10
; NumSGPRsForWavesPerEU: 68
; NumVGPRsForWavesPerEU: 87
; AccumOffset: 88
; Occupancy: 4
; WaveLimiterHint : 1
; COMPUTE_PGM_RSRC2:SCRATCH_EN: 0
; COMPUTE_PGM_RSRC2:USER_SGPR: 6
; COMPUTE_PGM_RSRC2:TRAP_HANDLER: 0
; COMPUTE_PGM_RSRC2:TGID_X_EN: 1
; COMPUTE_PGM_RSRC2:TGID_Y_EN: 0
; COMPUTE_PGM_RSRC2:TGID_Z_EN: 0
; COMPUTE_PGM_RSRC2:TIDIG_COMP_CNT: 0
; COMPUTE_PGM_RSRC3_GFX90A:ACCUM_OFFSET: 21
; COMPUTE_PGM_RSRC3_GFX90A:TG_SPLIT: 0
	.section	.text._ZN7rocprim17ROCPRIM_400000_NS6detail17trampoline_kernelINS0_14default_configENS1_29reduce_by_key_config_selectorIjtN6thrust23THRUST_200600_302600_NS4plusItEEEEZZNS1_33reduce_by_key_impl_wrapped_configILNS1_25lookback_scan_determinismE0ES3_S9_NS6_6detail15normal_iteratorINS6_10device_ptrIjEEEENSD_INSE_ItEEEENS6_16discard_iteratorINS6_11use_defaultEEESI_PmS8_NS6_8equal_toIjEEEE10hipError_tPvRmT2_T3_mT4_T5_T6_T7_T8_P12ihipStream_tbENKUlT_T0_E_clISt17integral_constantIbLb0EES15_IbLb1EEEEDaS11_S12_EUlS11_E_NS1_11comp_targetILNS1_3genE3ELNS1_11target_archE908ELNS1_3gpuE7ELNS1_3repE0EEENS1_30default_config_static_selectorELNS0_4arch9wavefront6targetE1EEEvT1_,"axG",@progbits,_ZN7rocprim17ROCPRIM_400000_NS6detail17trampoline_kernelINS0_14default_configENS1_29reduce_by_key_config_selectorIjtN6thrust23THRUST_200600_302600_NS4plusItEEEEZZNS1_33reduce_by_key_impl_wrapped_configILNS1_25lookback_scan_determinismE0ES3_S9_NS6_6detail15normal_iteratorINS6_10device_ptrIjEEEENSD_INSE_ItEEEENS6_16discard_iteratorINS6_11use_defaultEEESI_PmS8_NS6_8equal_toIjEEEE10hipError_tPvRmT2_T3_mT4_T5_T6_T7_T8_P12ihipStream_tbENKUlT_T0_E_clISt17integral_constantIbLb0EES15_IbLb1EEEEDaS11_S12_EUlS11_E_NS1_11comp_targetILNS1_3genE3ELNS1_11target_archE908ELNS1_3gpuE7ELNS1_3repE0EEENS1_30default_config_static_selectorELNS0_4arch9wavefront6targetE1EEEvT1_,comdat
	.protected	_ZN7rocprim17ROCPRIM_400000_NS6detail17trampoline_kernelINS0_14default_configENS1_29reduce_by_key_config_selectorIjtN6thrust23THRUST_200600_302600_NS4plusItEEEEZZNS1_33reduce_by_key_impl_wrapped_configILNS1_25lookback_scan_determinismE0ES3_S9_NS6_6detail15normal_iteratorINS6_10device_ptrIjEEEENSD_INSE_ItEEEENS6_16discard_iteratorINS6_11use_defaultEEESI_PmS8_NS6_8equal_toIjEEEE10hipError_tPvRmT2_T3_mT4_T5_T6_T7_T8_P12ihipStream_tbENKUlT_T0_E_clISt17integral_constantIbLb0EES15_IbLb1EEEEDaS11_S12_EUlS11_E_NS1_11comp_targetILNS1_3genE3ELNS1_11target_archE908ELNS1_3gpuE7ELNS1_3repE0EEENS1_30default_config_static_selectorELNS0_4arch9wavefront6targetE1EEEvT1_ ; -- Begin function _ZN7rocprim17ROCPRIM_400000_NS6detail17trampoline_kernelINS0_14default_configENS1_29reduce_by_key_config_selectorIjtN6thrust23THRUST_200600_302600_NS4plusItEEEEZZNS1_33reduce_by_key_impl_wrapped_configILNS1_25lookback_scan_determinismE0ES3_S9_NS6_6detail15normal_iteratorINS6_10device_ptrIjEEEENSD_INSE_ItEEEENS6_16discard_iteratorINS6_11use_defaultEEESI_PmS8_NS6_8equal_toIjEEEE10hipError_tPvRmT2_T3_mT4_T5_T6_T7_T8_P12ihipStream_tbENKUlT_T0_E_clISt17integral_constantIbLb0EES15_IbLb1EEEEDaS11_S12_EUlS11_E_NS1_11comp_targetILNS1_3genE3ELNS1_11target_archE908ELNS1_3gpuE7ELNS1_3repE0EEENS1_30default_config_static_selectorELNS0_4arch9wavefront6targetE1EEEvT1_
	.globl	_ZN7rocprim17ROCPRIM_400000_NS6detail17trampoline_kernelINS0_14default_configENS1_29reduce_by_key_config_selectorIjtN6thrust23THRUST_200600_302600_NS4plusItEEEEZZNS1_33reduce_by_key_impl_wrapped_configILNS1_25lookback_scan_determinismE0ES3_S9_NS6_6detail15normal_iteratorINS6_10device_ptrIjEEEENSD_INSE_ItEEEENS6_16discard_iteratorINS6_11use_defaultEEESI_PmS8_NS6_8equal_toIjEEEE10hipError_tPvRmT2_T3_mT4_T5_T6_T7_T8_P12ihipStream_tbENKUlT_T0_E_clISt17integral_constantIbLb0EES15_IbLb1EEEEDaS11_S12_EUlS11_E_NS1_11comp_targetILNS1_3genE3ELNS1_11target_archE908ELNS1_3gpuE7ELNS1_3repE0EEENS1_30default_config_static_selectorELNS0_4arch9wavefront6targetE1EEEvT1_
	.p2align	8
	.type	_ZN7rocprim17ROCPRIM_400000_NS6detail17trampoline_kernelINS0_14default_configENS1_29reduce_by_key_config_selectorIjtN6thrust23THRUST_200600_302600_NS4plusItEEEEZZNS1_33reduce_by_key_impl_wrapped_configILNS1_25lookback_scan_determinismE0ES3_S9_NS6_6detail15normal_iteratorINS6_10device_ptrIjEEEENSD_INSE_ItEEEENS6_16discard_iteratorINS6_11use_defaultEEESI_PmS8_NS6_8equal_toIjEEEE10hipError_tPvRmT2_T3_mT4_T5_T6_T7_T8_P12ihipStream_tbENKUlT_T0_E_clISt17integral_constantIbLb0EES15_IbLb1EEEEDaS11_S12_EUlS11_E_NS1_11comp_targetILNS1_3genE3ELNS1_11target_archE908ELNS1_3gpuE7ELNS1_3repE0EEENS1_30default_config_static_selectorELNS0_4arch9wavefront6targetE1EEEvT1_,@function
_ZN7rocprim17ROCPRIM_400000_NS6detail17trampoline_kernelINS0_14default_configENS1_29reduce_by_key_config_selectorIjtN6thrust23THRUST_200600_302600_NS4plusItEEEEZZNS1_33reduce_by_key_impl_wrapped_configILNS1_25lookback_scan_determinismE0ES3_S9_NS6_6detail15normal_iteratorINS6_10device_ptrIjEEEENSD_INSE_ItEEEENS6_16discard_iteratorINS6_11use_defaultEEESI_PmS8_NS6_8equal_toIjEEEE10hipError_tPvRmT2_T3_mT4_T5_T6_T7_T8_P12ihipStream_tbENKUlT_T0_E_clISt17integral_constantIbLb0EES15_IbLb1EEEEDaS11_S12_EUlS11_E_NS1_11comp_targetILNS1_3genE3ELNS1_11target_archE908ELNS1_3gpuE7ELNS1_3repE0EEENS1_30default_config_static_selectorELNS0_4arch9wavefront6targetE1EEEvT1_: ; @_ZN7rocprim17ROCPRIM_400000_NS6detail17trampoline_kernelINS0_14default_configENS1_29reduce_by_key_config_selectorIjtN6thrust23THRUST_200600_302600_NS4plusItEEEEZZNS1_33reduce_by_key_impl_wrapped_configILNS1_25lookback_scan_determinismE0ES3_S9_NS6_6detail15normal_iteratorINS6_10device_ptrIjEEEENSD_INSE_ItEEEENS6_16discard_iteratorINS6_11use_defaultEEESI_PmS8_NS6_8equal_toIjEEEE10hipError_tPvRmT2_T3_mT4_T5_T6_T7_T8_P12ihipStream_tbENKUlT_T0_E_clISt17integral_constantIbLb0EES15_IbLb1EEEEDaS11_S12_EUlS11_E_NS1_11comp_targetILNS1_3genE3ELNS1_11target_archE908ELNS1_3gpuE7ELNS1_3repE0EEENS1_30default_config_static_selectorELNS0_4arch9wavefront6targetE1EEEvT1_
; %bb.0:
	.section	.rodata,"a",@progbits
	.p2align	6, 0x0
	.amdhsa_kernel _ZN7rocprim17ROCPRIM_400000_NS6detail17trampoline_kernelINS0_14default_configENS1_29reduce_by_key_config_selectorIjtN6thrust23THRUST_200600_302600_NS4plusItEEEEZZNS1_33reduce_by_key_impl_wrapped_configILNS1_25lookback_scan_determinismE0ES3_S9_NS6_6detail15normal_iteratorINS6_10device_ptrIjEEEENSD_INSE_ItEEEENS6_16discard_iteratorINS6_11use_defaultEEESI_PmS8_NS6_8equal_toIjEEEE10hipError_tPvRmT2_T3_mT4_T5_T6_T7_T8_P12ihipStream_tbENKUlT_T0_E_clISt17integral_constantIbLb0EES15_IbLb1EEEEDaS11_S12_EUlS11_E_NS1_11comp_targetILNS1_3genE3ELNS1_11target_archE908ELNS1_3gpuE7ELNS1_3repE0EEENS1_30default_config_static_selectorELNS0_4arch9wavefront6targetE1EEEvT1_
		.amdhsa_group_segment_fixed_size 0
		.amdhsa_private_segment_fixed_size 0
		.amdhsa_kernarg_size 128
		.amdhsa_user_sgpr_count 6
		.amdhsa_user_sgpr_private_segment_buffer 1
		.amdhsa_user_sgpr_dispatch_ptr 0
		.amdhsa_user_sgpr_queue_ptr 0
		.amdhsa_user_sgpr_kernarg_segment_ptr 1
		.amdhsa_user_sgpr_dispatch_id 0
		.amdhsa_user_sgpr_flat_scratch_init 0
		.amdhsa_user_sgpr_kernarg_preload_length 0
		.amdhsa_user_sgpr_kernarg_preload_offset 0
		.amdhsa_user_sgpr_private_segment_size 0
		.amdhsa_uses_dynamic_stack 0
		.amdhsa_system_sgpr_private_segment_wavefront_offset 0
		.amdhsa_system_sgpr_workgroup_id_x 1
		.amdhsa_system_sgpr_workgroup_id_y 0
		.amdhsa_system_sgpr_workgroup_id_z 0
		.amdhsa_system_sgpr_workgroup_info 0
		.amdhsa_system_vgpr_workitem_id 0
		.amdhsa_next_free_vgpr 1
		.amdhsa_next_free_sgpr 0
		.amdhsa_accum_offset 4
		.amdhsa_reserve_vcc 0
		.amdhsa_reserve_flat_scratch 0
		.amdhsa_float_round_mode_32 0
		.amdhsa_float_round_mode_16_64 0
		.amdhsa_float_denorm_mode_32 3
		.amdhsa_float_denorm_mode_16_64 3
		.amdhsa_dx10_clamp 1
		.amdhsa_ieee_mode 1
		.amdhsa_fp16_overflow 0
		.amdhsa_tg_split 0
		.amdhsa_exception_fp_ieee_invalid_op 0
		.amdhsa_exception_fp_denorm_src 0
		.amdhsa_exception_fp_ieee_div_zero 0
		.amdhsa_exception_fp_ieee_overflow 0
		.amdhsa_exception_fp_ieee_underflow 0
		.amdhsa_exception_fp_ieee_inexact 0
		.amdhsa_exception_int_div_zero 0
	.end_amdhsa_kernel
	.section	.text._ZN7rocprim17ROCPRIM_400000_NS6detail17trampoline_kernelINS0_14default_configENS1_29reduce_by_key_config_selectorIjtN6thrust23THRUST_200600_302600_NS4plusItEEEEZZNS1_33reduce_by_key_impl_wrapped_configILNS1_25lookback_scan_determinismE0ES3_S9_NS6_6detail15normal_iteratorINS6_10device_ptrIjEEEENSD_INSE_ItEEEENS6_16discard_iteratorINS6_11use_defaultEEESI_PmS8_NS6_8equal_toIjEEEE10hipError_tPvRmT2_T3_mT4_T5_T6_T7_T8_P12ihipStream_tbENKUlT_T0_E_clISt17integral_constantIbLb0EES15_IbLb1EEEEDaS11_S12_EUlS11_E_NS1_11comp_targetILNS1_3genE3ELNS1_11target_archE908ELNS1_3gpuE7ELNS1_3repE0EEENS1_30default_config_static_selectorELNS0_4arch9wavefront6targetE1EEEvT1_,"axG",@progbits,_ZN7rocprim17ROCPRIM_400000_NS6detail17trampoline_kernelINS0_14default_configENS1_29reduce_by_key_config_selectorIjtN6thrust23THRUST_200600_302600_NS4plusItEEEEZZNS1_33reduce_by_key_impl_wrapped_configILNS1_25lookback_scan_determinismE0ES3_S9_NS6_6detail15normal_iteratorINS6_10device_ptrIjEEEENSD_INSE_ItEEEENS6_16discard_iteratorINS6_11use_defaultEEESI_PmS8_NS6_8equal_toIjEEEE10hipError_tPvRmT2_T3_mT4_T5_T6_T7_T8_P12ihipStream_tbENKUlT_T0_E_clISt17integral_constantIbLb0EES15_IbLb1EEEEDaS11_S12_EUlS11_E_NS1_11comp_targetILNS1_3genE3ELNS1_11target_archE908ELNS1_3gpuE7ELNS1_3repE0EEENS1_30default_config_static_selectorELNS0_4arch9wavefront6targetE1EEEvT1_,comdat
.Lfunc_end979:
	.size	_ZN7rocprim17ROCPRIM_400000_NS6detail17trampoline_kernelINS0_14default_configENS1_29reduce_by_key_config_selectorIjtN6thrust23THRUST_200600_302600_NS4plusItEEEEZZNS1_33reduce_by_key_impl_wrapped_configILNS1_25lookback_scan_determinismE0ES3_S9_NS6_6detail15normal_iteratorINS6_10device_ptrIjEEEENSD_INSE_ItEEEENS6_16discard_iteratorINS6_11use_defaultEEESI_PmS8_NS6_8equal_toIjEEEE10hipError_tPvRmT2_T3_mT4_T5_T6_T7_T8_P12ihipStream_tbENKUlT_T0_E_clISt17integral_constantIbLb0EES15_IbLb1EEEEDaS11_S12_EUlS11_E_NS1_11comp_targetILNS1_3genE3ELNS1_11target_archE908ELNS1_3gpuE7ELNS1_3repE0EEENS1_30default_config_static_selectorELNS0_4arch9wavefront6targetE1EEEvT1_, .Lfunc_end979-_ZN7rocprim17ROCPRIM_400000_NS6detail17trampoline_kernelINS0_14default_configENS1_29reduce_by_key_config_selectorIjtN6thrust23THRUST_200600_302600_NS4plusItEEEEZZNS1_33reduce_by_key_impl_wrapped_configILNS1_25lookback_scan_determinismE0ES3_S9_NS6_6detail15normal_iteratorINS6_10device_ptrIjEEEENSD_INSE_ItEEEENS6_16discard_iteratorINS6_11use_defaultEEESI_PmS8_NS6_8equal_toIjEEEE10hipError_tPvRmT2_T3_mT4_T5_T6_T7_T8_P12ihipStream_tbENKUlT_T0_E_clISt17integral_constantIbLb0EES15_IbLb1EEEEDaS11_S12_EUlS11_E_NS1_11comp_targetILNS1_3genE3ELNS1_11target_archE908ELNS1_3gpuE7ELNS1_3repE0EEENS1_30default_config_static_selectorELNS0_4arch9wavefront6targetE1EEEvT1_
                                        ; -- End function
	.section	.AMDGPU.csdata,"",@progbits
; Kernel info:
; codeLenInByte = 0
; NumSgprs: 4
; NumVgprs: 0
; NumAgprs: 0
; TotalNumVgprs: 0
; ScratchSize: 0
; MemoryBound: 0
; FloatMode: 240
; IeeeMode: 1
; LDSByteSize: 0 bytes/workgroup (compile time only)
; SGPRBlocks: 0
; VGPRBlocks: 0
; NumSGPRsForWavesPerEU: 4
; NumVGPRsForWavesPerEU: 1
; AccumOffset: 4
; Occupancy: 8
; WaveLimiterHint : 0
; COMPUTE_PGM_RSRC2:SCRATCH_EN: 0
; COMPUTE_PGM_RSRC2:USER_SGPR: 6
; COMPUTE_PGM_RSRC2:TRAP_HANDLER: 0
; COMPUTE_PGM_RSRC2:TGID_X_EN: 1
; COMPUTE_PGM_RSRC2:TGID_Y_EN: 0
; COMPUTE_PGM_RSRC2:TGID_Z_EN: 0
; COMPUTE_PGM_RSRC2:TIDIG_COMP_CNT: 0
; COMPUTE_PGM_RSRC3_GFX90A:ACCUM_OFFSET: 0
; COMPUTE_PGM_RSRC3_GFX90A:TG_SPLIT: 0
	.section	.text._ZN7rocprim17ROCPRIM_400000_NS6detail17trampoline_kernelINS0_14default_configENS1_29reduce_by_key_config_selectorIjtN6thrust23THRUST_200600_302600_NS4plusItEEEEZZNS1_33reduce_by_key_impl_wrapped_configILNS1_25lookback_scan_determinismE0ES3_S9_NS6_6detail15normal_iteratorINS6_10device_ptrIjEEEENSD_INSE_ItEEEENS6_16discard_iteratorINS6_11use_defaultEEESI_PmS8_NS6_8equal_toIjEEEE10hipError_tPvRmT2_T3_mT4_T5_T6_T7_T8_P12ihipStream_tbENKUlT_T0_E_clISt17integral_constantIbLb0EES15_IbLb1EEEEDaS11_S12_EUlS11_E_NS1_11comp_targetILNS1_3genE2ELNS1_11target_archE906ELNS1_3gpuE6ELNS1_3repE0EEENS1_30default_config_static_selectorELNS0_4arch9wavefront6targetE1EEEvT1_,"axG",@progbits,_ZN7rocprim17ROCPRIM_400000_NS6detail17trampoline_kernelINS0_14default_configENS1_29reduce_by_key_config_selectorIjtN6thrust23THRUST_200600_302600_NS4plusItEEEEZZNS1_33reduce_by_key_impl_wrapped_configILNS1_25lookback_scan_determinismE0ES3_S9_NS6_6detail15normal_iteratorINS6_10device_ptrIjEEEENSD_INSE_ItEEEENS6_16discard_iteratorINS6_11use_defaultEEESI_PmS8_NS6_8equal_toIjEEEE10hipError_tPvRmT2_T3_mT4_T5_T6_T7_T8_P12ihipStream_tbENKUlT_T0_E_clISt17integral_constantIbLb0EES15_IbLb1EEEEDaS11_S12_EUlS11_E_NS1_11comp_targetILNS1_3genE2ELNS1_11target_archE906ELNS1_3gpuE6ELNS1_3repE0EEENS1_30default_config_static_selectorELNS0_4arch9wavefront6targetE1EEEvT1_,comdat
	.protected	_ZN7rocprim17ROCPRIM_400000_NS6detail17trampoline_kernelINS0_14default_configENS1_29reduce_by_key_config_selectorIjtN6thrust23THRUST_200600_302600_NS4plusItEEEEZZNS1_33reduce_by_key_impl_wrapped_configILNS1_25lookback_scan_determinismE0ES3_S9_NS6_6detail15normal_iteratorINS6_10device_ptrIjEEEENSD_INSE_ItEEEENS6_16discard_iteratorINS6_11use_defaultEEESI_PmS8_NS6_8equal_toIjEEEE10hipError_tPvRmT2_T3_mT4_T5_T6_T7_T8_P12ihipStream_tbENKUlT_T0_E_clISt17integral_constantIbLb0EES15_IbLb1EEEEDaS11_S12_EUlS11_E_NS1_11comp_targetILNS1_3genE2ELNS1_11target_archE906ELNS1_3gpuE6ELNS1_3repE0EEENS1_30default_config_static_selectorELNS0_4arch9wavefront6targetE1EEEvT1_ ; -- Begin function _ZN7rocprim17ROCPRIM_400000_NS6detail17trampoline_kernelINS0_14default_configENS1_29reduce_by_key_config_selectorIjtN6thrust23THRUST_200600_302600_NS4plusItEEEEZZNS1_33reduce_by_key_impl_wrapped_configILNS1_25lookback_scan_determinismE0ES3_S9_NS6_6detail15normal_iteratorINS6_10device_ptrIjEEEENSD_INSE_ItEEEENS6_16discard_iteratorINS6_11use_defaultEEESI_PmS8_NS6_8equal_toIjEEEE10hipError_tPvRmT2_T3_mT4_T5_T6_T7_T8_P12ihipStream_tbENKUlT_T0_E_clISt17integral_constantIbLb0EES15_IbLb1EEEEDaS11_S12_EUlS11_E_NS1_11comp_targetILNS1_3genE2ELNS1_11target_archE906ELNS1_3gpuE6ELNS1_3repE0EEENS1_30default_config_static_selectorELNS0_4arch9wavefront6targetE1EEEvT1_
	.globl	_ZN7rocprim17ROCPRIM_400000_NS6detail17trampoline_kernelINS0_14default_configENS1_29reduce_by_key_config_selectorIjtN6thrust23THRUST_200600_302600_NS4plusItEEEEZZNS1_33reduce_by_key_impl_wrapped_configILNS1_25lookback_scan_determinismE0ES3_S9_NS6_6detail15normal_iteratorINS6_10device_ptrIjEEEENSD_INSE_ItEEEENS6_16discard_iteratorINS6_11use_defaultEEESI_PmS8_NS6_8equal_toIjEEEE10hipError_tPvRmT2_T3_mT4_T5_T6_T7_T8_P12ihipStream_tbENKUlT_T0_E_clISt17integral_constantIbLb0EES15_IbLb1EEEEDaS11_S12_EUlS11_E_NS1_11comp_targetILNS1_3genE2ELNS1_11target_archE906ELNS1_3gpuE6ELNS1_3repE0EEENS1_30default_config_static_selectorELNS0_4arch9wavefront6targetE1EEEvT1_
	.p2align	8
	.type	_ZN7rocprim17ROCPRIM_400000_NS6detail17trampoline_kernelINS0_14default_configENS1_29reduce_by_key_config_selectorIjtN6thrust23THRUST_200600_302600_NS4plusItEEEEZZNS1_33reduce_by_key_impl_wrapped_configILNS1_25lookback_scan_determinismE0ES3_S9_NS6_6detail15normal_iteratorINS6_10device_ptrIjEEEENSD_INSE_ItEEEENS6_16discard_iteratorINS6_11use_defaultEEESI_PmS8_NS6_8equal_toIjEEEE10hipError_tPvRmT2_T3_mT4_T5_T6_T7_T8_P12ihipStream_tbENKUlT_T0_E_clISt17integral_constantIbLb0EES15_IbLb1EEEEDaS11_S12_EUlS11_E_NS1_11comp_targetILNS1_3genE2ELNS1_11target_archE906ELNS1_3gpuE6ELNS1_3repE0EEENS1_30default_config_static_selectorELNS0_4arch9wavefront6targetE1EEEvT1_,@function
_ZN7rocprim17ROCPRIM_400000_NS6detail17trampoline_kernelINS0_14default_configENS1_29reduce_by_key_config_selectorIjtN6thrust23THRUST_200600_302600_NS4plusItEEEEZZNS1_33reduce_by_key_impl_wrapped_configILNS1_25lookback_scan_determinismE0ES3_S9_NS6_6detail15normal_iteratorINS6_10device_ptrIjEEEENSD_INSE_ItEEEENS6_16discard_iteratorINS6_11use_defaultEEESI_PmS8_NS6_8equal_toIjEEEE10hipError_tPvRmT2_T3_mT4_T5_T6_T7_T8_P12ihipStream_tbENKUlT_T0_E_clISt17integral_constantIbLb0EES15_IbLb1EEEEDaS11_S12_EUlS11_E_NS1_11comp_targetILNS1_3genE2ELNS1_11target_archE906ELNS1_3gpuE6ELNS1_3repE0EEENS1_30default_config_static_selectorELNS0_4arch9wavefront6targetE1EEEvT1_: ; @_ZN7rocprim17ROCPRIM_400000_NS6detail17trampoline_kernelINS0_14default_configENS1_29reduce_by_key_config_selectorIjtN6thrust23THRUST_200600_302600_NS4plusItEEEEZZNS1_33reduce_by_key_impl_wrapped_configILNS1_25lookback_scan_determinismE0ES3_S9_NS6_6detail15normal_iteratorINS6_10device_ptrIjEEEENSD_INSE_ItEEEENS6_16discard_iteratorINS6_11use_defaultEEESI_PmS8_NS6_8equal_toIjEEEE10hipError_tPvRmT2_T3_mT4_T5_T6_T7_T8_P12ihipStream_tbENKUlT_T0_E_clISt17integral_constantIbLb0EES15_IbLb1EEEEDaS11_S12_EUlS11_E_NS1_11comp_targetILNS1_3genE2ELNS1_11target_archE906ELNS1_3gpuE6ELNS1_3repE0EEENS1_30default_config_static_selectorELNS0_4arch9wavefront6targetE1EEEvT1_
; %bb.0:
	.section	.rodata,"a",@progbits
	.p2align	6, 0x0
	.amdhsa_kernel _ZN7rocprim17ROCPRIM_400000_NS6detail17trampoline_kernelINS0_14default_configENS1_29reduce_by_key_config_selectorIjtN6thrust23THRUST_200600_302600_NS4plusItEEEEZZNS1_33reduce_by_key_impl_wrapped_configILNS1_25lookback_scan_determinismE0ES3_S9_NS6_6detail15normal_iteratorINS6_10device_ptrIjEEEENSD_INSE_ItEEEENS6_16discard_iteratorINS6_11use_defaultEEESI_PmS8_NS6_8equal_toIjEEEE10hipError_tPvRmT2_T3_mT4_T5_T6_T7_T8_P12ihipStream_tbENKUlT_T0_E_clISt17integral_constantIbLb0EES15_IbLb1EEEEDaS11_S12_EUlS11_E_NS1_11comp_targetILNS1_3genE2ELNS1_11target_archE906ELNS1_3gpuE6ELNS1_3repE0EEENS1_30default_config_static_selectorELNS0_4arch9wavefront6targetE1EEEvT1_
		.amdhsa_group_segment_fixed_size 0
		.amdhsa_private_segment_fixed_size 0
		.amdhsa_kernarg_size 128
		.amdhsa_user_sgpr_count 6
		.amdhsa_user_sgpr_private_segment_buffer 1
		.amdhsa_user_sgpr_dispatch_ptr 0
		.amdhsa_user_sgpr_queue_ptr 0
		.amdhsa_user_sgpr_kernarg_segment_ptr 1
		.amdhsa_user_sgpr_dispatch_id 0
		.amdhsa_user_sgpr_flat_scratch_init 0
		.amdhsa_user_sgpr_kernarg_preload_length 0
		.amdhsa_user_sgpr_kernarg_preload_offset 0
		.amdhsa_user_sgpr_private_segment_size 0
		.amdhsa_uses_dynamic_stack 0
		.amdhsa_system_sgpr_private_segment_wavefront_offset 0
		.amdhsa_system_sgpr_workgroup_id_x 1
		.amdhsa_system_sgpr_workgroup_id_y 0
		.amdhsa_system_sgpr_workgroup_id_z 0
		.amdhsa_system_sgpr_workgroup_info 0
		.amdhsa_system_vgpr_workitem_id 0
		.amdhsa_next_free_vgpr 1
		.amdhsa_next_free_sgpr 0
		.amdhsa_accum_offset 4
		.amdhsa_reserve_vcc 0
		.amdhsa_reserve_flat_scratch 0
		.amdhsa_float_round_mode_32 0
		.amdhsa_float_round_mode_16_64 0
		.amdhsa_float_denorm_mode_32 3
		.amdhsa_float_denorm_mode_16_64 3
		.amdhsa_dx10_clamp 1
		.amdhsa_ieee_mode 1
		.amdhsa_fp16_overflow 0
		.amdhsa_tg_split 0
		.amdhsa_exception_fp_ieee_invalid_op 0
		.amdhsa_exception_fp_denorm_src 0
		.amdhsa_exception_fp_ieee_div_zero 0
		.amdhsa_exception_fp_ieee_overflow 0
		.amdhsa_exception_fp_ieee_underflow 0
		.amdhsa_exception_fp_ieee_inexact 0
		.amdhsa_exception_int_div_zero 0
	.end_amdhsa_kernel
	.section	.text._ZN7rocprim17ROCPRIM_400000_NS6detail17trampoline_kernelINS0_14default_configENS1_29reduce_by_key_config_selectorIjtN6thrust23THRUST_200600_302600_NS4plusItEEEEZZNS1_33reduce_by_key_impl_wrapped_configILNS1_25lookback_scan_determinismE0ES3_S9_NS6_6detail15normal_iteratorINS6_10device_ptrIjEEEENSD_INSE_ItEEEENS6_16discard_iteratorINS6_11use_defaultEEESI_PmS8_NS6_8equal_toIjEEEE10hipError_tPvRmT2_T3_mT4_T5_T6_T7_T8_P12ihipStream_tbENKUlT_T0_E_clISt17integral_constantIbLb0EES15_IbLb1EEEEDaS11_S12_EUlS11_E_NS1_11comp_targetILNS1_3genE2ELNS1_11target_archE906ELNS1_3gpuE6ELNS1_3repE0EEENS1_30default_config_static_selectorELNS0_4arch9wavefront6targetE1EEEvT1_,"axG",@progbits,_ZN7rocprim17ROCPRIM_400000_NS6detail17trampoline_kernelINS0_14default_configENS1_29reduce_by_key_config_selectorIjtN6thrust23THRUST_200600_302600_NS4plusItEEEEZZNS1_33reduce_by_key_impl_wrapped_configILNS1_25lookback_scan_determinismE0ES3_S9_NS6_6detail15normal_iteratorINS6_10device_ptrIjEEEENSD_INSE_ItEEEENS6_16discard_iteratorINS6_11use_defaultEEESI_PmS8_NS6_8equal_toIjEEEE10hipError_tPvRmT2_T3_mT4_T5_T6_T7_T8_P12ihipStream_tbENKUlT_T0_E_clISt17integral_constantIbLb0EES15_IbLb1EEEEDaS11_S12_EUlS11_E_NS1_11comp_targetILNS1_3genE2ELNS1_11target_archE906ELNS1_3gpuE6ELNS1_3repE0EEENS1_30default_config_static_selectorELNS0_4arch9wavefront6targetE1EEEvT1_,comdat
.Lfunc_end980:
	.size	_ZN7rocprim17ROCPRIM_400000_NS6detail17trampoline_kernelINS0_14default_configENS1_29reduce_by_key_config_selectorIjtN6thrust23THRUST_200600_302600_NS4plusItEEEEZZNS1_33reduce_by_key_impl_wrapped_configILNS1_25lookback_scan_determinismE0ES3_S9_NS6_6detail15normal_iteratorINS6_10device_ptrIjEEEENSD_INSE_ItEEEENS6_16discard_iteratorINS6_11use_defaultEEESI_PmS8_NS6_8equal_toIjEEEE10hipError_tPvRmT2_T3_mT4_T5_T6_T7_T8_P12ihipStream_tbENKUlT_T0_E_clISt17integral_constantIbLb0EES15_IbLb1EEEEDaS11_S12_EUlS11_E_NS1_11comp_targetILNS1_3genE2ELNS1_11target_archE906ELNS1_3gpuE6ELNS1_3repE0EEENS1_30default_config_static_selectorELNS0_4arch9wavefront6targetE1EEEvT1_, .Lfunc_end980-_ZN7rocprim17ROCPRIM_400000_NS6detail17trampoline_kernelINS0_14default_configENS1_29reduce_by_key_config_selectorIjtN6thrust23THRUST_200600_302600_NS4plusItEEEEZZNS1_33reduce_by_key_impl_wrapped_configILNS1_25lookback_scan_determinismE0ES3_S9_NS6_6detail15normal_iteratorINS6_10device_ptrIjEEEENSD_INSE_ItEEEENS6_16discard_iteratorINS6_11use_defaultEEESI_PmS8_NS6_8equal_toIjEEEE10hipError_tPvRmT2_T3_mT4_T5_T6_T7_T8_P12ihipStream_tbENKUlT_T0_E_clISt17integral_constantIbLb0EES15_IbLb1EEEEDaS11_S12_EUlS11_E_NS1_11comp_targetILNS1_3genE2ELNS1_11target_archE906ELNS1_3gpuE6ELNS1_3repE0EEENS1_30default_config_static_selectorELNS0_4arch9wavefront6targetE1EEEvT1_
                                        ; -- End function
	.section	.AMDGPU.csdata,"",@progbits
; Kernel info:
; codeLenInByte = 0
; NumSgprs: 4
; NumVgprs: 0
; NumAgprs: 0
; TotalNumVgprs: 0
; ScratchSize: 0
; MemoryBound: 0
; FloatMode: 240
; IeeeMode: 1
; LDSByteSize: 0 bytes/workgroup (compile time only)
; SGPRBlocks: 0
; VGPRBlocks: 0
; NumSGPRsForWavesPerEU: 4
; NumVGPRsForWavesPerEU: 1
; AccumOffset: 4
; Occupancy: 8
; WaveLimiterHint : 0
; COMPUTE_PGM_RSRC2:SCRATCH_EN: 0
; COMPUTE_PGM_RSRC2:USER_SGPR: 6
; COMPUTE_PGM_RSRC2:TRAP_HANDLER: 0
; COMPUTE_PGM_RSRC2:TGID_X_EN: 1
; COMPUTE_PGM_RSRC2:TGID_Y_EN: 0
; COMPUTE_PGM_RSRC2:TGID_Z_EN: 0
; COMPUTE_PGM_RSRC2:TIDIG_COMP_CNT: 0
; COMPUTE_PGM_RSRC3_GFX90A:ACCUM_OFFSET: 0
; COMPUTE_PGM_RSRC3_GFX90A:TG_SPLIT: 0
	.section	.text._ZN7rocprim17ROCPRIM_400000_NS6detail17trampoline_kernelINS0_14default_configENS1_29reduce_by_key_config_selectorIjtN6thrust23THRUST_200600_302600_NS4plusItEEEEZZNS1_33reduce_by_key_impl_wrapped_configILNS1_25lookback_scan_determinismE0ES3_S9_NS6_6detail15normal_iteratorINS6_10device_ptrIjEEEENSD_INSE_ItEEEENS6_16discard_iteratorINS6_11use_defaultEEESI_PmS8_NS6_8equal_toIjEEEE10hipError_tPvRmT2_T3_mT4_T5_T6_T7_T8_P12ihipStream_tbENKUlT_T0_E_clISt17integral_constantIbLb0EES15_IbLb1EEEEDaS11_S12_EUlS11_E_NS1_11comp_targetILNS1_3genE10ELNS1_11target_archE1201ELNS1_3gpuE5ELNS1_3repE0EEENS1_30default_config_static_selectorELNS0_4arch9wavefront6targetE1EEEvT1_,"axG",@progbits,_ZN7rocprim17ROCPRIM_400000_NS6detail17trampoline_kernelINS0_14default_configENS1_29reduce_by_key_config_selectorIjtN6thrust23THRUST_200600_302600_NS4plusItEEEEZZNS1_33reduce_by_key_impl_wrapped_configILNS1_25lookback_scan_determinismE0ES3_S9_NS6_6detail15normal_iteratorINS6_10device_ptrIjEEEENSD_INSE_ItEEEENS6_16discard_iteratorINS6_11use_defaultEEESI_PmS8_NS6_8equal_toIjEEEE10hipError_tPvRmT2_T3_mT4_T5_T6_T7_T8_P12ihipStream_tbENKUlT_T0_E_clISt17integral_constantIbLb0EES15_IbLb1EEEEDaS11_S12_EUlS11_E_NS1_11comp_targetILNS1_3genE10ELNS1_11target_archE1201ELNS1_3gpuE5ELNS1_3repE0EEENS1_30default_config_static_selectorELNS0_4arch9wavefront6targetE1EEEvT1_,comdat
	.protected	_ZN7rocprim17ROCPRIM_400000_NS6detail17trampoline_kernelINS0_14default_configENS1_29reduce_by_key_config_selectorIjtN6thrust23THRUST_200600_302600_NS4plusItEEEEZZNS1_33reduce_by_key_impl_wrapped_configILNS1_25lookback_scan_determinismE0ES3_S9_NS6_6detail15normal_iteratorINS6_10device_ptrIjEEEENSD_INSE_ItEEEENS6_16discard_iteratorINS6_11use_defaultEEESI_PmS8_NS6_8equal_toIjEEEE10hipError_tPvRmT2_T3_mT4_T5_T6_T7_T8_P12ihipStream_tbENKUlT_T0_E_clISt17integral_constantIbLb0EES15_IbLb1EEEEDaS11_S12_EUlS11_E_NS1_11comp_targetILNS1_3genE10ELNS1_11target_archE1201ELNS1_3gpuE5ELNS1_3repE0EEENS1_30default_config_static_selectorELNS0_4arch9wavefront6targetE1EEEvT1_ ; -- Begin function _ZN7rocprim17ROCPRIM_400000_NS6detail17trampoline_kernelINS0_14default_configENS1_29reduce_by_key_config_selectorIjtN6thrust23THRUST_200600_302600_NS4plusItEEEEZZNS1_33reduce_by_key_impl_wrapped_configILNS1_25lookback_scan_determinismE0ES3_S9_NS6_6detail15normal_iteratorINS6_10device_ptrIjEEEENSD_INSE_ItEEEENS6_16discard_iteratorINS6_11use_defaultEEESI_PmS8_NS6_8equal_toIjEEEE10hipError_tPvRmT2_T3_mT4_T5_T6_T7_T8_P12ihipStream_tbENKUlT_T0_E_clISt17integral_constantIbLb0EES15_IbLb1EEEEDaS11_S12_EUlS11_E_NS1_11comp_targetILNS1_3genE10ELNS1_11target_archE1201ELNS1_3gpuE5ELNS1_3repE0EEENS1_30default_config_static_selectorELNS0_4arch9wavefront6targetE1EEEvT1_
	.globl	_ZN7rocprim17ROCPRIM_400000_NS6detail17trampoline_kernelINS0_14default_configENS1_29reduce_by_key_config_selectorIjtN6thrust23THRUST_200600_302600_NS4plusItEEEEZZNS1_33reduce_by_key_impl_wrapped_configILNS1_25lookback_scan_determinismE0ES3_S9_NS6_6detail15normal_iteratorINS6_10device_ptrIjEEEENSD_INSE_ItEEEENS6_16discard_iteratorINS6_11use_defaultEEESI_PmS8_NS6_8equal_toIjEEEE10hipError_tPvRmT2_T3_mT4_T5_T6_T7_T8_P12ihipStream_tbENKUlT_T0_E_clISt17integral_constantIbLb0EES15_IbLb1EEEEDaS11_S12_EUlS11_E_NS1_11comp_targetILNS1_3genE10ELNS1_11target_archE1201ELNS1_3gpuE5ELNS1_3repE0EEENS1_30default_config_static_selectorELNS0_4arch9wavefront6targetE1EEEvT1_
	.p2align	8
	.type	_ZN7rocprim17ROCPRIM_400000_NS6detail17trampoline_kernelINS0_14default_configENS1_29reduce_by_key_config_selectorIjtN6thrust23THRUST_200600_302600_NS4plusItEEEEZZNS1_33reduce_by_key_impl_wrapped_configILNS1_25lookback_scan_determinismE0ES3_S9_NS6_6detail15normal_iteratorINS6_10device_ptrIjEEEENSD_INSE_ItEEEENS6_16discard_iteratorINS6_11use_defaultEEESI_PmS8_NS6_8equal_toIjEEEE10hipError_tPvRmT2_T3_mT4_T5_T6_T7_T8_P12ihipStream_tbENKUlT_T0_E_clISt17integral_constantIbLb0EES15_IbLb1EEEEDaS11_S12_EUlS11_E_NS1_11comp_targetILNS1_3genE10ELNS1_11target_archE1201ELNS1_3gpuE5ELNS1_3repE0EEENS1_30default_config_static_selectorELNS0_4arch9wavefront6targetE1EEEvT1_,@function
_ZN7rocprim17ROCPRIM_400000_NS6detail17trampoline_kernelINS0_14default_configENS1_29reduce_by_key_config_selectorIjtN6thrust23THRUST_200600_302600_NS4plusItEEEEZZNS1_33reduce_by_key_impl_wrapped_configILNS1_25lookback_scan_determinismE0ES3_S9_NS6_6detail15normal_iteratorINS6_10device_ptrIjEEEENSD_INSE_ItEEEENS6_16discard_iteratorINS6_11use_defaultEEESI_PmS8_NS6_8equal_toIjEEEE10hipError_tPvRmT2_T3_mT4_T5_T6_T7_T8_P12ihipStream_tbENKUlT_T0_E_clISt17integral_constantIbLb0EES15_IbLb1EEEEDaS11_S12_EUlS11_E_NS1_11comp_targetILNS1_3genE10ELNS1_11target_archE1201ELNS1_3gpuE5ELNS1_3repE0EEENS1_30default_config_static_selectorELNS0_4arch9wavefront6targetE1EEEvT1_: ; @_ZN7rocprim17ROCPRIM_400000_NS6detail17trampoline_kernelINS0_14default_configENS1_29reduce_by_key_config_selectorIjtN6thrust23THRUST_200600_302600_NS4plusItEEEEZZNS1_33reduce_by_key_impl_wrapped_configILNS1_25lookback_scan_determinismE0ES3_S9_NS6_6detail15normal_iteratorINS6_10device_ptrIjEEEENSD_INSE_ItEEEENS6_16discard_iteratorINS6_11use_defaultEEESI_PmS8_NS6_8equal_toIjEEEE10hipError_tPvRmT2_T3_mT4_T5_T6_T7_T8_P12ihipStream_tbENKUlT_T0_E_clISt17integral_constantIbLb0EES15_IbLb1EEEEDaS11_S12_EUlS11_E_NS1_11comp_targetILNS1_3genE10ELNS1_11target_archE1201ELNS1_3gpuE5ELNS1_3repE0EEENS1_30default_config_static_selectorELNS0_4arch9wavefront6targetE1EEEvT1_
; %bb.0:
	.section	.rodata,"a",@progbits
	.p2align	6, 0x0
	.amdhsa_kernel _ZN7rocprim17ROCPRIM_400000_NS6detail17trampoline_kernelINS0_14default_configENS1_29reduce_by_key_config_selectorIjtN6thrust23THRUST_200600_302600_NS4plusItEEEEZZNS1_33reduce_by_key_impl_wrapped_configILNS1_25lookback_scan_determinismE0ES3_S9_NS6_6detail15normal_iteratorINS6_10device_ptrIjEEEENSD_INSE_ItEEEENS6_16discard_iteratorINS6_11use_defaultEEESI_PmS8_NS6_8equal_toIjEEEE10hipError_tPvRmT2_T3_mT4_T5_T6_T7_T8_P12ihipStream_tbENKUlT_T0_E_clISt17integral_constantIbLb0EES15_IbLb1EEEEDaS11_S12_EUlS11_E_NS1_11comp_targetILNS1_3genE10ELNS1_11target_archE1201ELNS1_3gpuE5ELNS1_3repE0EEENS1_30default_config_static_selectorELNS0_4arch9wavefront6targetE1EEEvT1_
		.amdhsa_group_segment_fixed_size 0
		.amdhsa_private_segment_fixed_size 0
		.amdhsa_kernarg_size 128
		.amdhsa_user_sgpr_count 6
		.amdhsa_user_sgpr_private_segment_buffer 1
		.amdhsa_user_sgpr_dispatch_ptr 0
		.amdhsa_user_sgpr_queue_ptr 0
		.amdhsa_user_sgpr_kernarg_segment_ptr 1
		.amdhsa_user_sgpr_dispatch_id 0
		.amdhsa_user_sgpr_flat_scratch_init 0
		.amdhsa_user_sgpr_kernarg_preload_length 0
		.amdhsa_user_sgpr_kernarg_preload_offset 0
		.amdhsa_user_sgpr_private_segment_size 0
		.amdhsa_uses_dynamic_stack 0
		.amdhsa_system_sgpr_private_segment_wavefront_offset 0
		.amdhsa_system_sgpr_workgroup_id_x 1
		.amdhsa_system_sgpr_workgroup_id_y 0
		.amdhsa_system_sgpr_workgroup_id_z 0
		.amdhsa_system_sgpr_workgroup_info 0
		.amdhsa_system_vgpr_workitem_id 0
		.amdhsa_next_free_vgpr 1
		.amdhsa_next_free_sgpr 0
		.amdhsa_accum_offset 4
		.amdhsa_reserve_vcc 0
		.amdhsa_reserve_flat_scratch 0
		.amdhsa_float_round_mode_32 0
		.amdhsa_float_round_mode_16_64 0
		.amdhsa_float_denorm_mode_32 3
		.amdhsa_float_denorm_mode_16_64 3
		.amdhsa_dx10_clamp 1
		.amdhsa_ieee_mode 1
		.amdhsa_fp16_overflow 0
		.amdhsa_tg_split 0
		.amdhsa_exception_fp_ieee_invalid_op 0
		.amdhsa_exception_fp_denorm_src 0
		.amdhsa_exception_fp_ieee_div_zero 0
		.amdhsa_exception_fp_ieee_overflow 0
		.amdhsa_exception_fp_ieee_underflow 0
		.amdhsa_exception_fp_ieee_inexact 0
		.amdhsa_exception_int_div_zero 0
	.end_amdhsa_kernel
	.section	.text._ZN7rocprim17ROCPRIM_400000_NS6detail17trampoline_kernelINS0_14default_configENS1_29reduce_by_key_config_selectorIjtN6thrust23THRUST_200600_302600_NS4plusItEEEEZZNS1_33reduce_by_key_impl_wrapped_configILNS1_25lookback_scan_determinismE0ES3_S9_NS6_6detail15normal_iteratorINS6_10device_ptrIjEEEENSD_INSE_ItEEEENS6_16discard_iteratorINS6_11use_defaultEEESI_PmS8_NS6_8equal_toIjEEEE10hipError_tPvRmT2_T3_mT4_T5_T6_T7_T8_P12ihipStream_tbENKUlT_T0_E_clISt17integral_constantIbLb0EES15_IbLb1EEEEDaS11_S12_EUlS11_E_NS1_11comp_targetILNS1_3genE10ELNS1_11target_archE1201ELNS1_3gpuE5ELNS1_3repE0EEENS1_30default_config_static_selectorELNS0_4arch9wavefront6targetE1EEEvT1_,"axG",@progbits,_ZN7rocprim17ROCPRIM_400000_NS6detail17trampoline_kernelINS0_14default_configENS1_29reduce_by_key_config_selectorIjtN6thrust23THRUST_200600_302600_NS4plusItEEEEZZNS1_33reduce_by_key_impl_wrapped_configILNS1_25lookback_scan_determinismE0ES3_S9_NS6_6detail15normal_iteratorINS6_10device_ptrIjEEEENSD_INSE_ItEEEENS6_16discard_iteratorINS6_11use_defaultEEESI_PmS8_NS6_8equal_toIjEEEE10hipError_tPvRmT2_T3_mT4_T5_T6_T7_T8_P12ihipStream_tbENKUlT_T0_E_clISt17integral_constantIbLb0EES15_IbLb1EEEEDaS11_S12_EUlS11_E_NS1_11comp_targetILNS1_3genE10ELNS1_11target_archE1201ELNS1_3gpuE5ELNS1_3repE0EEENS1_30default_config_static_selectorELNS0_4arch9wavefront6targetE1EEEvT1_,comdat
.Lfunc_end981:
	.size	_ZN7rocprim17ROCPRIM_400000_NS6detail17trampoline_kernelINS0_14default_configENS1_29reduce_by_key_config_selectorIjtN6thrust23THRUST_200600_302600_NS4plusItEEEEZZNS1_33reduce_by_key_impl_wrapped_configILNS1_25lookback_scan_determinismE0ES3_S9_NS6_6detail15normal_iteratorINS6_10device_ptrIjEEEENSD_INSE_ItEEEENS6_16discard_iteratorINS6_11use_defaultEEESI_PmS8_NS6_8equal_toIjEEEE10hipError_tPvRmT2_T3_mT4_T5_T6_T7_T8_P12ihipStream_tbENKUlT_T0_E_clISt17integral_constantIbLb0EES15_IbLb1EEEEDaS11_S12_EUlS11_E_NS1_11comp_targetILNS1_3genE10ELNS1_11target_archE1201ELNS1_3gpuE5ELNS1_3repE0EEENS1_30default_config_static_selectorELNS0_4arch9wavefront6targetE1EEEvT1_, .Lfunc_end981-_ZN7rocprim17ROCPRIM_400000_NS6detail17trampoline_kernelINS0_14default_configENS1_29reduce_by_key_config_selectorIjtN6thrust23THRUST_200600_302600_NS4plusItEEEEZZNS1_33reduce_by_key_impl_wrapped_configILNS1_25lookback_scan_determinismE0ES3_S9_NS6_6detail15normal_iteratorINS6_10device_ptrIjEEEENSD_INSE_ItEEEENS6_16discard_iteratorINS6_11use_defaultEEESI_PmS8_NS6_8equal_toIjEEEE10hipError_tPvRmT2_T3_mT4_T5_T6_T7_T8_P12ihipStream_tbENKUlT_T0_E_clISt17integral_constantIbLb0EES15_IbLb1EEEEDaS11_S12_EUlS11_E_NS1_11comp_targetILNS1_3genE10ELNS1_11target_archE1201ELNS1_3gpuE5ELNS1_3repE0EEENS1_30default_config_static_selectorELNS0_4arch9wavefront6targetE1EEEvT1_
                                        ; -- End function
	.section	.AMDGPU.csdata,"",@progbits
; Kernel info:
; codeLenInByte = 0
; NumSgprs: 4
; NumVgprs: 0
; NumAgprs: 0
; TotalNumVgprs: 0
; ScratchSize: 0
; MemoryBound: 0
; FloatMode: 240
; IeeeMode: 1
; LDSByteSize: 0 bytes/workgroup (compile time only)
; SGPRBlocks: 0
; VGPRBlocks: 0
; NumSGPRsForWavesPerEU: 4
; NumVGPRsForWavesPerEU: 1
; AccumOffset: 4
; Occupancy: 8
; WaveLimiterHint : 0
; COMPUTE_PGM_RSRC2:SCRATCH_EN: 0
; COMPUTE_PGM_RSRC2:USER_SGPR: 6
; COMPUTE_PGM_RSRC2:TRAP_HANDLER: 0
; COMPUTE_PGM_RSRC2:TGID_X_EN: 1
; COMPUTE_PGM_RSRC2:TGID_Y_EN: 0
; COMPUTE_PGM_RSRC2:TGID_Z_EN: 0
; COMPUTE_PGM_RSRC2:TIDIG_COMP_CNT: 0
; COMPUTE_PGM_RSRC3_GFX90A:ACCUM_OFFSET: 0
; COMPUTE_PGM_RSRC3_GFX90A:TG_SPLIT: 0
	.section	.text._ZN7rocprim17ROCPRIM_400000_NS6detail17trampoline_kernelINS0_14default_configENS1_29reduce_by_key_config_selectorIjtN6thrust23THRUST_200600_302600_NS4plusItEEEEZZNS1_33reduce_by_key_impl_wrapped_configILNS1_25lookback_scan_determinismE0ES3_S9_NS6_6detail15normal_iteratorINS6_10device_ptrIjEEEENSD_INSE_ItEEEENS6_16discard_iteratorINS6_11use_defaultEEESI_PmS8_NS6_8equal_toIjEEEE10hipError_tPvRmT2_T3_mT4_T5_T6_T7_T8_P12ihipStream_tbENKUlT_T0_E_clISt17integral_constantIbLb0EES15_IbLb1EEEEDaS11_S12_EUlS11_E_NS1_11comp_targetILNS1_3genE10ELNS1_11target_archE1200ELNS1_3gpuE4ELNS1_3repE0EEENS1_30default_config_static_selectorELNS0_4arch9wavefront6targetE1EEEvT1_,"axG",@progbits,_ZN7rocprim17ROCPRIM_400000_NS6detail17trampoline_kernelINS0_14default_configENS1_29reduce_by_key_config_selectorIjtN6thrust23THRUST_200600_302600_NS4plusItEEEEZZNS1_33reduce_by_key_impl_wrapped_configILNS1_25lookback_scan_determinismE0ES3_S9_NS6_6detail15normal_iteratorINS6_10device_ptrIjEEEENSD_INSE_ItEEEENS6_16discard_iteratorINS6_11use_defaultEEESI_PmS8_NS6_8equal_toIjEEEE10hipError_tPvRmT2_T3_mT4_T5_T6_T7_T8_P12ihipStream_tbENKUlT_T0_E_clISt17integral_constantIbLb0EES15_IbLb1EEEEDaS11_S12_EUlS11_E_NS1_11comp_targetILNS1_3genE10ELNS1_11target_archE1200ELNS1_3gpuE4ELNS1_3repE0EEENS1_30default_config_static_selectorELNS0_4arch9wavefront6targetE1EEEvT1_,comdat
	.protected	_ZN7rocprim17ROCPRIM_400000_NS6detail17trampoline_kernelINS0_14default_configENS1_29reduce_by_key_config_selectorIjtN6thrust23THRUST_200600_302600_NS4plusItEEEEZZNS1_33reduce_by_key_impl_wrapped_configILNS1_25lookback_scan_determinismE0ES3_S9_NS6_6detail15normal_iteratorINS6_10device_ptrIjEEEENSD_INSE_ItEEEENS6_16discard_iteratorINS6_11use_defaultEEESI_PmS8_NS6_8equal_toIjEEEE10hipError_tPvRmT2_T3_mT4_T5_T6_T7_T8_P12ihipStream_tbENKUlT_T0_E_clISt17integral_constantIbLb0EES15_IbLb1EEEEDaS11_S12_EUlS11_E_NS1_11comp_targetILNS1_3genE10ELNS1_11target_archE1200ELNS1_3gpuE4ELNS1_3repE0EEENS1_30default_config_static_selectorELNS0_4arch9wavefront6targetE1EEEvT1_ ; -- Begin function _ZN7rocprim17ROCPRIM_400000_NS6detail17trampoline_kernelINS0_14default_configENS1_29reduce_by_key_config_selectorIjtN6thrust23THRUST_200600_302600_NS4plusItEEEEZZNS1_33reduce_by_key_impl_wrapped_configILNS1_25lookback_scan_determinismE0ES3_S9_NS6_6detail15normal_iteratorINS6_10device_ptrIjEEEENSD_INSE_ItEEEENS6_16discard_iteratorINS6_11use_defaultEEESI_PmS8_NS6_8equal_toIjEEEE10hipError_tPvRmT2_T3_mT4_T5_T6_T7_T8_P12ihipStream_tbENKUlT_T0_E_clISt17integral_constantIbLb0EES15_IbLb1EEEEDaS11_S12_EUlS11_E_NS1_11comp_targetILNS1_3genE10ELNS1_11target_archE1200ELNS1_3gpuE4ELNS1_3repE0EEENS1_30default_config_static_selectorELNS0_4arch9wavefront6targetE1EEEvT1_
	.globl	_ZN7rocprim17ROCPRIM_400000_NS6detail17trampoline_kernelINS0_14default_configENS1_29reduce_by_key_config_selectorIjtN6thrust23THRUST_200600_302600_NS4plusItEEEEZZNS1_33reduce_by_key_impl_wrapped_configILNS1_25lookback_scan_determinismE0ES3_S9_NS6_6detail15normal_iteratorINS6_10device_ptrIjEEEENSD_INSE_ItEEEENS6_16discard_iteratorINS6_11use_defaultEEESI_PmS8_NS6_8equal_toIjEEEE10hipError_tPvRmT2_T3_mT4_T5_T6_T7_T8_P12ihipStream_tbENKUlT_T0_E_clISt17integral_constantIbLb0EES15_IbLb1EEEEDaS11_S12_EUlS11_E_NS1_11comp_targetILNS1_3genE10ELNS1_11target_archE1200ELNS1_3gpuE4ELNS1_3repE0EEENS1_30default_config_static_selectorELNS0_4arch9wavefront6targetE1EEEvT1_
	.p2align	8
	.type	_ZN7rocprim17ROCPRIM_400000_NS6detail17trampoline_kernelINS0_14default_configENS1_29reduce_by_key_config_selectorIjtN6thrust23THRUST_200600_302600_NS4plusItEEEEZZNS1_33reduce_by_key_impl_wrapped_configILNS1_25lookback_scan_determinismE0ES3_S9_NS6_6detail15normal_iteratorINS6_10device_ptrIjEEEENSD_INSE_ItEEEENS6_16discard_iteratorINS6_11use_defaultEEESI_PmS8_NS6_8equal_toIjEEEE10hipError_tPvRmT2_T3_mT4_T5_T6_T7_T8_P12ihipStream_tbENKUlT_T0_E_clISt17integral_constantIbLb0EES15_IbLb1EEEEDaS11_S12_EUlS11_E_NS1_11comp_targetILNS1_3genE10ELNS1_11target_archE1200ELNS1_3gpuE4ELNS1_3repE0EEENS1_30default_config_static_selectorELNS0_4arch9wavefront6targetE1EEEvT1_,@function
_ZN7rocprim17ROCPRIM_400000_NS6detail17trampoline_kernelINS0_14default_configENS1_29reduce_by_key_config_selectorIjtN6thrust23THRUST_200600_302600_NS4plusItEEEEZZNS1_33reduce_by_key_impl_wrapped_configILNS1_25lookback_scan_determinismE0ES3_S9_NS6_6detail15normal_iteratorINS6_10device_ptrIjEEEENSD_INSE_ItEEEENS6_16discard_iteratorINS6_11use_defaultEEESI_PmS8_NS6_8equal_toIjEEEE10hipError_tPvRmT2_T3_mT4_T5_T6_T7_T8_P12ihipStream_tbENKUlT_T0_E_clISt17integral_constantIbLb0EES15_IbLb1EEEEDaS11_S12_EUlS11_E_NS1_11comp_targetILNS1_3genE10ELNS1_11target_archE1200ELNS1_3gpuE4ELNS1_3repE0EEENS1_30default_config_static_selectorELNS0_4arch9wavefront6targetE1EEEvT1_: ; @_ZN7rocprim17ROCPRIM_400000_NS6detail17trampoline_kernelINS0_14default_configENS1_29reduce_by_key_config_selectorIjtN6thrust23THRUST_200600_302600_NS4plusItEEEEZZNS1_33reduce_by_key_impl_wrapped_configILNS1_25lookback_scan_determinismE0ES3_S9_NS6_6detail15normal_iteratorINS6_10device_ptrIjEEEENSD_INSE_ItEEEENS6_16discard_iteratorINS6_11use_defaultEEESI_PmS8_NS6_8equal_toIjEEEE10hipError_tPvRmT2_T3_mT4_T5_T6_T7_T8_P12ihipStream_tbENKUlT_T0_E_clISt17integral_constantIbLb0EES15_IbLb1EEEEDaS11_S12_EUlS11_E_NS1_11comp_targetILNS1_3genE10ELNS1_11target_archE1200ELNS1_3gpuE4ELNS1_3repE0EEENS1_30default_config_static_selectorELNS0_4arch9wavefront6targetE1EEEvT1_
; %bb.0:
	.section	.rodata,"a",@progbits
	.p2align	6, 0x0
	.amdhsa_kernel _ZN7rocprim17ROCPRIM_400000_NS6detail17trampoline_kernelINS0_14default_configENS1_29reduce_by_key_config_selectorIjtN6thrust23THRUST_200600_302600_NS4plusItEEEEZZNS1_33reduce_by_key_impl_wrapped_configILNS1_25lookback_scan_determinismE0ES3_S9_NS6_6detail15normal_iteratorINS6_10device_ptrIjEEEENSD_INSE_ItEEEENS6_16discard_iteratorINS6_11use_defaultEEESI_PmS8_NS6_8equal_toIjEEEE10hipError_tPvRmT2_T3_mT4_T5_T6_T7_T8_P12ihipStream_tbENKUlT_T0_E_clISt17integral_constantIbLb0EES15_IbLb1EEEEDaS11_S12_EUlS11_E_NS1_11comp_targetILNS1_3genE10ELNS1_11target_archE1200ELNS1_3gpuE4ELNS1_3repE0EEENS1_30default_config_static_selectorELNS0_4arch9wavefront6targetE1EEEvT1_
		.amdhsa_group_segment_fixed_size 0
		.amdhsa_private_segment_fixed_size 0
		.amdhsa_kernarg_size 128
		.amdhsa_user_sgpr_count 6
		.amdhsa_user_sgpr_private_segment_buffer 1
		.amdhsa_user_sgpr_dispatch_ptr 0
		.amdhsa_user_sgpr_queue_ptr 0
		.amdhsa_user_sgpr_kernarg_segment_ptr 1
		.amdhsa_user_sgpr_dispatch_id 0
		.amdhsa_user_sgpr_flat_scratch_init 0
		.amdhsa_user_sgpr_kernarg_preload_length 0
		.amdhsa_user_sgpr_kernarg_preload_offset 0
		.amdhsa_user_sgpr_private_segment_size 0
		.amdhsa_uses_dynamic_stack 0
		.amdhsa_system_sgpr_private_segment_wavefront_offset 0
		.amdhsa_system_sgpr_workgroup_id_x 1
		.amdhsa_system_sgpr_workgroup_id_y 0
		.amdhsa_system_sgpr_workgroup_id_z 0
		.amdhsa_system_sgpr_workgroup_info 0
		.amdhsa_system_vgpr_workitem_id 0
		.amdhsa_next_free_vgpr 1
		.amdhsa_next_free_sgpr 0
		.amdhsa_accum_offset 4
		.amdhsa_reserve_vcc 0
		.amdhsa_reserve_flat_scratch 0
		.amdhsa_float_round_mode_32 0
		.amdhsa_float_round_mode_16_64 0
		.amdhsa_float_denorm_mode_32 3
		.amdhsa_float_denorm_mode_16_64 3
		.amdhsa_dx10_clamp 1
		.amdhsa_ieee_mode 1
		.amdhsa_fp16_overflow 0
		.amdhsa_tg_split 0
		.amdhsa_exception_fp_ieee_invalid_op 0
		.amdhsa_exception_fp_denorm_src 0
		.amdhsa_exception_fp_ieee_div_zero 0
		.amdhsa_exception_fp_ieee_overflow 0
		.amdhsa_exception_fp_ieee_underflow 0
		.amdhsa_exception_fp_ieee_inexact 0
		.amdhsa_exception_int_div_zero 0
	.end_amdhsa_kernel
	.section	.text._ZN7rocprim17ROCPRIM_400000_NS6detail17trampoline_kernelINS0_14default_configENS1_29reduce_by_key_config_selectorIjtN6thrust23THRUST_200600_302600_NS4plusItEEEEZZNS1_33reduce_by_key_impl_wrapped_configILNS1_25lookback_scan_determinismE0ES3_S9_NS6_6detail15normal_iteratorINS6_10device_ptrIjEEEENSD_INSE_ItEEEENS6_16discard_iteratorINS6_11use_defaultEEESI_PmS8_NS6_8equal_toIjEEEE10hipError_tPvRmT2_T3_mT4_T5_T6_T7_T8_P12ihipStream_tbENKUlT_T0_E_clISt17integral_constantIbLb0EES15_IbLb1EEEEDaS11_S12_EUlS11_E_NS1_11comp_targetILNS1_3genE10ELNS1_11target_archE1200ELNS1_3gpuE4ELNS1_3repE0EEENS1_30default_config_static_selectorELNS0_4arch9wavefront6targetE1EEEvT1_,"axG",@progbits,_ZN7rocprim17ROCPRIM_400000_NS6detail17trampoline_kernelINS0_14default_configENS1_29reduce_by_key_config_selectorIjtN6thrust23THRUST_200600_302600_NS4plusItEEEEZZNS1_33reduce_by_key_impl_wrapped_configILNS1_25lookback_scan_determinismE0ES3_S9_NS6_6detail15normal_iteratorINS6_10device_ptrIjEEEENSD_INSE_ItEEEENS6_16discard_iteratorINS6_11use_defaultEEESI_PmS8_NS6_8equal_toIjEEEE10hipError_tPvRmT2_T3_mT4_T5_T6_T7_T8_P12ihipStream_tbENKUlT_T0_E_clISt17integral_constantIbLb0EES15_IbLb1EEEEDaS11_S12_EUlS11_E_NS1_11comp_targetILNS1_3genE10ELNS1_11target_archE1200ELNS1_3gpuE4ELNS1_3repE0EEENS1_30default_config_static_selectorELNS0_4arch9wavefront6targetE1EEEvT1_,comdat
.Lfunc_end982:
	.size	_ZN7rocprim17ROCPRIM_400000_NS6detail17trampoline_kernelINS0_14default_configENS1_29reduce_by_key_config_selectorIjtN6thrust23THRUST_200600_302600_NS4plusItEEEEZZNS1_33reduce_by_key_impl_wrapped_configILNS1_25lookback_scan_determinismE0ES3_S9_NS6_6detail15normal_iteratorINS6_10device_ptrIjEEEENSD_INSE_ItEEEENS6_16discard_iteratorINS6_11use_defaultEEESI_PmS8_NS6_8equal_toIjEEEE10hipError_tPvRmT2_T3_mT4_T5_T6_T7_T8_P12ihipStream_tbENKUlT_T0_E_clISt17integral_constantIbLb0EES15_IbLb1EEEEDaS11_S12_EUlS11_E_NS1_11comp_targetILNS1_3genE10ELNS1_11target_archE1200ELNS1_3gpuE4ELNS1_3repE0EEENS1_30default_config_static_selectorELNS0_4arch9wavefront6targetE1EEEvT1_, .Lfunc_end982-_ZN7rocprim17ROCPRIM_400000_NS6detail17trampoline_kernelINS0_14default_configENS1_29reduce_by_key_config_selectorIjtN6thrust23THRUST_200600_302600_NS4plusItEEEEZZNS1_33reduce_by_key_impl_wrapped_configILNS1_25lookback_scan_determinismE0ES3_S9_NS6_6detail15normal_iteratorINS6_10device_ptrIjEEEENSD_INSE_ItEEEENS6_16discard_iteratorINS6_11use_defaultEEESI_PmS8_NS6_8equal_toIjEEEE10hipError_tPvRmT2_T3_mT4_T5_T6_T7_T8_P12ihipStream_tbENKUlT_T0_E_clISt17integral_constantIbLb0EES15_IbLb1EEEEDaS11_S12_EUlS11_E_NS1_11comp_targetILNS1_3genE10ELNS1_11target_archE1200ELNS1_3gpuE4ELNS1_3repE0EEENS1_30default_config_static_selectorELNS0_4arch9wavefront6targetE1EEEvT1_
                                        ; -- End function
	.section	.AMDGPU.csdata,"",@progbits
; Kernel info:
; codeLenInByte = 0
; NumSgprs: 4
; NumVgprs: 0
; NumAgprs: 0
; TotalNumVgprs: 0
; ScratchSize: 0
; MemoryBound: 0
; FloatMode: 240
; IeeeMode: 1
; LDSByteSize: 0 bytes/workgroup (compile time only)
; SGPRBlocks: 0
; VGPRBlocks: 0
; NumSGPRsForWavesPerEU: 4
; NumVGPRsForWavesPerEU: 1
; AccumOffset: 4
; Occupancy: 8
; WaveLimiterHint : 0
; COMPUTE_PGM_RSRC2:SCRATCH_EN: 0
; COMPUTE_PGM_RSRC2:USER_SGPR: 6
; COMPUTE_PGM_RSRC2:TRAP_HANDLER: 0
; COMPUTE_PGM_RSRC2:TGID_X_EN: 1
; COMPUTE_PGM_RSRC2:TGID_Y_EN: 0
; COMPUTE_PGM_RSRC2:TGID_Z_EN: 0
; COMPUTE_PGM_RSRC2:TIDIG_COMP_CNT: 0
; COMPUTE_PGM_RSRC3_GFX90A:ACCUM_OFFSET: 0
; COMPUTE_PGM_RSRC3_GFX90A:TG_SPLIT: 0
	.section	.text._ZN7rocprim17ROCPRIM_400000_NS6detail17trampoline_kernelINS0_14default_configENS1_29reduce_by_key_config_selectorIjtN6thrust23THRUST_200600_302600_NS4plusItEEEEZZNS1_33reduce_by_key_impl_wrapped_configILNS1_25lookback_scan_determinismE0ES3_S9_NS6_6detail15normal_iteratorINS6_10device_ptrIjEEEENSD_INSE_ItEEEENS6_16discard_iteratorINS6_11use_defaultEEESI_PmS8_NS6_8equal_toIjEEEE10hipError_tPvRmT2_T3_mT4_T5_T6_T7_T8_P12ihipStream_tbENKUlT_T0_E_clISt17integral_constantIbLb0EES15_IbLb1EEEEDaS11_S12_EUlS11_E_NS1_11comp_targetILNS1_3genE9ELNS1_11target_archE1100ELNS1_3gpuE3ELNS1_3repE0EEENS1_30default_config_static_selectorELNS0_4arch9wavefront6targetE1EEEvT1_,"axG",@progbits,_ZN7rocprim17ROCPRIM_400000_NS6detail17trampoline_kernelINS0_14default_configENS1_29reduce_by_key_config_selectorIjtN6thrust23THRUST_200600_302600_NS4plusItEEEEZZNS1_33reduce_by_key_impl_wrapped_configILNS1_25lookback_scan_determinismE0ES3_S9_NS6_6detail15normal_iteratorINS6_10device_ptrIjEEEENSD_INSE_ItEEEENS6_16discard_iteratorINS6_11use_defaultEEESI_PmS8_NS6_8equal_toIjEEEE10hipError_tPvRmT2_T3_mT4_T5_T6_T7_T8_P12ihipStream_tbENKUlT_T0_E_clISt17integral_constantIbLb0EES15_IbLb1EEEEDaS11_S12_EUlS11_E_NS1_11comp_targetILNS1_3genE9ELNS1_11target_archE1100ELNS1_3gpuE3ELNS1_3repE0EEENS1_30default_config_static_selectorELNS0_4arch9wavefront6targetE1EEEvT1_,comdat
	.protected	_ZN7rocprim17ROCPRIM_400000_NS6detail17trampoline_kernelINS0_14default_configENS1_29reduce_by_key_config_selectorIjtN6thrust23THRUST_200600_302600_NS4plusItEEEEZZNS1_33reduce_by_key_impl_wrapped_configILNS1_25lookback_scan_determinismE0ES3_S9_NS6_6detail15normal_iteratorINS6_10device_ptrIjEEEENSD_INSE_ItEEEENS6_16discard_iteratorINS6_11use_defaultEEESI_PmS8_NS6_8equal_toIjEEEE10hipError_tPvRmT2_T3_mT4_T5_T6_T7_T8_P12ihipStream_tbENKUlT_T0_E_clISt17integral_constantIbLb0EES15_IbLb1EEEEDaS11_S12_EUlS11_E_NS1_11comp_targetILNS1_3genE9ELNS1_11target_archE1100ELNS1_3gpuE3ELNS1_3repE0EEENS1_30default_config_static_selectorELNS0_4arch9wavefront6targetE1EEEvT1_ ; -- Begin function _ZN7rocprim17ROCPRIM_400000_NS6detail17trampoline_kernelINS0_14default_configENS1_29reduce_by_key_config_selectorIjtN6thrust23THRUST_200600_302600_NS4plusItEEEEZZNS1_33reduce_by_key_impl_wrapped_configILNS1_25lookback_scan_determinismE0ES3_S9_NS6_6detail15normal_iteratorINS6_10device_ptrIjEEEENSD_INSE_ItEEEENS6_16discard_iteratorINS6_11use_defaultEEESI_PmS8_NS6_8equal_toIjEEEE10hipError_tPvRmT2_T3_mT4_T5_T6_T7_T8_P12ihipStream_tbENKUlT_T0_E_clISt17integral_constantIbLb0EES15_IbLb1EEEEDaS11_S12_EUlS11_E_NS1_11comp_targetILNS1_3genE9ELNS1_11target_archE1100ELNS1_3gpuE3ELNS1_3repE0EEENS1_30default_config_static_selectorELNS0_4arch9wavefront6targetE1EEEvT1_
	.globl	_ZN7rocprim17ROCPRIM_400000_NS6detail17trampoline_kernelINS0_14default_configENS1_29reduce_by_key_config_selectorIjtN6thrust23THRUST_200600_302600_NS4plusItEEEEZZNS1_33reduce_by_key_impl_wrapped_configILNS1_25lookback_scan_determinismE0ES3_S9_NS6_6detail15normal_iteratorINS6_10device_ptrIjEEEENSD_INSE_ItEEEENS6_16discard_iteratorINS6_11use_defaultEEESI_PmS8_NS6_8equal_toIjEEEE10hipError_tPvRmT2_T3_mT4_T5_T6_T7_T8_P12ihipStream_tbENKUlT_T0_E_clISt17integral_constantIbLb0EES15_IbLb1EEEEDaS11_S12_EUlS11_E_NS1_11comp_targetILNS1_3genE9ELNS1_11target_archE1100ELNS1_3gpuE3ELNS1_3repE0EEENS1_30default_config_static_selectorELNS0_4arch9wavefront6targetE1EEEvT1_
	.p2align	8
	.type	_ZN7rocprim17ROCPRIM_400000_NS6detail17trampoline_kernelINS0_14default_configENS1_29reduce_by_key_config_selectorIjtN6thrust23THRUST_200600_302600_NS4plusItEEEEZZNS1_33reduce_by_key_impl_wrapped_configILNS1_25lookback_scan_determinismE0ES3_S9_NS6_6detail15normal_iteratorINS6_10device_ptrIjEEEENSD_INSE_ItEEEENS6_16discard_iteratorINS6_11use_defaultEEESI_PmS8_NS6_8equal_toIjEEEE10hipError_tPvRmT2_T3_mT4_T5_T6_T7_T8_P12ihipStream_tbENKUlT_T0_E_clISt17integral_constantIbLb0EES15_IbLb1EEEEDaS11_S12_EUlS11_E_NS1_11comp_targetILNS1_3genE9ELNS1_11target_archE1100ELNS1_3gpuE3ELNS1_3repE0EEENS1_30default_config_static_selectorELNS0_4arch9wavefront6targetE1EEEvT1_,@function
_ZN7rocprim17ROCPRIM_400000_NS6detail17trampoline_kernelINS0_14default_configENS1_29reduce_by_key_config_selectorIjtN6thrust23THRUST_200600_302600_NS4plusItEEEEZZNS1_33reduce_by_key_impl_wrapped_configILNS1_25lookback_scan_determinismE0ES3_S9_NS6_6detail15normal_iteratorINS6_10device_ptrIjEEEENSD_INSE_ItEEEENS6_16discard_iteratorINS6_11use_defaultEEESI_PmS8_NS6_8equal_toIjEEEE10hipError_tPvRmT2_T3_mT4_T5_T6_T7_T8_P12ihipStream_tbENKUlT_T0_E_clISt17integral_constantIbLb0EES15_IbLb1EEEEDaS11_S12_EUlS11_E_NS1_11comp_targetILNS1_3genE9ELNS1_11target_archE1100ELNS1_3gpuE3ELNS1_3repE0EEENS1_30default_config_static_selectorELNS0_4arch9wavefront6targetE1EEEvT1_: ; @_ZN7rocprim17ROCPRIM_400000_NS6detail17trampoline_kernelINS0_14default_configENS1_29reduce_by_key_config_selectorIjtN6thrust23THRUST_200600_302600_NS4plusItEEEEZZNS1_33reduce_by_key_impl_wrapped_configILNS1_25lookback_scan_determinismE0ES3_S9_NS6_6detail15normal_iteratorINS6_10device_ptrIjEEEENSD_INSE_ItEEEENS6_16discard_iteratorINS6_11use_defaultEEESI_PmS8_NS6_8equal_toIjEEEE10hipError_tPvRmT2_T3_mT4_T5_T6_T7_T8_P12ihipStream_tbENKUlT_T0_E_clISt17integral_constantIbLb0EES15_IbLb1EEEEDaS11_S12_EUlS11_E_NS1_11comp_targetILNS1_3genE9ELNS1_11target_archE1100ELNS1_3gpuE3ELNS1_3repE0EEENS1_30default_config_static_selectorELNS0_4arch9wavefront6targetE1EEEvT1_
; %bb.0:
	.section	.rodata,"a",@progbits
	.p2align	6, 0x0
	.amdhsa_kernel _ZN7rocprim17ROCPRIM_400000_NS6detail17trampoline_kernelINS0_14default_configENS1_29reduce_by_key_config_selectorIjtN6thrust23THRUST_200600_302600_NS4plusItEEEEZZNS1_33reduce_by_key_impl_wrapped_configILNS1_25lookback_scan_determinismE0ES3_S9_NS6_6detail15normal_iteratorINS6_10device_ptrIjEEEENSD_INSE_ItEEEENS6_16discard_iteratorINS6_11use_defaultEEESI_PmS8_NS6_8equal_toIjEEEE10hipError_tPvRmT2_T3_mT4_T5_T6_T7_T8_P12ihipStream_tbENKUlT_T0_E_clISt17integral_constantIbLb0EES15_IbLb1EEEEDaS11_S12_EUlS11_E_NS1_11comp_targetILNS1_3genE9ELNS1_11target_archE1100ELNS1_3gpuE3ELNS1_3repE0EEENS1_30default_config_static_selectorELNS0_4arch9wavefront6targetE1EEEvT1_
		.amdhsa_group_segment_fixed_size 0
		.amdhsa_private_segment_fixed_size 0
		.amdhsa_kernarg_size 128
		.amdhsa_user_sgpr_count 6
		.amdhsa_user_sgpr_private_segment_buffer 1
		.amdhsa_user_sgpr_dispatch_ptr 0
		.amdhsa_user_sgpr_queue_ptr 0
		.amdhsa_user_sgpr_kernarg_segment_ptr 1
		.amdhsa_user_sgpr_dispatch_id 0
		.amdhsa_user_sgpr_flat_scratch_init 0
		.amdhsa_user_sgpr_kernarg_preload_length 0
		.amdhsa_user_sgpr_kernarg_preload_offset 0
		.amdhsa_user_sgpr_private_segment_size 0
		.amdhsa_uses_dynamic_stack 0
		.amdhsa_system_sgpr_private_segment_wavefront_offset 0
		.amdhsa_system_sgpr_workgroup_id_x 1
		.amdhsa_system_sgpr_workgroup_id_y 0
		.amdhsa_system_sgpr_workgroup_id_z 0
		.amdhsa_system_sgpr_workgroup_info 0
		.amdhsa_system_vgpr_workitem_id 0
		.amdhsa_next_free_vgpr 1
		.amdhsa_next_free_sgpr 0
		.amdhsa_accum_offset 4
		.amdhsa_reserve_vcc 0
		.amdhsa_reserve_flat_scratch 0
		.amdhsa_float_round_mode_32 0
		.amdhsa_float_round_mode_16_64 0
		.amdhsa_float_denorm_mode_32 3
		.amdhsa_float_denorm_mode_16_64 3
		.amdhsa_dx10_clamp 1
		.amdhsa_ieee_mode 1
		.amdhsa_fp16_overflow 0
		.amdhsa_tg_split 0
		.amdhsa_exception_fp_ieee_invalid_op 0
		.amdhsa_exception_fp_denorm_src 0
		.amdhsa_exception_fp_ieee_div_zero 0
		.amdhsa_exception_fp_ieee_overflow 0
		.amdhsa_exception_fp_ieee_underflow 0
		.amdhsa_exception_fp_ieee_inexact 0
		.amdhsa_exception_int_div_zero 0
	.end_amdhsa_kernel
	.section	.text._ZN7rocprim17ROCPRIM_400000_NS6detail17trampoline_kernelINS0_14default_configENS1_29reduce_by_key_config_selectorIjtN6thrust23THRUST_200600_302600_NS4plusItEEEEZZNS1_33reduce_by_key_impl_wrapped_configILNS1_25lookback_scan_determinismE0ES3_S9_NS6_6detail15normal_iteratorINS6_10device_ptrIjEEEENSD_INSE_ItEEEENS6_16discard_iteratorINS6_11use_defaultEEESI_PmS8_NS6_8equal_toIjEEEE10hipError_tPvRmT2_T3_mT4_T5_T6_T7_T8_P12ihipStream_tbENKUlT_T0_E_clISt17integral_constantIbLb0EES15_IbLb1EEEEDaS11_S12_EUlS11_E_NS1_11comp_targetILNS1_3genE9ELNS1_11target_archE1100ELNS1_3gpuE3ELNS1_3repE0EEENS1_30default_config_static_selectorELNS0_4arch9wavefront6targetE1EEEvT1_,"axG",@progbits,_ZN7rocprim17ROCPRIM_400000_NS6detail17trampoline_kernelINS0_14default_configENS1_29reduce_by_key_config_selectorIjtN6thrust23THRUST_200600_302600_NS4plusItEEEEZZNS1_33reduce_by_key_impl_wrapped_configILNS1_25lookback_scan_determinismE0ES3_S9_NS6_6detail15normal_iteratorINS6_10device_ptrIjEEEENSD_INSE_ItEEEENS6_16discard_iteratorINS6_11use_defaultEEESI_PmS8_NS6_8equal_toIjEEEE10hipError_tPvRmT2_T3_mT4_T5_T6_T7_T8_P12ihipStream_tbENKUlT_T0_E_clISt17integral_constantIbLb0EES15_IbLb1EEEEDaS11_S12_EUlS11_E_NS1_11comp_targetILNS1_3genE9ELNS1_11target_archE1100ELNS1_3gpuE3ELNS1_3repE0EEENS1_30default_config_static_selectorELNS0_4arch9wavefront6targetE1EEEvT1_,comdat
.Lfunc_end983:
	.size	_ZN7rocprim17ROCPRIM_400000_NS6detail17trampoline_kernelINS0_14default_configENS1_29reduce_by_key_config_selectorIjtN6thrust23THRUST_200600_302600_NS4plusItEEEEZZNS1_33reduce_by_key_impl_wrapped_configILNS1_25lookback_scan_determinismE0ES3_S9_NS6_6detail15normal_iteratorINS6_10device_ptrIjEEEENSD_INSE_ItEEEENS6_16discard_iteratorINS6_11use_defaultEEESI_PmS8_NS6_8equal_toIjEEEE10hipError_tPvRmT2_T3_mT4_T5_T6_T7_T8_P12ihipStream_tbENKUlT_T0_E_clISt17integral_constantIbLb0EES15_IbLb1EEEEDaS11_S12_EUlS11_E_NS1_11comp_targetILNS1_3genE9ELNS1_11target_archE1100ELNS1_3gpuE3ELNS1_3repE0EEENS1_30default_config_static_selectorELNS0_4arch9wavefront6targetE1EEEvT1_, .Lfunc_end983-_ZN7rocprim17ROCPRIM_400000_NS6detail17trampoline_kernelINS0_14default_configENS1_29reduce_by_key_config_selectorIjtN6thrust23THRUST_200600_302600_NS4plusItEEEEZZNS1_33reduce_by_key_impl_wrapped_configILNS1_25lookback_scan_determinismE0ES3_S9_NS6_6detail15normal_iteratorINS6_10device_ptrIjEEEENSD_INSE_ItEEEENS6_16discard_iteratorINS6_11use_defaultEEESI_PmS8_NS6_8equal_toIjEEEE10hipError_tPvRmT2_T3_mT4_T5_T6_T7_T8_P12ihipStream_tbENKUlT_T0_E_clISt17integral_constantIbLb0EES15_IbLb1EEEEDaS11_S12_EUlS11_E_NS1_11comp_targetILNS1_3genE9ELNS1_11target_archE1100ELNS1_3gpuE3ELNS1_3repE0EEENS1_30default_config_static_selectorELNS0_4arch9wavefront6targetE1EEEvT1_
                                        ; -- End function
	.section	.AMDGPU.csdata,"",@progbits
; Kernel info:
; codeLenInByte = 0
; NumSgprs: 4
; NumVgprs: 0
; NumAgprs: 0
; TotalNumVgprs: 0
; ScratchSize: 0
; MemoryBound: 0
; FloatMode: 240
; IeeeMode: 1
; LDSByteSize: 0 bytes/workgroup (compile time only)
; SGPRBlocks: 0
; VGPRBlocks: 0
; NumSGPRsForWavesPerEU: 4
; NumVGPRsForWavesPerEU: 1
; AccumOffset: 4
; Occupancy: 8
; WaveLimiterHint : 0
; COMPUTE_PGM_RSRC2:SCRATCH_EN: 0
; COMPUTE_PGM_RSRC2:USER_SGPR: 6
; COMPUTE_PGM_RSRC2:TRAP_HANDLER: 0
; COMPUTE_PGM_RSRC2:TGID_X_EN: 1
; COMPUTE_PGM_RSRC2:TGID_Y_EN: 0
; COMPUTE_PGM_RSRC2:TGID_Z_EN: 0
; COMPUTE_PGM_RSRC2:TIDIG_COMP_CNT: 0
; COMPUTE_PGM_RSRC3_GFX90A:ACCUM_OFFSET: 0
; COMPUTE_PGM_RSRC3_GFX90A:TG_SPLIT: 0
	.section	.text._ZN7rocprim17ROCPRIM_400000_NS6detail17trampoline_kernelINS0_14default_configENS1_29reduce_by_key_config_selectorIjtN6thrust23THRUST_200600_302600_NS4plusItEEEEZZNS1_33reduce_by_key_impl_wrapped_configILNS1_25lookback_scan_determinismE0ES3_S9_NS6_6detail15normal_iteratorINS6_10device_ptrIjEEEENSD_INSE_ItEEEENS6_16discard_iteratorINS6_11use_defaultEEESI_PmS8_NS6_8equal_toIjEEEE10hipError_tPvRmT2_T3_mT4_T5_T6_T7_T8_P12ihipStream_tbENKUlT_T0_E_clISt17integral_constantIbLb0EES15_IbLb1EEEEDaS11_S12_EUlS11_E_NS1_11comp_targetILNS1_3genE8ELNS1_11target_archE1030ELNS1_3gpuE2ELNS1_3repE0EEENS1_30default_config_static_selectorELNS0_4arch9wavefront6targetE1EEEvT1_,"axG",@progbits,_ZN7rocprim17ROCPRIM_400000_NS6detail17trampoline_kernelINS0_14default_configENS1_29reduce_by_key_config_selectorIjtN6thrust23THRUST_200600_302600_NS4plusItEEEEZZNS1_33reduce_by_key_impl_wrapped_configILNS1_25lookback_scan_determinismE0ES3_S9_NS6_6detail15normal_iteratorINS6_10device_ptrIjEEEENSD_INSE_ItEEEENS6_16discard_iteratorINS6_11use_defaultEEESI_PmS8_NS6_8equal_toIjEEEE10hipError_tPvRmT2_T3_mT4_T5_T6_T7_T8_P12ihipStream_tbENKUlT_T0_E_clISt17integral_constantIbLb0EES15_IbLb1EEEEDaS11_S12_EUlS11_E_NS1_11comp_targetILNS1_3genE8ELNS1_11target_archE1030ELNS1_3gpuE2ELNS1_3repE0EEENS1_30default_config_static_selectorELNS0_4arch9wavefront6targetE1EEEvT1_,comdat
	.protected	_ZN7rocprim17ROCPRIM_400000_NS6detail17trampoline_kernelINS0_14default_configENS1_29reduce_by_key_config_selectorIjtN6thrust23THRUST_200600_302600_NS4plusItEEEEZZNS1_33reduce_by_key_impl_wrapped_configILNS1_25lookback_scan_determinismE0ES3_S9_NS6_6detail15normal_iteratorINS6_10device_ptrIjEEEENSD_INSE_ItEEEENS6_16discard_iteratorINS6_11use_defaultEEESI_PmS8_NS6_8equal_toIjEEEE10hipError_tPvRmT2_T3_mT4_T5_T6_T7_T8_P12ihipStream_tbENKUlT_T0_E_clISt17integral_constantIbLb0EES15_IbLb1EEEEDaS11_S12_EUlS11_E_NS1_11comp_targetILNS1_3genE8ELNS1_11target_archE1030ELNS1_3gpuE2ELNS1_3repE0EEENS1_30default_config_static_selectorELNS0_4arch9wavefront6targetE1EEEvT1_ ; -- Begin function _ZN7rocprim17ROCPRIM_400000_NS6detail17trampoline_kernelINS0_14default_configENS1_29reduce_by_key_config_selectorIjtN6thrust23THRUST_200600_302600_NS4plusItEEEEZZNS1_33reduce_by_key_impl_wrapped_configILNS1_25lookback_scan_determinismE0ES3_S9_NS6_6detail15normal_iteratorINS6_10device_ptrIjEEEENSD_INSE_ItEEEENS6_16discard_iteratorINS6_11use_defaultEEESI_PmS8_NS6_8equal_toIjEEEE10hipError_tPvRmT2_T3_mT4_T5_T6_T7_T8_P12ihipStream_tbENKUlT_T0_E_clISt17integral_constantIbLb0EES15_IbLb1EEEEDaS11_S12_EUlS11_E_NS1_11comp_targetILNS1_3genE8ELNS1_11target_archE1030ELNS1_3gpuE2ELNS1_3repE0EEENS1_30default_config_static_selectorELNS0_4arch9wavefront6targetE1EEEvT1_
	.globl	_ZN7rocprim17ROCPRIM_400000_NS6detail17trampoline_kernelINS0_14default_configENS1_29reduce_by_key_config_selectorIjtN6thrust23THRUST_200600_302600_NS4plusItEEEEZZNS1_33reduce_by_key_impl_wrapped_configILNS1_25lookback_scan_determinismE0ES3_S9_NS6_6detail15normal_iteratorINS6_10device_ptrIjEEEENSD_INSE_ItEEEENS6_16discard_iteratorINS6_11use_defaultEEESI_PmS8_NS6_8equal_toIjEEEE10hipError_tPvRmT2_T3_mT4_T5_T6_T7_T8_P12ihipStream_tbENKUlT_T0_E_clISt17integral_constantIbLb0EES15_IbLb1EEEEDaS11_S12_EUlS11_E_NS1_11comp_targetILNS1_3genE8ELNS1_11target_archE1030ELNS1_3gpuE2ELNS1_3repE0EEENS1_30default_config_static_selectorELNS0_4arch9wavefront6targetE1EEEvT1_
	.p2align	8
	.type	_ZN7rocprim17ROCPRIM_400000_NS6detail17trampoline_kernelINS0_14default_configENS1_29reduce_by_key_config_selectorIjtN6thrust23THRUST_200600_302600_NS4plusItEEEEZZNS1_33reduce_by_key_impl_wrapped_configILNS1_25lookback_scan_determinismE0ES3_S9_NS6_6detail15normal_iteratorINS6_10device_ptrIjEEEENSD_INSE_ItEEEENS6_16discard_iteratorINS6_11use_defaultEEESI_PmS8_NS6_8equal_toIjEEEE10hipError_tPvRmT2_T3_mT4_T5_T6_T7_T8_P12ihipStream_tbENKUlT_T0_E_clISt17integral_constantIbLb0EES15_IbLb1EEEEDaS11_S12_EUlS11_E_NS1_11comp_targetILNS1_3genE8ELNS1_11target_archE1030ELNS1_3gpuE2ELNS1_3repE0EEENS1_30default_config_static_selectorELNS0_4arch9wavefront6targetE1EEEvT1_,@function
_ZN7rocprim17ROCPRIM_400000_NS6detail17trampoline_kernelINS0_14default_configENS1_29reduce_by_key_config_selectorIjtN6thrust23THRUST_200600_302600_NS4plusItEEEEZZNS1_33reduce_by_key_impl_wrapped_configILNS1_25lookback_scan_determinismE0ES3_S9_NS6_6detail15normal_iteratorINS6_10device_ptrIjEEEENSD_INSE_ItEEEENS6_16discard_iteratorINS6_11use_defaultEEESI_PmS8_NS6_8equal_toIjEEEE10hipError_tPvRmT2_T3_mT4_T5_T6_T7_T8_P12ihipStream_tbENKUlT_T0_E_clISt17integral_constantIbLb0EES15_IbLb1EEEEDaS11_S12_EUlS11_E_NS1_11comp_targetILNS1_3genE8ELNS1_11target_archE1030ELNS1_3gpuE2ELNS1_3repE0EEENS1_30default_config_static_selectorELNS0_4arch9wavefront6targetE1EEEvT1_: ; @_ZN7rocprim17ROCPRIM_400000_NS6detail17trampoline_kernelINS0_14default_configENS1_29reduce_by_key_config_selectorIjtN6thrust23THRUST_200600_302600_NS4plusItEEEEZZNS1_33reduce_by_key_impl_wrapped_configILNS1_25lookback_scan_determinismE0ES3_S9_NS6_6detail15normal_iteratorINS6_10device_ptrIjEEEENSD_INSE_ItEEEENS6_16discard_iteratorINS6_11use_defaultEEESI_PmS8_NS6_8equal_toIjEEEE10hipError_tPvRmT2_T3_mT4_T5_T6_T7_T8_P12ihipStream_tbENKUlT_T0_E_clISt17integral_constantIbLb0EES15_IbLb1EEEEDaS11_S12_EUlS11_E_NS1_11comp_targetILNS1_3genE8ELNS1_11target_archE1030ELNS1_3gpuE2ELNS1_3repE0EEENS1_30default_config_static_selectorELNS0_4arch9wavefront6targetE1EEEvT1_
; %bb.0:
	.section	.rodata,"a",@progbits
	.p2align	6, 0x0
	.amdhsa_kernel _ZN7rocprim17ROCPRIM_400000_NS6detail17trampoline_kernelINS0_14default_configENS1_29reduce_by_key_config_selectorIjtN6thrust23THRUST_200600_302600_NS4plusItEEEEZZNS1_33reduce_by_key_impl_wrapped_configILNS1_25lookback_scan_determinismE0ES3_S9_NS6_6detail15normal_iteratorINS6_10device_ptrIjEEEENSD_INSE_ItEEEENS6_16discard_iteratorINS6_11use_defaultEEESI_PmS8_NS6_8equal_toIjEEEE10hipError_tPvRmT2_T3_mT4_T5_T6_T7_T8_P12ihipStream_tbENKUlT_T0_E_clISt17integral_constantIbLb0EES15_IbLb1EEEEDaS11_S12_EUlS11_E_NS1_11comp_targetILNS1_3genE8ELNS1_11target_archE1030ELNS1_3gpuE2ELNS1_3repE0EEENS1_30default_config_static_selectorELNS0_4arch9wavefront6targetE1EEEvT1_
		.amdhsa_group_segment_fixed_size 0
		.amdhsa_private_segment_fixed_size 0
		.amdhsa_kernarg_size 128
		.amdhsa_user_sgpr_count 6
		.amdhsa_user_sgpr_private_segment_buffer 1
		.amdhsa_user_sgpr_dispatch_ptr 0
		.amdhsa_user_sgpr_queue_ptr 0
		.amdhsa_user_sgpr_kernarg_segment_ptr 1
		.amdhsa_user_sgpr_dispatch_id 0
		.amdhsa_user_sgpr_flat_scratch_init 0
		.amdhsa_user_sgpr_kernarg_preload_length 0
		.amdhsa_user_sgpr_kernarg_preload_offset 0
		.amdhsa_user_sgpr_private_segment_size 0
		.amdhsa_uses_dynamic_stack 0
		.amdhsa_system_sgpr_private_segment_wavefront_offset 0
		.amdhsa_system_sgpr_workgroup_id_x 1
		.amdhsa_system_sgpr_workgroup_id_y 0
		.amdhsa_system_sgpr_workgroup_id_z 0
		.amdhsa_system_sgpr_workgroup_info 0
		.amdhsa_system_vgpr_workitem_id 0
		.amdhsa_next_free_vgpr 1
		.amdhsa_next_free_sgpr 0
		.amdhsa_accum_offset 4
		.amdhsa_reserve_vcc 0
		.amdhsa_reserve_flat_scratch 0
		.amdhsa_float_round_mode_32 0
		.amdhsa_float_round_mode_16_64 0
		.amdhsa_float_denorm_mode_32 3
		.amdhsa_float_denorm_mode_16_64 3
		.amdhsa_dx10_clamp 1
		.amdhsa_ieee_mode 1
		.amdhsa_fp16_overflow 0
		.amdhsa_tg_split 0
		.amdhsa_exception_fp_ieee_invalid_op 0
		.amdhsa_exception_fp_denorm_src 0
		.amdhsa_exception_fp_ieee_div_zero 0
		.amdhsa_exception_fp_ieee_overflow 0
		.amdhsa_exception_fp_ieee_underflow 0
		.amdhsa_exception_fp_ieee_inexact 0
		.amdhsa_exception_int_div_zero 0
	.end_amdhsa_kernel
	.section	.text._ZN7rocprim17ROCPRIM_400000_NS6detail17trampoline_kernelINS0_14default_configENS1_29reduce_by_key_config_selectorIjtN6thrust23THRUST_200600_302600_NS4plusItEEEEZZNS1_33reduce_by_key_impl_wrapped_configILNS1_25lookback_scan_determinismE0ES3_S9_NS6_6detail15normal_iteratorINS6_10device_ptrIjEEEENSD_INSE_ItEEEENS6_16discard_iteratorINS6_11use_defaultEEESI_PmS8_NS6_8equal_toIjEEEE10hipError_tPvRmT2_T3_mT4_T5_T6_T7_T8_P12ihipStream_tbENKUlT_T0_E_clISt17integral_constantIbLb0EES15_IbLb1EEEEDaS11_S12_EUlS11_E_NS1_11comp_targetILNS1_3genE8ELNS1_11target_archE1030ELNS1_3gpuE2ELNS1_3repE0EEENS1_30default_config_static_selectorELNS0_4arch9wavefront6targetE1EEEvT1_,"axG",@progbits,_ZN7rocprim17ROCPRIM_400000_NS6detail17trampoline_kernelINS0_14default_configENS1_29reduce_by_key_config_selectorIjtN6thrust23THRUST_200600_302600_NS4plusItEEEEZZNS1_33reduce_by_key_impl_wrapped_configILNS1_25lookback_scan_determinismE0ES3_S9_NS6_6detail15normal_iteratorINS6_10device_ptrIjEEEENSD_INSE_ItEEEENS6_16discard_iteratorINS6_11use_defaultEEESI_PmS8_NS6_8equal_toIjEEEE10hipError_tPvRmT2_T3_mT4_T5_T6_T7_T8_P12ihipStream_tbENKUlT_T0_E_clISt17integral_constantIbLb0EES15_IbLb1EEEEDaS11_S12_EUlS11_E_NS1_11comp_targetILNS1_3genE8ELNS1_11target_archE1030ELNS1_3gpuE2ELNS1_3repE0EEENS1_30default_config_static_selectorELNS0_4arch9wavefront6targetE1EEEvT1_,comdat
.Lfunc_end984:
	.size	_ZN7rocprim17ROCPRIM_400000_NS6detail17trampoline_kernelINS0_14default_configENS1_29reduce_by_key_config_selectorIjtN6thrust23THRUST_200600_302600_NS4plusItEEEEZZNS1_33reduce_by_key_impl_wrapped_configILNS1_25lookback_scan_determinismE0ES3_S9_NS6_6detail15normal_iteratorINS6_10device_ptrIjEEEENSD_INSE_ItEEEENS6_16discard_iteratorINS6_11use_defaultEEESI_PmS8_NS6_8equal_toIjEEEE10hipError_tPvRmT2_T3_mT4_T5_T6_T7_T8_P12ihipStream_tbENKUlT_T0_E_clISt17integral_constantIbLb0EES15_IbLb1EEEEDaS11_S12_EUlS11_E_NS1_11comp_targetILNS1_3genE8ELNS1_11target_archE1030ELNS1_3gpuE2ELNS1_3repE0EEENS1_30default_config_static_selectorELNS0_4arch9wavefront6targetE1EEEvT1_, .Lfunc_end984-_ZN7rocprim17ROCPRIM_400000_NS6detail17trampoline_kernelINS0_14default_configENS1_29reduce_by_key_config_selectorIjtN6thrust23THRUST_200600_302600_NS4plusItEEEEZZNS1_33reduce_by_key_impl_wrapped_configILNS1_25lookback_scan_determinismE0ES3_S9_NS6_6detail15normal_iteratorINS6_10device_ptrIjEEEENSD_INSE_ItEEEENS6_16discard_iteratorINS6_11use_defaultEEESI_PmS8_NS6_8equal_toIjEEEE10hipError_tPvRmT2_T3_mT4_T5_T6_T7_T8_P12ihipStream_tbENKUlT_T0_E_clISt17integral_constantIbLb0EES15_IbLb1EEEEDaS11_S12_EUlS11_E_NS1_11comp_targetILNS1_3genE8ELNS1_11target_archE1030ELNS1_3gpuE2ELNS1_3repE0EEENS1_30default_config_static_selectorELNS0_4arch9wavefront6targetE1EEEvT1_
                                        ; -- End function
	.section	.AMDGPU.csdata,"",@progbits
; Kernel info:
; codeLenInByte = 0
; NumSgprs: 4
; NumVgprs: 0
; NumAgprs: 0
; TotalNumVgprs: 0
; ScratchSize: 0
; MemoryBound: 0
; FloatMode: 240
; IeeeMode: 1
; LDSByteSize: 0 bytes/workgroup (compile time only)
; SGPRBlocks: 0
; VGPRBlocks: 0
; NumSGPRsForWavesPerEU: 4
; NumVGPRsForWavesPerEU: 1
; AccumOffset: 4
; Occupancy: 8
; WaveLimiterHint : 0
; COMPUTE_PGM_RSRC2:SCRATCH_EN: 0
; COMPUTE_PGM_RSRC2:USER_SGPR: 6
; COMPUTE_PGM_RSRC2:TRAP_HANDLER: 0
; COMPUTE_PGM_RSRC2:TGID_X_EN: 1
; COMPUTE_PGM_RSRC2:TGID_Y_EN: 0
; COMPUTE_PGM_RSRC2:TGID_Z_EN: 0
; COMPUTE_PGM_RSRC2:TIDIG_COMP_CNT: 0
; COMPUTE_PGM_RSRC3_GFX90A:ACCUM_OFFSET: 0
; COMPUTE_PGM_RSRC3_GFX90A:TG_SPLIT: 0
	.section	.text._ZN7rocprim17ROCPRIM_400000_NS6detail17trampoline_kernelINS0_14default_configENS1_29reduce_by_key_config_selectorIjxN6thrust23THRUST_200600_302600_NS4plusIxEEEEZZNS1_33reduce_by_key_impl_wrapped_configILNS1_25lookback_scan_determinismE0ES3_S9_NS6_6detail15normal_iteratorINS6_10device_ptrIjEEEENSD_INSE_IxEEEENS6_16discard_iteratorINS6_11use_defaultEEESI_PmS8_NS6_8equal_toIjEEEE10hipError_tPvRmT2_T3_mT4_T5_T6_T7_T8_P12ihipStream_tbENKUlT_T0_E_clISt17integral_constantIbLb0EES16_EEDaS11_S12_EUlS11_E_NS1_11comp_targetILNS1_3genE0ELNS1_11target_archE4294967295ELNS1_3gpuE0ELNS1_3repE0EEENS1_30default_config_static_selectorELNS0_4arch9wavefront6targetE1EEEvT1_,"axG",@progbits,_ZN7rocprim17ROCPRIM_400000_NS6detail17trampoline_kernelINS0_14default_configENS1_29reduce_by_key_config_selectorIjxN6thrust23THRUST_200600_302600_NS4plusIxEEEEZZNS1_33reduce_by_key_impl_wrapped_configILNS1_25lookback_scan_determinismE0ES3_S9_NS6_6detail15normal_iteratorINS6_10device_ptrIjEEEENSD_INSE_IxEEEENS6_16discard_iteratorINS6_11use_defaultEEESI_PmS8_NS6_8equal_toIjEEEE10hipError_tPvRmT2_T3_mT4_T5_T6_T7_T8_P12ihipStream_tbENKUlT_T0_E_clISt17integral_constantIbLb0EES16_EEDaS11_S12_EUlS11_E_NS1_11comp_targetILNS1_3genE0ELNS1_11target_archE4294967295ELNS1_3gpuE0ELNS1_3repE0EEENS1_30default_config_static_selectorELNS0_4arch9wavefront6targetE1EEEvT1_,comdat
	.protected	_ZN7rocprim17ROCPRIM_400000_NS6detail17trampoline_kernelINS0_14default_configENS1_29reduce_by_key_config_selectorIjxN6thrust23THRUST_200600_302600_NS4plusIxEEEEZZNS1_33reduce_by_key_impl_wrapped_configILNS1_25lookback_scan_determinismE0ES3_S9_NS6_6detail15normal_iteratorINS6_10device_ptrIjEEEENSD_INSE_IxEEEENS6_16discard_iteratorINS6_11use_defaultEEESI_PmS8_NS6_8equal_toIjEEEE10hipError_tPvRmT2_T3_mT4_T5_T6_T7_T8_P12ihipStream_tbENKUlT_T0_E_clISt17integral_constantIbLb0EES16_EEDaS11_S12_EUlS11_E_NS1_11comp_targetILNS1_3genE0ELNS1_11target_archE4294967295ELNS1_3gpuE0ELNS1_3repE0EEENS1_30default_config_static_selectorELNS0_4arch9wavefront6targetE1EEEvT1_ ; -- Begin function _ZN7rocprim17ROCPRIM_400000_NS6detail17trampoline_kernelINS0_14default_configENS1_29reduce_by_key_config_selectorIjxN6thrust23THRUST_200600_302600_NS4plusIxEEEEZZNS1_33reduce_by_key_impl_wrapped_configILNS1_25lookback_scan_determinismE0ES3_S9_NS6_6detail15normal_iteratorINS6_10device_ptrIjEEEENSD_INSE_IxEEEENS6_16discard_iteratorINS6_11use_defaultEEESI_PmS8_NS6_8equal_toIjEEEE10hipError_tPvRmT2_T3_mT4_T5_T6_T7_T8_P12ihipStream_tbENKUlT_T0_E_clISt17integral_constantIbLb0EES16_EEDaS11_S12_EUlS11_E_NS1_11comp_targetILNS1_3genE0ELNS1_11target_archE4294967295ELNS1_3gpuE0ELNS1_3repE0EEENS1_30default_config_static_selectorELNS0_4arch9wavefront6targetE1EEEvT1_
	.globl	_ZN7rocprim17ROCPRIM_400000_NS6detail17trampoline_kernelINS0_14default_configENS1_29reduce_by_key_config_selectorIjxN6thrust23THRUST_200600_302600_NS4plusIxEEEEZZNS1_33reduce_by_key_impl_wrapped_configILNS1_25lookback_scan_determinismE0ES3_S9_NS6_6detail15normal_iteratorINS6_10device_ptrIjEEEENSD_INSE_IxEEEENS6_16discard_iteratorINS6_11use_defaultEEESI_PmS8_NS6_8equal_toIjEEEE10hipError_tPvRmT2_T3_mT4_T5_T6_T7_T8_P12ihipStream_tbENKUlT_T0_E_clISt17integral_constantIbLb0EES16_EEDaS11_S12_EUlS11_E_NS1_11comp_targetILNS1_3genE0ELNS1_11target_archE4294967295ELNS1_3gpuE0ELNS1_3repE0EEENS1_30default_config_static_selectorELNS0_4arch9wavefront6targetE1EEEvT1_
	.p2align	8
	.type	_ZN7rocprim17ROCPRIM_400000_NS6detail17trampoline_kernelINS0_14default_configENS1_29reduce_by_key_config_selectorIjxN6thrust23THRUST_200600_302600_NS4plusIxEEEEZZNS1_33reduce_by_key_impl_wrapped_configILNS1_25lookback_scan_determinismE0ES3_S9_NS6_6detail15normal_iteratorINS6_10device_ptrIjEEEENSD_INSE_IxEEEENS6_16discard_iteratorINS6_11use_defaultEEESI_PmS8_NS6_8equal_toIjEEEE10hipError_tPvRmT2_T3_mT4_T5_T6_T7_T8_P12ihipStream_tbENKUlT_T0_E_clISt17integral_constantIbLb0EES16_EEDaS11_S12_EUlS11_E_NS1_11comp_targetILNS1_3genE0ELNS1_11target_archE4294967295ELNS1_3gpuE0ELNS1_3repE0EEENS1_30default_config_static_selectorELNS0_4arch9wavefront6targetE1EEEvT1_,@function
_ZN7rocprim17ROCPRIM_400000_NS6detail17trampoline_kernelINS0_14default_configENS1_29reduce_by_key_config_selectorIjxN6thrust23THRUST_200600_302600_NS4plusIxEEEEZZNS1_33reduce_by_key_impl_wrapped_configILNS1_25lookback_scan_determinismE0ES3_S9_NS6_6detail15normal_iteratorINS6_10device_ptrIjEEEENSD_INSE_IxEEEENS6_16discard_iteratorINS6_11use_defaultEEESI_PmS8_NS6_8equal_toIjEEEE10hipError_tPvRmT2_T3_mT4_T5_T6_T7_T8_P12ihipStream_tbENKUlT_T0_E_clISt17integral_constantIbLb0EES16_EEDaS11_S12_EUlS11_E_NS1_11comp_targetILNS1_3genE0ELNS1_11target_archE4294967295ELNS1_3gpuE0ELNS1_3repE0EEENS1_30default_config_static_selectorELNS0_4arch9wavefront6targetE1EEEvT1_: ; @_ZN7rocprim17ROCPRIM_400000_NS6detail17trampoline_kernelINS0_14default_configENS1_29reduce_by_key_config_selectorIjxN6thrust23THRUST_200600_302600_NS4plusIxEEEEZZNS1_33reduce_by_key_impl_wrapped_configILNS1_25lookback_scan_determinismE0ES3_S9_NS6_6detail15normal_iteratorINS6_10device_ptrIjEEEENSD_INSE_IxEEEENS6_16discard_iteratorINS6_11use_defaultEEESI_PmS8_NS6_8equal_toIjEEEE10hipError_tPvRmT2_T3_mT4_T5_T6_T7_T8_P12ihipStream_tbENKUlT_T0_E_clISt17integral_constantIbLb0EES16_EEDaS11_S12_EUlS11_E_NS1_11comp_targetILNS1_3genE0ELNS1_11target_archE4294967295ELNS1_3gpuE0ELNS1_3repE0EEENS1_30default_config_static_selectorELNS0_4arch9wavefront6targetE1EEEvT1_
; %bb.0:
	.section	.rodata,"a",@progbits
	.p2align	6, 0x0
	.amdhsa_kernel _ZN7rocprim17ROCPRIM_400000_NS6detail17trampoline_kernelINS0_14default_configENS1_29reduce_by_key_config_selectorIjxN6thrust23THRUST_200600_302600_NS4plusIxEEEEZZNS1_33reduce_by_key_impl_wrapped_configILNS1_25lookback_scan_determinismE0ES3_S9_NS6_6detail15normal_iteratorINS6_10device_ptrIjEEEENSD_INSE_IxEEEENS6_16discard_iteratorINS6_11use_defaultEEESI_PmS8_NS6_8equal_toIjEEEE10hipError_tPvRmT2_T3_mT4_T5_T6_T7_T8_P12ihipStream_tbENKUlT_T0_E_clISt17integral_constantIbLb0EES16_EEDaS11_S12_EUlS11_E_NS1_11comp_targetILNS1_3genE0ELNS1_11target_archE4294967295ELNS1_3gpuE0ELNS1_3repE0EEENS1_30default_config_static_selectorELNS0_4arch9wavefront6targetE1EEEvT1_
		.amdhsa_group_segment_fixed_size 0
		.amdhsa_private_segment_fixed_size 0
		.amdhsa_kernarg_size 144
		.amdhsa_user_sgpr_count 6
		.amdhsa_user_sgpr_private_segment_buffer 1
		.amdhsa_user_sgpr_dispatch_ptr 0
		.amdhsa_user_sgpr_queue_ptr 0
		.amdhsa_user_sgpr_kernarg_segment_ptr 1
		.amdhsa_user_sgpr_dispatch_id 0
		.amdhsa_user_sgpr_flat_scratch_init 0
		.amdhsa_user_sgpr_kernarg_preload_length 0
		.amdhsa_user_sgpr_kernarg_preload_offset 0
		.amdhsa_user_sgpr_private_segment_size 0
		.amdhsa_uses_dynamic_stack 0
		.amdhsa_system_sgpr_private_segment_wavefront_offset 0
		.amdhsa_system_sgpr_workgroup_id_x 1
		.amdhsa_system_sgpr_workgroup_id_y 0
		.amdhsa_system_sgpr_workgroup_id_z 0
		.amdhsa_system_sgpr_workgroup_info 0
		.amdhsa_system_vgpr_workitem_id 0
		.amdhsa_next_free_vgpr 1
		.amdhsa_next_free_sgpr 0
		.amdhsa_accum_offset 4
		.amdhsa_reserve_vcc 0
		.amdhsa_reserve_flat_scratch 0
		.amdhsa_float_round_mode_32 0
		.amdhsa_float_round_mode_16_64 0
		.amdhsa_float_denorm_mode_32 3
		.amdhsa_float_denorm_mode_16_64 3
		.amdhsa_dx10_clamp 1
		.amdhsa_ieee_mode 1
		.amdhsa_fp16_overflow 0
		.amdhsa_tg_split 0
		.amdhsa_exception_fp_ieee_invalid_op 0
		.amdhsa_exception_fp_denorm_src 0
		.amdhsa_exception_fp_ieee_div_zero 0
		.amdhsa_exception_fp_ieee_overflow 0
		.amdhsa_exception_fp_ieee_underflow 0
		.amdhsa_exception_fp_ieee_inexact 0
		.amdhsa_exception_int_div_zero 0
	.end_amdhsa_kernel
	.section	.text._ZN7rocprim17ROCPRIM_400000_NS6detail17trampoline_kernelINS0_14default_configENS1_29reduce_by_key_config_selectorIjxN6thrust23THRUST_200600_302600_NS4plusIxEEEEZZNS1_33reduce_by_key_impl_wrapped_configILNS1_25lookback_scan_determinismE0ES3_S9_NS6_6detail15normal_iteratorINS6_10device_ptrIjEEEENSD_INSE_IxEEEENS6_16discard_iteratorINS6_11use_defaultEEESI_PmS8_NS6_8equal_toIjEEEE10hipError_tPvRmT2_T3_mT4_T5_T6_T7_T8_P12ihipStream_tbENKUlT_T0_E_clISt17integral_constantIbLb0EES16_EEDaS11_S12_EUlS11_E_NS1_11comp_targetILNS1_3genE0ELNS1_11target_archE4294967295ELNS1_3gpuE0ELNS1_3repE0EEENS1_30default_config_static_selectorELNS0_4arch9wavefront6targetE1EEEvT1_,"axG",@progbits,_ZN7rocprim17ROCPRIM_400000_NS6detail17trampoline_kernelINS0_14default_configENS1_29reduce_by_key_config_selectorIjxN6thrust23THRUST_200600_302600_NS4plusIxEEEEZZNS1_33reduce_by_key_impl_wrapped_configILNS1_25lookback_scan_determinismE0ES3_S9_NS6_6detail15normal_iteratorINS6_10device_ptrIjEEEENSD_INSE_IxEEEENS6_16discard_iteratorINS6_11use_defaultEEESI_PmS8_NS6_8equal_toIjEEEE10hipError_tPvRmT2_T3_mT4_T5_T6_T7_T8_P12ihipStream_tbENKUlT_T0_E_clISt17integral_constantIbLb0EES16_EEDaS11_S12_EUlS11_E_NS1_11comp_targetILNS1_3genE0ELNS1_11target_archE4294967295ELNS1_3gpuE0ELNS1_3repE0EEENS1_30default_config_static_selectorELNS0_4arch9wavefront6targetE1EEEvT1_,comdat
.Lfunc_end985:
	.size	_ZN7rocprim17ROCPRIM_400000_NS6detail17trampoline_kernelINS0_14default_configENS1_29reduce_by_key_config_selectorIjxN6thrust23THRUST_200600_302600_NS4plusIxEEEEZZNS1_33reduce_by_key_impl_wrapped_configILNS1_25lookback_scan_determinismE0ES3_S9_NS6_6detail15normal_iteratorINS6_10device_ptrIjEEEENSD_INSE_IxEEEENS6_16discard_iteratorINS6_11use_defaultEEESI_PmS8_NS6_8equal_toIjEEEE10hipError_tPvRmT2_T3_mT4_T5_T6_T7_T8_P12ihipStream_tbENKUlT_T0_E_clISt17integral_constantIbLb0EES16_EEDaS11_S12_EUlS11_E_NS1_11comp_targetILNS1_3genE0ELNS1_11target_archE4294967295ELNS1_3gpuE0ELNS1_3repE0EEENS1_30default_config_static_selectorELNS0_4arch9wavefront6targetE1EEEvT1_, .Lfunc_end985-_ZN7rocprim17ROCPRIM_400000_NS6detail17trampoline_kernelINS0_14default_configENS1_29reduce_by_key_config_selectorIjxN6thrust23THRUST_200600_302600_NS4plusIxEEEEZZNS1_33reduce_by_key_impl_wrapped_configILNS1_25lookback_scan_determinismE0ES3_S9_NS6_6detail15normal_iteratorINS6_10device_ptrIjEEEENSD_INSE_IxEEEENS6_16discard_iteratorINS6_11use_defaultEEESI_PmS8_NS6_8equal_toIjEEEE10hipError_tPvRmT2_T3_mT4_T5_T6_T7_T8_P12ihipStream_tbENKUlT_T0_E_clISt17integral_constantIbLb0EES16_EEDaS11_S12_EUlS11_E_NS1_11comp_targetILNS1_3genE0ELNS1_11target_archE4294967295ELNS1_3gpuE0ELNS1_3repE0EEENS1_30default_config_static_selectorELNS0_4arch9wavefront6targetE1EEEvT1_
                                        ; -- End function
	.section	.AMDGPU.csdata,"",@progbits
; Kernel info:
; codeLenInByte = 0
; NumSgprs: 4
; NumVgprs: 0
; NumAgprs: 0
; TotalNumVgprs: 0
; ScratchSize: 0
; MemoryBound: 0
; FloatMode: 240
; IeeeMode: 1
; LDSByteSize: 0 bytes/workgroup (compile time only)
; SGPRBlocks: 0
; VGPRBlocks: 0
; NumSGPRsForWavesPerEU: 4
; NumVGPRsForWavesPerEU: 1
; AccumOffset: 4
; Occupancy: 8
; WaveLimiterHint : 0
; COMPUTE_PGM_RSRC2:SCRATCH_EN: 0
; COMPUTE_PGM_RSRC2:USER_SGPR: 6
; COMPUTE_PGM_RSRC2:TRAP_HANDLER: 0
; COMPUTE_PGM_RSRC2:TGID_X_EN: 1
; COMPUTE_PGM_RSRC2:TGID_Y_EN: 0
; COMPUTE_PGM_RSRC2:TGID_Z_EN: 0
; COMPUTE_PGM_RSRC2:TIDIG_COMP_CNT: 0
; COMPUTE_PGM_RSRC3_GFX90A:ACCUM_OFFSET: 0
; COMPUTE_PGM_RSRC3_GFX90A:TG_SPLIT: 0
	.section	.text._ZN7rocprim17ROCPRIM_400000_NS6detail17trampoline_kernelINS0_14default_configENS1_29reduce_by_key_config_selectorIjxN6thrust23THRUST_200600_302600_NS4plusIxEEEEZZNS1_33reduce_by_key_impl_wrapped_configILNS1_25lookback_scan_determinismE0ES3_S9_NS6_6detail15normal_iteratorINS6_10device_ptrIjEEEENSD_INSE_IxEEEENS6_16discard_iteratorINS6_11use_defaultEEESI_PmS8_NS6_8equal_toIjEEEE10hipError_tPvRmT2_T3_mT4_T5_T6_T7_T8_P12ihipStream_tbENKUlT_T0_E_clISt17integral_constantIbLb0EES16_EEDaS11_S12_EUlS11_E_NS1_11comp_targetILNS1_3genE5ELNS1_11target_archE942ELNS1_3gpuE9ELNS1_3repE0EEENS1_30default_config_static_selectorELNS0_4arch9wavefront6targetE1EEEvT1_,"axG",@progbits,_ZN7rocprim17ROCPRIM_400000_NS6detail17trampoline_kernelINS0_14default_configENS1_29reduce_by_key_config_selectorIjxN6thrust23THRUST_200600_302600_NS4plusIxEEEEZZNS1_33reduce_by_key_impl_wrapped_configILNS1_25lookback_scan_determinismE0ES3_S9_NS6_6detail15normal_iteratorINS6_10device_ptrIjEEEENSD_INSE_IxEEEENS6_16discard_iteratorINS6_11use_defaultEEESI_PmS8_NS6_8equal_toIjEEEE10hipError_tPvRmT2_T3_mT4_T5_T6_T7_T8_P12ihipStream_tbENKUlT_T0_E_clISt17integral_constantIbLb0EES16_EEDaS11_S12_EUlS11_E_NS1_11comp_targetILNS1_3genE5ELNS1_11target_archE942ELNS1_3gpuE9ELNS1_3repE0EEENS1_30default_config_static_selectorELNS0_4arch9wavefront6targetE1EEEvT1_,comdat
	.protected	_ZN7rocprim17ROCPRIM_400000_NS6detail17trampoline_kernelINS0_14default_configENS1_29reduce_by_key_config_selectorIjxN6thrust23THRUST_200600_302600_NS4plusIxEEEEZZNS1_33reduce_by_key_impl_wrapped_configILNS1_25lookback_scan_determinismE0ES3_S9_NS6_6detail15normal_iteratorINS6_10device_ptrIjEEEENSD_INSE_IxEEEENS6_16discard_iteratorINS6_11use_defaultEEESI_PmS8_NS6_8equal_toIjEEEE10hipError_tPvRmT2_T3_mT4_T5_T6_T7_T8_P12ihipStream_tbENKUlT_T0_E_clISt17integral_constantIbLb0EES16_EEDaS11_S12_EUlS11_E_NS1_11comp_targetILNS1_3genE5ELNS1_11target_archE942ELNS1_3gpuE9ELNS1_3repE0EEENS1_30default_config_static_selectorELNS0_4arch9wavefront6targetE1EEEvT1_ ; -- Begin function _ZN7rocprim17ROCPRIM_400000_NS6detail17trampoline_kernelINS0_14default_configENS1_29reduce_by_key_config_selectorIjxN6thrust23THRUST_200600_302600_NS4plusIxEEEEZZNS1_33reduce_by_key_impl_wrapped_configILNS1_25lookback_scan_determinismE0ES3_S9_NS6_6detail15normal_iteratorINS6_10device_ptrIjEEEENSD_INSE_IxEEEENS6_16discard_iteratorINS6_11use_defaultEEESI_PmS8_NS6_8equal_toIjEEEE10hipError_tPvRmT2_T3_mT4_T5_T6_T7_T8_P12ihipStream_tbENKUlT_T0_E_clISt17integral_constantIbLb0EES16_EEDaS11_S12_EUlS11_E_NS1_11comp_targetILNS1_3genE5ELNS1_11target_archE942ELNS1_3gpuE9ELNS1_3repE0EEENS1_30default_config_static_selectorELNS0_4arch9wavefront6targetE1EEEvT1_
	.globl	_ZN7rocprim17ROCPRIM_400000_NS6detail17trampoline_kernelINS0_14default_configENS1_29reduce_by_key_config_selectorIjxN6thrust23THRUST_200600_302600_NS4plusIxEEEEZZNS1_33reduce_by_key_impl_wrapped_configILNS1_25lookback_scan_determinismE0ES3_S9_NS6_6detail15normal_iteratorINS6_10device_ptrIjEEEENSD_INSE_IxEEEENS6_16discard_iteratorINS6_11use_defaultEEESI_PmS8_NS6_8equal_toIjEEEE10hipError_tPvRmT2_T3_mT4_T5_T6_T7_T8_P12ihipStream_tbENKUlT_T0_E_clISt17integral_constantIbLb0EES16_EEDaS11_S12_EUlS11_E_NS1_11comp_targetILNS1_3genE5ELNS1_11target_archE942ELNS1_3gpuE9ELNS1_3repE0EEENS1_30default_config_static_selectorELNS0_4arch9wavefront6targetE1EEEvT1_
	.p2align	8
	.type	_ZN7rocprim17ROCPRIM_400000_NS6detail17trampoline_kernelINS0_14default_configENS1_29reduce_by_key_config_selectorIjxN6thrust23THRUST_200600_302600_NS4plusIxEEEEZZNS1_33reduce_by_key_impl_wrapped_configILNS1_25lookback_scan_determinismE0ES3_S9_NS6_6detail15normal_iteratorINS6_10device_ptrIjEEEENSD_INSE_IxEEEENS6_16discard_iteratorINS6_11use_defaultEEESI_PmS8_NS6_8equal_toIjEEEE10hipError_tPvRmT2_T3_mT4_T5_T6_T7_T8_P12ihipStream_tbENKUlT_T0_E_clISt17integral_constantIbLb0EES16_EEDaS11_S12_EUlS11_E_NS1_11comp_targetILNS1_3genE5ELNS1_11target_archE942ELNS1_3gpuE9ELNS1_3repE0EEENS1_30default_config_static_selectorELNS0_4arch9wavefront6targetE1EEEvT1_,@function
_ZN7rocprim17ROCPRIM_400000_NS6detail17trampoline_kernelINS0_14default_configENS1_29reduce_by_key_config_selectorIjxN6thrust23THRUST_200600_302600_NS4plusIxEEEEZZNS1_33reduce_by_key_impl_wrapped_configILNS1_25lookback_scan_determinismE0ES3_S9_NS6_6detail15normal_iteratorINS6_10device_ptrIjEEEENSD_INSE_IxEEEENS6_16discard_iteratorINS6_11use_defaultEEESI_PmS8_NS6_8equal_toIjEEEE10hipError_tPvRmT2_T3_mT4_T5_T6_T7_T8_P12ihipStream_tbENKUlT_T0_E_clISt17integral_constantIbLb0EES16_EEDaS11_S12_EUlS11_E_NS1_11comp_targetILNS1_3genE5ELNS1_11target_archE942ELNS1_3gpuE9ELNS1_3repE0EEENS1_30default_config_static_selectorELNS0_4arch9wavefront6targetE1EEEvT1_: ; @_ZN7rocprim17ROCPRIM_400000_NS6detail17trampoline_kernelINS0_14default_configENS1_29reduce_by_key_config_selectorIjxN6thrust23THRUST_200600_302600_NS4plusIxEEEEZZNS1_33reduce_by_key_impl_wrapped_configILNS1_25lookback_scan_determinismE0ES3_S9_NS6_6detail15normal_iteratorINS6_10device_ptrIjEEEENSD_INSE_IxEEEENS6_16discard_iteratorINS6_11use_defaultEEESI_PmS8_NS6_8equal_toIjEEEE10hipError_tPvRmT2_T3_mT4_T5_T6_T7_T8_P12ihipStream_tbENKUlT_T0_E_clISt17integral_constantIbLb0EES16_EEDaS11_S12_EUlS11_E_NS1_11comp_targetILNS1_3genE5ELNS1_11target_archE942ELNS1_3gpuE9ELNS1_3repE0EEENS1_30default_config_static_selectorELNS0_4arch9wavefront6targetE1EEEvT1_
; %bb.0:
	.section	.rodata,"a",@progbits
	.p2align	6, 0x0
	.amdhsa_kernel _ZN7rocprim17ROCPRIM_400000_NS6detail17trampoline_kernelINS0_14default_configENS1_29reduce_by_key_config_selectorIjxN6thrust23THRUST_200600_302600_NS4plusIxEEEEZZNS1_33reduce_by_key_impl_wrapped_configILNS1_25lookback_scan_determinismE0ES3_S9_NS6_6detail15normal_iteratorINS6_10device_ptrIjEEEENSD_INSE_IxEEEENS6_16discard_iteratorINS6_11use_defaultEEESI_PmS8_NS6_8equal_toIjEEEE10hipError_tPvRmT2_T3_mT4_T5_T6_T7_T8_P12ihipStream_tbENKUlT_T0_E_clISt17integral_constantIbLb0EES16_EEDaS11_S12_EUlS11_E_NS1_11comp_targetILNS1_3genE5ELNS1_11target_archE942ELNS1_3gpuE9ELNS1_3repE0EEENS1_30default_config_static_selectorELNS0_4arch9wavefront6targetE1EEEvT1_
		.amdhsa_group_segment_fixed_size 0
		.amdhsa_private_segment_fixed_size 0
		.amdhsa_kernarg_size 144
		.amdhsa_user_sgpr_count 6
		.amdhsa_user_sgpr_private_segment_buffer 1
		.amdhsa_user_sgpr_dispatch_ptr 0
		.amdhsa_user_sgpr_queue_ptr 0
		.amdhsa_user_sgpr_kernarg_segment_ptr 1
		.amdhsa_user_sgpr_dispatch_id 0
		.amdhsa_user_sgpr_flat_scratch_init 0
		.amdhsa_user_sgpr_kernarg_preload_length 0
		.amdhsa_user_sgpr_kernarg_preload_offset 0
		.amdhsa_user_sgpr_private_segment_size 0
		.amdhsa_uses_dynamic_stack 0
		.amdhsa_system_sgpr_private_segment_wavefront_offset 0
		.amdhsa_system_sgpr_workgroup_id_x 1
		.amdhsa_system_sgpr_workgroup_id_y 0
		.amdhsa_system_sgpr_workgroup_id_z 0
		.amdhsa_system_sgpr_workgroup_info 0
		.amdhsa_system_vgpr_workitem_id 0
		.amdhsa_next_free_vgpr 1
		.amdhsa_next_free_sgpr 0
		.amdhsa_accum_offset 4
		.amdhsa_reserve_vcc 0
		.amdhsa_reserve_flat_scratch 0
		.amdhsa_float_round_mode_32 0
		.amdhsa_float_round_mode_16_64 0
		.amdhsa_float_denorm_mode_32 3
		.amdhsa_float_denorm_mode_16_64 3
		.amdhsa_dx10_clamp 1
		.amdhsa_ieee_mode 1
		.amdhsa_fp16_overflow 0
		.amdhsa_tg_split 0
		.amdhsa_exception_fp_ieee_invalid_op 0
		.amdhsa_exception_fp_denorm_src 0
		.amdhsa_exception_fp_ieee_div_zero 0
		.amdhsa_exception_fp_ieee_overflow 0
		.amdhsa_exception_fp_ieee_underflow 0
		.amdhsa_exception_fp_ieee_inexact 0
		.amdhsa_exception_int_div_zero 0
	.end_amdhsa_kernel
	.section	.text._ZN7rocprim17ROCPRIM_400000_NS6detail17trampoline_kernelINS0_14default_configENS1_29reduce_by_key_config_selectorIjxN6thrust23THRUST_200600_302600_NS4plusIxEEEEZZNS1_33reduce_by_key_impl_wrapped_configILNS1_25lookback_scan_determinismE0ES3_S9_NS6_6detail15normal_iteratorINS6_10device_ptrIjEEEENSD_INSE_IxEEEENS6_16discard_iteratorINS6_11use_defaultEEESI_PmS8_NS6_8equal_toIjEEEE10hipError_tPvRmT2_T3_mT4_T5_T6_T7_T8_P12ihipStream_tbENKUlT_T0_E_clISt17integral_constantIbLb0EES16_EEDaS11_S12_EUlS11_E_NS1_11comp_targetILNS1_3genE5ELNS1_11target_archE942ELNS1_3gpuE9ELNS1_3repE0EEENS1_30default_config_static_selectorELNS0_4arch9wavefront6targetE1EEEvT1_,"axG",@progbits,_ZN7rocprim17ROCPRIM_400000_NS6detail17trampoline_kernelINS0_14default_configENS1_29reduce_by_key_config_selectorIjxN6thrust23THRUST_200600_302600_NS4plusIxEEEEZZNS1_33reduce_by_key_impl_wrapped_configILNS1_25lookback_scan_determinismE0ES3_S9_NS6_6detail15normal_iteratorINS6_10device_ptrIjEEEENSD_INSE_IxEEEENS6_16discard_iteratorINS6_11use_defaultEEESI_PmS8_NS6_8equal_toIjEEEE10hipError_tPvRmT2_T3_mT4_T5_T6_T7_T8_P12ihipStream_tbENKUlT_T0_E_clISt17integral_constantIbLb0EES16_EEDaS11_S12_EUlS11_E_NS1_11comp_targetILNS1_3genE5ELNS1_11target_archE942ELNS1_3gpuE9ELNS1_3repE0EEENS1_30default_config_static_selectorELNS0_4arch9wavefront6targetE1EEEvT1_,comdat
.Lfunc_end986:
	.size	_ZN7rocprim17ROCPRIM_400000_NS6detail17trampoline_kernelINS0_14default_configENS1_29reduce_by_key_config_selectorIjxN6thrust23THRUST_200600_302600_NS4plusIxEEEEZZNS1_33reduce_by_key_impl_wrapped_configILNS1_25lookback_scan_determinismE0ES3_S9_NS6_6detail15normal_iteratorINS6_10device_ptrIjEEEENSD_INSE_IxEEEENS6_16discard_iteratorINS6_11use_defaultEEESI_PmS8_NS6_8equal_toIjEEEE10hipError_tPvRmT2_T3_mT4_T5_T6_T7_T8_P12ihipStream_tbENKUlT_T0_E_clISt17integral_constantIbLb0EES16_EEDaS11_S12_EUlS11_E_NS1_11comp_targetILNS1_3genE5ELNS1_11target_archE942ELNS1_3gpuE9ELNS1_3repE0EEENS1_30default_config_static_selectorELNS0_4arch9wavefront6targetE1EEEvT1_, .Lfunc_end986-_ZN7rocprim17ROCPRIM_400000_NS6detail17trampoline_kernelINS0_14default_configENS1_29reduce_by_key_config_selectorIjxN6thrust23THRUST_200600_302600_NS4plusIxEEEEZZNS1_33reduce_by_key_impl_wrapped_configILNS1_25lookback_scan_determinismE0ES3_S9_NS6_6detail15normal_iteratorINS6_10device_ptrIjEEEENSD_INSE_IxEEEENS6_16discard_iteratorINS6_11use_defaultEEESI_PmS8_NS6_8equal_toIjEEEE10hipError_tPvRmT2_T3_mT4_T5_T6_T7_T8_P12ihipStream_tbENKUlT_T0_E_clISt17integral_constantIbLb0EES16_EEDaS11_S12_EUlS11_E_NS1_11comp_targetILNS1_3genE5ELNS1_11target_archE942ELNS1_3gpuE9ELNS1_3repE0EEENS1_30default_config_static_selectorELNS0_4arch9wavefront6targetE1EEEvT1_
                                        ; -- End function
	.section	.AMDGPU.csdata,"",@progbits
; Kernel info:
; codeLenInByte = 0
; NumSgprs: 4
; NumVgprs: 0
; NumAgprs: 0
; TotalNumVgprs: 0
; ScratchSize: 0
; MemoryBound: 0
; FloatMode: 240
; IeeeMode: 1
; LDSByteSize: 0 bytes/workgroup (compile time only)
; SGPRBlocks: 0
; VGPRBlocks: 0
; NumSGPRsForWavesPerEU: 4
; NumVGPRsForWavesPerEU: 1
; AccumOffset: 4
; Occupancy: 8
; WaveLimiterHint : 0
; COMPUTE_PGM_RSRC2:SCRATCH_EN: 0
; COMPUTE_PGM_RSRC2:USER_SGPR: 6
; COMPUTE_PGM_RSRC2:TRAP_HANDLER: 0
; COMPUTE_PGM_RSRC2:TGID_X_EN: 1
; COMPUTE_PGM_RSRC2:TGID_Y_EN: 0
; COMPUTE_PGM_RSRC2:TGID_Z_EN: 0
; COMPUTE_PGM_RSRC2:TIDIG_COMP_CNT: 0
; COMPUTE_PGM_RSRC3_GFX90A:ACCUM_OFFSET: 0
; COMPUTE_PGM_RSRC3_GFX90A:TG_SPLIT: 0
	.section	.text._ZN7rocprim17ROCPRIM_400000_NS6detail17trampoline_kernelINS0_14default_configENS1_29reduce_by_key_config_selectorIjxN6thrust23THRUST_200600_302600_NS4plusIxEEEEZZNS1_33reduce_by_key_impl_wrapped_configILNS1_25lookback_scan_determinismE0ES3_S9_NS6_6detail15normal_iteratorINS6_10device_ptrIjEEEENSD_INSE_IxEEEENS6_16discard_iteratorINS6_11use_defaultEEESI_PmS8_NS6_8equal_toIjEEEE10hipError_tPvRmT2_T3_mT4_T5_T6_T7_T8_P12ihipStream_tbENKUlT_T0_E_clISt17integral_constantIbLb0EES16_EEDaS11_S12_EUlS11_E_NS1_11comp_targetILNS1_3genE4ELNS1_11target_archE910ELNS1_3gpuE8ELNS1_3repE0EEENS1_30default_config_static_selectorELNS0_4arch9wavefront6targetE1EEEvT1_,"axG",@progbits,_ZN7rocprim17ROCPRIM_400000_NS6detail17trampoline_kernelINS0_14default_configENS1_29reduce_by_key_config_selectorIjxN6thrust23THRUST_200600_302600_NS4plusIxEEEEZZNS1_33reduce_by_key_impl_wrapped_configILNS1_25lookback_scan_determinismE0ES3_S9_NS6_6detail15normal_iteratorINS6_10device_ptrIjEEEENSD_INSE_IxEEEENS6_16discard_iteratorINS6_11use_defaultEEESI_PmS8_NS6_8equal_toIjEEEE10hipError_tPvRmT2_T3_mT4_T5_T6_T7_T8_P12ihipStream_tbENKUlT_T0_E_clISt17integral_constantIbLb0EES16_EEDaS11_S12_EUlS11_E_NS1_11comp_targetILNS1_3genE4ELNS1_11target_archE910ELNS1_3gpuE8ELNS1_3repE0EEENS1_30default_config_static_selectorELNS0_4arch9wavefront6targetE1EEEvT1_,comdat
	.protected	_ZN7rocprim17ROCPRIM_400000_NS6detail17trampoline_kernelINS0_14default_configENS1_29reduce_by_key_config_selectorIjxN6thrust23THRUST_200600_302600_NS4plusIxEEEEZZNS1_33reduce_by_key_impl_wrapped_configILNS1_25lookback_scan_determinismE0ES3_S9_NS6_6detail15normal_iteratorINS6_10device_ptrIjEEEENSD_INSE_IxEEEENS6_16discard_iteratorINS6_11use_defaultEEESI_PmS8_NS6_8equal_toIjEEEE10hipError_tPvRmT2_T3_mT4_T5_T6_T7_T8_P12ihipStream_tbENKUlT_T0_E_clISt17integral_constantIbLb0EES16_EEDaS11_S12_EUlS11_E_NS1_11comp_targetILNS1_3genE4ELNS1_11target_archE910ELNS1_3gpuE8ELNS1_3repE0EEENS1_30default_config_static_selectorELNS0_4arch9wavefront6targetE1EEEvT1_ ; -- Begin function _ZN7rocprim17ROCPRIM_400000_NS6detail17trampoline_kernelINS0_14default_configENS1_29reduce_by_key_config_selectorIjxN6thrust23THRUST_200600_302600_NS4plusIxEEEEZZNS1_33reduce_by_key_impl_wrapped_configILNS1_25lookback_scan_determinismE0ES3_S9_NS6_6detail15normal_iteratorINS6_10device_ptrIjEEEENSD_INSE_IxEEEENS6_16discard_iteratorINS6_11use_defaultEEESI_PmS8_NS6_8equal_toIjEEEE10hipError_tPvRmT2_T3_mT4_T5_T6_T7_T8_P12ihipStream_tbENKUlT_T0_E_clISt17integral_constantIbLb0EES16_EEDaS11_S12_EUlS11_E_NS1_11comp_targetILNS1_3genE4ELNS1_11target_archE910ELNS1_3gpuE8ELNS1_3repE0EEENS1_30default_config_static_selectorELNS0_4arch9wavefront6targetE1EEEvT1_
	.globl	_ZN7rocprim17ROCPRIM_400000_NS6detail17trampoline_kernelINS0_14default_configENS1_29reduce_by_key_config_selectorIjxN6thrust23THRUST_200600_302600_NS4plusIxEEEEZZNS1_33reduce_by_key_impl_wrapped_configILNS1_25lookback_scan_determinismE0ES3_S9_NS6_6detail15normal_iteratorINS6_10device_ptrIjEEEENSD_INSE_IxEEEENS6_16discard_iteratorINS6_11use_defaultEEESI_PmS8_NS6_8equal_toIjEEEE10hipError_tPvRmT2_T3_mT4_T5_T6_T7_T8_P12ihipStream_tbENKUlT_T0_E_clISt17integral_constantIbLb0EES16_EEDaS11_S12_EUlS11_E_NS1_11comp_targetILNS1_3genE4ELNS1_11target_archE910ELNS1_3gpuE8ELNS1_3repE0EEENS1_30default_config_static_selectorELNS0_4arch9wavefront6targetE1EEEvT1_
	.p2align	8
	.type	_ZN7rocprim17ROCPRIM_400000_NS6detail17trampoline_kernelINS0_14default_configENS1_29reduce_by_key_config_selectorIjxN6thrust23THRUST_200600_302600_NS4plusIxEEEEZZNS1_33reduce_by_key_impl_wrapped_configILNS1_25lookback_scan_determinismE0ES3_S9_NS6_6detail15normal_iteratorINS6_10device_ptrIjEEEENSD_INSE_IxEEEENS6_16discard_iteratorINS6_11use_defaultEEESI_PmS8_NS6_8equal_toIjEEEE10hipError_tPvRmT2_T3_mT4_T5_T6_T7_T8_P12ihipStream_tbENKUlT_T0_E_clISt17integral_constantIbLb0EES16_EEDaS11_S12_EUlS11_E_NS1_11comp_targetILNS1_3genE4ELNS1_11target_archE910ELNS1_3gpuE8ELNS1_3repE0EEENS1_30default_config_static_selectorELNS0_4arch9wavefront6targetE1EEEvT1_,@function
_ZN7rocprim17ROCPRIM_400000_NS6detail17trampoline_kernelINS0_14default_configENS1_29reduce_by_key_config_selectorIjxN6thrust23THRUST_200600_302600_NS4plusIxEEEEZZNS1_33reduce_by_key_impl_wrapped_configILNS1_25lookback_scan_determinismE0ES3_S9_NS6_6detail15normal_iteratorINS6_10device_ptrIjEEEENSD_INSE_IxEEEENS6_16discard_iteratorINS6_11use_defaultEEESI_PmS8_NS6_8equal_toIjEEEE10hipError_tPvRmT2_T3_mT4_T5_T6_T7_T8_P12ihipStream_tbENKUlT_T0_E_clISt17integral_constantIbLb0EES16_EEDaS11_S12_EUlS11_E_NS1_11comp_targetILNS1_3genE4ELNS1_11target_archE910ELNS1_3gpuE8ELNS1_3repE0EEENS1_30default_config_static_selectorELNS0_4arch9wavefront6targetE1EEEvT1_: ; @_ZN7rocprim17ROCPRIM_400000_NS6detail17trampoline_kernelINS0_14default_configENS1_29reduce_by_key_config_selectorIjxN6thrust23THRUST_200600_302600_NS4plusIxEEEEZZNS1_33reduce_by_key_impl_wrapped_configILNS1_25lookback_scan_determinismE0ES3_S9_NS6_6detail15normal_iteratorINS6_10device_ptrIjEEEENSD_INSE_IxEEEENS6_16discard_iteratorINS6_11use_defaultEEESI_PmS8_NS6_8equal_toIjEEEE10hipError_tPvRmT2_T3_mT4_T5_T6_T7_T8_P12ihipStream_tbENKUlT_T0_E_clISt17integral_constantIbLb0EES16_EEDaS11_S12_EUlS11_E_NS1_11comp_targetILNS1_3genE4ELNS1_11target_archE910ELNS1_3gpuE8ELNS1_3repE0EEENS1_30default_config_static_selectorELNS0_4arch9wavefront6targetE1EEEvT1_
; %bb.0:
	s_load_dwordx4 s[0:3], s[4:5], 0x0
	s_load_dwordx2 s[8:9], s[4:5], 0x10
	s_load_dwordx16 s[36:51], s[4:5], 0x40
	v_lshlrev_b32_e32 v96, 2, v0
	v_mad_u32_u24 v48, v0, 15, 1
	s_waitcnt lgkmcnt(0)
	s_lshl_b64 s[10:11], s[2:3], 2
	s_add_u32 s7, s0, s10
	s_addc_u32 s10, s1, s11
	s_lshl_b64 s[0:1], s[2:3], 3
	s_add_u32 s8, s8, s0
	s_addc_u32 s9, s9, s1
	s_mul_i32 s0, s44, s43
	s_mul_hi_u32 s1, s44, s42
	s_add_i32 s0, s1, s0
	s_mul_i32 s1, s45, s42
	s_add_i32 s11, s0, s1
	s_mul_i32 s0, s6, 0xf00
	s_mov_b32 s1, 0
	s_lshl_b64 s[2:3], s[0:1], 2
	s_add_u32 s7, s7, s2
	s_addc_u32 s62, s10, s3
	s_lshl_b64 s[0:1], s[0:1], 3
	s_add_u32 s60, s8, s0
	s_mul_i32 s12, s44, s42
	s_addc_u32 s61, s9, s1
	s_add_u32 s56, s12, s6
	s_addc_u32 s57, s11, 0
	s_add_u32 s2, s46, -1
	s_addc_u32 s3, s47, -1
	s_cmp_eq_u64 s[56:57], s[2:3]
	s_cselect_b64 s[52:53], -1, 0
	s_cmp_lg_u64 s[56:57], s[2:3]
	s_mov_b64 s[0:1], -1
	s_cselect_b64 s[58:59], -1, 0
	s_mul_i32 s33, s2, 0xfffff100
	s_and_b64 vcc, exec, s[52:53]
	v_mad_u32_u24 v50, v0, 15, 2
	v_mad_u32_u24 v52, v0, 15, 3
	v_mad_u32_u24 v54, v0, 15, 4
	v_mad_u32_u24 v56, v0, 15, 5
	v_mad_u32_u24 v58, v0, 15, 6
	v_mad_u32_u24 v60, v0, 15, 7
	v_mad_u32_u24 v62, v0, 15, 8
	v_mad_u32_u24 v64, v0, 15, 9
	v_mad_u32_u24 v66, v0, 15, 10
	v_mad_u32_u24 v68, v0, 15, 11
	v_mad_u32_u24 v70, v0, 15, 12
	v_mad_u32_u24 v72, v0, 15, 13
	v_mad_u32_u24 v46, v0, 15, 14
	s_cbranch_vccnz .LBB987_2
; %bb.1:
	v_mov_b32_e32 v1, s62
	v_add_co_u32_e32 v2, vcc, s7, v96
	v_addc_co_u32_e32 v3, vcc, 0, v1, vcc
	v_add_co_u32_e32 v4, vcc, 0x1000, v2
	v_addc_co_u32_e32 v5, vcc, 0, v3, vcc
	flat_load_dword v1, v[2:3]
	flat_load_dword v6, v[2:3] offset:1024
	flat_load_dword v7, v[2:3] offset:2048
	;; [unrolled: 1-line block ×3, first 2 shown]
	flat_load_dword v9, v[4:5]
	flat_load_dword v10, v[4:5] offset:1024
	flat_load_dword v11, v[4:5] offset:2048
	;; [unrolled: 1-line block ×3, first 2 shown]
	v_add_co_u32_e32 v4, vcc, 0x2000, v2
	v_addc_co_u32_e32 v5, vcc, 0, v3, vcc
	v_add_co_u32_e32 v2, vcc, 0x3000, v2
	v_addc_co_u32_e32 v3, vcc, 0, v3, vcc
	flat_load_dword v13, v[4:5]
	flat_load_dword v14, v[4:5] offset:1024
	flat_load_dword v15, v[4:5] offset:2048
	;; [unrolled: 1-line block ×3, first 2 shown]
	flat_load_dword v25, v[2:3]
	flat_load_dword v26, v[2:3] offset:1024
	flat_load_dword v27, v[2:3] offset:2048
	v_lshlrev_b32_e32 v2, 3, v0
	v_mov_b32_e32 v3, s61
	v_add_co_u32_e32 v16, vcc, s60, v2
	s_movk_i32 s0, 0x1000
	v_addc_co_u32_e32 v17, vcc, 0, v3, vcc
	v_add_co_u32_e32 v18, vcc, s0, v16
	s_movk_i32 s1, 0x2000
	v_addc_co_u32_e32 v19, vcc, 0, v17, vcc
	;; [unrolled: 3-line block ×3, first 2 shown]
	v_add_co_u32_e32 v22, vcc, s2, v16
	v_mad_u32_u24 v47, v0, 56, v96
	v_addc_co_u32_e32 v23, vcc, 0, v17, vcc
	s_movk_i32 s0, 0x4000
	v_mul_u32_u24_e32 v51, 15, v0
	s_waitcnt vmcnt(0) lgkmcnt(0)
	ds_write2st64_b32 v96, v1, v6 offset1:4
	ds_write2st64_b32 v96, v7, v8 offset0:8 offset1:12
	ds_write2st64_b32 v96, v9, v10 offset0:16 offset1:20
	;; [unrolled: 1-line block ×6, first 2 shown]
	ds_write_b32 v96, v27 offset:14336
	s_waitcnt lgkmcnt(0)
	s_barrier
	ds_read2_b32 v[14:15], v47 offset1:1
	ds_read2_b32 v[12:13], v47 offset0:2 offset1:3
	ds_read2_b32 v[10:11], v47 offset0:4 offset1:5
	;; [unrolled: 1-line block ×6, first 2 shown]
	ds_read_b32 v1, v47 offset:56
	s_waitcnt lgkmcnt(0)
	s_barrier
	flat_load_dwordx2 v[24:25], v[16:17]
	flat_load_dwordx2 v[26:27], v[16:17] offset:2048
	flat_load_dwordx2 v[28:29], v[18:19]
	flat_load_dwordx2 v[30:31], v[18:19] offset:2048
	;; [unrolled: 2-line block ×4, first 2 shown]
	v_add_co_u32_e32 v18, vcc, s0, v16
	v_addc_co_u32_e32 v19, vcc, 0, v17, vcc
	s_movk_i32 s0, 0x5000
	v_add_co_u32_e32 v20, vcc, s0, v16
	v_addc_co_u32_e32 v21, vcc, 0, v17, vcc
	s_movk_i32 s0, 0x6000
	flat_load_dwordx2 v[22:23], v[18:19]
	flat_load_dwordx2 v[40:41], v[18:19] offset:2048
	flat_load_dwordx2 v[42:43], v[20:21]
	flat_load_dwordx2 v[44:45], v[20:21] offset:2048
	v_add_co_u32_e32 v18, vcc, s0, v16
	v_addc_co_u32_e32 v19, vcc, 0, v17, vcc
	s_movk_i32 s0, 0x7000
	v_add_co_u32_e32 v16, vcc, s0, v16
	v_addc_co_u32_e32 v17, vcc, 0, v17, vcc
	flat_load_dwordx2 v[20:21], v[18:19]
	flat_load_dwordx2 v[82:83], v[18:19] offset:2048
	flat_load_dwordx2 v[84:85], v[16:17]
	s_movk_i32 s0, 0xffcc
	v_mad_i32_i24 v16, v0, s0, v47
	v_mov_b32_e32 v80, v14
	v_mov_b32_e32 v81, v12
	;; [unrolled: 1-line block ×7, first 2 shown]
	s_mov_b64 s[0:1], 0
	s_waitcnt vmcnt(0) lgkmcnt(0)
	ds_write2st64_b64 v16, v[24:25], v[26:27] offset1:4
	ds_write2st64_b64 v16, v[28:29], v[30:31] offset0:8 offset1:12
	ds_write2st64_b64 v16, v[32:33], v[34:35] offset0:16 offset1:20
	;; [unrolled: 1-line block ×6, first 2 shown]
	ds_write_b64 v16, v[84:85] offset:28672
	s_waitcnt lgkmcnt(0)
	s_barrier
	s_branch .LBB987_3
.LBB987_2:
                                        ; implicit-def: $vgpr1
                                        ; implicit-def: $vgpr2
                                        ; implicit-def: $vgpr4
                                        ; implicit-def: $vgpr6
                                        ; implicit-def: $vgpr8
                                        ; implicit-def: $vgpr10
                                        ; implicit-def: $vgpr12
                                        ; implicit-def: $vgpr14
                                        ; implicit-def: $vgpr51
                                        ; implicit-def: $vgpr74_vgpr75
                                        ; implicit-def: $vgpr76_vgpr77
                                        ; implicit-def: $vgpr80_vgpr81
                                        ; implicit-def: $vgpr78_vgpr79
.LBB987_3:
	s_load_dwordx2 s[54:55], s[4:5], 0x80
	s_add_i32 s33, s33, s48
	s_andn2_b64 vcc, exec, s[0:1]
	v_mov_b32_e32 v49, v46
	v_mov_b32_e32 v53, v72
	;; [unrolled: 1-line block ×14, first 2 shown]
	s_cbranch_vccnz .LBB987_65
; %bb.4:
	v_cmp_gt_u32_e32 vcc, s33, v0
                                        ; implicit-def: $vgpr1
	s_and_saveexec_b64 s[2:3], vcc
	s_cbranch_execz .LBB987_6
; %bb.5:
	v_mov_b32_e32 v1, s62
	v_add_co_u32_e64 v2, s[0:1], s7, v96
	v_addc_co_u32_e64 v3, s[0:1], 0, v1, s[0:1]
	flat_load_dword v1, v[2:3]
.LBB987_6:
	s_or_b64 exec, exec, s[2:3]
	v_or_b32_e32 v2, 0x100, v0
	v_cmp_gt_u32_e64 s[0:1], s33, v2
                                        ; implicit-def: $vgpr2
	s_and_saveexec_b64 s[8:9], s[0:1]
	s_cbranch_execz .LBB987_8
; %bb.7:
	v_mov_b32_e32 v3, s62
	v_add_co_u32_e64 v2, s[2:3], s7, v96
	v_addc_co_u32_e64 v3, s[2:3], 0, v3, s[2:3]
	flat_load_dword v2, v[2:3] offset:1024
.LBB987_8:
	s_or_b64 exec, exec, s[8:9]
	v_or_b32_e32 v22, 0x200, v0
	v_cmp_gt_u32_e64 s[2:3], s33, v22
                                        ; implicit-def: $vgpr3
	s_and_saveexec_b64 s[10:11], s[2:3]
	s_cbranch_execz .LBB987_10
; %bb.9:
	v_mov_b32_e32 v3, s62
	v_add_co_u32_e64 v4, s[8:9], s7, v96
	v_addc_co_u32_e64 v5, s[8:9], 0, v3, s[8:9]
	flat_load_dword v3, v[4:5] offset:2048
.LBB987_10:
	s_or_b64 exec, exec, s[10:11]
	v_or_b32_e32 v24, 0x300, v0
	v_cmp_gt_u32_e64 s[30:31], s33, v24
                                        ; implicit-def: $vgpr4
	s_and_saveexec_b64 s[10:11], s[30:31]
	s_cbranch_execz .LBB987_12
; %bb.11:
	v_mov_b32_e32 v5, s62
	v_add_co_u32_e64 v4, s[8:9], s7, v96
	v_addc_co_u32_e64 v5, s[8:9], 0, v5, s[8:9]
	flat_load_dword v4, v[4:5] offset:3072
.LBB987_12:
	s_or_b64 exec, exec, s[10:11]
	v_or_b32_e32 v26, 0x400, v0
	v_cmp_gt_u32_e64 s[8:9], s33, v26
                                        ; implicit-def: $vgpr5
	s_and_saveexec_b64 s[12:13], s[8:9]
	s_cbranch_execz .LBB987_14
; %bb.13:
	v_lshlrev_b32_e32 v5, 2, v26
	v_mov_b32_e32 v7, s62
	v_add_co_u32_e64 v6, s[10:11], s7, v5
	v_addc_co_u32_e64 v7, s[10:11], 0, v7, s[10:11]
	flat_load_dword v5, v[6:7]
.LBB987_14:
	s_or_b64 exec, exec, s[12:13]
	v_or_b32_e32 v28, 0x500, v0
	v_cmp_gt_u32_e64 s[10:11], s33, v28
                                        ; implicit-def: $vgpr6
	s_and_saveexec_b64 s[14:15], s[10:11]
	s_cbranch_execz .LBB987_16
; %bb.15:
	v_lshlrev_b32_e32 v6, 2, v28
	v_mov_b32_e32 v7, s62
	v_add_co_u32_e64 v6, s[12:13], s7, v6
	v_addc_co_u32_e64 v7, s[12:13], 0, v7, s[12:13]
	flat_load_dword v6, v[6:7]
.LBB987_16:
	s_or_b64 exec, exec, s[14:15]
	v_or_b32_e32 v30, 0x600, v0
	v_cmp_gt_u32_e64 s[12:13], s33, v30
                                        ; implicit-def: $vgpr7
	s_and_saveexec_b64 s[16:17], s[12:13]
	s_cbranch_execz .LBB987_18
; %bb.17:
	v_lshlrev_b32_e32 v7, 2, v30
	v_mov_b32_e32 v9, s62
	v_add_co_u32_e64 v8, s[14:15], s7, v7
	v_addc_co_u32_e64 v9, s[14:15], 0, v9, s[14:15]
	flat_load_dword v7, v[8:9]
.LBB987_18:
	s_or_b64 exec, exec, s[16:17]
	v_or_b32_e32 v32, 0x700, v0
	v_cmp_gt_u32_e64 s[14:15], s33, v32
                                        ; implicit-def: $vgpr8
	s_and_saveexec_b64 s[18:19], s[14:15]
	s_cbranch_execz .LBB987_20
; %bb.19:
	v_lshlrev_b32_e32 v8, 2, v32
	v_mov_b32_e32 v9, s62
	v_add_co_u32_e64 v8, s[16:17], s7, v8
	v_addc_co_u32_e64 v9, s[16:17], 0, v9, s[16:17]
	flat_load_dword v8, v[8:9]
.LBB987_20:
	s_or_b64 exec, exec, s[18:19]
	v_or_b32_e32 v34, 0x800, v0
	v_cmp_gt_u32_e64 s[16:17], s33, v34
                                        ; implicit-def: $vgpr9
	s_and_saveexec_b64 s[20:21], s[16:17]
	s_cbranch_execz .LBB987_22
; %bb.21:
	v_lshlrev_b32_e32 v9, 2, v34
	v_mov_b32_e32 v11, s62
	v_add_co_u32_e64 v10, s[18:19], s7, v9
	v_addc_co_u32_e64 v11, s[18:19], 0, v11, s[18:19]
	flat_load_dword v9, v[10:11]
.LBB987_22:
	s_or_b64 exec, exec, s[20:21]
	v_or_b32_e32 v36, 0x900, v0
	v_cmp_gt_u32_e64 s[18:19], s33, v36
                                        ; implicit-def: $vgpr10
	s_and_saveexec_b64 s[22:23], s[18:19]
	s_cbranch_execz .LBB987_24
; %bb.23:
	v_lshlrev_b32_e32 v10, 2, v36
	v_mov_b32_e32 v11, s62
	v_add_co_u32_e64 v10, s[20:21], s7, v10
	v_addc_co_u32_e64 v11, s[20:21], 0, v11, s[20:21]
	flat_load_dword v10, v[10:11]
.LBB987_24:
	s_or_b64 exec, exec, s[22:23]
	v_or_b32_e32 v38, 0xa00, v0
	v_cmp_gt_u32_e64 s[20:21], s33, v38
                                        ; implicit-def: $vgpr11
	s_and_saveexec_b64 s[24:25], s[20:21]
	s_cbranch_execz .LBB987_26
; %bb.25:
	v_lshlrev_b32_e32 v11, 2, v38
	v_mov_b32_e32 v13, s62
	v_add_co_u32_e64 v12, s[22:23], s7, v11
	v_addc_co_u32_e64 v13, s[22:23], 0, v13, s[22:23]
	flat_load_dword v11, v[12:13]
.LBB987_26:
	s_or_b64 exec, exec, s[24:25]
	v_or_b32_e32 v40, 0xb00, v0
	v_cmp_gt_u32_e64 s[22:23], s33, v40
                                        ; implicit-def: $vgpr12
	s_and_saveexec_b64 s[26:27], s[22:23]
	s_cbranch_execz .LBB987_28
; %bb.27:
	v_lshlrev_b32_e32 v12, 2, v40
	v_mov_b32_e32 v13, s62
	v_add_co_u32_e64 v12, s[24:25], s7, v12
	v_addc_co_u32_e64 v13, s[24:25], 0, v13, s[24:25]
	flat_load_dword v12, v[12:13]
.LBB987_28:
	s_or_b64 exec, exec, s[26:27]
	v_or_b32_e32 v42, 0xc00, v0
	v_cmp_gt_u32_e64 s[24:25], s33, v42
                                        ; implicit-def: $vgpr13
	s_and_saveexec_b64 s[28:29], s[24:25]
	s_cbranch_execz .LBB987_30
; %bb.29:
	v_lshlrev_b32_e32 v13, 2, v42
	v_mov_b32_e32 v15, s62
	v_add_co_u32_e64 v14, s[26:27], s7, v13
	v_addc_co_u32_e64 v15, s[26:27], 0, v15, s[26:27]
	flat_load_dword v13, v[14:15]
.LBB987_30:
	s_or_b64 exec, exec, s[28:29]
	v_or_b32_e32 v44, 0xd00, v0
	v_cmp_gt_u32_e64 s[26:27], s33, v44
                                        ; implicit-def: $vgpr14
	s_and_saveexec_b64 s[34:35], s[26:27]
	s_cbranch_execz .LBB987_32
; %bb.31:
	v_lshlrev_b32_e32 v14, 2, v44
	v_mov_b32_e32 v15, s62
	v_add_co_u32_e64 v14, s[28:29], s7, v14
	v_addc_co_u32_e64 v15, s[28:29], 0, v15, s[28:29]
	flat_load_dword v14, v[14:15]
.LBB987_32:
	s_or_b64 exec, exec, s[34:35]
	v_or_b32_e32 v49, 0xe00, v0
	v_cmp_gt_u32_e64 s[28:29], s33, v49
                                        ; implicit-def: $vgpr15
	s_and_saveexec_b64 s[44:45], s[28:29]
	s_cbranch_execz .LBB987_34
; %bb.33:
	v_lshlrev_b32_e32 v15, 2, v49
	v_mov_b32_e32 v17, s62
	v_add_co_u32_e64 v16, s[34:35], s7, v15
	v_addc_co_u32_e64 v17, s[34:35], 0, v17, s[34:35]
	flat_load_dword v15, v[16:17]
.LBB987_34:
	s_or_b64 exec, exec, s[44:45]
	v_mad_u32_u24 v47, v0, 56, v96
	s_waitcnt vmcnt(0) lgkmcnt(0)
	ds_write2st64_b32 v96, v1, v2 offset1:4
	ds_write2st64_b32 v96, v3, v4 offset0:8 offset1:12
	ds_write2st64_b32 v96, v5, v6 offset0:16 offset1:20
	;; [unrolled: 1-line block ×6, first 2 shown]
	ds_write_b32 v96, v15 offset:14336
	s_waitcnt lgkmcnt(0)
	s_barrier
	ds_read2_b32 v[14:15], v47 offset1:1
	ds_read2_b32 v[12:13], v47 offset0:2 offset1:3
	ds_read2_b32 v[10:11], v47 offset0:4 offset1:5
	;; [unrolled: 1-line block ×6, first 2 shown]
	ds_read_b32 v1, v47 offset:56
	s_waitcnt lgkmcnt(0)
	s_barrier
	s_waitcnt lgkmcnt(0)
                                        ; implicit-def: $vgpr16_vgpr17
	s_and_saveexec_b64 s[34:35], vcc
	s_cbranch_execz .LBB987_48
; %bb.35:
	v_lshlrev_b32_e32 v16, 3, v0
	v_mov_b32_e32 v17, s61
	v_add_co_u32_e32 v16, vcc, s60, v16
	v_addc_co_u32_e32 v17, vcc, 0, v17, vcc
	flat_load_dwordx2 v[16:17], v[16:17]
	s_or_b64 exec, exec, s[34:35]
                                        ; implicit-def: $vgpr18_vgpr19
	s_and_saveexec_b64 s[34:35], s[0:1]
	s_cbranch_execnz .LBB987_49
.LBB987_36:
	s_or_b64 exec, exec, s[34:35]
                                        ; implicit-def: $vgpr20_vgpr21
	s_and_saveexec_b64 s[0:1], s[2:3]
	s_cbranch_execz .LBB987_50
.LBB987_37:
	v_lshlrev_b32_e32 v20, 3, v22
	v_mov_b32_e32 v21, s61
	v_add_co_u32_e32 v20, vcc, s60, v20
	v_addc_co_u32_e32 v21, vcc, 0, v21, vcc
	flat_load_dwordx2 v[20:21], v[20:21]
	s_or_b64 exec, exec, s[0:1]
                                        ; implicit-def: $vgpr22_vgpr23
	s_and_saveexec_b64 s[0:1], s[30:31]
	s_cbranch_execnz .LBB987_51
.LBB987_38:
	s_or_b64 exec, exec, s[0:1]
                                        ; implicit-def: $vgpr24_vgpr25
	s_and_saveexec_b64 s[0:1], s[8:9]
	s_cbranch_execz .LBB987_52
.LBB987_39:
	v_lshlrev_b32_e32 v24, 3, v26
	v_mov_b32_e32 v25, s61
	v_add_co_u32_e32 v24, vcc, s60, v24
	v_addc_co_u32_e32 v25, vcc, 0, v25, vcc
	flat_load_dwordx2 v[24:25], v[24:25]
	s_or_b64 exec, exec, s[0:1]
                                        ; implicit-def: $vgpr26_vgpr27
	s_and_saveexec_b64 s[0:1], s[10:11]
	s_cbranch_execnz .LBB987_53
.LBB987_40:
	s_or_b64 exec, exec, s[0:1]
                                        ; implicit-def: $vgpr28_vgpr29
	s_and_saveexec_b64 s[0:1], s[12:13]
	s_cbranch_execz .LBB987_54
.LBB987_41:
	v_lshlrev_b32_e32 v28, 3, v30
	v_mov_b32_e32 v29, s61
	v_add_co_u32_e32 v28, vcc, s60, v28
	v_addc_co_u32_e32 v29, vcc, 0, v29, vcc
	flat_load_dwordx2 v[28:29], v[28:29]
	s_or_b64 exec, exec, s[0:1]
                                        ; implicit-def: $vgpr30_vgpr31
	s_and_saveexec_b64 s[0:1], s[14:15]
	s_cbranch_execnz .LBB987_55
.LBB987_42:
	s_or_b64 exec, exec, s[0:1]
                                        ; implicit-def: $vgpr32_vgpr33
	s_and_saveexec_b64 s[0:1], s[16:17]
	s_cbranch_execz .LBB987_56
.LBB987_43:
	v_lshlrev_b32_e32 v32, 3, v34
	v_mov_b32_e32 v33, s61
	v_add_co_u32_e32 v32, vcc, s60, v32
	v_addc_co_u32_e32 v33, vcc, 0, v33, vcc
	flat_load_dwordx2 v[32:33], v[32:33]
	s_or_b64 exec, exec, s[0:1]
                                        ; implicit-def: $vgpr34_vgpr35
	s_and_saveexec_b64 s[0:1], s[18:19]
	s_cbranch_execnz .LBB987_57
.LBB987_44:
	s_or_b64 exec, exec, s[0:1]
                                        ; implicit-def: $vgpr36_vgpr37
	s_and_saveexec_b64 s[0:1], s[20:21]
	s_cbranch_execz .LBB987_58
.LBB987_45:
	v_lshlrev_b32_e32 v36, 3, v38
	v_mov_b32_e32 v37, s61
	v_add_co_u32_e32 v36, vcc, s60, v36
	v_addc_co_u32_e32 v37, vcc, 0, v37, vcc
	flat_load_dwordx2 v[36:37], v[36:37]
	s_or_b64 exec, exec, s[0:1]
                                        ; implicit-def: $vgpr38_vgpr39
	s_and_saveexec_b64 s[0:1], s[22:23]
	s_cbranch_execnz .LBB987_59
.LBB987_46:
	s_or_b64 exec, exec, s[0:1]
                                        ; implicit-def: $vgpr40_vgpr41
	s_and_saveexec_b64 s[0:1], s[24:25]
	s_cbranch_execz .LBB987_60
.LBB987_47:
	v_lshlrev_b32_e32 v40, 3, v42
	v_mov_b32_e32 v41, s61
	v_add_co_u32_e32 v40, vcc, s60, v40
	v_addc_co_u32_e32 v41, vcc, 0, v41, vcc
	flat_load_dwordx2 v[40:41], v[40:41]
	s_or_b64 exec, exec, s[0:1]
                                        ; implicit-def: $vgpr42_vgpr43
	s_and_saveexec_b64 s[0:1], s[26:27]
	s_cbranch_execz .LBB987_62
	s_branch .LBB987_61
.LBB987_48:
	s_or_b64 exec, exec, s[34:35]
                                        ; implicit-def: $vgpr18_vgpr19
	s_and_saveexec_b64 s[34:35], s[0:1]
	s_cbranch_execz .LBB987_36
.LBB987_49:
	v_lshlrev_b32_e32 v18, 3, v0
	v_mov_b32_e32 v19, s61
	v_add_co_u32_e32 v18, vcc, s60, v18
	v_addc_co_u32_e32 v19, vcc, 0, v19, vcc
	flat_load_dwordx2 v[18:19], v[18:19] offset:2048
	s_or_b64 exec, exec, s[34:35]
                                        ; implicit-def: $vgpr20_vgpr21
	s_and_saveexec_b64 s[0:1], s[2:3]
	s_cbranch_execnz .LBB987_37
.LBB987_50:
	s_or_b64 exec, exec, s[0:1]
                                        ; implicit-def: $vgpr22_vgpr23
	s_and_saveexec_b64 s[0:1], s[30:31]
	s_cbranch_execz .LBB987_38
.LBB987_51:
	v_lshlrev_b32_e32 v22, 3, v24
	v_mov_b32_e32 v23, s61
	v_add_co_u32_e32 v22, vcc, s60, v22
	v_addc_co_u32_e32 v23, vcc, 0, v23, vcc
	flat_load_dwordx2 v[22:23], v[22:23]
	s_or_b64 exec, exec, s[0:1]
                                        ; implicit-def: $vgpr24_vgpr25
	s_and_saveexec_b64 s[0:1], s[8:9]
	s_cbranch_execnz .LBB987_39
.LBB987_52:
	s_or_b64 exec, exec, s[0:1]
                                        ; implicit-def: $vgpr26_vgpr27
	s_and_saveexec_b64 s[0:1], s[10:11]
	s_cbranch_execz .LBB987_40
.LBB987_53:
	v_lshlrev_b32_e32 v26, 3, v28
	v_mov_b32_e32 v27, s61
	v_add_co_u32_e32 v26, vcc, s60, v26
	v_addc_co_u32_e32 v27, vcc, 0, v27, vcc
	flat_load_dwordx2 v[26:27], v[26:27]
	s_or_b64 exec, exec, s[0:1]
                                        ; implicit-def: $vgpr28_vgpr29
	s_and_saveexec_b64 s[0:1], s[12:13]
	s_cbranch_execnz .LBB987_41
.LBB987_54:
	s_or_b64 exec, exec, s[0:1]
                                        ; implicit-def: $vgpr30_vgpr31
	s_and_saveexec_b64 s[0:1], s[14:15]
	s_cbranch_execz .LBB987_42
.LBB987_55:
	v_lshlrev_b32_e32 v30, 3, v32
	v_mov_b32_e32 v31, s61
	v_add_co_u32_e32 v30, vcc, s60, v30
	v_addc_co_u32_e32 v31, vcc, 0, v31, vcc
	flat_load_dwordx2 v[30:31], v[30:31]
	s_or_b64 exec, exec, s[0:1]
                                        ; implicit-def: $vgpr32_vgpr33
	s_and_saveexec_b64 s[0:1], s[16:17]
	s_cbranch_execnz .LBB987_43
.LBB987_56:
	s_or_b64 exec, exec, s[0:1]
                                        ; implicit-def: $vgpr34_vgpr35
	s_and_saveexec_b64 s[0:1], s[18:19]
	s_cbranch_execz .LBB987_44
.LBB987_57:
	v_lshlrev_b32_e32 v34, 3, v36
	v_mov_b32_e32 v35, s61
	v_add_co_u32_e32 v34, vcc, s60, v34
	v_addc_co_u32_e32 v35, vcc, 0, v35, vcc
	flat_load_dwordx2 v[34:35], v[34:35]
	s_or_b64 exec, exec, s[0:1]
                                        ; implicit-def: $vgpr36_vgpr37
	s_and_saveexec_b64 s[0:1], s[20:21]
	s_cbranch_execnz .LBB987_45
.LBB987_58:
	s_or_b64 exec, exec, s[0:1]
                                        ; implicit-def: $vgpr38_vgpr39
	s_and_saveexec_b64 s[0:1], s[22:23]
	s_cbranch_execz .LBB987_46
.LBB987_59:
	v_lshlrev_b32_e32 v38, 3, v40
	v_mov_b32_e32 v39, s61
	v_add_co_u32_e32 v38, vcc, s60, v38
	v_addc_co_u32_e32 v39, vcc, 0, v39, vcc
	flat_load_dwordx2 v[38:39], v[38:39]
	s_or_b64 exec, exec, s[0:1]
                                        ; implicit-def: $vgpr40_vgpr41
	s_and_saveexec_b64 s[0:1], s[24:25]
	s_cbranch_execnz .LBB987_47
.LBB987_60:
	s_or_b64 exec, exec, s[0:1]
                                        ; implicit-def: $vgpr42_vgpr43
	s_and_saveexec_b64 s[0:1], s[26:27]
	s_cbranch_execz .LBB987_62
.LBB987_61:
	v_lshlrev_b32_e32 v42, 3, v44
	v_mov_b32_e32 v43, s61
	v_add_co_u32_e32 v42, vcc, s60, v42
	v_addc_co_u32_e32 v43, vcc, 0, v43, vcc
	flat_load_dwordx2 v[42:43], v[42:43]
.LBB987_62:
	s_or_b64 exec, exec, s[0:1]
	v_mul_u32_u24_e32 v51, 15, v0
                                        ; implicit-def: $vgpr44_vgpr45
	s_and_saveexec_b64 s[0:1], s[28:29]
	s_cbranch_execz .LBB987_64
; %bb.63:
	v_lshlrev_b32_e32 v44, 3, v49
	v_mov_b32_e32 v45, s61
	v_add_co_u32_e32 v44, vcc, s60, v44
	v_addc_co_u32_e32 v45, vcc, 0, v45, vcc
	flat_load_dwordx2 v[44:45], v[44:45]
.LBB987_64:
	s_or_b64 exec, exec, s[0:1]
	s_movk_i32 s0, 0xffcc
	v_add_u32_e32 v82, 1, v51
	v_add_u32_e32 v79, 2, v51
	;; [unrolled: 1-line block ×14, first 2 shown]
	v_mad_i32_i24 v47, v0, s0, v47
	v_mov_b32_e32 v80, v14
	v_mov_b32_e32 v81, v12
	;; [unrolled: 1-line block ×7, first 2 shown]
	s_waitcnt vmcnt(0) lgkmcnt(0)
	ds_write2st64_b64 v47, v[16:17], v[18:19] offset1:4
	ds_write2st64_b64 v47, v[20:21], v[22:23] offset0:8 offset1:12
	ds_write2st64_b64 v47, v[24:25], v[26:27] offset0:16 offset1:20
	;; [unrolled: 1-line block ×6, first 2 shown]
	ds_write_b64 v47, v[44:45] offset:28672
	s_waitcnt lgkmcnt(0)
	s_barrier
.LBB987_65:
	v_lshlrev_b32_e32 v16, 3, v51
	v_lshlrev_b32_e32 v17, 3, v82
	s_waitcnt lgkmcnt(0)
	v_lshlrev_b32_e32 v18, 3, v79
	v_lshlrev_b32_e32 v19, 3, v73
	ds_read_b64 v[42:43], v16
	ds_read_b64 v[40:41], v17
	ds_read_b64 v[38:39], v18
	ds_read_b64 v[34:35], v19
	v_lshlrev_b32_e32 v16, 3, v71
	v_lshlrev_b32_e32 v17, 3, v69
	v_lshlrev_b32_e32 v18, 3, v67
	v_lshlrev_b32_e32 v19, 3, v65
	ds_read_b64 v[36:37], v16
	ds_read_b64 v[32:33], v17
	ds_read_b64 v[30:31], v18
	ds_read_b64 v[26:27], v19
	v_lshlrev_b32_e32 v16, 3, v63
	v_lshlrev_b32_e32 v17, 3, v61
	;; [unrolled: 8-line block ×3, first 2 shown]
	v_lshlrev_b32_e32 v44, 3, v49
	ds_read_b64 v[18:19], v16
	ds_read_b64 v[16:17], v17
	;; [unrolled: 1-line block ×3, first 2 shown]
	s_load_dwordx4 s[44:47], s[4:5], 0x28
	s_cmp_eq_u64 s[56:57], 0
	s_cselect_b64 s[34:35], -1, 0
	s_cmp_lg_u64 s[56:57], 0
	s_mov_b64 s[60:61], 0
	s_cselect_b64 s[2:3], -1, 0
	s_and_b64 vcc, exec, s[58:59]
	s_waitcnt lgkmcnt(0)
	s_barrier
	s_cbranch_vccz .LBB987_71
; %bb.66:
	s_and_b64 vcc, exec, s[2:3]
	s_cbranch_vccz .LBB987_188
; %bb.67:
	v_mov_b32_e32 v47, s62
	v_add_co_u32_e64 v82, vcc, -4, s7
	v_addc_co_u32_e32 v83, vcc, -1, v47, vcc
	flat_load_dword v47, v[82:83]
	v_cmp_ne_u32_e32 vcc, 0, v0
	ds_write_b32 v96, v1
	s_waitcnt lgkmcnt(0)
	s_barrier
	s_and_saveexec_b64 s[0:1], vcc
	s_cbranch_execz .LBB987_69
; %bb.68:
	s_waitcnt vmcnt(0)
	v_add_u32_e32 v47, -4, v96
	ds_read_b32 v47, v47
.LBB987_69:
	s_or_b64 exec, exec, s[0:1]
	v_cmp_ne_u32_e32 vcc, v80, v15
	v_cndmask_b32_e64 v95, 0, 1, vcc
	v_cmp_ne_u32_e32 vcc, v81, v15
	v_cndmask_b32_e64 v94, 0, 1, vcc
	;; [unrolled: 2-line block ×14, first 2 shown]
	s_waitcnt vmcnt(0) lgkmcnt(0)
	v_cmp_ne_u32_e64 s[0:1], v47, v14
	s_mov_b64 s[60:61], -1
.LBB987_70:
                                        ; implicit-def: $sgpr8
	s_branch .LBB987_72
.LBB987_71:
                                        ; implicit-def: $sgpr0_sgpr1
                                        ; implicit-def: $vgpr82
                                        ; implicit-def: $vgpr83
                                        ; implicit-def: $vgpr84
                                        ; implicit-def: $vgpr85
                                        ; implicit-def: $vgpr86
                                        ; implicit-def: $vgpr87
                                        ; implicit-def: $vgpr88
                                        ; implicit-def: $vgpr89
                                        ; implicit-def: $vgpr90
                                        ; implicit-def: $vgpr91
                                        ; implicit-def: $vgpr92
                                        ; implicit-def: $vgpr93
                                        ; implicit-def: $vgpr94
                                        ; implicit-def: $vgpr95
                                        ; implicit-def: $sgpr8
	s_cbranch_execnz .LBB987_192
.LBB987_72:
	v_mov_b32_e32 v96, s8
	s_and_saveexec_b64 s[2:3], s[60:61]
.LBB987_73:
	v_cndmask_b32_e64 v96, 0, 1, s[0:1]
.LBB987_74:
	s_or_b64 exec, exec, s[2:3]
	s_cmp_eq_u64 s[42:43], 0
	v_add3_u32 v46, v95, v96, v94
	s_cselect_b64 s[30:31], -1, 0
	s_cmp_lg_u32 s6, 0
	v_cmp_eq_u32_e64 s[24:25], 0, v95
	v_cmp_eq_u32_e64 s[22:23], 0, v94
	;; [unrolled: 1-line block ×3, first 2 shown]
	v_add3_u32 v99, v46, v93, v92
	v_cmp_eq_u32_e64 s[18:19], 0, v92
	v_cmp_eq_u32_e64 s[16:17], 0, v91
	;; [unrolled: 1-line block ×10, first 2 shown]
	v_cmp_eq_u32_e32 vcc, 0, v82
	v_mbcnt_lo_u32_b32 v97, -1, 0
	s_cbranch_scc0 .LBB987_141
; %bb.75:
	v_cndmask_b32_e64 v47, 0, v42, s[24:25]
	v_cndmask_b32_e64 v46, 0, v43, s[24:25]
	v_add_co_u32_e64 v47, s[26:27], v47, v40
	v_addc_co_u32_e64 v46, s[26:27], v46, v41, s[26:27]
	v_cndmask_b32_e64 v47, 0, v47, s[22:23]
	v_cndmask_b32_e64 v46, 0, v46, s[22:23]
	v_add_co_u32_e64 v47, s[26:27], v47, v38
	v_addc_co_u32_e64 v46, s[26:27], v46, v39, s[26:27]
	;; [unrolled: 4-line block ×11, first 2 shown]
	v_cndmask_b32_e64 v47, 0, v47, s[2:3]
	v_add3_u32 v48, v99, v91, v90
	v_cndmask_b32_e64 v46, 0, v46, s[2:3]
	v_add_co_u32_e64 v47, s[26:27], v47, v18
	v_add3_u32 v48, v48, v89, v88
	v_addc_co_u32_e64 v46, s[26:27], v46, v19, s[26:27]
	v_cndmask_b32_e64 v47, 0, v47, s[0:1]
	v_add3_u32 v48, v48, v87, v86
	v_cndmask_b32_e64 v46, 0, v46, s[0:1]
	v_add_co_u32_e64 v47, s[26:27], v47, v16
	v_add3_u32 v48, v48, v85, v84
	v_addc_co_u32_e64 v46, s[26:27], v46, v17, s[26:27]
	v_cndmask_b32_e32 v47, 0, v47, vcc
	v_add3_u32 v50, v48, v83, v82
	v_cndmask_b32_e32 v46, 0, v46, vcc
	v_add_co_u32_e32 v48, vcc, v47, v44
	v_mbcnt_hi_u32_b32 v51, -1, v97
	v_addc_co_u32_e32 v49, vcc, v46, v45, vcc
	v_and_b32_e32 v46, 15, v51
	v_mov_b32_dpp v52, v50 row_shr:1 row_mask:0xf bank_mask:0xf
	v_mov_b32_dpp v47, v48 row_shr:1 row_mask:0xf bank_mask:0xf
	;; [unrolled: 1-line block ×3, first 2 shown]
	v_cmp_ne_u32_e32 vcc, 0, v46
	s_and_saveexec_b64 s[26:27], vcc
; %bb.76:
	v_cmp_eq_u32_e32 vcc, 0, v50
	v_cndmask_b32_e32 v47, 0, v47, vcc
	v_add_u32_e32 v52, v52, v50
	v_cndmask_b32_e32 v50, 0, v53, vcc
	v_add_co_u32_e32 v48, vcc, v47, v48
	v_addc_co_u32_e32 v49, vcc, v50, v49, vcc
	v_mov_b32_e32 v50, v52
; %bb.77:
	s_or_b64 exec, exec, s[26:27]
	s_nop 0
	v_mov_b32_dpp v52, v50 row_shr:2 row_mask:0xf bank_mask:0xf
	v_mov_b32_dpp v47, v48 row_shr:2 row_mask:0xf bank_mask:0xf
	v_mov_b32_dpp v53, v49 row_shr:2 row_mask:0xf bank_mask:0xf
	v_cmp_lt_u32_e32 vcc, 1, v46
	s_and_saveexec_b64 s[26:27], vcc
; %bb.78:
	v_cmp_eq_u32_e32 vcc, 0, v50
	v_cndmask_b32_e32 v47, 0, v47, vcc
	v_add_u32_e32 v52, v52, v50
	v_cndmask_b32_e32 v50, 0, v53, vcc
	v_add_co_u32_e32 v48, vcc, v47, v48
	v_addc_co_u32_e32 v49, vcc, v50, v49, vcc
	v_mov_b32_e32 v50, v52
; %bb.79:
	s_or_b64 exec, exec, s[26:27]
	s_nop 0
	v_mov_b32_dpp v52, v50 row_shr:4 row_mask:0xf bank_mask:0xf
	v_mov_b32_dpp v47, v48 row_shr:4 row_mask:0xf bank_mask:0xf
	v_mov_b32_dpp v53, v49 row_shr:4 row_mask:0xf bank_mask:0xf
	v_cmp_lt_u32_e32 vcc, 3, v46
	;; [unrolled: 16-line block ×3, first 2 shown]
	s_and_saveexec_b64 s[26:27], vcc
; %bb.82:
	v_cmp_eq_u32_e32 vcc, 0, v50
	v_cndmask_b32_e32 v47, 0, v47, vcc
	v_add_u32_e32 v46, v52, v50
	v_cndmask_b32_e32 v50, 0, v53, vcc
	v_add_co_u32_e32 v48, vcc, v47, v48
	v_addc_co_u32_e32 v49, vcc, v50, v49, vcc
	v_mov_b32_e32 v50, v46
; %bb.83:
	s_or_b64 exec, exec, s[26:27]
	v_and_b32_e32 v53, 16, v51
	v_mov_b32_dpp v47, v50 row_bcast:15 row_mask:0xf bank_mask:0xf
	v_mov_b32_dpp v46, v48 row_bcast:15 row_mask:0xf bank_mask:0xf
	;; [unrolled: 1-line block ×3, first 2 shown]
	v_cmp_ne_u32_e32 vcc, 0, v53
	s_and_saveexec_b64 s[26:27], vcc
; %bb.84:
	v_cmp_eq_u32_e32 vcc, 0, v50
	v_cndmask_b32_e32 v46, 0, v46, vcc
	v_add_u32_e32 v47, v47, v50
	v_cndmask_b32_e32 v50, 0, v52, vcc
	v_add_co_u32_e32 v48, vcc, v46, v48
	v_addc_co_u32_e32 v49, vcc, v50, v49, vcc
	v_mov_b32_e32 v50, v47
; %bb.85:
	s_or_b64 exec, exec, s[26:27]
	s_nop 0
	v_mov_b32_dpp v47, v50 row_bcast:31 row_mask:0xf bank_mask:0xf
	v_mov_b32_dpp v46, v48 row_bcast:31 row_mask:0xf bank_mask:0xf
	v_mov_b32_dpp v52, v49 row_bcast:31 row_mask:0xf bank_mask:0xf
	v_cmp_lt_u32_e32 vcc, 31, v51
	s_and_saveexec_b64 s[26:27], vcc
; %bb.86:
	v_cmp_eq_u32_e32 vcc, 0, v50
	v_cndmask_b32_e32 v46, 0, v46, vcc
	v_add_u32_e32 v47, v47, v50
	v_cndmask_b32_e32 v50, 0, v52, vcc
	v_add_co_u32_e32 v48, vcc, v46, v48
	v_addc_co_u32_e32 v49, vcc, v50, v49, vcc
	v_mov_b32_e32 v50, v47
; %bb.87:
	s_or_b64 exec, exec, s[26:27]
	v_lshrrev_b32_e32 v46, 6, v0
	v_or_b32_e32 v47, 63, v0
	v_cmp_eq_u32_e32 vcc, v47, v0
	v_lshlrev_b32_e32 v52, 4, v46
	s_and_saveexec_b64 s[26:27], vcc
	s_cbranch_execz .LBB987_89
; %bb.88:
	ds_write_b32 v52, v50 offset:2080
	ds_write_b64 v52, v[48:49] offset:2088
.LBB987_89:
	s_or_b64 exec, exec, s[26:27]
	v_cmp_gt_u32_e32 vcc, 4, v0
	s_waitcnt lgkmcnt(0)
	s_barrier
	s_and_saveexec_b64 s[26:27], vcc
	s_cbranch_execz .LBB987_95
; %bb.90:
	v_lshlrev_b32_e32 v53, 4, v0
	ds_read_b32 v54, v53 offset:2080
	ds_read_b64 v[46:47], v53 offset:2088
	v_and_b32_e32 v55, 3, v51
	v_cmp_ne_u32_e32 vcc, 0, v55
	s_waitcnt lgkmcnt(1)
	v_mov_b32_dpp v57, v54 row_shr:1 row_mask:0xf bank_mask:0xf
	s_waitcnt lgkmcnt(0)
	v_mov_b32_dpp v56, v46 row_shr:1 row_mask:0xf bank_mask:0xf
	v_mov_b32_dpp v58, v47 row_shr:1 row_mask:0xf bank_mask:0xf
	s_and_saveexec_b64 s[42:43], vcc
; %bb.91:
	v_cmp_eq_u32_e32 vcc, 0, v54
	v_cndmask_b32_e32 v56, 0, v56, vcc
	v_add_u32_e32 v57, v57, v54
	v_cndmask_b32_e32 v54, 0, v58, vcc
	v_add_co_u32_e32 v46, vcc, v56, v46
	v_addc_co_u32_e32 v47, vcc, v54, v47, vcc
	v_mov_b32_e32 v54, v57
; %bb.92:
	s_or_b64 exec, exec, s[42:43]
	s_nop 0
	v_mov_b32_dpp v57, v54 row_shr:2 row_mask:0xf bank_mask:0xf
	v_mov_b32_dpp v56, v46 row_shr:2 row_mask:0xf bank_mask:0xf
	v_mov_b32_dpp v58, v47 row_shr:2 row_mask:0xf bank_mask:0xf
	v_cmp_lt_u32_e32 vcc, 1, v55
	s_and_saveexec_b64 s[42:43], vcc
; %bb.93:
	v_cmp_eq_u32_e32 vcc, 0, v54
	v_cndmask_b32_e32 v56, 0, v56, vcc
	v_add_u32_e32 v55, v57, v54
	v_cndmask_b32_e32 v54, 0, v58, vcc
	v_add_co_u32_e32 v46, vcc, v56, v46
	v_addc_co_u32_e32 v47, vcc, v54, v47, vcc
	v_mov_b32_e32 v54, v55
; %bb.94:
	s_or_b64 exec, exec, s[42:43]
	ds_write_b32 v53, v54 offset:2080
	ds_write_b64 v53, v[46:47] offset:2088
.LBB987_95:
	s_or_b64 exec, exec, s[26:27]
	v_cmp_gt_u32_e32 vcc, 64, v0
	v_cmp_lt_u32_e64 s[26:27], 63, v0
	v_pk_mov_b32 v[46:47], 0, 0
	v_mov_b32_e32 v58, 0
	s_waitcnt lgkmcnt(0)
	s_barrier
	s_and_saveexec_b64 s[42:43], s[26:27]
	s_cbranch_execz .LBB987_97
; %bb.96:
	ds_read_b32 v58, v52 offset:2064
	ds_read_b64 v[46:47], v52 offset:2072
	v_cmp_eq_u32_e64 s[26:27], 0, v50
	s_waitcnt lgkmcnt(1)
	v_add_u32_e32 v52, v58, v50
	s_waitcnt lgkmcnt(0)
	v_cndmask_b32_e64 v53, 0, v46, s[26:27]
	v_cndmask_b32_e64 v50, 0, v47, s[26:27]
	v_add_co_u32_e64 v48, s[26:27], v53, v48
	v_addc_co_u32_e64 v49, s[26:27], v50, v49, s[26:27]
	v_mov_b32_e32 v50, v52
.LBB987_97:
	s_or_b64 exec, exec, s[42:43]
	v_add_u32_e32 v52, -1, v51
	v_and_b32_e32 v53, 64, v51
	v_cmp_lt_i32_e64 s[26:27], v52, v53
	v_cndmask_b32_e64 v52, v52, v51, s[26:27]
	v_lshlrev_b32_e32 v52, 2, v52
	ds_bpermute_b32 v59, v52, v50
	ds_bpermute_b32 v60, v52, v48
	;; [unrolled: 1-line block ×3, first 2 shown]
	v_cmp_eq_u32_e64 s[26:27], 0, v51
	s_and_saveexec_b64 s[42:43], vcc
	s_cbranch_execz .LBB987_140
; %bb.98:
	v_mov_b32_e32 v53, 0
	ds_read_b32 v62, v53 offset:2128
	ds_read_b64 v[48:49], v53 offset:2136
	s_and_saveexec_b64 s[48:49], s[26:27]
	s_cbranch_execz .LBB987_100
; %bb.99:
	s_add_i32 s56, s6, 64
	s_mov_b32 s57, 0
	s_lshl_b64 s[58:59], s[56:57], 4
	s_add_u32 s58, s36, s58
	s_addc_u32 s59, s37, s59
	v_mov_b32_e32 v50, s56
	v_mov_b32_e32 v52, 1
	s_waitcnt lgkmcnt(1)
	global_store_dword v53, v62, s[58:59]
	s_waitcnt lgkmcnt(0)
	global_store_dwordx2 v53, v[48:49], s[58:59] offset:8
	s_waitcnt vmcnt(0)
	buffer_wbinvl1_vol
	global_store_byte v50, v52, s[40:41]
.LBB987_100:
	s_or_b64 exec, exec, s[48:49]
	v_xad_u32 v50, v51, -1, s6
	v_add_u32_e32 v52, 64, v50
	global_load_ubyte v63, v52, s[40:41] glc
	s_waitcnt vmcnt(0)
	v_cmp_eq_u16_e32 vcc, 0, v63
	s_and_saveexec_b64 s[48:49], vcc
	s_cbranch_execz .LBB987_104
; %bb.101:
	v_mov_b32_e32 v55, s41
	v_add_co_u32_e32 v54, vcc, s40, v52
	v_addc_co_u32_e32 v55, vcc, 0, v55, vcc
	s_mov_b64 s[56:57], 0
.LBB987_102:                            ; =>This Inner Loop Header: Depth=1
	global_load_ubyte v63, v[54:55], off glc
	s_waitcnt vmcnt(0)
	v_cmp_ne_u16_e32 vcc, 0, v63
	s_or_b64 s[56:57], vcc, s[56:57]
	s_andn2_b64 exec, exec, s[56:57]
	s_cbranch_execnz .LBB987_102
; %bb.103:
	s_or_b64 exec, exec, s[56:57]
.LBB987_104:
	s_or_b64 exec, exec, s[48:49]
	v_mov_b32_e32 v54, s39
	v_mov_b32_e32 v55, s37
	v_cmp_eq_u16_e32 vcc, 1, v63
	v_cndmask_b32_e32 v54, v54, v55, vcc
	v_mov_b32_e32 v55, s38
	v_mov_b32_e32 v56, s36
	v_cndmask_b32_e32 v55, v55, v56, vcc
	v_lshlrev_b64 v[52:53], 4, v[52:53]
	v_add_co_u32_e32 v52, vcc, v55, v52
	v_addc_co_u32_e32 v53, vcc, v54, v53, vcc
	s_waitcnt lgkmcnt(0)
	buffer_wbinvl1_vol
	global_load_dword v78, v[52:53], off
	global_load_dwordx2 v[56:57], v[52:53], off offset:8
	v_cmp_eq_u16_e32 vcc, 2, v63
	v_lshlrev_b64 v[52:53], v51, -1
	v_and_b32_e32 v64, 63, v51
	v_and_b32_e32 v54, vcc_hi, v53
	v_and_b32_e32 v68, vcc_lo, v52
	v_cmp_ne_u32_e32 vcc, 63, v64
	v_addc_co_u32_e32 v55, vcc, 0, v51, vcc
	v_lshlrev_b32_e32 v65, 2, v55
	v_or_b32_e32 v54, 0x80000000, v54
	v_ffbl_b32_e32 v54, v54
	v_add_u32_e32 v54, 32, v54
	v_ffbl_b32_e32 v68, v68
	v_min_u32_e32 v54, v68, v54
	v_cmp_lt_u32_e32 vcc, v64, v54
	s_waitcnt vmcnt(1)
	ds_bpermute_b32 v66, v65, v78
	s_waitcnt vmcnt(0)
	ds_bpermute_b32 v55, v65, v56
	ds_bpermute_b32 v67, v65, v57
	s_and_saveexec_b64 s[48:49], vcc
	s_cbranch_execz .LBB987_106
; %bb.105:
	v_cmp_eq_u32_e32 vcc, 0, v78
	s_waitcnt lgkmcnt(1)
	v_cndmask_b32_e32 v55, 0, v55, vcc
	v_add_u32_e32 v66, v66, v78
	s_waitcnt lgkmcnt(0)
	v_cndmask_b32_e32 v67, 0, v67, vcc
	v_add_co_u32_e32 v56, vcc, v55, v56
	v_addc_co_u32_e32 v57, vcc, v67, v57, vcc
	v_mov_b32_e32 v78, v66
.LBB987_106:
	s_or_b64 exec, exec, s[48:49]
	v_cmp_gt_u32_e32 vcc, 62, v64
	s_waitcnt lgkmcnt(1)
	v_cndmask_b32_e64 v55, 0, 1, vcc
	v_lshlrev_b32_e32 v55, 1, v55
	v_add_lshl_u32 v66, v55, v51, 2
	ds_bpermute_b32 v68, v66, v78
	ds_bpermute_b32 v55, v66, v56
	ds_bpermute_b32 v69, v66, v57
	s_waitcnt lgkmcnt(3)
	v_add_u32_e32 v67, 2, v64
	v_cmp_le_u32_e32 vcc, v67, v54
	s_and_saveexec_b64 s[48:49], vcc
	s_cbranch_execz .LBB987_108
; %bb.107:
	v_cmp_eq_u32_e32 vcc, 0, v78
	s_waitcnt lgkmcnt(1)
	v_cndmask_b32_e32 v55, 0, v55, vcc
	v_add_u32_e32 v68, v68, v78
	s_waitcnt lgkmcnt(0)
	v_cndmask_b32_e32 v69, 0, v69, vcc
	v_add_co_u32_e32 v56, vcc, v55, v56
	v_addc_co_u32_e32 v57, vcc, v69, v57, vcc
	v_mov_b32_e32 v78, v68
.LBB987_108:
	s_or_b64 exec, exec, s[48:49]
	v_cmp_gt_u32_e32 vcc, 60, v64
	s_waitcnt lgkmcnt(1)
	v_cndmask_b32_e64 v55, 0, 1, vcc
	v_lshlrev_b32_e32 v55, 2, v55
	v_add_lshl_u32 v68, v55, v51, 2
	ds_bpermute_b32 v70, v68, v78
	ds_bpermute_b32 v55, v68, v56
	ds_bpermute_b32 v71, v68, v57
	s_waitcnt lgkmcnt(3)
	v_add_u32_e32 v69, 4, v64
	v_cmp_le_u32_e32 vcc, v69, v54
	;; [unrolled: 25-line block ×4, first 2 shown]
	s_and_saveexec_b64 s[48:49], vcc
	s_cbranch_execz .LBB987_114
; %bb.113:
	v_cmp_eq_u32_e32 vcc, 0, v78
	s_waitcnt lgkmcnt(1)
	v_cndmask_b32_e32 v55, 0, v55, vcc
	v_add_u32_e32 v74, v74, v78
	s_waitcnt lgkmcnt(0)
	v_cndmask_b32_e32 v75, 0, v75, vcc
	v_add_co_u32_e32 v56, vcc, v55, v56
	v_addc_co_u32_e32 v57, vcc, v75, v57, vcc
	v_mov_b32_e32 v78, v74
.LBB987_114:
	s_or_b64 exec, exec, s[48:49]
	v_cmp_gt_u32_e32 vcc, 32, v64
	s_waitcnt lgkmcnt(1)
	v_cndmask_b32_e64 v55, 0, 1, vcc
	v_lshlrev_b32_e32 v55, 5, v55
	v_add_lshl_u32 v74, v55, v51, 2
	ds_bpermute_b32 v55, v74, v78
	ds_bpermute_b32 v51, v74, v56
	s_waitcnt lgkmcnt(2)
	ds_bpermute_b32 v75, v74, v57
	v_add_u32_e32 v76, 32, v64
	v_cmp_le_u32_e32 vcc, v76, v54
	s_and_saveexec_b64 s[48:49], vcc
	s_cbranch_execz .LBB987_116
; %bb.115:
	v_cmp_eq_u32_e32 vcc, 0, v78
	s_waitcnt lgkmcnt(1)
	v_cndmask_b32_e32 v51, 0, v51, vcc
	v_add_u32_e32 v54, v55, v78
	s_waitcnt lgkmcnt(0)
	v_cndmask_b32_e32 v55, 0, v75, vcc
	v_add_co_u32_e32 v56, vcc, v51, v56
	v_addc_co_u32_e32 v57, vcc, v55, v57, vcc
	v_mov_b32_e32 v78, v54
.LBB987_116:
	s_or_b64 exec, exec, s[48:49]
	s_waitcnt lgkmcnt(1)
	v_mov_b32_e32 v51, 0
	v_mov_b32_e32 v77, 2
	s_branch .LBB987_118
.LBB987_117:                            ;   in Loop: Header=BB987_118 Depth=1
	s_or_b64 exec, exec, s[48:49]
	v_cmp_eq_u32_e32 vcc, 0, v75
	v_cndmask_b32_e32 v56, 0, v56, vcc
	v_cndmask_b32_e32 v57, 0, v57, vcc
	v_add_co_u32_e32 v56, vcc, v56, v54
	v_subrev_u32_e32 v50, 64, v50
	v_add_u32_e32 v78, v79, v75
	v_addc_co_u32_e32 v57, vcc, v57, v55, vcc
.LBB987_118:                            ; =>This Loop Header: Depth=1
                                        ;     Child Loop BB987_121 Depth 2
	v_cmp_ne_u16_sdwa s[48:49], v63, v77 src0_sel:BYTE_0 src1_sel:DWORD
	v_pk_mov_b32 v[54:55], v[56:57], v[56:57] op_sel:[0,1]
	v_cndmask_b32_e64 v56, 0, 1, s[48:49]
	;;#ASMSTART
	;;#ASMEND
	v_cmp_ne_u32_e32 vcc, 0, v56
	s_cmp_lg_u64 vcc, exec
	s_waitcnt lgkmcnt(0)
	v_mov_b32_e32 v75, v78
	s_cbranch_scc1 .LBB987_135
; %bb.119:                              ;   in Loop: Header=BB987_118 Depth=1
	global_load_ubyte v63, v50, s[40:41] glc
	s_waitcnt vmcnt(0)
	v_cmp_eq_u16_e32 vcc, 0, v63
	s_and_saveexec_b64 s[48:49], vcc
	s_cbranch_execz .LBB987_123
; %bb.120:                              ;   in Loop: Header=BB987_118 Depth=1
	v_mov_b32_e32 v57, s41
	v_add_co_u32_e32 v56, vcc, s40, v50
	v_addc_co_u32_e32 v57, vcc, 0, v57, vcc
	s_mov_b64 s[56:57], 0
.LBB987_121:                            ;   Parent Loop BB987_118 Depth=1
                                        ; =>  This Inner Loop Header: Depth=2
	global_load_ubyte v63, v[56:57], off glc
	s_waitcnt vmcnt(0)
	v_cmp_ne_u16_e32 vcc, 0, v63
	s_or_b64 s[56:57], vcc, s[56:57]
	s_andn2_b64 exec, exec, s[56:57]
	s_cbranch_execnz .LBB987_121
; %bb.122:                              ;   in Loop: Header=BB987_118 Depth=1
	s_or_b64 exec, exec, s[56:57]
.LBB987_123:                            ;   in Loop: Header=BB987_118 Depth=1
	s_or_b64 exec, exec, s[48:49]
	v_mov_b32_e32 v56, s39
	v_mov_b32_e32 v57, s37
	v_cmp_eq_u16_e32 vcc, 1, v63
	v_cndmask_b32_e32 v78, v56, v57, vcc
	v_mov_b32_e32 v56, s38
	v_mov_b32_e32 v57, s36
	v_cndmask_b32_e32 v79, v56, v57, vcc
	v_lshlrev_b64 v[56:57], 4, v[50:51]
	v_add_co_u32_e32 v56, vcc, v79, v56
	v_addc_co_u32_e32 v57, vcc, v78, v57, vcc
	buffer_wbinvl1_vol
	global_load_dword v79, v[56:57], off
	s_nop 0
	global_load_dwordx2 v[56:57], v[56:57], off offset:8
	v_cmp_eq_u16_e32 vcc, 2, v63
	v_and_b32_e32 v78, vcc_hi, v53
	v_or_b32_e32 v78, 0x80000000, v78
	v_and_b32_e32 v100, vcc_lo, v52
	v_ffbl_b32_e32 v78, v78
	v_add_u32_e32 v78, 32, v78
	v_ffbl_b32_e32 v100, v100
	v_min_u32_e32 v78, v100, v78
	v_cmp_lt_u32_e32 vcc, v64, v78
	s_waitcnt vmcnt(1)
	ds_bpermute_b32 v81, v65, v79
	s_waitcnt vmcnt(0)
	ds_bpermute_b32 v80, v65, v56
	ds_bpermute_b32 v98, v65, v57
	s_and_saveexec_b64 s[48:49], vcc
	s_cbranch_execz .LBB987_125
; %bb.124:                              ;   in Loop: Header=BB987_118 Depth=1
	v_cmp_eq_u32_e32 vcc, 0, v79
	s_waitcnt lgkmcnt(1)
	v_cndmask_b32_e32 v80, 0, v80, vcc
	v_add_u32_e32 v81, v81, v79
	s_waitcnt lgkmcnt(0)
	v_cndmask_b32_e32 v79, 0, v98, vcc
	v_add_co_u32_e32 v56, vcc, v80, v56
	v_addc_co_u32_e32 v57, vcc, v79, v57, vcc
	v_mov_b32_e32 v79, v81
.LBB987_125:                            ;   in Loop: Header=BB987_118 Depth=1
	s_or_b64 exec, exec, s[48:49]
	s_waitcnt lgkmcnt(2)
	ds_bpermute_b32 v81, v66, v79
	s_waitcnt lgkmcnt(2)
	ds_bpermute_b32 v80, v66, v56
	s_waitcnt lgkmcnt(2)
	ds_bpermute_b32 v98, v66, v57
	v_cmp_le_u32_e32 vcc, v67, v78
	s_and_saveexec_b64 s[48:49], vcc
	s_cbranch_execz .LBB987_127
; %bb.126:                              ;   in Loop: Header=BB987_118 Depth=1
	v_cmp_eq_u32_e32 vcc, 0, v79
	s_waitcnt lgkmcnt(1)
	v_cndmask_b32_e32 v80, 0, v80, vcc
	v_add_u32_e32 v81, v81, v79
	s_waitcnt lgkmcnt(0)
	v_cndmask_b32_e32 v79, 0, v98, vcc
	v_add_co_u32_e32 v56, vcc, v80, v56
	v_addc_co_u32_e32 v57, vcc, v79, v57, vcc
	v_mov_b32_e32 v79, v81
.LBB987_127:                            ;   in Loop: Header=BB987_118 Depth=1
	s_or_b64 exec, exec, s[48:49]
	s_waitcnt lgkmcnt(2)
	ds_bpermute_b32 v81, v68, v79
	s_waitcnt lgkmcnt(2)
	ds_bpermute_b32 v80, v68, v56
	s_waitcnt lgkmcnt(2)
	ds_bpermute_b32 v98, v68, v57
	v_cmp_le_u32_e32 vcc, v69, v78
	;; [unrolled: 21-line block ×5, first 2 shown]
	s_and_saveexec_b64 s[48:49], vcc
	s_cbranch_execz .LBB987_117
; %bb.134:                              ;   in Loop: Header=BB987_118 Depth=1
	v_cmp_eq_u32_e32 vcc, 0, v79
	s_waitcnt lgkmcnt(1)
	v_cndmask_b32_e32 v80, 0, v80, vcc
	v_add_u32_e32 v78, v81, v79
	s_waitcnt lgkmcnt(0)
	v_cndmask_b32_e32 v79, 0, v98, vcc
	v_add_co_u32_e32 v56, vcc, v80, v56
	v_addc_co_u32_e32 v57, vcc, v79, v57, vcc
	v_mov_b32_e32 v79, v78
	s_branch .LBB987_117
.LBB987_135:                            ;   in Loop: Header=BB987_118 Depth=1
                                        ; implicit-def: $vgpr56_vgpr57
                                        ; implicit-def: $vgpr78
                                        ; implicit-def: $vgpr63
	s_cbranch_execz .LBB987_118
; %bb.136:
	s_and_saveexec_b64 s[36:37], s[26:27]
	s_cbranch_execz .LBB987_138
; %bb.137:
	s_mov_b32 s7, 0
	v_cmp_eq_u32_e32 vcc, 0, v62
	s_add_i32 s6, s6, 64
	v_cndmask_b32_e32 v50, 0, v54, vcc
	s_lshl_b64 s[48:49], s[6:7], 4
	v_cndmask_b32_e32 v51, 0, v55, vcc
	v_add_co_u32_e32 v50, vcc, v50, v48
	s_add_u32 s48, s38, s48
	v_add_u32_e32 v52, v75, v62
	v_addc_co_u32_e32 v51, vcc, v51, v49, vcc
	s_addc_u32 s49, s39, s49
	v_mov_b32_e32 v53, 0
	global_store_dword v53, v52, s[48:49]
	global_store_dwordx2 v53, v[50:51], s[48:49] offset:8
	v_mov_b32_e32 v50, s6
	v_mov_b32_e32 v51, 2
	s_waitcnt vmcnt(0) lgkmcnt(0)
	buffer_wbinvl1_vol
	global_store_byte v50, v51, s[40:41]
	ds_write_b32 v53, v62 offset:2048
	ds_write_b64 v53, v[48:49] offset:2056
	ds_write_b32 v53, v75 offset:2064
	ds_write_b64 v53, v[54:55] offset:2072
.LBB987_138:
	s_or_b64 exec, exec, s[36:37]
	v_cmp_eq_u32_e32 vcc, 0, v0
	s_and_b64 exec, exec, vcc
	s_cbranch_execz .LBB987_140
; %bb.139:
	v_mov_b32_e32 v48, 0
	ds_write_b32 v48, v75 offset:2128
	ds_write_b64 v48, v[54:55] offset:2136
.LBB987_140:
	s_or_b64 exec, exec, s[42:43]
	v_mov_b32_e32 v51, 0
	s_waitcnt lgkmcnt(0)
	s_barrier
	ds_read_b32 v50, v51 offset:2128
	ds_read_b64 v[48:49], v51 offset:2136
	v_cndmask_b32_e64 v52, v59, v58, s[26:27]
	v_cmp_eq_u32_e32 vcc, 0, v52
	v_cndmask_b32_e64 v46, v60, v46, s[26:27]
	v_cndmask_b32_e64 v47, v61, v47, s[26:27]
	s_waitcnt lgkmcnt(0)
	v_cndmask_b32_e32 v54, 0, v48, vcc
	v_cndmask_b32_e32 v53, 0, v49, vcc
	v_add_co_u32_e32 v46, vcc, v54, v46
	v_addc_co_u32_e32 v47, vcc, v53, v47, vcc
	v_cmp_eq_u32_e32 vcc, 0, v0
	v_cndmask_b32_e64 v52, v52, 0, vcc
	v_cndmask_b32_e32 v77, v47, v49, vcc
	v_cndmask_b32_e32 v76, v46, v48, vcc
	v_cmp_eq_u32_e32 vcc, 0, v96
	v_cndmask_b32_e32 v47, 0, v76, vcc
	v_add_u32_e32 v98, v50, v52
	v_cndmask_b32_e32 v46, 0, v77, vcc
	v_add_co_u32_e32 v52, vcc, v47, v42
	v_addc_co_u32_e32 v53, vcc, v46, v43, vcc
	v_cndmask_b32_e64 v47, 0, v52, s[24:25]
	v_cndmask_b32_e64 v46, 0, v53, s[24:25]
	v_add_co_u32_e32 v54, vcc, v47, v40
	v_addc_co_u32_e32 v55, vcc, v46, v41, vcc
	v_cndmask_b32_e64 v47, 0, v54, s[22:23]
	v_cndmask_b32_e64 v46, 0, v55, s[22:23]
	;; [unrolled: 4-line block ×11, first 2 shown]
	v_add_co_u32_e32 v74, vcc, v47, v20
	v_addc_co_u32_e32 v75, vcc, v46, v21, vcc
	s_barrier
	ds_read_b32 v46, v51 offset:2048
	ds_read_b64 v[48:49], v51 offset:2056
	ds_read_b32 v50, v51 offset:2064
	ds_read_b64 v[100:101], v51 offset:2072
	v_cndmask_b32_e64 v78, 0, v74, s[2:3]
	v_cndmask_b32_e64 v47, 0, v75, s[2:3]
	v_add_co_u32_e32 v78, vcc, v78, v18
	v_addc_co_u32_e32 v79, vcc, v47, v19, vcc
	s_waitcnt lgkmcnt(3)
	v_cmp_eq_u32_e32 vcc, 0, v46
	s_waitcnt lgkmcnt(0)
	v_cndmask_b32_e32 v51, 0, v100, vcc
	v_cndmask_b32_e32 v47, 0, v101, vcc
	v_add_co_u32_e32 v48, vcc, v51, v48
	v_cndmask_b32_e64 v81, 0, v79, s[0:1]
	v_cndmask_b32_e64 v80, 0, v78, s[0:1]
	v_addc_co_u32_e32 v49, vcc, v47, v49, vcc
	s_branch .LBB987_169
.LBB987_141:
                                        ; implicit-def: $vgpr46
                                        ; implicit-def: $vgpr48_vgpr49
                                        ; implicit-def: $vgpr50
                                        ; implicit-def: $vgpr76_vgpr77
                                        ; implicit-def: $vgpr52_vgpr53
                                        ; implicit-def: $vgpr54_vgpr55
                                        ; implicit-def: $vgpr56_vgpr57
                                        ; implicit-def: $vgpr58_vgpr59
                                        ; implicit-def: $vgpr60_vgpr61
                                        ; implicit-def: $vgpr62_vgpr63
                                        ; implicit-def: $vgpr64_vgpr65
                                        ; implicit-def: $vgpr66_vgpr67
                                        ; implicit-def: $vgpr68_vgpr69
                                        ; implicit-def: $vgpr70_vgpr71
                                        ; implicit-def: $vgpr72_vgpr73
                                        ; implicit-def: $vgpr74_vgpr75
                                        ; implicit-def: $vgpr78_vgpr79
                                        ; implicit-def: $vgpr80_vgpr81
                                        ; implicit-def: $vgpr98
	s_cbranch_execz .LBB987_169
; %bb.142:
	s_and_b64 s[0:1], s[30:31], exec
	s_cselect_b32 s1, 0, s55
	s_cselect_b32 s0, 0, s54
	s_cmp_eq_u64 s[0:1], 0
	v_pk_mov_b32 v[50:51], v[42:43], v[42:43] op_sel:[0,1]
	s_cbranch_scc1 .LBB987_144
; %bb.143:
	v_mov_b32_e32 v46, 0
	global_load_dwordx2 v[50:51], v46, s[0:1]
.LBB987_144:
	v_cmp_eq_u32_e64 s[22:23], 0, v95
	v_cndmask_b32_e64 v47, 0, v42, s[22:23]
	v_cndmask_b32_e64 v46, 0, v43, s[22:23]
	v_add_co_u32_e32 v47, vcc, v47, v40
	v_cmp_eq_u32_e64 s[20:21], 0, v94
	v_addc_co_u32_e32 v46, vcc, v46, v41, vcc
	v_cndmask_b32_e64 v47, 0, v47, s[20:21]
	v_cndmask_b32_e64 v46, 0, v46, s[20:21]
	v_add_co_u32_e32 v47, vcc, v47, v38
	v_cmp_eq_u32_e64 s[18:19], 0, v93
	v_addc_co_u32_e32 v46, vcc, v46, v39, vcc
	;; [unrolled: 5-line block ×11, first 2 shown]
	v_cndmask_b32_e64 v47, 0, v47, s[2:3]
	v_cndmask_b32_e64 v46, 0, v46, s[2:3]
	v_add_co_u32_e32 v47, vcc, v47, v18
	v_addc_co_u32_e32 v46, vcc, v46, v19, vcc
	v_cmp_eq_u32_e32 vcc, 0, v83
	v_cndmask_b32_e32 v47, 0, v47, vcc
	v_add3_u32 v48, v99, v91, v90
	v_cndmask_b32_e32 v46, 0, v46, vcc
	v_add_co_u32_e64 v47, s[24:25], v47, v16
	v_add3_u32 v48, v48, v89, v88
	v_addc_co_u32_e64 v46, s[24:25], v46, v17, s[24:25]
	v_add3_u32 v48, v48, v87, v86
	v_cmp_eq_u32_e64 s[24:25], 0, v82
	v_add3_u32 v48, v48, v85, v84
	v_cndmask_b32_e64 v47, 0, v47, s[24:25]
	v_add3_u32 v49, v48, v83, v82
	v_cndmask_b32_e64 v46, 0, v46, s[24:25]
	v_add_co_u32_e64 v44, s[24:25], v47, v44
	v_mbcnt_hi_u32_b32 v48, -1, v97
	v_addc_co_u32_e64 v45, s[24:25], v46, v45, s[24:25]
	v_and_b32_e32 v46, 15, v48
	v_mov_b32_dpp v52, v49 row_shr:1 row_mask:0xf bank_mask:0xf
	v_mov_b32_dpp v47, v44 row_shr:1 row_mask:0xf bank_mask:0xf
	;; [unrolled: 1-line block ×3, first 2 shown]
	v_cmp_ne_u32_e64 s[24:25], 0, v46
	s_and_saveexec_b64 s[26:27], s[24:25]
; %bb.145:
	v_cmp_eq_u32_e64 s[24:25], 0, v49
	v_cndmask_b32_e64 v47, 0, v47, s[24:25]
	v_add_u32_e32 v52, v52, v49
	v_cndmask_b32_e64 v49, 0, v53, s[24:25]
	v_add_co_u32_e64 v44, s[24:25], v47, v44
	v_addc_co_u32_e64 v45, s[24:25], v49, v45, s[24:25]
	v_mov_b32_e32 v49, v52
; %bb.146:
	s_or_b64 exec, exec, s[26:27]
	s_nop 0
	v_mov_b32_dpp v52, v49 row_shr:2 row_mask:0xf bank_mask:0xf
	v_mov_b32_dpp v47, v44 row_shr:2 row_mask:0xf bank_mask:0xf
	v_mov_b32_dpp v53, v45 row_shr:2 row_mask:0xf bank_mask:0xf
	v_cmp_lt_u32_e64 s[24:25], 1, v46
	s_and_saveexec_b64 s[26:27], s[24:25]
; %bb.147:
	v_cmp_eq_u32_e64 s[24:25], 0, v49
	v_cndmask_b32_e64 v47, 0, v47, s[24:25]
	v_add_u32_e32 v52, v52, v49
	v_cndmask_b32_e64 v49, 0, v53, s[24:25]
	v_add_co_u32_e64 v44, s[24:25], v47, v44
	v_addc_co_u32_e64 v45, s[24:25], v49, v45, s[24:25]
	v_mov_b32_e32 v49, v52
; %bb.148:
	s_or_b64 exec, exec, s[26:27]
	s_nop 0
	v_mov_b32_dpp v52, v49 row_shr:4 row_mask:0xf bank_mask:0xf
	v_mov_b32_dpp v47, v44 row_shr:4 row_mask:0xf bank_mask:0xf
	v_mov_b32_dpp v53, v45 row_shr:4 row_mask:0xf bank_mask:0xf
	v_cmp_lt_u32_e64 s[24:25], 3, v46
	;; [unrolled: 16-line block ×3, first 2 shown]
	s_and_saveexec_b64 s[26:27], s[24:25]
; %bb.151:
	v_cmp_eq_u32_e64 s[24:25], 0, v49
	v_cndmask_b32_e64 v47, 0, v47, s[24:25]
	v_add_u32_e32 v46, v52, v49
	v_cndmask_b32_e64 v49, 0, v53, s[24:25]
	v_add_co_u32_e64 v44, s[24:25], v47, v44
	v_addc_co_u32_e64 v45, s[24:25], v49, v45, s[24:25]
	v_mov_b32_e32 v49, v46
; %bb.152:
	s_or_b64 exec, exec, s[26:27]
	v_and_b32_e32 v53, 16, v48
	v_mov_b32_dpp v47, v49 row_bcast:15 row_mask:0xf bank_mask:0xf
	v_mov_b32_dpp v46, v44 row_bcast:15 row_mask:0xf bank_mask:0xf
	;; [unrolled: 1-line block ×3, first 2 shown]
	v_cmp_ne_u32_e64 s[24:25], 0, v53
	s_and_saveexec_b64 s[26:27], s[24:25]
; %bb.153:
	v_cmp_eq_u32_e64 s[24:25], 0, v49
	v_cndmask_b32_e64 v46, 0, v46, s[24:25]
	v_add_u32_e32 v47, v47, v49
	v_cndmask_b32_e64 v49, 0, v52, s[24:25]
	v_add_co_u32_e64 v44, s[24:25], v46, v44
	v_addc_co_u32_e64 v45, s[24:25], v49, v45, s[24:25]
	v_mov_b32_e32 v49, v47
; %bb.154:
	s_or_b64 exec, exec, s[26:27]
	s_nop 0
	v_mov_b32_dpp v47, v49 row_bcast:31 row_mask:0xf bank_mask:0xf
	v_mov_b32_dpp v46, v44 row_bcast:31 row_mask:0xf bank_mask:0xf
	;; [unrolled: 1-line block ×3, first 2 shown]
	v_cmp_lt_u32_e64 s[24:25], 31, v48
	s_and_saveexec_b64 s[26:27], s[24:25]
; %bb.155:
	v_cmp_eq_u32_e64 s[24:25], 0, v49
	v_cndmask_b32_e64 v46, 0, v46, s[24:25]
	v_add_u32_e32 v47, v47, v49
	v_cndmask_b32_e64 v49, 0, v52, s[24:25]
	v_add_co_u32_e64 v44, s[24:25], v46, v44
	v_addc_co_u32_e64 v45, s[24:25], v49, v45, s[24:25]
	v_mov_b32_e32 v49, v47
; %bb.156:
	s_or_b64 exec, exec, s[26:27]
	v_lshrrev_b32_e32 v46, 6, v0
	v_or_b32_e32 v47, 63, v0
	v_cmp_eq_u32_e64 s[24:25], v47, v0
	v_lshlrev_b32_e32 v52, 4, v46
	s_and_saveexec_b64 s[26:27], s[24:25]
	s_cbranch_execz .LBB987_158
; %bb.157:
	ds_write_b32 v52, v49 offset:2080
	ds_write_b64 v52, v[44:45] offset:2088
.LBB987_158:
	s_or_b64 exec, exec, s[26:27]
	v_cmp_gt_u32_e64 s[24:25], 4, v0
	s_waitcnt lgkmcnt(0)
	s_barrier
	s_and_saveexec_b64 s[26:27], s[24:25]
	s_cbranch_execz .LBB987_164
; %bb.159:
	v_lshlrev_b32_e32 v53, 4, v0
	ds_read_b32 v54, v53 offset:2080
	ds_read_b64 v[46:47], v53 offset:2088
	v_and_b32_e32 v55, 3, v48
	v_cmp_ne_u32_e64 s[24:25], 0, v55
	s_waitcnt lgkmcnt(1)
	v_mov_b32_dpp v57, v54 row_shr:1 row_mask:0xf bank_mask:0xf
	s_waitcnt lgkmcnt(0)
	v_mov_b32_dpp v56, v46 row_shr:1 row_mask:0xf bank_mask:0xf
	v_mov_b32_dpp v58, v47 row_shr:1 row_mask:0xf bank_mask:0xf
	s_and_saveexec_b64 s[28:29], s[24:25]
; %bb.160:
	v_cmp_eq_u32_e64 s[24:25], 0, v54
	v_cndmask_b32_e64 v56, 0, v56, s[24:25]
	v_add_u32_e32 v57, v57, v54
	v_cndmask_b32_e64 v54, 0, v58, s[24:25]
	v_add_co_u32_e64 v46, s[24:25], v56, v46
	v_addc_co_u32_e64 v47, s[24:25], v54, v47, s[24:25]
	v_mov_b32_e32 v54, v57
; %bb.161:
	s_or_b64 exec, exec, s[28:29]
	s_nop 0
	v_mov_b32_dpp v57, v54 row_shr:2 row_mask:0xf bank_mask:0xf
	v_mov_b32_dpp v56, v46 row_shr:2 row_mask:0xf bank_mask:0xf
	;; [unrolled: 1-line block ×3, first 2 shown]
	v_cmp_lt_u32_e64 s[24:25], 1, v55
	s_and_saveexec_b64 s[28:29], s[24:25]
; %bb.162:
	v_cmp_eq_u32_e64 s[24:25], 0, v54
	v_cndmask_b32_e64 v56, 0, v56, s[24:25]
	v_add_u32_e32 v55, v57, v54
	v_cndmask_b32_e64 v54, 0, v58, s[24:25]
	v_add_co_u32_e64 v46, s[24:25], v56, v46
	v_addc_co_u32_e64 v47, s[24:25], v54, v47, s[24:25]
	v_mov_b32_e32 v54, v55
; %bb.163:
	s_or_b64 exec, exec, s[28:29]
	ds_write_b32 v53, v54 offset:2080
	ds_write_b64 v53, v[46:47] offset:2088
.LBB987_164:
	s_or_b64 exec, exec, s[26:27]
	v_cmp_lt_u32_e64 s[24:25], 63, v0
	v_mov_b32_e32 v97, 0
	v_mov_b32_e32 v53, 0
	s_waitcnt vmcnt(0)
	v_pk_mov_b32 v[46:47], v[50:51], v[50:51] op_sel:[0,1]
	s_waitcnt lgkmcnt(0)
	s_barrier
	s_and_saveexec_b64 s[26:27], s[24:25]
	s_cbranch_execz .LBB987_166
; %bb.165:
	ds_read_b32 v53, v52 offset:2064
	ds_read_b64 v[46:47], v52 offset:2072
	s_waitcnt lgkmcnt(1)
	v_cmp_eq_u32_e64 s[24:25], 0, v53
	v_cndmask_b32_e64 v54, 0, v50, s[24:25]
	v_cndmask_b32_e64 v52, 0, v51, s[24:25]
	s_waitcnt lgkmcnt(0)
	v_add_co_u32_e64 v46, s[24:25], v54, v46
	v_addc_co_u32_e64 v47, s[24:25], v52, v47, s[24:25]
.LBB987_166:
	s_or_b64 exec, exec, s[26:27]
	v_cmp_eq_u32_e64 s[24:25], 0, v49
	v_cndmask_b32_e64 v54, 0, v46, s[24:25]
	v_add_u32_e32 v52, v53, v49
	v_cndmask_b32_e64 v49, 0, v47, s[24:25]
	v_add_co_u32_e64 v44, s[24:25], v54, v44
	v_addc_co_u32_e64 v45, s[24:25], v49, v45, s[24:25]
	v_add_u32_e32 v49, -1, v48
	v_and_b32_e32 v54, 64, v48
	v_cmp_lt_i32_e64 s[24:25], v49, v54
	v_cndmask_b32_e64 v49, v49, v48, s[24:25]
	v_lshlrev_b32_e32 v49, 2, v49
	ds_bpermute_b32 v52, v49, v52
	ds_bpermute_b32 v45, v49, v45
	ds_bpermute_b32 v44, v49, v44
	v_cmp_eq_u32_e64 s[24:25], 0, v48
	v_cmp_eq_u32_e64 s[26:27], 0, v96
	s_waitcnt lgkmcnt(2)
	v_cndmask_b32_e64 v98, v52, v53, s[24:25]
	s_waitcnt lgkmcnt(1)
	v_cndmask_b32_e64 v77, v45, v47, s[24:25]
	s_waitcnt lgkmcnt(0)
	v_cndmask_b32_e64 v76, v44, v46, s[24:25]
	v_cmp_eq_u32_e64 s[24:25], 0, v0
	v_cndmask_b32_e64 v44, v76, v50, s[24:25]
	v_cndmask_b32_e64 v45, v77, v51, s[24:25]
	;; [unrolled: 1-line block ×4, first 2 shown]
	v_add_co_u32_e64 v52, s[26:27], v44, v42
	v_addc_co_u32_e64 v53, s[26:27], v45, v43, s[26:27]
	v_cndmask_b32_e64 v43, 0, v52, s[22:23]
	v_cndmask_b32_e64 v42, 0, v53, s[22:23]
	v_add_co_u32_e64 v54, s[22:23], v43, v40
	v_addc_co_u32_e64 v55, s[22:23], v42, v41, s[22:23]
	v_cndmask_b32_e64 v41, 0, v54, s[20:21]
	v_cndmask_b32_e64 v40, 0, v55, s[20:21]
	;; [unrolled: 4-line block ×11, first 2 shown]
	v_add_co_u32_e64 v74, s[0:1], v23, v20
	v_addc_co_u32_e64 v75, s[0:1], v22, v21, s[0:1]
	v_cndmask_b32_e64 v21, 0, v74, s[2:3]
	ds_read_b32 v46, v97 offset:2128
	v_cndmask_b32_e64 v20, 0, v75, s[2:3]
	v_add_co_u32_e64 v78, s[0:1], v21, v18
	v_addc_co_u32_e64 v79, s[0:1], v20, v19, s[0:1]
	ds_read_b64 v[18:19], v97 offset:2136
	v_cndmask_b32_e32 v81, 0, v79, vcc
	v_cndmask_b32_e32 v80, 0, v78, vcc
	s_waitcnt lgkmcnt(1)
	v_cmp_eq_u32_e32 vcc, 0, v46
	v_cndmask_b32_e32 v21, 0, v50, vcc
	v_cndmask_b32_e32 v20, 0, v51, vcc
	s_waitcnt lgkmcnt(0)
	v_add_co_u32_e32 v48, vcc, v21, v18
	v_addc_co_u32_e32 v49, vcc, v20, v19, vcc
	s_and_saveexec_b64 s[0:1], s[24:25]
	s_cbranch_execz .LBB987_168
; %bb.167:
	v_mov_b32_e32 v98, 0
	v_mov_b32_e32 v18, 2
	v_pk_mov_b32 v[76:77], v[50:51], v[50:51] op_sel:[0,1]
	global_store_dword v98, v46, s[38:39] offset:1024
	global_store_dwordx2 v98, v[48:49], s[38:39] offset:1032
	s_waitcnt vmcnt(0)
	buffer_wbinvl1_vol
	global_store_byte v98, v18, s[40:41] offset:64
.LBB987_168:
	s_or_b64 exec, exec, s[0:1]
	v_mov_b32_e32 v50, 0
.LBB987_169:
	s_and_b64 s[0:1], s[30:31], exec
	s_cselect_b32 s1, 0, s51
	s_cselect_b32 s0, 0, s50
	s_cmp_eq_u64 s[0:1], 0
	v_pk_mov_b32 v[18:19], 0, 0
	s_barrier
	s_cbranch_scc1 .LBB987_171
; %bb.170:
	v_mov_b32_e32 v18, 0
	global_load_dwordx2 v[18:19], v18, s[0:1]
.LBB987_171:
	v_add_u32_e32 v33, v98, v96
	v_add_u32_e32 v32, v33, v95
	;; [unrolled: 1-line block ×12, first 2 shown]
	s_movk_i32 s36, 0x100
	v_add_u32_e32 v21, v22, v84
	v_cmp_gt_u32_e32 vcc, s36, v46
	v_add_u32_e32 v20, v21, v83
	s_cbranch_vccnz .LBB987_220
; %bb.172:
	v_cmp_eq_u32_e64 s[26:27], 0, v95
	v_cndmask_b32_e64 v51, 1, 2, s[26:27]
	v_cmp_eq_u32_e64 s[26:27], 0, v96
	v_cmp_eq_u32_e64 s[24:25], 0, v94
	v_cndmask_b32_e64 v97, 1, 2, s[26:27]
	v_cmp_eq_u32_e64 s[22:23], 0, v93
	v_cndmask_b32_e64 v47, 1, 2, s[24:25]
	v_and_b32_e32 v51, v51, v97
	v_cmp_eq_u32_e64 s[20:21], 0, v92
	v_cndmask_b32_e64 v45, 1, 2, s[22:23]
	v_and_b32_e32 v47, v51, v47
	v_cmp_eq_u32_e64 s[16:17], 0, v91
	v_cndmask_b32_e64 v44, 1, 2, s[20:21]
	v_and_b32_e32 v45, v47, v45
	v_cmp_eq_u32_e64 s[14:15], 0, v90
	v_cndmask_b32_e64 v43, 1, 2, s[16:17]
	v_and_b32_e32 v44, v45, v44
	v_cmp_eq_u32_e64 s[12:13], 0, v89
	v_cndmask_b32_e64 v42, 1, 2, s[14:15]
	v_and_b32_e32 v43, v44, v43
	v_cmp_eq_u32_e64 s[10:11], 0, v88
	v_cndmask_b32_e64 v41, 1, 2, s[12:13]
	v_and_b32_e32 v42, v43, v42
	v_cmp_eq_u32_e64 s[8:9], 0, v87
	v_cndmask_b32_e64 v40, 1, 2, s[10:11]
	v_and_b32_e32 v41, v42, v41
	v_cmp_eq_u32_e64 s[6:7], 0, v86
	v_cndmask_b32_e64 v39, 1, 2, s[8:9]
	v_and_b32_e32 v40, v41, v40
	v_cmp_eq_u32_e64 s[4:5], 0, v85
	v_cndmask_b32_e64 v38, 1, 2, s[6:7]
	v_and_b32_e32 v39, v40, v39
	v_cmp_eq_u32_e64 s[2:3], 0, v84
	v_cndmask_b32_e64 v37, 1, 2, s[4:5]
	v_and_b32_e32 v38, v39, v38
	v_cmp_eq_u32_e64 s[0:1], 0, v83
	v_cndmask_b32_e64 v36, 1, 2, s[2:3]
	v_and_b32_e32 v37, v38, v37
	v_cmp_eq_u32_e32 vcc, 0, v82
	v_cndmask_b32_e64 v35, 1, 2, s[0:1]
	v_and_b32_e32 v36, v37, v36
	v_cndmask_b32_e64 v34, 1, 2, vcc
	v_and_b32_e32 v35, v36, v35
	v_and_b32_e32 v34, v35, v34
	v_cmp_ne_u32_e64 s[18:19], 0, v96
	v_cmp_ne_u32_e32 vcc, 0, v83
	v_cmp_ne_u32_e64 s[0:1], 0, v84
	v_cmp_ne_u32_e64 s[2:3], 0, v85
	;; [unrolled: 1-line block ×12, first 2 shown]
	v_cmp_gt_i16_e64 s[26:27], 2, v34
	s_and_saveexec_b64 s[28:29], s[26:27]
	s_cbranch_execz .LBB987_219
; %bb.173:
	v_cmp_ne_u16_e64 s[26:27], 1, v34
	s_mov_b64 s[30:31], 0
	s_and_saveexec_b64 s[38:39], s[26:27]
	s_xor_b64 s[26:27], exec, s[38:39]
	s_cbranch_execz .LBB987_197
; %bb.174:
	s_and_saveexec_b64 s[30:31], s[18:19]
	s_cbranch_execz .LBB987_202
; %bb.175:
	v_sub_u32_e32 v34, v98, v50
	v_lshlrev_b32_e32 v34, 2, v34
	ds_write_b32 v34, v14
	s_or_b64 exec, exec, s[30:31]
	s_and_saveexec_b64 s[18:19], s[24:25]
	s_cbranch_execnz .LBB987_203
.LBB987_176:
	s_or_b64 exec, exec, s[18:19]
	s_and_saveexec_b64 s[18:19], s[22:23]
	s_cbranch_execz .LBB987_204
.LBB987_177:
	v_sub_u32_e32 v14, v32, v50
	v_lshlrev_b32_e32 v14, 2, v14
	ds_write_b32 v14, v12
	s_or_b64 exec, exec, s[18:19]
	s_and_saveexec_b64 s[18:19], s[20:21]
	s_cbranch_execnz .LBB987_205
.LBB987_178:
	s_or_b64 exec, exec, s[18:19]
	s_and_saveexec_b64 s[18:19], s[16:17]
	s_cbranch_execz .LBB987_206
.LBB987_179:
	v_sub_u32_e32 v12, v30, v50
	v_lshlrev_b32_e32 v12, 2, v12
	ds_write_b32 v12, v10
	s_or_b64 exec, exec, s[18:19]
	s_and_saveexec_b64 s[16:17], s[14:15]
	s_cbranch_execnz .LBB987_207
.LBB987_180:
	s_or_b64 exec, exec, s[16:17]
	s_and_saveexec_b64 s[14:15], s[12:13]
	s_cbranch_execz .LBB987_208
.LBB987_181:
	v_sub_u32_e32 v10, v28, v50
	v_lshlrev_b32_e32 v10, 2, v10
	ds_write_b32 v10, v8
	s_or_b64 exec, exec, s[14:15]
	s_and_saveexec_b64 s[12:13], s[10:11]
	s_cbranch_execnz .LBB987_209
.LBB987_182:
	s_or_b64 exec, exec, s[12:13]
	s_and_saveexec_b64 s[10:11], s[8:9]
	s_cbranch_execz .LBB987_210
.LBB987_183:
	v_sub_u32_e32 v8, v26, v50
	v_lshlrev_b32_e32 v8, 2, v8
	ds_write_b32 v8, v6
	s_or_b64 exec, exec, s[10:11]
	s_and_saveexec_b64 s[8:9], s[6:7]
	s_cbranch_execnz .LBB987_211
.LBB987_184:
	s_or_b64 exec, exec, s[8:9]
	s_and_saveexec_b64 s[6:7], s[4:5]
	s_cbranch_execz .LBB987_212
.LBB987_185:
	v_sub_u32_e32 v6, v24, v50
	v_lshlrev_b32_e32 v6, 2, v6
	ds_write_b32 v6, v4
	s_or_b64 exec, exec, s[6:7]
	s_and_saveexec_b64 s[4:5], s[2:3]
	s_cbranch_execnz .LBB987_213
.LBB987_186:
	s_or_b64 exec, exec, s[4:5]
	s_and_saveexec_b64 s[2:3], s[0:1]
	s_cbranch_execz .LBB987_214
.LBB987_187:
	v_sub_u32_e32 v4, v22, v50
	v_lshlrev_b32_e32 v4, 2, v4
	ds_write_b32 v4, v2
	s_or_b64 exec, exec, s[2:3]
	v_cmp_ne_u32_e64 s[0:1], 0, v82
	s_and_saveexec_b64 s[2:3], vcc
	s_cbranch_execnz .LBB987_215
	s_branch .LBB987_216
.LBB987_188:
                                        ; implicit-def: $sgpr0_sgpr1
                                        ; implicit-def: $vgpr82
                                        ; implicit-def: $vgpr83
                                        ; implicit-def: $vgpr84
                                        ; implicit-def: $vgpr85
                                        ; implicit-def: $vgpr86
                                        ; implicit-def: $vgpr87
                                        ; implicit-def: $vgpr88
                                        ; implicit-def: $vgpr89
                                        ; implicit-def: $vgpr90
                                        ; implicit-def: $vgpr91
                                        ; implicit-def: $vgpr92
                                        ; implicit-def: $vgpr93
                                        ; implicit-def: $vgpr94
                                        ; implicit-def: $vgpr95
	s_cbranch_execz .LBB987_70
; %bb.189:
	v_cmp_ne_u32_e32 vcc, v15, v80
	v_cndmask_b32_e64 v95, 0, 1, vcc
	v_cmp_ne_u32_e32 vcc, v15, v81
	v_cndmask_b32_e64 v94, 0, 1, vcc
	;; [unrolled: 2-line block ×14, first 2 shown]
	v_cmp_ne_u32_e32 vcc, 0, v0
	ds_write_b32 v96, v1
	s_waitcnt lgkmcnt(0)
	s_barrier
	s_waitcnt lgkmcnt(0)
                                        ; implicit-def: $sgpr0_sgpr1
	s_and_saveexec_b64 s[4:5], vcc
	s_xor_b64 s[4:5], exec, s[4:5]
	s_cbranch_execz .LBB987_191
; %bb.190:
	v_add_u32_e32 v47, -4, v96
	ds_read_b32 v47, v47
	s_or_b64 s[60:61], s[60:61], exec
	s_waitcnt lgkmcnt(0)
	v_cmp_ne_u32_e32 vcc, v47, v14
	s_and_b64 s[0:1], vcc, exec
.LBB987_191:
	s_or_b64 exec, exec, s[4:5]
	s_mov_b32 s8, 1
	s_branch .LBB987_72
.LBB987_192:
	s_mul_hi_u32 s1, s56, 0xfffff100
	s_mul_i32 s0, s57, 0xfffff100
	s_sub_i32 s1, s1, s56
	s_add_i32 s1, s1, s0
	s_mul_i32 s0, s56, 0xfffff100
	s_add_u32 s48, s0, s48
	s_addc_u32 s49, s1, s49
	s_and_b64 vcc, exec, s[2:3]
	v_cmp_ne_u32_e64 s[28:29], v3, v1
	v_cmp_ne_u32_e64 s[26:27], v2, v3
	;; [unrolled: 1-line block ×15, first 2 shown]
	s_cbranch_vccz .LBB987_199
; %bb.193:
	v_mov_b32_e32 v47, s62
	v_add_co_u32_e64 v74, vcc, -4, s7
	v_addc_co_u32_e32 v75, vcc, -1, v47, vcc
	flat_load_dword v76, v[74:75]
	v_mov_b32_e32 v47, 0
	v_cmp_gt_u64_e32 vcc, s[48:49], v[46:47]
	v_mov_b32_e32 v73, v47
	s_and_b64 s[28:29], vcc, s[28:29]
	v_cmp_gt_u64_e32 vcc, s[48:49], v[72:73]
	v_mov_b32_e32 v71, v47
	s_and_b64 s[26:27], vcc, s[26:27]
	;; [unrolled: 3-line block ×13, first 2 shown]
	v_cmp_gt_u64_e32 vcc, s[48:49], v[48:49]
	v_mul_u32_u24_e32 v74, 15, v0
	s_and_b64 s[2:3], vcc, s[2:3]
	ds_write_b32 v96, v1
	s_waitcnt lgkmcnt(0)
	s_barrier
	s_and_saveexec_b64 s[56:57], s[0:1]
	s_cbranch_execz .LBB987_195
; %bb.194:
	v_add_u32_e32 v49, -4, v96
	s_waitcnt vmcnt(0)
	ds_read_b32 v76, v49
.LBB987_195:
	s_or_b64 exec, exec, s[56:57]
	v_mov_b32_e32 v75, v47
	v_cmp_gt_u64_e32 vcc, s[48:49], v[74:75]
	s_waitcnt vmcnt(0) lgkmcnt(0)
	v_cmp_ne_u32_e64 s[0:1], v76, v14
	v_cndmask_b32_e64 v82, 0, 1, s[28:29]
	v_cndmask_b32_e64 v83, 0, 1, s[26:27]
	;; [unrolled: 1-line block ×14, first 2 shown]
	s_and_b64 s[0:1], vcc, s[0:1]
	s_mov_b64 s[60:61], -1
.LBB987_196:
                                        ; implicit-def: $sgpr8
	v_mov_b32_e32 v96, s8
	s_and_saveexec_b64 s[2:3], s[60:61]
	s_cbranch_execnz .LBB987_73
	s_branch .LBB987_74
.LBB987_197:
	s_andn2_saveexec_b64 s[0:1], s[26:27]
	s_cbranch_execz .LBB987_217
.LBB987_198:
	v_sub_u32_e32 v34, v98, v50
	v_lshlrev_b32_e32 v34, 2, v34
	ds_write_b32 v34, v14
	v_sub_u32_e32 v14, v33, v50
	v_lshlrev_b32_e32 v14, 2, v14
	ds_write_b32 v14, v15
	;; [unrolled: 3-line block ×13, first 2 shown]
	v_sub_u32_e32 v2, v21, v50
	v_lshlrev_b32_e32 v2, 2, v2
	s_or_b64 s[30:31], s[30:31], exec
	ds_write_b32 v2, v3
	s_or_b64 exec, exec, s[0:1]
	s_and_b64 exec, exec, s[30:31]
	s_cbranch_execnz .LBB987_218
	s_branch .LBB987_219
.LBB987_199:
                                        ; implicit-def: $sgpr0_sgpr1
                                        ; implicit-def: $vgpr82
                                        ; implicit-def: $vgpr83
                                        ; implicit-def: $vgpr84
                                        ; implicit-def: $vgpr85
                                        ; implicit-def: $vgpr86
                                        ; implicit-def: $vgpr87
                                        ; implicit-def: $vgpr88
                                        ; implicit-def: $vgpr89
                                        ; implicit-def: $vgpr90
                                        ; implicit-def: $vgpr91
                                        ; implicit-def: $vgpr92
                                        ; implicit-def: $vgpr93
                                        ; implicit-def: $vgpr94
                                        ; implicit-def: $vgpr95
	s_cbranch_execz .LBB987_196
; %bb.200:
	v_mov_b32_e32 v47, 0
	v_cmp_gt_u64_e32 vcc, s[48:49], v[46:47]
	v_cmp_ne_u32_e64 s[0:1], v3, v1
	s_and_b64 s[0:1], vcc, s[0:1]
	v_mov_b32_e32 v73, v47
	v_cndmask_b32_e64 v82, 0, 1, s[0:1]
	v_cmp_gt_u64_e32 vcc, s[48:49], v[72:73]
	v_cmp_ne_u32_e64 s[0:1], v2, v3
	s_and_b64 s[0:1], vcc, s[0:1]
	v_mov_b32_e32 v71, v47
	v_cndmask_b32_e64 v83, 0, 1, s[0:1]
	;; [unrolled: 5-line block ×13, first 2 shown]
	v_cmp_gt_u64_e32 vcc, s[48:49], v[48:49]
	v_cmp_ne_u32_e64 s[0:1], v14, v15
	s_and_b64 s[0:1], vcc, s[0:1]
	s_mov_b32 s8, 1
	v_cndmask_b32_e64 v95, 0, 1, s[0:1]
	v_cmp_ne_u32_e32 vcc, 0, v0
	ds_write_b32 v96, v1
	s_waitcnt lgkmcnt(0)
	s_barrier
	s_waitcnt lgkmcnt(0)
                                        ; implicit-def: $sgpr0_sgpr1
	s_and_saveexec_b64 s[2:3], vcc
	s_cbranch_execz .LBB987_239
; %bb.201:
	v_add_u32_e32 v46, -4, v96
	ds_read_b32 v48, v46
	v_mul_u32_u24_e32 v46, 15, v0
	v_cmp_gt_u64_e32 vcc, s[48:49], v[46:47]
	s_or_b64 s[60:61], s[60:61], exec
	s_waitcnt lgkmcnt(0)
	v_cmp_ne_u32_e64 s[0:1], v48, v14
	s_and_b64 s[0:1], vcc, s[0:1]
	s_and_b64 s[0:1], s[0:1], exec
	s_or_b64 exec, exec, s[2:3]
	v_mov_b32_e32 v96, s8
	s_and_saveexec_b64 s[2:3], s[60:61]
	s_cbranch_execz .LBB987_74
	s_branch .LBB987_73
.LBB987_202:
	s_or_b64 exec, exec, s[30:31]
	s_and_saveexec_b64 s[18:19], s[24:25]
	s_cbranch_execz .LBB987_176
.LBB987_203:
	v_sub_u32_e32 v14, v33, v50
	v_lshlrev_b32_e32 v14, 2, v14
	ds_write_b32 v14, v15
	s_or_b64 exec, exec, s[18:19]
	s_and_saveexec_b64 s[18:19], s[22:23]
	s_cbranch_execnz .LBB987_177
.LBB987_204:
	s_or_b64 exec, exec, s[18:19]
	s_and_saveexec_b64 s[18:19], s[20:21]
	s_cbranch_execz .LBB987_178
.LBB987_205:
	v_sub_u32_e32 v12, v31, v50
	v_lshlrev_b32_e32 v12, 2, v12
	ds_write_b32 v12, v13
	s_or_b64 exec, exec, s[18:19]
	s_and_saveexec_b64 s[18:19], s[16:17]
	s_cbranch_execnz .LBB987_179
.LBB987_206:
	s_or_b64 exec, exec, s[18:19]
	s_and_saveexec_b64 s[16:17], s[14:15]
	s_cbranch_execz .LBB987_180
.LBB987_207:
	v_sub_u32_e32 v10, v29, v50
	v_lshlrev_b32_e32 v10, 2, v10
	ds_write_b32 v10, v11
	s_or_b64 exec, exec, s[16:17]
	s_and_saveexec_b64 s[14:15], s[12:13]
	s_cbranch_execnz .LBB987_181
.LBB987_208:
	s_or_b64 exec, exec, s[14:15]
	s_and_saveexec_b64 s[12:13], s[10:11]
	s_cbranch_execz .LBB987_182
.LBB987_209:
	v_sub_u32_e32 v8, v27, v50
	v_lshlrev_b32_e32 v8, 2, v8
	ds_write_b32 v8, v9
	s_or_b64 exec, exec, s[12:13]
	s_and_saveexec_b64 s[10:11], s[8:9]
	s_cbranch_execnz .LBB987_183
.LBB987_210:
	s_or_b64 exec, exec, s[10:11]
	s_and_saveexec_b64 s[8:9], s[6:7]
	s_cbranch_execz .LBB987_184
.LBB987_211:
	v_sub_u32_e32 v6, v25, v50
	v_lshlrev_b32_e32 v6, 2, v6
	ds_write_b32 v6, v7
	s_or_b64 exec, exec, s[8:9]
	s_and_saveexec_b64 s[6:7], s[4:5]
	s_cbranch_execnz .LBB987_185
.LBB987_212:
	s_or_b64 exec, exec, s[6:7]
	s_and_saveexec_b64 s[4:5], s[2:3]
	s_cbranch_execz .LBB987_186
.LBB987_213:
	v_sub_u32_e32 v4, v23, v50
	v_lshlrev_b32_e32 v4, 2, v4
	ds_write_b32 v4, v5
	s_or_b64 exec, exec, s[4:5]
	s_and_saveexec_b64 s[2:3], s[0:1]
	s_cbranch_execnz .LBB987_187
.LBB987_214:
	s_or_b64 exec, exec, s[2:3]
	v_cmp_ne_u32_e64 s[0:1], 0, v82
	s_and_saveexec_b64 s[2:3], vcc
	s_cbranch_execz .LBB987_216
.LBB987_215:
	v_sub_u32_e32 v2, v21, v50
	v_lshlrev_b32_e32 v2, 2, v2
	ds_write_b32 v2, v3
.LBB987_216:
	s_or_b64 exec, exec, s[2:3]
	s_and_b64 s[30:31], s[0:1], exec
                                        ; implicit-def: $vgpr2
                                        ; implicit-def: $vgpr4
                                        ; implicit-def: $vgpr6
                                        ; implicit-def: $vgpr8
                                        ; implicit-def: $vgpr10
                                        ; implicit-def: $vgpr12
                                        ; implicit-def: $vgpr14
	s_andn2_saveexec_b64 s[0:1], s[26:27]
	s_cbranch_execnz .LBB987_198
.LBB987_217:
	s_or_b64 exec, exec, s[0:1]
	s_and_b64 exec, exec, s[30:31]
	s_cbranch_execz .LBB987_219
.LBB987_218:
	v_sub_u32_e32 v2, v20, v50
	v_lshlrev_b32_e32 v2, 2, v2
	ds_write_b32 v2, v1
.LBB987_219:
	s_or_b64 exec, exec, s[28:29]
	s_waitcnt lgkmcnt(0)
	s_barrier
.LBB987_220:
	v_add_co_u32_e32 v2, vcc, v80, v16
	s_cmpk_lg_i32 s33, 0xf00
	v_addc_co_u32_e32 v3, vcc, v81, v17, vcc
	s_cselect_b64 s[0:1], -1, 0
	v_cndmask_b32_e64 v8, 0, 1, s[34:35]
	s_and_b64 s[0:1], s[52:53], s[0:1]
	v_cmp_eq_u32_e32 vcc, 0, v0
	v_sub_u32_e32 v1, v46, v8
	v_cndmask_b32_e64 v4, 0, 1, s[0:1]
	s_and_b64 s[0:1], vcc, s[34:35]
	v_add_u32_e32 v1, v1, v4
	v_cndmask_b32_e64 v4, v96, 0, s[0:1]
	s_mul_hi_u32 s0, s33, 0x88888889
	s_lshr_b32 s0, s0, 3
	v_mad_i32_i24 v5, v0, -15, s33
	v_cmp_eq_u32_e32 vcc, s0, v0
	v_cmp_ne_u32_e64 s[0:1], 0, v5
	v_cndmask_b32_e64 v6, 1, v4, s[0:1]
	v_cmp_ne_u32_e64 s[0:1], 1, v5
	v_cndmask_b32_e64 v7, 1, v95, s[0:1]
	;; [unrolled: 2-line block ×15, first 2 shown]
	s_and_b64 vcc, s[52:53], vcc
	v_cndmask_b32_e32 v37, v82, v5, vcc
	v_cndmask_b32_e32 v39, v4, v6, vcc
	s_waitcnt vmcnt(0)
	v_lshlrev_b64 v[4:5], 3, v[18:19]
	v_mov_b32_e32 v51, 0
	v_cndmask_b32_e32 v36, v83, v36, vcc
	v_cndmask_b32_e32 v35, v84, v35, vcc
	;; [unrolled: 1-line block ×13, first 2 shown]
	v_mov_b32_e32 v6, s45
	v_add_co_u32_e32 v7, vcc, s44, v4
	v_addc_co_u32_e32 v6, vcc, v6, v5, vcc
	v_lshlrev_b64 v[4:5], 3, v[50:51]
	v_add_co_u32_e32 v4, vcc, v7, v4
	v_addc_co_u32_e32 v5, vcc, v6, v5, vcc
	v_lshlrev_b32_e32 v6, 3, v8
	v_add_co_u32_e32 v6, vcc, v6, v4
	v_addc_co_u32_e32 v7, vcc, 0, v5, vcc
	v_add_co_u32_e32 v6, vcc, -8, v6
	v_addc_co_u32_e32 v7, vcc, -1, v7, vcc
	v_cmp_eq_u32_e32 vcc, 0, v39
	v_cmp_ne_u32_e64 s[28:29], 0, v39
	v_cndmask_b32_e64 v39, 1, 2, vcc
	v_cmp_eq_u32_e32 vcc, 0, v38
	v_cmp_ne_u32_e64 s[26:27], 0, v38
	v_cndmask_b32_e64 v38, 1, 2, vcc
	v_cmp_eq_u32_e32 vcc, 0, v9
	v_and_b32_e32 v38, v38, v39
	v_cmp_ne_u32_e64 s[24:25], 0, v9
	v_cndmask_b32_e64 v9, 1, 2, vcc
	v_cmp_eq_u32_e32 vcc, 0, v10
	v_and_b32_e32 v9, v38, v9
	;; [unrolled: 4-line block ×3, first 2 shown]
	v_cndmask_b32_e64 v10, 1, 2, vcc
	v_cmp_eq_u32_e32 vcc, 0, v12
	v_and_b32_e32 v9, v9, v10
	v_cndmask_b32_e64 v10, 1, 2, vcc
	v_cmp_eq_u32_e32 vcc, 0, v13
	v_and_b32_e32 v9, v9, v10
	;; [unrolled: 3-line block ×10, first 2 shown]
	v_cndmask_b32_e64 v10, 1, 2, vcc
	v_and_b32_e32 v9, v9, v10
	v_cmp_gt_u32_e32 vcc, s36, v1
	v_add_u32_e32 v8, v50, v8
	v_cmp_ne_u32_e64 s[20:21], 0, v11
	v_cmp_ne_u32_e64 s[18:19], 0, v12
	;; [unrolled: 1-line block ×11, first 2 shown]
	s_mov_b64 s[34:35], -1
	v_cmp_gt_i16_e64 s[30:31], 2, v9
	s_barrier
	s_cbranch_vccz .LBB987_258
; %bb.221:
	s_and_saveexec_b64 s[34:35], s[30:31]
	s_cbranch_execz .LBB987_257
; %bb.222:
	v_cmp_ne_u16_e32 vcc, 1, v9
	s_mov_b64 s[36:37], 0
	s_and_saveexec_b64 s[30:31], vcc
	s_xor_b64 s[30:31], exec, s[30:31]
	s_cbranch_execz .LBB987_237
; %bb.223:
	s_and_saveexec_b64 s[36:37], s[28:29]
	s_cbranch_execz .LBB987_240
; %bb.224:
	v_sub_u32_e32 v10, v98, v8
	v_mov_b32_e32 v11, 0
	v_lshlrev_b64 v[10:11], 3, v[10:11]
	v_add_co_u32_e32 v10, vcc, v6, v10
	v_addc_co_u32_e32 v11, vcc, v7, v11, vcc
	global_store_dwordx2 v[10:11], v[76:77], off
	s_or_b64 exec, exec, s[36:37]
	s_and_saveexec_b64 s[36:37], s[26:27]
	s_cbranch_execnz .LBB987_241
.LBB987_225:
	s_or_b64 exec, exec, s[36:37]
	s_and_saveexec_b64 s[36:37], s[24:25]
	s_cbranch_execz .LBB987_242
.LBB987_226:
	v_sub_u32_e32 v10, v32, v8
	v_mov_b32_e32 v11, 0
	v_lshlrev_b64 v[10:11], 3, v[10:11]
	v_add_co_u32_e32 v10, vcc, v6, v10
	v_addc_co_u32_e32 v11, vcc, v7, v11, vcc
	global_store_dwordx2 v[10:11], v[54:55], off
	s_or_b64 exec, exec, s[36:37]
	s_and_saveexec_b64 s[36:37], s[22:23]
	s_cbranch_execnz .LBB987_243
.LBB987_227:
	s_or_b64 exec, exec, s[36:37]
	s_and_saveexec_b64 s[36:37], s[20:21]
	s_cbranch_execz .LBB987_244
.LBB987_228:
	v_sub_u32_e32 v10, v30, v8
	v_mov_b32_e32 v11, 0
	v_lshlrev_b64 v[10:11], 3, v[10:11]
	v_add_co_u32_e32 v10, vcc, v6, v10
	v_addc_co_u32_e32 v11, vcc, v7, v11, vcc
	global_store_dwordx2 v[10:11], v[58:59], off
	s_or_b64 exec, exec, s[36:37]
	s_and_saveexec_b64 s[36:37], s[18:19]
	s_cbranch_execnz .LBB987_245
.LBB987_229:
	s_or_b64 exec, exec, s[36:37]
	s_and_saveexec_b64 s[36:37], s[16:17]
	s_cbranch_execz .LBB987_246
.LBB987_230:
	v_sub_u32_e32 v10, v28, v8
	v_mov_b32_e32 v11, 0
	v_lshlrev_b64 v[10:11], 3, v[10:11]
	v_add_co_u32_e32 v10, vcc, v6, v10
	v_addc_co_u32_e32 v11, vcc, v7, v11, vcc
	global_store_dwordx2 v[10:11], v[62:63], off
	s_or_b64 exec, exec, s[36:37]
	s_and_saveexec_b64 s[36:37], s[14:15]
	s_cbranch_execnz .LBB987_247
.LBB987_231:
	s_or_b64 exec, exec, s[36:37]
	s_and_saveexec_b64 s[36:37], s[12:13]
	s_cbranch_execz .LBB987_248
.LBB987_232:
	v_sub_u32_e32 v10, v26, v8
	v_mov_b32_e32 v11, 0
	v_lshlrev_b64 v[10:11], 3, v[10:11]
	v_add_co_u32_e32 v10, vcc, v6, v10
	v_addc_co_u32_e32 v11, vcc, v7, v11, vcc
	global_store_dwordx2 v[10:11], v[66:67], off
	s_or_b64 exec, exec, s[36:37]
	s_and_saveexec_b64 s[36:37], s[10:11]
	s_cbranch_execnz .LBB987_249
.LBB987_233:
	s_or_b64 exec, exec, s[36:37]
	s_and_saveexec_b64 s[36:37], s[8:9]
	s_cbranch_execz .LBB987_250
.LBB987_234:
	v_sub_u32_e32 v10, v24, v8
	v_mov_b32_e32 v11, 0
	v_lshlrev_b64 v[10:11], 3, v[10:11]
	v_add_co_u32_e32 v10, vcc, v6, v10
	v_addc_co_u32_e32 v11, vcc, v7, v11, vcc
	global_store_dwordx2 v[10:11], v[70:71], off
	s_or_b64 exec, exec, s[36:37]
	s_and_saveexec_b64 s[36:37], s[6:7]
	s_cbranch_execnz .LBB987_251
.LBB987_235:
	s_or_b64 exec, exec, s[36:37]
	s_and_saveexec_b64 s[36:37], s[4:5]
	s_cbranch_execz .LBB987_252
.LBB987_236:
	v_sub_u32_e32 v10, v22, v8
	v_mov_b32_e32 v11, 0
	v_lshlrev_b64 v[10:11], 3, v[10:11]
	v_add_co_u32_e32 v10, vcc, v6, v10
	v_addc_co_u32_e32 v11, vcc, v7, v11, vcc
	global_store_dwordx2 v[10:11], v[74:75], off
	s_or_b64 exec, exec, s[36:37]
	s_and_saveexec_b64 s[36:37], s[2:3]
	s_cbranch_execnz .LBB987_253
	s_branch .LBB987_254
.LBB987_237:
	s_andn2_saveexec_b64 s[30:31], s[30:31]
	s_cbranch_execz .LBB987_255
.LBB987_238:
	v_sub_u32_e32 v10, v98, v8
	v_mov_b32_e32 v11, 0
	v_lshlrev_b64 v[12:13], 3, v[10:11]
	v_add_co_u32_e32 v12, vcc, v6, v12
	v_addc_co_u32_e32 v13, vcc, v7, v13, vcc
	v_sub_u32_e32 v10, v33, v8
	global_store_dwordx2 v[12:13], v[76:77], off
	v_lshlrev_b64 v[12:13], 3, v[10:11]
	v_add_co_u32_e32 v12, vcc, v6, v12
	v_addc_co_u32_e32 v13, vcc, v7, v13, vcc
	v_sub_u32_e32 v10, v32, v8
	global_store_dwordx2 v[12:13], v[52:53], off
	;; [unrolled: 5-line block ×12, first 2 shown]
	v_lshlrev_b64 v[12:13], 3, v[10:11]
	v_add_co_u32_e32 v12, vcc, v6, v12
	v_sub_u32_e32 v10, v21, v8
	v_addc_co_u32_e32 v13, vcc, v7, v13, vcc
	v_lshlrev_b64 v[10:11], 3, v[10:11]
	v_add_co_u32_e32 v10, vcc, v6, v10
	v_addc_co_u32_e32 v11, vcc, v7, v11, vcc
	s_or_b64 s[36:37], s[36:37], exec
	global_store_dwordx2 v[12:13], v[74:75], off
	global_store_dwordx2 v[10:11], v[78:79], off
	s_or_b64 exec, exec, s[30:31]
	s_and_b64 exec, exec, s[36:37]
	s_cbranch_execnz .LBB987_256
	s_branch .LBB987_257
.LBB987_239:
	s_or_b64 exec, exec, s[2:3]
	v_mov_b32_e32 v96, s8
	s_and_saveexec_b64 s[2:3], s[60:61]
	s_cbranch_execnz .LBB987_73
	s_branch .LBB987_74
.LBB987_240:
	s_or_b64 exec, exec, s[36:37]
	s_and_saveexec_b64 s[36:37], s[26:27]
	s_cbranch_execz .LBB987_225
.LBB987_241:
	v_sub_u32_e32 v10, v33, v8
	v_mov_b32_e32 v11, 0
	v_lshlrev_b64 v[10:11], 3, v[10:11]
	v_add_co_u32_e32 v10, vcc, v6, v10
	v_addc_co_u32_e32 v11, vcc, v7, v11, vcc
	global_store_dwordx2 v[10:11], v[52:53], off
	s_or_b64 exec, exec, s[36:37]
	s_and_saveexec_b64 s[36:37], s[24:25]
	s_cbranch_execnz .LBB987_226
.LBB987_242:
	s_or_b64 exec, exec, s[36:37]
	s_and_saveexec_b64 s[36:37], s[22:23]
	s_cbranch_execz .LBB987_227
.LBB987_243:
	v_sub_u32_e32 v10, v31, v8
	v_mov_b32_e32 v11, 0
	v_lshlrev_b64 v[10:11], 3, v[10:11]
	v_add_co_u32_e32 v10, vcc, v6, v10
	v_addc_co_u32_e32 v11, vcc, v7, v11, vcc
	global_store_dwordx2 v[10:11], v[56:57], off
	s_or_b64 exec, exec, s[36:37]
	s_and_saveexec_b64 s[36:37], s[20:21]
	s_cbranch_execnz .LBB987_228
.LBB987_244:
	s_or_b64 exec, exec, s[36:37]
	s_and_saveexec_b64 s[36:37], s[18:19]
	s_cbranch_execz .LBB987_229
.LBB987_245:
	v_sub_u32_e32 v10, v29, v8
	v_mov_b32_e32 v11, 0
	v_lshlrev_b64 v[10:11], 3, v[10:11]
	v_add_co_u32_e32 v10, vcc, v6, v10
	v_addc_co_u32_e32 v11, vcc, v7, v11, vcc
	global_store_dwordx2 v[10:11], v[60:61], off
	s_or_b64 exec, exec, s[36:37]
	s_and_saveexec_b64 s[36:37], s[16:17]
	s_cbranch_execnz .LBB987_230
.LBB987_246:
	s_or_b64 exec, exec, s[36:37]
	s_and_saveexec_b64 s[36:37], s[14:15]
	s_cbranch_execz .LBB987_231
.LBB987_247:
	v_sub_u32_e32 v10, v27, v8
	v_mov_b32_e32 v11, 0
	v_lshlrev_b64 v[10:11], 3, v[10:11]
	v_add_co_u32_e32 v10, vcc, v6, v10
	v_addc_co_u32_e32 v11, vcc, v7, v11, vcc
	global_store_dwordx2 v[10:11], v[64:65], off
	s_or_b64 exec, exec, s[36:37]
	s_and_saveexec_b64 s[36:37], s[12:13]
	s_cbranch_execnz .LBB987_232
.LBB987_248:
	s_or_b64 exec, exec, s[36:37]
	s_and_saveexec_b64 s[36:37], s[10:11]
	s_cbranch_execz .LBB987_233
.LBB987_249:
	v_sub_u32_e32 v10, v25, v8
	v_mov_b32_e32 v11, 0
	v_lshlrev_b64 v[10:11], 3, v[10:11]
	v_add_co_u32_e32 v10, vcc, v6, v10
	v_addc_co_u32_e32 v11, vcc, v7, v11, vcc
	global_store_dwordx2 v[10:11], v[68:69], off
	s_or_b64 exec, exec, s[36:37]
	s_and_saveexec_b64 s[36:37], s[8:9]
	s_cbranch_execnz .LBB987_234
.LBB987_250:
	s_or_b64 exec, exec, s[36:37]
	s_and_saveexec_b64 s[36:37], s[6:7]
	s_cbranch_execz .LBB987_235
.LBB987_251:
	v_sub_u32_e32 v10, v23, v8
	v_mov_b32_e32 v11, 0
	v_lshlrev_b64 v[10:11], 3, v[10:11]
	v_add_co_u32_e32 v10, vcc, v6, v10
	v_addc_co_u32_e32 v11, vcc, v7, v11, vcc
	global_store_dwordx2 v[10:11], v[72:73], off
	s_or_b64 exec, exec, s[36:37]
	s_and_saveexec_b64 s[36:37], s[4:5]
	s_cbranch_execnz .LBB987_236
.LBB987_252:
	s_or_b64 exec, exec, s[36:37]
	s_and_saveexec_b64 s[36:37], s[2:3]
	s_cbranch_execz .LBB987_254
.LBB987_253:
	v_sub_u32_e32 v10, v21, v8
	v_mov_b32_e32 v11, 0
	v_lshlrev_b64 v[10:11], 3, v[10:11]
	v_add_co_u32_e32 v10, vcc, v6, v10
	v_addc_co_u32_e32 v11, vcc, v7, v11, vcc
	global_store_dwordx2 v[10:11], v[78:79], off
.LBB987_254:
	s_or_b64 exec, exec, s[36:37]
	s_and_b64 s[36:37], s[0:1], exec
	s_andn2_saveexec_b64 s[30:31], s[30:31]
	s_cbranch_execnz .LBB987_238
.LBB987_255:
	s_or_b64 exec, exec, s[30:31]
	s_and_b64 exec, exec, s[36:37]
	s_cbranch_execz .LBB987_257
.LBB987_256:
	v_sub_u32_e32 v10, v20, v8
	v_mov_b32_e32 v11, 0
	v_lshlrev_b64 v[10:11], 3, v[10:11]
	v_add_co_u32_e32 v10, vcc, v6, v10
	v_addc_co_u32_e32 v11, vcc, v7, v11, vcc
	global_store_dwordx2 v[10:11], v[2:3], off
.LBB987_257:
	s_or_b64 exec, exec, s[34:35]
	s_mov_b64 s[34:35], 0
.LBB987_258:
	s_and_b64 vcc, exec, s[34:35]
	s_cbranch_vccz .LBB987_298
; %bb.259:
	v_cmp_gt_i16_e32 vcc, 2, v9
	s_and_saveexec_b64 s[30:31], vcc
	s_cbranch_execz .LBB987_294
; %bb.260:
	v_cmp_ne_u16_e32 vcc, 1, v9
	s_mov_b64 s[36:37], 0
	s_and_saveexec_b64 s[34:35], vcc
	s_xor_b64 s[34:35], exec, s[34:35]
	s_cbranch_execz .LBB987_275
; %bb.261:
	s_and_saveexec_b64 s[36:37], s[28:29]
	s_cbranch_execz .LBB987_277
; %bb.262:
	v_sub_u32_e32 v9, v98, v8
	v_lshlrev_b32_e32 v9, 3, v9
	ds_write_b64 v9, v[76:77]
	s_or_b64 exec, exec, s[36:37]
	s_and_saveexec_b64 s[28:29], s[26:27]
	s_cbranch_execnz .LBB987_278
.LBB987_263:
	s_or_b64 exec, exec, s[28:29]
	s_and_saveexec_b64 s[26:27], s[24:25]
	s_cbranch_execz .LBB987_279
.LBB987_264:
	v_sub_u32_e32 v9, v32, v8
	v_lshlrev_b32_e32 v9, 3, v9
	ds_write_b64 v9, v[54:55]
	s_or_b64 exec, exec, s[26:27]
	s_and_saveexec_b64 s[24:25], s[22:23]
	s_cbranch_execnz .LBB987_280
.LBB987_265:
	s_or_b64 exec, exec, s[24:25]
	s_and_saveexec_b64 s[22:23], s[20:21]
	s_cbranch_execz .LBB987_281
.LBB987_266:
	v_sub_u32_e32 v9, v30, v8
	v_lshlrev_b32_e32 v9, 3, v9
	ds_write_b64 v9, v[58:59]
	s_or_b64 exec, exec, s[22:23]
	s_and_saveexec_b64 s[20:21], s[18:19]
	s_cbranch_execnz .LBB987_282
.LBB987_267:
	s_or_b64 exec, exec, s[20:21]
	s_and_saveexec_b64 s[18:19], s[16:17]
	s_cbranch_execz .LBB987_283
.LBB987_268:
	v_sub_u32_e32 v9, v28, v8
	v_lshlrev_b32_e32 v9, 3, v9
	ds_write_b64 v9, v[62:63]
	s_or_b64 exec, exec, s[18:19]
	s_and_saveexec_b64 s[16:17], s[14:15]
	s_cbranch_execnz .LBB987_284
.LBB987_269:
	s_or_b64 exec, exec, s[16:17]
	s_and_saveexec_b64 s[14:15], s[12:13]
	s_cbranch_execz .LBB987_285
.LBB987_270:
	v_sub_u32_e32 v9, v26, v8
	v_lshlrev_b32_e32 v9, 3, v9
	ds_write_b64 v9, v[66:67]
	s_or_b64 exec, exec, s[14:15]
	s_and_saveexec_b64 s[12:13], s[10:11]
	s_cbranch_execnz .LBB987_286
.LBB987_271:
	s_or_b64 exec, exec, s[12:13]
	s_and_saveexec_b64 s[10:11], s[8:9]
	s_cbranch_execz .LBB987_287
.LBB987_272:
	v_sub_u32_e32 v9, v24, v8
	v_lshlrev_b32_e32 v9, 3, v9
	ds_write_b64 v9, v[70:71]
	s_or_b64 exec, exec, s[10:11]
	s_and_saveexec_b64 s[8:9], s[6:7]
	s_cbranch_execnz .LBB987_288
.LBB987_273:
	s_or_b64 exec, exec, s[8:9]
	s_and_saveexec_b64 s[6:7], s[4:5]
	s_cbranch_execz .LBB987_289
.LBB987_274:
	v_sub_u32_e32 v9, v22, v8
	v_lshlrev_b32_e32 v9, 3, v9
	ds_write_b64 v9, v[74:75]
	s_or_b64 exec, exec, s[6:7]
	s_and_saveexec_b64 s[4:5], s[2:3]
	s_cbranch_execnz .LBB987_290
	s_branch .LBB987_291
.LBB987_275:
	s_andn2_saveexec_b64 s[0:1], s[34:35]
	s_cbranch_execz .LBB987_292
.LBB987_276:
	v_sub_u32_e32 v9, v98, v8
	v_lshlrev_b32_e32 v9, 3, v9
	ds_write_b64 v9, v[76:77]
	v_sub_u32_e32 v9, v33, v8
	v_lshlrev_b32_e32 v9, 3, v9
	ds_write_b64 v9, v[52:53]
	;; [unrolled: 3-line block ×13, first 2 shown]
	v_sub_u32_e32 v9, v21, v8
	v_lshlrev_b32_e32 v9, 3, v9
	s_or_b64 s[36:37], s[36:37], exec
	ds_write_b64 v9, v[78:79]
	s_or_b64 exec, exec, s[0:1]
	s_and_b64 exec, exec, s[36:37]
	s_cbranch_execnz .LBB987_293
	s_branch .LBB987_294
.LBB987_277:
	s_or_b64 exec, exec, s[36:37]
	s_and_saveexec_b64 s[28:29], s[26:27]
	s_cbranch_execz .LBB987_263
.LBB987_278:
	v_sub_u32_e32 v9, v33, v8
	v_lshlrev_b32_e32 v9, 3, v9
	ds_write_b64 v9, v[52:53]
	s_or_b64 exec, exec, s[28:29]
	s_and_saveexec_b64 s[26:27], s[24:25]
	s_cbranch_execnz .LBB987_264
.LBB987_279:
	s_or_b64 exec, exec, s[26:27]
	s_and_saveexec_b64 s[24:25], s[22:23]
	s_cbranch_execz .LBB987_265
.LBB987_280:
	v_sub_u32_e32 v9, v31, v8
	v_lshlrev_b32_e32 v9, 3, v9
	ds_write_b64 v9, v[56:57]
	s_or_b64 exec, exec, s[24:25]
	s_and_saveexec_b64 s[22:23], s[20:21]
	s_cbranch_execnz .LBB987_266
.LBB987_281:
	s_or_b64 exec, exec, s[22:23]
	s_and_saveexec_b64 s[20:21], s[18:19]
	s_cbranch_execz .LBB987_267
.LBB987_282:
	v_sub_u32_e32 v9, v29, v8
	v_lshlrev_b32_e32 v9, 3, v9
	ds_write_b64 v9, v[60:61]
	s_or_b64 exec, exec, s[20:21]
	s_and_saveexec_b64 s[18:19], s[16:17]
	s_cbranch_execnz .LBB987_268
.LBB987_283:
	s_or_b64 exec, exec, s[18:19]
	s_and_saveexec_b64 s[16:17], s[14:15]
	s_cbranch_execz .LBB987_269
.LBB987_284:
	v_sub_u32_e32 v9, v27, v8
	v_lshlrev_b32_e32 v9, 3, v9
	ds_write_b64 v9, v[64:65]
	s_or_b64 exec, exec, s[16:17]
	s_and_saveexec_b64 s[14:15], s[12:13]
	s_cbranch_execnz .LBB987_270
.LBB987_285:
	s_or_b64 exec, exec, s[14:15]
	s_and_saveexec_b64 s[12:13], s[10:11]
	s_cbranch_execz .LBB987_271
.LBB987_286:
	v_sub_u32_e32 v9, v25, v8
	v_lshlrev_b32_e32 v9, 3, v9
	ds_write_b64 v9, v[68:69]
	s_or_b64 exec, exec, s[12:13]
	s_and_saveexec_b64 s[10:11], s[8:9]
	s_cbranch_execnz .LBB987_272
.LBB987_287:
	s_or_b64 exec, exec, s[10:11]
	s_and_saveexec_b64 s[8:9], s[6:7]
	s_cbranch_execz .LBB987_273
.LBB987_288:
	v_sub_u32_e32 v9, v23, v8
	v_lshlrev_b32_e32 v9, 3, v9
	ds_write_b64 v9, v[72:73]
	s_or_b64 exec, exec, s[8:9]
	s_and_saveexec_b64 s[6:7], s[4:5]
	s_cbranch_execnz .LBB987_274
.LBB987_289:
	s_or_b64 exec, exec, s[6:7]
	s_and_saveexec_b64 s[4:5], s[2:3]
	s_cbranch_execz .LBB987_291
.LBB987_290:
	v_sub_u32_e32 v9, v21, v8
	v_lshlrev_b32_e32 v9, 3, v9
	ds_write_b64 v9, v[78:79]
.LBB987_291:
	s_or_b64 exec, exec, s[4:5]
	s_and_b64 s[36:37], s[0:1], exec
                                        ; implicit-def: $vgpr76_vgpr77
                                        ; implicit-def: $vgpr52_vgpr53
                                        ; implicit-def: $vgpr54_vgpr55
                                        ; implicit-def: $vgpr56_vgpr57
                                        ; implicit-def: $vgpr58_vgpr59
                                        ; implicit-def: $vgpr60_vgpr61
                                        ; implicit-def: $vgpr62_vgpr63
                                        ; implicit-def: $vgpr64_vgpr65
                                        ; implicit-def: $vgpr66_vgpr67
                                        ; implicit-def: $vgpr68_vgpr69
                                        ; implicit-def: $vgpr70_vgpr71
                                        ; implicit-def: $vgpr72_vgpr73
                                        ; implicit-def: $vgpr74_vgpr75
                                        ; implicit-def: $vgpr78_vgpr79
                                        ; implicit-def: $vgpr98
                                        ; implicit-def: $vgpr33
                                        ; implicit-def: $vgpr32
                                        ; implicit-def: $vgpr31
                                        ; implicit-def: $vgpr30
                                        ; implicit-def: $vgpr29
                                        ; implicit-def: $vgpr28
                                        ; implicit-def: $vgpr27
                                        ; implicit-def: $vgpr26
                                        ; implicit-def: $vgpr25
                                        ; implicit-def: $vgpr24
                                        ; implicit-def: $vgpr23
                                        ; implicit-def: $vgpr22
                                        ; implicit-def: $vgpr21
	s_andn2_saveexec_b64 s[0:1], s[34:35]
	s_cbranch_execnz .LBB987_276
.LBB987_292:
	s_or_b64 exec, exec, s[0:1]
	s_and_b64 exec, exec, s[36:37]
	s_cbranch_execz .LBB987_294
.LBB987_293:
	v_sub_u32_e32 v8, v20, v8
	v_lshlrev_b32_e32 v8, 3, v8
	ds_write_b64 v8, v[2:3]
.LBB987_294:
	s_or_b64 exec, exec, s[30:31]
	v_cmp_lt_u32_e32 vcc, v0, v1
	s_waitcnt lgkmcnt(0)
	s_barrier
	s_and_saveexec_b64 s[0:1], vcc
	s_cbranch_execz .LBB987_297
; %bb.295:
	v_lshlrev_b32_e32 v8, 3, v0
	s_mov_b64 s[2:3], 0
	v_mov_b32_e32 v3, 0
	v_mov_b32_e32 v2, v0
.LBB987_296:                            ; =>This Inner Loop Header: Depth=1
	v_lshlrev_b64 v[10:11], 3, v[2:3]
	ds_read_b64 v[12:13], v8
	v_add_co_u32_e32 v10, vcc, v6, v10
	v_add_u32_e32 v2, 0x100, v2
	v_addc_co_u32_e32 v11, vcc, v7, v11, vcc
	v_cmp_ge_u32_e32 vcc, v2, v1
	v_add_u32_e32 v8, 0x800, v8
	s_or_b64 s[2:3], vcc, s[2:3]
	s_waitcnt lgkmcnt(0)
	global_store_dwordx2 v[10:11], v[12:13], off
	s_andn2_b64 exec, exec, s[2:3]
	s_cbranch_execnz .LBB987_296
.LBB987_297:
	s_or_b64 exec, exec, s[0:1]
.LBB987_298:
	s_movk_i32 s0, 0xff
	v_cmp_eq_u32_e32 vcc, s0, v0
	s_and_b64 s[0:1], vcc, s[52:53]
	s_and_saveexec_b64 s[2:3], s[0:1]
	s_cbranch_execz .LBB987_301
; %bb.299:
	v_add_co_u32_e32 v0, vcc, v46, v50
	v_addc_co_u32_e64 v1, s[0:1], 0, 0, vcc
	v_add_co_u32_e32 v0, vcc, v0, v18
	v_mov_b32_e32 v47, 0
	v_addc_co_u32_e32 v1, vcc, v1, v19, vcc
	s_cmpk_lg_i32 s33, 0xf00
	global_store_dwordx2 v47, v[0:1], s[46:47]
	s_cbranch_scc1 .LBB987_301
; %bb.300:
	v_lshlrev_b64 v[0:1], 3, v[46:47]
	v_add_co_u32_e32 v0, vcc, v4, v0
	v_addc_co_u32_e32 v1, vcc, v5, v1, vcc
	global_store_dwordx2 v[0:1], v[48:49], off offset:-8
.LBB987_301:
	s_endpgm
	.section	.rodata,"a",@progbits
	.p2align	6, 0x0
	.amdhsa_kernel _ZN7rocprim17ROCPRIM_400000_NS6detail17trampoline_kernelINS0_14default_configENS1_29reduce_by_key_config_selectorIjxN6thrust23THRUST_200600_302600_NS4plusIxEEEEZZNS1_33reduce_by_key_impl_wrapped_configILNS1_25lookback_scan_determinismE0ES3_S9_NS6_6detail15normal_iteratorINS6_10device_ptrIjEEEENSD_INSE_IxEEEENS6_16discard_iteratorINS6_11use_defaultEEESI_PmS8_NS6_8equal_toIjEEEE10hipError_tPvRmT2_T3_mT4_T5_T6_T7_T8_P12ihipStream_tbENKUlT_T0_E_clISt17integral_constantIbLb0EES16_EEDaS11_S12_EUlS11_E_NS1_11comp_targetILNS1_3genE4ELNS1_11target_archE910ELNS1_3gpuE8ELNS1_3repE0EEENS1_30default_config_static_selectorELNS0_4arch9wavefront6targetE1EEEvT1_
		.amdhsa_group_segment_fixed_size 30720
		.amdhsa_private_segment_fixed_size 0
		.amdhsa_kernarg_size 144
		.amdhsa_user_sgpr_count 6
		.amdhsa_user_sgpr_private_segment_buffer 1
		.amdhsa_user_sgpr_dispatch_ptr 0
		.amdhsa_user_sgpr_queue_ptr 0
		.amdhsa_user_sgpr_kernarg_segment_ptr 1
		.amdhsa_user_sgpr_dispatch_id 0
		.amdhsa_user_sgpr_flat_scratch_init 0
		.amdhsa_user_sgpr_kernarg_preload_length 0
		.amdhsa_user_sgpr_kernarg_preload_offset 0
		.amdhsa_user_sgpr_private_segment_size 0
		.amdhsa_uses_dynamic_stack 0
		.amdhsa_system_sgpr_private_segment_wavefront_offset 0
		.amdhsa_system_sgpr_workgroup_id_x 1
		.amdhsa_system_sgpr_workgroup_id_y 0
		.amdhsa_system_sgpr_workgroup_id_z 0
		.amdhsa_system_sgpr_workgroup_info 0
		.amdhsa_system_vgpr_workitem_id 0
		.amdhsa_next_free_vgpr 102
		.amdhsa_next_free_sgpr 63
		.amdhsa_accum_offset 104
		.amdhsa_reserve_vcc 1
		.amdhsa_reserve_flat_scratch 0
		.amdhsa_float_round_mode_32 0
		.amdhsa_float_round_mode_16_64 0
		.amdhsa_float_denorm_mode_32 3
		.amdhsa_float_denorm_mode_16_64 3
		.amdhsa_dx10_clamp 1
		.amdhsa_ieee_mode 1
		.amdhsa_fp16_overflow 0
		.amdhsa_tg_split 0
		.amdhsa_exception_fp_ieee_invalid_op 0
		.amdhsa_exception_fp_denorm_src 0
		.amdhsa_exception_fp_ieee_div_zero 0
		.amdhsa_exception_fp_ieee_overflow 0
		.amdhsa_exception_fp_ieee_underflow 0
		.amdhsa_exception_fp_ieee_inexact 0
		.amdhsa_exception_int_div_zero 0
	.end_amdhsa_kernel
	.section	.text._ZN7rocprim17ROCPRIM_400000_NS6detail17trampoline_kernelINS0_14default_configENS1_29reduce_by_key_config_selectorIjxN6thrust23THRUST_200600_302600_NS4plusIxEEEEZZNS1_33reduce_by_key_impl_wrapped_configILNS1_25lookback_scan_determinismE0ES3_S9_NS6_6detail15normal_iteratorINS6_10device_ptrIjEEEENSD_INSE_IxEEEENS6_16discard_iteratorINS6_11use_defaultEEESI_PmS8_NS6_8equal_toIjEEEE10hipError_tPvRmT2_T3_mT4_T5_T6_T7_T8_P12ihipStream_tbENKUlT_T0_E_clISt17integral_constantIbLb0EES16_EEDaS11_S12_EUlS11_E_NS1_11comp_targetILNS1_3genE4ELNS1_11target_archE910ELNS1_3gpuE8ELNS1_3repE0EEENS1_30default_config_static_selectorELNS0_4arch9wavefront6targetE1EEEvT1_,"axG",@progbits,_ZN7rocprim17ROCPRIM_400000_NS6detail17trampoline_kernelINS0_14default_configENS1_29reduce_by_key_config_selectorIjxN6thrust23THRUST_200600_302600_NS4plusIxEEEEZZNS1_33reduce_by_key_impl_wrapped_configILNS1_25lookback_scan_determinismE0ES3_S9_NS6_6detail15normal_iteratorINS6_10device_ptrIjEEEENSD_INSE_IxEEEENS6_16discard_iteratorINS6_11use_defaultEEESI_PmS8_NS6_8equal_toIjEEEE10hipError_tPvRmT2_T3_mT4_T5_T6_T7_T8_P12ihipStream_tbENKUlT_T0_E_clISt17integral_constantIbLb0EES16_EEDaS11_S12_EUlS11_E_NS1_11comp_targetILNS1_3genE4ELNS1_11target_archE910ELNS1_3gpuE8ELNS1_3repE0EEENS1_30default_config_static_selectorELNS0_4arch9wavefront6targetE1EEEvT1_,comdat
.Lfunc_end987:
	.size	_ZN7rocprim17ROCPRIM_400000_NS6detail17trampoline_kernelINS0_14default_configENS1_29reduce_by_key_config_selectorIjxN6thrust23THRUST_200600_302600_NS4plusIxEEEEZZNS1_33reduce_by_key_impl_wrapped_configILNS1_25lookback_scan_determinismE0ES3_S9_NS6_6detail15normal_iteratorINS6_10device_ptrIjEEEENSD_INSE_IxEEEENS6_16discard_iteratorINS6_11use_defaultEEESI_PmS8_NS6_8equal_toIjEEEE10hipError_tPvRmT2_T3_mT4_T5_T6_T7_T8_P12ihipStream_tbENKUlT_T0_E_clISt17integral_constantIbLb0EES16_EEDaS11_S12_EUlS11_E_NS1_11comp_targetILNS1_3genE4ELNS1_11target_archE910ELNS1_3gpuE8ELNS1_3repE0EEENS1_30default_config_static_selectorELNS0_4arch9wavefront6targetE1EEEvT1_, .Lfunc_end987-_ZN7rocprim17ROCPRIM_400000_NS6detail17trampoline_kernelINS0_14default_configENS1_29reduce_by_key_config_selectorIjxN6thrust23THRUST_200600_302600_NS4plusIxEEEEZZNS1_33reduce_by_key_impl_wrapped_configILNS1_25lookback_scan_determinismE0ES3_S9_NS6_6detail15normal_iteratorINS6_10device_ptrIjEEEENSD_INSE_IxEEEENS6_16discard_iteratorINS6_11use_defaultEEESI_PmS8_NS6_8equal_toIjEEEE10hipError_tPvRmT2_T3_mT4_T5_T6_T7_T8_P12ihipStream_tbENKUlT_T0_E_clISt17integral_constantIbLb0EES16_EEDaS11_S12_EUlS11_E_NS1_11comp_targetILNS1_3genE4ELNS1_11target_archE910ELNS1_3gpuE8ELNS1_3repE0EEENS1_30default_config_static_selectorELNS0_4arch9wavefront6targetE1EEEvT1_
                                        ; -- End function
	.section	.AMDGPU.csdata,"",@progbits
; Kernel info:
; codeLenInByte = 15544
; NumSgprs: 67
; NumVgprs: 102
; NumAgprs: 0
; TotalNumVgprs: 102
; ScratchSize: 0
; MemoryBound: 0
; FloatMode: 240
; IeeeMode: 1
; LDSByteSize: 30720 bytes/workgroup (compile time only)
; SGPRBlocks: 8
; VGPRBlocks: 12
; NumSGPRsForWavesPerEU: 67
; NumVGPRsForWavesPerEU: 102
; AccumOffset: 104
; Occupancy: 2
; WaveLimiterHint : 1
; COMPUTE_PGM_RSRC2:SCRATCH_EN: 0
; COMPUTE_PGM_RSRC2:USER_SGPR: 6
; COMPUTE_PGM_RSRC2:TRAP_HANDLER: 0
; COMPUTE_PGM_RSRC2:TGID_X_EN: 1
; COMPUTE_PGM_RSRC2:TGID_Y_EN: 0
; COMPUTE_PGM_RSRC2:TGID_Z_EN: 0
; COMPUTE_PGM_RSRC2:TIDIG_COMP_CNT: 0
; COMPUTE_PGM_RSRC3_GFX90A:ACCUM_OFFSET: 25
; COMPUTE_PGM_RSRC3_GFX90A:TG_SPLIT: 0
	.section	.text._ZN7rocprim17ROCPRIM_400000_NS6detail17trampoline_kernelINS0_14default_configENS1_29reduce_by_key_config_selectorIjxN6thrust23THRUST_200600_302600_NS4plusIxEEEEZZNS1_33reduce_by_key_impl_wrapped_configILNS1_25lookback_scan_determinismE0ES3_S9_NS6_6detail15normal_iteratorINS6_10device_ptrIjEEEENSD_INSE_IxEEEENS6_16discard_iteratorINS6_11use_defaultEEESI_PmS8_NS6_8equal_toIjEEEE10hipError_tPvRmT2_T3_mT4_T5_T6_T7_T8_P12ihipStream_tbENKUlT_T0_E_clISt17integral_constantIbLb0EES16_EEDaS11_S12_EUlS11_E_NS1_11comp_targetILNS1_3genE3ELNS1_11target_archE908ELNS1_3gpuE7ELNS1_3repE0EEENS1_30default_config_static_selectorELNS0_4arch9wavefront6targetE1EEEvT1_,"axG",@progbits,_ZN7rocprim17ROCPRIM_400000_NS6detail17trampoline_kernelINS0_14default_configENS1_29reduce_by_key_config_selectorIjxN6thrust23THRUST_200600_302600_NS4plusIxEEEEZZNS1_33reduce_by_key_impl_wrapped_configILNS1_25lookback_scan_determinismE0ES3_S9_NS6_6detail15normal_iteratorINS6_10device_ptrIjEEEENSD_INSE_IxEEEENS6_16discard_iteratorINS6_11use_defaultEEESI_PmS8_NS6_8equal_toIjEEEE10hipError_tPvRmT2_T3_mT4_T5_T6_T7_T8_P12ihipStream_tbENKUlT_T0_E_clISt17integral_constantIbLb0EES16_EEDaS11_S12_EUlS11_E_NS1_11comp_targetILNS1_3genE3ELNS1_11target_archE908ELNS1_3gpuE7ELNS1_3repE0EEENS1_30default_config_static_selectorELNS0_4arch9wavefront6targetE1EEEvT1_,comdat
	.protected	_ZN7rocprim17ROCPRIM_400000_NS6detail17trampoline_kernelINS0_14default_configENS1_29reduce_by_key_config_selectorIjxN6thrust23THRUST_200600_302600_NS4plusIxEEEEZZNS1_33reduce_by_key_impl_wrapped_configILNS1_25lookback_scan_determinismE0ES3_S9_NS6_6detail15normal_iteratorINS6_10device_ptrIjEEEENSD_INSE_IxEEEENS6_16discard_iteratorINS6_11use_defaultEEESI_PmS8_NS6_8equal_toIjEEEE10hipError_tPvRmT2_T3_mT4_T5_T6_T7_T8_P12ihipStream_tbENKUlT_T0_E_clISt17integral_constantIbLb0EES16_EEDaS11_S12_EUlS11_E_NS1_11comp_targetILNS1_3genE3ELNS1_11target_archE908ELNS1_3gpuE7ELNS1_3repE0EEENS1_30default_config_static_selectorELNS0_4arch9wavefront6targetE1EEEvT1_ ; -- Begin function _ZN7rocprim17ROCPRIM_400000_NS6detail17trampoline_kernelINS0_14default_configENS1_29reduce_by_key_config_selectorIjxN6thrust23THRUST_200600_302600_NS4plusIxEEEEZZNS1_33reduce_by_key_impl_wrapped_configILNS1_25lookback_scan_determinismE0ES3_S9_NS6_6detail15normal_iteratorINS6_10device_ptrIjEEEENSD_INSE_IxEEEENS6_16discard_iteratorINS6_11use_defaultEEESI_PmS8_NS6_8equal_toIjEEEE10hipError_tPvRmT2_T3_mT4_T5_T6_T7_T8_P12ihipStream_tbENKUlT_T0_E_clISt17integral_constantIbLb0EES16_EEDaS11_S12_EUlS11_E_NS1_11comp_targetILNS1_3genE3ELNS1_11target_archE908ELNS1_3gpuE7ELNS1_3repE0EEENS1_30default_config_static_selectorELNS0_4arch9wavefront6targetE1EEEvT1_
	.globl	_ZN7rocprim17ROCPRIM_400000_NS6detail17trampoline_kernelINS0_14default_configENS1_29reduce_by_key_config_selectorIjxN6thrust23THRUST_200600_302600_NS4plusIxEEEEZZNS1_33reduce_by_key_impl_wrapped_configILNS1_25lookback_scan_determinismE0ES3_S9_NS6_6detail15normal_iteratorINS6_10device_ptrIjEEEENSD_INSE_IxEEEENS6_16discard_iteratorINS6_11use_defaultEEESI_PmS8_NS6_8equal_toIjEEEE10hipError_tPvRmT2_T3_mT4_T5_T6_T7_T8_P12ihipStream_tbENKUlT_T0_E_clISt17integral_constantIbLb0EES16_EEDaS11_S12_EUlS11_E_NS1_11comp_targetILNS1_3genE3ELNS1_11target_archE908ELNS1_3gpuE7ELNS1_3repE0EEENS1_30default_config_static_selectorELNS0_4arch9wavefront6targetE1EEEvT1_
	.p2align	8
	.type	_ZN7rocprim17ROCPRIM_400000_NS6detail17trampoline_kernelINS0_14default_configENS1_29reduce_by_key_config_selectorIjxN6thrust23THRUST_200600_302600_NS4plusIxEEEEZZNS1_33reduce_by_key_impl_wrapped_configILNS1_25lookback_scan_determinismE0ES3_S9_NS6_6detail15normal_iteratorINS6_10device_ptrIjEEEENSD_INSE_IxEEEENS6_16discard_iteratorINS6_11use_defaultEEESI_PmS8_NS6_8equal_toIjEEEE10hipError_tPvRmT2_T3_mT4_T5_T6_T7_T8_P12ihipStream_tbENKUlT_T0_E_clISt17integral_constantIbLb0EES16_EEDaS11_S12_EUlS11_E_NS1_11comp_targetILNS1_3genE3ELNS1_11target_archE908ELNS1_3gpuE7ELNS1_3repE0EEENS1_30default_config_static_selectorELNS0_4arch9wavefront6targetE1EEEvT1_,@function
_ZN7rocprim17ROCPRIM_400000_NS6detail17trampoline_kernelINS0_14default_configENS1_29reduce_by_key_config_selectorIjxN6thrust23THRUST_200600_302600_NS4plusIxEEEEZZNS1_33reduce_by_key_impl_wrapped_configILNS1_25lookback_scan_determinismE0ES3_S9_NS6_6detail15normal_iteratorINS6_10device_ptrIjEEEENSD_INSE_IxEEEENS6_16discard_iteratorINS6_11use_defaultEEESI_PmS8_NS6_8equal_toIjEEEE10hipError_tPvRmT2_T3_mT4_T5_T6_T7_T8_P12ihipStream_tbENKUlT_T0_E_clISt17integral_constantIbLb0EES16_EEDaS11_S12_EUlS11_E_NS1_11comp_targetILNS1_3genE3ELNS1_11target_archE908ELNS1_3gpuE7ELNS1_3repE0EEENS1_30default_config_static_selectorELNS0_4arch9wavefront6targetE1EEEvT1_: ; @_ZN7rocprim17ROCPRIM_400000_NS6detail17trampoline_kernelINS0_14default_configENS1_29reduce_by_key_config_selectorIjxN6thrust23THRUST_200600_302600_NS4plusIxEEEEZZNS1_33reduce_by_key_impl_wrapped_configILNS1_25lookback_scan_determinismE0ES3_S9_NS6_6detail15normal_iteratorINS6_10device_ptrIjEEEENSD_INSE_IxEEEENS6_16discard_iteratorINS6_11use_defaultEEESI_PmS8_NS6_8equal_toIjEEEE10hipError_tPvRmT2_T3_mT4_T5_T6_T7_T8_P12ihipStream_tbENKUlT_T0_E_clISt17integral_constantIbLb0EES16_EEDaS11_S12_EUlS11_E_NS1_11comp_targetILNS1_3genE3ELNS1_11target_archE908ELNS1_3gpuE7ELNS1_3repE0EEENS1_30default_config_static_selectorELNS0_4arch9wavefront6targetE1EEEvT1_
; %bb.0:
	.section	.rodata,"a",@progbits
	.p2align	6, 0x0
	.amdhsa_kernel _ZN7rocprim17ROCPRIM_400000_NS6detail17trampoline_kernelINS0_14default_configENS1_29reduce_by_key_config_selectorIjxN6thrust23THRUST_200600_302600_NS4plusIxEEEEZZNS1_33reduce_by_key_impl_wrapped_configILNS1_25lookback_scan_determinismE0ES3_S9_NS6_6detail15normal_iteratorINS6_10device_ptrIjEEEENSD_INSE_IxEEEENS6_16discard_iteratorINS6_11use_defaultEEESI_PmS8_NS6_8equal_toIjEEEE10hipError_tPvRmT2_T3_mT4_T5_T6_T7_T8_P12ihipStream_tbENKUlT_T0_E_clISt17integral_constantIbLb0EES16_EEDaS11_S12_EUlS11_E_NS1_11comp_targetILNS1_3genE3ELNS1_11target_archE908ELNS1_3gpuE7ELNS1_3repE0EEENS1_30default_config_static_selectorELNS0_4arch9wavefront6targetE1EEEvT1_
		.amdhsa_group_segment_fixed_size 0
		.amdhsa_private_segment_fixed_size 0
		.amdhsa_kernarg_size 144
		.amdhsa_user_sgpr_count 6
		.amdhsa_user_sgpr_private_segment_buffer 1
		.amdhsa_user_sgpr_dispatch_ptr 0
		.amdhsa_user_sgpr_queue_ptr 0
		.amdhsa_user_sgpr_kernarg_segment_ptr 1
		.amdhsa_user_sgpr_dispatch_id 0
		.amdhsa_user_sgpr_flat_scratch_init 0
		.amdhsa_user_sgpr_kernarg_preload_length 0
		.amdhsa_user_sgpr_kernarg_preload_offset 0
		.amdhsa_user_sgpr_private_segment_size 0
		.amdhsa_uses_dynamic_stack 0
		.amdhsa_system_sgpr_private_segment_wavefront_offset 0
		.amdhsa_system_sgpr_workgroup_id_x 1
		.amdhsa_system_sgpr_workgroup_id_y 0
		.amdhsa_system_sgpr_workgroup_id_z 0
		.amdhsa_system_sgpr_workgroup_info 0
		.amdhsa_system_vgpr_workitem_id 0
		.amdhsa_next_free_vgpr 1
		.amdhsa_next_free_sgpr 0
		.amdhsa_accum_offset 4
		.amdhsa_reserve_vcc 0
		.amdhsa_reserve_flat_scratch 0
		.amdhsa_float_round_mode_32 0
		.amdhsa_float_round_mode_16_64 0
		.amdhsa_float_denorm_mode_32 3
		.amdhsa_float_denorm_mode_16_64 3
		.amdhsa_dx10_clamp 1
		.amdhsa_ieee_mode 1
		.amdhsa_fp16_overflow 0
		.amdhsa_tg_split 0
		.amdhsa_exception_fp_ieee_invalid_op 0
		.amdhsa_exception_fp_denorm_src 0
		.amdhsa_exception_fp_ieee_div_zero 0
		.amdhsa_exception_fp_ieee_overflow 0
		.amdhsa_exception_fp_ieee_underflow 0
		.amdhsa_exception_fp_ieee_inexact 0
		.amdhsa_exception_int_div_zero 0
	.end_amdhsa_kernel
	.section	.text._ZN7rocprim17ROCPRIM_400000_NS6detail17trampoline_kernelINS0_14default_configENS1_29reduce_by_key_config_selectorIjxN6thrust23THRUST_200600_302600_NS4plusIxEEEEZZNS1_33reduce_by_key_impl_wrapped_configILNS1_25lookback_scan_determinismE0ES3_S9_NS6_6detail15normal_iteratorINS6_10device_ptrIjEEEENSD_INSE_IxEEEENS6_16discard_iteratorINS6_11use_defaultEEESI_PmS8_NS6_8equal_toIjEEEE10hipError_tPvRmT2_T3_mT4_T5_T6_T7_T8_P12ihipStream_tbENKUlT_T0_E_clISt17integral_constantIbLb0EES16_EEDaS11_S12_EUlS11_E_NS1_11comp_targetILNS1_3genE3ELNS1_11target_archE908ELNS1_3gpuE7ELNS1_3repE0EEENS1_30default_config_static_selectorELNS0_4arch9wavefront6targetE1EEEvT1_,"axG",@progbits,_ZN7rocprim17ROCPRIM_400000_NS6detail17trampoline_kernelINS0_14default_configENS1_29reduce_by_key_config_selectorIjxN6thrust23THRUST_200600_302600_NS4plusIxEEEEZZNS1_33reduce_by_key_impl_wrapped_configILNS1_25lookback_scan_determinismE0ES3_S9_NS6_6detail15normal_iteratorINS6_10device_ptrIjEEEENSD_INSE_IxEEEENS6_16discard_iteratorINS6_11use_defaultEEESI_PmS8_NS6_8equal_toIjEEEE10hipError_tPvRmT2_T3_mT4_T5_T6_T7_T8_P12ihipStream_tbENKUlT_T0_E_clISt17integral_constantIbLb0EES16_EEDaS11_S12_EUlS11_E_NS1_11comp_targetILNS1_3genE3ELNS1_11target_archE908ELNS1_3gpuE7ELNS1_3repE0EEENS1_30default_config_static_selectorELNS0_4arch9wavefront6targetE1EEEvT1_,comdat
.Lfunc_end988:
	.size	_ZN7rocprim17ROCPRIM_400000_NS6detail17trampoline_kernelINS0_14default_configENS1_29reduce_by_key_config_selectorIjxN6thrust23THRUST_200600_302600_NS4plusIxEEEEZZNS1_33reduce_by_key_impl_wrapped_configILNS1_25lookback_scan_determinismE0ES3_S9_NS6_6detail15normal_iteratorINS6_10device_ptrIjEEEENSD_INSE_IxEEEENS6_16discard_iteratorINS6_11use_defaultEEESI_PmS8_NS6_8equal_toIjEEEE10hipError_tPvRmT2_T3_mT4_T5_T6_T7_T8_P12ihipStream_tbENKUlT_T0_E_clISt17integral_constantIbLb0EES16_EEDaS11_S12_EUlS11_E_NS1_11comp_targetILNS1_3genE3ELNS1_11target_archE908ELNS1_3gpuE7ELNS1_3repE0EEENS1_30default_config_static_selectorELNS0_4arch9wavefront6targetE1EEEvT1_, .Lfunc_end988-_ZN7rocprim17ROCPRIM_400000_NS6detail17trampoline_kernelINS0_14default_configENS1_29reduce_by_key_config_selectorIjxN6thrust23THRUST_200600_302600_NS4plusIxEEEEZZNS1_33reduce_by_key_impl_wrapped_configILNS1_25lookback_scan_determinismE0ES3_S9_NS6_6detail15normal_iteratorINS6_10device_ptrIjEEEENSD_INSE_IxEEEENS6_16discard_iteratorINS6_11use_defaultEEESI_PmS8_NS6_8equal_toIjEEEE10hipError_tPvRmT2_T3_mT4_T5_T6_T7_T8_P12ihipStream_tbENKUlT_T0_E_clISt17integral_constantIbLb0EES16_EEDaS11_S12_EUlS11_E_NS1_11comp_targetILNS1_3genE3ELNS1_11target_archE908ELNS1_3gpuE7ELNS1_3repE0EEENS1_30default_config_static_selectorELNS0_4arch9wavefront6targetE1EEEvT1_
                                        ; -- End function
	.section	.AMDGPU.csdata,"",@progbits
; Kernel info:
; codeLenInByte = 0
; NumSgprs: 4
; NumVgprs: 0
; NumAgprs: 0
; TotalNumVgprs: 0
; ScratchSize: 0
; MemoryBound: 0
; FloatMode: 240
; IeeeMode: 1
; LDSByteSize: 0 bytes/workgroup (compile time only)
; SGPRBlocks: 0
; VGPRBlocks: 0
; NumSGPRsForWavesPerEU: 4
; NumVGPRsForWavesPerEU: 1
; AccumOffset: 4
; Occupancy: 8
; WaveLimiterHint : 0
; COMPUTE_PGM_RSRC2:SCRATCH_EN: 0
; COMPUTE_PGM_RSRC2:USER_SGPR: 6
; COMPUTE_PGM_RSRC2:TRAP_HANDLER: 0
; COMPUTE_PGM_RSRC2:TGID_X_EN: 1
; COMPUTE_PGM_RSRC2:TGID_Y_EN: 0
; COMPUTE_PGM_RSRC2:TGID_Z_EN: 0
; COMPUTE_PGM_RSRC2:TIDIG_COMP_CNT: 0
; COMPUTE_PGM_RSRC3_GFX90A:ACCUM_OFFSET: 0
; COMPUTE_PGM_RSRC3_GFX90A:TG_SPLIT: 0
	.section	.text._ZN7rocprim17ROCPRIM_400000_NS6detail17trampoline_kernelINS0_14default_configENS1_29reduce_by_key_config_selectorIjxN6thrust23THRUST_200600_302600_NS4plusIxEEEEZZNS1_33reduce_by_key_impl_wrapped_configILNS1_25lookback_scan_determinismE0ES3_S9_NS6_6detail15normal_iteratorINS6_10device_ptrIjEEEENSD_INSE_IxEEEENS6_16discard_iteratorINS6_11use_defaultEEESI_PmS8_NS6_8equal_toIjEEEE10hipError_tPvRmT2_T3_mT4_T5_T6_T7_T8_P12ihipStream_tbENKUlT_T0_E_clISt17integral_constantIbLb0EES16_EEDaS11_S12_EUlS11_E_NS1_11comp_targetILNS1_3genE2ELNS1_11target_archE906ELNS1_3gpuE6ELNS1_3repE0EEENS1_30default_config_static_selectorELNS0_4arch9wavefront6targetE1EEEvT1_,"axG",@progbits,_ZN7rocprim17ROCPRIM_400000_NS6detail17trampoline_kernelINS0_14default_configENS1_29reduce_by_key_config_selectorIjxN6thrust23THRUST_200600_302600_NS4plusIxEEEEZZNS1_33reduce_by_key_impl_wrapped_configILNS1_25lookback_scan_determinismE0ES3_S9_NS6_6detail15normal_iteratorINS6_10device_ptrIjEEEENSD_INSE_IxEEEENS6_16discard_iteratorINS6_11use_defaultEEESI_PmS8_NS6_8equal_toIjEEEE10hipError_tPvRmT2_T3_mT4_T5_T6_T7_T8_P12ihipStream_tbENKUlT_T0_E_clISt17integral_constantIbLb0EES16_EEDaS11_S12_EUlS11_E_NS1_11comp_targetILNS1_3genE2ELNS1_11target_archE906ELNS1_3gpuE6ELNS1_3repE0EEENS1_30default_config_static_selectorELNS0_4arch9wavefront6targetE1EEEvT1_,comdat
	.protected	_ZN7rocprim17ROCPRIM_400000_NS6detail17trampoline_kernelINS0_14default_configENS1_29reduce_by_key_config_selectorIjxN6thrust23THRUST_200600_302600_NS4plusIxEEEEZZNS1_33reduce_by_key_impl_wrapped_configILNS1_25lookback_scan_determinismE0ES3_S9_NS6_6detail15normal_iteratorINS6_10device_ptrIjEEEENSD_INSE_IxEEEENS6_16discard_iteratorINS6_11use_defaultEEESI_PmS8_NS6_8equal_toIjEEEE10hipError_tPvRmT2_T3_mT4_T5_T6_T7_T8_P12ihipStream_tbENKUlT_T0_E_clISt17integral_constantIbLb0EES16_EEDaS11_S12_EUlS11_E_NS1_11comp_targetILNS1_3genE2ELNS1_11target_archE906ELNS1_3gpuE6ELNS1_3repE0EEENS1_30default_config_static_selectorELNS0_4arch9wavefront6targetE1EEEvT1_ ; -- Begin function _ZN7rocprim17ROCPRIM_400000_NS6detail17trampoline_kernelINS0_14default_configENS1_29reduce_by_key_config_selectorIjxN6thrust23THRUST_200600_302600_NS4plusIxEEEEZZNS1_33reduce_by_key_impl_wrapped_configILNS1_25lookback_scan_determinismE0ES3_S9_NS6_6detail15normal_iteratorINS6_10device_ptrIjEEEENSD_INSE_IxEEEENS6_16discard_iteratorINS6_11use_defaultEEESI_PmS8_NS6_8equal_toIjEEEE10hipError_tPvRmT2_T3_mT4_T5_T6_T7_T8_P12ihipStream_tbENKUlT_T0_E_clISt17integral_constantIbLb0EES16_EEDaS11_S12_EUlS11_E_NS1_11comp_targetILNS1_3genE2ELNS1_11target_archE906ELNS1_3gpuE6ELNS1_3repE0EEENS1_30default_config_static_selectorELNS0_4arch9wavefront6targetE1EEEvT1_
	.globl	_ZN7rocprim17ROCPRIM_400000_NS6detail17trampoline_kernelINS0_14default_configENS1_29reduce_by_key_config_selectorIjxN6thrust23THRUST_200600_302600_NS4plusIxEEEEZZNS1_33reduce_by_key_impl_wrapped_configILNS1_25lookback_scan_determinismE0ES3_S9_NS6_6detail15normal_iteratorINS6_10device_ptrIjEEEENSD_INSE_IxEEEENS6_16discard_iteratorINS6_11use_defaultEEESI_PmS8_NS6_8equal_toIjEEEE10hipError_tPvRmT2_T3_mT4_T5_T6_T7_T8_P12ihipStream_tbENKUlT_T0_E_clISt17integral_constantIbLb0EES16_EEDaS11_S12_EUlS11_E_NS1_11comp_targetILNS1_3genE2ELNS1_11target_archE906ELNS1_3gpuE6ELNS1_3repE0EEENS1_30default_config_static_selectorELNS0_4arch9wavefront6targetE1EEEvT1_
	.p2align	8
	.type	_ZN7rocprim17ROCPRIM_400000_NS6detail17trampoline_kernelINS0_14default_configENS1_29reduce_by_key_config_selectorIjxN6thrust23THRUST_200600_302600_NS4plusIxEEEEZZNS1_33reduce_by_key_impl_wrapped_configILNS1_25lookback_scan_determinismE0ES3_S9_NS6_6detail15normal_iteratorINS6_10device_ptrIjEEEENSD_INSE_IxEEEENS6_16discard_iteratorINS6_11use_defaultEEESI_PmS8_NS6_8equal_toIjEEEE10hipError_tPvRmT2_T3_mT4_T5_T6_T7_T8_P12ihipStream_tbENKUlT_T0_E_clISt17integral_constantIbLb0EES16_EEDaS11_S12_EUlS11_E_NS1_11comp_targetILNS1_3genE2ELNS1_11target_archE906ELNS1_3gpuE6ELNS1_3repE0EEENS1_30default_config_static_selectorELNS0_4arch9wavefront6targetE1EEEvT1_,@function
_ZN7rocprim17ROCPRIM_400000_NS6detail17trampoline_kernelINS0_14default_configENS1_29reduce_by_key_config_selectorIjxN6thrust23THRUST_200600_302600_NS4plusIxEEEEZZNS1_33reduce_by_key_impl_wrapped_configILNS1_25lookback_scan_determinismE0ES3_S9_NS6_6detail15normal_iteratorINS6_10device_ptrIjEEEENSD_INSE_IxEEEENS6_16discard_iteratorINS6_11use_defaultEEESI_PmS8_NS6_8equal_toIjEEEE10hipError_tPvRmT2_T3_mT4_T5_T6_T7_T8_P12ihipStream_tbENKUlT_T0_E_clISt17integral_constantIbLb0EES16_EEDaS11_S12_EUlS11_E_NS1_11comp_targetILNS1_3genE2ELNS1_11target_archE906ELNS1_3gpuE6ELNS1_3repE0EEENS1_30default_config_static_selectorELNS0_4arch9wavefront6targetE1EEEvT1_: ; @_ZN7rocprim17ROCPRIM_400000_NS6detail17trampoline_kernelINS0_14default_configENS1_29reduce_by_key_config_selectorIjxN6thrust23THRUST_200600_302600_NS4plusIxEEEEZZNS1_33reduce_by_key_impl_wrapped_configILNS1_25lookback_scan_determinismE0ES3_S9_NS6_6detail15normal_iteratorINS6_10device_ptrIjEEEENSD_INSE_IxEEEENS6_16discard_iteratorINS6_11use_defaultEEESI_PmS8_NS6_8equal_toIjEEEE10hipError_tPvRmT2_T3_mT4_T5_T6_T7_T8_P12ihipStream_tbENKUlT_T0_E_clISt17integral_constantIbLb0EES16_EEDaS11_S12_EUlS11_E_NS1_11comp_targetILNS1_3genE2ELNS1_11target_archE906ELNS1_3gpuE6ELNS1_3repE0EEENS1_30default_config_static_selectorELNS0_4arch9wavefront6targetE1EEEvT1_
; %bb.0:
	.section	.rodata,"a",@progbits
	.p2align	6, 0x0
	.amdhsa_kernel _ZN7rocprim17ROCPRIM_400000_NS6detail17trampoline_kernelINS0_14default_configENS1_29reduce_by_key_config_selectorIjxN6thrust23THRUST_200600_302600_NS4plusIxEEEEZZNS1_33reduce_by_key_impl_wrapped_configILNS1_25lookback_scan_determinismE0ES3_S9_NS6_6detail15normal_iteratorINS6_10device_ptrIjEEEENSD_INSE_IxEEEENS6_16discard_iteratorINS6_11use_defaultEEESI_PmS8_NS6_8equal_toIjEEEE10hipError_tPvRmT2_T3_mT4_T5_T6_T7_T8_P12ihipStream_tbENKUlT_T0_E_clISt17integral_constantIbLb0EES16_EEDaS11_S12_EUlS11_E_NS1_11comp_targetILNS1_3genE2ELNS1_11target_archE906ELNS1_3gpuE6ELNS1_3repE0EEENS1_30default_config_static_selectorELNS0_4arch9wavefront6targetE1EEEvT1_
		.amdhsa_group_segment_fixed_size 0
		.amdhsa_private_segment_fixed_size 0
		.amdhsa_kernarg_size 144
		.amdhsa_user_sgpr_count 6
		.amdhsa_user_sgpr_private_segment_buffer 1
		.amdhsa_user_sgpr_dispatch_ptr 0
		.amdhsa_user_sgpr_queue_ptr 0
		.amdhsa_user_sgpr_kernarg_segment_ptr 1
		.amdhsa_user_sgpr_dispatch_id 0
		.amdhsa_user_sgpr_flat_scratch_init 0
		.amdhsa_user_sgpr_kernarg_preload_length 0
		.amdhsa_user_sgpr_kernarg_preload_offset 0
		.amdhsa_user_sgpr_private_segment_size 0
		.amdhsa_uses_dynamic_stack 0
		.amdhsa_system_sgpr_private_segment_wavefront_offset 0
		.amdhsa_system_sgpr_workgroup_id_x 1
		.amdhsa_system_sgpr_workgroup_id_y 0
		.amdhsa_system_sgpr_workgroup_id_z 0
		.amdhsa_system_sgpr_workgroup_info 0
		.amdhsa_system_vgpr_workitem_id 0
		.amdhsa_next_free_vgpr 1
		.amdhsa_next_free_sgpr 0
		.amdhsa_accum_offset 4
		.amdhsa_reserve_vcc 0
		.amdhsa_reserve_flat_scratch 0
		.amdhsa_float_round_mode_32 0
		.amdhsa_float_round_mode_16_64 0
		.amdhsa_float_denorm_mode_32 3
		.amdhsa_float_denorm_mode_16_64 3
		.amdhsa_dx10_clamp 1
		.amdhsa_ieee_mode 1
		.amdhsa_fp16_overflow 0
		.amdhsa_tg_split 0
		.amdhsa_exception_fp_ieee_invalid_op 0
		.amdhsa_exception_fp_denorm_src 0
		.amdhsa_exception_fp_ieee_div_zero 0
		.amdhsa_exception_fp_ieee_overflow 0
		.amdhsa_exception_fp_ieee_underflow 0
		.amdhsa_exception_fp_ieee_inexact 0
		.amdhsa_exception_int_div_zero 0
	.end_amdhsa_kernel
	.section	.text._ZN7rocprim17ROCPRIM_400000_NS6detail17trampoline_kernelINS0_14default_configENS1_29reduce_by_key_config_selectorIjxN6thrust23THRUST_200600_302600_NS4plusIxEEEEZZNS1_33reduce_by_key_impl_wrapped_configILNS1_25lookback_scan_determinismE0ES3_S9_NS6_6detail15normal_iteratorINS6_10device_ptrIjEEEENSD_INSE_IxEEEENS6_16discard_iteratorINS6_11use_defaultEEESI_PmS8_NS6_8equal_toIjEEEE10hipError_tPvRmT2_T3_mT4_T5_T6_T7_T8_P12ihipStream_tbENKUlT_T0_E_clISt17integral_constantIbLb0EES16_EEDaS11_S12_EUlS11_E_NS1_11comp_targetILNS1_3genE2ELNS1_11target_archE906ELNS1_3gpuE6ELNS1_3repE0EEENS1_30default_config_static_selectorELNS0_4arch9wavefront6targetE1EEEvT1_,"axG",@progbits,_ZN7rocprim17ROCPRIM_400000_NS6detail17trampoline_kernelINS0_14default_configENS1_29reduce_by_key_config_selectorIjxN6thrust23THRUST_200600_302600_NS4plusIxEEEEZZNS1_33reduce_by_key_impl_wrapped_configILNS1_25lookback_scan_determinismE0ES3_S9_NS6_6detail15normal_iteratorINS6_10device_ptrIjEEEENSD_INSE_IxEEEENS6_16discard_iteratorINS6_11use_defaultEEESI_PmS8_NS6_8equal_toIjEEEE10hipError_tPvRmT2_T3_mT4_T5_T6_T7_T8_P12ihipStream_tbENKUlT_T0_E_clISt17integral_constantIbLb0EES16_EEDaS11_S12_EUlS11_E_NS1_11comp_targetILNS1_3genE2ELNS1_11target_archE906ELNS1_3gpuE6ELNS1_3repE0EEENS1_30default_config_static_selectorELNS0_4arch9wavefront6targetE1EEEvT1_,comdat
.Lfunc_end989:
	.size	_ZN7rocprim17ROCPRIM_400000_NS6detail17trampoline_kernelINS0_14default_configENS1_29reduce_by_key_config_selectorIjxN6thrust23THRUST_200600_302600_NS4plusIxEEEEZZNS1_33reduce_by_key_impl_wrapped_configILNS1_25lookback_scan_determinismE0ES3_S9_NS6_6detail15normal_iteratorINS6_10device_ptrIjEEEENSD_INSE_IxEEEENS6_16discard_iteratorINS6_11use_defaultEEESI_PmS8_NS6_8equal_toIjEEEE10hipError_tPvRmT2_T3_mT4_T5_T6_T7_T8_P12ihipStream_tbENKUlT_T0_E_clISt17integral_constantIbLb0EES16_EEDaS11_S12_EUlS11_E_NS1_11comp_targetILNS1_3genE2ELNS1_11target_archE906ELNS1_3gpuE6ELNS1_3repE0EEENS1_30default_config_static_selectorELNS0_4arch9wavefront6targetE1EEEvT1_, .Lfunc_end989-_ZN7rocprim17ROCPRIM_400000_NS6detail17trampoline_kernelINS0_14default_configENS1_29reduce_by_key_config_selectorIjxN6thrust23THRUST_200600_302600_NS4plusIxEEEEZZNS1_33reduce_by_key_impl_wrapped_configILNS1_25lookback_scan_determinismE0ES3_S9_NS6_6detail15normal_iteratorINS6_10device_ptrIjEEEENSD_INSE_IxEEEENS6_16discard_iteratorINS6_11use_defaultEEESI_PmS8_NS6_8equal_toIjEEEE10hipError_tPvRmT2_T3_mT4_T5_T6_T7_T8_P12ihipStream_tbENKUlT_T0_E_clISt17integral_constantIbLb0EES16_EEDaS11_S12_EUlS11_E_NS1_11comp_targetILNS1_3genE2ELNS1_11target_archE906ELNS1_3gpuE6ELNS1_3repE0EEENS1_30default_config_static_selectorELNS0_4arch9wavefront6targetE1EEEvT1_
                                        ; -- End function
	.section	.AMDGPU.csdata,"",@progbits
; Kernel info:
; codeLenInByte = 0
; NumSgprs: 4
; NumVgprs: 0
; NumAgprs: 0
; TotalNumVgprs: 0
; ScratchSize: 0
; MemoryBound: 0
; FloatMode: 240
; IeeeMode: 1
; LDSByteSize: 0 bytes/workgroup (compile time only)
; SGPRBlocks: 0
; VGPRBlocks: 0
; NumSGPRsForWavesPerEU: 4
; NumVGPRsForWavesPerEU: 1
; AccumOffset: 4
; Occupancy: 8
; WaveLimiterHint : 0
; COMPUTE_PGM_RSRC2:SCRATCH_EN: 0
; COMPUTE_PGM_RSRC2:USER_SGPR: 6
; COMPUTE_PGM_RSRC2:TRAP_HANDLER: 0
; COMPUTE_PGM_RSRC2:TGID_X_EN: 1
; COMPUTE_PGM_RSRC2:TGID_Y_EN: 0
; COMPUTE_PGM_RSRC2:TGID_Z_EN: 0
; COMPUTE_PGM_RSRC2:TIDIG_COMP_CNT: 0
; COMPUTE_PGM_RSRC3_GFX90A:ACCUM_OFFSET: 0
; COMPUTE_PGM_RSRC3_GFX90A:TG_SPLIT: 0
	.section	.text._ZN7rocprim17ROCPRIM_400000_NS6detail17trampoline_kernelINS0_14default_configENS1_29reduce_by_key_config_selectorIjxN6thrust23THRUST_200600_302600_NS4plusIxEEEEZZNS1_33reduce_by_key_impl_wrapped_configILNS1_25lookback_scan_determinismE0ES3_S9_NS6_6detail15normal_iteratorINS6_10device_ptrIjEEEENSD_INSE_IxEEEENS6_16discard_iteratorINS6_11use_defaultEEESI_PmS8_NS6_8equal_toIjEEEE10hipError_tPvRmT2_T3_mT4_T5_T6_T7_T8_P12ihipStream_tbENKUlT_T0_E_clISt17integral_constantIbLb0EES16_EEDaS11_S12_EUlS11_E_NS1_11comp_targetILNS1_3genE10ELNS1_11target_archE1201ELNS1_3gpuE5ELNS1_3repE0EEENS1_30default_config_static_selectorELNS0_4arch9wavefront6targetE1EEEvT1_,"axG",@progbits,_ZN7rocprim17ROCPRIM_400000_NS6detail17trampoline_kernelINS0_14default_configENS1_29reduce_by_key_config_selectorIjxN6thrust23THRUST_200600_302600_NS4plusIxEEEEZZNS1_33reduce_by_key_impl_wrapped_configILNS1_25lookback_scan_determinismE0ES3_S9_NS6_6detail15normal_iteratorINS6_10device_ptrIjEEEENSD_INSE_IxEEEENS6_16discard_iteratorINS6_11use_defaultEEESI_PmS8_NS6_8equal_toIjEEEE10hipError_tPvRmT2_T3_mT4_T5_T6_T7_T8_P12ihipStream_tbENKUlT_T0_E_clISt17integral_constantIbLb0EES16_EEDaS11_S12_EUlS11_E_NS1_11comp_targetILNS1_3genE10ELNS1_11target_archE1201ELNS1_3gpuE5ELNS1_3repE0EEENS1_30default_config_static_selectorELNS0_4arch9wavefront6targetE1EEEvT1_,comdat
	.protected	_ZN7rocprim17ROCPRIM_400000_NS6detail17trampoline_kernelINS0_14default_configENS1_29reduce_by_key_config_selectorIjxN6thrust23THRUST_200600_302600_NS4plusIxEEEEZZNS1_33reduce_by_key_impl_wrapped_configILNS1_25lookback_scan_determinismE0ES3_S9_NS6_6detail15normal_iteratorINS6_10device_ptrIjEEEENSD_INSE_IxEEEENS6_16discard_iteratorINS6_11use_defaultEEESI_PmS8_NS6_8equal_toIjEEEE10hipError_tPvRmT2_T3_mT4_T5_T6_T7_T8_P12ihipStream_tbENKUlT_T0_E_clISt17integral_constantIbLb0EES16_EEDaS11_S12_EUlS11_E_NS1_11comp_targetILNS1_3genE10ELNS1_11target_archE1201ELNS1_3gpuE5ELNS1_3repE0EEENS1_30default_config_static_selectorELNS0_4arch9wavefront6targetE1EEEvT1_ ; -- Begin function _ZN7rocprim17ROCPRIM_400000_NS6detail17trampoline_kernelINS0_14default_configENS1_29reduce_by_key_config_selectorIjxN6thrust23THRUST_200600_302600_NS4plusIxEEEEZZNS1_33reduce_by_key_impl_wrapped_configILNS1_25lookback_scan_determinismE0ES3_S9_NS6_6detail15normal_iteratorINS6_10device_ptrIjEEEENSD_INSE_IxEEEENS6_16discard_iteratorINS6_11use_defaultEEESI_PmS8_NS6_8equal_toIjEEEE10hipError_tPvRmT2_T3_mT4_T5_T6_T7_T8_P12ihipStream_tbENKUlT_T0_E_clISt17integral_constantIbLb0EES16_EEDaS11_S12_EUlS11_E_NS1_11comp_targetILNS1_3genE10ELNS1_11target_archE1201ELNS1_3gpuE5ELNS1_3repE0EEENS1_30default_config_static_selectorELNS0_4arch9wavefront6targetE1EEEvT1_
	.globl	_ZN7rocprim17ROCPRIM_400000_NS6detail17trampoline_kernelINS0_14default_configENS1_29reduce_by_key_config_selectorIjxN6thrust23THRUST_200600_302600_NS4plusIxEEEEZZNS1_33reduce_by_key_impl_wrapped_configILNS1_25lookback_scan_determinismE0ES3_S9_NS6_6detail15normal_iteratorINS6_10device_ptrIjEEEENSD_INSE_IxEEEENS6_16discard_iteratorINS6_11use_defaultEEESI_PmS8_NS6_8equal_toIjEEEE10hipError_tPvRmT2_T3_mT4_T5_T6_T7_T8_P12ihipStream_tbENKUlT_T0_E_clISt17integral_constantIbLb0EES16_EEDaS11_S12_EUlS11_E_NS1_11comp_targetILNS1_3genE10ELNS1_11target_archE1201ELNS1_3gpuE5ELNS1_3repE0EEENS1_30default_config_static_selectorELNS0_4arch9wavefront6targetE1EEEvT1_
	.p2align	8
	.type	_ZN7rocprim17ROCPRIM_400000_NS6detail17trampoline_kernelINS0_14default_configENS1_29reduce_by_key_config_selectorIjxN6thrust23THRUST_200600_302600_NS4plusIxEEEEZZNS1_33reduce_by_key_impl_wrapped_configILNS1_25lookback_scan_determinismE0ES3_S9_NS6_6detail15normal_iteratorINS6_10device_ptrIjEEEENSD_INSE_IxEEEENS6_16discard_iteratorINS6_11use_defaultEEESI_PmS8_NS6_8equal_toIjEEEE10hipError_tPvRmT2_T3_mT4_T5_T6_T7_T8_P12ihipStream_tbENKUlT_T0_E_clISt17integral_constantIbLb0EES16_EEDaS11_S12_EUlS11_E_NS1_11comp_targetILNS1_3genE10ELNS1_11target_archE1201ELNS1_3gpuE5ELNS1_3repE0EEENS1_30default_config_static_selectorELNS0_4arch9wavefront6targetE1EEEvT1_,@function
_ZN7rocprim17ROCPRIM_400000_NS6detail17trampoline_kernelINS0_14default_configENS1_29reduce_by_key_config_selectorIjxN6thrust23THRUST_200600_302600_NS4plusIxEEEEZZNS1_33reduce_by_key_impl_wrapped_configILNS1_25lookback_scan_determinismE0ES3_S9_NS6_6detail15normal_iteratorINS6_10device_ptrIjEEEENSD_INSE_IxEEEENS6_16discard_iteratorINS6_11use_defaultEEESI_PmS8_NS6_8equal_toIjEEEE10hipError_tPvRmT2_T3_mT4_T5_T6_T7_T8_P12ihipStream_tbENKUlT_T0_E_clISt17integral_constantIbLb0EES16_EEDaS11_S12_EUlS11_E_NS1_11comp_targetILNS1_3genE10ELNS1_11target_archE1201ELNS1_3gpuE5ELNS1_3repE0EEENS1_30default_config_static_selectorELNS0_4arch9wavefront6targetE1EEEvT1_: ; @_ZN7rocprim17ROCPRIM_400000_NS6detail17trampoline_kernelINS0_14default_configENS1_29reduce_by_key_config_selectorIjxN6thrust23THRUST_200600_302600_NS4plusIxEEEEZZNS1_33reduce_by_key_impl_wrapped_configILNS1_25lookback_scan_determinismE0ES3_S9_NS6_6detail15normal_iteratorINS6_10device_ptrIjEEEENSD_INSE_IxEEEENS6_16discard_iteratorINS6_11use_defaultEEESI_PmS8_NS6_8equal_toIjEEEE10hipError_tPvRmT2_T3_mT4_T5_T6_T7_T8_P12ihipStream_tbENKUlT_T0_E_clISt17integral_constantIbLb0EES16_EEDaS11_S12_EUlS11_E_NS1_11comp_targetILNS1_3genE10ELNS1_11target_archE1201ELNS1_3gpuE5ELNS1_3repE0EEENS1_30default_config_static_selectorELNS0_4arch9wavefront6targetE1EEEvT1_
; %bb.0:
	.section	.rodata,"a",@progbits
	.p2align	6, 0x0
	.amdhsa_kernel _ZN7rocprim17ROCPRIM_400000_NS6detail17trampoline_kernelINS0_14default_configENS1_29reduce_by_key_config_selectorIjxN6thrust23THRUST_200600_302600_NS4plusIxEEEEZZNS1_33reduce_by_key_impl_wrapped_configILNS1_25lookback_scan_determinismE0ES3_S9_NS6_6detail15normal_iteratorINS6_10device_ptrIjEEEENSD_INSE_IxEEEENS6_16discard_iteratorINS6_11use_defaultEEESI_PmS8_NS6_8equal_toIjEEEE10hipError_tPvRmT2_T3_mT4_T5_T6_T7_T8_P12ihipStream_tbENKUlT_T0_E_clISt17integral_constantIbLb0EES16_EEDaS11_S12_EUlS11_E_NS1_11comp_targetILNS1_3genE10ELNS1_11target_archE1201ELNS1_3gpuE5ELNS1_3repE0EEENS1_30default_config_static_selectorELNS0_4arch9wavefront6targetE1EEEvT1_
		.amdhsa_group_segment_fixed_size 0
		.amdhsa_private_segment_fixed_size 0
		.amdhsa_kernarg_size 144
		.amdhsa_user_sgpr_count 6
		.amdhsa_user_sgpr_private_segment_buffer 1
		.amdhsa_user_sgpr_dispatch_ptr 0
		.amdhsa_user_sgpr_queue_ptr 0
		.amdhsa_user_sgpr_kernarg_segment_ptr 1
		.amdhsa_user_sgpr_dispatch_id 0
		.amdhsa_user_sgpr_flat_scratch_init 0
		.amdhsa_user_sgpr_kernarg_preload_length 0
		.amdhsa_user_sgpr_kernarg_preload_offset 0
		.amdhsa_user_sgpr_private_segment_size 0
		.amdhsa_uses_dynamic_stack 0
		.amdhsa_system_sgpr_private_segment_wavefront_offset 0
		.amdhsa_system_sgpr_workgroup_id_x 1
		.amdhsa_system_sgpr_workgroup_id_y 0
		.amdhsa_system_sgpr_workgroup_id_z 0
		.amdhsa_system_sgpr_workgroup_info 0
		.amdhsa_system_vgpr_workitem_id 0
		.amdhsa_next_free_vgpr 1
		.amdhsa_next_free_sgpr 0
		.amdhsa_accum_offset 4
		.amdhsa_reserve_vcc 0
		.amdhsa_reserve_flat_scratch 0
		.amdhsa_float_round_mode_32 0
		.amdhsa_float_round_mode_16_64 0
		.amdhsa_float_denorm_mode_32 3
		.amdhsa_float_denorm_mode_16_64 3
		.amdhsa_dx10_clamp 1
		.amdhsa_ieee_mode 1
		.amdhsa_fp16_overflow 0
		.amdhsa_tg_split 0
		.amdhsa_exception_fp_ieee_invalid_op 0
		.amdhsa_exception_fp_denorm_src 0
		.amdhsa_exception_fp_ieee_div_zero 0
		.amdhsa_exception_fp_ieee_overflow 0
		.amdhsa_exception_fp_ieee_underflow 0
		.amdhsa_exception_fp_ieee_inexact 0
		.amdhsa_exception_int_div_zero 0
	.end_amdhsa_kernel
	.section	.text._ZN7rocprim17ROCPRIM_400000_NS6detail17trampoline_kernelINS0_14default_configENS1_29reduce_by_key_config_selectorIjxN6thrust23THRUST_200600_302600_NS4plusIxEEEEZZNS1_33reduce_by_key_impl_wrapped_configILNS1_25lookback_scan_determinismE0ES3_S9_NS6_6detail15normal_iteratorINS6_10device_ptrIjEEEENSD_INSE_IxEEEENS6_16discard_iteratorINS6_11use_defaultEEESI_PmS8_NS6_8equal_toIjEEEE10hipError_tPvRmT2_T3_mT4_T5_T6_T7_T8_P12ihipStream_tbENKUlT_T0_E_clISt17integral_constantIbLb0EES16_EEDaS11_S12_EUlS11_E_NS1_11comp_targetILNS1_3genE10ELNS1_11target_archE1201ELNS1_3gpuE5ELNS1_3repE0EEENS1_30default_config_static_selectorELNS0_4arch9wavefront6targetE1EEEvT1_,"axG",@progbits,_ZN7rocprim17ROCPRIM_400000_NS6detail17trampoline_kernelINS0_14default_configENS1_29reduce_by_key_config_selectorIjxN6thrust23THRUST_200600_302600_NS4plusIxEEEEZZNS1_33reduce_by_key_impl_wrapped_configILNS1_25lookback_scan_determinismE0ES3_S9_NS6_6detail15normal_iteratorINS6_10device_ptrIjEEEENSD_INSE_IxEEEENS6_16discard_iteratorINS6_11use_defaultEEESI_PmS8_NS6_8equal_toIjEEEE10hipError_tPvRmT2_T3_mT4_T5_T6_T7_T8_P12ihipStream_tbENKUlT_T0_E_clISt17integral_constantIbLb0EES16_EEDaS11_S12_EUlS11_E_NS1_11comp_targetILNS1_3genE10ELNS1_11target_archE1201ELNS1_3gpuE5ELNS1_3repE0EEENS1_30default_config_static_selectorELNS0_4arch9wavefront6targetE1EEEvT1_,comdat
.Lfunc_end990:
	.size	_ZN7rocprim17ROCPRIM_400000_NS6detail17trampoline_kernelINS0_14default_configENS1_29reduce_by_key_config_selectorIjxN6thrust23THRUST_200600_302600_NS4plusIxEEEEZZNS1_33reduce_by_key_impl_wrapped_configILNS1_25lookback_scan_determinismE0ES3_S9_NS6_6detail15normal_iteratorINS6_10device_ptrIjEEEENSD_INSE_IxEEEENS6_16discard_iteratorINS6_11use_defaultEEESI_PmS8_NS6_8equal_toIjEEEE10hipError_tPvRmT2_T3_mT4_T5_T6_T7_T8_P12ihipStream_tbENKUlT_T0_E_clISt17integral_constantIbLb0EES16_EEDaS11_S12_EUlS11_E_NS1_11comp_targetILNS1_3genE10ELNS1_11target_archE1201ELNS1_3gpuE5ELNS1_3repE0EEENS1_30default_config_static_selectorELNS0_4arch9wavefront6targetE1EEEvT1_, .Lfunc_end990-_ZN7rocprim17ROCPRIM_400000_NS6detail17trampoline_kernelINS0_14default_configENS1_29reduce_by_key_config_selectorIjxN6thrust23THRUST_200600_302600_NS4plusIxEEEEZZNS1_33reduce_by_key_impl_wrapped_configILNS1_25lookback_scan_determinismE0ES3_S9_NS6_6detail15normal_iteratorINS6_10device_ptrIjEEEENSD_INSE_IxEEEENS6_16discard_iteratorINS6_11use_defaultEEESI_PmS8_NS6_8equal_toIjEEEE10hipError_tPvRmT2_T3_mT4_T5_T6_T7_T8_P12ihipStream_tbENKUlT_T0_E_clISt17integral_constantIbLb0EES16_EEDaS11_S12_EUlS11_E_NS1_11comp_targetILNS1_3genE10ELNS1_11target_archE1201ELNS1_3gpuE5ELNS1_3repE0EEENS1_30default_config_static_selectorELNS0_4arch9wavefront6targetE1EEEvT1_
                                        ; -- End function
	.section	.AMDGPU.csdata,"",@progbits
; Kernel info:
; codeLenInByte = 0
; NumSgprs: 4
; NumVgprs: 0
; NumAgprs: 0
; TotalNumVgprs: 0
; ScratchSize: 0
; MemoryBound: 0
; FloatMode: 240
; IeeeMode: 1
; LDSByteSize: 0 bytes/workgroup (compile time only)
; SGPRBlocks: 0
; VGPRBlocks: 0
; NumSGPRsForWavesPerEU: 4
; NumVGPRsForWavesPerEU: 1
; AccumOffset: 4
; Occupancy: 8
; WaveLimiterHint : 0
; COMPUTE_PGM_RSRC2:SCRATCH_EN: 0
; COMPUTE_PGM_RSRC2:USER_SGPR: 6
; COMPUTE_PGM_RSRC2:TRAP_HANDLER: 0
; COMPUTE_PGM_RSRC2:TGID_X_EN: 1
; COMPUTE_PGM_RSRC2:TGID_Y_EN: 0
; COMPUTE_PGM_RSRC2:TGID_Z_EN: 0
; COMPUTE_PGM_RSRC2:TIDIG_COMP_CNT: 0
; COMPUTE_PGM_RSRC3_GFX90A:ACCUM_OFFSET: 0
; COMPUTE_PGM_RSRC3_GFX90A:TG_SPLIT: 0
	.section	.text._ZN7rocprim17ROCPRIM_400000_NS6detail17trampoline_kernelINS0_14default_configENS1_29reduce_by_key_config_selectorIjxN6thrust23THRUST_200600_302600_NS4plusIxEEEEZZNS1_33reduce_by_key_impl_wrapped_configILNS1_25lookback_scan_determinismE0ES3_S9_NS6_6detail15normal_iteratorINS6_10device_ptrIjEEEENSD_INSE_IxEEEENS6_16discard_iteratorINS6_11use_defaultEEESI_PmS8_NS6_8equal_toIjEEEE10hipError_tPvRmT2_T3_mT4_T5_T6_T7_T8_P12ihipStream_tbENKUlT_T0_E_clISt17integral_constantIbLb0EES16_EEDaS11_S12_EUlS11_E_NS1_11comp_targetILNS1_3genE10ELNS1_11target_archE1200ELNS1_3gpuE4ELNS1_3repE0EEENS1_30default_config_static_selectorELNS0_4arch9wavefront6targetE1EEEvT1_,"axG",@progbits,_ZN7rocprim17ROCPRIM_400000_NS6detail17trampoline_kernelINS0_14default_configENS1_29reduce_by_key_config_selectorIjxN6thrust23THRUST_200600_302600_NS4plusIxEEEEZZNS1_33reduce_by_key_impl_wrapped_configILNS1_25lookback_scan_determinismE0ES3_S9_NS6_6detail15normal_iteratorINS6_10device_ptrIjEEEENSD_INSE_IxEEEENS6_16discard_iteratorINS6_11use_defaultEEESI_PmS8_NS6_8equal_toIjEEEE10hipError_tPvRmT2_T3_mT4_T5_T6_T7_T8_P12ihipStream_tbENKUlT_T0_E_clISt17integral_constantIbLb0EES16_EEDaS11_S12_EUlS11_E_NS1_11comp_targetILNS1_3genE10ELNS1_11target_archE1200ELNS1_3gpuE4ELNS1_3repE0EEENS1_30default_config_static_selectorELNS0_4arch9wavefront6targetE1EEEvT1_,comdat
	.protected	_ZN7rocprim17ROCPRIM_400000_NS6detail17trampoline_kernelINS0_14default_configENS1_29reduce_by_key_config_selectorIjxN6thrust23THRUST_200600_302600_NS4plusIxEEEEZZNS1_33reduce_by_key_impl_wrapped_configILNS1_25lookback_scan_determinismE0ES3_S9_NS6_6detail15normal_iteratorINS6_10device_ptrIjEEEENSD_INSE_IxEEEENS6_16discard_iteratorINS6_11use_defaultEEESI_PmS8_NS6_8equal_toIjEEEE10hipError_tPvRmT2_T3_mT4_T5_T6_T7_T8_P12ihipStream_tbENKUlT_T0_E_clISt17integral_constantIbLb0EES16_EEDaS11_S12_EUlS11_E_NS1_11comp_targetILNS1_3genE10ELNS1_11target_archE1200ELNS1_3gpuE4ELNS1_3repE0EEENS1_30default_config_static_selectorELNS0_4arch9wavefront6targetE1EEEvT1_ ; -- Begin function _ZN7rocprim17ROCPRIM_400000_NS6detail17trampoline_kernelINS0_14default_configENS1_29reduce_by_key_config_selectorIjxN6thrust23THRUST_200600_302600_NS4plusIxEEEEZZNS1_33reduce_by_key_impl_wrapped_configILNS1_25lookback_scan_determinismE0ES3_S9_NS6_6detail15normal_iteratorINS6_10device_ptrIjEEEENSD_INSE_IxEEEENS6_16discard_iteratorINS6_11use_defaultEEESI_PmS8_NS6_8equal_toIjEEEE10hipError_tPvRmT2_T3_mT4_T5_T6_T7_T8_P12ihipStream_tbENKUlT_T0_E_clISt17integral_constantIbLb0EES16_EEDaS11_S12_EUlS11_E_NS1_11comp_targetILNS1_3genE10ELNS1_11target_archE1200ELNS1_3gpuE4ELNS1_3repE0EEENS1_30default_config_static_selectorELNS0_4arch9wavefront6targetE1EEEvT1_
	.globl	_ZN7rocprim17ROCPRIM_400000_NS6detail17trampoline_kernelINS0_14default_configENS1_29reduce_by_key_config_selectorIjxN6thrust23THRUST_200600_302600_NS4plusIxEEEEZZNS1_33reduce_by_key_impl_wrapped_configILNS1_25lookback_scan_determinismE0ES3_S9_NS6_6detail15normal_iteratorINS6_10device_ptrIjEEEENSD_INSE_IxEEEENS6_16discard_iteratorINS6_11use_defaultEEESI_PmS8_NS6_8equal_toIjEEEE10hipError_tPvRmT2_T3_mT4_T5_T6_T7_T8_P12ihipStream_tbENKUlT_T0_E_clISt17integral_constantIbLb0EES16_EEDaS11_S12_EUlS11_E_NS1_11comp_targetILNS1_3genE10ELNS1_11target_archE1200ELNS1_3gpuE4ELNS1_3repE0EEENS1_30default_config_static_selectorELNS0_4arch9wavefront6targetE1EEEvT1_
	.p2align	8
	.type	_ZN7rocprim17ROCPRIM_400000_NS6detail17trampoline_kernelINS0_14default_configENS1_29reduce_by_key_config_selectorIjxN6thrust23THRUST_200600_302600_NS4plusIxEEEEZZNS1_33reduce_by_key_impl_wrapped_configILNS1_25lookback_scan_determinismE0ES3_S9_NS6_6detail15normal_iteratorINS6_10device_ptrIjEEEENSD_INSE_IxEEEENS6_16discard_iteratorINS6_11use_defaultEEESI_PmS8_NS6_8equal_toIjEEEE10hipError_tPvRmT2_T3_mT4_T5_T6_T7_T8_P12ihipStream_tbENKUlT_T0_E_clISt17integral_constantIbLb0EES16_EEDaS11_S12_EUlS11_E_NS1_11comp_targetILNS1_3genE10ELNS1_11target_archE1200ELNS1_3gpuE4ELNS1_3repE0EEENS1_30default_config_static_selectorELNS0_4arch9wavefront6targetE1EEEvT1_,@function
_ZN7rocprim17ROCPRIM_400000_NS6detail17trampoline_kernelINS0_14default_configENS1_29reduce_by_key_config_selectorIjxN6thrust23THRUST_200600_302600_NS4plusIxEEEEZZNS1_33reduce_by_key_impl_wrapped_configILNS1_25lookback_scan_determinismE0ES3_S9_NS6_6detail15normal_iteratorINS6_10device_ptrIjEEEENSD_INSE_IxEEEENS6_16discard_iteratorINS6_11use_defaultEEESI_PmS8_NS6_8equal_toIjEEEE10hipError_tPvRmT2_T3_mT4_T5_T6_T7_T8_P12ihipStream_tbENKUlT_T0_E_clISt17integral_constantIbLb0EES16_EEDaS11_S12_EUlS11_E_NS1_11comp_targetILNS1_3genE10ELNS1_11target_archE1200ELNS1_3gpuE4ELNS1_3repE0EEENS1_30default_config_static_selectorELNS0_4arch9wavefront6targetE1EEEvT1_: ; @_ZN7rocprim17ROCPRIM_400000_NS6detail17trampoline_kernelINS0_14default_configENS1_29reduce_by_key_config_selectorIjxN6thrust23THRUST_200600_302600_NS4plusIxEEEEZZNS1_33reduce_by_key_impl_wrapped_configILNS1_25lookback_scan_determinismE0ES3_S9_NS6_6detail15normal_iteratorINS6_10device_ptrIjEEEENSD_INSE_IxEEEENS6_16discard_iteratorINS6_11use_defaultEEESI_PmS8_NS6_8equal_toIjEEEE10hipError_tPvRmT2_T3_mT4_T5_T6_T7_T8_P12ihipStream_tbENKUlT_T0_E_clISt17integral_constantIbLb0EES16_EEDaS11_S12_EUlS11_E_NS1_11comp_targetILNS1_3genE10ELNS1_11target_archE1200ELNS1_3gpuE4ELNS1_3repE0EEENS1_30default_config_static_selectorELNS0_4arch9wavefront6targetE1EEEvT1_
; %bb.0:
	.section	.rodata,"a",@progbits
	.p2align	6, 0x0
	.amdhsa_kernel _ZN7rocprim17ROCPRIM_400000_NS6detail17trampoline_kernelINS0_14default_configENS1_29reduce_by_key_config_selectorIjxN6thrust23THRUST_200600_302600_NS4plusIxEEEEZZNS1_33reduce_by_key_impl_wrapped_configILNS1_25lookback_scan_determinismE0ES3_S9_NS6_6detail15normal_iteratorINS6_10device_ptrIjEEEENSD_INSE_IxEEEENS6_16discard_iteratorINS6_11use_defaultEEESI_PmS8_NS6_8equal_toIjEEEE10hipError_tPvRmT2_T3_mT4_T5_T6_T7_T8_P12ihipStream_tbENKUlT_T0_E_clISt17integral_constantIbLb0EES16_EEDaS11_S12_EUlS11_E_NS1_11comp_targetILNS1_3genE10ELNS1_11target_archE1200ELNS1_3gpuE4ELNS1_3repE0EEENS1_30default_config_static_selectorELNS0_4arch9wavefront6targetE1EEEvT1_
		.amdhsa_group_segment_fixed_size 0
		.amdhsa_private_segment_fixed_size 0
		.amdhsa_kernarg_size 144
		.amdhsa_user_sgpr_count 6
		.amdhsa_user_sgpr_private_segment_buffer 1
		.amdhsa_user_sgpr_dispatch_ptr 0
		.amdhsa_user_sgpr_queue_ptr 0
		.amdhsa_user_sgpr_kernarg_segment_ptr 1
		.amdhsa_user_sgpr_dispatch_id 0
		.amdhsa_user_sgpr_flat_scratch_init 0
		.amdhsa_user_sgpr_kernarg_preload_length 0
		.amdhsa_user_sgpr_kernarg_preload_offset 0
		.amdhsa_user_sgpr_private_segment_size 0
		.amdhsa_uses_dynamic_stack 0
		.amdhsa_system_sgpr_private_segment_wavefront_offset 0
		.amdhsa_system_sgpr_workgroup_id_x 1
		.amdhsa_system_sgpr_workgroup_id_y 0
		.amdhsa_system_sgpr_workgroup_id_z 0
		.amdhsa_system_sgpr_workgroup_info 0
		.amdhsa_system_vgpr_workitem_id 0
		.amdhsa_next_free_vgpr 1
		.amdhsa_next_free_sgpr 0
		.amdhsa_accum_offset 4
		.amdhsa_reserve_vcc 0
		.amdhsa_reserve_flat_scratch 0
		.amdhsa_float_round_mode_32 0
		.amdhsa_float_round_mode_16_64 0
		.amdhsa_float_denorm_mode_32 3
		.amdhsa_float_denorm_mode_16_64 3
		.amdhsa_dx10_clamp 1
		.amdhsa_ieee_mode 1
		.amdhsa_fp16_overflow 0
		.amdhsa_tg_split 0
		.amdhsa_exception_fp_ieee_invalid_op 0
		.amdhsa_exception_fp_denorm_src 0
		.amdhsa_exception_fp_ieee_div_zero 0
		.amdhsa_exception_fp_ieee_overflow 0
		.amdhsa_exception_fp_ieee_underflow 0
		.amdhsa_exception_fp_ieee_inexact 0
		.amdhsa_exception_int_div_zero 0
	.end_amdhsa_kernel
	.section	.text._ZN7rocprim17ROCPRIM_400000_NS6detail17trampoline_kernelINS0_14default_configENS1_29reduce_by_key_config_selectorIjxN6thrust23THRUST_200600_302600_NS4plusIxEEEEZZNS1_33reduce_by_key_impl_wrapped_configILNS1_25lookback_scan_determinismE0ES3_S9_NS6_6detail15normal_iteratorINS6_10device_ptrIjEEEENSD_INSE_IxEEEENS6_16discard_iteratorINS6_11use_defaultEEESI_PmS8_NS6_8equal_toIjEEEE10hipError_tPvRmT2_T3_mT4_T5_T6_T7_T8_P12ihipStream_tbENKUlT_T0_E_clISt17integral_constantIbLb0EES16_EEDaS11_S12_EUlS11_E_NS1_11comp_targetILNS1_3genE10ELNS1_11target_archE1200ELNS1_3gpuE4ELNS1_3repE0EEENS1_30default_config_static_selectorELNS0_4arch9wavefront6targetE1EEEvT1_,"axG",@progbits,_ZN7rocprim17ROCPRIM_400000_NS6detail17trampoline_kernelINS0_14default_configENS1_29reduce_by_key_config_selectorIjxN6thrust23THRUST_200600_302600_NS4plusIxEEEEZZNS1_33reduce_by_key_impl_wrapped_configILNS1_25lookback_scan_determinismE0ES3_S9_NS6_6detail15normal_iteratorINS6_10device_ptrIjEEEENSD_INSE_IxEEEENS6_16discard_iteratorINS6_11use_defaultEEESI_PmS8_NS6_8equal_toIjEEEE10hipError_tPvRmT2_T3_mT4_T5_T6_T7_T8_P12ihipStream_tbENKUlT_T0_E_clISt17integral_constantIbLb0EES16_EEDaS11_S12_EUlS11_E_NS1_11comp_targetILNS1_3genE10ELNS1_11target_archE1200ELNS1_3gpuE4ELNS1_3repE0EEENS1_30default_config_static_selectorELNS0_4arch9wavefront6targetE1EEEvT1_,comdat
.Lfunc_end991:
	.size	_ZN7rocprim17ROCPRIM_400000_NS6detail17trampoline_kernelINS0_14default_configENS1_29reduce_by_key_config_selectorIjxN6thrust23THRUST_200600_302600_NS4plusIxEEEEZZNS1_33reduce_by_key_impl_wrapped_configILNS1_25lookback_scan_determinismE0ES3_S9_NS6_6detail15normal_iteratorINS6_10device_ptrIjEEEENSD_INSE_IxEEEENS6_16discard_iteratorINS6_11use_defaultEEESI_PmS8_NS6_8equal_toIjEEEE10hipError_tPvRmT2_T3_mT4_T5_T6_T7_T8_P12ihipStream_tbENKUlT_T0_E_clISt17integral_constantIbLb0EES16_EEDaS11_S12_EUlS11_E_NS1_11comp_targetILNS1_3genE10ELNS1_11target_archE1200ELNS1_3gpuE4ELNS1_3repE0EEENS1_30default_config_static_selectorELNS0_4arch9wavefront6targetE1EEEvT1_, .Lfunc_end991-_ZN7rocprim17ROCPRIM_400000_NS6detail17trampoline_kernelINS0_14default_configENS1_29reduce_by_key_config_selectorIjxN6thrust23THRUST_200600_302600_NS4plusIxEEEEZZNS1_33reduce_by_key_impl_wrapped_configILNS1_25lookback_scan_determinismE0ES3_S9_NS6_6detail15normal_iteratorINS6_10device_ptrIjEEEENSD_INSE_IxEEEENS6_16discard_iteratorINS6_11use_defaultEEESI_PmS8_NS6_8equal_toIjEEEE10hipError_tPvRmT2_T3_mT4_T5_T6_T7_T8_P12ihipStream_tbENKUlT_T0_E_clISt17integral_constantIbLb0EES16_EEDaS11_S12_EUlS11_E_NS1_11comp_targetILNS1_3genE10ELNS1_11target_archE1200ELNS1_3gpuE4ELNS1_3repE0EEENS1_30default_config_static_selectorELNS0_4arch9wavefront6targetE1EEEvT1_
                                        ; -- End function
	.section	.AMDGPU.csdata,"",@progbits
; Kernel info:
; codeLenInByte = 0
; NumSgprs: 4
; NumVgprs: 0
; NumAgprs: 0
; TotalNumVgprs: 0
; ScratchSize: 0
; MemoryBound: 0
; FloatMode: 240
; IeeeMode: 1
; LDSByteSize: 0 bytes/workgroup (compile time only)
; SGPRBlocks: 0
; VGPRBlocks: 0
; NumSGPRsForWavesPerEU: 4
; NumVGPRsForWavesPerEU: 1
; AccumOffset: 4
; Occupancy: 8
; WaveLimiterHint : 0
; COMPUTE_PGM_RSRC2:SCRATCH_EN: 0
; COMPUTE_PGM_RSRC2:USER_SGPR: 6
; COMPUTE_PGM_RSRC2:TRAP_HANDLER: 0
; COMPUTE_PGM_RSRC2:TGID_X_EN: 1
; COMPUTE_PGM_RSRC2:TGID_Y_EN: 0
; COMPUTE_PGM_RSRC2:TGID_Z_EN: 0
; COMPUTE_PGM_RSRC2:TIDIG_COMP_CNT: 0
; COMPUTE_PGM_RSRC3_GFX90A:ACCUM_OFFSET: 0
; COMPUTE_PGM_RSRC3_GFX90A:TG_SPLIT: 0
	.section	.text._ZN7rocprim17ROCPRIM_400000_NS6detail17trampoline_kernelINS0_14default_configENS1_29reduce_by_key_config_selectorIjxN6thrust23THRUST_200600_302600_NS4plusIxEEEEZZNS1_33reduce_by_key_impl_wrapped_configILNS1_25lookback_scan_determinismE0ES3_S9_NS6_6detail15normal_iteratorINS6_10device_ptrIjEEEENSD_INSE_IxEEEENS6_16discard_iteratorINS6_11use_defaultEEESI_PmS8_NS6_8equal_toIjEEEE10hipError_tPvRmT2_T3_mT4_T5_T6_T7_T8_P12ihipStream_tbENKUlT_T0_E_clISt17integral_constantIbLb0EES16_EEDaS11_S12_EUlS11_E_NS1_11comp_targetILNS1_3genE9ELNS1_11target_archE1100ELNS1_3gpuE3ELNS1_3repE0EEENS1_30default_config_static_selectorELNS0_4arch9wavefront6targetE1EEEvT1_,"axG",@progbits,_ZN7rocprim17ROCPRIM_400000_NS6detail17trampoline_kernelINS0_14default_configENS1_29reduce_by_key_config_selectorIjxN6thrust23THRUST_200600_302600_NS4plusIxEEEEZZNS1_33reduce_by_key_impl_wrapped_configILNS1_25lookback_scan_determinismE0ES3_S9_NS6_6detail15normal_iteratorINS6_10device_ptrIjEEEENSD_INSE_IxEEEENS6_16discard_iteratorINS6_11use_defaultEEESI_PmS8_NS6_8equal_toIjEEEE10hipError_tPvRmT2_T3_mT4_T5_T6_T7_T8_P12ihipStream_tbENKUlT_T0_E_clISt17integral_constantIbLb0EES16_EEDaS11_S12_EUlS11_E_NS1_11comp_targetILNS1_3genE9ELNS1_11target_archE1100ELNS1_3gpuE3ELNS1_3repE0EEENS1_30default_config_static_selectorELNS0_4arch9wavefront6targetE1EEEvT1_,comdat
	.protected	_ZN7rocprim17ROCPRIM_400000_NS6detail17trampoline_kernelINS0_14default_configENS1_29reduce_by_key_config_selectorIjxN6thrust23THRUST_200600_302600_NS4plusIxEEEEZZNS1_33reduce_by_key_impl_wrapped_configILNS1_25lookback_scan_determinismE0ES3_S9_NS6_6detail15normal_iteratorINS6_10device_ptrIjEEEENSD_INSE_IxEEEENS6_16discard_iteratorINS6_11use_defaultEEESI_PmS8_NS6_8equal_toIjEEEE10hipError_tPvRmT2_T3_mT4_T5_T6_T7_T8_P12ihipStream_tbENKUlT_T0_E_clISt17integral_constantIbLb0EES16_EEDaS11_S12_EUlS11_E_NS1_11comp_targetILNS1_3genE9ELNS1_11target_archE1100ELNS1_3gpuE3ELNS1_3repE0EEENS1_30default_config_static_selectorELNS0_4arch9wavefront6targetE1EEEvT1_ ; -- Begin function _ZN7rocprim17ROCPRIM_400000_NS6detail17trampoline_kernelINS0_14default_configENS1_29reduce_by_key_config_selectorIjxN6thrust23THRUST_200600_302600_NS4plusIxEEEEZZNS1_33reduce_by_key_impl_wrapped_configILNS1_25lookback_scan_determinismE0ES3_S9_NS6_6detail15normal_iteratorINS6_10device_ptrIjEEEENSD_INSE_IxEEEENS6_16discard_iteratorINS6_11use_defaultEEESI_PmS8_NS6_8equal_toIjEEEE10hipError_tPvRmT2_T3_mT4_T5_T6_T7_T8_P12ihipStream_tbENKUlT_T0_E_clISt17integral_constantIbLb0EES16_EEDaS11_S12_EUlS11_E_NS1_11comp_targetILNS1_3genE9ELNS1_11target_archE1100ELNS1_3gpuE3ELNS1_3repE0EEENS1_30default_config_static_selectorELNS0_4arch9wavefront6targetE1EEEvT1_
	.globl	_ZN7rocprim17ROCPRIM_400000_NS6detail17trampoline_kernelINS0_14default_configENS1_29reduce_by_key_config_selectorIjxN6thrust23THRUST_200600_302600_NS4plusIxEEEEZZNS1_33reduce_by_key_impl_wrapped_configILNS1_25lookback_scan_determinismE0ES3_S9_NS6_6detail15normal_iteratorINS6_10device_ptrIjEEEENSD_INSE_IxEEEENS6_16discard_iteratorINS6_11use_defaultEEESI_PmS8_NS6_8equal_toIjEEEE10hipError_tPvRmT2_T3_mT4_T5_T6_T7_T8_P12ihipStream_tbENKUlT_T0_E_clISt17integral_constantIbLb0EES16_EEDaS11_S12_EUlS11_E_NS1_11comp_targetILNS1_3genE9ELNS1_11target_archE1100ELNS1_3gpuE3ELNS1_3repE0EEENS1_30default_config_static_selectorELNS0_4arch9wavefront6targetE1EEEvT1_
	.p2align	8
	.type	_ZN7rocprim17ROCPRIM_400000_NS6detail17trampoline_kernelINS0_14default_configENS1_29reduce_by_key_config_selectorIjxN6thrust23THRUST_200600_302600_NS4plusIxEEEEZZNS1_33reduce_by_key_impl_wrapped_configILNS1_25lookback_scan_determinismE0ES3_S9_NS6_6detail15normal_iteratorINS6_10device_ptrIjEEEENSD_INSE_IxEEEENS6_16discard_iteratorINS6_11use_defaultEEESI_PmS8_NS6_8equal_toIjEEEE10hipError_tPvRmT2_T3_mT4_T5_T6_T7_T8_P12ihipStream_tbENKUlT_T0_E_clISt17integral_constantIbLb0EES16_EEDaS11_S12_EUlS11_E_NS1_11comp_targetILNS1_3genE9ELNS1_11target_archE1100ELNS1_3gpuE3ELNS1_3repE0EEENS1_30default_config_static_selectorELNS0_4arch9wavefront6targetE1EEEvT1_,@function
_ZN7rocprim17ROCPRIM_400000_NS6detail17trampoline_kernelINS0_14default_configENS1_29reduce_by_key_config_selectorIjxN6thrust23THRUST_200600_302600_NS4plusIxEEEEZZNS1_33reduce_by_key_impl_wrapped_configILNS1_25lookback_scan_determinismE0ES3_S9_NS6_6detail15normal_iteratorINS6_10device_ptrIjEEEENSD_INSE_IxEEEENS6_16discard_iteratorINS6_11use_defaultEEESI_PmS8_NS6_8equal_toIjEEEE10hipError_tPvRmT2_T3_mT4_T5_T6_T7_T8_P12ihipStream_tbENKUlT_T0_E_clISt17integral_constantIbLb0EES16_EEDaS11_S12_EUlS11_E_NS1_11comp_targetILNS1_3genE9ELNS1_11target_archE1100ELNS1_3gpuE3ELNS1_3repE0EEENS1_30default_config_static_selectorELNS0_4arch9wavefront6targetE1EEEvT1_: ; @_ZN7rocprim17ROCPRIM_400000_NS6detail17trampoline_kernelINS0_14default_configENS1_29reduce_by_key_config_selectorIjxN6thrust23THRUST_200600_302600_NS4plusIxEEEEZZNS1_33reduce_by_key_impl_wrapped_configILNS1_25lookback_scan_determinismE0ES3_S9_NS6_6detail15normal_iteratorINS6_10device_ptrIjEEEENSD_INSE_IxEEEENS6_16discard_iteratorINS6_11use_defaultEEESI_PmS8_NS6_8equal_toIjEEEE10hipError_tPvRmT2_T3_mT4_T5_T6_T7_T8_P12ihipStream_tbENKUlT_T0_E_clISt17integral_constantIbLb0EES16_EEDaS11_S12_EUlS11_E_NS1_11comp_targetILNS1_3genE9ELNS1_11target_archE1100ELNS1_3gpuE3ELNS1_3repE0EEENS1_30default_config_static_selectorELNS0_4arch9wavefront6targetE1EEEvT1_
; %bb.0:
	.section	.rodata,"a",@progbits
	.p2align	6, 0x0
	.amdhsa_kernel _ZN7rocprim17ROCPRIM_400000_NS6detail17trampoline_kernelINS0_14default_configENS1_29reduce_by_key_config_selectorIjxN6thrust23THRUST_200600_302600_NS4plusIxEEEEZZNS1_33reduce_by_key_impl_wrapped_configILNS1_25lookback_scan_determinismE0ES3_S9_NS6_6detail15normal_iteratorINS6_10device_ptrIjEEEENSD_INSE_IxEEEENS6_16discard_iteratorINS6_11use_defaultEEESI_PmS8_NS6_8equal_toIjEEEE10hipError_tPvRmT2_T3_mT4_T5_T6_T7_T8_P12ihipStream_tbENKUlT_T0_E_clISt17integral_constantIbLb0EES16_EEDaS11_S12_EUlS11_E_NS1_11comp_targetILNS1_3genE9ELNS1_11target_archE1100ELNS1_3gpuE3ELNS1_3repE0EEENS1_30default_config_static_selectorELNS0_4arch9wavefront6targetE1EEEvT1_
		.amdhsa_group_segment_fixed_size 0
		.amdhsa_private_segment_fixed_size 0
		.amdhsa_kernarg_size 144
		.amdhsa_user_sgpr_count 6
		.amdhsa_user_sgpr_private_segment_buffer 1
		.amdhsa_user_sgpr_dispatch_ptr 0
		.amdhsa_user_sgpr_queue_ptr 0
		.amdhsa_user_sgpr_kernarg_segment_ptr 1
		.amdhsa_user_sgpr_dispatch_id 0
		.amdhsa_user_sgpr_flat_scratch_init 0
		.amdhsa_user_sgpr_kernarg_preload_length 0
		.amdhsa_user_sgpr_kernarg_preload_offset 0
		.amdhsa_user_sgpr_private_segment_size 0
		.amdhsa_uses_dynamic_stack 0
		.amdhsa_system_sgpr_private_segment_wavefront_offset 0
		.amdhsa_system_sgpr_workgroup_id_x 1
		.amdhsa_system_sgpr_workgroup_id_y 0
		.amdhsa_system_sgpr_workgroup_id_z 0
		.amdhsa_system_sgpr_workgroup_info 0
		.amdhsa_system_vgpr_workitem_id 0
		.amdhsa_next_free_vgpr 1
		.amdhsa_next_free_sgpr 0
		.amdhsa_accum_offset 4
		.amdhsa_reserve_vcc 0
		.amdhsa_reserve_flat_scratch 0
		.amdhsa_float_round_mode_32 0
		.amdhsa_float_round_mode_16_64 0
		.amdhsa_float_denorm_mode_32 3
		.amdhsa_float_denorm_mode_16_64 3
		.amdhsa_dx10_clamp 1
		.amdhsa_ieee_mode 1
		.amdhsa_fp16_overflow 0
		.amdhsa_tg_split 0
		.amdhsa_exception_fp_ieee_invalid_op 0
		.amdhsa_exception_fp_denorm_src 0
		.amdhsa_exception_fp_ieee_div_zero 0
		.amdhsa_exception_fp_ieee_overflow 0
		.amdhsa_exception_fp_ieee_underflow 0
		.amdhsa_exception_fp_ieee_inexact 0
		.amdhsa_exception_int_div_zero 0
	.end_amdhsa_kernel
	.section	.text._ZN7rocprim17ROCPRIM_400000_NS6detail17trampoline_kernelINS0_14default_configENS1_29reduce_by_key_config_selectorIjxN6thrust23THRUST_200600_302600_NS4plusIxEEEEZZNS1_33reduce_by_key_impl_wrapped_configILNS1_25lookback_scan_determinismE0ES3_S9_NS6_6detail15normal_iteratorINS6_10device_ptrIjEEEENSD_INSE_IxEEEENS6_16discard_iteratorINS6_11use_defaultEEESI_PmS8_NS6_8equal_toIjEEEE10hipError_tPvRmT2_T3_mT4_T5_T6_T7_T8_P12ihipStream_tbENKUlT_T0_E_clISt17integral_constantIbLb0EES16_EEDaS11_S12_EUlS11_E_NS1_11comp_targetILNS1_3genE9ELNS1_11target_archE1100ELNS1_3gpuE3ELNS1_3repE0EEENS1_30default_config_static_selectorELNS0_4arch9wavefront6targetE1EEEvT1_,"axG",@progbits,_ZN7rocprim17ROCPRIM_400000_NS6detail17trampoline_kernelINS0_14default_configENS1_29reduce_by_key_config_selectorIjxN6thrust23THRUST_200600_302600_NS4plusIxEEEEZZNS1_33reduce_by_key_impl_wrapped_configILNS1_25lookback_scan_determinismE0ES3_S9_NS6_6detail15normal_iteratorINS6_10device_ptrIjEEEENSD_INSE_IxEEEENS6_16discard_iteratorINS6_11use_defaultEEESI_PmS8_NS6_8equal_toIjEEEE10hipError_tPvRmT2_T3_mT4_T5_T6_T7_T8_P12ihipStream_tbENKUlT_T0_E_clISt17integral_constantIbLb0EES16_EEDaS11_S12_EUlS11_E_NS1_11comp_targetILNS1_3genE9ELNS1_11target_archE1100ELNS1_3gpuE3ELNS1_3repE0EEENS1_30default_config_static_selectorELNS0_4arch9wavefront6targetE1EEEvT1_,comdat
.Lfunc_end992:
	.size	_ZN7rocprim17ROCPRIM_400000_NS6detail17trampoline_kernelINS0_14default_configENS1_29reduce_by_key_config_selectorIjxN6thrust23THRUST_200600_302600_NS4plusIxEEEEZZNS1_33reduce_by_key_impl_wrapped_configILNS1_25lookback_scan_determinismE0ES3_S9_NS6_6detail15normal_iteratorINS6_10device_ptrIjEEEENSD_INSE_IxEEEENS6_16discard_iteratorINS6_11use_defaultEEESI_PmS8_NS6_8equal_toIjEEEE10hipError_tPvRmT2_T3_mT4_T5_T6_T7_T8_P12ihipStream_tbENKUlT_T0_E_clISt17integral_constantIbLb0EES16_EEDaS11_S12_EUlS11_E_NS1_11comp_targetILNS1_3genE9ELNS1_11target_archE1100ELNS1_3gpuE3ELNS1_3repE0EEENS1_30default_config_static_selectorELNS0_4arch9wavefront6targetE1EEEvT1_, .Lfunc_end992-_ZN7rocprim17ROCPRIM_400000_NS6detail17trampoline_kernelINS0_14default_configENS1_29reduce_by_key_config_selectorIjxN6thrust23THRUST_200600_302600_NS4plusIxEEEEZZNS1_33reduce_by_key_impl_wrapped_configILNS1_25lookback_scan_determinismE0ES3_S9_NS6_6detail15normal_iteratorINS6_10device_ptrIjEEEENSD_INSE_IxEEEENS6_16discard_iteratorINS6_11use_defaultEEESI_PmS8_NS6_8equal_toIjEEEE10hipError_tPvRmT2_T3_mT4_T5_T6_T7_T8_P12ihipStream_tbENKUlT_T0_E_clISt17integral_constantIbLb0EES16_EEDaS11_S12_EUlS11_E_NS1_11comp_targetILNS1_3genE9ELNS1_11target_archE1100ELNS1_3gpuE3ELNS1_3repE0EEENS1_30default_config_static_selectorELNS0_4arch9wavefront6targetE1EEEvT1_
                                        ; -- End function
	.section	.AMDGPU.csdata,"",@progbits
; Kernel info:
; codeLenInByte = 0
; NumSgprs: 4
; NumVgprs: 0
; NumAgprs: 0
; TotalNumVgprs: 0
; ScratchSize: 0
; MemoryBound: 0
; FloatMode: 240
; IeeeMode: 1
; LDSByteSize: 0 bytes/workgroup (compile time only)
; SGPRBlocks: 0
; VGPRBlocks: 0
; NumSGPRsForWavesPerEU: 4
; NumVGPRsForWavesPerEU: 1
; AccumOffset: 4
; Occupancy: 8
; WaveLimiterHint : 0
; COMPUTE_PGM_RSRC2:SCRATCH_EN: 0
; COMPUTE_PGM_RSRC2:USER_SGPR: 6
; COMPUTE_PGM_RSRC2:TRAP_HANDLER: 0
; COMPUTE_PGM_RSRC2:TGID_X_EN: 1
; COMPUTE_PGM_RSRC2:TGID_Y_EN: 0
; COMPUTE_PGM_RSRC2:TGID_Z_EN: 0
; COMPUTE_PGM_RSRC2:TIDIG_COMP_CNT: 0
; COMPUTE_PGM_RSRC3_GFX90A:ACCUM_OFFSET: 0
; COMPUTE_PGM_RSRC3_GFX90A:TG_SPLIT: 0
	.section	.text._ZN7rocprim17ROCPRIM_400000_NS6detail17trampoline_kernelINS0_14default_configENS1_29reduce_by_key_config_selectorIjxN6thrust23THRUST_200600_302600_NS4plusIxEEEEZZNS1_33reduce_by_key_impl_wrapped_configILNS1_25lookback_scan_determinismE0ES3_S9_NS6_6detail15normal_iteratorINS6_10device_ptrIjEEEENSD_INSE_IxEEEENS6_16discard_iteratorINS6_11use_defaultEEESI_PmS8_NS6_8equal_toIjEEEE10hipError_tPvRmT2_T3_mT4_T5_T6_T7_T8_P12ihipStream_tbENKUlT_T0_E_clISt17integral_constantIbLb0EES16_EEDaS11_S12_EUlS11_E_NS1_11comp_targetILNS1_3genE8ELNS1_11target_archE1030ELNS1_3gpuE2ELNS1_3repE0EEENS1_30default_config_static_selectorELNS0_4arch9wavefront6targetE1EEEvT1_,"axG",@progbits,_ZN7rocprim17ROCPRIM_400000_NS6detail17trampoline_kernelINS0_14default_configENS1_29reduce_by_key_config_selectorIjxN6thrust23THRUST_200600_302600_NS4plusIxEEEEZZNS1_33reduce_by_key_impl_wrapped_configILNS1_25lookback_scan_determinismE0ES3_S9_NS6_6detail15normal_iteratorINS6_10device_ptrIjEEEENSD_INSE_IxEEEENS6_16discard_iteratorINS6_11use_defaultEEESI_PmS8_NS6_8equal_toIjEEEE10hipError_tPvRmT2_T3_mT4_T5_T6_T7_T8_P12ihipStream_tbENKUlT_T0_E_clISt17integral_constantIbLb0EES16_EEDaS11_S12_EUlS11_E_NS1_11comp_targetILNS1_3genE8ELNS1_11target_archE1030ELNS1_3gpuE2ELNS1_3repE0EEENS1_30default_config_static_selectorELNS0_4arch9wavefront6targetE1EEEvT1_,comdat
	.protected	_ZN7rocprim17ROCPRIM_400000_NS6detail17trampoline_kernelINS0_14default_configENS1_29reduce_by_key_config_selectorIjxN6thrust23THRUST_200600_302600_NS4plusIxEEEEZZNS1_33reduce_by_key_impl_wrapped_configILNS1_25lookback_scan_determinismE0ES3_S9_NS6_6detail15normal_iteratorINS6_10device_ptrIjEEEENSD_INSE_IxEEEENS6_16discard_iteratorINS6_11use_defaultEEESI_PmS8_NS6_8equal_toIjEEEE10hipError_tPvRmT2_T3_mT4_T5_T6_T7_T8_P12ihipStream_tbENKUlT_T0_E_clISt17integral_constantIbLb0EES16_EEDaS11_S12_EUlS11_E_NS1_11comp_targetILNS1_3genE8ELNS1_11target_archE1030ELNS1_3gpuE2ELNS1_3repE0EEENS1_30default_config_static_selectorELNS0_4arch9wavefront6targetE1EEEvT1_ ; -- Begin function _ZN7rocprim17ROCPRIM_400000_NS6detail17trampoline_kernelINS0_14default_configENS1_29reduce_by_key_config_selectorIjxN6thrust23THRUST_200600_302600_NS4plusIxEEEEZZNS1_33reduce_by_key_impl_wrapped_configILNS1_25lookback_scan_determinismE0ES3_S9_NS6_6detail15normal_iteratorINS6_10device_ptrIjEEEENSD_INSE_IxEEEENS6_16discard_iteratorINS6_11use_defaultEEESI_PmS8_NS6_8equal_toIjEEEE10hipError_tPvRmT2_T3_mT4_T5_T6_T7_T8_P12ihipStream_tbENKUlT_T0_E_clISt17integral_constantIbLb0EES16_EEDaS11_S12_EUlS11_E_NS1_11comp_targetILNS1_3genE8ELNS1_11target_archE1030ELNS1_3gpuE2ELNS1_3repE0EEENS1_30default_config_static_selectorELNS0_4arch9wavefront6targetE1EEEvT1_
	.globl	_ZN7rocprim17ROCPRIM_400000_NS6detail17trampoline_kernelINS0_14default_configENS1_29reduce_by_key_config_selectorIjxN6thrust23THRUST_200600_302600_NS4plusIxEEEEZZNS1_33reduce_by_key_impl_wrapped_configILNS1_25lookback_scan_determinismE0ES3_S9_NS6_6detail15normal_iteratorINS6_10device_ptrIjEEEENSD_INSE_IxEEEENS6_16discard_iteratorINS6_11use_defaultEEESI_PmS8_NS6_8equal_toIjEEEE10hipError_tPvRmT2_T3_mT4_T5_T6_T7_T8_P12ihipStream_tbENKUlT_T0_E_clISt17integral_constantIbLb0EES16_EEDaS11_S12_EUlS11_E_NS1_11comp_targetILNS1_3genE8ELNS1_11target_archE1030ELNS1_3gpuE2ELNS1_3repE0EEENS1_30default_config_static_selectorELNS0_4arch9wavefront6targetE1EEEvT1_
	.p2align	8
	.type	_ZN7rocprim17ROCPRIM_400000_NS6detail17trampoline_kernelINS0_14default_configENS1_29reduce_by_key_config_selectorIjxN6thrust23THRUST_200600_302600_NS4plusIxEEEEZZNS1_33reduce_by_key_impl_wrapped_configILNS1_25lookback_scan_determinismE0ES3_S9_NS6_6detail15normal_iteratorINS6_10device_ptrIjEEEENSD_INSE_IxEEEENS6_16discard_iteratorINS6_11use_defaultEEESI_PmS8_NS6_8equal_toIjEEEE10hipError_tPvRmT2_T3_mT4_T5_T6_T7_T8_P12ihipStream_tbENKUlT_T0_E_clISt17integral_constantIbLb0EES16_EEDaS11_S12_EUlS11_E_NS1_11comp_targetILNS1_3genE8ELNS1_11target_archE1030ELNS1_3gpuE2ELNS1_3repE0EEENS1_30default_config_static_selectorELNS0_4arch9wavefront6targetE1EEEvT1_,@function
_ZN7rocprim17ROCPRIM_400000_NS6detail17trampoline_kernelINS0_14default_configENS1_29reduce_by_key_config_selectorIjxN6thrust23THRUST_200600_302600_NS4plusIxEEEEZZNS1_33reduce_by_key_impl_wrapped_configILNS1_25lookback_scan_determinismE0ES3_S9_NS6_6detail15normal_iteratorINS6_10device_ptrIjEEEENSD_INSE_IxEEEENS6_16discard_iteratorINS6_11use_defaultEEESI_PmS8_NS6_8equal_toIjEEEE10hipError_tPvRmT2_T3_mT4_T5_T6_T7_T8_P12ihipStream_tbENKUlT_T0_E_clISt17integral_constantIbLb0EES16_EEDaS11_S12_EUlS11_E_NS1_11comp_targetILNS1_3genE8ELNS1_11target_archE1030ELNS1_3gpuE2ELNS1_3repE0EEENS1_30default_config_static_selectorELNS0_4arch9wavefront6targetE1EEEvT1_: ; @_ZN7rocprim17ROCPRIM_400000_NS6detail17trampoline_kernelINS0_14default_configENS1_29reduce_by_key_config_selectorIjxN6thrust23THRUST_200600_302600_NS4plusIxEEEEZZNS1_33reduce_by_key_impl_wrapped_configILNS1_25lookback_scan_determinismE0ES3_S9_NS6_6detail15normal_iteratorINS6_10device_ptrIjEEEENSD_INSE_IxEEEENS6_16discard_iteratorINS6_11use_defaultEEESI_PmS8_NS6_8equal_toIjEEEE10hipError_tPvRmT2_T3_mT4_T5_T6_T7_T8_P12ihipStream_tbENKUlT_T0_E_clISt17integral_constantIbLb0EES16_EEDaS11_S12_EUlS11_E_NS1_11comp_targetILNS1_3genE8ELNS1_11target_archE1030ELNS1_3gpuE2ELNS1_3repE0EEENS1_30default_config_static_selectorELNS0_4arch9wavefront6targetE1EEEvT1_
; %bb.0:
	.section	.rodata,"a",@progbits
	.p2align	6, 0x0
	.amdhsa_kernel _ZN7rocprim17ROCPRIM_400000_NS6detail17trampoline_kernelINS0_14default_configENS1_29reduce_by_key_config_selectorIjxN6thrust23THRUST_200600_302600_NS4plusIxEEEEZZNS1_33reduce_by_key_impl_wrapped_configILNS1_25lookback_scan_determinismE0ES3_S9_NS6_6detail15normal_iteratorINS6_10device_ptrIjEEEENSD_INSE_IxEEEENS6_16discard_iteratorINS6_11use_defaultEEESI_PmS8_NS6_8equal_toIjEEEE10hipError_tPvRmT2_T3_mT4_T5_T6_T7_T8_P12ihipStream_tbENKUlT_T0_E_clISt17integral_constantIbLb0EES16_EEDaS11_S12_EUlS11_E_NS1_11comp_targetILNS1_3genE8ELNS1_11target_archE1030ELNS1_3gpuE2ELNS1_3repE0EEENS1_30default_config_static_selectorELNS0_4arch9wavefront6targetE1EEEvT1_
		.amdhsa_group_segment_fixed_size 0
		.amdhsa_private_segment_fixed_size 0
		.amdhsa_kernarg_size 144
		.amdhsa_user_sgpr_count 6
		.amdhsa_user_sgpr_private_segment_buffer 1
		.amdhsa_user_sgpr_dispatch_ptr 0
		.amdhsa_user_sgpr_queue_ptr 0
		.amdhsa_user_sgpr_kernarg_segment_ptr 1
		.amdhsa_user_sgpr_dispatch_id 0
		.amdhsa_user_sgpr_flat_scratch_init 0
		.amdhsa_user_sgpr_kernarg_preload_length 0
		.amdhsa_user_sgpr_kernarg_preload_offset 0
		.amdhsa_user_sgpr_private_segment_size 0
		.amdhsa_uses_dynamic_stack 0
		.amdhsa_system_sgpr_private_segment_wavefront_offset 0
		.amdhsa_system_sgpr_workgroup_id_x 1
		.amdhsa_system_sgpr_workgroup_id_y 0
		.amdhsa_system_sgpr_workgroup_id_z 0
		.amdhsa_system_sgpr_workgroup_info 0
		.amdhsa_system_vgpr_workitem_id 0
		.amdhsa_next_free_vgpr 1
		.amdhsa_next_free_sgpr 0
		.amdhsa_accum_offset 4
		.amdhsa_reserve_vcc 0
		.amdhsa_reserve_flat_scratch 0
		.amdhsa_float_round_mode_32 0
		.amdhsa_float_round_mode_16_64 0
		.amdhsa_float_denorm_mode_32 3
		.amdhsa_float_denorm_mode_16_64 3
		.amdhsa_dx10_clamp 1
		.amdhsa_ieee_mode 1
		.amdhsa_fp16_overflow 0
		.amdhsa_tg_split 0
		.amdhsa_exception_fp_ieee_invalid_op 0
		.amdhsa_exception_fp_denorm_src 0
		.amdhsa_exception_fp_ieee_div_zero 0
		.amdhsa_exception_fp_ieee_overflow 0
		.amdhsa_exception_fp_ieee_underflow 0
		.amdhsa_exception_fp_ieee_inexact 0
		.amdhsa_exception_int_div_zero 0
	.end_amdhsa_kernel
	.section	.text._ZN7rocprim17ROCPRIM_400000_NS6detail17trampoline_kernelINS0_14default_configENS1_29reduce_by_key_config_selectorIjxN6thrust23THRUST_200600_302600_NS4plusIxEEEEZZNS1_33reduce_by_key_impl_wrapped_configILNS1_25lookback_scan_determinismE0ES3_S9_NS6_6detail15normal_iteratorINS6_10device_ptrIjEEEENSD_INSE_IxEEEENS6_16discard_iteratorINS6_11use_defaultEEESI_PmS8_NS6_8equal_toIjEEEE10hipError_tPvRmT2_T3_mT4_T5_T6_T7_T8_P12ihipStream_tbENKUlT_T0_E_clISt17integral_constantIbLb0EES16_EEDaS11_S12_EUlS11_E_NS1_11comp_targetILNS1_3genE8ELNS1_11target_archE1030ELNS1_3gpuE2ELNS1_3repE0EEENS1_30default_config_static_selectorELNS0_4arch9wavefront6targetE1EEEvT1_,"axG",@progbits,_ZN7rocprim17ROCPRIM_400000_NS6detail17trampoline_kernelINS0_14default_configENS1_29reduce_by_key_config_selectorIjxN6thrust23THRUST_200600_302600_NS4plusIxEEEEZZNS1_33reduce_by_key_impl_wrapped_configILNS1_25lookback_scan_determinismE0ES3_S9_NS6_6detail15normal_iteratorINS6_10device_ptrIjEEEENSD_INSE_IxEEEENS6_16discard_iteratorINS6_11use_defaultEEESI_PmS8_NS6_8equal_toIjEEEE10hipError_tPvRmT2_T3_mT4_T5_T6_T7_T8_P12ihipStream_tbENKUlT_T0_E_clISt17integral_constantIbLb0EES16_EEDaS11_S12_EUlS11_E_NS1_11comp_targetILNS1_3genE8ELNS1_11target_archE1030ELNS1_3gpuE2ELNS1_3repE0EEENS1_30default_config_static_selectorELNS0_4arch9wavefront6targetE1EEEvT1_,comdat
.Lfunc_end993:
	.size	_ZN7rocprim17ROCPRIM_400000_NS6detail17trampoline_kernelINS0_14default_configENS1_29reduce_by_key_config_selectorIjxN6thrust23THRUST_200600_302600_NS4plusIxEEEEZZNS1_33reduce_by_key_impl_wrapped_configILNS1_25lookback_scan_determinismE0ES3_S9_NS6_6detail15normal_iteratorINS6_10device_ptrIjEEEENSD_INSE_IxEEEENS6_16discard_iteratorINS6_11use_defaultEEESI_PmS8_NS6_8equal_toIjEEEE10hipError_tPvRmT2_T3_mT4_T5_T6_T7_T8_P12ihipStream_tbENKUlT_T0_E_clISt17integral_constantIbLb0EES16_EEDaS11_S12_EUlS11_E_NS1_11comp_targetILNS1_3genE8ELNS1_11target_archE1030ELNS1_3gpuE2ELNS1_3repE0EEENS1_30default_config_static_selectorELNS0_4arch9wavefront6targetE1EEEvT1_, .Lfunc_end993-_ZN7rocprim17ROCPRIM_400000_NS6detail17trampoline_kernelINS0_14default_configENS1_29reduce_by_key_config_selectorIjxN6thrust23THRUST_200600_302600_NS4plusIxEEEEZZNS1_33reduce_by_key_impl_wrapped_configILNS1_25lookback_scan_determinismE0ES3_S9_NS6_6detail15normal_iteratorINS6_10device_ptrIjEEEENSD_INSE_IxEEEENS6_16discard_iteratorINS6_11use_defaultEEESI_PmS8_NS6_8equal_toIjEEEE10hipError_tPvRmT2_T3_mT4_T5_T6_T7_T8_P12ihipStream_tbENKUlT_T0_E_clISt17integral_constantIbLb0EES16_EEDaS11_S12_EUlS11_E_NS1_11comp_targetILNS1_3genE8ELNS1_11target_archE1030ELNS1_3gpuE2ELNS1_3repE0EEENS1_30default_config_static_selectorELNS0_4arch9wavefront6targetE1EEEvT1_
                                        ; -- End function
	.section	.AMDGPU.csdata,"",@progbits
; Kernel info:
; codeLenInByte = 0
; NumSgprs: 4
; NumVgprs: 0
; NumAgprs: 0
; TotalNumVgprs: 0
; ScratchSize: 0
; MemoryBound: 0
; FloatMode: 240
; IeeeMode: 1
; LDSByteSize: 0 bytes/workgroup (compile time only)
; SGPRBlocks: 0
; VGPRBlocks: 0
; NumSGPRsForWavesPerEU: 4
; NumVGPRsForWavesPerEU: 1
; AccumOffset: 4
; Occupancy: 8
; WaveLimiterHint : 0
; COMPUTE_PGM_RSRC2:SCRATCH_EN: 0
; COMPUTE_PGM_RSRC2:USER_SGPR: 6
; COMPUTE_PGM_RSRC2:TRAP_HANDLER: 0
; COMPUTE_PGM_RSRC2:TGID_X_EN: 1
; COMPUTE_PGM_RSRC2:TGID_Y_EN: 0
; COMPUTE_PGM_RSRC2:TGID_Z_EN: 0
; COMPUTE_PGM_RSRC2:TIDIG_COMP_CNT: 0
; COMPUTE_PGM_RSRC3_GFX90A:ACCUM_OFFSET: 0
; COMPUTE_PGM_RSRC3_GFX90A:TG_SPLIT: 0
	.section	.text._ZN7rocprim17ROCPRIM_400000_NS6detail17trampoline_kernelINS0_14default_configENS1_29reduce_by_key_config_selectorIjxN6thrust23THRUST_200600_302600_NS4plusIxEEEEZZNS1_33reduce_by_key_impl_wrapped_configILNS1_25lookback_scan_determinismE0ES3_S9_NS6_6detail15normal_iteratorINS6_10device_ptrIjEEEENSD_INSE_IxEEEENS6_16discard_iteratorINS6_11use_defaultEEESI_PmS8_NS6_8equal_toIjEEEE10hipError_tPvRmT2_T3_mT4_T5_T6_T7_T8_P12ihipStream_tbENKUlT_T0_E_clISt17integral_constantIbLb1EES16_EEDaS11_S12_EUlS11_E_NS1_11comp_targetILNS1_3genE0ELNS1_11target_archE4294967295ELNS1_3gpuE0ELNS1_3repE0EEENS1_30default_config_static_selectorELNS0_4arch9wavefront6targetE1EEEvT1_,"axG",@progbits,_ZN7rocprim17ROCPRIM_400000_NS6detail17trampoline_kernelINS0_14default_configENS1_29reduce_by_key_config_selectorIjxN6thrust23THRUST_200600_302600_NS4plusIxEEEEZZNS1_33reduce_by_key_impl_wrapped_configILNS1_25lookback_scan_determinismE0ES3_S9_NS6_6detail15normal_iteratorINS6_10device_ptrIjEEEENSD_INSE_IxEEEENS6_16discard_iteratorINS6_11use_defaultEEESI_PmS8_NS6_8equal_toIjEEEE10hipError_tPvRmT2_T3_mT4_T5_T6_T7_T8_P12ihipStream_tbENKUlT_T0_E_clISt17integral_constantIbLb1EES16_EEDaS11_S12_EUlS11_E_NS1_11comp_targetILNS1_3genE0ELNS1_11target_archE4294967295ELNS1_3gpuE0ELNS1_3repE0EEENS1_30default_config_static_selectorELNS0_4arch9wavefront6targetE1EEEvT1_,comdat
	.protected	_ZN7rocprim17ROCPRIM_400000_NS6detail17trampoline_kernelINS0_14default_configENS1_29reduce_by_key_config_selectorIjxN6thrust23THRUST_200600_302600_NS4plusIxEEEEZZNS1_33reduce_by_key_impl_wrapped_configILNS1_25lookback_scan_determinismE0ES3_S9_NS6_6detail15normal_iteratorINS6_10device_ptrIjEEEENSD_INSE_IxEEEENS6_16discard_iteratorINS6_11use_defaultEEESI_PmS8_NS6_8equal_toIjEEEE10hipError_tPvRmT2_T3_mT4_T5_T6_T7_T8_P12ihipStream_tbENKUlT_T0_E_clISt17integral_constantIbLb1EES16_EEDaS11_S12_EUlS11_E_NS1_11comp_targetILNS1_3genE0ELNS1_11target_archE4294967295ELNS1_3gpuE0ELNS1_3repE0EEENS1_30default_config_static_selectorELNS0_4arch9wavefront6targetE1EEEvT1_ ; -- Begin function _ZN7rocprim17ROCPRIM_400000_NS6detail17trampoline_kernelINS0_14default_configENS1_29reduce_by_key_config_selectorIjxN6thrust23THRUST_200600_302600_NS4plusIxEEEEZZNS1_33reduce_by_key_impl_wrapped_configILNS1_25lookback_scan_determinismE0ES3_S9_NS6_6detail15normal_iteratorINS6_10device_ptrIjEEEENSD_INSE_IxEEEENS6_16discard_iteratorINS6_11use_defaultEEESI_PmS8_NS6_8equal_toIjEEEE10hipError_tPvRmT2_T3_mT4_T5_T6_T7_T8_P12ihipStream_tbENKUlT_T0_E_clISt17integral_constantIbLb1EES16_EEDaS11_S12_EUlS11_E_NS1_11comp_targetILNS1_3genE0ELNS1_11target_archE4294967295ELNS1_3gpuE0ELNS1_3repE0EEENS1_30default_config_static_selectorELNS0_4arch9wavefront6targetE1EEEvT1_
	.globl	_ZN7rocprim17ROCPRIM_400000_NS6detail17trampoline_kernelINS0_14default_configENS1_29reduce_by_key_config_selectorIjxN6thrust23THRUST_200600_302600_NS4plusIxEEEEZZNS1_33reduce_by_key_impl_wrapped_configILNS1_25lookback_scan_determinismE0ES3_S9_NS6_6detail15normal_iteratorINS6_10device_ptrIjEEEENSD_INSE_IxEEEENS6_16discard_iteratorINS6_11use_defaultEEESI_PmS8_NS6_8equal_toIjEEEE10hipError_tPvRmT2_T3_mT4_T5_T6_T7_T8_P12ihipStream_tbENKUlT_T0_E_clISt17integral_constantIbLb1EES16_EEDaS11_S12_EUlS11_E_NS1_11comp_targetILNS1_3genE0ELNS1_11target_archE4294967295ELNS1_3gpuE0ELNS1_3repE0EEENS1_30default_config_static_selectorELNS0_4arch9wavefront6targetE1EEEvT1_
	.p2align	8
	.type	_ZN7rocprim17ROCPRIM_400000_NS6detail17trampoline_kernelINS0_14default_configENS1_29reduce_by_key_config_selectorIjxN6thrust23THRUST_200600_302600_NS4plusIxEEEEZZNS1_33reduce_by_key_impl_wrapped_configILNS1_25lookback_scan_determinismE0ES3_S9_NS6_6detail15normal_iteratorINS6_10device_ptrIjEEEENSD_INSE_IxEEEENS6_16discard_iteratorINS6_11use_defaultEEESI_PmS8_NS6_8equal_toIjEEEE10hipError_tPvRmT2_T3_mT4_T5_T6_T7_T8_P12ihipStream_tbENKUlT_T0_E_clISt17integral_constantIbLb1EES16_EEDaS11_S12_EUlS11_E_NS1_11comp_targetILNS1_3genE0ELNS1_11target_archE4294967295ELNS1_3gpuE0ELNS1_3repE0EEENS1_30default_config_static_selectorELNS0_4arch9wavefront6targetE1EEEvT1_,@function
_ZN7rocprim17ROCPRIM_400000_NS6detail17trampoline_kernelINS0_14default_configENS1_29reduce_by_key_config_selectorIjxN6thrust23THRUST_200600_302600_NS4plusIxEEEEZZNS1_33reduce_by_key_impl_wrapped_configILNS1_25lookback_scan_determinismE0ES3_S9_NS6_6detail15normal_iteratorINS6_10device_ptrIjEEEENSD_INSE_IxEEEENS6_16discard_iteratorINS6_11use_defaultEEESI_PmS8_NS6_8equal_toIjEEEE10hipError_tPvRmT2_T3_mT4_T5_T6_T7_T8_P12ihipStream_tbENKUlT_T0_E_clISt17integral_constantIbLb1EES16_EEDaS11_S12_EUlS11_E_NS1_11comp_targetILNS1_3genE0ELNS1_11target_archE4294967295ELNS1_3gpuE0ELNS1_3repE0EEENS1_30default_config_static_selectorELNS0_4arch9wavefront6targetE1EEEvT1_: ; @_ZN7rocprim17ROCPRIM_400000_NS6detail17trampoline_kernelINS0_14default_configENS1_29reduce_by_key_config_selectorIjxN6thrust23THRUST_200600_302600_NS4plusIxEEEEZZNS1_33reduce_by_key_impl_wrapped_configILNS1_25lookback_scan_determinismE0ES3_S9_NS6_6detail15normal_iteratorINS6_10device_ptrIjEEEENSD_INSE_IxEEEENS6_16discard_iteratorINS6_11use_defaultEEESI_PmS8_NS6_8equal_toIjEEEE10hipError_tPvRmT2_T3_mT4_T5_T6_T7_T8_P12ihipStream_tbENKUlT_T0_E_clISt17integral_constantIbLb1EES16_EEDaS11_S12_EUlS11_E_NS1_11comp_targetILNS1_3genE0ELNS1_11target_archE4294967295ELNS1_3gpuE0ELNS1_3repE0EEENS1_30default_config_static_selectorELNS0_4arch9wavefront6targetE1EEEvT1_
; %bb.0:
	.section	.rodata,"a",@progbits
	.p2align	6, 0x0
	.amdhsa_kernel _ZN7rocprim17ROCPRIM_400000_NS6detail17trampoline_kernelINS0_14default_configENS1_29reduce_by_key_config_selectorIjxN6thrust23THRUST_200600_302600_NS4plusIxEEEEZZNS1_33reduce_by_key_impl_wrapped_configILNS1_25lookback_scan_determinismE0ES3_S9_NS6_6detail15normal_iteratorINS6_10device_ptrIjEEEENSD_INSE_IxEEEENS6_16discard_iteratorINS6_11use_defaultEEESI_PmS8_NS6_8equal_toIjEEEE10hipError_tPvRmT2_T3_mT4_T5_T6_T7_T8_P12ihipStream_tbENKUlT_T0_E_clISt17integral_constantIbLb1EES16_EEDaS11_S12_EUlS11_E_NS1_11comp_targetILNS1_3genE0ELNS1_11target_archE4294967295ELNS1_3gpuE0ELNS1_3repE0EEENS1_30default_config_static_selectorELNS0_4arch9wavefront6targetE1EEEvT1_
		.amdhsa_group_segment_fixed_size 0
		.amdhsa_private_segment_fixed_size 0
		.amdhsa_kernarg_size 144
		.amdhsa_user_sgpr_count 6
		.amdhsa_user_sgpr_private_segment_buffer 1
		.amdhsa_user_sgpr_dispatch_ptr 0
		.amdhsa_user_sgpr_queue_ptr 0
		.amdhsa_user_sgpr_kernarg_segment_ptr 1
		.amdhsa_user_sgpr_dispatch_id 0
		.amdhsa_user_sgpr_flat_scratch_init 0
		.amdhsa_user_sgpr_kernarg_preload_length 0
		.amdhsa_user_sgpr_kernarg_preload_offset 0
		.amdhsa_user_sgpr_private_segment_size 0
		.amdhsa_uses_dynamic_stack 0
		.amdhsa_system_sgpr_private_segment_wavefront_offset 0
		.amdhsa_system_sgpr_workgroup_id_x 1
		.amdhsa_system_sgpr_workgroup_id_y 0
		.amdhsa_system_sgpr_workgroup_id_z 0
		.amdhsa_system_sgpr_workgroup_info 0
		.amdhsa_system_vgpr_workitem_id 0
		.amdhsa_next_free_vgpr 1
		.amdhsa_next_free_sgpr 0
		.amdhsa_accum_offset 4
		.amdhsa_reserve_vcc 0
		.amdhsa_reserve_flat_scratch 0
		.amdhsa_float_round_mode_32 0
		.amdhsa_float_round_mode_16_64 0
		.amdhsa_float_denorm_mode_32 3
		.amdhsa_float_denorm_mode_16_64 3
		.amdhsa_dx10_clamp 1
		.amdhsa_ieee_mode 1
		.amdhsa_fp16_overflow 0
		.amdhsa_tg_split 0
		.amdhsa_exception_fp_ieee_invalid_op 0
		.amdhsa_exception_fp_denorm_src 0
		.amdhsa_exception_fp_ieee_div_zero 0
		.amdhsa_exception_fp_ieee_overflow 0
		.amdhsa_exception_fp_ieee_underflow 0
		.amdhsa_exception_fp_ieee_inexact 0
		.amdhsa_exception_int_div_zero 0
	.end_amdhsa_kernel
	.section	.text._ZN7rocprim17ROCPRIM_400000_NS6detail17trampoline_kernelINS0_14default_configENS1_29reduce_by_key_config_selectorIjxN6thrust23THRUST_200600_302600_NS4plusIxEEEEZZNS1_33reduce_by_key_impl_wrapped_configILNS1_25lookback_scan_determinismE0ES3_S9_NS6_6detail15normal_iteratorINS6_10device_ptrIjEEEENSD_INSE_IxEEEENS6_16discard_iteratorINS6_11use_defaultEEESI_PmS8_NS6_8equal_toIjEEEE10hipError_tPvRmT2_T3_mT4_T5_T6_T7_T8_P12ihipStream_tbENKUlT_T0_E_clISt17integral_constantIbLb1EES16_EEDaS11_S12_EUlS11_E_NS1_11comp_targetILNS1_3genE0ELNS1_11target_archE4294967295ELNS1_3gpuE0ELNS1_3repE0EEENS1_30default_config_static_selectorELNS0_4arch9wavefront6targetE1EEEvT1_,"axG",@progbits,_ZN7rocprim17ROCPRIM_400000_NS6detail17trampoline_kernelINS0_14default_configENS1_29reduce_by_key_config_selectorIjxN6thrust23THRUST_200600_302600_NS4plusIxEEEEZZNS1_33reduce_by_key_impl_wrapped_configILNS1_25lookback_scan_determinismE0ES3_S9_NS6_6detail15normal_iteratorINS6_10device_ptrIjEEEENSD_INSE_IxEEEENS6_16discard_iteratorINS6_11use_defaultEEESI_PmS8_NS6_8equal_toIjEEEE10hipError_tPvRmT2_T3_mT4_T5_T6_T7_T8_P12ihipStream_tbENKUlT_T0_E_clISt17integral_constantIbLb1EES16_EEDaS11_S12_EUlS11_E_NS1_11comp_targetILNS1_3genE0ELNS1_11target_archE4294967295ELNS1_3gpuE0ELNS1_3repE0EEENS1_30default_config_static_selectorELNS0_4arch9wavefront6targetE1EEEvT1_,comdat
.Lfunc_end994:
	.size	_ZN7rocprim17ROCPRIM_400000_NS6detail17trampoline_kernelINS0_14default_configENS1_29reduce_by_key_config_selectorIjxN6thrust23THRUST_200600_302600_NS4plusIxEEEEZZNS1_33reduce_by_key_impl_wrapped_configILNS1_25lookback_scan_determinismE0ES3_S9_NS6_6detail15normal_iteratorINS6_10device_ptrIjEEEENSD_INSE_IxEEEENS6_16discard_iteratorINS6_11use_defaultEEESI_PmS8_NS6_8equal_toIjEEEE10hipError_tPvRmT2_T3_mT4_T5_T6_T7_T8_P12ihipStream_tbENKUlT_T0_E_clISt17integral_constantIbLb1EES16_EEDaS11_S12_EUlS11_E_NS1_11comp_targetILNS1_3genE0ELNS1_11target_archE4294967295ELNS1_3gpuE0ELNS1_3repE0EEENS1_30default_config_static_selectorELNS0_4arch9wavefront6targetE1EEEvT1_, .Lfunc_end994-_ZN7rocprim17ROCPRIM_400000_NS6detail17trampoline_kernelINS0_14default_configENS1_29reduce_by_key_config_selectorIjxN6thrust23THRUST_200600_302600_NS4plusIxEEEEZZNS1_33reduce_by_key_impl_wrapped_configILNS1_25lookback_scan_determinismE0ES3_S9_NS6_6detail15normal_iteratorINS6_10device_ptrIjEEEENSD_INSE_IxEEEENS6_16discard_iteratorINS6_11use_defaultEEESI_PmS8_NS6_8equal_toIjEEEE10hipError_tPvRmT2_T3_mT4_T5_T6_T7_T8_P12ihipStream_tbENKUlT_T0_E_clISt17integral_constantIbLb1EES16_EEDaS11_S12_EUlS11_E_NS1_11comp_targetILNS1_3genE0ELNS1_11target_archE4294967295ELNS1_3gpuE0ELNS1_3repE0EEENS1_30default_config_static_selectorELNS0_4arch9wavefront6targetE1EEEvT1_
                                        ; -- End function
	.section	.AMDGPU.csdata,"",@progbits
; Kernel info:
; codeLenInByte = 0
; NumSgprs: 4
; NumVgprs: 0
; NumAgprs: 0
; TotalNumVgprs: 0
; ScratchSize: 0
; MemoryBound: 0
; FloatMode: 240
; IeeeMode: 1
; LDSByteSize: 0 bytes/workgroup (compile time only)
; SGPRBlocks: 0
; VGPRBlocks: 0
; NumSGPRsForWavesPerEU: 4
; NumVGPRsForWavesPerEU: 1
; AccumOffset: 4
; Occupancy: 8
; WaveLimiterHint : 0
; COMPUTE_PGM_RSRC2:SCRATCH_EN: 0
; COMPUTE_PGM_RSRC2:USER_SGPR: 6
; COMPUTE_PGM_RSRC2:TRAP_HANDLER: 0
; COMPUTE_PGM_RSRC2:TGID_X_EN: 1
; COMPUTE_PGM_RSRC2:TGID_Y_EN: 0
; COMPUTE_PGM_RSRC2:TGID_Z_EN: 0
; COMPUTE_PGM_RSRC2:TIDIG_COMP_CNT: 0
; COMPUTE_PGM_RSRC3_GFX90A:ACCUM_OFFSET: 0
; COMPUTE_PGM_RSRC3_GFX90A:TG_SPLIT: 0
	.section	.text._ZN7rocprim17ROCPRIM_400000_NS6detail17trampoline_kernelINS0_14default_configENS1_29reduce_by_key_config_selectorIjxN6thrust23THRUST_200600_302600_NS4plusIxEEEEZZNS1_33reduce_by_key_impl_wrapped_configILNS1_25lookback_scan_determinismE0ES3_S9_NS6_6detail15normal_iteratorINS6_10device_ptrIjEEEENSD_INSE_IxEEEENS6_16discard_iteratorINS6_11use_defaultEEESI_PmS8_NS6_8equal_toIjEEEE10hipError_tPvRmT2_T3_mT4_T5_T6_T7_T8_P12ihipStream_tbENKUlT_T0_E_clISt17integral_constantIbLb1EES16_EEDaS11_S12_EUlS11_E_NS1_11comp_targetILNS1_3genE5ELNS1_11target_archE942ELNS1_3gpuE9ELNS1_3repE0EEENS1_30default_config_static_selectorELNS0_4arch9wavefront6targetE1EEEvT1_,"axG",@progbits,_ZN7rocprim17ROCPRIM_400000_NS6detail17trampoline_kernelINS0_14default_configENS1_29reduce_by_key_config_selectorIjxN6thrust23THRUST_200600_302600_NS4plusIxEEEEZZNS1_33reduce_by_key_impl_wrapped_configILNS1_25lookback_scan_determinismE0ES3_S9_NS6_6detail15normal_iteratorINS6_10device_ptrIjEEEENSD_INSE_IxEEEENS6_16discard_iteratorINS6_11use_defaultEEESI_PmS8_NS6_8equal_toIjEEEE10hipError_tPvRmT2_T3_mT4_T5_T6_T7_T8_P12ihipStream_tbENKUlT_T0_E_clISt17integral_constantIbLb1EES16_EEDaS11_S12_EUlS11_E_NS1_11comp_targetILNS1_3genE5ELNS1_11target_archE942ELNS1_3gpuE9ELNS1_3repE0EEENS1_30default_config_static_selectorELNS0_4arch9wavefront6targetE1EEEvT1_,comdat
	.protected	_ZN7rocprim17ROCPRIM_400000_NS6detail17trampoline_kernelINS0_14default_configENS1_29reduce_by_key_config_selectorIjxN6thrust23THRUST_200600_302600_NS4plusIxEEEEZZNS1_33reduce_by_key_impl_wrapped_configILNS1_25lookback_scan_determinismE0ES3_S9_NS6_6detail15normal_iteratorINS6_10device_ptrIjEEEENSD_INSE_IxEEEENS6_16discard_iteratorINS6_11use_defaultEEESI_PmS8_NS6_8equal_toIjEEEE10hipError_tPvRmT2_T3_mT4_T5_T6_T7_T8_P12ihipStream_tbENKUlT_T0_E_clISt17integral_constantIbLb1EES16_EEDaS11_S12_EUlS11_E_NS1_11comp_targetILNS1_3genE5ELNS1_11target_archE942ELNS1_3gpuE9ELNS1_3repE0EEENS1_30default_config_static_selectorELNS0_4arch9wavefront6targetE1EEEvT1_ ; -- Begin function _ZN7rocprim17ROCPRIM_400000_NS6detail17trampoline_kernelINS0_14default_configENS1_29reduce_by_key_config_selectorIjxN6thrust23THRUST_200600_302600_NS4plusIxEEEEZZNS1_33reduce_by_key_impl_wrapped_configILNS1_25lookback_scan_determinismE0ES3_S9_NS6_6detail15normal_iteratorINS6_10device_ptrIjEEEENSD_INSE_IxEEEENS6_16discard_iteratorINS6_11use_defaultEEESI_PmS8_NS6_8equal_toIjEEEE10hipError_tPvRmT2_T3_mT4_T5_T6_T7_T8_P12ihipStream_tbENKUlT_T0_E_clISt17integral_constantIbLb1EES16_EEDaS11_S12_EUlS11_E_NS1_11comp_targetILNS1_3genE5ELNS1_11target_archE942ELNS1_3gpuE9ELNS1_3repE0EEENS1_30default_config_static_selectorELNS0_4arch9wavefront6targetE1EEEvT1_
	.globl	_ZN7rocprim17ROCPRIM_400000_NS6detail17trampoline_kernelINS0_14default_configENS1_29reduce_by_key_config_selectorIjxN6thrust23THRUST_200600_302600_NS4plusIxEEEEZZNS1_33reduce_by_key_impl_wrapped_configILNS1_25lookback_scan_determinismE0ES3_S9_NS6_6detail15normal_iteratorINS6_10device_ptrIjEEEENSD_INSE_IxEEEENS6_16discard_iteratorINS6_11use_defaultEEESI_PmS8_NS6_8equal_toIjEEEE10hipError_tPvRmT2_T3_mT4_T5_T6_T7_T8_P12ihipStream_tbENKUlT_T0_E_clISt17integral_constantIbLb1EES16_EEDaS11_S12_EUlS11_E_NS1_11comp_targetILNS1_3genE5ELNS1_11target_archE942ELNS1_3gpuE9ELNS1_3repE0EEENS1_30default_config_static_selectorELNS0_4arch9wavefront6targetE1EEEvT1_
	.p2align	8
	.type	_ZN7rocprim17ROCPRIM_400000_NS6detail17trampoline_kernelINS0_14default_configENS1_29reduce_by_key_config_selectorIjxN6thrust23THRUST_200600_302600_NS4plusIxEEEEZZNS1_33reduce_by_key_impl_wrapped_configILNS1_25lookback_scan_determinismE0ES3_S9_NS6_6detail15normal_iteratorINS6_10device_ptrIjEEEENSD_INSE_IxEEEENS6_16discard_iteratorINS6_11use_defaultEEESI_PmS8_NS6_8equal_toIjEEEE10hipError_tPvRmT2_T3_mT4_T5_T6_T7_T8_P12ihipStream_tbENKUlT_T0_E_clISt17integral_constantIbLb1EES16_EEDaS11_S12_EUlS11_E_NS1_11comp_targetILNS1_3genE5ELNS1_11target_archE942ELNS1_3gpuE9ELNS1_3repE0EEENS1_30default_config_static_selectorELNS0_4arch9wavefront6targetE1EEEvT1_,@function
_ZN7rocprim17ROCPRIM_400000_NS6detail17trampoline_kernelINS0_14default_configENS1_29reduce_by_key_config_selectorIjxN6thrust23THRUST_200600_302600_NS4plusIxEEEEZZNS1_33reduce_by_key_impl_wrapped_configILNS1_25lookback_scan_determinismE0ES3_S9_NS6_6detail15normal_iteratorINS6_10device_ptrIjEEEENSD_INSE_IxEEEENS6_16discard_iteratorINS6_11use_defaultEEESI_PmS8_NS6_8equal_toIjEEEE10hipError_tPvRmT2_T3_mT4_T5_T6_T7_T8_P12ihipStream_tbENKUlT_T0_E_clISt17integral_constantIbLb1EES16_EEDaS11_S12_EUlS11_E_NS1_11comp_targetILNS1_3genE5ELNS1_11target_archE942ELNS1_3gpuE9ELNS1_3repE0EEENS1_30default_config_static_selectorELNS0_4arch9wavefront6targetE1EEEvT1_: ; @_ZN7rocprim17ROCPRIM_400000_NS6detail17trampoline_kernelINS0_14default_configENS1_29reduce_by_key_config_selectorIjxN6thrust23THRUST_200600_302600_NS4plusIxEEEEZZNS1_33reduce_by_key_impl_wrapped_configILNS1_25lookback_scan_determinismE0ES3_S9_NS6_6detail15normal_iteratorINS6_10device_ptrIjEEEENSD_INSE_IxEEEENS6_16discard_iteratorINS6_11use_defaultEEESI_PmS8_NS6_8equal_toIjEEEE10hipError_tPvRmT2_T3_mT4_T5_T6_T7_T8_P12ihipStream_tbENKUlT_T0_E_clISt17integral_constantIbLb1EES16_EEDaS11_S12_EUlS11_E_NS1_11comp_targetILNS1_3genE5ELNS1_11target_archE942ELNS1_3gpuE9ELNS1_3repE0EEENS1_30default_config_static_selectorELNS0_4arch9wavefront6targetE1EEEvT1_
; %bb.0:
	.section	.rodata,"a",@progbits
	.p2align	6, 0x0
	.amdhsa_kernel _ZN7rocprim17ROCPRIM_400000_NS6detail17trampoline_kernelINS0_14default_configENS1_29reduce_by_key_config_selectorIjxN6thrust23THRUST_200600_302600_NS4plusIxEEEEZZNS1_33reduce_by_key_impl_wrapped_configILNS1_25lookback_scan_determinismE0ES3_S9_NS6_6detail15normal_iteratorINS6_10device_ptrIjEEEENSD_INSE_IxEEEENS6_16discard_iteratorINS6_11use_defaultEEESI_PmS8_NS6_8equal_toIjEEEE10hipError_tPvRmT2_T3_mT4_T5_T6_T7_T8_P12ihipStream_tbENKUlT_T0_E_clISt17integral_constantIbLb1EES16_EEDaS11_S12_EUlS11_E_NS1_11comp_targetILNS1_3genE5ELNS1_11target_archE942ELNS1_3gpuE9ELNS1_3repE0EEENS1_30default_config_static_selectorELNS0_4arch9wavefront6targetE1EEEvT1_
		.amdhsa_group_segment_fixed_size 0
		.amdhsa_private_segment_fixed_size 0
		.amdhsa_kernarg_size 144
		.amdhsa_user_sgpr_count 6
		.amdhsa_user_sgpr_private_segment_buffer 1
		.amdhsa_user_sgpr_dispatch_ptr 0
		.amdhsa_user_sgpr_queue_ptr 0
		.amdhsa_user_sgpr_kernarg_segment_ptr 1
		.amdhsa_user_sgpr_dispatch_id 0
		.amdhsa_user_sgpr_flat_scratch_init 0
		.amdhsa_user_sgpr_kernarg_preload_length 0
		.amdhsa_user_sgpr_kernarg_preload_offset 0
		.amdhsa_user_sgpr_private_segment_size 0
		.amdhsa_uses_dynamic_stack 0
		.amdhsa_system_sgpr_private_segment_wavefront_offset 0
		.amdhsa_system_sgpr_workgroup_id_x 1
		.amdhsa_system_sgpr_workgroup_id_y 0
		.amdhsa_system_sgpr_workgroup_id_z 0
		.amdhsa_system_sgpr_workgroup_info 0
		.amdhsa_system_vgpr_workitem_id 0
		.amdhsa_next_free_vgpr 1
		.amdhsa_next_free_sgpr 0
		.amdhsa_accum_offset 4
		.amdhsa_reserve_vcc 0
		.amdhsa_reserve_flat_scratch 0
		.amdhsa_float_round_mode_32 0
		.amdhsa_float_round_mode_16_64 0
		.amdhsa_float_denorm_mode_32 3
		.amdhsa_float_denorm_mode_16_64 3
		.amdhsa_dx10_clamp 1
		.amdhsa_ieee_mode 1
		.amdhsa_fp16_overflow 0
		.amdhsa_tg_split 0
		.amdhsa_exception_fp_ieee_invalid_op 0
		.amdhsa_exception_fp_denorm_src 0
		.amdhsa_exception_fp_ieee_div_zero 0
		.amdhsa_exception_fp_ieee_overflow 0
		.amdhsa_exception_fp_ieee_underflow 0
		.amdhsa_exception_fp_ieee_inexact 0
		.amdhsa_exception_int_div_zero 0
	.end_amdhsa_kernel
	.section	.text._ZN7rocprim17ROCPRIM_400000_NS6detail17trampoline_kernelINS0_14default_configENS1_29reduce_by_key_config_selectorIjxN6thrust23THRUST_200600_302600_NS4plusIxEEEEZZNS1_33reduce_by_key_impl_wrapped_configILNS1_25lookback_scan_determinismE0ES3_S9_NS6_6detail15normal_iteratorINS6_10device_ptrIjEEEENSD_INSE_IxEEEENS6_16discard_iteratorINS6_11use_defaultEEESI_PmS8_NS6_8equal_toIjEEEE10hipError_tPvRmT2_T3_mT4_T5_T6_T7_T8_P12ihipStream_tbENKUlT_T0_E_clISt17integral_constantIbLb1EES16_EEDaS11_S12_EUlS11_E_NS1_11comp_targetILNS1_3genE5ELNS1_11target_archE942ELNS1_3gpuE9ELNS1_3repE0EEENS1_30default_config_static_selectorELNS0_4arch9wavefront6targetE1EEEvT1_,"axG",@progbits,_ZN7rocprim17ROCPRIM_400000_NS6detail17trampoline_kernelINS0_14default_configENS1_29reduce_by_key_config_selectorIjxN6thrust23THRUST_200600_302600_NS4plusIxEEEEZZNS1_33reduce_by_key_impl_wrapped_configILNS1_25lookback_scan_determinismE0ES3_S9_NS6_6detail15normal_iteratorINS6_10device_ptrIjEEEENSD_INSE_IxEEEENS6_16discard_iteratorINS6_11use_defaultEEESI_PmS8_NS6_8equal_toIjEEEE10hipError_tPvRmT2_T3_mT4_T5_T6_T7_T8_P12ihipStream_tbENKUlT_T0_E_clISt17integral_constantIbLb1EES16_EEDaS11_S12_EUlS11_E_NS1_11comp_targetILNS1_3genE5ELNS1_11target_archE942ELNS1_3gpuE9ELNS1_3repE0EEENS1_30default_config_static_selectorELNS0_4arch9wavefront6targetE1EEEvT1_,comdat
.Lfunc_end995:
	.size	_ZN7rocprim17ROCPRIM_400000_NS6detail17trampoline_kernelINS0_14default_configENS1_29reduce_by_key_config_selectorIjxN6thrust23THRUST_200600_302600_NS4plusIxEEEEZZNS1_33reduce_by_key_impl_wrapped_configILNS1_25lookback_scan_determinismE0ES3_S9_NS6_6detail15normal_iteratorINS6_10device_ptrIjEEEENSD_INSE_IxEEEENS6_16discard_iteratorINS6_11use_defaultEEESI_PmS8_NS6_8equal_toIjEEEE10hipError_tPvRmT2_T3_mT4_T5_T6_T7_T8_P12ihipStream_tbENKUlT_T0_E_clISt17integral_constantIbLb1EES16_EEDaS11_S12_EUlS11_E_NS1_11comp_targetILNS1_3genE5ELNS1_11target_archE942ELNS1_3gpuE9ELNS1_3repE0EEENS1_30default_config_static_selectorELNS0_4arch9wavefront6targetE1EEEvT1_, .Lfunc_end995-_ZN7rocprim17ROCPRIM_400000_NS6detail17trampoline_kernelINS0_14default_configENS1_29reduce_by_key_config_selectorIjxN6thrust23THRUST_200600_302600_NS4plusIxEEEEZZNS1_33reduce_by_key_impl_wrapped_configILNS1_25lookback_scan_determinismE0ES3_S9_NS6_6detail15normal_iteratorINS6_10device_ptrIjEEEENSD_INSE_IxEEEENS6_16discard_iteratorINS6_11use_defaultEEESI_PmS8_NS6_8equal_toIjEEEE10hipError_tPvRmT2_T3_mT4_T5_T6_T7_T8_P12ihipStream_tbENKUlT_T0_E_clISt17integral_constantIbLb1EES16_EEDaS11_S12_EUlS11_E_NS1_11comp_targetILNS1_3genE5ELNS1_11target_archE942ELNS1_3gpuE9ELNS1_3repE0EEENS1_30default_config_static_selectorELNS0_4arch9wavefront6targetE1EEEvT1_
                                        ; -- End function
	.section	.AMDGPU.csdata,"",@progbits
; Kernel info:
; codeLenInByte = 0
; NumSgprs: 4
; NumVgprs: 0
; NumAgprs: 0
; TotalNumVgprs: 0
; ScratchSize: 0
; MemoryBound: 0
; FloatMode: 240
; IeeeMode: 1
; LDSByteSize: 0 bytes/workgroup (compile time only)
; SGPRBlocks: 0
; VGPRBlocks: 0
; NumSGPRsForWavesPerEU: 4
; NumVGPRsForWavesPerEU: 1
; AccumOffset: 4
; Occupancy: 8
; WaveLimiterHint : 0
; COMPUTE_PGM_RSRC2:SCRATCH_EN: 0
; COMPUTE_PGM_RSRC2:USER_SGPR: 6
; COMPUTE_PGM_RSRC2:TRAP_HANDLER: 0
; COMPUTE_PGM_RSRC2:TGID_X_EN: 1
; COMPUTE_PGM_RSRC2:TGID_Y_EN: 0
; COMPUTE_PGM_RSRC2:TGID_Z_EN: 0
; COMPUTE_PGM_RSRC2:TIDIG_COMP_CNT: 0
; COMPUTE_PGM_RSRC3_GFX90A:ACCUM_OFFSET: 0
; COMPUTE_PGM_RSRC3_GFX90A:TG_SPLIT: 0
	.section	.text._ZN7rocprim17ROCPRIM_400000_NS6detail17trampoline_kernelINS0_14default_configENS1_29reduce_by_key_config_selectorIjxN6thrust23THRUST_200600_302600_NS4plusIxEEEEZZNS1_33reduce_by_key_impl_wrapped_configILNS1_25lookback_scan_determinismE0ES3_S9_NS6_6detail15normal_iteratorINS6_10device_ptrIjEEEENSD_INSE_IxEEEENS6_16discard_iteratorINS6_11use_defaultEEESI_PmS8_NS6_8equal_toIjEEEE10hipError_tPvRmT2_T3_mT4_T5_T6_T7_T8_P12ihipStream_tbENKUlT_T0_E_clISt17integral_constantIbLb1EES16_EEDaS11_S12_EUlS11_E_NS1_11comp_targetILNS1_3genE4ELNS1_11target_archE910ELNS1_3gpuE8ELNS1_3repE0EEENS1_30default_config_static_selectorELNS0_4arch9wavefront6targetE1EEEvT1_,"axG",@progbits,_ZN7rocprim17ROCPRIM_400000_NS6detail17trampoline_kernelINS0_14default_configENS1_29reduce_by_key_config_selectorIjxN6thrust23THRUST_200600_302600_NS4plusIxEEEEZZNS1_33reduce_by_key_impl_wrapped_configILNS1_25lookback_scan_determinismE0ES3_S9_NS6_6detail15normal_iteratorINS6_10device_ptrIjEEEENSD_INSE_IxEEEENS6_16discard_iteratorINS6_11use_defaultEEESI_PmS8_NS6_8equal_toIjEEEE10hipError_tPvRmT2_T3_mT4_T5_T6_T7_T8_P12ihipStream_tbENKUlT_T0_E_clISt17integral_constantIbLb1EES16_EEDaS11_S12_EUlS11_E_NS1_11comp_targetILNS1_3genE4ELNS1_11target_archE910ELNS1_3gpuE8ELNS1_3repE0EEENS1_30default_config_static_selectorELNS0_4arch9wavefront6targetE1EEEvT1_,comdat
	.protected	_ZN7rocprim17ROCPRIM_400000_NS6detail17trampoline_kernelINS0_14default_configENS1_29reduce_by_key_config_selectorIjxN6thrust23THRUST_200600_302600_NS4plusIxEEEEZZNS1_33reduce_by_key_impl_wrapped_configILNS1_25lookback_scan_determinismE0ES3_S9_NS6_6detail15normal_iteratorINS6_10device_ptrIjEEEENSD_INSE_IxEEEENS6_16discard_iteratorINS6_11use_defaultEEESI_PmS8_NS6_8equal_toIjEEEE10hipError_tPvRmT2_T3_mT4_T5_T6_T7_T8_P12ihipStream_tbENKUlT_T0_E_clISt17integral_constantIbLb1EES16_EEDaS11_S12_EUlS11_E_NS1_11comp_targetILNS1_3genE4ELNS1_11target_archE910ELNS1_3gpuE8ELNS1_3repE0EEENS1_30default_config_static_selectorELNS0_4arch9wavefront6targetE1EEEvT1_ ; -- Begin function _ZN7rocprim17ROCPRIM_400000_NS6detail17trampoline_kernelINS0_14default_configENS1_29reduce_by_key_config_selectorIjxN6thrust23THRUST_200600_302600_NS4plusIxEEEEZZNS1_33reduce_by_key_impl_wrapped_configILNS1_25lookback_scan_determinismE0ES3_S9_NS6_6detail15normal_iteratorINS6_10device_ptrIjEEEENSD_INSE_IxEEEENS6_16discard_iteratorINS6_11use_defaultEEESI_PmS8_NS6_8equal_toIjEEEE10hipError_tPvRmT2_T3_mT4_T5_T6_T7_T8_P12ihipStream_tbENKUlT_T0_E_clISt17integral_constantIbLb1EES16_EEDaS11_S12_EUlS11_E_NS1_11comp_targetILNS1_3genE4ELNS1_11target_archE910ELNS1_3gpuE8ELNS1_3repE0EEENS1_30default_config_static_selectorELNS0_4arch9wavefront6targetE1EEEvT1_
	.globl	_ZN7rocprim17ROCPRIM_400000_NS6detail17trampoline_kernelINS0_14default_configENS1_29reduce_by_key_config_selectorIjxN6thrust23THRUST_200600_302600_NS4plusIxEEEEZZNS1_33reduce_by_key_impl_wrapped_configILNS1_25lookback_scan_determinismE0ES3_S9_NS6_6detail15normal_iteratorINS6_10device_ptrIjEEEENSD_INSE_IxEEEENS6_16discard_iteratorINS6_11use_defaultEEESI_PmS8_NS6_8equal_toIjEEEE10hipError_tPvRmT2_T3_mT4_T5_T6_T7_T8_P12ihipStream_tbENKUlT_T0_E_clISt17integral_constantIbLb1EES16_EEDaS11_S12_EUlS11_E_NS1_11comp_targetILNS1_3genE4ELNS1_11target_archE910ELNS1_3gpuE8ELNS1_3repE0EEENS1_30default_config_static_selectorELNS0_4arch9wavefront6targetE1EEEvT1_
	.p2align	8
	.type	_ZN7rocprim17ROCPRIM_400000_NS6detail17trampoline_kernelINS0_14default_configENS1_29reduce_by_key_config_selectorIjxN6thrust23THRUST_200600_302600_NS4plusIxEEEEZZNS1_33reduce_by_key_impl_wrapped_configILNS1_25lookback_scan_determinismE0ES3_S9_NS6_6detail15normal_iteratorINS6_10device_ptrIjEEEENSD_INSE_IxEEEENS6_16discard_iteratorINS6_11use_defaultEEESI_PmS8_NS6_8equal_toIjEEEE10hipError_tPvRmT2_T3_mT4_T5_T6_T7_T8_P12ihipStream_tbENKUlT_T0_E_clISt17integral_constantIbLb1EES16_EEDaS11_S12_EUlS11_E_NS1_11comp_targetILNS1_3genE4ELNS1_11target_archE910ELNS1_3gpuE8ELNS1_3repE0EEENS1_30default_config_static_selectorELNS0_4arch9wavefront6targetE1EEEvT1_,@function
_ZN7rocprim17ROCPRIM_400000_NS6detail17trampoline_kernelINS0_14default_configENS1_29reduce_by_key_config_selectorIjxN6thrust23THRUST_200600_302600_NS4plusIxEEEEZZNS1_33reduce_by_key_impl_wrapped_configILNS1_25lookback_scan_determinismE0ES3_S9_NS6_6detail15normal_iteratorINS6_10device_ptrIjEEEENSD_INSE_IxEEEENS6_16discard_iteratorINS6_11use_defaultEEESI_PmS8_NS6_8equal_toIjEEEE10hipError_tPvRmT2_T3_mT4_T5_T6_T7_T8_P12ihipStream_tbENKUlT_T0_E_clISt17integral_constantIbLb1EES16_EEDaS11_S12_EUlS11_E_NS1_11comp_targetILNS1_3genE4ELNS1_11target_archE910ELNS1_3gpuE8ELNS1_3repE0EEENS1_30default_config_static_selectorELNS0_4arch9wavefront6targetE1EEEvT1_: ; @_ZN7rocprim17ROCPRIM_400000_NS6detail17trampoline_kernelINS0_14default_configENS1_29reduce_by_key_config_selectorIjxN6thrust23THRUST_200600_302600_NS4plusIxEEEEZZNS1_33reduce_by_key_impl_wrapped_configILNS1_25lookback_scan_determinismE0ES3_S9_NS6_6detail15normal_iteratorINS6_10device_ptrIjEEEENSD_INSE_IxEEEENS6_16discard_iteratorINS6_11use_defaultEEESI_PmS8_NS6_8equal_toIjEEEE10hipError_tPvRmT2_T3_mT4_T5_T6_T7_T8_P12ihipStream_tbENKUlT_T0_E_clISt17integral_constantIbLb1EES16_EEDaS11_S12_EUlS11_E_NS1_11comp_targetILNS1_3genE4ELNS1_11target_archE910ELNS1_3gpuE8ELNS1_3repE0EEENS1_30default_config_static_selectorELNS0_4arch9wavefront6targetE1EEEvT1_
; %bb.0:
	s_load_dwordx4 s[8:11], s[4:5], 0x0
	s_load_dwordx2 s[6:7], s[4:5], 0x10
	s_load_dwordx2 s[56:57], s[4:5], 0x80
	v_cmp_ne_u32_e64 s[2:3], 0, v0
	v_cmp_eq_u32_e64 s[0:1], 0, v0
	s_and_saveexec_b64 s[12:13], s[0:1]
	s_cbranch_execz .LBB996_4
; %bb.1:
	s_mov_b64 s[16:17], exec
	v_mbcnt_lo_u32_b32 v1, s16, 0
	v_mbcnt_hi_u32_b32 v1, s17, v1
	v_cmp_eq_u32_e32 vcc, 0, v1
                                        ; implicit-def: $vgpr2
	s_and_saveexec_b64 s[14:15], vcc
	s_cbranch_execz .LBB996_3
; %bb.2:
	s_load_dwordx2 s[18:19], s[4:5], 0x88
	s_bcnt1_i32_b64 s16, s[16:17]
	v_mov_b32_e32 v2, 0
	v_mov_b32_e32 v3, s16
	s_waitcnt lgkmcnt(0)
	global_atomic_add v2, v2, v3, s[18:19] glc
.LBB996_3:
	s_or_b64 exec, exec, s[14:15]
	s_waitcnt vmcnt(0)
	v_readfirstlane_b32 s14, v2
	v_add_u32_e32 v1, s14, v1
	v_mov_b32_e32 v2, 0
	ds_write_b32 v2, v1
.LBB996_4:
	s_or_b64 exec, exec, s[12:13]
	s_load_dwordx4 s[52:55], s[4:5], 0x28
	s_load_dwordx16 s[36:51], s[4:5], 0x40
	s_waitcnt lgkmcnt(0)
	s_lshl_b64 s[4:5], s[10:11], 2
	v_mov_b32_e32 v3, 0
	s_add_u32 s8, s8, s4
	s_barrier
	ds_read_b32 v1, v3
	s_addc_u32 s9, s9, s5
	s_lshl_b64 s[4:5], s[10:11], 3
	s_add_u32 s4, s6, s4
	s_addc_u32 s5, s7, s5
	s_mul_i32 s6, s44, s43
	s_mul_hi_u32 s7, s44, s42
	s_add_i32 s6, s7, s6
	s_mul_i32 s7, s45, s42
	s_add_i32 s6, s6, s7
	s_mul_i32 s7, s44, s42
	s_waitcnt lgkmcnt(0)
	v_readfirstlane_b32 s62, v1
	s_movk_i32 s10, 0xf00
	v_mul_lo_u32 v2, v1, s10
	s_add_u32 s58, s7, s62
	v_lshlrev_b64 v[4:5], 2, v[2:3]
	s_addc_u32 s59, s6, 0
	v_mov_b32_e32 v1, s9
	v_add_co_u32_e32 v54, vcc, s8, v4
	s_add_u32 s6, s46, -1
	v_addc_co_u32_e32 v55, vcc, v1, v5, vcc
	v_lshlrev_b64 v[2:3], 3, v[2:3]
	s_addc_u32 s7, s47, -1
	v_mov_b32_e32 v1, s5
	v_add_co_u32_e32 v56, vcc, s4, v2
	s_cmp_eq_u64 s[58:59], s[6:7]
	v_addc_co_u32_e32 v57, vcc, v1, v3, vcc
	s_cselect_b64 s[44:45], -1, 0
	s_cmp_lg_u64 s[58:59], s[6:7]
	s_mov_b64 s[4:5], -1
	s_cselect_b64 s[46:47], -1, 0
	s_mul_i32 s33, s6, 0xfffff100
	s_and_b64 vcc, exec, s[44:45]
	s_barrier
	s_cbranch_vccnz .LBB996_6
; %bb.5:
	v_lshlrev_b32_e32 v1, 2, v0
	v_add_co_u32_e32 v2, vcc, v54, v1
	v_addc_co_u32_e32 v3, vcc, 0, v55, vcc
	v_add_co_u32_e32 v4, vcc, 0x1000, v2
	v_addc_co_u32_e32 v5, vcc, 0, v3, vcc
	flat_load_dword v6, v[2:3]
	flat_load_dword v7, v[2:3] offset:1024
	flat_load_dword v8, v[2:3] offset:2048
	;; [unrolled: 1-line block ×3, first 2 shown]
	flat_load_dword v10, v[4:5]
	flat_load_dword v11, v[4:5] offset:1024
	flat_load_dword v12, v[4:5] offset:2048
	;; [unrolled: 1-line block ×3, first 2 shown]
	v_add_co_u32_e32 v4, vcc, 0x2000, v2
	v_addc_co_u32_e32 v5, vcc, 0, v3, vcc
	v_add_co_u32_e32 v2, vcc, 0x3000, v2
	v_addc_co_u32_e32 v3, vcc, 0, v3, vcc
	flat_load_dword v14, v[4:5]
	flat_load_dword v15, v[4:5] offset:1024
	flat_load_dword v24, v[4:5] offset:2048
	;; [unrolled: 1-line block ×3, first 2 shown]
	flat_load_dword v26, v[2:3]
	flat_load_dword v27, v[2:3] offset:1024
	flat_load_dword v28, v[2:3] offset:2048
	v_lshlrev_b32_e32 v2, 3, v0
	v_add_co_u32_e32 v16, vcc, v56, v2
	s_movk_i32 s4, 0x1000
	v_addc_co_u32_e32 v17, vcc, 0, v57, vcc
	v_add_co_u32_e32 v18, vcc, s4, v16
	s_movk_i32 s5, 0x2000
	v_addc_co_u32_e32 v19, vcc, 0, v17, vcc
	;; [unrolled: 3-line block ×3, first 2 shown]
	v_add_co_u32_e32 v22, vcc, s6, v16
	s_movk_i32 s7, 0x4000
	v_mad_u32_u24 v46, v0, 56, v1
	v_addc_co_u32_e32 v23, vcc, 0, v17, vcc
	s_movk_i32 s4, 0x5000
	v_mul_u32_u24_e32 v58, 15, v0
	v_mad_u32_u24 v72, v0, 15, 1
	v_mad_u32_u24 v70, v0, 15, 2
	;; [unrolled: 1-line block ×14, first 2 shown]
	s_waitcnt vmcnt(0) lgkmcnt(0)
	ds_write2st64_b32 v1, v6, v7 offset1:4
	ds_write2st64_b32 v1, v8, v9 offset0:8 offset1:12
	ds_write2st64_b32 v1, v10, v11 offset0:16 offset1:20
	;; [unrolled: 1-line block ×6, first 2 shown]
	ds_write_b32 v1, v28 offset:14336
	s_waitcnt lgkmcnt(0)
	s_barrier
	ds_read2_b32 v[14:15], v46 offset1:1
	ds_read2_b32 v[12:13], v46 offset0:2 offset1:3
	ds_read2_b32 v[10:11], v46 offset0:4 offset1:5
	;; [unrolled: 1-line block ×6, first 2 shown]
	ds_read_b32 v1, v46 offset:56
	s_waitcnt lgkmcnt(0)
	s_barrier
	flat_load_dwordx2 v[24:25], v[16:17]
	flat_load_dwordx2 v[26:27], v[16:17] offset:2048
	flat_load_dwordx2 v[28:29], v[18:19]
	flat_load_dwordx2 v[30:31], v[18:19] offset:2048
	;; [unrolled: 2-line block ×4, first 2 shown]
	v_add_co_u32_e32 v18, vcc, s7, v16
	v_addc_co_u32_e32 v19, vcc, 0, v17, vcc
	v_add_co_u32_e32 v20, vcc, s4, v16
	v_addc_co_u32_e32 v21, vcc, 0, v17, vcc
	s_movk_i32 s4, 0x6000
	flat_load_dwordx2 v[22:23], v[18:19]
	flat_load_dwordx2 v[40:41], v[18:19] offset:2048
	flat_load_dwordx2 v[42:43], v[20:21]
	flat_load_dwordx2 v[44:45], v[20:21] offset:2048
	v_add_co_u32_e32 v18, vcc, s4, v16
	v_addc_co_u32_e32 v19, vcc, 0, v17, vcc
	s_movk_i32 s4, 0x7000
	v_add_co_u32_e32 v16, vcc, s4, v16
	v_addc_co_u32_e32 v17, vcc, 0, v17, vcc
	flat_load_dwordx2 v[20:21], v[18:19]
	flat_load_dwordx2 v[74:75], v[18:19] offset:2048
	flat_load_dwordx2 v[76:77], v[16:17]
	s_movk_i32 s4, 0xffcc
	v_mad_i32_i24 v16, v0, s4, v46
	v_mov_b32_e32 v52, v14
	v_mov_b32_e32 v53, v12
	v_mov_b32_e32 v48, v10
	v_mov_b32_e32 v49, v8
	v_mov_b32_e32 v46, v6
	v_mov_b32_e32 v47, v4
	v_mov_b32_e32 v50, v2
	s_waitcnt vmcnt(0) lgkmcnt(0)
	ds_write2st64_b64 v16, v[24:25], v[26:27] offset1:4
	ds_write2st64_b64 v16, v[28:29], v[30:31] offset0:8 offset1:12
	ds_write2st64_b64 v16, v[32:33], v[34:35] offset0:16 offset1:20
	;; [unrolled: 1-line block ×6, first 2 shown]
	ds_write_b64 v16, v[76:77] offset:28672
	s_waitcnt lgkmcnt(0)
	s_barrier
	s_add_i32 s33, s33, s48
	s_cbranch_execz .LBB996_7
	s_branch .LBB996_68
.LBB996_6:
                                        ; implicit-def: $vgpr1
                                        ; implicit-def: $vgpr2
                                        ; implicit-def: $vgpr4
                                        ; implicit-def: $vgpr6
                                        ; implicit-def: $vgpr8
                                        ; implicit-def: $vgpr10
                                        ; implicit-def: $vgpr12
                                        ; implicit-def: $vgpr14
                                        ; implicit-def: $vgpr59
                                        ; implicit-def: $vgpr61
                                        ; implicit-def: $vgpr60
                                        ; implicit-def: $vgpr64
                                        ; implicit-def: $vgpr62
                                        ; implicit-def: $vgpr65
                                        ; implicit-def: $vgpr63
                                        ; implicit-def: $vgpr68
                                        ; implicit-def: $vgpr66
                                        ; implicit-def: $vgpr69
                                        ; implicit-def: $vgpr67
                                        ; implicit-def: $vgpr71
                                        ; implicit-def: $vgpr70
                                        ; implicit-def: $vgpr72
                                        ; implicit-def: $vgpr58
                                        ; implicit-def: $vgpr46_vgpr47
                                        ; implicit-def: $vgpr48_vgpr49
                                        ; implicit-def: $vgpr52_vgpr53
                                        ; implicit-def: $vgpr50_vgpr51
	s_andn2_b64 vcc, exec, s[4:5]
	s_add_i32 s33, s33, s48
	s_cbranch_vccnz .LBB996_68
.LBB996_7:
	v_cmp_gt_u32_e32 vcc, s33, v0
                                        ; implicit-def: $vgpr1
	s_and_saveexec_b64 s[6:7], vcc
	s_cbranch_execz .LBB996_9
; %bb.8:
	v_lshlrev_b32_e32 v1, 2, v0
	v_add_co_u32_e64 v2, s[4:5], v54, v1
	v_addc_co_u32_e64 v3, s[4:5], 0, v55, s[4:5]
	flat_load_dword v1, v[2:3]
.LBB996_9:
	s_or_b64 exec, exec, s[6:7]
	v_or_b32_e32 v2, 0x100, v0
	v_cmp_gt_u32_e64 s[4:5], s33, v2
                                        ; implicit-def: $vgpr2
	s_and_saveexec_b64 s[8:9], s[4:5]
	s_cbranch_execz .LBB996_11
; %bb.10:
	v_lshlrev_b32_e32 v2, 2, v0
	v_add_co_u32_e64 v2, s[6:7], v54, v2
	v_addc_co_u32_e64 v3, s[6:7], 0, v55, s[6:7]
	flat_load_dword v2, v[2:3] offset:1024
.LBB996_11:
	s_or_b64 exec, exec, s[8:9]
	v_or_b32_e32 v22, 0x200, v0
	v_cmp_gt_u32_e64 s[6:7], s33, v22
                                        ; implicit-def: $vgpr3
	s_and_saveexec_b64 s[10:11], s[6:7]
	s_cbranch_execz .LBB996_13
; %bb.12:
	v_lshlrev_b32_e32 v3, 2, v0
	v_add_co_u32_e64 v4, s[8:9], v54, v3
	v_addc_co_u32_e64 v5, s[8:9], 0, v55, s[8:9]
	flat_load_dword v3, v[4:5] offset:2048
.LBB996_13:
	s_or_b64 exec, exec, s[10:11]
	v_or_b32_e32 v24, 0x300, v0
	v_cmp_gt_u32_e64 s[8:9], s33, v24
                                        ; implicit-def: $vgpr4
	s_and_saveexec_b64 s[12:13], s[8:9]
	s_cbranch_execz .LBB996_15
; %bb.14:
	v_lshlrev_b32_e32 v4, 2, v0
	v_add_co_u32_e64 v4, s[10:11], v54, v4
	v_addc_co_u32_e64 v5, s[10:11], 0, v55, s[10:11]
	flat_load_dword v4, v[4:5] offset:3072
.LBB996_15:
	s_or_b64 exec, exec, s[12:13]
	v_or_b32_e32 v26, 0x400, v0
	v_cmp_gt_u32_e64 s[10:11], s33, v26
                                        ; implicit-def: $vgpr5
	s_and_saveexec_b64 s[14:15], s[10:11]
	s_cbranch_execz .LBB996_17
; %bb.16:
	v_lshlrev_b32_e32 v5, 2, v26
	v_add_co_u32_e64 v6, s[12:13], v54, v5
	v_addc_co_u32_e64 v7, s[12:13], 0, v55, s[12:13]
	flat_load_dword v5, v[6:7]
.LBB996_17:
	s_or_b64 exec, exec, s[14:15]
	v_or_b32_e32 v28, 0x500, v0
	v_cmp_gt_u32_e64 s[12:13], s33, v28
                                        ; implicit-def: $vgpr6
	s_and_saveexec_b64 s[16:17], s[12:13]
	s_cbranch_execz .LBB996_19
; %bb.18:
	v_lshlrev_b32_e32 v6, 2, v28
	v_add_co_u32_e64 v6, s[14:15], v54, v6
	v_addc_co_u32_e64 v7, s[14:15], 0, v55, s[14:15]
	flat_load_dword v6, v[6:7]
.LBB996_19:
	s_or_b64 exec, exec, s[16:17]
	v_or_b32_e32 v30, 0x600, v0
	v_cmp_gt_u32_e64 s[14:15], s33, v30
                                        ; implicit-def: $vgpr7
	s_and_saveexec_b64 s[18:19], s[14:15]
	s_cbranch_execz .LBB996_21
; %bb.20:
	v_lshlrev_b32_e32 v7, 2, v30
	v_add_co_u32_e64 v8, s[16:17], v54, v7
	v_addc_co_u32_e64 v9, s[16:17], 0, v55, s[16:17]
	flat_load_dword v7, v[8:9]
.LBB996_21:
	s_or_b64 exec, exec, s[18:19]
	v_or_b32_e32 v32, 0x700, v0
	v_cmp_gt_u32_e64 s[16:17], s33, v32
                                        ; implicit-def: $vgpr8
	s_and_saveexec_b64 s[20:21], s[16:17]
	s_cbranch_execz .LBB996_23
; %bb.22:
	v_lshlrev_b32_e32 v8, 2, v32
	v_add_co_u32_e64 v8, s[18:19], v54, v8
	v_addc_co_u32_e64 v9, s[18:19], 0, v55, s[18:19]
	flat_load_dword v8, v[8:9]
.LBB996_23:
	s_or_b64 exec, exec, s[20:21]
	v_or_b32_e32 v34, 0x800, v0
	v_cmp_gt_u32_e64 s[18:19], s33, v34
                                        ; implicit-def: $vgpr9
	s_and_saveexec_b64 s[22:23], s[18:19]
	s_cbranch_execz .LBB996_25
; %bb.24:
	v_lshlrev_b32_e32 v9, 2, v34
	v_add_co_u32_e64 v10, s[20:21], v54, v9
	v_addc_co_u32_e64 v11, s[20:21], 0, v55, s[20:21]
	flat_load_dword v9, v[10:11]
.LBB996_25:
	s_or_b64 exec, exec, s[22:23]
	v_or_b32_e32 v36, 0x900, v0
	v_cmp_gt_u32_e64 s[20:21], s33, v36
                                        ; implicit-def: $vgpr10
	s_and_saveexec_b64 s[24:25], s[20:21]
	s_cbranch_execz .LBB996_27
; %bb.26:
	v_lshlrev_b32_e32 v10, 2, v36
	v_add_co_u32_e64 v10, s[22:23], v54, v10
	v_addc_co_u32_e64 v11, s[22:23], 0, v55, s[22:23]
	flat_load_dword v10, v[10:11]
.LBB996_27:
	s_or_b64 exec, exec, s[24:25]
	v_or_b32_e32 v38, 0xa00, v0
	v_cmp_gt_u32_e64 s[22:23], s33, v38
                                        ; implicit-def: $vgpr11
	s_and_saveexec_b64 s[26:27], s[22:23]
	s_cbranch_execz .LBB996_29
; %bb.28:
	v_lshlrev_b32_e32 v11, 2, v38
	v_add_co_u32_e64 v12, s[24:25], v54, v11
	v_addc_co_u32_e64 v13, s[24:25], 0, v55, s[24:25]
	flat_load_dword v11, v[12:13]
.LBB996_29:
	s_or_b64 exec, exec, s[26:27]
	v_or_b32_e32 v40, 0xb00, v0
	v_cmp_gt_u32_e64 s[24:25], s33, v40
                                        ; implicit-def: $vgpr12
	s_and_saveexec_b64 s[28:29], s[24:25]
	s_cbranch_execz .LBB996_31
; %bb.30:
	v_lshlrev_b32_e32 v12, 2, v40
	v_add_co_u32_e64 v12, s[26:27], v54, v12
	v_addc_co_u32_e64 v13, s[26:27], 0, v55, s[26:27]
	flat_load_dword v12, v[12:13]
.LBB996_31:
	s_or_b64 exec, exec, s[28:29]
	v_or_b32_e32 v42, 0xc00, v0
	v_cmp_gt_u32_e64 s[26:27], s33, v42
                                        ; implicit-def: $vgpr13
	s_and_saveexec_b64 s[30:31], s[26:27]
	s_cbranch_execz .LBB996_33
; %bb.32:
	v_lshlrev_b32_e32 v13, 2, v42
	v_add_co_u32_e64 v14, s[28:29], v54, v13
	v_addc_co_u32_e64 v15, s[28:29], 0, v55, s[28:29]
	flat_load_dword v13, v[14:15]
.LBB996_33:
	s_or_b64 exec, exec, s[30:31]
	v_or_b32_e32 v44, 0xd00, v0
	v_cmp_gt_u32_e64 s[28:29], s33, v44
                                        ; implicit-def: $vgpr14
	s_and_saveexec_b64 s[34:35], s[28:29]
	s_cbranch_execz .LBB996_35
; %bb.34:
	v_lshlrev_b32_e32 v14, 2, v44
	v_add_co_u32_e64 v14, s[30:31], v54, v14
	v_addc_co_u32_e64 v15, s[30:31], 0, v55, s[30:31]
	flat_load_dword v14, v[14:15]
.LBB996_35:
	s_or_b64 exec, exec, s[34:35]
	v_or_b32_e32 v47, 0xe00, v0
	v_cmp_gt_u32_e64 s[30:31], s33, v47
                                        ; implicit-def: $vgpr15
	s_and_saveexec_b64 s[60:61], s[30:31]
	s_cbranch_execz .LBB996_37
; %bb.36:
	v_lshlrev_b32_e32 v15, 2, v47
	v_add_co_u32_e64 v16, s[34:35], v54, v15
	v_addc_co_u32_e64 v17, s[34:35], 0, v55, s[34:35]
	flat_load_dword v15, v[16:17]
.LBB996_37:
	s_or_b64 exec, exec, s[60:61]
	v_lshlrev_b32_e32 v16, 2, v0
	v_mad_u32_u24 v46, v0, 56, v16
	s_waitcnt vmcnt(0) lgkmcnt(0)
	ds_write2st64_b32 v16, v1, v2 offset1:4
	ds_write2st64_b32 v16, v3, v4 offset0:8 offset1:12
	ds_write2st64_b32 v16, v5, v6 offset0:16 offset1:20
	;; [unrolled: 1-line block ×6, first 2 shown]
	ds_write_b32 v16, v15 offset:14336
	s_waitcnt lgkmcnt(0)
	s_barrier
	ds_read2_b32 v[14:15], v46 offset1:1
	ds_read2_b32 v[12:13], v46 offset0:2 offset1:3
	ds_read2_b32 v[10:11], v46 offset0:4 offset1:5
	;; [unrolled: 1-line block ×6, first 2 shown]
	ds_read_b32 v1, v46 offset:56
	s_waitcnt lgkmcnt(0)
	s_barrier
	s_waitcnt lgkmcnt(0)
                                        ; implicit-def: $vgpr16_vgpr17
	s_and_saveexec_b64 s[34:35], vcc
	s_cbranch_execz .LBB996_51
; %bb.38:
	v_lshlrev_b32_e32 v16, 3, v0
	v_add_co_u32_e32 v16, vcc, v56, v16
	v_addc_co_u32_e32 v17, vcc, 0, v57, vcc
	flat_load_dwordx2 v[16:17], v[16:17]
	s_or_b64 exec, exec, s[34:35]
                                        ; implicit-def: $vgpr18_vgpr19
	s_and_saveexec_b64 s[34:35], s[4:5]
	s_cbranch_execnz .LBB996_52
.LBB996_39:
	s_or_b64 exec, exec, s[34:35]
                                        ; implicit-def: $vgpr20_vgpr21
	s_and_saveexec_b64 s[4:5], s[6:7]
	s_cbranch_execz .LBB996_53
.LBB996_40:
	v_lshlrev_b32_e32 v20, 3, v22
	v_add_co_u32_e32 v20, vcc, v56, v20
	v_addc_co_u32_e32 v21, vcc, 0, v57, vcc
	flat_load_dwordx2 v[20:21], v[20:21]
	s_or_b64 exec, exec, s[4:5]
                                        ; implicit-def: $vgpr22_vgpr23
	s_and_saveexec_b64 s[4:5], s[8:9]
	s_cbranch_execnz .LBB996_54
.LBB996_41:
	s_or_b64 exec, exec, s[4:5]
                                        ; implicit-def: $vgpr24_vgpr25
	s_and_saveexec_b64 s[4:5], s[10:11]
	s_cbranch_execz .LBB996_55
.LBB996_42:
	v_lshlrev_b32_e32 v24, 3, v26
	v_add_co_u32_e32 v24, vcc, v56, v24
	v_addc_co_u32_e32 v25, vcc, 0, v57, vcc
	flat_load_dwordx2 v[24:25], v[24:25]
	s_or_b64 exec, exec, s[4:5]
                                        ; implicit-def: $vgpr26_vgpr27
	s_and_saveexec_b64 s[4:5], s[12:13]
	s_cbranch_execnz .LBB996_56
.LBB996_43:
	s_or_b64 exec, exec, s[4:5]
                                        ; implicit-def: $vgpr28_vgpr29
	s_and_saveexec_b64 s[4:5], s[14:15]
	s_cbranch_execz .LBB996_57
.LBB996_44:
	v_lshlrev_b32_e32 v28, 3, v30
	v_add_co_u32_e32 v28, vcc, v56, v28
	v_addc_co_u32_e32 v29, vcc, 0, v57, vcc
	flat_load_dwordx2 v[28:29], v[28:29]
	s_or_b64 exec, exec, s[4:5]
                                        ; implicit-def: $vgpr30_vgpr31
	s_and_saveexec_b64 s[4:5], s[16:17]
	s_cbranch_execnz .LBB996_58
.LBB996_45:
	s_or_b64 exec, exec, s[4:5]
                                        ; implicit-def: $vgpr32_vgpr33
	s_and_saveexec_b64 s[4:5], s[18:19]
	s_cbranch_execz .LBB996_59
.LBB996_46:
	v_lshlrev_b32_e32 v32, 3, v34
	v_add_co_u32_e32 v32, vcc, v56, v32
	v_addc_co_u32_e32 v33, vcc, 0, v57, vcc
	flat_load_dwordx2 v[32:33], v[32:33]
	s_or_b64 exec, exec, s[4:5]
                                        ; implicit-def: $vgpr34_vgpr35
	s_and_saveexec_b64 s[4:5], s[20:21]
	s_cbranch_execnz .LBB996_60
.LBB996_47:
	s_or_b64 exec, exec, s[4:5]
                                        ; implicit-def: $vgpr36_vgpr37
	s_and_saveexec_b64 s[4:5], s[22:23]
	s_cbranch_execz .LBB996_61
.LBB996_48:
	v_lshlrev_b32_e32 v36, 3, v38
	v_add_co_u32_e32 v36, vcc, v56, v36
	v_addc_co_u32_e32 v37, vcc, 0, v57, vcc
	flat_load_dwordx2 v[36:37], v[36:37]
	s_or_b64 exec, exec, s[4:5]
                                        ; implicit-def: $vgpr38_vgpr39
	s_and_saveexec_b64 s[4:5], s[24:25]
	s_cbranch_execnz .LBB996_62
.LBB996_49:
	s_or_b64 exec, exec, s[4:5]
                                        ; implicit-def: $vgpr40_vgpr41
	s_and_saveexec_b64 s[4:5], s[26:27]
	s_cbranch_execz .LBB996_63
.LBB996_50:
	v_lshlrev_b32_e32 v40, 3, v42
	v_add_co_u32_e32 v40, vcc, v56, v40
	v_addc_co_u32_e32 v41, vcc, 0, v57, vcc
	flat_load_dwordx2 v[40:41], v[40:41]
	s_or_b64 exec, exec, s[4:5]
                                        ; implicit-def: $vgpr42_vgpr43
	s_and_saveexec_b64 s[4:5], s[28:29]
	s_cbranch_execz .LBB996_65
	s_branch .LBB996_64
.LBB996_51:
	s_or_b64 exec, exec, s[34:35]
                                        ; implicit-def: $vgpr18_vgpr19
	s_and_saveexec_b64 s[34:35], s[4:5]
	s_cbranch_execz .LBB996_39
.LBB996_52:
	v_lshlrev_b32_e32 v18, 3, v0
	v_add_co_u32_e32 v18, vcc, v56, v18
	v_addc_co_u32_e32 v19, vcc, 0, v57, vcc
	flat_load_dwordx2 v[18:19], v[18:19] offset:2048
	s_or_b64 exec, exec, s[34:35]
                                        ; implicit-def: $vgpr20_vgpr21
	s_and_saveexec_b64 s[4:5], s[6:7]
	s_cbranch_execnz .LBB996_40
.LBB996_53:
	s_or_b64 exec, exec, s[4:5]
                                        ; implicit-def: $vgpr22_vgpr23
	s_and_saveexec_b64 s[4:5], s[8:9]
	s_cbranch_execz .LBB996_41
.LBB996_54:
	v_lshlrev_b32_e32 v22, 3, v24
	v_add_co_u32_e32 v22, vcc, v56, v22
	v_addc_co_u32_e32 v23, vcc, 0, v57, vcc
	flat_load_dwordx2 v[22:23], v[22:23]
	s_or_b64 exec, exec, s[4:5]
                                        ; implicit-def: $vgpr24_vgpr25
	s_and_saveexec_b64 s[4:5], s[10:11]
	s_cbranch_execnz .LBB996_42
.LBB996_55:
	s_or_b64 exec, exec, s[4:5]
                                        ; implicit-def: $vgpr26_vgpr27
	s_and_saveexec_b64 s[4:5], s[12:13]
	s_cbranch_execz .LBB996_43
.LBB996_56:
	v_lshlrev_b32_e32 v26, 3, v28
	v_add_co_u32_e32 v26, vcc, v56, v26
	v_addc_co_u32_e32 v27, vcc, 0, v57, vcc
	flat_load_dwordx2 v[26:27], v[26:27]
	s_or_b64 exec, exec, s[4:5]
                                        ; implicit-def: $vgpr28_vgpr29
	s_and_saveexec_b64 s[4:5], s[14:15]
	s_cbranch_execnz .LBB996_44
.LBB996_57:
	s_or_b64 exec, exec, s[4:5]
                                        ; implicit-def: $vgpr30_vgpr31
	s_and_saveexec_b64 s[4:5], s[16:17]
	s_cbranch_execz .LBB996_45
.LBB996_58:
	v_lshlrev_b32_e32 v30, 3, v32
	v_add_co_u32_e32 v30, vcc, v56, v30
	v_addc_co_u32_e32 v31, vcc, 0, v57, vcc
	flat_load_dwordx2 v[30:31], v[30:31]
	s_or_b64 exec, exec, s[4:5]
                                        ; implicit-def: $vgpr32_vgpr33
	s_and_saveexec_b64 s[4:5], s[18:19]
	s_cbranch_execnz .LBB996_46
.LBB996_59:
	s_or_b64 exec, exec, s[4:5]
                                        ; implicit-def: $vgpr34_vgpr35
	s_and_saveexec_b64 s[4:5], s[20:21]
	s_cbranch_execz .LBB996_47
.LBB996_60:
	v_lshlrev_b32_e32 v34, 3, v36
	v_add_co_u32_e32 v34, vcc, v56, v34
	v_addc_co_u32_e32 v35, vcc, 0, v57, vcc
	flat_load_dwordx2 v[34:35], v[34:35]
	s_or_b64 exec, exec, s[4:5]
                                        ; implicit-def: $vgpr36_vgpr37
	s_and_saveexec_b64 s[4:5], s[22:23]
	s_cbranch_execnz .LBB996_48
.LBB996_61:
	s_or_b64 exec, exec, s[4:5]
                                        ; implicit-def: $vgpr38_vgpr39
	s_and_saveexec_b64 s[4:5], s[24:25]
	s_cbranch_execz .LBB996_49
.LBB996_62:
	v_lshlrev_b32_e32 v38, 3, v40
	v_add_co_u32_e32 v38, vcc, v56, v38
	v_addc_co_u32_e32 v39, vcc, 0, v57, vcc
	flat_load_dwordx2 v[38:39], v[38:39]
	s_or_b64 exec, exec, s[4:5]
                                        ; implicit-def: $vgpr40_vgpr41
	s_and_saveexec_b64 s[4:5], s[26:27]
	s_cbranch_execnz .LBB996_50
.LBB996_63:
	s_or_b64 exec, exec, s[4:5]
                                        ; implicit-def: $vgpr42_vgpr43
	s_and_saveexec_b64 s[4:5], s[28:29]
	s_cbranch_execz .LBB996_65
.LBB996_64:
	v_lshlrev_b32_e32 v42, 3, v44
	v_add_co_u32_e32 v42, vcc, v56, v42
	v_addc_co_u32_e32 v43, vcc, 0, v57, vcc
	flat_load_dwordx2 v[42:43], v[42:43]
.LBB996_65:
	s_or_b64 exec, exec, s[4:5]
	v_mul_u32_u24_e32 v58, 15, v0
                                        ; implicit-def: $vgpr44_vgpr45
	s_and_saveexec_b64 s[4:5], s[30:31]
	s_cbranch_execz .LBB996_67
; %bb.66:
	v_lshlrev_b32_e32 v44, 3, v47
	v_add_co_u32_e32 v44, vcc, v56, v44
	v_addc_co_u32_e32 v45, vcc, 0, v57, vcc
	flat_load_dwordx2 v[44:45], v[44:45]
.LBB996_67:
	s_or_b64 exec, exec, s[4:5]
	s_movk_i32 s4, 0xffcc
	v_mad_i32_i24 v46, v0, s4, v46
	v_add_u32_e32 v72, 1, v58
	v_add_u32_e32 v70, 2, v58
	;; [unrolled: 1-line block ×14, first 2 shown]
	s_waitcnt vmcnt(0) lgkmcnt(0)
	ds_write2st64_b64 v46, v[16:17], v[18:19] offset1:4
	ds_write2st64_b64 v46, v[20:21], v[22:23] offset0:8 offset1:12
	ds_write2st64_b64 v46, v[24:25], v[26:27] offset0:16 offset1:20
	;; [unrolled: 1-line block ×6, first 2 shown]
	ds_write_b64 v46, v[44:45] offset:28672
	v_mov_b32_e32 v52, v14
	v_mov_b32_e32 v53, v12
	;; [unrolled: 1-line block ×7, first 2 shown]
	s_waitcnt lgkmcnt(0)
	s_barrier
.LBB996_68:
	v_lshlrev_b32_e32 v16, 3, v58
	v_lshlrev_b32_e32 v17, 3, v72
	v_lshlrev_b32_e32 v18, 3, v70
	v_lshlrev_b32_e32 v19, 3, v71
	ds_read_b64 v[42:43], v16
	ds_read_b64 v[40:41], v17
	ds_read_b64 v[38:39], v18
	ds_read_b64 v[34:35], v19
	v_lshlrev_b32_e32 v16, 3, v67
	v_lshlrev_b32_e32 v17, 3, v69
	v_lshlrev_b32_e32 v18, 3, v66
	v_lshlrev_b32_e32 v19, 3, v68
	ds_read_b64 v[36:37], v16
	ds_read_b64 v[32:33], v17
	ds_read_b64 v[30:31], v18
	ds_read_b64 v[26:27], v19
	;; [unrolled: 8-line block ×3, first 2 shown]
	v_lshlrev_b32_e32 v16, 3, v60
	v_lshlrev_b32_e32 v17, 3, v61
	;; [unrolled: 1-line block ×3, first 2 shown]
	ds_read_b64 v[18:19], v16
	ds_read_b64 v[16:17], v17
	;; [unrolled: 1-line block ×3, first 2 shown]
	s_cmp_eq_u64 s[58:59], 0
	s_cselect_b64 s[30:31], -1, 0
	s_cmp_lg_u64 s[58:59], 0
	s_mov_b64 s[6:7], 0
	s_cselect_b64 s[8:9], -1, 0
	s_and_b64 vcc, exec, s[46:47]
	s_waitcnt lgkmcnt(0)
	s_barrier
	s_cbranch_vccz .LBB996_74
; %bb.69:
	s_and_b64 vcc, exec, s[8:9]
	s_cbranch_vccz .LBB996_195
; %bb.70:
	v_add_co_u32_e32 v56, vcc, -4, v54
	v_addc_co_u32_e32 v57, vcc, -1, v55, vcc
	flat_load_dword v51, v[56:57]
	v_lshlrev_b32_e32 v56, 2, v0
	ds_write_b32 v56, v1
	s_waitcnt lgkmcnt(0)
	s_barrier
	s_and_saveexec_b64 s[4:5], s[2:3]
	s_cbranch_execz .LBB996_72
; %bb.71:
	s_waitcnt vmcnt(0)
	v_add_u32_e32 v51, -4, v56
	ds_read_b32 v51, v51
.LBB996_72:
	s_or_b64 exec, exec, s[4:5]
	v_cmp_ne_u32_e32 vcc, v52, v15
	v_cndmask_b32_e64 v95, 0, 1, vcc
	v_cmp_ne_u32_e32 vcc, v53, v15
	v_cndmask_b32_e64 v94, 0, 1, vcc
	;; [unrolled: 2-line block ×14, first 2 shown]
	s_waitcnt vmcnt(0) lgkmcnt(0)
	v_cmp_ne_u32_e64 s[4:5], v51, v14
	s_mov_b64 s[6:7], -1
.LBB996_73:
                                        ; implicit-def: $sgpr12
	s_branch .LBB996_75
.LBB996_74:
                                        ; implicit-def: $sgpr4_sgpr5
                                        ; implicit-def: $vgpr82
                                        ; implicit-def: $vgpr83
                                        ; implicit-def: $vgpr84
                                        ; implicit-def: $vgpr85
                                        ; implicit-def: $vgpr86
                                        ; implicit-def: $vgpr87
                                        ; implicit-def: $vgpr88
                                        ; implicit-def: $vgpr89
                                        ; implicit-def: $vgpr90
                                        ; implicit-def: $vgpr91
                                        ; implicit-def: $vgpr92
                                        ; implicit-def: $vgpr93
                                        ; implicit-def: $vgpr94
                                        ; implicit-def: $vgpr95
                                        ; implicit-def: $sgpr12
	s_cbranch_execnz .LBB996_199
.LBB996_75:
	v_mov_b32_e32 v96, s12
	s_and_saveexec_b64 s[2:3], s[6:7]
.LBB996_76:
	v_cndmask_b32_e64 v96, 0, 1, s[4:5]
.LBB996_77:
	s_or_b64 exec, exec, s[2:3]
	s_cmp_eq_u64 s[42:43], 0
	v_add3_u32 v46, v95, v96, v94
	s_cselect_b64 s[34:35], -1, 0
	s_cmp_lg_u32 s62, 0
	v_cmp_eq_u32_e64 s[26:27], 0, v95
	v_cmp_eq_u32_e64 s[24:25], 0, v94
	;; [unrolled: 1-line block ×3, first 2 shown]
	v_add3_u32 v98, v46, v93, v92
	v_cmp_eq_u32_e64 s[20:21], 0, v92
	v_cmp_eq_u32_e64 s[18:19], 0, v91
	;; [unrolled: 1-line block ×10, first 2 shown]
	v_cmp_eq_u32_e32 vcc, 0, v82
	v_mbcnt_lo_u32_b32 v97, -1, 0
	s_cbranch_scc0 .LBB996_148
; %bb.78:
	v_cndmask_b32_e64 v47, 0, v42, s[26:27]
	v_cndmask_b32_e64 v46, 0, v43, s[26:27]
	v_add_co_u32_e64 v47, s[28:29], v47, v40
	v_addc_co_u32_e64 v46, s[28:29], v46, v41, s[28:29]
	v_cndmask_b32_e64 v47, 0, v47, s[24:25]
	v_cndmask_b32_e64 v46, 0, v46, s[24:25]
	v_add_co_u32_e64 v47, s[28:29], v47, v38
	v_addc_co_u32_e64 v46, s[28:29], v46, v39, s[28:29]
	;; [unrolled: 4-line block ×11, first 2 shown]
	v_cndmask_b32_e64 v47, 0, v47, s[4:5]
	v_add3_u32 v48, v98, v91, v90
	v_cndmask_b32_e64 v46, 0, v46, s[4:5]
	v_add_co_u32_e64 v47, s[28:29], v47, v18
	v_add3_u32 v48, v48, v89, v88
	v_addc_co_u32_e64 v46, s[28:29], v46, v19, s[28:29]
	v_cndmask_b32_e64 v47, 0, v47, s[2:3]
	v_add3_u32 v48, v48, v87, v86
	v_cndmask_b32_e64 v46, 0, v46, s[2:3]
	v_add_co_u32_e64 v47, s[28:29], v47, v16
	v_add3_u32 v48, v48, v85, v84
	v_addc_co_u32_e64 v46, s[28:29], v46, v17, s[28:29]
	v_cndmask_b32_e32 v47, 0, v47, vcc
	v_add3_u32 v50, v48, v83, v82
	v_cndmask_b32_e32 v46, 0, v46, vcc
	v_add_co_u32_e32 v48, vcc, v47, v44
	v_mbcnt_hi_u32_b32 v51, -1, v97
	v_addc_co_u32_e32 v49, vcc, v46, v45, vcc
	v_and_b32_e32 v46, 15, v51
	v_mov_b32_dpp v52, v50 row_shr:1 row_mask:0xf bank_mask:0xf
	v_mov_b32_dpp v47, v48 row_shr:1 row_mask:0xf bank_mask:0xf
	;; [unrolled: 1-line block ×3, first 2 shown]
	v_cmp_ne_u32_e32 vcc, 0, v46
	s_and_saveexec_b64 s[28:29], vcc
; %bb.79:
	v_cmp_eq_u32_e32 vcc, 0, v50
	v_cndmask_b32_e32 v47, 0, v47, vcc
	v_add_u32_e32 v52, v52, v50
	v_cndmask_b32_e32 v50, 0, v53, vcc
	v_add_co_u32_e32 v48, vcc, v47, v48
	v_addc_co_u32_e32 v49, vcc, v50, v49, vcc
	v_mov_b32_e32 v50, v52
; %bb.80:
	s_or_b64 exec, exec, s[28:29]
	s_nop 0
	v_mov_b32_dpp v52, v50 row_shr:2 row_mask:0xf bank_mask:0xf
	v_mov_b32_dpp v47, v48 row_shr:2 row_mask:0xf bank_mask:0xf
	v_mov_b32_dpp v53, v49 row_shr:2 row_mask:0xf bank_mask:0xf
	v_cmp_lt_u32_e32 vcc, 1, v46
	s_and_saveexec_b64 s[28:29], vcc
; %bb.81:
	v_cmp_eq_u32_e32 vcc, 0, v50
	v_cndmask_b32_e32 v47, 0, v47, vcc
	v_add_u32_e32 v52, v52, v50
	v_cndmask_b32_e32 v50, 0, v53, vcc
	v_add_co_u32_e32 v48, vcc, v47, v48
	v_addc_co_u32_e32 v49, vcc, v50, v49, vcc
	v_mov_b32_e32 v50, v52
; %bb.82:
	s_or_b64 exec, exec, s[28:29]
	s_nop 0
	v_mov_b32_dpp v52, v50 row_shr:4 row_mask:0xf bank_mask:0xf
	v_mov_b32_dpp v47, v48 row_shr:4 row_mask:0xf bank_mask:0xf
	v_mov_b32_dpp v53, v49 row_shr:4 row_mask:0xf bank_mask:0xf
	v_cmp_lt_u32_e32 vcc, 3, v46
	;; [unrolled: 16-line block ×3, first 2 shown]
	s_and_saveexec_b64 s[28:29], vcc
; %bb.85:
	v_cmp_eq_u32_e32 vcc, 0, v50
	v_cndmask_b32_e32 v47, 0, v47, vcc
	v_add_u32_e32 v46, v52, v50
	v_cndmask_b32_e32 v50, 0, v53, vcc
	v_add_co_u32_e32 v48, vcc, v47, v48
	v_addc_co_u32_e32 v49, vcc, v50, v49, vcc
	v_mov_b32_e32 v50, v46
; %bb.86:
	s_or_b64 exec, exec, s[28:29]
	v_and_b32_e32 v53, 16, v51
	v_mov_b32_dpp v47, v50 row_bcast:15 row_mask:0xf bank_mask:0xf
	v_mov_b32_dpp v46, v48 row_bcast:15 row_mask:0xf bank_mask:0xf
	;; [unrolled: 1-line block ×3, first 2 shown]
	v_cmp_ne_u32_e32 vcc, 0, v53
	s_and_saveexec_b64 s[28:29], vcc
; %bb.87:
	v_cmp_eq_u32_e32 vcc, 0, v50
	v_cndmask_b32_e32 v46, 0, v46, vcc
	v_add_u32_e32 v47, v47, v50
	v_cndmask_b32_e32 v50, 0, v52, vcc
	v_add_co_u32_e32 v48, vcc, v46, v48
	v_addc_co_u32_e32 v49, vcc, v50, v49, vcc
	v_mov_b32_e32 v50, v47
; %bb.88:
	s_or_b64 exec, exec, s[28:29]
	s_nop 0
	v_mov_b32_dpp v47, v50 row_bcast:31 row_mask:0xf bank_mask:0xf
	v_mov_b32_dpp v46, v48 row_bcast:31 row_mask:0xf bank_mask:0xf
	;; [unrolled: 1-line block ×3, first 2 shown]
	v_cmp_lt_u32_e32 vcc, 31, v51
	s_and_saveexec_b64 s[28:29], vcc
; %bb.89:
	v_cmp_eq_u32_e32 vcc, 0, v50
	v_cndmask_b32_e32 v46, 0, v46, vcc
	v_add_u32_e32 v47, v47, v50
	v_cndmask_b32_e32 v50, 0, v52, vcc
	v_add_co_u32_e32 v48, vcc, v46, v48
	v_addc_co_u32_e32 v49, vcc, v50, v49, vcc
	v_mov_b32_e32 v50, v47
; %bb.90:
	s_or_b64 exec, exec, s[28:29]
	v_lshrrev_b32_e32 v46, 6, v0
	v_or_b32_e32 v47, 63, v0
	v_cmp_eq_u32_e32 vcc, v47, v0
	v_lshlrev_b32_e32 v52, 4, v46
	s_and_saveexec_b64 s[28:29], vcc
	s_cbranch_execz .LBB996_92
; %bb.91:
	ds_write_b32 v52, v50 offset:2080
	ds_write_b64 v52, v[48:49] offset:2088
.LBB996_92:
	s_or_b64 exec, exec, s[28:29]
	v_cmp_gt_u32_e32 vcc, 4, v0
	s_waitcnt lgkmcnt(0)
	s_barrier
	s_and_saveexec_b64 s[28:29], vcc
	s_cbranch_execz .LBB996_98
; %bb.93:
	v_lshlrev_b32_e32 v53, 4, v0
	ds_read_b32 v54, v53 offset:2080
	ds_read_b64 v[46:47], v53 offset:2088
	v_and_b32_e32 v55, 3, v51
	v_cmp_ne_u32_e32 vcc, 0, v55
	s_waitcnt lgkmcnt(1)
	v_mov_b32_dpp v57, v54 row_shr:1 row_mask:0xf bank_mask:0xf
	s_waitcnt lgkmcnt(0)
	v_mov_b32_dpp v56, v46 row_shr:1 row_mask:0xf bank_mask:0xf
	v_mov_b32_dpp v58, v47 row_shr:1 row_mask:0xf bank_mask:0xf
	s_and_saveexec_b64 s[42:43], vcc
; %bb.94:
	v_cmp_eq_u32_e32 vcc, 0, v54
	v_cndmask_b32_e32 v56, 0, v56, vcc
	v_add_u32_e32 v57, v57, v54
	v_cndmask_b32_e32 v54, 0, v58, vcc
	v_add_co_u32_e32 v46, vcc, v56, v46
	v_addc_co_u32_e32 v47, vcc, v54, v47, vcc
	v_mov_b32_e32 v54, v57
; %bb.95:
	s_or_b64 exec, exec, s[42:43]
	s_nop 0
	v_mov_b32_dpp v57, v54 row_shr:2 row_mask:0xf bank_mask:0xf
	v_mov_b32_dpp v56, v46 row_shr:2 row_mask:0xf bank_mask:0xf
	;; [unrolled: 1-line block ×3, first 2 shown]
	v_cmp_lt_u32_e32 vcc, 1, v55
	s_and_saveexec_b64 s[42:43], vcc
; %bb.96:
	v_cmp_eq_u32_e32 vcc, 0, v54
	v_cndmask_b32_e32 v56, 0, v56, vcc
	v_add_u32_e32 v55, v57, v54
	v_cndmask_b32_e32 v54, 0, v58, vcc
	v_add_co_u32_e32 v46, vcc, v56, v46
	v_addc_co_u32_e32 v47, vcc, v54, v47, vcc
	v_mov_b32_e32 v54, v55
; %bb.97:
	s_or_b64 exec, exec, s[42:43]
	ds_write_b32 v53, v54 offset:2080
	ds_write_b64 v53, v[46:47] offset:2088
.LBB996_98:
	s_or_b64 exec, exec, s[28:29]
	v_cmp_gt_u32_e32 vcc, 64, v0
	v_cmp_lt_u32_e64 s[28:29], 63, v0
	v_pk_mov_b32 v[46:47], 0, 0
	v_mov_b32_e32 v58, 0
	s_waitcnt lgkmcnt(0)
	s_barrier
	s_and_saveexec_b64 s[42:43], s[28:29]
	s_cbranch_execz .LBB996_100
; %bb.99:
	ds_read_b32 v58, v52 offset:2064
	ds_read_b64 v[46:47], v52 offset:2072
	v_cmp_eq_u32_e64 s[28:29], 0, v50
	s_waitcnt lgkmcnt(1)
	v_add_u32_e32 v52, v58, v50
	s_waitcnt lgkmcnt(0)
	v_cndmask_b32_e64 v53, 0, v46, s[28:29]
	v_cndmask_b32_e64 v50, 0, v47, s[28:29]
	v_add_co_u32_e64 v48, s[28:29], v53, v48
	v_addc_co_u32_e64 v49, s[28:29], v50, v49, s[28:29]
	v_mov_b32_e32 v50, v52
.LBB996_100:
	s_or_b64 exec, exec, s[42:43]
	v_add_u32_e32 v52, -1, v51
	v_and_b32_e32 v53, 64, v51
	v_cmp_lt_i32_e64 s[28:29], v52, v53
	v_cndmask_b32_e64 v52, v52, v51, s[28:29]
	v_lshlrev_b32_e32 v52, 2, v52
	ds_bpermute_b32 v59, v52, v50
	ds_bpermute_b32 v60, v52, v48
	;; [unrolled: 1-line block ×3, first 2 shown]
	v_cmp_eq_u32_e64 s[28:29], 0, v51
	s_and_saveexec_b64 s[42:43], vcc
	s_cbranch_execz .LBB996_147
; %bb.101:
	v_mov_b32_e32 v53, 0
	ds_read_b32 v62, v53 offset:2128
	ds_read_b64 v[48:49], v53 offset:2136
	s_and_saveexec_b64 s[46:47], s[28:29]
	s_cbranch_execz .LBB996_103
; %bb.102:
	s_add_i32 s48, s62, 64
	s_mov_b32 s49, 0
	s_lshl_b64 s[58:59], s[48:49], 4
	s_add_u32 s58, s36, s58
	s_addc_u32 s59, s37, s59
	v_mov_b32_e32 v50, s48
	v_mov_b32_e32 v52, 1
	s_waitcnt lgkmcnt(1)
	global_store_dword v53, v62, s[58:59]
	s_waitcnt lgkmcnt(0)
	global_store_dwordx2 v53, v[48:49], s[58:59] offset:8
	s_waitcnt vmcnt(0)
	buffer_wbinvl1_vol
	global_store_byte v50, v52, s[40:41]
.LBB996_103:
	s_or_b64 exec, exec, s[46:47]
	v_xad_u32 v50, v51, -1, s62
	v_add_u32_e32 v52, 64, v50
	global_load_ubyte v63, v52, s[40:41] glc
	s_waitcnt vmcnt(0)
	v_cmp_eq_u16_e32 vcc, 0, v63
	s_and_saveexec_b64 s[46:47], vcc
	s_cbranch_execz .LBB996_109
; %bb.104:
	v_mov_b32_e32 v55, s41
	v_add_co_u32_e32 v54, vcc, s40, v52
	v_addc_co_u32_e32 v55, vcc, 0, v55, vcc
	s_mov_b32 s58, 1
	s_mov_b64 s[48:49], 0
.LBB996_105:                            ; =>This Loop Header: Depth=1
                                        ;     Child Loop BB996_106 Depth 2
	s_max_u32 s59, s58, 1
.LBB996_106:                            ;   Parent Loop BB996_105 Depth=1
                                        ; =>  This Inner Loop Header: Depth=2
	s_add_i32 s59, s59, -1
	s_cmp_eq_u32 s59, 0
	s_sleep 1
	s_cbranch_scc0 .LBB996_106
; %bb.107:                              ;   in Loop: Header=BB996_105 Depth=1
	global_load_ubyte v63, v[54:55], off glc
	s_cmp_lt_u32 s58, 32
	s_cselect_b64 s[60:61], -1, 0
	s_cmp_lg_u64 s[60:61], 0
	s_addc_u32 s58, s58, 0
	s_waitcnt vmcnt(0)
	v_cmp_ne_u16_e32 vcc, 0, v63
	s_or_b64 s[48:49], vcc, s[48:49]
	s_andn2_b64 exec, exec, s[48:49]
	s_cbranch_execnz .LBB996_105
; %bb.108:
	s_or_b64 exec, exec, s[48:49]
.LBB996_109:
	s_or_b64 exec, exec, s[46:47]
	v_mov_b32_e32 v54, s39
	v_mov_b32_e32 v55, s37
	v_cmp_eq_u16_e32 vcc, 1, v63
	v_cndmask_b32_e32 v54, v54, v55, vcc
	v_mov_b32_e32 v55, s38
	v_mov_b32_e32 v56, s36
	v_cndmask_b32_e32 v55, v55, v56, vcc
	v_lshlrev_b64 v[52:53], 4, v[52:53]
	v_add_co_u32_e32 v52, vcc, v55, v52
	v_addc_co_u32_e32 v53, vcc, v54, v53, vcc
	s_waitcnt lgkmcnt(0)
	buffer_wbinvl1_vol
	global_load_dword v78, v[52:53], off
	global_load_dwordx2 v[56:57], v[52:53], off offset:8
	v_cmp_eq_u16_e32 vcc, 2, v63
	v_lshlrev_b64 v[52:53], v51, -1
	v_and_b32_e32 v64, 63, v51
	v_and_b32_e32 v54, vcc_hi, v53
	v_and_b32_e32 v68, vcc_lo, v52
	v_cmp_ne_u32_e32 vcc, 63, v64
	v_addc_co_u32_e32 v55, vcc, 0, v51, vcc
	v_lshlrev_b32_e32 v65, 2, v55
	v_or_b32_e32 v54, 0x80000000, v54
	v_ffbl_b32_e32 v54, v54
	v_add_u32_e32 v54, 32, v54
	v_ffbl_b32_e32 v68, v68
	v_min_u32_e32 v54, v68, v54
	v_cmp_lt_u32_e32 vcc, v64, v54
	s_waitcnt vmcnt(1)
	ds_bpermute_b32 v66, v65, v78
	s_waitcnt vmcnt(0)
	ds_bpermute_b32 v55, v65, v56
	ds_bpermute_b32 v67, v65, v57
	s_and_saveexec_b64 s[46:47], vcc
	s_cbranch_execz .LBB996_111
; %bb.110:
	v_cmp_eq_u32_e32 vcc, 0, v78
	s_waitcnt lgkmcnt(1)
	v_cndmask_b32_e32 v55, 0, v55, vcc
	v_add_u32_e32 v66, v66, v78
	s_waitcnt lgkmcnt(0)
	v_cndmask_b32_e32 v67, 0, v67, vcc
	v_add_co_u32_e32 v56, vcc, v55, v56
	v_addc_co_u32_e32 v57, vcc, v67, v57, vcc
	v_mov_b32_e32 v78, v66
.LBB996_111:
	s_or_b64 exec, exec, s[46:47]
	v_cmp_gt_u32_e32 vcc, 62, v64
	s_waitcnt lgkmcnt(1)
	v_cndmask_b32_e64 v55, 0, 1, vcc
	v_lshlrev_b32_e32 v55, 1, v55
	v_add_lshl_u32 v66, v55, v51, 2
	ds_bpermute_b32 v68, v66, v78
	ds_bpermute_b32 v55, v66, v56
	ds_bpermute_b32 v69, v66, v57
	s_waitcnt lgkmcnt(3)
	v_add_u32_e32 v67, 2, v64
	v_cmp_le_u32_e32 vcc, v67, v54
	s_and_saveexec_b64 s[46:47], vcc
	s_cbranch_execz .LBB996_113
; %bb.112:
	v_cmp_eq_u32_e32 vcc, 0, v78
	s_waitcnt lgkmcnt(1)
	v_cndmask_b32_e32 v55, 0, v55, vcc
	v_add_u32_e32 v68, v68, v78
	s_waitcnt lgkmcnt(0)
	v_cndmask_b32_e32 v69, 0, v69, vcc
	v_add_co_u32_e32 v56, vcc, v55, v56
	v_addc_co_u32_e32 v57, vcc, v69, v57, vcc
	v_mov_b32_e32 v78, v68
.LBB996_113:
	s_or_b64 exec, exec, s[46:47]
	v_cmp_gt_u32_e32 vcc, 60, v64
	s_waitcnt lgkmcnt(1)
	v_cndmask_b32_e64 v55, 0, 1, vcc
	v_lshlrev_b32_e32 v55, 2, v55
	v_add_lshl_u32 v68, v55, v51, 2
	ds_bpermute_b32 v70, v68, v78
	ds_bpermute_b32 v55, v68, v56
	ds_bpermute_b32 v71, v68, v57
	s_waitcnt lgkmcnt(3)
	v_add_u32_e32 v69, 4, v64
	v_cmp_le_u32_e32 vcc, v69, v54
	;; [unrolled: 25-line block ×4, first 2 shown]
	s_and_saveexec_b64 s[46:47], vcc
	s_cbranch_execz .LBB996_119
; %bb.118:
	v_cmp_eq_u32_e32 vcc, 0, v78
	s_waitcnt lgkmcnt(1)
	v_cndmask_b32_e32 v55, 0, v55, vcc
	v_add_u32_e32 v74, v74, v78
	s_waitcnt lgkmcnt(0)
	v_cndmask_b32_e32 v75, 0, v75, vcc
	v_add_co_u32_e32 v56, vcc, v55, v56
	v_addc_co_u32_e32 v57, vcc, v75, v57, vcc
	v_mov_b32_e32 v78, v74
.LBB996_119:
	s_or_b64 exec, exec, s[46:47]
	v_cmp_gt_u32_e32 vcc, 32, v64
	s_waitcnt lgkmcnt(1)
	v_cndmask_b32_e64 v55, 0, 1, vcc
	v_lshlrev_b32_e32 v55, 5, v55
	v_add_lshl_u32 v74, v55, v51, 2
	ds_bpermute_b32 v55, v74, v78
	ds_bpermute_b32 v51, v74, v56
	s_waitcnt lgkmcnt(2)
	ds_bpermute_b32 v75, v74, v57
	v_add_u32_e32 v76, 32, v64
	v_cmp_le_u32_e32 vcc, v76, v54
	s_and_saveexec_b64 s[46:47], vcc
	s_cbranch_execz .LBB996_121
; %bb.120:
	v_cmp_eq_u32_e32 vcc, 0, v78
	s_waitcnt lgkmcnt(1)
	v_cndmask_b32_e32 v51, 0, v51, vcc
	v_add_u32_e32 v54, v55, v78
	s_waitcnt lgkmcnt(0)
	v_cndmask_b32_e32 v55, 0, v75, vcc
	v_add_co_u32_e32 v56, vcc, v51, v56
	v_addc_co_u32_e32 v57, vcc, v55, v57, vcc
	v_mov_b32_e32 v78, v54
.LBB996_121:
	s_or_b64 exec, exec, s[46:47]
	s_waitcnt lgkmcnt(1)
	v_mov_b32_e32 v51, 0
	v_mov_b32_e32 v77, 2
	s_branch .LBB996_123
.LBB996_122:                            ;   in Loop: Header=BB996_123 Depth=1
	s_or_b64 exec, exec, s[46:47]
	v_cmp_eq_u32_e32 vcc, 0, v75
	v_cndmask_b32_e32 v56, 0, v56, vcc
	v_cndmask_b32_e32 v57, 0, v57, vcc
	v_add_co_u32_e32 v56, vcc, v56, v54
	v_subrev_u32_e32 v50, 64, v50
	v_add_u32_e32 v78, v79, v75
	v_addc_co_u32_e32 v57, vcc, v57, v55, vcc
.LBB996_123:                            ; =>This Loop Header: Depth=1
                                        ;     Child Loop BB996_126 Depth 2
                                        ;       Child Loop BB996_127 Depth 3
	v_cmp_ne_u16_sdwa s[46:47], v63, v77 src0_sel:BYTE_0 src1_sel:DWORD
	v_pk_mov_b32 v[54:55], v[56:57], v[56:57] op_sel:[0,1]
	v_cndmask_b32_e64 v56, 0, 1, s[46:47]
	;;#ASMSTART
	;;#ASMEND
	v_cmp_ne_u32_e32 vcc, 0, v56
	s_cmp_lg_u64 vcc, exec
	s_waitcnt lgkmcnt(0)
	v_mov_b32_e32 v75, v78
	s_cbranch_scc1 .LBB996_142
; %bb.124:                              ;   in Loop: Header=BB996_123 Depth=1
	global_load_ubyte v63, v50, s[40:41] glc
	s_waitcnt vmcnt(0)
	v_cmp_eq_u16_e32 vcc, 0, v63
	s_and_saveexec_b64 s[46:47], vcc
	s_cbranch_execz .LBB996_130
; %bb.125:                              ;   in Loop: Header=BB996_123 Depth=1
	v_mov_b32_e32 v57, s41
	v_add_co_u32_e32 v56, vcc, s40, v50
	v_addc_co_u32_e32 v57, vcc, 0, v57, vcc
	s_mov_b32 s58, 1
	s_mov_b64 s[48:49], 0
.LBB996_126:                            ;   Parent Loop BB996_123 Depth=1
                                        ; =>  This Loop Header: Depth=2
                                        ;       Child Loop BB996_127 Depth 3
	s_max_u32 s59, s58, 1
.LBB996_127:                            ;   Parent Loop BB996_123 Depth=1
                                        ;     Parent Loop BB996_126 Depth=2
                                        ; =>    This Inner Loop Header: Depth=3
	s_add_i32 s59, s59, -1
	s_cmp_eq_u32 s59, 0
	s_sleep 1
	s_cbranch_scc0 .LBB996_127
; %bb.128:                              ;   in Loop: Header=BB996_126 Depth=2
	global_load_ubyte v63, v[56:57], off glc
	s_cmp_lt_u32 s58, 32
	s_cselect_b64 s[60:61], -1, 0
	s_cmp_lg_u64 s[60:61], 0
	s_addc_u32 s58, s58, 0
	s_waitcnt vmcnt(0)
	v_cmp_ne_u16_e32 vcc, 0, v63
	s_or_b64 s[48:49], vcc, s[48:49]
	s_andn2_b64 exec, exec, s[48:49]
	s_cbranch_execnz .LBB996_126
; %bb.129:                              ;   in Loop: Header=BB996_123 Depth=1
	s_or_b64 exec, exec, s[48:49]
.LBB996_130:                            ;   in Loop: Header=BB996_123 Depth=1
	s_or_b64 exec, exec, s[46:47]
	v_mov_b32_e32 v56, s39
	v_mov_b32_e32 v57, s37
	v_cmp_eq_u16_e32 vcc, 1, v63
	v_cndmask_b32_e32 v78, v56, v57, vcc
	v_mov_b32_e32 v56, s38
	v_mov_b32_e32 v57, s36
	v_cndmask_b32_e32 v79, v56, v57, vcc
	v_lshlrev_b64 v[56:57], 4, v[50:51]
	v_add_co_u32_e32 v56, vcc, v79, v56
	v_addc_co_u32_e32 v57, vcc, v78, v57, vcc
	buffer_wbinvl1_vol
	global_load_dword v79, v[56:57], off
	s_nop 0
	global_load_dwordx2 v[56:57], v[56:57], off offset:8
	v_cmp_eq_u16_e32 vcc, 2, v63
	v_and_b32_e32 v78, vcc_hi, v53
	v_or_b32_e32 v78, 0x80000000, v78
	v_and_b32_e32 v100, vcc_lo, v52
	v_ffbl_b32_e32 v78, v78
	v_add_u32_e32 v78, 32, v78
	v_ffbl_b32_e32 v100, v100
	v_min_u32_e32 v78, v100, v78
	v_cmp_lt_u32_e32 vcc, v64, v78
	s_waitcnt vmcnt(1)
	ds_bpermute_b32 v81, v65, v79
	s_waitcnt vmcnt(0)
	ds_bpermute_b32 v80, v65, v56
	ds_bpermute_b32 v99, v65, v57
	s_and_saveexec_b64 s[46:47], vcc
	s_cbranch_execz .LBB996_132
; %bb.131:                              ;   in Loop: Header=BB996_123 Depth=1
	v_cmp_eq_u32_e32 vcc, 0, v79
	s_waitcnt lgkmcnt(1)
	v_cndmask_b32_e32 v80, 0, v80, vcc
	v_add_u32_e32 v81, v81, v79
	s_waitcnt lgkmcnt(0)
	v_cndmask_b32_e32 v79, 0, v99, vcc
	v_add_co_u32_e32 v56, vcc, v80, v56
	v_addc_co_u32_e32 v57, vcc, v79, v57, vcc
	v_mov_b32_e32 v79, v81
.LBB996_132:                            ;   in Loop: Header=BB996_123 Depth=1
	s_or_b64 exec, exec, s[46:47]
	s_waitcnt lgkmcnt(2)
	ds_bpermute_b32 v81, v66, v79
	s_waitcnt lgkmcnt(2)
	ds_bpermute_b32 v80, v66, v56
	s_waitcnt lgkmcnt(2)
	ds_bpermute_b32 v99, v66, v57
	v_cmp_le_u32_e32 vcc, v67, v78
	s_and_saveexec_b64 s[46:47], vcc
	s_cbranch_execz .LBB996_134
; %bb.133:                              ;   in Loop: Header=BB996_123 Depth=1
	v_cmp_eq_u32_e32 vcc, 0, v79
	s_waitcnt lgkmcnt(1)
	v_cndmask_b32_e32 v80, 0, v80, vcc
	v_add_u32_e32 v81, v81, v79
	s_waitcnt lgkmcnt(0)
	v_cndmask_b32_e32 v79, 0, v99, vcc
	v_add_co_u32_e32 v56, vcc, v80, v56
	v_addc_co_u32_e32 v57, vcc, v79, v57, vcc
	v_mov_b32_e32 v79, v81
.LBB996_134:                            ;   in Loop: Header=BB996_123 Depth=1
	s_or_b64 exec, exec, s[46:47]
	s_waitcnt lgkmcnt(2)
	ds_bpermute_b32 v81, v68, v79
	s_waitcnt lgkmcnt(2)
	ds_bpermute_b32 v80, v68, v56
	s_waitcnt lgkmcnt(2)
	ds_bpermute_b32 v99, v68, v57
	v_cmp_le_u32_e32 vcc, v69, v78
	;; [unrolled: 21-line block ×5, first 2 shown]
	s_and_saveexec_b64 s[46:47], vcc
	s_cbranch_execz .LBB996_122
; %bb.141:                              ;   in Loop: Header=BB996_123 Depth=1
	v_cmp_eq_u32_e32 vcc, 0, v79
	s_waitcnt lgkmcnt(1)
	v_cndmask_b32_e32 v80, 0, v80, vcc
	v_add_u32_e32 v78, v81, v79
	s_waitcnt lgkmcnt(0)
	v_cndmask_b32_e32 v79, 0, v99, vcc
	v_add_co_u32_e32 v56, vcc, v80, v56
	v_addc_co_u32_e32 v57, vcc, v79, v57, vcc
	v_mov_b32_e32 v79, v78
	s_branch .LBB996_122
.LBB996_142:                            ;   in Loop: Header=BB996_123 Depth=1
                                        ; implicit-def: $vgpr56_vgpr57
                                        ; implicit-def: $vgpr78
                                        ; implicit-def: $vgpr63
	s_cbranch_execz .LBB996_123
; %bb.143:
	s_and_saveexec_b64 s[36:37], s[28:29]
	s_cbranch_execz .LBB996_145
; %bb.144:
	s_mov_b32 s47, 0
	v_cmp_eq_u32_e32 vcc, 0, v62
	s_add_i32 s46, s62, 64
	v_cndmask_b32_e32 v50, 0, v54, vcc
	s_lshl_b64 s[48:49], s[46:47], 4
	v_cndmask_b32_e32 v51, 0, v55, vcc
	v_add_co_u32_e32 v50, vcc, v50, v48
	s_add_u32 s48, s38, s48
	v_add_u32_e32 v52, v75, v62
	v_addc_co_u32_e32 v51, vcc, v51, v49, vcc
	s_addc_u32 s49, s39, s49
	v_mov_b32_e32 v53, 0
	global_store_dword v53, v52, s[48:49]
	global_store_dwordx2 v53, v[50:51], s[48:49] offset:8
	v_mov_b32_e32 v50, s46
	v_mov_b32_e32 v51, 2
	s_waitcnt vmcnt(0) lgkmcnt(0)
	buffer_wbinvl1_vol
	global_store_byte v50, v51, s[40:41]
	ds_write_b32 v53, v62 offset:2048
	ds_write_b64 v53, v[48:49] offset:2056
	ds_write_b32 v53, v75 offset:2064
	ds_write_b64 v53, v[54:55] offset:2072
.LBB996_145:
	s_or_b64 exec, exec, s[36:37]
	s_and_b64 exec, exec, s[0:1]
	s_cbranch_execz .LBB996_147
; %bb.146:
	v_mov_b32_e32 v48, 0
	ds_write_b32 v48, v75 offset:2128
	ds_write_b64 v48, v[54:55] offset:2136
.LBB996_147:
	s_or_b64 exec, exec, s[42:43]
	v_mov_b32_e32 v51, 0
	s_waitcnt lgkmcnt(0)
	s_barrier
	ds_read_b32 v50, v51 offset:2128
	ds_read_b64 v[48:49], v51 offset:2136
	v_cndmask_b32_e64 v52, v59, v58, s[28:29]
	v_cmp_eq_u32_e32 vcc, 0, v52
	v_cndmask_b32_e64 v46, v60, v46, s[28:29]
	v_cndmask_b32_e64 v47, v61, v47, s[28:29]
	s_waitcnt lgkmcnt(0)
	v_cndmask_b32_e32 v54, 0, v48, vcc
	v_cndmask_b32_e32 v53, 0, v49, vcc
	v_add_co_u32_e32 v46, vcc, v54, v46
	v_addc_co_u32_e32 v47, vcc, v53, v47, vcc
	v_cndmask_b32_e64 v76, v46, v48, s[0:1]
	v_cmp_eq_u32_e32 vcc, 0, v96
	v_cndmask_b32_e64 v52, v52, 0, s[0:1]
	v_cndmask_b32_e64 v77, v47, v49, s[0:1]
	v_cndmask_b32_e32 v47, 0, v76, vcc
	v_add_u32_e32 v99, v50, v52
	v_cndmask_b32_e32 v46, 0, v77, vcc
	v_add_co_u32_e32 v52, vcc, v47, v42
	v_addc_co_u32_e32 v53, vcc, v46, v43, vcc
	v_cndmask_b32_e64 v47, 0, v52, s[26:27]
	v_cndmask_b32_e64 v46, 0, v53, s[26:27]
	v_add_co_u32_e32 v54, vcc, v47, v40
	v_addc_co_u32_e32 v55, vcc, v46, v41, vcc
	v_cndmask_b32_e64 v47, 0, v54, s[24:25]
	v_cndmask_b32_e64 v46, 0, v55, s[24:25]
	;; [unrolled: 4-line block ×11, first 2 shown]
	v_add_co_u32_e32 v74, vcc, v47, v20
	v_addc_co_u32_e32 v75, vcc, v46, v21, vcc
	s_barrier
	ds_read_b32 v46, v51 offset:2048
	ds_read_b64 v[48:49], v51 offset:2056
	ds_read_b32 v50, v51 offset:2064
	ds_read_b64 v[100:101], v51 offset:2072
	v_cndmask_b32_e64 v78, 0, v74, s[4:5]
	v_cndmask_b32_e64 v47, 0, v75, s[4:5]
	v_add_co_u32_e32 v78, vcc, v78, v18
	v_addc_co_u32_e32 v79, vcc, v47, v19, vcc
	s_waitcnt lgkmcnt(3)
	v_cmp_eq_u32_e32 vcc, 0, v46
	s_waitcnt lgkmcnt(0)
	v_cndmask_b32_e32 v51, 0, v100, vcc
	v_cndmask_b32_e32 v47, 0, v101, vcc
	v_add_co_u32_e32 v48, vcc, v51, v48
	v_cndmask_b32_e64 v81, 0, v79, s[2:3]
	v_cndmask_b32_e64 v80, 0, v78, s[2:3]
	v_addc_co_u32_e32 v49, vcc, v47, v49, vcc
	s_branch .LBB996_176
.LBB996_148:
                                        ; implicit-def: $vgpr46
                                        ; implicit-def: $vgpr48_vgpr49
                                        ; implicit-def: $vgpr50
                                        ; implicit-def: $vgpr76_vgpr77
                                        ; implicit-def: $vgpr52_vgpr53
                                        ; implicit-def: $vgpr54_vgpr55
                                        ; implicit-def: $vgpr56_vgpr57
                                        ; implicit-def: $vgpr58_vgpr59
                                        ; implicit-def: $vgpr60_vgpr61
                                        ; implicit-def: $vgpr62_vgpr63
                                        ; implicit-def: $vgpr64_vgpr65
                                        ; implicit-def: $vgpr66_vgpr67
                                        ; implicit-def: $vgpr68_vgpr69
                                        ; implicit-def: $vgpr70_vgpr71
                                        ; implicit-def: $vgpr72_vgpr73
                                        ; implicit-def: $vgpr74_vgpr75
                                        ; implicit-def: $vgpr78_vgpr79
                                        ; implicit-def: $vgpr80_vgpr81
                                        ; implicit-def: $vgpr99
	s_cbranch_execz .LBB996_176
; %bb.149:
	s_and_b64 s[2:3], s[34:35], exec
	s_cselect_b32 s3, 0, s57
	s_cselect_b32 s2, 0, s56
	s_cmp_eq_u64 s[2:3], 0
	v_pk_mov_b32 v[50:51], v[42:43], v[42:43] op_sel:[0,1]
	s_cbranch_scc1 .LBB996_151
; %bb.150:
	v_mov_b32_e32 v46, 0
	global_load_dwordx2 v[50:51], v46, s[2:3]
.LBB996_151:
	v_cmp_eq_u32_e64 s[24:25], 0, v95
	v_cndmask_b32_e64 v47, 0, v42, s[24:25]
	v_cndmask_b32_e64 v46, 0, v43, s[24:25]
	v_add_co_u32_e32 v47, vcc, v47, v40
	v_cmp_eq_u32_e64 s[22:23], 0, v94
	v_addc_co_u32_e32 v46, vcc, v46, v41, vcc
	v_cndmask_b32_e64 v47, 0, v47, s[22:23]
	v_cndmask_b32_e64 v46, 0, v46, s[22:23]
	v_add_co_u32_e32 v47, vcc, v47, v38
	v_cmp_eq_u32_e64 s[20:21], 0, v93
	v_addc_co_u32_e32 v46, vcc, v46, v39, vcc
	;; [unrolled: 5-line block ×11, first 2 shown]
	v_cndmask_b32_e64 v47, 0, v47, s[4:5]
	v_cndmask_b32_e64 v46, 0, v46, s[4:5]
	v_add_co_u32_e32 v47, vcc, v47, v18
	v_addc_co_u32_e32 v46, vcc, v46, v19, vcc
	v_cmp_eq_u32_e32 vcc, 0, v83
	v_cndmask_b32_e32 v47, 0, v47, vcc
	v_add3_u32 v48, v98, v91, v90
	v_cndmask_b32_e32 v46, 0, v46, vcc
	v_add_co_u32_e64 v47, s[26:27], v47, v16
	v_add3_u32 v48, v48, v89, v88
	v_addc_co_u32_e64 v46, s[26:27], v46, v17, s[26:27]
	v_add3_u32 v48, v48, v87, v86
	v_cmp_eq_u32_e64 s[26:27], 0, v82
	v_add3_u32 v48, v48, v85, v84
	v_cndmask_b32_e64 v47, 0, v47, s[26:27]
	v_add3_u32 v49, v48, v83, v82
	v_cndmask_b32_e64 v46, 0, v46, s[26:27]
	v_add_co_u32_e64 v44, s[26:27], v47, v44
	v_mbcnt_hi_u32_b32 v48, -1, v97
	v_addc_co_u32_e64 v45, s[26:27], v46, v45, s[26:27]
	v_and_b32_e32 v46, 15, v48
	v_mov_b32_dpp v52, v49 row_shr:1 row_mask:0xf bank_mask:0xf
	v_mov_b32_dpp v47, v44 row_shr:1 row_mask:0xf bank_mask:0xf
	;; [unrolled: 1-line block ×3, first 2 shown]
	v_cmp_ne_u32_e64 s[26:27], 0, v46
	s_and_saveexec_b64 s[28:29], s[26:27]
; %bb.152:
	v_cmp_eq_u32_e64 s[26:27], 0, v49
	v_cndmask_b32_e64 v47, 0, v47, s[26:27]
	v_add_u32_e32 v52, v52, v49
	v_cndmask_b32_e64 v49, 0, v53, s[26:27]
	v_add_co_u32_e64 v44, s[26:27], v47, v44
	v_addc_co_u32_e64 v45, s[26:27], v49, v45, s[26:27]
	v_mov_b32_e32 v49, v52
; %bb.153:
	s_or_b64 exec, exec, s[28:29]
	s_nop 0
	v_mov_b32_dpp v52, v49 row_shr:2 row_mask:0xf bank_mask:0xf
	v_mov_b32_dpp v47, v44 row_shr:2 row_mask:0xf bank_mask:0xf
	v_mov_b32_dpp v53, v45 row_shr:2 row_mask:0xf bank_mask:0xf
	v_cmp_lt_u32_e64 s[26:27], 1, v46
	s_and_saveexec_b64 s[28:29], s[26:27]
; %bb.154:
	v_cmp_eq_u32_e64 s[26:27], 0, v49
	v_cndmask_b32_e64 v47, 0, v47, s[26:27]
	v_add_u32_e32 v52, v52, v49
	v_cndmask_b32_e64 v49, 0, v53, s[26:27]
	v_add_co_u32_e64 v44, s[26:27], v47, v44
	v_addc_co_u32_e64 v45, s[26:27], v49, v45, s[26:27]
	v_mov_b32_e32 v49, v52
; %bb.155:
	s_or_b64 exec, exec, s[28:29]
	s_nop 0
	v_mov_b32_dpp v52, v49 row_shr:4 row_mask:0xf bank_mask:0xf
	v_mov_b32_dpp v47, v44 row_shr:4 row_mask:0xf bank_mask:0xf
	v_mov_b32_dpp v53, v45 row_shr:4 row_mask:0xf bank_mask:0xf
	v_cmp_lt_u32_e64 s[26:27], 3, v46
	;; [unrolled: 16-line block ×3, first 2 shown]
	s_and_saveexec_b64 s[28:29], s[26:27]
; %bb.158:
	v_cmp_eq_u32_e64 s[26:27], 0, v49
	v_cndmask_b32_e64 v47, 0, v47, s[26:27]
	v_add_u32_e32 v46, v52, v49
	v_cndmask_b32_e64 v49, 0, v53, s[26:27]
	v_add_co_u32_e64 v44, s[26:27], v47, v44
	v_addc_co_u32_e64 v45, s[26:27], v49, v45, s[26:27]
	v_mov_b32_e32 v49, v46
; %bb.159:
	s_or_b64 exec, exec, s[28:29]
	v_and_b32_e32 v53, 16, v48
	v_mov_b32_dpp v47, v49 row_bcast:15 row_mask:0xf bank_mask:0xf
	v_mov_b32_dpp v46, v44 row_bcast:15 row_mask:0xf bank_mask:0xf
	;; [unrolled: 1-line block ×3, first 2 shown]
	v_cmp_ne_u32_e64 s[26:27], 0, v53
	s_and_saveexec_b64 s[28:29], s[26:27]
; %bb.160:
	v_cmp_eq_u32_e64 s[26:27], 0, v49
	v_cndmask_b32_e64 v46, 0, v46, s[26:27]
	v_add_u32_e32 v47, v47, v49
	v_cndmask_b32_e64 v49, 0, v52, s[26:27]
	v_add_co_u32_e64 v44, s[26:27], v46, v44
	v_addc_co_u32_e64 v45, s[26:27], v49, v45, s[26:27]
	v_mov_b32_e32 v49, v47
; %bb.161:
	s_or_b64 exec, exec, s[28:29]
	s_nop 0
	v_mov_b32_dpp v47, v49 row_bcast:31 row_mask:0xf bank_mask:0xf
	v_mov_b32_dpp v46, v44 row_bcast:31 row_mask:0xf bank_mask:0xf
	;; [unrolled: 1-line block ×3, first 2 shown]
	v_cmp_lt_u32_e64 s[26:27], 31, v48
	s_and_saveexec_b64 s[28:29], s[26:27]
; %bb.162:
	v_cmp_eq_u32_e64 s[26:27], 0, v49
	v_cndmask_b32_e64 v46, 0, v46, s[26:27]
	v_add_u32_e32 v47, v47, v49
	v_cndmask_b32_e64 v49, 0, v52, s[26:27]
	v_add_co_u32_e64 v44, s[26:27], v46, v44
	v_addc_co_u32_e64 v45, s[26:27], v49, v45, s[26:27]
	v_mov_b32_e32 v49, v47
; %bb.163:
	s_or_b64 exec, exec, s[28:29]
	v_or_b32_e32 v46, 63, v0
	v_lshrrev_b32_e32 v52, 6, v0
	v_cmp_eq_u32_e64 s[26:27], v46, v0
	s_and_saveexec_b64 s[28:29], s[26:27]
	s_cbranch_execz .LBB996_165
; %bb.164:
	v_lshlrev_b32_e32 v46, 4, v52
	ds_write_b32 v46, v49 offset:2080
	ds_write_b64 v46, v[44:45] offset:2088
.LBB996_165:
	s_or_b64 exec, exec, s[28:29]
	v_cmp_gt_u32_e64 s[26:27], 4, v0
	s_waitcnt lgkmcnt(0)
	s_barrier
	s_and_saveexec_b64 s[28:29], s[26:27]
	s_cbranch_execz .LBB996_171
; %bb.166:
	v_lshlrev_b32_e32 v53, 4, v0
	ds_read_b32 v54, v53 offset:2080
	ds_read_b64 v[46:47], v53 offset:2088
	v_and_b32_e32 v55, 3, v48
	v_cmp_ne_u32_e64 s[26:27], 0, v55
	s_waitcnt lgkmcnt(1)
	v_mov_b32_dpp v57, v54 row_shr:1 row_mask:0xf bank_mask:0xf
	s_waitcnt lgkmcnt(0)
	v_mov_b32_dpp v56, v46 row_shr:1 row_mask:0xf bank_mask:0xf
	v_mov_b32_dpp v58, v47 row_shr:1 row_mask:0xf bank_mask:0xf
	s_and_saveexec_b64 s[36:37], s[26:27]
; %bb.167:
	v_cmp_eq_u32_e64 s[26:27], 0, v54
	v_cndmask_b32_e64 v56, 0, v56, s[26:27]
	v_add_u32_e32 v57, v57, v54
	v_cndmask_b32_e64 v54, 0, v58, s[26:27]
	v_add_co_u32_e64 v46, s[26:27], v56, v46
	v_addc_co_u32_e64 v47, s[26:27], v54, v47, s[26:27]
	v_mov_b32_e32 v54, v57
; %bb.168:
	s_or_b64 exec, exec, s[36:37]
	s_nop 0
	v_mov_b32_dpp v57, v54 row_shr:2 row_mask:0xf bank_mask:0xf
	v_mov_b32_dpp v56, v46 row_shr:2 row_mask:0xf bank_mask:0xf
	v_mov_b32_dpp v58, v47 row_shr:2 row_mask:0xf bank_mask:0xf
	v_cmp_lt_u32_e64 s[26:27], 1, v55
	s_and_saveexec_b64 s[36:37], s[26:27]
; %bb.169:
	v_cmp_eq_u32_e64 s[26:27], 0, v54
	v_cndmask_b32_e64 v56, 0, v56, s[26:27]
	v_add_u32_e32 v55, v57, v54
	v_cndmask_b32_e64 v54, 0, v58, s[26:27]
	v_add_co_u32_e64 v46, s[26:27], v56, v46
	v_addc_co_u32_e64 v47, s[26:27], v54, v47, s[26:27]
	v_mov_b32_e32 v54, v55
; %bb.170:
	s_or_b64 exec, exec, s[36:37]
	ds_write_b32 v53, v54 offset:2080
	ds_write_b64 v53, v[46:47] offset:2088
.LBB996_171:
	s_or_b64 exec, exec, s[28:29]
	v_cmp_lt_u32_e64 s[26:27], 63, v0
	v_mov_b32_e32 v97, 0
	v_mov_b32_e32 v53, 0
	s_waitcnt vmcnt(0)
	v_pk_mov_b32 v[46:47], v[50:51], v[50:51] op_sel:[0,1]
	s_waitcnt lgkmcnt(0)
	s_barrier
	s_and_saveexec_b64 s[28:29], s[26:27]
	s_cbranch_execz .LBB996_173
; %bb.172:
	v_lshlrev_b32_e32 v46, 4, v52
	ds_read_b32 v53, v46 offset:2064
	ds_read_b64 v[46:47], v46 offset:2072
	s_waitcnt lgkmcnt(1)
	v_cmp_eq_u32_e64 s[26:27], 0, v53
	v_cndmask_b32_e64 v54, 0, v50, s[26:27]
	v_cndmask_b32_e64 v52, 0, v51, s[26:27]
	s_waitcnt lgkmcnt(0)
	v_add_co_u32_e64 v46, s[26:27], v54, v46
	v_addc_co_u32_e64 v47, s[26:27], v52, v47, s[26:27]
.LBB996_173:
	s_or_b64 exec, exec, s[28:29]
	v_cmp_eq_u32_e64 s[26:27], 0, v49
	v_cndmask_b32_e64 v54, 0, v46, s[26:27]
	v_add_u32_e32 v52, v53, v49
	v_cndmask_b32_e64 v49, 0, v47, s[26:27]
	v_add_co_u32_e64 v44, s[26:27], v54, v44
	v_addc_co_u32_e64 v45, s[26:27], v49, v45, s[26:27]
	v_add_u32_e32 v49, -1, v48
	v_and_b32_e32 v54, 64, v48
	v_cmp_lt_i32_e64 s[26:27], v49, v54
	v_cndmask_b32_e64 v49, v49, v48, s[26:27]
	v_lshlrev_b32_e32 v49, 2, v49
	ds_bpermute_b32 v44, v49, v44
	ds_bpermute_b32 v52, v49, v52
	;; [unrolled: 1-line block ×3, first 2 shown]
	v_cmp_eq_u32_e64 s[26:27], 0, v48
	s_waitcnt lgkmcnt(2)
	v_cndmask_b32_e64 v76, v44, v46, s[26:27]
	s_waitcnt lgkmcnt(1)
	v_cndmask_b32_e64 v99, v52, v53, s[26:27]
	;; [unrolled: 2-line block ×3, first 2 shown]
	v_cndmask_b32_e64 v44, v76, v50, s[0:1]
	v_cmp_eq_u32_e64 s[26:27], 0, v96
	v_cndmask_b32_e64 v45, v77, v51, s[0:1]
	v_cndmask_b32_e64 v44, 0, v44, s[26:27]
	;; [unrolled: 1-line block ×3, first 2 shown]
	v_add_co_u32_e64 v52, s[26:27], v44, v42
	v_addc_co_u32_e64 v53, s[26:27], v45, v43, s[26:27]
	v_cndmask_b32_e64 v43, 0, v52, s[24:25]
	v_cndmask_b32_e64 v42, 0, v53, s[24:25]
	v_add_co_u32_e64 v54, s[24:25], v43, v40
	v_addc_co_u32_e64 v55, s[24:25], v42, v41, s[24:25]
	v_cndmask_b32_e64 v41, 0, v54, s[22:23]
	v_cndmask_b32_e64 v40, 0, v55, s[22:23]
	;; [unrolled: 4-line block ×11, first 2 shown]
	v_add_co_u32_e64 v74, s[2:3], v23, v20
	v_addc_co_u32_e64 v75, s[2:3], v22, v21, s[2:3]
	v_cndmask_b32_e64 v21, 0, v74, s[4:5]
	ds_read_b32 v46, v97 offset:2128
	v_cndmask_b32_e64 v20, 0, v75, s[4:5]
	v_add_co_u32_e64 v78, s[2:3], v21, v18
	v_addc_co_u32_e64 v79, s[2:3], v20, v19, s[2:3]
	ds_read_b64 v[18:19], v97 offset:2136
	v_cndmask_b32_e32 v81, 0, v79, vcc
	v_cndmask_b32_e32 v80, 0, v78, vcc
	s_waitcnt lgkmcnt(1)
	v_cmp_eq_u32_e32 vcc, 0, v46
	v_cndmask_b32_e32 v21, 0, v50, vcc
	v_cndmask_b32_e32 v20, 0, v51, vcc
	s_waitcnt lgkmcnt(0)
	v_add_co_u32_e32 v48, vcc, v21, v18
	v_addc_co_u32_e32 v49, vcc, v20, v19, vcc
	s_and_saveexec_b64 s[2:3], s[0:1]
	s_cbranch_execz .LBB996_175
; %bb.174:
	v_mov_b32_e32 v99, 0
	v_mov_b32_e32 v18, 2
	v_pk_mov_b32 v[76:77], v[50:51], v[50:51] op_sel:[0,1]
	global_store_dword v99, v46, s[38:39] offset:1024
	global_store_dwordx2 v99, v[48:49], s[38:39] offset:1032
	s_waitcnt vmcnt(0)
	buffer_wbinvl1_vol
	global_store_byte v99, v18, s[40:41] offset:64
.LBB996_175:
	s_or_b64 exec, exec, s[2:3]
	v_mov_b32_e32 v50, 0
.LBB996_176:
	s_and_b64 s[2:3], s[34:35], exec
	s_cselect_b32 s3, 0, s51
	s_cselect_b32 s2, 0, s50
	s_cmp_eq_u64 s[2:3], 0
	v_pk_mov_b32 v[18:19], 0, 0
	s_barrier
	s_cbranch_scc1 .LBB996_178
; %bb.177:
	v_mov_b32_e32 v18, 0
	global_load_dwordx2 v[18:19], v18, s[2:3]
.LBB996_178:
	v_add_u32_e32 v33, v99, v96
	v_add_u32_e32 v32, v33, v95
	;; [unrolled: 1-line block ×12, first 2 shown]
	s_movk_i32 s38, 0x100
	v_add_u32_e32 v21, v22, v84
	v_cmp_gt_u32_e32 vcc, s38, v46
	v_add_u32_e32 v20, v21, v83
	s_cbranch_vccnz .LBB996_227
; %bb.179:
	v_cmp_eq_u32_e64 s[28:29], 0, v95
	v_cndmask_b32_e64 v51, 1, 2, s[28:29]
	v_cmp_eq_u32_e64 s[28:29], 0, v96
	v_cmp_eq_u32_e64 s[26:27], 0, v94
	v_cndmask_b32_e64 v97, 1, 2, s[28:29]
	v_cmp_eq_u32_e64 s[24:25], 0, v93
	v_cndmask_b32_e64 v47, 1, 2, s[26:27]
	v_and_b32_e32 v51, v51, v97
	v_cmp_eq_u32_e64 s[22:23], 0, v92
	v_cndmask_b32_e64 v45, 1, 2, s[24:25]
	v_and_b32_e32 v47, v51, v47
	;; [unrolled: 3-line block ×11, first 2 shown]
	v_cmp_eq_u32_e32 vcc, 0, v82
	v_cndmask_b32_e64 v35, 1, 2, s[2:3]
	v_and_b32_e32 v36, v37, v36
	v_cndmask_b32_e64 v34, 1, 2, vcc
	v_and_b32_e32 v35, v36, v35
	v_and_b32_e32 v34, v35, v34
	v_cmp_ne_u32_e64 s[20:21], 0, v96
	v_cmp_ne_u32_e32 vcc, 0, v83
	v_cmp_ne_u32_e64 s[2:3], 0, v84
	v_cmp_ne_u32_e64 s[4:5], 0, v85
	;; [unrolled: 1-line block ×12, first 2 shown]
	v_cmp_gt_i16_e64 s[28:29], 2, v34
	s_and_saveexec_b64 s[34:35], s[28:29]
	s_cbranch_execz .LBB996_226
; %bb.180:
	v_cmp_ne_u16_e64 s[28:29], 1, v34
	s_mov_b64 s[36:37], 0
	s_and_saveexec_b64 s[40:41], s[28:29]
	s_xor_b64 s[28:29], exec, s[40:41]
	s_cbranch_execz .LBB996_204
; %bb.181:
	s_and_saveexec_b64 s[36:37], s[20:21]
	s_cbranch_execz .LBB996_209
; %bb.182:
	v_sub_u32_e32 v34, v99, v50
	v_lshlrev_b32_e32 v34, 2, v34
	ds_write_b32 v34, v14
	s_or_b64 exec, exec, s[36:37]
	s_and_saveexec_b64 s[20:21], s[26:27]
	s_cbranch_execnz .LBB996_210
.LBB996_183:
	s_or_b64 exec, exec, s[20:21]
	s_and_saveexec_b64 s[20:21], s[24:25]
	s_cbranch_execz .LBB996_211
.LBB996_184:
	v_sub_u32_e32 v14, v32, v50
	v_lshlrev_b32_e32 v14, 2, v14
	ds_write_b32 v14, v12
	s_or_b64 exec, exec, s[20:21]
	s_and_saveexec_b64 s[20:21], s[22:23]
	s_cbranch_execnz .LBB996_212
.LBB996_185:
	s_or_b64 exec, exec, s[20:21]
	s_and_saveexec_b64 s[20:21], s[18:19]
	s_cbranch_execz .LBB996_213
.LBB996_186:
	v_sub_u32_e32 v12, v30, v50
	v_lshlrev_b32_e32 v12, 2, v12
	ds_write_b32 v12, v10
	s_or_b64 exec, exec, s[20:21]
	s_and_saveexec_b64 s[18:19], s[16:17]
	s_cbranch_execnz .LBB996_214
.LBB996_187:
	s_or_b64 exec, exec, s[18:19]
	s_and_saveexec_b64 s[16:17], s[14:15]
	s_cbranch_execz .LBB996_215
.LBB996_188:
	v_sub_u32_e32 v10, v28, v50
	v_lshlrev_b32_e32 v10, 2, v10
	ds_write_b32 v10, v8
	s_or_b64 exec, exec, s[16:17]
	s_and_saveexec_b64 s[14:15], s[12:13]
	s_cbranch_execnz .LBB996_216
.LBB996_189:
	s_or_b64 exec, exec, s[14:15]
	s_and_saveexec_b64 s[12:13], s[10:11]
	s_cbranch_execz .LBB996_217
.LBB996_190:
	v_sub_u32_e32 v8, v26, v50
	v_lshlrev_b32_e32 v8, 2, v8
	ds_write_b32 v8, v6
	s_or_b64 exec, exec, s[12:13]
	s_and_saveexec_b64 s[10:11], s[8:9]
	s_cbranch_execnz .LBB996_218
.LBB996_191:
	s_or_b64 exec, exec, s[10:11]
	s_and_saveexec_b64 s[8:9], s[6:7]
	s_cbranch_execz .LBB996_219
.LBB996_192:
	v_sub_u32_e32 v6, v24, v50
	v_lshlrev_b32_e32 v6, 2, v6
	ds_write_b32 v6, v4
	s_or_b64 exec, exec, s[8:9]
	s_and_saveexec_b64 s[6:7], s[4:5]
	s_cbranch_execnz .LBB996_220
.LBB996_193:
	s_or_b64 exec, exec, s[6:7]
	s_and_saveexec_b64 s[4:5], s[2:3]
	s_cbranch_execz .LBB996_221
.LBB996_194:
	v_sub_u32_e32 v4, v22, v50
	v_lshlrev_b32_e32 v4, 2, v4
	ds_write_b32 v4, v2
	s_or_b64 exec, exec, s[4:5]
	v_cmp_ne_u32_e64 s[2:3], 0, v82
	s_and_saveexec_b64 s[4:5], vcc
	s_cbranch_execnz .LBB996_222
	s_branch .LBB996_223
.LBB996_195:
                                        ; implicit-def: $sgpr4_sgpr5
                                        ; implicit-def: $vgpr82
                                        ; implicit-def: $vgpr83
                                        ; implicit-def: $vgpr84
                                        ; implicit-def: $vgpr85
                                        ; implicit-def: $vgpr86
                                        ; implicit-def: $vgpr87
                                        ; implicit-def: $vgpr88
                                        ; implicit-def: $vgpr89
                                        ; implicit-def: $vgpr90
                                        ; implicit-def: $vgpr91
                                        ; implicit-def: $vgpr92
                                        ; implicit-def: $vgpr93
                                        ; implicit-def: $vgpr94
                                        ; implicit-def: $vgpr95
	s_cbranch_execz .LBB996_73
; %bb.196:
	v_cmp_ne_u32_e32 vcc, v15, v52
	v_cndmask_b32_e64 v95, 0, 1, vcc
	v_cmp_ne_u32_e32 vcc, v15, v53
	v_cndmask_b32_e64 v94, 0, 1, vcc
	;; [unrolled: 2-line block ×13, first 2 shown]
	v_cmp_ne_u32_e32 vcc, v3, v1
	v_lshlrev_b32_e32 v51, 2, v0
	v_cndmask_b32_e64 v82, 0, 1, vcc
	ds_write_b32 v51, v1
	s_waitcnt lgkmcnt(0)
	s_barrier
	s_waitcnt lgkmcnt(0)
                                        ; implicit-def: $sgpr4_sgpr5
	s_and_saveexec_b64 s[10:11], s[2:3]
	s_xor_b64 s[10:11], exec, s[10:11]
	s_cbranch_execz .LBB996_198
; %bb.197:
	v_add_u32_e32 v46, -4, v51
	ds_read_b32 v46, v46
	s_or_b64 s[6:7], s[6:7], exec
	s_waitcnt lgkmcnt(0)
	v_cmp_ne_u32_e32 vcc, v46, v14
	s_and_b64 s[4:5], vcc, exec
.LBB996_198:
	s_or_b64 exec, exec, s[10:11]
	s_mov_b32 s12, 1
	s_branch .LBB996_75
.LBB996_199:
	s_mul_hi_u32 s5, s58, 0xfffff100
	s_mul_i32 s4, s59, 0xfffff100
	s_sub_i32 s5, s5, s58
	s_add_i32 s5, s5, s4
	s_mul_i32 s4, s58, 0xfffff100
	s_add_u32 s10, s4, s48
	s_addc_u32 s11, s5, s49
	s_and_b64 vcc, exec, s[8:9]
	s_cbranch_vccz .LBB996_206
; %bb.200:
	v_add_co_u32_e32 v46, vcc, -4, v54
	v_addc_co_u32_e32 v47, vcc, -1, v55, vcc
	flat_load_dword v50, v[46:47]
	v_mad_u32_u24 v48, v0, 15, 14
	v_mov_b32_e32 v49, 0
	v_cmp_gt_u64_e32 vcc, s[10:11], v[48:49]
	v_cmp_ne_u32_e64 s[4:5], v3, v1
	v_mad_u32_u24 v48, v0, 15, 13
	s_and_b64 s[6:7], vcc, s[4:5]
	v_cmp_gt_u64_e32 vcc, s[10:11], v[48:49]
	v_cmp_ne_u32_e64 s[4:5], v2, v3
	v_mad_u32_u24 v48, v0, 15, 12
	s_and_b64 s[8:9], vcc, s[4:5]
	;; [unrolled: 4-line block ×13, first 2 shown]
	v_cmp_gt_u64_e32 vcc, s[10:11], v[48:49]
	v_cmp_ne_u32_e64 s[4:5], v14, v15
	v_lshlrev_b32_e32 v47, 2, v0
	v_mul_u32_u24_e32 v46, 15, v0
	s_and_b64 s[4:5], vcc, s[4:5]
	ds_write_b32 v47, v1
	s_waitcnt lgkmcnt(0)
	s_barrier
	s_and_saveexec_b64 s[48:49], s[2:3]
	s_cbranch_execz .LBB996_202
; %bb.201:
	v_add_u32_e32 v47, -4, v47
	s_waitcnt vmcnt(0)
	ds_read_b32 v50, v47
.LBB996_202:
	s_or_b64 exec, exec, s[48:49]
	v_mov_b32_e32 v47, v49
	v_cndmask_b32_e64 v95, 0, 1, s[4:5]
	v_cmp_gt_u64_e32 vcc, s[10:11], v[46:47]
	s_waitcnt vmcnt(0) lgkmcnt(0)
	v_cmp_ne_u32_e64 s[4:5], v50, v14
	v_cndmask_b32_e64 v82, 0, 1, s[6:7]
	v_cndmask_b32_e64 v83, 0, 1, s[8:9]
	;; [unrolled: 1-line block ×13, first 2 shown]
	s_and_b64 s[4:5], vcc, s[4:5]
	s_mov_b64 s[6:7], -1
.LBB996_203:
                                        ; implicit-def: $sgpr12
	v_mov_b32_e32 v96, s12
	s_and_saveexec_b64 s[2:3], s[6:7]
	s_cbranch_execnz .LBB996_76
	s_branch .LBB996_77
.LBB996_204:
	s_andn2_saveexec_b64 s[2:3], s[28:29]
	s_cbranch_execz .LBB996_224
.LBB996_205:
	v_sub_u32_e32 v34, v99, v50
	v_lshlrev_b32_e32 v34, 2, v34
	ds_write_b32 v34, v14
	v_sub_u32_e32 v14, v33, v50
	v_lshlrev_b32_e32 v14, 2, v14
	ds_write_b32 v14, v15
	;; [unrolled: 3-line block ×13, first 2 shown]
	v_sub_u32_e32 v2, v21, v50
	v_lshlrev_b32_e32 v2, 2, v2
	s_or_b64 s[36:37], s[36:37], exec
	ds_write_b32 v2, v3
	s_or_b64 exec, exec, s[2:3]
	s_and_b64 exec, exec, s[36:37]
	s_cbranch_execnz .LBB996_225
	s_branch .LBB996_226
.LBB996_206:
                                        ; implicit-def: $sgpr4_sgpr5
                                        ; implicit-def: $vgpr82
                                        ; implicit-def: $vgpr83
                                        ; implicit-def: $vgpr84
                                        ; implicit-def: $vgpr85
                                        ; implicit-def: $vgpr86
                                        ; implicit-def: $vgpr87
                                        ; implicit-def: $vgpr88
                                        ; implicit-def: $vgpr89
                                        ; implicit-def: $vgpr90
                                        ; implicit-def: $vgpr91
                                        ; implicit-def: $vgpr92
                                        ; implicit-def: $vgpr93
                                        ; implicit-def: $vgpr94
                                        ; implicit-def: $vgpr95
	s_cbranch_execz .LBB996_203
; %bb.207:
	v_mad_u32_u24 v46, v0, 15, 14
	v_mov_b32_e32 v47, 0
	v_cmp_gt_u64_e32 vcc, s[10:11], v[46:47]
	v_cmp_ne_u32_e64 s[4:5], v3, v1
	s_and_b64 s[4:5], vcc, s[4:5]
	v_mad_u32_u24 v46, v0, 15, 13
	v_cndmask_b32_e64 v82, 0, 1, s[4:5]
	v_cmp_gt_u64_e32 vcc, s[10:11], v[46:47]
	v_cmp_ne_u32_e64 s[4:5], v2, v3
	s_and_b64 s[4:5], vcc, s[4:5]
	v_mad_u32_u24 v46, v0, 15, 12
	v_cndmask_b32_e64 v83, 0, 1, s[4:5]
	;; [unrolled: 5-line block ×13, first 2 shown]
	v_cmp_gt_u64_e32 vcc, s[10:11], v[46:47]
	v_cmp_ne_u32_e64 s[4:5], v14, v15
	s_and_b64 s[4:5], vcc, s[4:5]
	v_lshlrev_b32_e32 v48, 2, v0
	s_mov_b32 s12, 1
	v_cndmask_b32_e64 v95, 0, 1, s[4:5]
	ds_write_b32 v48, v1
	s_waitcnt lgkmcnt(0)
	s_barrier
	s_waitcnt lgkmcnt(0)
                                        ; implicit-def: $sgpr4_sgpr5
	s_and_saveexec_b64 s[8:9], s[2:3]
	s_cbranch_execz .LBB996_246
; %bb.208:
	v_add_u32_e32 v46, -4, v48
	ds_read_b32 v48, v46
	v_mul_u32_u24_e32 v46, 15, v0
	v_cmp_gt_u64_e32 vcc, s[10:11], v[46:47]
	s_or_b64 s[6:7], s[6:7], exec
	s_waitcnt lgkmcnt(0)
	v_cmp_ne_u32_e64 s[2:3], v48, v14
	s_and_b64 s[2:3], vcc, s[2:3]
	s_and_b64 s[4:5], s[2:3], exec
	s_or_b64 exec, exec, s[8:9]
	v_mov_b32_e32 v96, s12
	s_and_saveexec_b64 s[2:3], s[6:7]
	s_cbranch_execz .LBB996_77
	s_branch .LBB996_76
.LBB996_209:
	s_or_b64 exec, exec, s[36:37]
	s_and_saveexec_b64 s[20:21], s[26:27]
	s_cbranch_execz .LBB996_183
.LBB996_210:
	v_sub_u32_e32 v14, v33, v50
	v_lshlrev_b32_e32 v14, 2, v14
	ds_write_b32 v14, v15
	s_or_b64 exec, exec, s[20:21]
	s_and_saveexec_b64 s[20:21], s[24:25]
	s_cbranch_execnz .LBB996_184
.LBB996_211:
	s_or_b64 exec, exec, s[20:21]
	s_and_saveexec_b64 s[20:21], s[22:23]
	s_cbranch_execz .LBB996_185
.LBB996_212:
	v_sub_u32_e32 v12, v31, v50
	v_lshlrev_b32_e32 v12, 2, v12
	ds_write_b32 v12, v13
	s_or_b64 exec, exec, s[20:21]
	s_and_saveexec_b64 s[20:21], s[18:19]
	s_cbranch_execnz .LBB996_186
.LBB996_213:
	s_or_b64 exec, exec, s[20:21]
	s_and_saveexec_b64 s[18:19], s[16:17]
	s_cbranch_execz .LBB996_187
.LBB996_214:
	v_sub_u32_e32 v10, v29, v50
	v_lshlrev_b32_e32 v10, 2, v10
	ds_write_b32 v10, v11
	s_or_b64 exec, exec, s[18:19]
	s_and_saveexec_b64 s[16:17], s[14:15]
	s_cbranch_execnz .LBB996_188
.LBB996_215:
	s_or_b64 exec, exec, s[16:17]
	s_and_saveexec_b64 s[14:15], s[12:13]
	s_cbranch_execz .LBB996_189
.LBB996_216:
	v_sub_u32_e32 v8, v27, v50
	v_lshlrev_b32_e32 v8, 2, v8
	ds_write_b32 v8, v9
	s_or_b64 exec, exec, s[14:15]
	s_and_saveexec_b64 s[12:13], s[10:11]
	s_cbranch_execnz .LBB996_190
.LBB996_217:
	s_or_b64 exec, exec, s[12:13]
	s_and_saveexec_b64 s[10:11], s[8:9]
	s_cbranch_execz .LBB996_191
.LBB996_218:
	v_sub_u32_e32 v6, v25, v50
	v_lshlrev_b32_e32 v6, 2, v6
	ds_write_b32 v6, v7
	s_or_b64 exec, exec, s[10:11]
	s_and_saveexec_b64 s[8:9], s[6:7]
	s_cbranch_execnz .LBB996_192
.LBB996_219:
	s_or_b64 exec, exec, s[8:9]
	s_and_saveexec_b64 s[6:7], s[4:5]
	s_cbranch_execz .LBB996_193
.LBB996_220:
	v_sub_u32_e32 v4, v23, v50
	v_lshlrev_b32_e32 v4, 2, v4
	ds_write_b32 v4, v5
	s_or_b64 exec, exec, s[6:7]
	s_and_saveexec_b64 s[4:5], s[2:3]
	s_cbranch_execnz .LBB996_194
.LBB996_221:
	s_or_b64 exec, exec, s[4:5]
	v_cmp_ne_u32_e64 s[2:3], 0, v82
	s_and_saveexec_b64 s[4:5], vcc
	s_cbranch_execz .LBB996_223
.LBB996_222:
	v_sub_u32_e32 v2, v21, v50
	v_lshlrev_b32_e32 v2, 2, v2
	ds_write_b32 v2, v3
.LBB996_223:
	s_or_b64 exec, exec, s[4:5]
	s_and_b64 s[36:37], s[2:3], exec
                                        ; implicit-def: $vgpr2
                                        ; implicit-def: $vgpr4
                                        ; implicit-def: $vgpr6
                                        ; implicit-def: $vgpr8
                                        ; implicit-def: $vgpr10
                                        ; implicit-def: $vgpr12
                                        ; implicit-def: $vgpr14
	s_andn2_saveexec_b64 s[2:3], s[28:29]
	s_cbranch_execnz .LBB996_205
.LBB996_224:
	s_or_b64 exec, exec, s[2:3]
	s_and_b64 exec, exec, s[36:37]
	s_cbranch_execz .LBB996_226
.LBB996_225:
	v_sub_u32_e32 v2, v20, v50
	v_lshlrev_b32_e32 v2, 2, v2
	ds_write_b32 v2, v1
.LBB996_226:
	s_or_b64 exec, exec, s[34:35]
	s_waitcnt lgkmcnt(0)
	s_barrier
.LBB996_227:
	s_cmpk_lg_i32 s33, 0xf00
	s_cselect_b64 s[2:3], -1, 0
	v_cndmask_b32_e64 v8, 0, 1, s[30:31]
	s_and_b64 s[2:3], s[2:3], s[44:45]
	v_sub_u32_e32 v1, v46, v8
	v_cndmask_b32_e64 v4, 0, 1, s[2:3]
	s_and_b64 s[0:1], s[0:1], s[30:31]
	v_add_co_u32_e32 v2, vcc, v80, v16
	v_add_u32_e32 v1, v1, v4
	v_cndmask_b32_e64 v4, v96, 0, s[0:1]
	s_mul_hi_u32 s0, s33, 0x88888889
	v_addc_co_u32_e32 v3, vcc, v81, v17, vcc
	s_lshr_b32 s0, s0, 3
	v_mad_i32_i24 v5, v0, -15, s33
	v_cmp_eq_u32_e32 vcc, s0, v0
	v_cmp_ne_u32_e64 s[0:1], 0, v5
	v_cndmask_b32_e64 v6, 1, v4, s[0:1]
	v_cmp_ne_u32_e64 s[0:1], 1, v5
	v_cndmask_b32_e64 v7, 1, v95, s[0:1]
	;; [unrolled: 2-line block ×15, first 2 shown]
	s_and_b64 vcc, vcc, s[44:45]
	v_cndmask_b32_e32 v37, v82, v5, vcc
	v_cndmask_b32_e32 v39, v4, v6, vcc
	s_waitcnt vmcnt(0)
	v_lshlrev_b64 v[4:5], 3, v[18:19]
	v_mov_b32_e32 v51, 0
	v_cndmask_b32_e32 v36, v83, v36, vcc
	v_cndmask_b32_e32 v35, v84, v35, vcc
	;; [unrolled: 1-line block ×13, first 2 shown]
	v_mov_b32_e32 v6, s53
	v_add_co_u32_e32 v7, vcc, s52, v4
	v_addc_co_u32_e32 v6, vcc, v6, v5, vcc
	v_lshlrev_b64 v[4:5], 3, v[50:51]
	v_add_co_u32_e32 v4, vcc, v7, v4
	v_addc_co_u32_e32 v5, vcc, v6, v5, vcc
	v_lshlrev_b32_e32 v6, 3, v8
	v_add_co_u32_e32 v6, vcc, v6, v4
	v_addc_co_u32_e32 v7, vcc, 0, v5, vcc
	v_add_co_u32_e32 v6, vcc, -8, v6
	v_addc_co_u32_e32 v7, vcc, -1, v7, vcc
	v_cmp_eq_u32_e32 vcc, 0, v39
	v_cmp_ne_u32_e64 s[28:29], 0, v39
	v_cndmask_b32_e64 v39, 1, 2, vcc
	v_cmp_eq_u32_e32 vcc, 0, v38
	v_cmp_ne_u32_e64 s[26:27], 0, v38
	v_cndmask_b32_e64 v38, 1, 2, vcc
	v_cmp_eq_u32_e32 vcc, 0, v9
	v_and_b32_e32 v38, v38, v39
	v_cmp_ne_u32_e64 s[24:25], 0, v9
	v_cndmask_b32_e64 v9, 1, 2, vcc
	v_cmp_eq_u32_e32 vcc, 0, v10
	v_and_b32_e32 v9, v38, v9
	;; [unrolled: 4-line block ×3, first 2 shown]
	v_cndmask_b32_e64 v10, 1, 2, vcc
	v_cmp_eq_u32_e32 vcc, 0, v12
	v_and_b32_e32 v9, v9, v10
	v_cndmask_b32_e64 v10, 1, 2, vcc
	v_cmp_eq_u32_e32 vcc, 0, v13
	v_and_b32_e32 v9, v9, v10
	;; [unrolled: 3-line block ×10, first 2 shown]
	v_cndmask_b32_e64 v10, 1, 2, vcc
	v_and_b32_e32 v9, v9, v10
	v_cmp_gt_u32_e32 vcc, s38, v1
	v_add_u32_e32 v8, v50, v8
	v_cmp_ne_u32_e64 s[20:21], 0, v11
	v_cmp_ne_u32_e64 s[18:19], 0, v12
	;; [unrolled: 1-line block ×11, first 2 shown]
	s_mov_b64 s[34:35], -1
	v_cmp_gt_i16_e64 s[30:31], 2, v9
	s_barrier
	s_cbranch_vccz .LBB996_265
; %bb.228:
	s_and_saveexec_b64 s[34:35], s[30:31]
	s_cbranch_execz .LBB996_264
; %bb.229:
	v_cmp_ne_u16_e32 vcc, 1, v9
	s_mov_b64 s[36:37], 0
	s_and_saveexec_b64 s[30:31], vcc
	s_xor_b64 s[30:31], exec, s[30:31]
	s_cbranch_execz .LBB996_244
; %bb.230:
	s_and_saveexec_b64 s[36:37], s[28:29]
	s_cbranch_execz .LBB996_247
; %bb.231:
	v_sub_u32_e32 v10, v99, v8
	v_mov_b32_e32 v11, 0
	v_lshlrev_b64 v[10:11], 3, v[10:11]
	v_add_co_u32_e32 v10, vcc, v6, v10
	v_addc_co_u32_e32 v11, vcc, v7, v11, vcc
	global_store_dwordx2 v[10:11], v[76:77], off
	s_or_b64 exec, exec, s[36:37]
	s_and_saveexec_b64 s[36:37], s[26:27]
	s_cbranch_execnz .LBB996_248
.LBB996_232:
	s_or_b64 exec, exec, s[36:37]
	s_and_saveexec_b64 s[36:37], s[24:25]
	s_cbranch_execz .LBB996_249
.LBB996_233:
	v_sub_u32_e32 v10, v32, v8
	v_mov_b32_e32 v11, 0
	v_lshlrev_b64 v[10:11], 3, v[10:11]
	v_add_co_u32_e32 v10, vcc, v6, v10
	v_addc_co_u32_e32 v11, vcc, v7, v11, vcc
	global_store_dwordx2 v[10:11], v[54:55], off
	s_or_b64 exec, exec, s[36:37]
	s_and_saveexec_b64 s[36:37], s[22:23]
	s_cbranch_execnz .LBB996_250
.LBB996_234:
	s_or_b64 exec, exec, s[36:37]
	s_and_saveexec_b64 s[36:37], s[20:21]
	s_cbranch_execz .LBB996_251
.LBB996_235:
	v_sub_u32_e32 v10, v30, v8
	v_mov_b32_e32 v11, 0
	v_lshlrev_b64 v[10:11], 3, v[10:11]
	v_add_co_u32_e32 v10, vcc, v6, v10
	v_addc_co_u32_e32 v11, vcc, v7, v11, vcc
	global_store_dwordx2 v[10:11], v[58:59], off
	s_or_b64 exec, exec, s[36:37]
	s_and_saveexec_b64 s[36:37], s[18:19]
	s_cbranch_execnz .LBB996_252
.LBB996_236:
	s_or_b64 exec, exec, s[36:37]
	s_and_saveexec_b64 s[36:37], s[16:17]
	s_cbranch_execz .LBB996_253
.LBB996_237:
	v_sub_u32_e32 v10, v28, v8
	v_mov_b32_e32 v11, 0
	v_lshlrev_b64 v[10:11], 3, v[10:11]
	v_add_co_u32_e32 v10, vcc, v6, v10
	v_addc_co_u32_e32 v11, vcc, v7, v11, vcc
	global_store_dwordx2 v[10:11], v[62:63], off
	s_or_b64 exec, exec, s[36:37]
	s_and_saveexec_b64 s[36:37], s[14:15]
	s_cbranch_execnz .LBB996_254
.LBB996_238:
	s_or_b64 exec, exec, s[36:37]
	s_and_saveexec_b64 s[36:37], s[12:13]
	s_cbranch_execz .LBB996_255
.LBB996_239:
	v_sub_u32_e32 v10, v26, v8
	v_mov_b32_e32 v11, 0
	v_lshlrev_b64 v[10:11], 3, v[10:11]
	v_add_co_u32_e32 v10, vcc, v6, v10
	v_addc_co_u32_e32 v11, vcc, v7, v11, vcc
	global_store_dwordx2 v[10:11], v[66:67], off
	s_or_b64 exec, exec, s[36:37]
	s_and_saveexec_b64 s[36:37], s[10:11]
	s_cbranch_execnz .LBB996_256
.LBB996_240:
	s_or_b64 exec, exec, s[36:37]
	s_and_saveexec_b64 s[36:37], s[8:9]
	s_cbranch_execz .LBB996_257
.LBB996_241:
	v_sub_u32_e32 v10, v24, v8
	v_mov_b32_e32 v11, 0
	v_lshlrev_b64 v[10:11], 3, v[10:11]
	v_add_co_u32_e32 v10, vcc, v6, v10
	v_addc_co_u32_e32 v11, vcc, v7, v11, vcc
	global_store_dwordx2 v[10:11], v[70:71], off
	s_or_b64 exec, exec, s[36:37]
	s_and_saveexec_b64 s[36:37], s[6:7]
	s_cbranch_execnz .LBB996_258
.LBB996_242:
	s_or_b64 exec, exec, s[36:37]
	s_and_saveexec_b64 s[36:37], s[4:5]
	s_cbranch_execz .LBB996_259
.LBB996_243:
	v_sub_u32_e32 v10, v22, v8
	v_mov_b32_e32 v11, 0
	v_lshlrev_b64 v[10:11], 3, v[10:11]
	v_add_co_u32_e32 v10, vcc, v6, v10
	v_addc_co_u32_e32 v11, vcc, v7, v11, vcc
	global_store_dwordx2 v[10:11], v[74:75], off
	s_or_b64 exec, exec, s[36:37]
	s_and_saveexec_b64 s[36:37], s[2:3]
	s_cbranch_execnz .LBB996_260
	s_branch .LBB996_261
.LBB996_244:
	s_andn2_saveexec_b64 s[30:31], s[30:31]
	s_cbranch_execz .LBB996_262
.LBB996_245:
	v_sub_u32_e32 v10, v99, v8
	v_mov_b32_e32 v11, 0
	v_lshlrev_b64 v[12:13], 3, v[10:11]
	v_add_co_u32_e32 v12, vcc, v6, v12
	v_addc_co_u32_e32 v13, vcc, v7, v13, vcc
	v_sub_u32_e32 v10, v33, v8
	global_store_dwordx2 v[12:13], v[76:77], off
	v_lshlrev_b64 v[12:13], 3, v[10:11]
	v_add_co_u32_e32 v12, vcc, v6, v12
	v_addc_co_u32_e32 v13, vcc, v7, v13, vcc
	v_sub_u32_e32 v10, v32, v8
	global_store_dwordx2 v[12:13], v[52:53], off
	;; [unrolled: 5-line block ×12, first 2 shown]
	v_lshlrev_b64 v[12:13], 3, v[10:11]
	v_add_co_u32_e32 v12, vcc, v6, v12
	v_sub_u32_e32 v10, v21, v8
	v_addc_co_u32_e32 v13, vcc, v7, v13, vcc
	v_lshlrev_b64 v[10:11], 3, v[10:11]
	v_add_co_u32_e32 v10, vcc, v6, v10
	v_addc_co_u32_e32 v11, vcc, v7, v11, vcc
	s_or_b64 s[36:37], s[36:37], exec
	global_store_dwordx2 v[12:13], v[74:75], off
	global_store_dwordx2 v[10:11], v[78:79], off
	s_or_b64 exec, exec, s[30:31]
	s_and_b64 exec, exec, s[36:37]
	s_cbranch_execnz .LBB996_263
	s_branch .LBB996_264
.LBB996_246:
	s_or_b64 exec, exec, s[8:9]
	v_mov_b32_e32 v96, s12
	s_and_saveexec_b64 s[2:3], s[6:7]
	s_cbranch_execnz .LBB996_76
	s_branch .LBB996_77
.LBB996_247:
	s_or_b64 exec, exec, s[36:37]
	s_and_saveexec_b64 s[36:37], s[26:27]
	s_cbranch_execz .LBB996_232
.LBB996_248:
	v_sub_u32_e32 v10, v33, v8
	v_mov_b32_e32 v11, 0
	v_lshlrev_b64 v[10:11], 3, v[10:11]
	v_add_co_u32_e32 v10, vcc, v6, v10
	v_addc_co_u32_e32 v11, vcc, v7, v11, vcc
	global_store_dwordx2 v[10:11], v[52:53], off
	s_or_b64 exec, exec, s[36:37]
	s_and_saveexec_b64 s[36:37], s[24:25]
	s_cbranch_execnz .LBB996_233
.LBB996_249:
	s_or_b64 exec, exec, s[36:37]
	s_and_saveexec_b64 s[36:37], s[22:23]
	s_cbranch_execz .LBB996_234
.LBB996_250:
	v_sub_u32_e32 v10, v31, v8
	v_mov_b32_e32 v11, 0
	v_lshlrev_b64 v[10:11], 3, v[10:11]
	v_add_co_u32_e32 v10, vcc, v6, v10
	v_addc_co_u32_e32 v11, vcc, v7, v11, vcc
	global_store_dwordx2 v[10:11], v[56:57], off
	s_or_b64 exec, exec, s[36:37]
	s_and_saveexec_b64 s[36:37], s[20:21]
	s_cbranch_execnz .LBB996_235
.LBB996_251:
	s_or_b64 exec, exec, s[36:37]
	s_and_saveexec_b64 s[36:37], s[18:19]
	s_cbranch_execz .LBB996_236
.LBB996_252:
	v_sub_u32_e32 v10, v29, v8
	v_mov_b32_e32 v11, 0
	v_lshlrev_b64 v[10:11], 3, v[10:11]
	v_add_co_u32_e32 v10, vcc, v6, v10
	v_addc_co_u32_e32 v11, vcc, v7, v11, vcc
	global_store_dwordx2 v[10:11], v[60:61], off
	s_or_b64 exec, exec, s[36:37]
	s_and_saveexec_b64 s[36:37], s[16:17]
	s_cbranch_execnz .LBB996_237
.LBB996_253:
	s_or_b64 exec, exec, s[36:37]
	s_and_saveexec_b64 s[36:37], s[14:15]
	s_cbranch_execz .LBB996_238
.LBB996_254:
	v_sub_u32_e32 v10, v27, v8
	v_mov_b32_e32 v11, 0
	v_lshlrev_b64 v[10:11], 3, v[10:11]
	v_add_co_u32_e32 v10, vcc, v6, v10
	v_addc_co_u32_e32 v11, vcc, v7, v11, vcc
	global_store_dwordx2 v[10:11], v[64:65], off
	s_or_b64 exec, exec, s[36:37]
	s_and_saveexec_b64 s[36:37], s[12:13]
	s_cbranch_execnz .LBB996_239
.LBB996_255:
	s_or_b64 exec, exec, s[36:37]
	s_and_saveexec_b64 s[36:37], s[10:11]
	s_cbranch_execz .LBB996_240
.LBB996_256:
	v_sub_u32_e32 v10, v25, v8
	v_mov_b32_e32 v11, 0
	v_lshlrev_b64 v[10:11], 3, v[10:11]
	v_add_co_u32_e32 v10, vcc, v6, v10
	v_addc_co_u32_e32 v11, vcc, v7, v11, vcc
	global_store_dwordx2 v[10:11], v[68:69], off
	s_or_b64 exec, exec, s[36:37]
	s_and_saveexec_b64 s[36:37], s[8:9]
	s_cbranch_execnz .LBB996_241
.LBB996_257:
	s_or_b64 exec, exec, s[36:37]
	s_and_saveexec_b64 s[36:37], s[6:7]
	s_cbranch_execz .LBB996_242
.LBB996_258:
	v_sub_u32_e32 v10, v23, v8
	v_mov_b32_e32 v11, 0
	v_lshlrev_b64 v[10:11], 3, v[10:11]
	v_add_co_u32_e32 v10, vcc, v6, v10
	v_addc_co_u32_e32 v11, vcc, v7, v11, vcc
	global_store_dwordx2 v[10:11], v[72:73], off
	s_or_b64 exec, exec, s[36:37]
	s_and_saveexec_b64 s[36:37], s[4:5]
	s_cbranch_execnz .LBB996_243
.LBB996_259:
	s_or_b64 exec, exec, s[36:37]
	s_and_saveexec_b64 s[36:37], s[2:3]
	s_cbranch_execz .LBB996_261
.LBB996_260:
	v_sub_u32_e32 v10, v21, v8
	v_mov_b32_e32 v11, 0
	v_lshlrev_b64 v[10:11], 3, v[10:11]
	v_add_co_u32_e32 v10, vcc, v6, v10
	v_addc_co_u32_e32 v11, vcc, v7, v11, vcc
	global_store_dwordx2 v[10:11], v[78:79], off
.LBB996_261:
	s_or_b64 exec, exec, s[36:37]
	s_and_b64 s[36:37], s[0:1], exec
	s_andn2_saveexec_b64 s[30:31], s[30:31]
	s_cbranch_execnz .LBB996_245
.LBB996_262:
	s_or_b64 exec, exec, s[30:31]
	s_and_b64 exec, exec, s[36:37]
	s_cbranch_execz .LBB996_264
.LBB996_263:
	v_sub_u32_e32 v10, v20, v8
	v_mov_b32_e32 v11, 0
	v_lshlrev_b64 v[10:11], 3, v[10:11]
	v_add_co_u32_e32 v10, vcc, v6, v10
	v_addc_co_u32_e32 v11, vcc, v7, v11, vcc
	global_store_dwordx2 v[10:11], v[2:3], off
.LBB996_264:
	s_or_b64 exec, exec, s[34:35]
	s_mov_b64 s[34:35], 0
.LBB996_265:
	s_and_b64 vcc, exec, s[34:35]
	s_cbranch_vccz .LBB996_305
; %bb.266:
	v_cmp_gt_i16_e32 vcc, 2, v9
	s_and_saveexec_b64 s[30:31], vcc
	s_cbranch_execz .LBB996_301
; %bb.267:
	v_cmp_ne_u16_e32 vcc, 1, v9
	s_mov_b64 s[36:37], 0
	s_and_saveexec_b64 s[34:35], vcc
	s_xor_b64 s[34:35], exec, s[34:35]
	s_cbranch_execz .LBB996_282
; %bb.268:
	s_and_saveexec_b64 s[36:37], s[28:29]
	s_cbranch_execz .LBB996_284
; %bb.269:
	v_sub_u32_e32 v9, v99, v8
	v_lshlrev_b32_e32 v9, 3, v9
	ds_write_b64 v9, v[76:77]
	s_or_b64 exec, exec, s[36:37]
	s_and_saveexec_b64 s[28:29], s[26:27]
	s_cbranch_execnz .LBB996_285
.LBB996_270:
	s_or_b64 exec, exec, s[28:29]
	s_and_saveexec_b64 s[26:27], s[24:25]
	s_cbranch_execz .LBB996_286
.LBB996_271:
	v_sub_u32_e32 v9, v32, v8
	v_lshlrev_b32_e32 v9, 3, v9
	ds_write_b64 v9, v[54:55]
	s_or_b64 exec, exec, s[26:27]
	s_and_saveexec_b64 s[24:25], s[22:23]
	s_cbranch_execnz .LBB996_287
.LBB996_272:
	s_or_b64 exec, exec, s[24:25]
	s_and_saveexec_b64 s[22:23], s[20:21]
	s_cbranch_execz .LBB996_288
.LBB996_273:
	v_sub_u32_e32 v9, v30, v8
	v_lshlrev_b32_e32 v9, 3, v9
	ds_write_b64 v9, v[58:59]
	s_or_b64 exec, exec, s[22:23]
	s_and_saveexec_b64 s[20:21], s[18:19]
	s_cbranch_execnz .LBB996_289
.LBB996_274:
	s_or_b64 exec, exec, s[20:21]
	s_and_saveexec_b64 s[18:19], s[16:17]
	s_cbranch_execz .LBB996_290
.LBB996_275:
	v_sub_u32_e32 v9, v28, v8
	v_lshlrev_b32_e32 v9, 3, v9
	ds_write_b64 v9, v[62:63]
	s_or_b64 exec, exec, s[18:19]
	s_and_saveexec_b64 s[16:17], s[14:15]
	s_cbranch_execnz .LBB996_291
.LBB996_276:
	s_or_b64 exec, exec, s[16:17]
	s_and_saveexec_b64 s[14:15], s[12:13]
	s_cbranch_execz .LBB996_292
.LBB996_277:
	v_sub_u32_e32 v9, v26, v8
	v_lshlrev_b32_e32 v9, 3, v9
	ds_write_b64 v9, v[66:67]
	s_or_b64 exec, exec, s[14:15]
	s_and_saveexec_b64 s[12:13], s[10:11]
	s_cbranch_execnz .LBB996_293
.LBB996_278:
	s_or_b64 exec, exec, s[12:13]
	s_and_saveexec_b64 s[10:11], s[8:9]
	s_cbranch_execz .LBB996_294
.LBB996_279:
	v_sub_u32_e32 v9, v24, v8
	v_lshlrev_b32_e32 v9, 3, v9
	ds_write_b64 v9, v[70:71]
	s_or_b64 exec, exec, s[10:11]
	s_and_saveexec_b64 s[8:9], s[6:7]
	s_cbranch_execnz .LBB996_295
.LBB996_280:
	s_or_b64 exec, exec, s[8:9]
	s_and_saveexec_b64 s[6:7], s[4:5]
	s_cbranch_execz .LBB996_296
.LBB996_281:
	v_sub_u32_e32 v9, v22, v8
	v_lshlrev_b32_e32 v9, 3, v9
	ds_write_b64 v9, v[74:75]
	s_or_b64 exec, exec, s[6:7]
	s_and_saveexec_b64 s[4:5], s[2:3]
	s_cbranch_execnz .LBB996_297
	s_branch .LBB996_298
.LBB996_282:
	s_andn2_saveexec_b64 s[0:1], s[34:35]
	s_cbranch_execz .LBB996_299
.LBB996_283:
	v_sub_u32_e32 v9, v99, v8
	v_lshlrev_b32_e32 v9, 3, v9
	ds_write_b64 v9, v[76:77]
	v_sub_u32_e32 v9, v33, v8
	v_lshlrev_b32_e32 v9, 3, v9
	ds_write_b64 v9, v[52:53]
	;; [unrolled: 3-line block ×13, first 2 shown]
	v_sub_u32_e32 v9, v21, v8
	v_lshlrev_b32_e32 v9, 3, v9
	s_or_b64 s[36:37], s[36:37], exec
	ds_write_b64 v9, v[78:79]
	s_or_b64 exec, exec, s[0:1]
	s_and_b64 exec, exec, s[36:37]
	s_cbranch_execnz .LBB996_300
	s_branch .LBB996_301
.LBB996_284:
	s_or_b64 exec, exec, s[36:37]
	s_and_saveexec_b64 s[28:29], s[26:27]
	s_cbranch_execz .LBB996_270
.LBB996_285:
	v_sub_u32_e32 v9, v33, v8
	v_lshlrev_b32_e32 v9, 3, v9
	ds_write_b64 v9, v[52:53]
	s_or_b64 exec, exec, s[28:29]
	s_and_saveexec_b64 s[26:27], s[24:25]
	s_cbranch_execnz .LBB996_271
.LBB996_286:
	s_or_b64 exec, exec, s[26:27]
	s_and_saveexec_b64 s[24:25], s[22:23]
	s_cbranch_execz .LBB996_272
.LBB996_287:
	v_sub_u32_e32 v9, v31, v8
	v_lshlrev_b32_e32 v9, 3, v9
	ds_write_b64 v9, v[56:57]
	s_or_b64 exec, exec, s[24:25]
	s_and_saveexec_b64 s[22:23], s[20:21]
	s_cbranch_execnz .LBB996_273
.LBB996_288:
	s_or_b64 exec, exec, s[22:23]
	s_and_saveexec_b64 s[20:21], s[18:19]
	s_cbranch_execz .LBB996_274
.LBB996_289:
	v_sub_u32_e32 v9, v29, v8
	v_lshlrev_b32_e32 v9, 3, v9
	ds_write_b64 v9, v[60:61]
	s_or_b64 exec, exec, s[20:21]
	s_and_saveexec_b64 s[18:19], s[16:17]
	s_cbranch_execnz .LBB996_275
.LBB996_290:
	s_or_b64 exec, exec, s[18:19]
	s_and_saveexec_b64 s[16:17], s[14:15]
	s_cbranch_execz .LBB996_276
.LBB996_291:
	v_sub_u32_e32 v9, v27, v8
	v_lshlrev_b32_e32 v9, 3, v9
	ds_write_b64 v9, v[64:65]
	s_or_b64 exec, exec, s[16:17]
	s_and_saveexec_b64 s[14:15], s[12:13]
	s_cbranch_execnz .LBB996_277
.LBB996_292:
	s_or_b64 exec, exec, s[14:15]
	s_and_saveexec_b64 s[12:13], s[10:11]
	s_cbranch_execz .LBB996_278
.LBB996_293:
	v_sub_u32_e32 v9, v25, v8
	v_lshlrev_b32_e32 v9, 3, v9
	ds_write_b64 v9, v[68:69]
	s_or_b64 exec, exec, s[12:13]
	s_and_saveexec_b64 s[10:11], s[8:9]
	s_cbranch_execnz .LBB996_279
.LBB996_294:
	s_or_b64 exec, exec, s[10:11]
	s_and_saveexec_b64 s[8:9], s[6:7]
	s_cbranch_execz .LBB996_280
.LBB996_295:
	v_sub_u32_e32 v9, v23, v8
	v_lshlrev_b32_e32 v9, 3, v9
	ds_write_b64 v9, v[72:73]
	s_or_b64 exec, exec, s[8:9]
	s_and_saveexec_b64 s[6:7], s[4:5]
	s_cbranch_execnz .LBB996_281
.LBB996_296:
	s_or_b64 exec, exec, s[6:7]
	s_and_saveexec_b64 s[4:5], s[2:3]
	s_cbranch_execz .LBB996_298
.LBB996_297:
	v_sub_u32_e32 v9, v21, v8
	v_lshlrev_b32_e32 v9, 3, v9
	ds_write_b64 v9, v[78:79]
.LBB996_298:
	s_or_b64 exec, exec, s[4:5]
	s_and_b64 s[36:37], s[0:1], exec
                                        ; implicit-def: $vgpr76_vgpr77
                                        ; implicit-def: $vgpr52_vgpr53
                                        ; implicit-def: $vgpr54_vgpr55
                                        ; implicit-def: $vgpr56_vgpr57
                                        ; implicit-def: $vgpr58_vgpr59
                                        ; implicit-def: $vgpr60_vgpr61
                                        ; implicit-def: $vgpr62_vgpr63
                                        ; implicit-def: $vgpr64_vgpr65
                                        ; implicit-def: $vgpr66_vgpr67
                                        ; implicit-def: $vgpr68_vgpr69
                                        ; implicit-def: $vgpr70_vgpr71
                                        ; implicit-def: $vgpr72_vgpr73
                                        ; implicit-def: $vgpr74_vgpr75
                                        ; implicit-def: $vgpr78_vgpr79
                                        ; implicit-def: $vgpr99
                                        ; implicit-def: $vgpr33
                                        ; implicit-def: $vgpr32
                                        ; implicit-def: $vgpr31
                                        ; implicit-def: $vgpr30
                                        ; implicit-def: $vgpr29
                                        ; implicit-def: $vgpr28
                                        ; implicit-def: $vgpr27
                                        ; implicit-def: $vgpr26
                                        ; implicit-def: $vgpr25
                                        ; implicit-def: $vgpr24
                                        ; implicit-def: $vgpr23
                                        ; implicit-def: $vgpr22
                                        ; implicit-def: $vgpr21
	s_andn2_saveexec_b64 s[0:1], s[34:35]
	s_cbranch_execnz .LBB996_283
.LBB996_299:
	s_or_b64 exec, exec, s[0:1]
	s_and_b64 exec, exec, s[36:37]
	s_cbranch_execz .LBB996_301
.LBB996_300:
	v_sub_u32_e32 v8, v20, v8
	v_lshlrev_b32_e32 v8, 3, v8
	ds_write_b64 v8, v[2:3]
.LBB996_301:
	s_or_b64 exec, exec, s[30:31]
	v_cmp_lt_u32_e32 vcc, v0, v1
	s_waitcnt lgkmcnt(0)
	s_barrier
	s_and_saveexec_b64 s[0:1], vcc
	s_cbranch_execz .LBB996_304
; %bb.302:
	v_lshlrev_b32_e32 v8, 3, v0
	s_mov_b64 s[2:3], 0
	v_mov_b32_e32 v3, 0
	v_mov_b32_e32 v2, v0
.LBB996_303:                            ; =>This Inner Loop Header: Depth=1
	v_lshlrev_b64 v[10:11], 3, v[2:3]
	ds_read_b64 v[12:13], v8
	v_add_co_u32_e32 v10, vcc, v6, v10
	v_add_u32_e32 v2, 0x100, v2
	v_addc_co_u32_e32 v11, vcc, v7, v11, vcc
	v_cmp_ge_u32_e32 vcc, v2, v1
	v_add_u32_e32 v8, 0x800, v8
	s_or_b64 s[2:3], vcc, s[2:3]
	s_waitcnt lgkmcnt(0)
	global_store_dwordx2 v[10:11], v[12:13], off
	s_andn2_b64 exec, exec, s[2:3]
	s_cbranch_execnz .LBB996_303
.LBB996_304:
	s_or_b64 exec, exec, s[0:1]
.LBB996_305:
	s_movk_i32 s0, 0xff
	v_cmp_eq_u32_e32 vcc, s0, v0
	s_and_b64 s[0:1], vcc, s[44:45]
	s_and_saveexec_b64 s[2:3], s[0:1]
	s_cbranch_execz .LBB996_308
; %bb.306:
	v_add_co_u32_e32 v0, vcc, v46, v50
	v_addc_co_u32_e64 v1, s[0:1], 0, 0, vcc
	v_add_co_u32_e32 v0, vcc, v0, v18
	v_mov_b32_e32 v47, 0
	v_addc_co_u32_e32 v1, vcc, v1, v19, vcc
	s_cmpk_lg_i32 s33, 0xf00
	global_store_dwordx2 v47, v[0:1], s[54:55]
	s_cbranch_scc1 .LBB996_308
; %bb.307:
	v_lshlrev_b64 v[0:1], 3, v[46:47]
	v_add_co_u32_e32 v0, vcc, v4, v0
	v_addc_co_u32_e32 v1, vcc, v5, v1, vcc
	global_store_dwordx2 v[0:1], v[48:49], off offset:-8
.LBB996_308:
	s_endpgm
	.section	.rodata,"a",@progbits
	.p2align	6, 0x0
	.amdhsa_kernel _ZN7rocprim17ROCPRIM_400000_NS6detail17trampoline_kernelINS0_14default_configENS1_29reduce_by_key_config_selectorIjxN6thrust23THRUST_200600_302600_NS4plusIxEEEEZZNS1_33reduce_by_key_impl_wrapped_configILNS1_25lookback_scan_determinismE0ES3_S9_NS6_6detail15normal_iteratorINS6_10device_ptrIjEEEENSD_INSE_IxEEEENS6_16discard_iteratorINS6_11use_defaultEEESI_PmS8_NS6_8equal_toIjEEEE10hipError_tPvRmT2_T3_mT4_T5_T6_T7_T8_P12ihipStream_tbENKUlT_T0_E_clISt17integral_constantIbLb1EES16_EEDaS11_S12_EUlS11_E_NS1_11comp_targetILNS1_3genE4ELNS1_11target_archE910ELNS1_3gpuE8ELNS1_3repE0EEENS1_30default_config_static_selectorELNS0_4arch9wavefront6targetE1EEEvT1_
		.amdhsa_group_segment_fixed_size 30720
		.amdhsa_private_segment_fixed_size 0
		.amdhsa_kernarg_size 144
		.amdhsa_user_sgpr_count 6
		.amdhsa_user_sgpr_private_segment_buffer 1
		.amdhsa_user_sgpr_dispatch_ptr 0
		.amdhsa_user_sgpr_queue_ptr 0
		.amdhsa_user_sgpr_kernarg_segment_ptr 1
		.amdhsa_user_sgpr_dispatch_id 0
		.amdhsa_user_sgpr_flat_scratch_init 0
		.amdhsa_user_sgpr_kernarg_preload_length 0
		.amdhsa_user_sgpr_kernarg_preload_offset 0
		.amdhsa_user_sgpr_private_segment_size 0
		.amdhsa_uses_dynamic_stack 0
		.amdhsa_system_sgpr_private_segment_wavefront_offset 0
		.amdhsa_system_sgpr_workgroup_id_x 1
		.amdhsa_system_sgpr_workgroup_id_y 0
		.amdhsa_system_sgpr_workgroup_id_z 0
		.amdhsa_system_sgpr_workgroup_info 0
		.amdhsa_system_vgpr_workitem_id 0
		.amdhsa_next_free_vgpr 102
		.amdhsa_next_free_sgpr 63
		.amdhsa_accum_offset 104
		.amdhsa_reserve_vcc 1
		.amdhsa_reserve_flat_scratch 0
		.amdhsa_float_round_mode_32 0
		.amdhsa_float_round_mode_16_64 0
		.amdhsa_float_denorm_mode_32 3
		.amdhsa_float_denorm_mode_16_64 3
		.amdhsa_dx10_clamp 1
		.amdhsa_ieee_mode 1
		.amdhsa_fp16_overflow 0
		.amdhsa_tg_split 0
		.amdhsa_exception_fp_ieee_invalid_op 0
		.amdhsa_exception_fp_denorm_src 0
		.amdhsa_exception_fp_ieee_div_zero 0
		.amdhsa_exception_fp_ieee_overflow 0
		.amdhsa_exception_fp_ieee_underflow 0
		.amdhsa_exception_fp_ieee_inexact 0
		.amdhsa_exception_int_div_zero 0
	.end_amdhsa_kernel
	.section	.text._ZN7rocprim17ROCPRIM_400000_NS6detail17trampoline_kernelINS0_14default_configENS1_29reduce_by_key_config_selectorIjxN6thrust23THRUST_200600_302600_NS4plusIxEEEEZZNS1_33reduce_by_key_impl_wrapped_configILNS1_25lookback_scan_determinismE0ES3_S9_NS6_6detail15normal_iteratorINS6_10device_ptrIjEEEENSD_INSE_IxEEEENS6_16discard_iteratorINS6_11use_defaultEEESI_PmS8_NS6_8equal_toIjEEEE10hipError_tPvRmT2_T3_mT4_T5_T6_T7_T8_P12ihipStream_tbENKUlT_T0_E_clISt17integral_constantIbLb1EES16_EEDaS11_S12_EUlS11_E_NS1_11comp_targetILNS1_3genE4ELNS1_11target_archE910ELNS1_3gpuE8ELNS1_3repE0EEENS1_30default_config_static_selectorELNS0_4arch9wavefront6targetE1EEEvT1_,"axG",@progbits,_ZN7rocprim17ROCPRIM_400000_NS6detail17trampoline_kernelINS0_14default_configENS1_29reduce_by_key_config_selectorIjxN6thrust23THRUST_200600_302600_NS4plusIxEEEEZZNS1_33reduce_by_key_impl_wrapped_configILNS1_25lookback_scan_determinismE0ES3_S9_NS6_6detail15normal_iteratorINS6_10device_ptrIjEEEENSD_INSE_IxEEEENS6_16discard_iteratorINS6_11use_defaultEEESI_PmS8_NS6_8equal_toIjEEEE10hipError_tPvRmT2_T3_mT4_T5_T6_T7_T8_P12ihipStream_tbENKUlT_T0_E_clISt17integral_constantIbLb1EES16_EEDaS11_S12_EUlS11_E_NS1_11comp_targetILNS1_3genE4ELNS1_11target_archE910ELNS1_3gpuE8ELNS1_3repE0EEENS1_30default_config_static_selectorELNS0_4arch9wavefront6targetE1EEEvT1_,comdat
.Lfunc_end996:
	.size	_ZN7rocprim17ROCPRIM_400000_NS6detail17trampoline_kernelINS0_14default_configENS1_29reduce_by_key_config_selectorIjxN6thrust23THRUST_200600_302600_NS4plusIxEEEEZZNS1_33reduce_by_key_impl_wrapped_configILNS1_25lookback_scan_determinismE0ES3_S9_NS6_6detail15normal_iteratorINS6_10device_ptrIjEEEENSD_INSE_IxEEEENS6_16discard_iteratorINS6_11use_defaultEEESI_PmS8_NS6_8equal_toIjEEEE10hipError_tPvRmT2_T3_mT4_T5_T6_T7_T8_P12ihipStream_tbENKUlT_T0_E_clISt17integral_constantIbLb1EES16_EEDaS11_S12_EUlS11_E_NS1_11comp_targetILNS1_3genE4ELNS1_11target_archE910ELNS1_3gpuE8ELNS1_3repE0EEENS1_30default_config_static_selectorELNS0_4arch9wavefront6targetE1EEEvT1_, .Lfunc_end996-_ZN7rocprim17ROCPRIM_400000_NS6detail17trampoline_kernelINS0_14default_configENS1_29reduce_by_key_config_selectorIjxN6thrust23THRUST_200600_302600_NS4plusIxEEEEZZNS1_33reduce_by_key_impl_wrapped_configILNS1_25lookback_scan_determinismE0ES3_S9_NS6_6detail15normal_iteratorINS6_10device_ptrIjEEEENSD_INSE_IxEEEENS6_16discard_iteratorINS6_11use_defaultEEESI_PmS8_NS6_8equal_toIjEEEE10hipError_tPvRmT2_T3_mT4_T5_T6_T7_T8_P12ihipStream_tbENKUlT_T0_E_clISt17integral_constantIbLb1EES16_EEDaS11_S12_EUlS11_E_NS1_11comp_targetILNS1_3genE4ELNS1_11target_archE910ELNS1_3gpuE8ELNS1_3repE0EEENS1_30default_config_static_selectorELNS0_4arch9wavefront6targetE1EEEvT1_
                                        ; -- End function
	.section	.AMDGPU.csdata,"",@progbits
; Kernel info:
; codeLenInByte = 15716
; NumSgprs: 67
; NumVgprs: 102
; NumAgprs: 0
; TotalNumVgprs: 102
; ScratchSize: 0
; MemoryBound: 0
; FloatMode: 240
; IeeeMode: 1
; LDSByteSize: 30720 bytes/workgroup (compile time only)
; SGPRBlocks: 8
; VGPRBlocks: 12
; NumSGPRsForWavesPerEU: 67
; NumVGPRsForWavesPerEU: 102
; AccumOffset: 104
; Occupancy: 2
; WaveLimiterHint : 1
; COMPUTE_PGM_RSRC2:SCRATCH_EN: 0
; COMPUTE_PGM_RSRC2:USER_SGPR: 6
; COMPUTE_PGM_RSRC2:TRAP_HANDLER: 0
; COMPUTE_PGM_RSRC2:TGID_X_EN: 1
; COMPUTE_PGM_RSRC2:TGID_Y_EN: 0
; COMPUTE_PGM_RSRC2:TGID_Z_EN: 0
; COMPUTE_PGM_RSRC2:TIDIG_COMP_CNT: 0
; COMPUTE_PGM_RSRC3_GFX90A:ACCUM_OFFSET: 25
; COMPUTE_PGM_RSRC3_GFX90A:TG_SPLIT: 0
	.section	.text._ZN7rocprim17ROCPRIM_400000_NS6detail17trampoline_kernelINS0_14default_configENS1_29reduce_by_key_config_selectorIjxN6thrust23THRUST_200600_302600_NS4plusIxEEEEZZNS1_33reduce_by_key_impl_wrapped_configILNS1_25lookback_scan_determinismE0ES3_S9_NS6_6detail15normal_iteratorINS6_10device_ptrIjEEEENSD_INSE_IxEEEENS6_16discard_iteratorINS6_11use_defaultEEESI_PmS8_NS6_8equal_toIjEEEE10hipError_tPvRmT2_T3_mT4_T5_T6_T7_T8_P12ihipStream_tbENKUlT_T0_E_clISt17integral_constantIbLb1EES16_EEDaS11_S12_EUlS11_E_NS1_11comp_targetILNS1_3genE3ELNS1_11target_archE908ELNS1_3gpuE7ELNS1_3repE0EEENS1_30default_config_static_selectorELNS0_4arch9wavefront6targetE1EEEvT1_,"axG",@progbits,_ZN7rocprim17ROCPRIM_400000_NS6detail17trampoline_kernelINS0_14default_configENS1_29reduce_by_key_config_selectorIjxN6thrust23THRUST_200600_302600_NS4plusIxEEEEZZNS1_33reduce_by_key_impl_wrapped_configILNS1_25lookback_scan_determinismE0ES3_S9_NS6_6detail15normal_iteratorINS6_10device_ptrIjEEEENSD_INSE_IxEEEENS6_16discard_iteratorINS6_11use_defaultEEESI_PmS8_NS6_8equal_toIjEEEE10hipError_tPvRmT2_T3_mT4_T5_T6_T7_T8_P12ihipStream_tbENKUlT_T0_E_clISt17integral_constantIbLb1EES16_EEDaS11_S12_EUlS11_E_NS1_11comp_targetILNS1_3genE3ELNS1_11target_archE908ELNS1_3gpuE7ELNS1_3repE0EEENS1_30default_config_static_selectorELNS0_4arch9wavefront6targetE1EEEvT1_,comdat
	.protected	_ZN7rocprim17ROCPRIM_400000_NS6detail17trampoline_kernelINS0_14default_configENS1_29reduce_by_key_config_selectorIjxN6thrust23THRUST_200600_302600_NS4plusIxEEEEZZNS1_33reduce_by_key_impl_wrapped_configILNS1_25lookback_scan_determinismE0ES3_S9_NS6_6detail15normal_iteratorINS6_10device_ptrIjEEEENSD_INSE_IxEEEENS6_16discard_iteratorINS6_11use_defaultEEESI_PmS8_NS6_8equal_toIjEEEE10hipError_tPvRmT2_T3_mT4_T5_T6_T7_T8_P12ihipStream_tbENKUlT_T0_E_clISt17integral_constantIbLb1EES16_EEDaS11_S12_EUlS11_E_NS1_11comp_targetILNS1_3genE3ELNS1_11target_archE908ELNS1_3gpuE7ELNS1_3repE0EEENS1_30default_config_static_selectorELNS0_4arch9wavefront6targetE1EEEvT1_ ; -- Begin function _ZN7rocprim17ROCPRIM_400000_NS6detail17trampoline_kernelINS0_14default_configENS1_29reduce_by_key_config_selectorIjxN6thrust23THRUST_200600_302600_NS4plusIxEEEEZZNS1_33reduce_by_key_impl_wrapped_configILNS1_25lookback_scan_determinismE0ES3_S9_NS6_6detail15normal_iteratorINS6_10device_ptrIjEEEENSD_INSE_IxEEEENS6_16discard_iteratorINS6_11use_defaultEEESI_PmS8_NS6_8equal_toIjEEEE10hipError_tPvRmT2_T3_mT4_T5_T6_T7_T8_P12ihipStream_tbENKUlT_T0_E_clISt17integral_constantIbLb1EES16_EEDaS11_S12_EUlS11_E_NS1_11comp_targetILNS1_3genE3ELNS1_11target_archE908ELNS1_3gpuE7ELNS1_3repE0EEENS1_30default_config_static_selectorELNS0_4arch9wavefront6targetE1EEEvT1_
	.globl	_ZN7rocprim17ROCPRIM_400000_NS6detail17trampoline_kernelINS0_14default_configENS1_29reduce_by_key_config_selectorIjxN6thrust23THRUST_200600_302600_NS4plusIxEEEEZZNS1_33reduce_by_key_impl_wrapped_configILNS1_25lookback_scan_determinismE0ES3_S9_NS6_6detail15normal_iteratorINS6_10device_ptrIjEEEENSD_INSE_IxEEEENS6_16discard_iteratorINS6_11use_defaultEEESI_PmS8_NS6_8equal_toIjEEEE10hipError_tPvRmT2_T3_mT4_T5_T6_T7_T8_P12ihipStream_tbENKUlT_T0_E_clISt17integral_constantIbLb1EES16_EEDaS11_S12_EUlS11_E_NS1_11comp_targetILNS1_3genE3ELNS1_11target_archE908ELNS1_3gpuE7ELNS1_3repE0EEENS1_30default_config_static_selectorELNS0_4arch9wavefront6targetE1EEEvT1_
	.p2align	8
	.type	_ZN7rocprim17ROCPRIM_400000_NS6detail17trampoline_kernelINS0_14default_configENS1_29reduce_by_key_config_selectorIjxN6thrust23THRUST_200600_302600_NS4plusIxEEEEZZNS1_33reduce_by_key_impl_wrapped_configILNS1_25lookback_scan_determinismE0ES3_S9_NS6_6detail15normal_iteratorINS6_10device_ptrIjEEEENSD_INSE_IxEEEENS6_16discard_iteratorINS6_11use_defaultEEESI_PmS8_NS6_8equal_toIjEEEE10hipError_tPvRmT2_T3_mT4_T5_T6_T7_T8_P12ihipStream_tbENKUlT_T0_E_clISt17integral_constantIbLb1EES16_EEDaS11_S12_EUlS11_E_NS1_11comp_targetILNS1_3genE3ELNS1_11target_archE908ELNS1_3gpuE7ELNS1_3repE0EEENS1_30default_config_static_selectorELNS0_4arch9wavefront6targetE1EEEvT1_,@function
_ZN7rocprim17ROCPRIM_400000_NS6detail17trampoline_kernelINS0_14default_configENS1_29reduce_by_key_config_selectorIjxN6thrust23THRUST_200600_302600_NS4plusIxEEEEZZNS1_33reduce_by_key_impl_wrapped_configILNS1_25lookback_scan_determinismE0ES3_S9_NS6_6detail15normal_iteratorINS6_10device_ptrIjEEEENSD_INSE_IxEEEENS6_16discard_iteratorINS6_11use_defaultEEESI_PmS8_NS6_8equal_toIjEEEE10hipError_tPvRmT2_T3_mT4_T5_T6_T7_T8_P12ihipStream_tbENKUlT_T0_E_clISt17integral_constantIbLb1EES16_EEDaS11_S12_EUlS11_E_NS1_11comp_targetILNS1_3genE3ELNS1_11target_archE908ELNS1_3gpuE7ELNS1_3repE0EEENS1_30default_config_static_selectorELNS0_4arch9wavefront6targetE1EEEvT1_: ; @_ZN7rocprim17ROCPRIM_400000_NS6detail17trampoline_kernelINS0_14default_configENS1_29reduce_by_key_config_selectorIjxN6thrust23THRUST_200600_302600_NS4plusIxEEEEZZNS1_33reduce_by_key_impl_wrapped_configILNS1_25lookback_scan_determinismE0ES3_S9_NS6_6detail15normal_iteratorINS6_10device_ptrIjEEEENSD_INSE_IxEEEENS6_16discard_iteratorINS6_11use_defaultEEESI_PmS8_NS6_8equal_toIjEEEE10hipError_tPvRmT2_T3_mT4_T5_T6_T7_T8_P12ihipStream_tbENKUlT_T0_E_clISt17integral_constantIbLb1EES16_EEDaS11_S12_EUlS11_E_NS1_11comp_targetILNS1_3genE3ELNS1_11target_archE908ELNS1_3gpuE7ELNS1_3repE0EEENS1_30default_config_static_selectorELNS0_4arch9wavefront6targetE1EEEvT1_
; %bb.0:
	.section	.rodata,"a",@progbits
	.p2align	6, 0x0
	.amdhsa_kernel _ZN7rocprim17ROCPRIM_400000_NS6detail17trampoline_kernelINS0_14default_configENS1_29reduce_by_key_config_selectorIjxN6thrust23THRUST_200600_302600_NS4plusIxEEEEZZNS1_33reduce_by_key_impl_wrapped_configILNS1_25lookback_scan_determinismE0ES3_S9_NS6_6detail15normal_iteratorINS6_10device_ptrIjEEEENSD_INSE_IxEEEENS6_16discard_iteratorINS6_11use_defaultEEESI_PmS8_NS6_8equal_toIjEEEE10hipError_tPvRmT2_T3_mT4_T5_T6_T7_T8_P12ihipStream_tbENKUlT_T0_E_clISt17integral_constantIbLb1EES16_EEDaS11_S12_EUlS11_E_NS1_11comp_targetILNS1_3genE3ELNS1_11target_archE908ELNS1_3gpuE7ELNS1_3repE0EEENS1_30default_config_static_selectorELNS0_4arch9wavefront6targetE1EEEvT1_
		.amdhsa_group_segment_fixed_size 0
		.amdhsa_private_segment_fixed_size 0
		.amdhsa_kernarg_size 144
		.amdhsa_user_sgpr_count 6
		.amdhsa_user_sgpr_private_segment_buffer 1
		.amdhsa_user_sgpr_dispatch_ptr 0
		.amdhsa_user_sgpr_queue_ptr 0
		.amdhsa_user_sgpr_kernarg_segment_ptr 1
		.amdhsa_user_sgpr_dispatch_id 0
		.amdhsa_user_sgpr_flat_scratch_init 0
		.amdhsa_user_sgpr_kernarg_preload_length 0
		.amdhsa_user_sgpr_kernarg_preload_offset 0
		.amdhsa_user_sgpr_private_segment_size 0
		.amdhsa_uses_dynamic_stack 0
		.amdhsa_system_sgpr_private_segment_wavefront_offset 0
		.amdhsa_system_sgpr_workgroup_id_x 1
		.amdhsa_system_sgpr_workgroup_id_y 0
		.amdhsa_system_sgpr_workgroup_id_z 0
		.amdhsa_system_sgpr_workgroup_info 0
		.amdhsa_system_vgpr_workitem_id 0
		.amdhsa_next_free_vgpr 1
		.amdhsa_next_free_sgpr 0
		.amdhsa_accum_offset 4
		.amdhsa_reserve_vcc 0
		.amdhsa_reserve_flat_scratch 0
		.amdhsa_float_round_mode_32 0
		.amdhsa_float_round_mode_16_64 0
		.amdhsa_float_denorm_mode_32 3
		.amdhsa_float_denorm_mode_16_64 3
		.amdhsa_dx10_clamp 1
		.amdhsa_ieee_mode 1
		.amdhsa_fp16_overflow 0
		.amdhsa_tg_split 0
		.amdhsa_exception_fp_ieee_invalid_op 0
		.amdhsa_exception_fp_denorm_src 0
		.amdhsa_exception_fp_ieee_div_zero 0
		.amdhsa_exception_fp_ieee_overflow 0
		.amdhsa_exception_fp_ieee_underflow 0
		.amdhsa_exception_fp_ieee_inexact 0
		.amdhsa_exception_int_div_zero 0
	.end_amdhsa_kernel
	.section	.text._ZN7rocprim17ROCPRIM_400000_NS6detail17trampoline_kernelINS0_14default_configENS1_29reduce_by_key_config_selectorIjxN6thrust23THRUST_200600_302600_NS4plusIxEEEEZZNS1_33reduce_by_key_impl_wrapped_configILNS1_25lookback_scan_determinismE0ES3_S9_NS6_6detail15normal_iteratorINS6_10device_ptrIjEEEENSD_INSE_IxEEEENS6_16discard_iteratorINS6_11use_defaultEEESI_PmS8_NS6_8equal_toIjEEEE10hipError_tPvRmT2_T3_mT4_T5_T6_T7_T8_P12ihipStream_tbENKUlT_T0_E_clISt17integral_constantIbLb1EES16_EEDaS11_S12_EUlS11_E_NS1_11comp_targetILNS1_3genE3ELNS1_11target_archE908ELNS1_3gpuE7ELNS1_3repE0EEENS1_30default_config_static_selectorELNS0_4arch9wavefront6targetE1EEEvT1_,"axG",@progbits,_ZN7rocprim17ROCPRIM_400000_NS6detail17trampoline_kernelINS0_14default_configENS1_29reduce_by_key_config_selectorIjxN6thrust23THRUST_200600_302600_NS4plusIxEEEEZZNS1_33reduce_by_key_impl_wrapped_configILNS1_25lookback_scan_determinismE0ES3_S9_NS6_6detail15normal_iteratorINS6_10device_ptrIjEEEENSD_INSE_IxEEEENS6_16discard_iteratorINS6_11use_defaultEEESI_PmS8_NS6_8equal_toIjEEEE10hipError_tPvRmT2_T3_mT4_T5_T6_T7_T8_P12ihipStream_tbENKUlT_T0_E_clISt17integral_constantIbLb1EES16_EEDaS11_S12_EUlS11_E_NS1_11comp_targetILNS1_3genE3ELNS1_11target_archE908ELNS1_3gpuE7ELNS1_3repE0EEENS1_30default_config_static_selectorELNS0_4arch9wavefront6targetE1EEEvT1_,comdat
.Lfunc_end997:
	.size	_ZN7rocprim17ROCPRIM_400000_NS6detail17trampoline_kernelINS0_14default_configENS1_29reduce_by_key_config_selectorIjxN6thrust23THRUST_200600_302600_NS4plusIxEEEEZZNS1_33reduce_by_key_impl_wrapped_configILNS1_25lookback_scan_determinismE0ES3_S9_NS6_6detail15normal_iteratorINS6_10device_ptrIjEEEENSD_INSE_IxEEEENS6_16discard_iteratorINS6_11use_defaultEEESI_PmS8_NS6_8equal_toIjEEEE10hipError_tPvRmT2_T3_mT4_T5_T6_T7_T8_P12ihipStream_tbENKUlT_T0_E_clISt17integral_constantIbLb1EES16_EEDaS11_S12_EUlS11_E_NS1_11comp_targetILNS1_3genE3ELNS1_11target_archE908ELNS1_3gpuE7ELNS1_3repE0EEENS1_30default_config_static_selectorELNS0_4arch9wavefront6targetE1EEEvT1_, .Lfunc_end997-_ZN7rocprim17ROCPRIM_400000_NS6detail17trampoline_kernelINS0_14default_configENS1_29reduce_by_key_config_selectorIjxN6thrust23THRUST_200600_302600_NS4plusIxEEEEZZNS1_33reduce_by_key_impl_wrapped_configILNS1_25lookback_scan_determinismE0ES3_S9_NS6_6detail15normal_iteratorINS6_10device_ptrIjEEEENSD_INSE_IxEEEENS6_16discard_iteratorINS6_11use_defaultEEESI_PmS8_NS6_8equal_toIjEEEE10hipError_tPvRmT2_T3_mT4_T5_T6_T7_T8_P12ihipStream_tbENKUlT_T0_E_clISt17integral_constantIbLb1EES16_EEDaS11_S12_EUlS11_E_NS1_11comp_targetILNS1_3genE3ELNS1_11target_archE908ELNS1_3gpuE7ELNS1_3repE0EEENS1_30default_config_static_selectorELNS0_4arch9wavefront6targetE1EEEvT1_
                                        ; -- End function
	.section	.AMDGPU.csdata,"",@progbits
; Kernel info:
; codeLenInByte = 0
; NumSgprs: 4
; NumVgprs: 0
; NumAgprs: 0
; TotalNumVgprs: 0
; ScratchSize: 0
; MemoryBound: 0
; FloatMode: 240
; IeeeMode: 1
; LDSByteSize: 0 bytes/workgroup (compile time only)
; SGPRBlocks: 0
; VGPRBlocks: 0
; NumSGPRsForWavesPerEU: 4
; NumVGPRsForWavesPerEU: 1
; AccumOffset: 4
; Occupancy: 8
; WaveLimiterHint : 0
; COMPUTE_PGM_RSRC2:SCRATCH_EN: 0
; COMPUTE_PGM_RSRC2:USER_SGPR: 6
; COMPUTE_PGM_RSRC2:TRAP_HANDLER: 0
; COMPUTE_PGM_RSRC2:TGID_X_EN: 1
; COMPUTE_PGM_RSRC2:TGID_Y_EN: 0
; COMPUTE_PGM_RSRC2:TGID_Z_EN: 0
; COMPUTE_PGM_RSRC2:TIDIG_COMP_CNT: 0
; COMPUTE_PGM_RSRC3_GFX90A:ACCUM_OFFSET: 0
; COMPUTE_PGM_RSRC3_GFX90A:TG_SPLIT: 0
	.section	.text._ZN7rocprim17ROCPRIM_400000_NS6detail17trampoline_kernelINS0_14default_configENS1_29reduce_by_key_config_selectorIjxN6thrust23THRUST_200600_302600_NS4plusIxEEEEZZNS1_33reduce_by_key_impl_wrapped_configILNS1_25lookback_scan_determinismE0ES3_S9_NS6_6detail15normal_iteratorINS6_10device_ptrIjEEEENSD_INSE_IxEEEENS6_16discard_iteratorINS6_11use_defaultEEESI_PmS8_NS6_8equal_toIjEEEE10hipError_tPvRmT2_T3_mT4_T5_T6_T7_T8_P12ihipStream_tbENKUlT_T0_E_clISt17integral_constantIbLb1EES16_EEDaS11_S12_EUlS11_E_NS1_11comp_targetILNS1_3genE2ELNS1_11target_archE906ELNS1_3gpuE6ELNS1_3repE0EEENS1_30default_config_static_selectorELNS0_4arch9wavefront6targetE1EEEvT1_,"axG",@progbits,_ZN7rocprim17ROCPRIM_400000_NS6detail17trampoline_kernelINS0_14default_configENS1_29reduce_by_key_config_selectorIjxN6thrust23THRUST_200600_302600_NS4plusIxEEEEZZNS1_33reduce_by_key_impl_wrapped_configILNS1_25lookback_scan_determinismE0ES3_S9_NS6_6detail15normal_iteratorINS6_10device_ptrIjEEEENSD_INSE_IxEEEENS6_16discard_iteratorINS6_11use_defaultEEESI_PmS8_NS6_8equal_toIjEEEE10hipError_tPvRmT2_T3_mT4_T5_T6_T7_T8_P12ihipStream_tbENKUlT_T0_E_clISt17integral_constantIbLb1EES16_EEDaS11_S12_EUlS11_E_NS1_11comp_targetILNS1_3genE2ELNS1_11target_archE906ELNS1_3gpuE6ELNS1_3repE0EEENS1_30default_config_static_selectorELNS0_4arch9wavefront6targetE1EEEvT1_,comdat
	.protected	_ZN7rocprim17ROCPRIM_400000_NS6detail17trampoline_kernelINS0_14default_configENS1_29reduce_by_key_config_selectorIjxN6thrust23THRUST_200600_302600_NS4plusIxEEEEZZNS1_33reduce_by_key_impl_wrapped_configILNS1_25lookback_scan_determinismE0ES3_S9_NS6_6detail15normal_iteratorINS6_10device_ptrIjEEEENSD_INSE_IxEEEENS6_16discard_iteratorINS6_11use_defaultEEESI_PmS8_NS6_8equal_toIjEEEE10hipError_tPvRmT2_T3_mT4_T5_T6_T7_T8_P12ihipStream_tbENKUlT_T0_E_clISt17integral_constantIbLb1EES16_EEDaS11_S12_EUlS11_E_NS1_11comp_targetILNS1_3genE2ELNS1_11target_archE906ELNS1_3gpuE6ELNS1_3repE0EEENS1_30default_config_static_selectorELNS0_4arch9wavefront6targetE1EEEvT1_ ; -- Begin function _ZN7rocprim17ROCPRIM_400000_NS6detail17trampoline_kernelINS0_14default_configENS1_29reduce_by_key_config_selectorIjxN6thrust23THRUST_200600_302600_NS4plusIxEEEEZZNS1_33reduce_by_key_impl_wrapped_configILNS1_25lookback_scan_determinismE0ES3_S9_NS6_6detail15normal_iteratorINS6_10device_ptrIjEEEENSD_INSE_IxEEEENS6_16discard_iteratorINS6_11use_defaultEEESI_PmS8_NS6_8equal_toIjEEEE10hipError_tPvRmT2_T3_mT4_T5_T6_T7_T8_P12ihipStream_tbENKUlT_T0_E_clISt17integral_constantIbLb1EES16_EEDaS11_S12_EUlS11_E_NS1_11comp_targetILNS1_3genE2ELNS1_11target_archE906ELNS1_3gpuE6ELNS1_3repE0EEENS1_30default_config_static_selectorELNS0_4arch9wavefront6targetE1EEEvT1_
	.globl	_ZN7rocprim17ROCPRIM_400000_NS6detail17trampoline_kernelINS0_14default_configENS1_29reduce_by_key_config_selectorIjxN6thrust23THRUST_200600_302600_NS4plusIxEEEEZZNS1_33reduce_by_key_impl_wrapped_configILNS1_25lookback_scan_determinismE0ES3_S9_NS6_6detail15normal_iteratorINS6_10device_ptrIjEEEENSD_INSE_IxEEEENS6_16discard_iteratorINS6_11use_defaultEEESI_PmS8_NS6_8equal_toIjEEEE10hipError_tPvRmT2_T3_mT4_T5_T6_T7_T8_P12ihipStream_tbENKUlT_T0_E_clISt17integral_constantIbLb1EES16_EEDaS11_S12_EUlS11_E_NS1_11comp_targetILNS1_3genE2ELNS1_11target_archE906ELNS1_3gpuE6ELNS1_3repE0EEENS1_30default_config_static_selectorELNS0_4arch9wavefront6targetE1EEEvT1_
	.p2align	8
	.type	_ZN7rocprim17ROCPRIM_400000_NS6detail17trampoline_kernelINS0_14default_configENS1_29reduce_by_key_config_selectorIjxN6thrust23THRUST_200600_302600_NS4plusIxEEEEZZNS1_33reduce_by_key_impl_wrapped_configILNS1_25lookback_scan_determinismE0ES3_S9_NS6_6detail15normal_iteratorINS6_10device_ptrIjEEEENSD_INSE_IxEEEENS6_16discard_iteratorINS6_11use_defaultEEESI_PmS8_NS6_8equal_toIjEEEE10hipError_tPvRmT2_T3_mT4_T5_T6_T7_T8_P12ihipStream_tbENKUlT_T0_E_clISt17integral_constantIbLb1EES16_EEDaS11_S12_EUlS11_E_NS1_11comp_targetILNS1_3genE2ELNS1_11target_archE906ELNS1_3gpuE6ELNS1_3repE0EEENS1_30default_config_static_selectorELNS0_4arch9wavefront6targetE1EEEvT1_,@function
_ZN7rocprim17ROCPRIM_400000_NS6detail17trampoline_kernelINS0_14default_configENS1_29reduce_by_key_config_selectorIjxN6thrust23THRUST_200600_302600_NS4plusIxEEEEZZNS1_33reduce_by_key_impl_wrapped_configILNS1_25lookback_scan_determinismE0ES3_S9_NS6_6detail15normal_iteratorINS6_10device_ptrIjEEEENSD_INSE_IxEEEENS6_16discard_iteratorINS6_11use_defaultEEESI_PmS8_NS6_8equal_toIjEEEE10hipError_tPvRmT2_T3_mT4_T5_T6_T7_T8_P12ihipStream_tbENKUlT_T0_E_clISt17integral_constantIbLb1EES16_EEDaS11_S12_EUlS11_E_NS1_11comp_targetILNS1_3genE2ELNS1_11target_archE906ELNS1_3gpuE6ELNS1_3repE0EEENS1_30default_config_static_selectorELNS0_4arch9wavefront6targetE1EEEvT1_: ; @_ZN7rocprim17ROCPRIM_400000_NS6detail17trampoline_kernelINS0_14default_configENS1_29reduce_by_key_config_selectorIjxN6thrust23THRUST_200600_302600_NS4plusIxEEEEZZNS1_33reduce_by_key_impl_wrapped_configILNS1_25lookback_scan_determinismE0ES3_S9_NS6_6detail15normal_iteratorINS6_10device_ptrIjEEEENSD_INSE_IxEEEENS6_16discard_iteratorINS6_11use_defaultEEESI_PmS8_NS6_8equal_toIjEEEE10hipError_tPvRmT2_T3_mT4_T5_T6_T7_T8_P12ihipStream_tbENKUlT_T0_E_clISt17integral_constantIbLb1EES16_EEDaS11_S12_EUlS11_E_NS1_11comp_targetILNS1_3genE2ELNS1_11target_archE906ELNS1_3gpuE6ELNS1_3repE0EEENS1_30default_config_static_selectorELNS0_4arch9wavefront6targetE1EEEvT1_
; %bb.0:
	.section	.rodata,"a",@progbits
	.p2align	6, 0x0
	.amdhsa_kernel _ZN7rocprim17ROCPRIM_400000_NS6detail17trampoline_kernelINS0_14default_configENS1_29reduce_by_key_config_selectorIjxN6thrust23THRUST_200600_302600_NS4plusIxEEEEZZNS1_33reduce_by_key_impl_wrapped_configILNS1_25lookback_scan_determinismE0ES3_S9_NS6_6detail15normal_iteratorINS6_10device_ptrIjEEEENSD_INSE_IxEEEENS6_16discard_iteratorINS6_11use_defaultEEESI_PmS8_NS6_8equal_toIjEEEE10hipError_tPvRmT2_T3_mT4_T5_T6_T7_T8_P12ihipStream_tbENKUlT_T0_E_clISt17integral_constantIbLb1EES16_EEDaS11_S12_EUlS11_E_NS1_11comp_targetILNS1_3genE2ELNS1_11target_archE906ELNS1_3gpuE6ELNS1_3repE0EEENS1_30default_config_static_selectorELNS0_4arch9wavefront6targetE1EEEvT1_
		.amdhsa_group_segment_fixed_size 0
		.amdhsa_private_segment_fixed_size 0
		.amdhsa_kernarg_size 144
		.amdhsa_user_sgpr_count 6
		.amdhsa_user_sgpr_private_segment_buffer 1
		.amdhsa_user_sgpr_dispatch_ptr 0
		.amdhsa_user_sgpr_queue_ptr 0
		.amdhsa_user_sgpr_kernarg_segment_ptr 1
		.amdhsa_user_sgpr_dispatch_id 0
		.amdhsa_user_sgpr_flat_scratch_init 0
		.amdhsa_user_sgpr_kernarg_preload_length 0
		.amdhsa_user_sgpr_kernarg_preload_offset 0
		.amdhsa_user_sgpr_private_segment_size 0
		.amdhsa_uses_dynamic_stack 0
		.amdhsa_system_sgpr_private_segment_wavefront_offset 0
		.amdhsa_system_sgpr_workgroup_id_x 1
		.amdhsa_system_sgpr_workgroup_id_y 0
		.amdhsa_system_sgpr_workgroup_id_z 0
		.amdhsa_system_sgpr_workgroup_info 0
		.amdhsa_system_vgpr_workitem_id 0
		.amdhsa_next_free_vgpr 1
		.amdhsa_next_free_sgpr 0
		.amdhsa_accum_offset 4
		.amdhsa_reserve_vcc 0
		.amdhsa_reserve_flat_scratch 0
		.amdhsa_float_round_mode_32 0
		.amdhsa_float_round_mode_16_64 0
		.amdhsa_float_denorm_mode_32 3
		.amdhsa_float_denorm_mode_16_64 3
		.amdhsa_dx10_clamp 1
		.amdhsa_ieee_mode 1
		.amdhsa_fp16_overflow 0
		.amdhsa_tg_split 0
		.amdhsa_exception_fp_ieee_invalid_op 0
		.amdhsa_exception_fp_denorm_src 0
		.amdhsa_exception_fp_ieee_div_zero 0
		.amdhsa_exception_fp_ieee_overflow 0
		.amdhsa_exception_fp_ieee_underflow 0
		.amdhsa_exception_fp_ieee_inexact 0
		.amdhsa_exception_int_div_zero 0
	.end_amdhsa_kernel
	.section	.text._ZN7rocprim17ROCPRIM_400000_NS6detail17trampoline_kernelINS0_14default_configENS1_29reduce_by_key_config_selectorIjxN6thrust23THRUST_200600_302600_NS4plusIxEEEEZZNS1_33reduce_by_key_impl_wrapped_configILNS1_25lookback_scan_determinismE0ES3_S9_NS6_6detail15normal_iteratorINS6_10device_ptrIjEEEENSD_INSE_IxEEEENS6_16discard_iteratorINS6_11use_defaultEEESI_PmS8_NS6_8equal_toIjEEEE10hipError_tPvRmT2_T3_mT4_T5_T6_T7_T8_P12ihipStream_tbENKUlT_T0_E_clISt17integral_constantIbLb1EES16_EEDaS11_S12_EUlS11_E_NS1_11comp_targetILNS1_3genE2ELNS1_11target_archE906ELNS1_3gpuE6ELNS1_3repE0EEENS1_30default_config_static_selectorELNS0_4arch9wavefront6targetE1EEEvT1_,"axG",@progbits,_ZN7rocprim17ROCPRIM_400000_NS6detail17trampoline_kernelINS0_14default_configENS1_29reduce_by_key_config_selectorIjxN6thrust23THRUST_200600_302600_NS4plusIxEEEEZZNS1_33reduce_by_key_impl_wrapped_configILNS1_25lookback_scan_determinismE0ES3_S9_NS6_6detail15normal_iteratorINS6_10device_ptrIjEEEENSD_INSE_IxEEEENS6_16discard_iteratorINS6_11use_defaultEEESI_PmS8_NS6_8equal_toIjEEEE10hipError_tPvRmT2_T3_mT4_T5_T6_T7_T8_P12ihipStream_tbENKUlT_T0_E_clISt17integral_constantIbLb1EES16_EEDaS11_S12_EUlS11_E_NS1_11comp_targetILNS1_3genE2ELNS1_11target_archE906ELNS1_3gpuE6ELNS1_3repE0EEENS1_30default_config_static_selectorELNS0_4arch9wavefront6targetE1EEEvT1_,comdat
.Lfunc_end998:
	.size	_ZN7rocprim17ROCPRIM_400000_NS6detail17trampoline_kernelINS0_14default_configENS1_29reduce_by_key_config_selectorIjxN6thrust23THRUST_200600_302600_NS4plusIxEEEEZZNS1_33reduce_by_key_impl_wrapped_configILNS1_25lookback_scan_determinismE0ES3_S9_NS6_6detail15normal_iteratorINS6_10device_ptrIjEEEENSD_INSE_IxEEEENS6_16discard_iteratorINS6_11use_defaultEEESI_PmS8_NS6_8equal_toIjEEEE10hipError_tPvRmT2_T3_mT4_T5_T6_T7_T8_P12ihipStream_tbENKUlT_T0_E_clISt17integral_constantIbLb1EES16_EEDaS11_S12_EUlS11_E_NS1_11comp_targetILNS1_3genE2ELNS1_11target_archE906ELNS1_3gpuE6ELNS1_3repE0EEENS1_30default_config_static_selectorELNS0_4arch9wavefront6targetE1EEEvT1_, .Lfunc_end998-_ZN7rocprim17ROCPRIM_400000_NS6detail17trampoline_kernelINS0_14default_configENS1_29reduce_by_key_config_selectorIjxN6thrust23THRUST_200600_302600_NS4plusIxEEEEZZNS1_33reduce_by_key_impl_wrapped_configILNS1_25lookback_scan_determinismE0ES3_S9_NS6_6detail15normal_iteratorINS6_10device_ptrIjEEEENSD_INSE_IxEEEENS6_16discard_iteratorINS6_11use_defaultEEESI_PmS8_NS6_8equal_toIjEEEE10hipError_tPvRmT2_T3_mT4_T5_T6_T7_T8_P12ihipStream_tbENKUlT_T0_E_clISt17integral_constantIbLb1EES16_EEDaS11_S12_EUlS11_E_NS1_11comp_targetILNS1_3genE2ELNS1_11target_archE906ELNS1_3gpuE6ELNS1_3repE0EEENS1_30default_config_static_selectorELNS0_4arch9wavefront6targetE1EEEvT1_
                                        ; -- End function
	.section	.AMDGPU.csdata,"",@progbits
; Kernel info:
; codeLenInByte = 0
; NumSgprs: 4
; NumVgprs: 0
; NumAgprs: 0
; TotalNumVgprs: 0
; ScratchSize: 0
; MemoryBound: 0
; FloatMode: 240
; IeeeMode: 1
; LDSByteSize: 0 bytes/workgroup (compile time only)
; SGPRBlocks: 0
; VGPRBlocks: 0
; NumSGPRsForWavesPerEU: 4
; NumVGPRsForWavesPerEU: 1
; AccumOffset: 4
; Occupancy: 8
; WaveLimiterHint : 0
; COMPUTE_PGM_RSRC2:SCRATCH_EN: 0
; COMPUTE_PGM_RSRC2:USER_SGPR: 6
; COMPUTE_PGM_RSRC2:TRAP_HANDLER: 0
; COMPUTE_PGM_RSRC2:TGID_X_EN: 1
; COMPUTE_PGM_RSRC2:TGID_Y_EN: 0
; COMPUTE_PGM_RSRC2:TGID_Z_EN: 0
; COMPUTE_PGM_RSRC2:TIDIG_COMP_CNT: 0
; COMPUTE_PGM_RSRC3_GFX90A:ACCUM_OFFSET: 0
; COMPUTE_PGM_RSRC3_GFX90A:TG_SPLIT: 0
	.section	.text._ZN7rocprim17ROCPRIM_400000_NS6detail17trampoline_kernelINS0_14default_configENS1_29reduce_by_key_config_selectorIjxN6thrust23THRUST_200600_302600_NS4plusIxEEEEZZNS1_33reduce_by_key_impl_wrapped_configILNS1_25lookback_scan_determinismE0ES3_S9_NS6_6detail15normal_iteratorINS6_10device_ptrIjEEEENSD_INSE_IxEEEENS6_16discard_iteratorINS6_11use_defaultEEESI_PmS8_NS6_8equal_toIjEEEE10hipError_tPvRmT2_T3_mT4_T5_T6_T7_T8_P12ihipStream_tbENKUlT_T0_E_clISt17integral_constantIbLb1EES16_EEDaS11_S12_EUlS11_E_NS1_11comp_targetILNS1_3genE10ELNS1_11target_archE1201ELNS1_3gpuE5ELNS1_3repE0EEENS1_30default_config_static_selectorELNS0_4arch9wavefront6targetE1EEEvT1_,"axG",@progbits,_ZN7rocprim17ROCPRIM_400000_NS6detail17trampoline_kernelINS0_14default_configENS1_29reduce_by_key_config_selectorIjxN6thrust23THRUST_200600_302600_NS4plusIxEEEEZZNS1_33reduce_by_key_impl_wrapped_configILNS1_25lookback_scan_determinismE0ES3_S9_NS6_6detail15normal_iteratorINS6_10device_ptrIjEEEENSD_INSE_IxEEEENS6_16discard_iteratorINS6_11use_defaultEEESI_PmS8_NS6_8equal_toIjEEEE10hipError_tPvRmT2_T3_mT4_T5_T6_T7_T8_P12ihipStream_tbENKUlT_T0_E_clISt17integral_constantIbLb1EES16_EEDaS11_S12_EUlS11_E_NS1_11comp_targetILNS1_3genE10ELNS1_11target_archE1201ELNS1_3gpuE5ELNS1_3repE0EEENS1_30default_config_static_selectorELNS0_4arch9wavefront6targetE1EEEvT1_,comdat
	.protected	_ZN7rocprim17ROCPRIM_400000_NS6detail17trampoline_kernelINS0_14default_configENS1_29reduce_by_key_config_selectorIjxN6thrust23THRUST_200600_302600_NS4plusIxEEEEZZNS1_33reduce_by_key_impl_wrapped_configILNS1_25lookback_scan_determinismE0ES3_S9_NS6_6detail15normal_iteratorINS6_10device_ptrIjEEEENSD_INSE_IxEEEENS6_16discard_iteratorINS6_11use_defaultEEESI_PmS8_NS6_8equal_toIjEEEE10hipError_tPvRmT2_T3_mT4_T5_T6_T7_T8_P12ihipStream_tbENKUlT_T0_E_clISt17integral_constantIbLb1EES16_EEDaS11_S12_EUlS11_E_NS1_11comp_targetILNS1_3genE10ELNS1_11target_archE1201ELNS1_3gpuE5ELNS1_3repE0EEENS1_30default_config_static_selectorELNS0_4arch9wavefront6targetE1EEEvT1_ ; -- Begin function _ZN7rocprim17ROCPRIM_400000_NS6detail17trampoline_kernelINS0_14default_configENS1_29reduce_by_key_config_selectorIjxN6thrust23THRUST_200600_302600_NS4plusIxEEEEZZNS1_33reduce_by_key_impl_wrapped_configILNS1_25lookback_scan_determinismE0ES3_S9_NS6_6detail15normal_iteratorINS6_10device_ptrIjEEEENSD_INSE_IxEEEENS6_16discard_iteratorINS6_11use_defaultEEESI_PmS8_NS6_8equal_toIjEEEE10hipError_tPvRmT2_T3_mT4_T5_T6_T7_T8_P12ihipStream_tbENKUlT_T0_E_clISt17integral_constantIbLb1EES16_EEDaS11_S12_EUlS11_E_NS1_11comp_targetILNS1_3genE10ELNS1_11target_archE1201ELNS1_3gpuE5ELNS1_3repE0EEENS1_30default_config_static_selectorELNS0_4arch9wavefront6targetE1EEEvT1_
	.globl	_ZN7rocprim17ROCPRIM_400000_NS6detail17trampoline_kernelINS0_14default_configENS1_29reduce_by_key_config_selectorIjxN6thrust23THRUST_200600_302600_NS4plusIxEEEEZZNS1_33reduce_by_key_impl_wrapped_configILNS1_25lookback_scan_determinismE0ES3_S9_NS6_6detail15normal_iteratorINS6_10device_ptrIjEEEENSD_INSE_IxEEEENS6_16discard_iteratorINS6_11use_defaultEEESI_PmS8_NS6_8equal_toIjEEEE10hipError_tPvRmT2_T3_mT4_T5_T6_T7_T8_P12ihipStream_tbENKUlT_T0_E_clISt17integral_constantIbLb1EES16_EEDaS11_S12_EUlS11_E_NS1_11comp_targetILNS1_3genE10ELNS1_11target_archE1201ELNS1_3gpuE5ELNS1_3repE0EEENS1_30default_config_static_selectorELNS0_4arch9wavefront6targetE1EEEvT1_
	.p2align	8
	.type	_ZN7rocprim17ROCPRIM_400000_NS6detail17trampoline_kernelINS0_14default_configENS1_29reduce_by_key_config_selectorIjxN6thrust23THRUST_200600_302600_NS4plusIxEEEEZZNS1_33reduce_by_key_impl_wrapped_configILNS1_25lookback_scan_determinismE0ES3_S9_NS6_6detail15normal_iteratorINS6_10device_ptrIjEEEENSD_INSE_IxEEEENS6_16discard_iteratorINS6_11use_defaultEEESI_PmS8_NS6_8equal_toIjEEEE10hipError_tPvRmT2_T3_mT4_T5_T6_T7_T8_P12ihipStream_tbENKUlT_T0_E_clISt17integral_constantIbLb1EES16_EEDaS11_S12_EUlS11_E_NS1_11comp_targetILNS1_3genE10ELNS1_11target_archE1201ELNS1_3gpuE5ELNS1_3repE0EEENS1_30default_config_static_selectorELNS0_4arch9wavefront6targetE1EEEvT1_,@function
_ZN7rocprim17ROCPRIM_400000_NS6detail17trampoline_kernelINS0_14default_configENS1_29reduce_by_key_config_selectorIjxN6thrust23THRUST_200600_302600_NS4plusIxEEEEZZNS1_33reduce_by_key_impl_wrapped_configILNS1_25lookback_scan_determinismE0ES3_S9_NS6_6detail15normal_iteratorINS6_10device_ptrIjEEEENSD_INSE_IxEEEENS6_16discard_iteratorINS6_11use_defaultEEESI_PmS8_NS6_8equal_toIjEEEE10hipError_tPvRmT2_T3_mT4_T5_T6_T7_T8_P12ihipStream_tbENKUlT_T0_E_clISt17integral_constantIbLb1EES16_EEDaS11_S12_EUlS11_E_NS1_11comp_targetILNS1_3genE10ELNS1_11target_archE1201ELNS1_3gpuE5ELNS1_3repE0EEENS1_30default_config_static_selectorELNS0_4arch9wavefront6targetE1EEEvT1_: ; @_ZN7rocprim17ROCPRIM_400000_NS6detail17trampoline_kernelINS0_14default_configENS1_29reduce_by_key_config_selectorIjxN6thrust23THRUST_200600_302600_NS4plusIxEEEEZZNS1_33reduce_by_key_impl_wrapped_configILNS1_25lookback_scan_determinismE0ES3_S9_NS6_6detail15normal_iteratorINS6_10device_ptrIjEEEENSD_INSE_IxEEEENS6_16discard_iteratorINS6_11use_defaultEEESI_PmS8_NS6_8equal_toIjEEEE10hipError_tPvRmT2_T3_mT4_T5_T6_T7_T8_P12ihipStream_tbENKUlT_T0_E_clISt17integral_constantIbLb1EES16_EEDaS11_S12_EUlS11_E_NS1_11comp_targetILNS1_3genE10ELNS1_11target_archE1201ELNS1_3gpuE5ELNS1_3repE0EEENS1_30default_config_static_selectorELNS0_4arch9wavefront6targetE1EEEvT1_
; %bb.0:
	.section	.rodata,"a",@progbits
	.p2align	6, 0x0
	.amdhsa_kernel _ZN7rocprim17ROCPRIM_400000_NS6detail17trampoline_kernelINS0_14default_configENS1_29reduce_by_key_config_selectorIjxN6thrust23THRUST_200600_302600_NS4plusIxEEEEZZNS1_33reduce_by_key_impl_wrapped_configILNS1_25lookback_scan_determinismE0ES3_S9_NS6_6detail15normal_iteratorINS6_10device_ptrIjEEEENSD_INSE_IxEEEENS6_16discard_iteratorINS6_11use_defaultEEESI_PmS8_NS6_8equal_toIjEEEE10hipError_tPvRmT2_T3_mT4_T5_T6_T7_T8_P12ihipStream_tbENKUlT_T0_E_clISt17integral_constantIbLb1EES16_EEDaS11_S12_EUlS11_E_NS1_11comp_targetILNS1_3genE10ELNS1_11target_archE1201ELNS1_3gpuE5ELNS1_3repE0EEENS1_30default_config_static_selectorELNS0_4arch9wavefront6targetE1EEEvT1_
		.amdhsa_group_segment_fixed_size 0
		.amdhsa_private_segment_fixed_size 0
		.amdhsa_kernarg_size 144
		.amdhsa_user_sgpr_count 6
		.amdhsa_user_sgpr_private_segment_buffer 1
		.amdhsa_user_sgpr_dispatch_ptr 0
		.amdhsa_user_sgpr_queue_ptr 0
		.amdhsa_user_sgpr_kernarg_segment_ptr 1
		.amdhsa_user_sgpr_dispatch_id 0
		.amdhsa_user_sgpr_flat_scratch_init 0
		.amdhsa_user_sgpr_kernarg_preload_length 0
		.amdhsa_user_sgpr_kernarg_preload_offset 0
		.amdhsa_user_sgpr_private_segment_size 0
		.amdhsa_uses_dynamic_stack 0
		.amdhsa_system_sgpr_private_segment_wavefront_offset 0
		.amdhsa_system_sgpr_workgroup_id_x 1
		.amdhsa_system_sgpr_workgroup_id_y 0
		.amdhsa_system_sgpr_workgroup_id_z 0
		.amdhsa_system_sgpr_workgroup_info 0
		.amdhsa_system_vgpr_workitem_id 0
		.amdhsa_next_free_vgpr 1
		.amdhsa_next_free_sgpr 0
		.amdhsa_accum_offset 4
		.amdhsa_reserve_vcc 0
		.amdhsa_reserve_flat_scratch 0
		.amdhsa_float_round_mode_32 0
		.amdhsa_float_round_mode_16_64 0
		.amdhsa_float_denorm_mode_32 3
		.amdhsa_float_denorm_mode_16_64 3
		.amdhsa_dx10_clamp 1
		.amdhsa_ieee_mode 1
		.amdhsa_fp16_overflow 0
		.amdhsa_tg_split 0
		.amdhsa_exception_fp_ieee_invalid_op 0
		.amdhsa_exception_fp_denorm_src 0
		.amdhsa_exception_fp_ieee_div_zero 0
		.amdhsa_exception_fp_ieee_overflow 0
		.amdhsa_exception_fp_ieee_underflow 0
		.amdhsa_exception_fp_ieee_inexact 0
		.amdhsa_exception_int_div_zero 0
	.end_amdhsa_kernel
	.section	.text._ZN7rocprim17ROCPRIM_400000_NS6detail17trampoline_kernelINS0_14default_configENS1_29reduce_by_key_config_selectorIjxN6thrust23THRUST_200600_302600_NS4plusIxEEEEZZNS1_33reduce_by_key_impl_wrapped_configILNS1_25lookback_scan_determinismE0ES3_S9_NS6_6detail15normal_iteratorINS6_10device_ptrIjEEEENSD_INSE_IxEEEENS6_16discard_iteratorINS6_11use_defaultEEESI_PmS8_NS6_8equal_toIjEEEE10hipError_tPvRmT2_T3_mT4_T5_T6_T7_T8_P12ihipStream_tbENKUlT_T0_E_clISt17integral_constantIbLb1EES16_EEDaS11_S12_EUlS11_E_NS1_11comp_targetILNS1_3genE10ELNS1_11target_archE1201ELNS1_3gpuE5ELNS1_3repE0EEENS1_30default_config_static_selectorELNS0_4arch9wavefront6targetE1EEEvT1_,"axG",@progbits,_ZN7rocprim17ROCPRIM_400000_NS6detail17trampoline_kernelINS0_14default_configENS1_29reduce_by_key_config_selectorIjxN6thrust23THRUST_200600_302600_NS4plusIxEEEEZZNS1_33reduce_by_key_impl_wrapped_configILNS1_25lookback_scan_determinismE0ES3_S9_NS6_6detail15normal_iteratorINS6_10device_ptrIjEEEENSD_INSE_IxEEEENS6_16discard_iteratorINS6_11use_defaultEEESI_PmS8_NS6_8equal_toIjEEEE10hipError_tPvRmT2_T3_mT4_T5_T6_T7_T8_P12ihipStream_tbENKUlT_T0_E_clISt17integral_constantIbLb1EES16_EEDaS11_S12_EUlS11_E_NS1_11comp_targetILNS1_3genE10ELNS1_11target_archE1201ELNS1_3gpuE5ELNS1_3repE0EEENS1_30default_config_static_selectorELNS0_4arch9wavefront6targetE1EEEvT1_,comdat
.Lfunc_end999:
	.size	_ZN7rocprim17ROCPRIM_400000_NS6detail17trampoline_kernelINS0_14default_configENS1_29reduce_by_key_config_selectorIjxN6thrust23THRUST_200600_302600_NS4plusIxEEEEZZNS1_33reduce_by_key_impl_wrapped_configILNS1_25lookback_scan_determinismE0ES3_S9_NS6_6detail15normal_iteratorINS6_10device_ptrIjEEEENSD_INSE_IxEEEENS6_16discard_iteratorINS6_11use_defaultEEESI_PmS8_NS6_8equal_toIjEEEE10hipError_tPvRmT2_T3_mT4_T5_T6_T7_T8_P12ihipStream_tbENKUlT_T0_E_clISt17integral_constantIbLb1EES16_EEDaS11_S12_EUlS11_E_NS1_11comp_targetILNS1_3genE10ELNS1_11target_archE1201ELNS1_3gpuE5ELNS1_3repE0EEENS1_30default_config_static_selectorELNS0_4arch9wavefront6targetE1EEEvT1_, .Lfunc_end999-_ZN7rocprim17ROCPRIM_400000_NS6detail17trampoline_kernelINS0_14default_configENS1_29reduce_by_key_config_selectorIjxN6thrust23THRUST_200600_302600_NS4plusIxEEEEZZNS1_33reduce_by_key_impl_wrapped_configILNS1_25lookback_scan_determinismE0ES3_S9_NS6_6detail15normal_iteratorINS6_10device_ptrIjEEEENSD_INSE_IxEEEENS6_16discard_iteratorINS6_11use_defaultEEESI_PmS8_NS6_8equal_toIjEEEE10hipError_tPvRmT2_T3_mT4_T5_T6_T7_T8_P12ihipStream_tbENKUlT_T0_E_clISt17integral_constantIbLb1EES16_EEDaS11_S12_EUlS11_E_NS1_11comp_targetILNS1_3genE10ELNS1_11target_archE1201ELNS1_3gpuE5ELNS1_3repE0EEENS1_30default_config_static_selectorELNS0_4arch9wavefront6targetE1EEEvT1_
                                        ; -- End function
	.section	.AMDGPU.csdata,"",@progbits
; Kernel info:
; codeLenInByte = 0
; NumSgprs: 4
; NumVgprs: 0
; NumAgprs: 0
; TotalNumVgprs: 0
; ScratchSize: 0
; MemoryBound: 0
; FloatMode: 240
; IeeeMode: 1
; LDSByteSize: 0 bytes/workgroup (compile time only)
; SGPRBlocks: 0
; VGPRBlocks: 0
; NumSGPRsForWavesPerEU: 4
; NumVGPRsForWavesPerEU: 1
; AccumOffset: 4
; Occupancy: 8
; WaveLimiterHint : 0
; COMPUTE_PGM_RSRC2:SCRATCH_EN: 0
; COMPUTE_PGM_RSRC2:USER_SGPR: 6
; COMPUTE_PGM_RSRC2:TRAP_HANDLER: 0
; COMPUTE_PGM_RSRC2:TGID_X_EN: 1
; COMPUTE_PGM_RSRC2:TGID_Y_EN: 0
; COMPUTE_PGM_RSRC2:TGID_Z_EN: 0
; COMPUTE_PGM_RSRC2:TIDIG_COMP_CNT: 0
; COMPUTE_PGM_RSRC3_GFX90A:ACCUM_OFFSET: 0
; COMPUTE_PGM_RSRC3_GFX90A:TG_SPLIT: 0
	.section	.text._ZN7rocprim17ROCPRIM_400000_NS6detail17trampoline_kernelINS0_14default_configENS1_29reduce_by_key_config_selectorIjxN6thrust23THRUST_200600_302600_NS4plusIxEEEEZZNS1_33reduce_by_key_impl_wrapped_configILNS1_25lookback_scan_determinismE0ES3_S9_NS6_6detail15normal_iteratorINS6_10device_ptrIjEEEENSD_INSE_IxEEEENS6_16discard_iteratorINS6_11use_defaultEEESI_PmS8_NS6_8equal_toIjEEEE10hipError_tPvRmT2_T3_mT4_T5_T6_T7_T8_P12ihipStream_tbENKUlT_T0_E_clISt17integral_constantIbLb1EES16_EEDaS11_S12_EUlS11_E_NS1_11comp_targetILNS1_3genE10ELNS1_11target_archE1200ELNS1_3gpuE4ELNS1_3repE0EEENS1_30default_config_static_selectorELNS0_4arch9wavefront6targetE1EEEvT1_,"axG",@progbits,_ZN7rocprim17ROCPRIM_400000_NS6detail17trampoline_kernelINS0_14default_configENS1_29reduce_by_key_config_selectorIjxN6thrust23THRUST_200600_302600_NS4plusIxEEEEZZNS1_33reduce_by_key_impl_wrapped_configILNS1_25lookback_scan_determinismE0ES3_S9_NS6_6detail15normal_iteratorINS6_10device_ptrIjEEEENSD_INSE_IxEEEENS6_16discard_iteratorINS6_11use_defaultEEESI_PmS8_NS6_8equal_toIjEEEE10hipError_tPvRmT2_T3_mT4_T5_T6_T7_T8_P12ihipStream_tbENKUlT_T0_E_clISt17integral_constantIbLb1EES16_EEDaS11_S12_EUlS11_E_NS1_11comp_targetILNS1_3genE10ELNS1_11target_archE1200ELNS1_3gpuE4ELNS1_3repE0EEENS1_30default_config_static_selectorELNS0_4arch9wavefront6targetE1EEEvT1_,comdat
	.protected	_ZN7rocprim17ROCPRIM_400000_NS6detail17trampoline_kernelINS0_14default_configENS1_29reduce_by_key_config_selectorIjxN6thrust23THRUST_200600_302600_NS4plusIxEEEEZZNS1_33reduce_by_key_impl_wrapped_configILNS1_25lookback_scan_determinismE0ES3_S9_NS6_6detail15normal_iteratorINS6_10device_ptrIjEEEENSD_INSE_IxEEEENS6_16discard_iteratorINS6_11use_defaultEEESI_PmS8_NS6_8equal_toIjEEEE10hipError_tPvRmT2_T3_mT4_T5_T6_T7_T8_P12ihipStream_tbENKUlT_T0_E_clISt17integral_constantIbLb1EES16_EEDaS11_S12_EUlS11_E_NS1_11comp_targetILNS1_3genE10ELNS1_11target_archE1200ELNS1_3gpuE4ELNS1_3repE0EEENS1_30default_config_static_selectorELNS0_4arch9wavefront6targetE1EEEvT1_ ; -- Begin function _ZN7rocprim17ROCPRIM_400000_NS6detail17trampoline_kernelINS0_14default_configENS1_29reduce_by_key_config_selectorIjxN6thrust23THRUST_200600_302600_NS4plusIxEEEEZZNS1_33reduce_by_key_impl_wrapped_configILNS1_25lookback_scan_determinismE0ES3_S9_NS6_6detail15normal_iteratorINS6_10device_ptrIjEEEENSD_INSE_IxEEEENS6_16discard_iteratorINS6_11use_defaultEEESI_PmS8_NS6_8equal_toIjEEEE10hipError_tPvRmT2_T3_mT4_T5_T6_T7_T8_P12ihipStream_tbENKUlT_T0_E_clISt17integral_constantIbLb1EES16_EEDaS11_S12_EUlS11_E_NS1_11comp_targetILNS1_3genE10ELNS1_11target_archE1200ELNS1_3gpuE4ELNS1_3repE0EEENS1_30default_config_static_selectorELNS0_4arch9wavefront6targetE1EEEvT1_
	.globl	_ZN7rocprim17ROCPRIM_400000_NS6detail17trampoline_kernelINS0_14default_configENS1_29reduce_by_key_config_selectorIjxN6thrust23THRUST_200600_302600_NS4plusIxEEEEZZNS1_33reduce_by_key_impl_wrapped_configILNS1_25lookback_scan_determinismE0ES3_S9_NS6_6detail15normal_iteratorINS6_10device_ptrIjEEEENSD_INSE_IxEEEENS6_16discard_iteratorINS6_11use_defaultEEESI_PmS8_NS6_8equal_toIjEEEE10hipError_tPvRmT2_T3_mT4_T5_T6_T7_T8_P12ihipStream_tbENKUlT_T0_E_clISt17integral_constantIbLb1EES16_EEDaS11_S12_EUlS11_E_NS1_11comp_targetILNS1_3genE10ELNS1_11target_archE1200ELNS1_3gpuE4ELNS1_3repE0EEENS1_30default_config_static_selectorELNS0_4arch9wavefront6targetE1EEEvT1_
	.p2align	8
	.type	_ZN7rocprim17ROCPRIM_400000_NS6detail17trampoline_kernelINS0_14default_configENS1_29reduce_by_key_config_selectorIjxN6thrust23THRUST_200600_302600_NS4plusIxEEEEZZNS1_33reduce_by_key_impl_wrapped_configILNS1_25lookback_scan_determinismE0ES3_S9_NS6_6detail15normal_iteratorINS6_10device_ptrIjEEEENSD_INSE_IxEEEENS6_16discard_iteratorINS6_11use_defaultEEESI_PmS8_NS6_8equal_toIjEEEE10hipError_tPvRmT2_T3_mT4_T5_T6_T7_T8_P12ihipStream_tbENKUlT_T0_E_clISt17integral_constantIbLb1EES16_EEDaS11_S12_EUlS11_E_NS1_11comp_targetILNS1_3genE10ELNS1_11target_archE1200ELNS1_3gpuE4ELNS1_3repE0EEENS1_30default_config_static_selectorELNS0_4arch9wavefront6targetE1EEEvT1_,@function
_ZN7rocprim17ROCPRIM_400000_NS6detail17trampoline_kernelINS0_14default_configENS1_29reduce_by_key_config_selectorIjxN6thrust23THRUST_200600_302600_NS4plusIxEEEEZZNS1_33reduce_by_key_impl_wrapped_configILNS1_25lookback_scan_determinismE0ES3_S9_NS6_6detail15normal_iteratorINS6_10device_ptrIjEEEENSD_INSE_IxEEEENS6_16discard_iteratorINS6_11use_defaultEEESI_PmS8_NS6_8equal_toIjEEEE10hipError_tPvRmT2_T3_mT4_T5_T6_T7_T8_P12ihipStream_tbENKUlT_T0_E_clISt17integral_constantIbLb1EES16_EEDaS11_S12_EUlS11_E_NS1_11comp_targetILNS1_3genE10ELNS1_11target_archE1200ELNS1_3gpuE4ELNS1_3repE0EEENS1_30default_config_static_selectorELNS0_4arch9wavefront6targetE1EEEvT1_: ; @_ZN7rocprim17ROCPRIM_400000_NS6detail17trampoline_kernelINS0_14default_configENS1_29reduce_by_key_config_selectorIjxN6thrust23THRUST_200600_302600_NS4plusIxEEEEZZNS1_33reduce_by_key_impl_wrapped_configILNS1_25lookback_scan_determinismE0ES3_S9_NS6_6detail15normal_iteratorINS6_10device_ptrIjEEEENSD_INSE_IxEEEENS6_16discard_iteratorINS6_11use_defaultEEESI_PmS8_NS6_8equal_toIjEEEE10hipError_tPvRmT2_T3_mT4_T5_T6_T7_T8_P12ihipStream_tbENKUlT_T0_E_clISt17integral_constantIbLb1EES16_EEDaS11_S12_EUlS11_E_NS1_11comp_targetILNS1_3genE10ELNS1_11target_archE1200ELNS1_3gpuE4ELNS1_3repE0EEENS1_30default_config_static_selectorELNS0_4arch9wavefront6targetE1EEEvT1_
; %bb.0:
	.section	.rodata,"a",@progbits
	.p2align	6, 0x0
	.amdhsa_kernel _ZN7rocprim17ROCPRIM_400000_NS6detail17trampoline_kernelINS0_14default_configENS1_29reduce_by_key_config_selectorIjxN6thrust23THRUST_200600_302600_NS4plusIxEEEEZZNS1_33reduce_by_key_impl_wrapped_configILNS1_25lookback_scan_determinismE0ES3_S9_NS6_6detail15normal_iteratorINS6_10device_ptrIjEEEENSD_INSE_IxEEEENS6_16discard_iteratorINS6_11use_defaultEEESI_PmS8_NS6_8equal_toIjEEEE10hipError_tPvRmT2_T3_mT4_T5_T6_T7_T8_P12ihipStream_tbENKUlT_T0_E_clISt17integral_constantIbLb1EES16_EEDaS11_S12_EUlS11_E_NS1_11comp_targetILNS1_3genE10ELNS1_11target_archE1200ELNS1_3gpuE4ELNS1_3repE0EEENS1_30default_config_static_selectorELNS0_4arch9wavefront6targetE1EEEvT1_
		.amdhsa_group_segment_fixed_size 0
		.amdhsa_private_segment_fixed_size 0
		.amdhsa_kernarg_size 144
		.amdhsa_user_sgpr_count 6
		.amdhsa_user_sgpr_private_segment_buffer 1
		.amdhsa_user_sgpr_dispatch_ptr 0
		.amdhsa_user_sgpr_queue_ptr 0
		.amdhsa_user_sgpr_kernarg_segment_ptr 1
		.amdhsa_user_sgpr_dispatch_id 0
		.amdhsa_user_sgpr_flat_scratch_init 0
		.amdhsa_user_sgpr_kernarg_preload_length 0
		.amdhsa_user_sgpr_kernarg_preload_offset 0
		.amdhsa_user_sgpr_private_segment_size 0
		.amdhsa_uses_dynamic_stack 0
		.amdhsa_system_sgpr_private_segment_wavefront_offset 0
		.amdhsa_system_sgpr_workgroup_id_x 1
		.amdhsa_system_sgpr_workgroup_id_y 0
		.amdhsa_system_sgpr_workgroup_id_z 0
		.amdhsa_system_sgpr_workgroup_info 0
		.amdhsa_system_vgpr_workitem_id 0
		.amdhsa_next_free_vgpr 1
		.amdhsa_next_free_sgpr 0
		.amdhsa_accum_offset 4
		.amdhsa_reserve_vcc 0
		.amdhsa_reserve_flat_scratch 0
		.amdhsa_float_round_mode_32 0
		.amdhsa_float_round_mode_16_64 0
		.amdhsa_float_denorm_mode_32 3
		.amdhsa_float_denorm_mode_16_64 3
		.amdhsa_dx10_clamp 1
		.amdhsa_ieee_mode 1
		.amdhsa_fp16_overflow 0
		.amdhsa_tg_split 0
		.amdhsa_exception_fp_ieee_invalid_op 0
		.amdhsa_exception_fp_denorm_src 0
		.amdhsa_exception_fp_ieee_div_zero 0
		.amdhsa_exception_fp_ieee_overflow 0
		.amdhsa_exception_fp_ieee_underflow 0
		.amdhsa_exception_fp_ieee_inexact 0
		.amdhsa_exception_int_div_zero 0
	.end_amdhsa_kernel
	.section	.text._ZN7rocprim17ROCPRIM_400000_NS6detail17trampoline_kernelINS0_14default_configENS1_29reduce_by_key_config_selectorIjxN6thrust23THRUST_200600_302600_NS4plusIxEEEEZZNS1_33reduce_by_key_impl_wrapped_configILNS1_25lookback_scan_determinismE0ES3_S9_NS6_6detail15normal_iteratorINS6_10device_ptrIjEEEENSD_INSE_IxEEEENS6_16discard_iteratorINS6_11use_defaultEEESI_PmS8_NS6_8equal_toIjEEEE10hipError_tPvRmT2_T3_mT4_T5_T6_T7_T8_P12ihipStream_tbENKUlT_T0_E_clISt17integral_constantIbLb1EES16_EEDaS11_S12_EUlS11_E_NS1_11comp_targetILNS1_3genE10ELNS1_11target_archE1200ELNS1_3gpuE4ELNS1_3repE0EEENS1_30default_config_static_selectorELNS0_4arch9wavefront6targetE1EEEvT1_,"axG",@progbits,_ZN7rocprim17ROCPRIM_400000_NS6detail17trampoline_kernelINS0_14default_configENS1_29reduce_by_key_config_selectorIjxN6thrust23THRUST_200600_302600_NS4plusIxEEEEZZNS1_33reduce_by_key_impl_wrapped_configILNS1_25lookback_scan_determinismE0ES3_S9_NS6_6detail15normal_iteratorINS6_10device_ptrIjEEEENSD_INSE_IxEEEENS6_16discard_iteratorINS6_11use_defaultEEESI_PmS8_NS6_8equal_toIjEEEE10hipError_tPvRmT2_T3_mT4_T5_T6_T7_T8_P12ihipStream_tbENKUlT_T0_E_clISt17integral_constantIbLb1EES16_EEDaS11_S12_EUlS11_E_NS1_11comp_targetILNS1_3genE10ELNS1_11target_archE1200ELNS1_3gpuE4ELNS1_3repE0EEENS1_30default_config_static_selectorELNS0_4arch9wavefront6targetE1EEEvT1_,comdat
.Lfunc_end1000:
	.size	_ZN7rocprim17ROCPRIM_400000_NS6detail17trampoline_kernelINS0_14default_configENS1_29reduce_by_key_config_selectorIjxN6thrust23THRUST_200600_302600_NS4plusIxEEEEZZNS1_33reduce_by_key_impl_wrapped_configILNS1_25lookback_scan_determinismE0ES3_S9_NS6_6detail15normal_iteratorINS6_10device_ptrIjEEEENSD_INSE_IxEEEENS6_16discard_iteratorINS6_11use_defaultEEESI_PmS8_NS6_8equal_toIjEEEE10hipError_tPvRmT2_T3_mT4_T5_T6_T7_T8_P12ihipStream_tbENKUlT_T0_E_clISt17integral_constantIbLb1EES16_EEDaS11_S12_EUlS11_E_NS1_11comp_targetILNS1_3genE10ELNS1_11target_archE1200ELNS1_3gpuE4ELNS1_3repE0EEENS1_30default_config_static_selectorELNS0_4arch9wavefront6targetE1EEEvT1_, .Lfunc_end1000-_ZN7rocprim17ROCPRIM_400000_NS6detail17trampoline_kernelINS0_14default_configENS1_29reduce_by_key_config_selectorIjxN6thrust23THRUST_200600_302600_NS4plusIxEEEEZZNS1_33reduce_by_key_impl_wrapped_configILNS1_25lookback_scan_determinismE0ES3_S9_NS6_6detail15normal_iteratorINS6_10device_ptrIjEEEENSD_INSE_IxEEEENS6_16discard_iteratorINS6_11use_defaultEEESI_PmS8_NS6_8equal_toIjEEEE10hipError_tPvRmT2_T3_mT4_T5_T6_T7_T8_P12ihipStream_tbENKUlT_T0_E_clISt17integral_constantIbLb1EES16_EEDaS11_S12_EUlS11_E_NS1_11comp_targetILNS1_3genE10ELNS1_11target_archE1200ELNS1_3gpuE4ELNS1_3repE0EEENS1_30default_config_static_selectorELNS0_4arch9wavefront6targetE1EEEvT1_
                                        ; -- End function
	.section	.AMDGPU.csdata,"",@progbits
; Kernel info:
; codeLenInByte = 0
; NumSgprs: 4
; NumVgprs: 0
; NumAgprs: 0
; TotalNumVgprs: 0
; ScratchSize: 0
; MemoryBound: 0
; FloatMode: 240
; IeeeMode: 1
; LDSByteSize: 0 bytes/workgroup (compile time only)
; SGPRBlocks: 0
; VGPRBlocks: 0
; NumSGPRsForWavesPerEU: 4
; NumVGPRsForWavesPerEU: 1
; AccumOffset: 4
; Occupancy: 8
; WaveLimiterHint : 0
; COMPUTE_PGM_RSRC2:SCRATCH_EN: 0
; COMPUTE_PGM_RSRC2:USER_SGPR: 6
; COMPUTE_PGM_RSRC2:TRAP_HANDLER: 0
; COMPUTE_PGM_RSRC2:TGID_X_EN: 1
; COMPUTE_PGM_RSRC2:TGID_Y_EN: 0
; COMPUTE_PGM_RSRC2:TGID_Z_EN: 0
; COMPUTE_PGM_RSRC2:TIDIG_COMP_CNT: 0
; COMPUTE_PGM_RSRC3_GFX90A:ACCUM_OFFSET: 0
; COMPUTE_PGM_RSRC3_GFX90A:TG_SPLIT: 0
	.section	.text._ZN7rocprim17ROCPRIM_400000_NS6detail17trampoline_kernelINS0_14default_configENS1_29reduce_by_key_config_selectorIjxN6thrust23THRUST_200600_302600_NS4plusIxEEEEZZNS1_33reduce_by_key_impl_wrapped_configILNS1_25lookback_scan_determinismE0ES3_S9_NS6_6detail15normal_iteratorINS6_10device_ptrIjEEEENSD_INSE_IxEEEENS6_16discard_iteratorINS6_11use_defaultEEESI_PmS8_NS6_8equal_toIjEEEE10hipError_tPvRmT2_T3_mT4_T5_T6_T7_T8_P12ihipStream_tbENKUlT_T0_E_clISt17integral_constantIbLb1EES16_EEDaS11_S12_EUlS11_E_NS1_11comp_targetILNS1_3genE9ELNS1_11target_archE1100ELNS1_3gpuE3ELNS1_3repE0EEENS1_30default_config_static_selectorELNS0_4arch9wavefront6targetE1EEEvT1_,"axG",@progbits,_ZN7rocprim17ROCPRIM_400000_NS6detail17trampoline_kernelINS0_14default_configENS1_29reduce_by_key_config_selectorIjxN6thrust23THRUST_200600_302600_NS4plusIxEEEEZZNS1_33reduce_by_key_impl_wrapped_configILNS1_25lookback_scan_determinismE0ES3_S9_NS6_6detail15normal_iteratorINS6_10device_ptrIjEEEENSD_INSE_IxEEEENS6_16discard_iteratorINS6_11use_defaultEEESI_PmS8_NS6_8equal_toIjEEEE10hipError_tPvRmT2_T3_mT4_T5_T6_T7_T8_P12ihipStream_tbENKUlT_T0_E_clISt17integral_constantIbLb1EES16_EEDaS11_S12_EUlS11_E_NS1_11comp_targetILNS1_3genE9ELNS1_11target_archE1100ELNS1_3gpuE3ELNS1_3repE0EEENS1_30default_config_static_selectorELNS0_4arch9wavefront6targetE1EEEvT1_,comdat
	.protected	_ZN7rocprim17ROCPRIM_400000_NS6detail17trampoline_kernelINS0_14default_configENS1_29reduce_by_key_config_selectorIjxN6thrust23THRUST_200600_302600_NS4plusIxEEEEZZNS1_33reduce_by_key_impl_wrapped_configILNS1_25lookback_scan_determinismE0ES3_S9_NS6_6detail15normal_iteratorINS6_10device_ptrIjEEEENSD_INSE_IxEEEENS6_16discard_iteratorINS6_11use_defaultEEESI_PmS8_NS6_8equal_toIjEEEE10hipError_tPvRmT2_T3_mT4_T5_T6_T7_T8_P12ihipStream_tbENKUlT_T0_E_clISt17integral_constantIbLb1EES16_EEDaS11_S12_EUlS11_E_NS1_11comp_targetILNS1_3genE9ELNS1_11target_archE1100ELNS1_3gpuE3ELNS1_3repE0EEENS1_30default_config_static_selectorELNS0_4arch9wavefront6targetE1EEEvT1_ ; -- Begin function _ZN7rocprim17ROCPRIM_400000_NS6detail17trampoline_kernelINS0_14default_configENS1_29reduce_by_key_config_selectorIjxN6thrust23THRUST_200600_302600_NS4plusIxEEEEZZNS1_33reduce_by_key_impl_wrapped_configILNS1_25lookback_scan_determinismE0ES3_S9_NS6_6detail15normal_iteratorINS6_10device_ptrIjEEEENSD_INSE_IxEEEENS6_16discard_iteratorINS6_11use_defaultEEESI_PmS8_NS6_8equal_toIjEEEE10hipError_tPvRmT2_T3_mT4_T5_T6_T7_T8_P12ihipStream_tbENKUlT_T0_E_clISt17integral_constantIbLb1EES16_EEDaS11_S12_EUlS11_E_NS1_11comp_targetILNS1_3genE9ELNS1_11target_archE1100ELNS1_3gpuE3ELNS1_3repE0EEENS1_30default_config_static_selectorELNS0_4arch9wavefront6targetE1EEEvT1_
	.globl	_ZN7rocprim17ROCPRIM_400000_NS6detail17trampoline_kernelINS0_14default_configENS1_29reduce_by_key_config_selectorIjxN6thrust23THRUST_200600_302600_NS4plusIxEEEEZZNS1_33reduce_by_key_impl_wrapped_configILNS1_25lookback_scan_determinismE0ES3_S9_NS6_6detail15normal_iteratorINS6_10device_ptrIjEEEENSD_INSE_IxEEEENS6_16discard_iteratorINS6_11use_defaultEEESI_PmS8_NS6_8equal_toIjEEEE10hipError_tPvRmT2_T3_mT4_T5_T6_T7_T8_P12ihipStream_tbENKUlT_T0_E_clISt17integral_constantIbLb1EES16_EEDaS11_S12_EUlS11_E_NS1_11comp_targetILNS1_3genE9ELNS1_11target_archE1100ELNS1_3gpuE3ELNS1_3repE0EEENS1_30default_config_static_selectorELNS0_4arch9wavefront6targetE1EEEvT1_
	.p2align	8
	.type	_ZN7rocprim17ROCPRIM_400000_NS6detail17trampoline_kernelINS0_14default_configENS1_29reduce_by_key_config_selectorIjxN6thrust23THRUST_200600_302600_NS4plusIxEEEEZZNS1_33reduce_by_key_impl_wrapped_configILNS1_25lookback_scan_determinismE0ES3_S9_NS6_6detail15normal_iteratorINS6_10device_ptrIjEEEENSD_INSE_IxEEEENS6_16discard_iteratorINS6_11use_defaultEEESI_PmS8_NS6_8equal_toIjEEEE10hipError_tPvRmT2_T3_mT4_T5_T6_T7_T8_P12ihipStream_tbENKUlT_T0_E_clISt17integral_constantIbLb1EES16_EEDaS11_S12_EUlS11_E_NS1_11comp_targetILNS1_3genE9ELNS1_11target_archE1100ELNS1_3gpuE3ELNS1_3repE0EEENS1_30default_config_static_selectorELNS0_4arch9wavefront6targetE1EEEvT1_,@function
_ZN7rocprim17ROCPRIM_400000_NS6detail17trampoline_kernelINS0_14default_configENS1_29reduce_by_key_config_selectorIjxN6thrust23THRUST_200600_302600_NS4plusIxEEEEZZNS1_33reduce_by_key_impl_wrapped_configILNS1_25lookback_scan_determinismE0ES3_S9_NS6_6detail15normal_iteratorINS6_10device_ptrIjEEEENSD_INSE_IxEEEENS6_16discard_iteratorINS6_11use_defaultEEESI_PmS8_NS6_8equal_toIjEEEE10hipError_tPvRmT2_T3_mT4_T5_T6_T7_T8_P12ihipStream_tbENKUlT_T0_E_clISt17integral_constantIbLb1EES16_EEDaS11_S12_EUlS11_E_NS1_11comp_targetILNS1_3genE9ELNS1_11target_archE1100ELNS1_3gpuE3ELNS1_3repE0EEENS1_30default_config_static_selectorELNS0_4arch9wavefront6targetE1EEEvT1_: ; @_ZN7rocprim17ROCPRIM_400000_NS6detail17trampoline_kernelINS0_14default_configENS1_29reduce_by_key_config_selectorIjxN6thrust23THRUST_200600_302600_NS4plusIxEEEEZZNS1_33reduce_by_key_impl_wrapped_configILNS1_25lookback_scan_determinismE0ES3_S9_NS6_6detail15normal_iteratorINS6_10device_ptrIjEEEENSD_INSE_IxEEEENS6_16discard_iteratorINS6_11use_defaultEEESI_PmS8_NS6_8equal_toIjEEEE10hipError_tPvRmT2_T3_mT4_T5_T6_T7_T8_P12ihipStream_tbENKUlT_T0_E_clISt17integral_constantIbLb1EES16_EEDaS11_S12_EUlS11_E_NS1_11comp_targetILNS1_3genE9ELNS1_11target_archE1100ELNS1_3gpuE3ELNS1_3repE0EEENS1_30default_config_static_selectorELNS0_4arch9wavefront6targetE1EEEvT1_
; %bb.0:
	.section	.rodata,"a",@progbits
	.p2align	6, 0x0
	.amdhsa_kernel _ZN7rocprim17ROCPRIM_400000_NS6detail17trampoline_kernelINS0_14default_configENS1_29reduce_by_key_config_selectorIjxN6thrust23THRUST_200600_302600_NS4plusIxEEEEZZNS1_33reduce_by_key_impl_wrapped_configILNS1_25lookback_scan_determinismE0ES3_S9_NS6_6detail15normal_iteratorINS6_10device_ptrIjEEEENSD_INSE_IxEEEENS6_16discard_iteratorINS6_11use_defaultEEESI_PmS8_NS6_8equal_toIjEEEE10hipError_tPvRmT2_T3_mT4_T5_T6_T7_T8_P12ihipStream_tbENKUlT_T0_E_clISt17integral_constantIbLb1EES16_EEDaS11_S12_EUlS11_E_NS1_11comp_targetILNS1_3genE9ELNS1_11target_archE1100ELNS1_3gpuE3ELNS1_3repE0EEENS1_30default_config_static_selectorELNS0_4arch9wavefront6targetE1EEEvT1_
		.amdhsa_group_segment_fixed_size 0
		.amdhsa_private_segment_fixed_size 0
		.amdhsa_kernarg_size 144
		.amdhsa_user_sgpr_count 6
		.amdhsa_user_sgpr_private_segment_buffer 1
		.amdhsa_user_sgpr_dispatch_ptr 0
		.amdhsa_user_sgpr_queue_ptr 0
		.amdhsa_user_sgpr_kernarg_segment_ptr 1
		.amdhsa_user_sgpr_dispatch_id 0
		.amdhsa_user_sgpr_flat_scratch_init 0
		.amdhsa_user_sgpr_kernarg_preload_length 0
		.amdhsa_user_sgpr_kernarg_preload_offset 0
		.amdhsa_user_sgpr_private_segment_size 0
		.amdhsa_uses_dynamic_stack 0
		.amdhsa_system_sgpr_private_segment_wavefront_offset 0
		.amdhsa_system_sgpr_workgroup_id_x 1
		.amdhsa_system_sgpr_workgroup_id_y 0
		.amdhsa_system_sgpr_workgroup_id_z 0
		.amdhsa_system_sgpr_workgroup_info 0
		.amdhsa_system_vgpr_workitem_id 0
		.amdhsa_next_free_vgpr 1
		.amdhsa_next_free_sgpr 0
		.amdhsa_accum_offset 4
		.amdhsa_reserve_vcc 0
		.amdhsa_reserve_flat_scratch 0
		.amdhsa_float_round_mode_32 0
		.amdhsa_float_round_mode_16_64 0
		.amdhsa_float_denorm_mode_32 3
		.amdhsa_float_denorm_mode_16_64 3
		.amdhsa_dx10_clamp 1
		.amdhsa_ieee_mode 1
		.amdhsa_fp16_overflow 0
		.amdhsa_tg_split 0
		.amdhsa_exception_fp_ieee_invalid_op 0
		.amdhsa_exception_fp_denorm_src 0
		.amdhsa_exception_fp_ieee_div_zero 0
		.amdhsa_exception_fp_ieee_overflow 0
		.amdhsa_exception_fp_ieee_underflow 0
		.amdhsa_exception_fp_ieee_inexact 0
		.amdhsa_exception_int_div_zero 0
	.end_amdhsa_kernel
	.section	.text._ZN7rocprim17ROCPRIM_400000_NS6detail17trampoline_kernelINS0_14default_configENS1_29reduce_by_key_config_selectorIjxN6thrust23THRUST_200600_302600_NS4plusIxEEEEZZNS1_33reduce_by_key_impl_wrapped_configILNS1_25lookback_scan_determinismE0ES3_S9_NS6_6detail15normal_iteratorINS6_10device_ptrIjEEEENSD_INSE_IxEEEENS6_16discard_iteratorINS6_11use_defaultEEESI_PmS8_NS6_8equal_toIjEEEE10hipError_tPvRmT2_T3_mT4_T5_T6_T7_T8_P12ihipStream_tbENKUlT_T0_E_clISt17integral_constantIbLb1EES16_EEDaS11_S12_EUlS11_E_NS1_11comp_targetILNS1_3genE9ELNS1_11target_archE1100ELNS1_3gpuE3ELNS1_3repE0EEENS1_30default_config_static_selectorELNS0_4arch9wavefront6targetE1EEEvT1_,"axG",@progbits,_ZN7rocprim17ROCPRIM_400000_NS6detail17trampoline_kernelINS0_14default_configENS1_29reduce_by_key_config_selectorIjxN6thrust23THRUST_200600_302600_NS4plusIxEEEEZZNS1_33reduce_by_key_impl_wrapped_configILNS1_25lookback_scan_determinismE0ES3_S9_NS6_6detail15normal_iteratorINS6_10device_ptrIjEEEENSD_INSE_IxEEEENS6_16discard_iteratorINS6_11use_defaultEEESI_PmS8_NS6_8equal_toIjEEEE10hipError_tPvRmT2_T3_mT4_T5_T6_T7_T8_P12ihipStream_tbENKUlT_T0_E_clISt17integral_constantIbLb1EES16_EEDaS11_S12_EUlS11_E_NS1_11comp_targetILNS1_3genE9ELNS1_11target_archE1100ELNS1_3gpuE3ELNS1_3repE0EEENS1_30default_config_static_selectorELNS0_4arch9wavefront6targetE1EEEvT1_,comdat
.Lfunc_end1001:
	.size	_ZN7rocprim17ROCPRIM_400000_NS6detail17trampoline_kernelINS0_14default_configENS1_29reduce_by_key_config_selectorIjxN6thrust23THRUST_200600_302600_NS4plusIxEEEEZZNS1_33reduce_by_key_impl_wrapped_configILNS1_25lookback_scan_determinismE0ES3_S9_NS6_6detail15normal_iteratorINS6_10device_ptrIjEEEENSD_INSE_IxEEEENS6_16discard_iteratorINS6_11use_defaultEEESI_PmS8_NS6_8equal_toIjEEEE10hipError_tPvRmT2_T3_mT4_T5_T6_T7_T8_P12ihipStream_tbENKUlT_T0_E_clISt17integral_constantIbLb1EES16_EEDaS11_S12_EUlS11_E_NS1_11comp_targetILNS1_3genE9ELNS1_11target_archE1100ELNS1_3gpuE3ELNS1_3repE0EEENS1_30default_config_static_selectorELNS0_4arch9wavefront6targetE1EEEvT1_, .Lfunc_end1001-_ZN7rocprim17ROCPRIM_400000_NS6detail17trampoline_kernelINS0_14default_configENS1_29reduce_by_key_config_selectorIjxN6thrust23THRUST_200600_302600_NS4plusIxEEEEZZNS1_33reduce_by_key_impl_wrapped_configILNS1_25lookback_scan_determinismE0ES3_S9_NS6_6detail15normal_iteratorINS6_10device_ptrIjEEEENSD_INSE_IxEEEENS6_16discard_iteratorINS6_11use_defaultEEESI_PmS8_NS6_8equal_toIjEEEE10hipError_tPvRmT2_T3_mT4_T5_T6_T7_T8_P12ihipStream_tbENKUlT_T0_E_clISt17integral_constantIbLb1EES16_EEDaS11_S12_EUlS11_E_NS1_11comp_targetILNS1_3genE9ELNS1_11target_archE1100ELNS1_3gpuE3ELNS1_3repE0EEENS1_30default_config_static_selectorELNS0_4arch9wavefront6targetE1EEEvT1_
                                        ; -- End function
	.section	.AMDGPU.csdata,"",@progbits
; Kernel info:
; codeLenInByte = 0
; NumSgprs: 4
; NumVgprs: 0
; NumAgprs: 0
; TotalNumVgprs: 0
; ScratchSize: 0
; MemoryBound: 0
; FloatMode: 240
; IeeeMode: 1
; LDSByteSize: 0 bytes/workgroup (compile time only)
; SGPRBlocks: 0
; VGPRBlocks: 0
; NumSGPRsForWavesPerEU: 4
; NumVGPRsForWavesPerEU: 1
; AccumOffset: 4
; Occupancy: 8
; WaveLimiterHint : 0
; COMPUTE_PGM_RSRC2:SCRATCH_EN: 0
; COMPUTE_PGM_RSRC2:USER_SGPR: 6
; COMPUTE_PGM_RSRC2:TRAP_HANDLER: 0
; COMPUTE_PGM_RSRC2:TGID_X_EN: 1
; COMPUTE_PGM_RSRC2:TGID_Y_EN: 0
; COMPUTE_PGM_RSRC2:TGID_Z_EN: 0
; COMPUTE_PGM_RSRC2:TIDIG_COMP_CNT: 0
; COMPUTE_PGM_RSRC3_GFX90A:ACCUM_OFFSET: 0
; COMPUTE_PGM_RSRC3_GFX90A:TG_SPLIT: 0
	.section	.text._ZN7rocprim17ROCPRIM_400000_NS6detail17trampoline_kernelINS0_14default_configENS1_29reduce_by_key_config_selectorIjxN6thrust23THRUST_200600_302600_NS4plusIxEEEEZZNS1_33reduce_by_key_impl_wrapped_configILNS1_25lookback_scan_determinismE0ES3_S9_NS6_6detail15normal_iteratorINS6_10device_ptrIjEEEENSD_INSE_IxEEEENS6_16discard_iteratorINS6_11use_defaultEEESI_PmS8_NS6_8equal_toIjEEEE10hipError_tPvRmT2_T3_mT4_T5_T6_T7_T8_P12ihipStream_tbENKUlT_T0_E_clISt17integral_constantIbLb1EES16_EEDaS11_S12_EUlS11_E_NS1_11comp_targetILNS1_3genE8ELNS1_11target_archE1030ELNS1_3gpuE2ELNS1_3repE0EEENS1_30default_config_static_selectorELNS0_4arch9wavefront6targetE1EEEvT1_,"axG",@progbits,_ZN7rocprim17ROCPRIM_400000_NS6detail17trampoline_kernelINS0_14default_configENS1_29reduce_by_key_config_selectorIjxN6thrust23THRUST_200600_302600_NS4plusIxEEEEZZNS1_33reduce_by_key_impl_wrapped_configILNS1_25lookback_scan_determinismE0ES3_S9_NS6_6detail15normal_iteratorINS6_10device_ptrIjEEEENSD_INSE_IxEEEENS6_16discard_iteratorINS6_11use_defaultEEESI_PmS8_NS6_8equal_toIjEEEE10hipError_tPvRmT2_T3_mT4_T5_T6_T7_T8_P12ihipStream_tbENKUlT_T0_E_clISt17integral_constantIbLb1EES16_EEDaS11_S12_EUlS11_E_NS1_11comp_targetILNS1_3genE8ELNS1_11target_archE1030ELNS1_3gpuE2ELNS1_3repE0EEENS1_30default_config_static_selectorELNS0_4arch9wavefront6targetE1EEEvT1_,comdat
	.protected	_ZN7rocprim17ROCPRIM_400000_NS6detail17trampoline_kernelINS0_14default_configENS1_29reduce_by_key_config_selectorIjxN6thrust23THRUST_200600_302600_NS4plusIxEEEEZZNS1_33reduce_by_key_impl_wrapped_configILNS1_25lookback_scan_determinismE0ES3_S9_NS6_6detail15normal_iteratorINS6_10device_ptrIjEEEENSD_INSE_IxEEEENS6_16discard_iteratorINS6_11use_defaultEEESI_PmS8_NS6_8equal_toIjEEEE10hipError_tPvRmT2_T3_mT4_T5_T6_T7_T8_P12ihipStream_tbENKUlT_T0_E_clISt17integral_constantIbLb1EES16_EEDaS11_S12_EUlS11_E_NS1_11comp_targetILNS1_3genE8ELNS1_11target_archE1030ELNS1_3gpuE2ELNS1_3repE0EEENS1_30default_config_static_selectorELNS0_4arch9wavefront6targetE1EEEvT1_ ; -- Begin function _ZN7rocprim17ROCPRIM_400000_NS6detail17trampoline_kernelINS0_14default_configENS1_29reduce_by_key_config_selectorIjxN6thrust23THRUST_200600_302600_NS4plusIxEEEEZZNS1_33reduce_by_key_impl_wrapped_configILNS1_25lookback_scan_determinismE0ES3_S9_NS6_6detail15normal_iteratorINS6_10device_ptrIjEEEENSD_INSE_IxEEEENS6_16discard_iteratorINS6_11use_defaultEEESI_PmS8_NS6_8equal_toIjEEEE10hipError_tPvRmT2_T3_mT4_T5_T6_T7_T8_P12ihipStream_tbENKUlT_T0_E_clISt17integral_constantIbLb1EES16_EEDaS11_S12_EUlS11_E_NS1_11comp_targetILNS1_3genE8ELNS1_11target_archE1030ELNS1_3gpuE2ELNS1_3repE0EEENS1_30default_config_static_selectorELNS0_4arch9wavefront6targetE1EEEvT1_
	.globl	_ZN7rocprim17ROCPRIM_400000_NS6detail17trampoline_kernelINS0_14default_configENS1_29reduce_by_key_config_selectorIjxN6thrust23THRUST_200600_302600_NS4plusIxEEEEZZNS1_33reduce_by_key_impl_wrapped_configILNS1_25lookback_scan_determinismE0ES3_S9_NS6_6detail15normal_iteratorINS6_10device_ptrIjEEEENSD_INSE_IxEEEENS6_16discard_iteratorINS6_11use_defaultEEESI_PmS8_NS6_8equal_toIjEEEE10hipError_tPvRmT2_T3_mT4_T5_T6_T7_T8_P12ihipStream_tbENKUlT_T0_E_clISt17integral_constantIbLb1EES16_EEDaS11_S12_EUlS11_E_NS1_11comp_targetILNS1_3genE8ELNS1_11target_archE1030ELNS1_3gpuE2ELNS1_3repE0EEENS1_30default_config_static_selectorELNS0_4arch9wavefront6targetE1EEEvT1_
	.p2align	8
	.type	_ZN7rocprim17ROCPRIM_400000_NS6detail17trampoline_kernelINS0_14default_configENS1_29reduce_by_key_config_selectorIjxN6thrust23THRUST_200600_302600_NS4plusIxEEEEZZNS1_33reduce_by_key_impl_wrapped_configILNS1_25lookback_scan_determinismE0ES3_S9_NS6_6detail15normal_iteratorINS6_10device_ptrIjEEEENSD_INSE_IxEEEENS6_16discard_iteratorINS6_11use_defaultEEESI_PmS8_NS6_8equal_toIjEEEE10hipError_tPvRmT2_T3_mT4_T5_T6_T7_T8_P12ihipStream_tbENKUlT_T0_E_clISt17integral_constantIbLb1EES16_EEDaS11_S12_EUlS11_E_NS1_11comp_targetILNS1_3genE8ELNS1_11target_archE1030ELNS1_3gpuE2ELNS1_3repE0EEENS1_30default_config_static_selectorELNS0_4arch9wavefront6targetE1EEEvT1_,@function
_ZN7rocprim17ROCPRIM_400000_NS6detail17trampoline_kernelINS0_14default_configENS1_29reduce_by_key_config_selectorIjxN6thrust23THRUST_200600_302600_NS4plusIxEEEEZZNS1_33reduce_by_key_impl_wrapped_configILNS1_25lookback_scan_determinismE0ES3_S9_NS6_6detail15normal_iteratorINS6_10device_ptrIjEEEENSD_INSE_IxEEEENS6_16discard_iteratorINS6_11use_defaultEEESI_PmS8_NS6_8equal_toIjEEEE10hipError_tPvRmT2_T3_mT4_T5_T6_T7_T8_P12ihipStream_tbENKUlT_T0_E_clISt17integral_constantIbLb1EES16_EEDaS11_S12_EUlS11_E_NS1_11comp_targetILNS1_3genE8ELNS1_11target_archE1030ELNS1_3gpuE2ELNS1_3repE0EEENS1_30default_config_static_selectorELNS0_4arch9wavefront6targetE1EEEvT1_: ; @_ZN7rocprim17ROCPRIM_400000_NS6detail17trampoline_kernelINS0_14default_configENS1_29reduce_by_key_config_selectorIjxN6thrust23THRUST_200600_302600_NS4plusIxEEEEZZNS1_33reduce_by_key_impl_wrapped_configILNS1_25lookback_scan_determinismE0ES3_S9_NS6_6detail15normal_iteratorINS6_10device_ptrIjEEEENSD_INSE_IxEEEENS6_16discard_iteratorINS6_11use_defaultEEESI_PmS8_NS6_8equal_toIjEEEE10hipError_tPvRmT2_T3_mT4_T5_T6_T7_T8_P12ihipStream_tbENKUlT_T0_E_clISt17integral_constantIbLb1EES16_EEDaS11_S12_EUlS11_E_NS1_11comp_targetILNS1_3genE8ELNS1_11target_archE1030ELNS1_3gpuE2ELNS1_3repE0EEENS1_30default_config_static_selectorELNS0_4arch9wavefront6targetE1EEEvT1_
; %bb.0:
	.section	.rodata,"a",@progbits
	.p2align	6, 0x0
	.amdhsa_kernel _ZN7rocprim17ROCPRIM_400000_NS6detail17trampoline_kernelINS0_14default_configENS1_29reduce_by_key_config_selectorIjxN6thrust23THRUST_200600_302600_NS4plusIxEEEEZZNS1_33reduce_by_key_impl_wrapped_configILNS1_25lookback_scan_determinismE0ES3_S9_NS6_6detail15normal_iteratorINS6_10device_ptrIjEEEENSD_INSE_IxEEEENS6_16discard_iteratorINS6_11use_defaultEEESI_PmS8_NS6_8equal_toIjEEEE10hipError_tPvRmT2_T3_mT4_T5_T6_T7_T8_P12ihipStream_tbENKUlT_T0_E_clISt17integral_constantIbLb1EES16_EEDaS11_S12_EUlS11_E_NS1_11comp_targetILNS1_3genE8ELNS1_11target_archE1030ELNS1_3gpuE2ELNS1_3repE0EEENS1_30default_config_static_selectorELNS0_4arch9wavefront6targetE1EEEvT1_
		.amdhsa_group_segment_fixed_size 0
		.amdhsa_private_segment_fixed_size 0
		.amdhsa_kernarg_size 144
		.amdhsa_user_sgpr_count 6
		.amdhsa_user_sgpr_private_segment_buffer 1
		.amdhsa_user_sgpr_dispatch_ptr 0
		.amdhsa_user_sgpr_queue_ptr 0
		.amdhsa_user_sgpr_kernarg_segment_ptr 1
		.amdhsa_user_sgpr_dispatch_id 0
		.amdhsa_user_sgpr_flat_scratch_init 0
		.amdhsa_user_sgpr_kernarg_preload_length 0
		.amdhsa_user_sgpr_kernarg_preload_offset 0
		.amdhsa_user_sgpr_private_segment_size 0
		.amdhsa_uses_dynamic_stack 0
		.amdhsa_system_sgpr_private_segment_wavefront_offset 0
		.amdhsa_system_sgpr_workgroup_id_x 1
		.amdhsa_system_sgpr_workgroup_id_y 0
		.amdhsa_system_sgpr_workgroup_id_z 0
		.amdhsa_system_sgpr_workgroup_info 0
		.amdhsa_system_vgpr_workitem_id 0
		.amdhsa_next_free_vgpr 1
		.amdhsa_next_free_sgpr 0
		.amdhsa_accum_offset 4
		.amdhsa_reserve_vcc 0
		.amdhsa_reserve_flat_scratch 0
		.amdhsa_float_round_mode_32 0
		.amdhsa_float_round_mode_16_64 0
		.amdhsa_float_denorm_mode_32 3
		.amdhsa_float_denorm_mode_16_64 3
		.amdhsa_dx10_clamp 1
		.amdhsa_ieee_mode 1
		.amdhsa_fp16_overflow 0
		.amdhsa_tg_split 0
		.amdhsa_exception_fp_ieee_invalid_op 0
		.amdhsa_exception_fp_denorm_src 0
		.amdhsa_exception_fp_ieee_div_zero 0
		.amdhsa_exception_fp_ieee_overflow 0
		.amdhsa_exception_fp_ieee_underflow 0
		.amdhsa_exception_fp_ieee_inexact 0
		.amdhsa_exception_int_div_zero 0
	.end_amdhsa_kernel
	.section	.text._ZN7rocprim17ROCPRIM_400000_NS6detail17trampoline_kernelINS0_14default_configENS1_29reduce_by_key_config_selectorIjxN6thrust23THRUST_200600_302600_NS4plusIxEEEEZZNS1_33reduce_by_key_impl_wrapped_configILNS1_25lookback_scan_determinismE0ES3_S9_NS6_6detail15normal_iteratorINS6_10device_ptrIjEEEENSD_INSE_IxEEEENS6_16discard_iteratorINS6_11use_defaultEEESI_PmS8_NS6_8equal_toIjEEEE10hipError_tPvRmT2_T3_mT4_T5_T6_T7_T8_P12ihipStream_tbENKUlT_T0_E_clISt17integral_constantIbLb1EES16_EEDaS11_S12_EUlS11_E_NS1_11comp_targetILNS1_3genE8ELNS1_11target_archE1030ELNS1_3gpuE2ELNS1_3repE0EEENS1_30default_config_static_selectorELNS0_4arch9wavefront6targetE1EEEvT1_,"axG",@progbits,_ZN7rocprim17ROCPRIM_400000_NS6detail17trampoline_kernelINS0_14default_configENS1_29reduce_by_key_config_selectorIjxN6thrust23THRUST_200600_302600_NS4plusIxEEEEZZNS1_33reduce_by_key_impl_wrapped_configILNS1_25lookback_scan_determinismE0ES3_S9_NS6_6detail15normal_iteratorINS6_10device_ptrIjEEEENSD_INSE_IxEEEENS6_16discard_iteratorINS6_11use_defaultEEESI_PmS8_NS6_8equal_toIjEEEE10hipError_tPvRmT2_T3_mT4_T5_T6_T7_T8_P12ihipStream_tbENKUlT_T0_E_clISt17integral_constantIbLb1EES16_EEDaS11_S12_EUlS11_E_NS1_11comp_targetILNS1_3genE8ELNS1_11target_archE1030ELNS1_3gpuE2ELNS1_3repE0EEENS1_30default_config_static_selectorELNS0_4arch9wavefront6targetE1EEEvT1_,comdat
.Lfunc_end1002:
	.size	_ZN7rocprim17ROCPRIM_400000_NS6detail17trampoline_kernelINS0_14default_configENS1_29reduce_by_key_config_selectorIjxN6thrust23THRUST_200600_302600_NS4plusIxEEEEZZNS1_33reduce_by_key_impl_wrapped_configILNS1_25lookback_scan_determinismE0ES3_S9_NS6_6detail15normal_iteratorINS6_10device_ptrIjEEEENSD_INSE_IxEEEENS6_16discard_iteratorINS6_11use_defaultEEESI_PmS8_NS6_8equal_toIjEEEE10hipError_tPvRmT2_T3_mT4_T5_T6_T7_T8_P12ihipStream_tbENKUlT_T0_E_clISt17integral_constantIbLb1EES16_EEDaS11_S12_EUlS11_E_NS1_11comp_targetILNS1_3genE8ELNS1_11target_archE1030ELNS1_3gpuE2ELNS1_3repE0EEENS1_30default_config_static_selectorELNS0_4arch9wavefront6targetE1EEEvT1_, .Lfunc_end1002-_ZN7rocprim17ROCPRIM_400000_NS6detail17trampoline_kernelINS0_14default_configENS1_29reduce_by_key_config_selectorIjxN6thrust23THRUST_200600_302600_NS4plusIxEEEEZZNS1_33reduce_by_key_impl_wrapped_configILNS1_25lookback_scan_determinismE0ES3_S9_NS6_6detail15normal_iteratorINS6_10device_ptrIjEEEENSD_INSE_IxEEEENS6_16discard_iteratorINS6_11use_defaultEEESI_PmS8_NS6_8equal_toIjEEEE10hipError_tPvRmT2_T3_mT4_T5_T6_T7_T8_P12ihipStream_tbENKUlT_T0_E_clISt17integral_constantIbLb1EES16_EEDaS11_S12_EUlS11_E_NS1_11comp_targetILNS1_3genE8ELNS1_11target_archE1030ELNS1_3gpuE2ELNS1_3repE0EEENS1_30default_config_static_selectorELNS0_4arch9wavefront6targetE1EEEvT1_
                                        ; -- End function
	.section	.AMDGPU.csdata,"",@progbits
; Kernel info:
; codeLenInByte = 0
; NumSgprs: 4
; NumVgprs: 0
; NumAgprs: 0
; TotalNumVgprs: 0
; ScratchSize: 0
; MemoryBound: 0
; FloatMode: 240
; IeeeMode: 1
; LDSByteSize: 0 bytes/workgroup (compile time only)
; SGPRBlocks: 0
; VGPRBlocks: 0
; NumSGPRsForWavesPerEU: 4
; NumVGPRsForWavesPerEU: 1
; AccumOffset: 4
; Occupancy: 8
; WaveLimiterHint : 0
; COMPUTE_PGM_RSRC2:SCRATCH_EN: 0
; COMPUTE_PGM_RSRC2:USER_SGPR: 6
; COMPUTE_PGM_RSRC2:TRAP_HANDLER: 0
; COMPUTE_PGM_RSRC2:TGID_X_EN: 1
; COMPUTE_PGM_RSRC2:TGID_Y_EN: 0
; COMPUTE_PGM_RSRC2:TGID_Z_EN: 0
; COMPUTE_PGM_RSRC2:TIDIG_COMP_CNT: 0
; COMPUTE_PGM_RSRC3_GFX90A:ACCUM_OFFSET: 0
; COMPUTE_PGM_RSRC3_GFX90A:TG_SPLIT: 0
	.section	.text._ZN7rocprim17ROCPRIM_400000_NS6detail17trampoline_kernelINS0_14default_configENS1_29reduce_by_key_config_selectorIjxN6thrust23THRUST_200600_302600_NS4plusIxEEEEZZNS1_33reduce_by_key_impl_wrapped_configILNS1_25lookback_scan_determinismE0ES3_S9_NS6_6detail15normal_iteratorINS6_10device_ptrIjEEEENSD_INSE_IxEEEENS6_16discard_iteratorINS6_11use_defaultEEESI_PmS8_NS6_8equal_toIjEEEE10hipError_tPvRmT2_T3_mT4_T5_T6_T7_T8_P12ihipStream_tbENKUlT_T0_E_clISt17integral_constantIbLb1EES15_IbLb0EEEEDaS11_S12_EUlS11_E_NS1_11comp_targetILNS1_3genE0ELNS1_11target_archE4294967295ELNS1_3gpuE0ELNS1_3repE0EEENS1_30default_config_static_selectorELNS0_4arch9wavefront6targetE1EEEvT1_,"axG",@progbits,_ZN7rocprim17ROCPRIM_400000_NS6detail17trampoline_kernelINS0_14default_configENS1_29reduce_by_key_config_selectorIjxN6thrust23THRUST_200600_302600_NS4plusIxEEEEZZNS1_33reduce_by_key_impl_wrapped_configILNS1_25lookback_scan_determinismE0ES3_S9_NS6_6detail15normal_iteratorINS6_10device_ptrIjEEEENSD_INSE_IxEEEENS6_16discard_iteratorINS6_11use_defaultEEESI_PmS8_NS6_8equal_toIjEEEE10hipError_tPvRmT2_T3_mT4_T5_T6_T7_T8_P12ihipStream_tbENKUlT_T0_E_clISt17integral_constantIbLb1EES15_IbLb0EEEEDaS11_S12_EUlS11_E_NS1_11comp_targetILNS1_3genE0ELNS1_11target_archE4294967295ELNS1_3gpuE0ELNS1_3repE0EEENS1_30default_config_static_selectorELNS0_4arch9wavefront6targetE1EEEvT1_,comdat
	.protected	_ZN7rocprim17ROCPRIM_400000_NS6detail17trampoline_kernelINS0_14default_configENS1_29reduce_by_key_config_selectorIjxN6thrust23THRUST_200600_302600_NS4plusIxEEEEZZNS1_33reduce_by_key_impl_wrapped_configILNS1_25lookback_scan_determinismE0ES3_S9_NS6_6detail15normal_iteratorINS6_10device_ptrIjEEEENSD_INSE_IxEEEENS6_16discard_iteratorINS6_11use_defaultEEESI_PmS8_NS6_8equal_toIjEEEE10hipError_tPvRmT2_T3_mT4_T5_T6_T7_T8_P12ihipStream_tbENKUlT_T0_E_clISt17integral_constantIbLb1EES15_IbLb0EEEEDaS11_S12_EUlS11_E_NS1_11comp_targetILNS1_3genE0ELNS1_11target_archE4294967295ELNS1_3gpuE0ELNS1_3repE0EEENS1_30default_config_static_selectorELNS0_4arch9wavefront6targetE1EEEvT1_ ; -- Begin function _ZN7rocprim17ROCPRIM_400000_NS6detail17trampoline_kernelINS0_14default_configENS1_29reduce_by_key_config_selectorIjxN6thrust23THRUST_200600_302600_NS4plusIxEEEEZZNS1_33reduce_by_key_impl_wrapped_configILNS1_25lookback_scan_determinismE0ES3_S9_NS6_6detail15normal_iteratorINS6_10device_ptrIjEEEENSD_INSE_IxEEEENS6_16discard_iteratorINS6_11use_defaultEEESI_PmS8_NS6_8equal_toIjEEEE10hipError_tPvRmT2_T3_mT4_T5_T6_T7_T8_P12ihipStream_tbENKUlT_T0_E_clISt17integral_constantIbLb1EES15_IbLb0EEEEDaS11_S12_EUlS11_E_NS1_11comp_targetILNS1_3genE0ELNS1_11target_archE4294967295ELNS1_3gpuE0ELNS1_3repE0EEENS1_30default_config_static_selectorELNS0_4arch9wavefront6targetE1EEEvT1_
	.globl	_ZN7rocprim17ROCPRIM_400000_NS6detail17trampoline_kernelINS0_14default_configENS1_29reduce_by_key_config_selectorIjxN6thrust23THRUST_200600_302600_NS4plusIxEEEEZZNS1_33reduce_by_key_impl_wrapped_configILNS1_25lookback_scan_determinismE0ES3_S9_NS6_6detail15normal_iteratorINS6_10device_ptrIjEEEENSD_INSE_IxEEEENS6_16discard_iteratorINS6_11use_defaultEEESI_PmS8_NS6_8equal_toIjEEEE10hipError_tPvRmT2_T3_mT4_T5_T6_T7_T8_P12ihipStream_tbENKUlT_T0_E_clISt17integral_constantIbLb1EES15_IbLb0EEEEDaS11_S12_EUlS11_E_NS1_11comp_targetILNS1_3genE0ELNS1_11target_archE4294967295ELNS1_3gpuE0ELNS1_3repE0EEENS1_30default_config_static_selectorELNS0_4arch9wavefront6targetE1EEEvT1_
	.p2align	8
	.type	_ZN7rocprim17ROCPRIM_400000_NS6detail17trampoline_kernelINS0_14default_configENS1_29reduce_by_key_config_selectorIjxN6thrust23THRUST_200600_302600_NS4plusIxEEEEZZNS1_33reduce_by_key_impl_wrapped_configILNS1_25lookback_scan_determinismE0ES3_S9_NS6_6detail15normal_iteratorINS6_10device_ptrIjEEEENSD_INSE_IxEEEENS6_16discard_iteratorINS6_11use_defaultEEESI_PmS8_NS6_8equal_toIjEEEE10hipError_tPvRmT2_T3_mT4_T5_T6_T7_T8_P12ihipStream_tbENKUlT_T0_E_clISt17integral_constantIbLb1EES15_IbLb0EEEEDaS11_S12_EUlS11_E_NS1_11comp_targetILNS1_3genE0ELNS1_11target_archE4294967295ELNS1_3gpuE0ELNS1_3repE0EEENS1_30default_config_static_selectorELNS0_4arch9wavefront6targetE1EEEvT1_,@function
_ZN7rocprim17ROCPRIM_400000_NS6detail17trampoline_kernelINS0_14default_configENS1_29reduce_by_key_config_selectorIjxN6thrust23THRUST_200600_302600_NS4plusIxEEEEZZNS1_33reduce_by_key_impl_wrapped_configILNS1_25lookback_scan_determinismE0ES3_S9_NS6_6detail15normal_iteratorINS6_10device_ptrIjEEEENSD_INSE_IxEEEENS6_16discard_iteratorINS6_11use_defaultEEESI_PmS8_NS6_8equal_toIjEEEE10hipError_tPvRmT2_T3_mT4_T5_T6_T7_T8_P12ihipStream_tbENKUlT_T0_E_clISt17integral_constantIbLb1EES15_IbLb0EEEEDaS11_S12_EUlS11_E_NS1_11comp_targetILNS1_3genE0ELNS1_11target_archE4294967295ELNS1_3gpuE0ELNS1_3repE0EEENS1_30default_config_static_selectorELNS0_4arch9wavefront6targetE1EEEvT1_: ; @_ZN7rocprim17ROCPRIM_400000_NS6detail17trampoline_kernelINS0_14default_configENS1_29reduce_by_key_config_selectorIjxN6thrust23THRUST_200600_302600_NS4plusIxEEEEZZNS1_33reduce_by_key_impl_wrapped_configILNS1_25lookback_scan_determinismE0ES3_S9_NS6_6detail15normal_iteratorINS6_10device_ptrIjEEEENSD_INSE_IxEEEENS6_16discard_iteratorINS6_11use_defaultEEESI_PmS8_NS6_8equal_toIjEEEE10hipError_tPvRmT2_T3_mT4_T5_T6_T7_T8_P12ihipStream_tbENKUlT_T0_E_clISt17integral_constantIbLb1EES15_IbLb0EEEEDaS11_S12_EUlS11_E_NS1_11comp_targetILNS1_3genE0ELNS1_11target_archE4294967295ELNS1_3gpuE0ELNS1_3repE0EEENS1_30default_config_static_selectorELNS0_4arch9wavefront6targetE1EEEvT1_
; %bb.0:
	.section	.rodata,"a",@progbits
	.p2align	6, 0x0
	.amdhsa_kernel _ZN7rocprim17ROCPRIM_400000_NS6detail17trampoline_kernelINS0_14default_configENS1_29reduce_by_key_config_selectorIjxN6thrust23THRUST_200600_302600_NS4plusIxEEEEZZNS1_33reduce_by_key_impl_wrapped_configILNS1_25lookback_scan_determinismE0ES3_S9_NS6_6detail15normal_iteratorINS6_10device_ptrIjEEEENSD_INSE_IxEEEENS6_16discard_iteratorINS6_11use_defaultEEESI_PmS8_NS6_8equal_toIjEEEE10hipError_tPvRmT2_T3_mT4_T5_T6_T7_T8_P12ihipStream_tbENKUlT_T0_E_clISt17integral_constantIbLb1EES15_IbLb0EEEEDaS11_S12_EUlS11_E_NS1_11comp_targetILNS1_3genE0ELNS1_11target_archE4294967295ELNS1_3gpuE0ELNS1_3repE0EEENS1_30default_config_static_selectorELNS0_4arch9wavefront6targetE1EEEvT1_
		.amdhsa_group_segment_fixed_size 0
		.amdhsa_private_segment_fixed_size 0
		.amdhsa_kernarg_size 144
		.amdhsa_user_sgpr_count 6
		.amdhsa_user_sgpr_private_segment_buffer 1
		.amdhsa_user_sgpr_dispatch_ptr 0
		.amdhsa_user_sgpr_queue_ptr 0
		.amdhsa_user_sgpr_kernarg_segment_ptr 1
		.amdhsa_user_sgpr_dispatch_id 0
		.amdhsa_user_sgpr_flat_scratch_init 0
		.amdhsa_user_sgpr_kernarg_preload_length 0
		.amdhsa_user_sgpr_kernarg_preload_offset 0
		.amdhsa_user_sgpr_private_segment_size 0
		.amdhsa_uses_dynamic_stack 0
		.amdhsa_system_sgpr_private_segment_wavefront_offset 0
		.amdhsa_system_sgpr_workgroup_id_x 1
		.amdhsa_system_sgpr_workgroup_id_y 0
		.amdhsa_system_sgpr_workgroup_id_z 0
		.amdhsa_system_sgpr_workgroup_info 0
		.amdhsa_system_vgpr_workitem_id 0
		.amdhsa_next_free_vgpr 1
		.amdhsa_next_free_sgpr 0
		.amdhsa_accum_offset 4
		.amdhsa_reserve_vcc 0
		.amdhsa_reserve_flat_scratch 0
		.amdhsa_float_round_mode_32 0
		.amdhsa_float_round_mode_16_64 0
		.amdhsa_float_denorm_mode_32 3
		.amdhsa_float_denorm_mode_16_64 3
		.amdhsa_dx10_clamp 1
		.amdhsa_ieee_mode 1
		.amdhsa_fp16_overflow 0
		.amdhsa_tg_split 0
		.amdhsa_exception_fp_ieee_invalid_op 0
		.amdhsa_exception_fp_denorm_src 0
		.amdhsa_exception_fp_ieee_div_zero 0
		.amdhsa_exception_fp_ieee_overflow 0
		.amdhsa_exception_fp_ieee_underflow 0
		.amdhsa_exception_fp_ieee_inexact 0
		.amdhsa_exception_int_div_zero 0
	.end_amdhsa_kernel
	.section	.text._ZN7rocprim17ROCPRIM_400000_NS6detail17trampoline_kernelINS0_14default_configENS1_29reduce_by_key_config_selectorIjxN6thrust23THRUST_200600_302600_NS4plusIxEEEEZZNS1_33reduce_by_key_impl_wrapped_configILNS1_25lookback_scan_determinismE0ES3_S9_NS6_6detail15normal_iteratorINS6_10device_ptrIjEEEENSD_INSE_IxEEEENS6_16discard_iteratorINS6_11use_defaultEEESI_PmS8_NS6_8equal_toIjEEEE10hipError_tPvRmT2_T3_mT4_T5_T6_T7_T8_P12ihipStream_tbENKUlT_T0_E_clISt17integral_constantIbLb1EES15_IbLb0EEEEDaS11_S12_EUlS11_E_NS1_11comp_targetILNS1_3genE0ELNS1_11target_archE4294967295ELNS1_3gpuE0ELNS1_3repE0EEENS1_30default_config_static_selectorELNS0_4arch9wavefront6targetE1EEEvT1_,"axG",@progbits,_ZN7rocprim17ROCPRIM_400000_NS6detail17trampoline_kernelINS0_14default_configENS1_29reduce_by_key_config_selectorIjxN6thrust23THRUST_200600_302600_NS4plusIxEEEEZZNS1_33reduce_by_key_impl_wrapped_configILNS1_25lookback_scan_determinismE0ES3_S9_NS6_6detail15normal_iteratorINS6_10device_ptrIjEEEENSD_INSE_IxEEEENS6_16discard_iteratorINS6_11use_defaultEEESI_PmS8_NS6_8equal_toIjEEEE10hipError_tPvRmT2_T3_mT4_T5_T6_T7_T8_P12ihipStream_tbENKUlT_T0_E_clISt17integral_constantIbLb1EES15_IbLb0EEEEDaS11_S12_EUlS11_E_NS1_11comp_targetILNS1_3genE0ELNS1_11target_archE4294967295ELNS1_3gpuE0ELNS1_3repE0EEENS1_30default_config_static_selectorELNS0_4arch9wavefront6targetE1EEEvT1_,comdat
.Lfunc_end1003:
	.size	_ZN7rocprim17ROCPRIM_400000_NS6detail17trampoline_kernelINS0_14default_configENS1_29reduce_by_key_config_selectorIjxN6thrust23THRUST_200600_302600_NS4plusIxEEEEZZNS1_33reduce_by_key_impl_wrapped_configILNS1_25lookback_scan_determinismE0ES3_S9_NS6_6detail15normal_iteratorINS6_10device_ptrIjEEEENSD_INSE_IxEEEENS6_16discard_iteratorINS6_11use_defaultEEESI_PmS8_NS6_8equal_toIjEEEE10hipError_tPvRmT2_T3_mT4_T5_T6_T7_T8_P12ihipStream_tbENKUlT_T0_E_clISt17integral_constantIbLb1EES15_IbLb0EEEEDaS11_S12_EUlS11_E_NS1_11comp_targetILNS1_3genE0ELNS1_11target_archE4294967295ELNS1_3gpuE0ELNS1_3repE0EEENS1_30default_config_static_selectorELNS0_4arch9wavefront6targetE1EEEvT1_, .Lfunc_end1003-_ZN7rocprim17ROCPRIM_400000_NS6detail17trampoline_kernelINS0_14default_configENS1_29reduce_by_key_config_selectorIjxN6thrust23THRUST_200600_302600_NS4plusIxEEEEZZNS1_33reduce_by_key_impl_wrapped_configILNS1_25lookback_scan_determinismE0ES3_S9_NS6_6detail15normal_iteratorINS6_10device_ptrIjEEEENSD_INSE_IxEEEENS6_16discard_iteratorINS6_11use_defaultEEESI_PmS8_NS6_8equal_toIjEEEE10hipError_tPvRmT2_T3_mT4_T5_T6_T7_T8_P12ihipStream_tbENKUlT_T0_E_clISt17integral_constantIbLb1EES15_IbLb0EEEEDaS11_S12_EUlS11_E_NS1_11comp_targetILNS1_3genE0ELNS1_11target_archE4294967295ELNS1_3gpuE0ELNS1_3repE0EEENS1_30default_config_static_selectorELNS0_4arch9wavefront6targetE1EEEvT1_
                                        ; -- End function
	.section	.AMDGPU.csdata,"",@progbits
; Kernel info:
; codeLenInByte = 0
; NumSgprs: 4
; NumVgprs: 0
; NumAgprs: 0
; TotalNumVgprs: 0
; ScratchSize: 0
; MemoryBound: 0
; FloatMode: 240
; IeeeMode: 1
; LDSByteSize: 0 bytes/workgroup (compile time only)
; SGPRBlocks: 0
; VGPRBlocks: 0
; NumSGPRsForWavesPerEU: 4
; NumVGPRsForWavesPerEU: 1
; AccumOffset: 4
; Occupancy: 8
; WaveLimiterHint : 0
; COMPUTE_PGM_RSRC2:SCRATCH_EN: 0
; COMPUTE_PGM_RSRC2:USER_SGPR: 6
; COMPUTE_PGM_RSRC2:TRAP_HANDLER: 0
; COMPUTE_PGM_RSRC2:TGID_X_EN: 1
; COMPUTE_PGM_RSRC2:TGID_Y_EN: 0
; COMPUTE_PGM_RSRC2:TGID_Z_EN: 0
; COMPUTE_PGM_RSRC2:TIDIG_COMP_CNT: 0
; COMPUTE_PGM_RSRC3_GFX90A:ACCUM_OFFSET: 0
; COMPUTE_PGM_RSRC3_GFX90A:TG_SPLIT: 0
	.section	.text._ZN7rocprim17ROCPRIM_400000_NS6detail17trampoline_kernelINS0_14default_configENS1_29reduce_by_key_config_selectorIjxN6thrust23THRUST_200600_302600_NS4plusIxEEEEZZNS1_33reduce_by_key_impl_wrapped_configILNS1_25lookback_scan_determinismE0ES3_S9_NS6_6detail15normal_iteratorINS6_10device_ptrIjEEEENSD_INSE_IxEEEENS6_16discard_iteratorINS6_11use_defaultEEESI_PmS8_NS6_8equal_toIjEEEE10hipError_tPvRmT2_T3_mT4_T5_T6_T7_T8_P12ihipStream_tbENKUlT_T0_E_clISt17integral_constantIbLb1EES15_IbLb0EEEEDaS11_S12_EUlS11_E_NS1_11comp_targetILNS1_3genE5ELNS1_11target_archE942ELNS1_3gpuE9ELNS1_3repE0EEENS1_30default_config_static_selectorELNS0_4arch9wavefront6targetE1EEEvT1_,"axG",@progbits,_ZN7rocprim17ROCPRIM_400000_NS6detail17trampoline_kernelINS0_14default_configENS1_29reduce_by_key_config_selectorIjxN6thrust23THRUST_200600_302600_NS4plusIxEEEEZZNS1_33reduce_by_key_impl_wrapped_configILNS1_25lookback_scan_determinismE0ES3_S9_NS6_6detail15normal_iteratorINS6_10device_ptrIjEEEENSD_INSE_IxEEEENS6_16discard_iteratorINS6_11use_defaultEEESI_PmS8_NS6_8equal_toIjEEEE10hipError_tPvRmT2_T3_mT4_T5_T6_T7_T8_P12ihipStream_tbENKUlT_T0_E_clISt17integral_constantIbLb1EES15_IbLb0EEEEDaS11_S12_EUlS11_E_NS1_11comp_targetILNS1_3genE5ELNS1_11target_archE942ELNS1_3gpuE9ELNS1_3repE0EEENS1_30default_config_static_selectorELNS0_4arch9wavefront6targetE1EEEvT1_,comdat
	.protected	_ZN7rocprim17ROCPRIM_400000_NS6detail17trampoline_kernelINS0_14default_configENS1_29reduce_by_key_config_selectorIjxN6thrust23THRUST_200600_302600_NS4plusIxEEEEZZNS1_33reduce_by_key_impl_wrapped_configILNS1_25lookback_scan_determinismE0ES3_S9_NS6_6detail15normal_iteratorINS6_10device_ptrIjEEEENSD_INSE_IxEEEENS6_16discard_iteratorINS6_11use_defaultEEESI_PmS8_NS6_8equal_toIjEEEE10hipError_tPvRmT2_T3_mT4_T5_T6_T7_T8_P12ihipStream_tbENKUlT_T0_E_clISt17integral_constantIbLb1EES15_IbLb0EEEEDaS11_S12_EUlS11_E_NS1_11comp_targetILNS1_3genE5ELNS1_11target_archE942ELNS1_3gpuE9ELNS1_3repE0EEENS1_30default_config_static_selectorELNS0_4arch9wavefront6targetE1EEEvT1_ ; -- Begin function _ZN7rocprim17ROCPRIM_400000_NS6detail17trampoline_kernelINS0_14default_configENS1_29reduce_by_key_config_selectorIjxN6thrust23THRUST_200600_302600_NS4plusIxEEEEZZNS1_33reduce_by_key_impl_wrapped_configILNS1_25lookback_scan_determinismE0ES3_S9_NS6_6detail15normal_iteratorINS6_10device_ptrIjEEEENSD_INSE_IxEEEENS6_16discard_iteratorINS6_11use_defaultEEESI_PmS8_NS6_8equal_toIjEEEE10hipError_tPvRmT2_T3_mT4_T5_T6_T7_T8_P12ihipStream_tbENKUlT_T0_E_clISt17integral_constantIbLb1EES15_IbLb0EEEEDaS11_S12_EUlS11_E_NS1_11comp_targetILNS1_3genE5ELNS1_11target_archE942ELNS1_3gpuE9ELNS1_3repE0EEENS1_30default_config_static_selectorELNS0_4arch9wavefront6targetE1EEEvT1_
	.globl	_ZN7rocprim17ROCPRIM_400000_NS6detail17trampoline_kernelINS0_14default_configENS1_29reduce_by_key_config_selectorIjxN6thrust23THRUST_200600_302600_NS4plusIxEEEEZZNS1_33reduce_by_key_impl_wrapped_configILNS1_25lookback_scan_determinismE0ES3_S9_NS6_6detail15normal_iteratorINS6_10device_ptrIjEEEENSD_INSE_IxEEEENS6_16discard_iteratorINS6_11use_defaultEEESI_PmS8_NS6_8equal_toIjEEEE10hipError_tPvRmT2_T3_mT4_T5_T6_T7_T8_P12ihipStream_tbENKUlT_T0_E_clISt17integral_constantIbLb1EES15_IbLb0EEEEDaS11_S12_EUlS11_E_NS1_11comp_targetILNS1_3genE5ELNS1_11target_archE942ELNS1_3gpuE9ELNS1_3repE0EEENS1_30default_config_static_selectorELNS0_4arch9wavefront6targetE1EEEvT1_
	.p2align	8
	.type	_ZN7rocprim17ROCPRIM_400000_NS6detail17trampoline_kernelINS0_14default_configENS1_29reduce_by_key_config_selectorIjxN6thrust23THRUST_200600_302600_NS4plusIxEEEEZZNS1_33reduce_by_key_impl_wrapped_configILNS1_25lookback_scan_determinismE0ES3_S9_NS6_6detail15normal_iteratorINS6_10device_ptrIjEEEENSD_INSE_IxEEEENS6_16discard_iteratorINS6_11use_defaultEEESI_PmS8_NS6_8equal_toIjEEEE10hipError_tPvRmT2_T3_mT4_T5_T6_T7_T8_P12ihipStream_tbENKUlT_T0_E_clISt17integral_constantIbLb1EES15_IbLb0EEEEDaS11_S12_EUlS11_E_NS1_11comp_targetILNS1_3genE5ELNS1_11target_archE942ELNS1_3gpuE9ELNS1_3repE0EEENS1_30default_config_static_selectorELNS0_4arch9wavefront6targetE1EEEvT1_,@function
_ZN7rocprim17ROCPRIM_400000_NS6detail17trampoline_kernelINS0_14default_configENS1_29reduce_by_key_config_selectorIjxN6thrust23THRUST_200600_302600_NS4plusIxEEEEZZNS1_33reduce_by_key_impl_wrapped_configILNS1_25lookback_scan_determinismE0ES3_S9_NS6_6detail15normal_iteratorINS6_10device_ptrIjEEEENSD_INSE_IxEEEENS6_16discard_iteratorINS6_11use_defaultEEESI_PmS8_NS6_8equal_toIjEEEE10hipError_tPvRmT2_T3_mT4_T5_T6_T7_T8_P12ihipStream_tbENKUlT_T0_E_clISt17integral_constantIbLb1EES15_IbLb0EEEEDaS11_S12_EUlS11_E_NS1_11comp_targetILNS1_3genE5ELNS1_11target_archE942ELNS1_3gpuE9ELNS1_3repE0EEENS1_30default_config_static_selectorELNS0_4arch9wavefront6targetE1EEEvT1_: ; @_ZN7rocprim17ROCPRIM_400000_NS6detail17trampoline_kernelINS0_14default_configENS1_29reduce_by_key_config_selectorIjxN6thrust23THRUST_200600_302600_NS4plusIxEEEEZZNS1_33reduce_by_key_impl_wrapped_configILNS1_25lookback_scan_determinismE0ES3_S9_NS6_6detail15normal_iteratorINS6_10device_ptrIjEEEENSD_INSE_IxEEEENS6_16discard_iteratorINS6_11use_defaultEEESI_PmS8_NS6_8equal_toIjEEEE10hipError_tPvRmT2_T3_mT4_T5_T6_T7_T8_P12ihipStream_tbENKUlT_T0_E_clISt17integral_constantIbLb1EES15_IbLb0EEEEDaS11_S12_EUlS11_E_NS1_11comp_targetILNS1_3genE5ELNS1_11target_archE942ELNS1_3gpuE9ELNS1_3repE0EEENS1_30default_config_static_selectorELNS0_4arch9wavefront6targetE1EEEvT1_
; %bb.0:
	.section	.rodata,"a",@progbits
	.p2align	6, 0x0
	.amdhsa_kernel _ZN7rocprim17ROCPRIM_400000_NS6detail17trampoline_kernelINS0_14default_configENS1_29reduce_by_key_config_selectorIjxN6thrust23THRUST_200600_302600_NS4plusIxEEEEZZNS1_33reduce_by_key_impl_wrapped_configILNS1_25lookback_scan_determinismE0ES3_S9_NS6_6detail15normal_iteratorINS6_10device_ptrIjEEEENSD_INSE_IxEEEENS6_16discard_iteratorINS6_11use_defaultEEESI_PmS8_NS6_8equal_toIjEEEE10hipError_tPvRmT2_T3_mT4_T5_T6_T7_T8_P12ihipStream_tbENKUlT_T0_E_clISt17integral_constantIbLb1EES15_IbLb0EEEEDaS11_S12_EUlS11_E_NS1_11comp_targetILNS1_3genE5ELNS1_11target_archE942ELNS1_3gpuE9ELNS1_3repE0EEENS1_30default_config_static_selectorELNS0_4arch9wavefront6targetE1EEEvT1_
		.amdhsa_group_segment_fixed_size 0
		.amdhsa_private_segment_fixed_size 0
		.amdhsa_kernarg_size 144
		.amdhsa_user_sgpr_count 6
		.amdhsa_user_sgpr_private_segment_buffer 1
		.amdhsa_user_sgpr_dispatch_ptr 0
		.amdhsa_user_sgpr_queue_ptr 0
		.amdhsa_user_sgpr_kernarg_segment_ptr 1
		.amdhsa_user_sgpr_dispatch_id 0
		.amdhsa_user_sgpr_flat_scratch_init 0
		.amdhsa_user_sgpr_kernarg_preload_length 0
		.amdhsa_user_sgpr_kernarg_preload_offset 0
		.amdhsa_user_sgpr_private_segment_size 0
		.amdhsa_uses_dynamic_stack 0
		.amdhsa_system_sgpr_private_segment_wavefront_offset 0
		.amdhsa_system_sgpr_workgroup_id_x 1
		.amdhsa_system_sgpr_workgroup_id_y 0
		.amdhsa_system_sgpr_workgroup_id_z 0
		.amdhsa_system_sgpr_workgroup_info 0
		.amdhsa_system_vgpr_workitem_id 0
		.amdhsa_next_free_vgpr 1
		.amdhsa_next_free_sgpr 0
		.amdhsa_accum_offset 4
		.amdhsa_reserve_vcc 0
		.amdhsa_reserve_flat_scratch 0
		.amdhsa_float_round_mode_32 0
		.amdhsa_float_round_mode_16_64 0
		.amdhsa_float_denorm_mode_32 3
		.amdhsa_float_denorm_mode_16_64 3
		.amdhsa_dx10_clamp 1
		.amdhsa_ieee_mode 1
		.amdhsa_fp16_overflow 0
		.amdhsa_tg_split 0
		.amdhsa_exception_fp_ieee_invalid_op 0
		.amdhsa_exception_fp_denorm_src 0
		.amdhsa_exception_fp_ieee_div_zero 0
		.amdhsa_exception_fp_ieee_overflow 0
		.amdhsa_exception_fp_ieee_underflow 0
		.amdhsa_exception_fp_ieee_inexact 0
		.amdhsa_exception_int_div_zero 0
	.end_amdhsa_kernel
	.section	.text._ZN7rocprim17ROCPRIM_400000_NS6detail17trampoline_kernelINS0_14default_configENS1_29reduce_by_key_config_selectorIjxN6thrust23THRUST_200600_302600_NS4plusIxEEEEZZNS1_33reduce_by_key_impl_wrapped_configILNS1_25lookback_scan_determinismE0ES3_S9_NS6_6detail15normal_iteratorINS6_10device_ptrIjEEEENSD_INSE_IxEEEENS6_16discard_iteratorINS6_11use_defaultEEESI_PmS8_NS6_8equal_toIjEEEE10hipError_tPvRmT2_T3_mT4_T5_T6_T7_T8_P12ihipStream_tbENKUlT_T0_E_clISt17integral_constantIbLb1EES15_IbLb0EEEEDaS11_S12_EUlS11_E_NS1_11comp_targetILNS1_3genE5ELNS1_11target_archE942ELNS1_3gpuE9ELNS1_3repE0EEENS1_30default_config_static_selectorELNS0_4arch9wavefront6targetE1EEEvT1_,"axG",@progbits,_ZN7rocprim17ROCPRIM_400000_NS6detail17trampoline_kernelINS0_14default_configENS1_29reduce_by_key_config_selectorIjxN6thrust23THRUST_200600_302600_NS4plusIxEEEEZZNS1_33reduce_by_key_impl_wrapped_configILNS1_25lookback_scan_determinismE0ES3_S9_NS6_6detail15normal_iteratorINS6_10device_ptrIjEEEENSD_INSE_IxEEEENS6_16discard_iteratorINS6_11use_defaultEEESI_PmS8_NS6_8equal_toIjEEEE10hipError_tPvRmT2_T3_mT4_T5_T6_T7_T8_P12ihipStream_tbENKUlT_T0_E_clISt17integral_constantIbLb1EES15_IbLb0EEEEDaS11_S12_EUlS11_E_NS1_11comp_targetILNS1_3genE5ELNS1_11target_archE942ELNS1_3gpuE9ELNS1_3repE0EEENS1_30default_config_static_selectorELNS0_4arch9wavefront6targetE1EEEvT1_,comdat
.Lfunc_end1004:
	.size	_ZN7rocprim17ROCPRIM_400000_NS6detail17trampoline_kernelINS0_14default_configENS1_29reduce_by_key_config_selectorIjxN6thrust23THRUST_200600_302600_NS4plusIxEEEEZZNS1_33reduce_by_key_impl_wrapped_configILNS1_25lookback_scan_determinismE0ES3_S9_NS6_6detail15normal_iteratorINS6_10device_ptrIjEEEENSD_INSE_IxEEEENS6_16discard_iteratorINS6_11use_defaultEEESI_PmS8_NS6_8equal_toIjEEEE10hipError_tPvRmT2_T3_mT4_T5_T6_T7_T8_P12ihipStream_tbENKUlT_T0_E_clISt17integral_constantIbLb1EES15_IbLb0EEEEDaS11_S12_EUlS11_E_NS1_11comp_targetILNS1_3genE5ELNS1_11target_archE942ELNS1_3gpuE9ELNS1_3repE0EEENS1_30default_config_static_selectorELNS0_4arch9wavefront6targetE1EEEvT1_, .Lfunc_end1004-_ZN7rocprim17ROCPRIM_400000_NS6detail17trampoline_kernelINS0_14default_configENS1_29reduce_by_key_config_selectorIjxN6thrust23THRUST_200600_302600_NS4plusIxEEEEZZNS1_33reduce_by_key_impl_wrapped_configILNS1_25lookback_scan_determinismE0ES3_S9_NS6_6detail15normal_iteratorINS6_10device_ptrIjEEEENSD_INSE_IxEEEENS6_16discard_iteratorINS6_11use_defaultEEESI_PmS8_NS6_8equal_toIjEEEE10hipError_tPvRmT2_T3_mT4_T5_T6_T7_T8_P12ihipStream_tbENKUlT_T0_E_clISt17integral_constantIbLb1EES15_IbLb0EEEEDaS11_S12_EUlS11_E_NS1_11comp_targetILNS1_3genE5ELNS1_11target_archE942ELNS1_3gpuE9ELNS1_3repE0EEENS1_30default_config_static_selectorELNS0_4arch9wavefront6targetE1EEEvT1_
                                        ; -- End function
	.section	.AMDGPU.csdata,"",@progbits
; Kernel info:
; codeLenInByte = 0
; NumSgprs: 4
; NumVgprs: 0
; NumAgprs: 0
; TotalNumVgprs: 0
; ScratchSize: 0
; MemoryBound: 0
; FloatMode: 240
; IeeeMode: 1
; LDSByteSize: 0 bytes/workgroup (compile time only)
; SGPRBlocks: 0
; VGPRBlocks: 0
; NumSGPRsForWavesPerEU: 4
; NumVGPRsForWavesPerEU: 1
; AccumOffset: 4
; Occupancy: 8
; WaveLimiterHint : 0
; COMPUTE_PGM_RSRC2:SCRATCH_EN: 0
; COMPUTE_PGM_RSRC2:USER_SGPR: 6
; COMPUTE_PGM_RSRC2:TRAP_HANDLER: 0
; COMPUTE_PGM_RSRC2:TGID_X_EN: 1
; COMPUTE_PGM_RSRC2:TGID_Y_EN: 0
; COMPUTE_PGM_RSRC2:TGID_Z_EN: 0
; COMPUTE_PGM_RSRC2:TIDIG_COMP_CNT: 0
; COMPUTE_PGM_RSRC3_GFX90A:ACCUM_OFFSET: 0
; COMPUTE_PGM_RSRC3_GFX90A:TG_SPLIT: 0
	.section	.text._ZN7rocprim17ROCPRIM_400000_NS6detail17trampoline_kernelINS0_14default_configENS1_29reduce_by_key_config_selectorIjxN6thrust23THRUST_200600_302600_NS4plusIxEEEEZZNS1_33reduce_by_key_impl_wrapped_configILNS1_25lookback_scan_determinismE0ES3_S9_NS6_6detail15normal_iteratorINS6_10device_ptrIjEEEENSD_INSE_IxEEEENS6_16discard_iteratorINS6_11use_defaultEEESI_PmS8_NS6_8equal_toIjEEEE10hipError_tPvRmT2_T3_mT4_T5_T6_T7_T8_P12ihipStream_tbENKUlT_T0_E_clISt17integral_constantIbLb1EES15_IbLb0EEEEDaS11_S12_EUlS11_E_NS1_11comp_targetILNS1_3genE4ELNS1_11target_archE910ELNS1_3gpuE8ELNS1_3repE0EEENS1_30default_config_static_selectorELNS0_4arch9wavefront6targetE1EEEvT1_,"axG",@progbits,_ZN7rocprim17ROCPRIM_400000_NS6detail17trampoline_kernelINS0_14default_configENS1_29reduce_by_key_config_selectorIjxN6thrust23THRUST_200600_302600_NS4plusIxEEEEZZNS1_33reduce_by_key_impl_wrapped_configILNS1_25lookback_scan_determinismE0ES3_S9_NS6_6detail15normal_iteratorINS6_10device_ptrIjEEEENSD_INSE_IxEEEENS6_16discard_iteratorINS6_11use_defaultEEESI_PmS8_NS6_8equal_toIjEEEE10hipError_tPvRmT2_T3_mT4_T5_T6_T7_T8_P12ihipStream_tbENKUlT_T0_E_clISt17integral_constantIbLb1EES15_IbLb0EEEEDaS11_S12_EUlS11_E_NS1_11comp_targetILNS1_3genE4ELNS1_11target_archE910ELNS1_3gpuE8ELNS1_3repE0EEENS1_30default_config_static_selectorELNS0_4arch9wavefront6targetE1EEEvT1_,comdat
	.protected	_ZN7rocprim17ROCPRIM_400000_NS6detail17trampoline_kernelINS0_14default_configENS1_29reduce_by_key_config_selectorIjxN6thrust23THRUST_200600_302600_NS4plusIxEEEEZZNS1_33reduce_by_key_impl_wrapped_configILNS1_25lookback_scan_determinismE0ES3_S9_NS6_6detail15normal_iteratorINS6_10device_ptrIjEEEENSD_INSE_IxEEEENS6_16discard_iteratorINS6_11use_defaultEEESI_PmS8_NS6_8equal_toIjEEEE10hipError_tPvRmT2_T3_mT4_T5_T6_T7_T8_P12ihipStream_tbENKUlT_T0_E_clISt17integral_constantIbLb1EES15_IbLb0EEEEDaS11_S12_EUlS11_E_NS1_11comp_targetILNS1_3genE4ELNS1_11target_archE910ELNS1_3gpuE8ELNS1_3repE0EEENS1_30default_config_static_selectorELNS0_4arch9wavefront6targetE1EEEvT1_ ; -- Begin function _ZN7rocprim17ROCPRIM_400000_NS6detail17trampoline_kernelINS0_14default_configENS1_29reduce_by_key_config_selectorIjxN6thrust23THRUST_200600_302600_NS4plusIxEEEEZZNS1_33reduce_by_key_impl_wrapped_configILNS1_25lookback_scan_determinismE0ES3_S9_NS6_6detail15normal_iteratorINS6_10device_ptrIjEEEENSD_INSE_IxEEEENS6_16discard_iteratorINS6_11use_defaultEEESI_PmS8_NS6_8equal_toIjEEEE10hipError_tPvRmT2_T3_mT4_T5_T6_T7_T8_P12ihipStream_tbENKUlT_T0_E_clISt17integral_constantIbLb1EES15_IbLb0EEEEDaS11_S12_EUlS11_E_NS1_11comp_targetILNS1_3genE4ELNS1_11target_archE910ELNS1_3gpuE8ELNS1_3repE0EEENS1_30default_config_static_selectorELNS0_4arch9wavefront6targetE1EEEvT1_
	.globl	_ZN7rocprim17ROCPRIM_400000_NS6detail17trampoline_kernelINS0_14default_configENS1_29reduce_by_key_config_selectorIjxN6thrust23THRUST_200600_302600_NS4plusIxEEEEZZNS1_33reduce_by_key_impl_wrapped_configILNS1_25lookback_scan_determinismE0ES3_S9_NS6_6detail15normal_iteratorINS6_10device_ptrIjEEEENSD_INSE_IxEEEENS6_16discard_iteratorINS6_11use_defaultEEESI_PmS8_NS6_8equal_toIjEEEE10hipError_tPvRmT2_T3_mT4_T5_T6_T7_T8_P12ihipStream_tbENKUlT_T0_E_clISt17integral_constantIbLb1EES15_IbLb0EEEEDaS11_S12_EUlS11_E_NS1_11comp_targetILNS1_3genE4ELNS1_11target_archE910ELNS1_3gpuE8ELNS1_3repE0EEENS1_30default_config_static_selectorELNS0_4arch9wavefront6targetE1EEEvT1_
	.p2align	8
	.type	_ZN7rocprim17ROCPRIM_400000_NS6detail17trampoline_kernelINS0_14default_configENS1_29reduce_by_key_config_selectorIjxN6thrust23THRUST_200600_302600_NS4plusIxEEEEZZNS1_33reduce_by_key_impl_wrapped_configILNS1_25lookback_scan_determinismE0ES3_S9_NS6_6detail15normal_iteratorINS6_10device_ptrIjEEEENSD_INSE_IxEEEENS6_16discard_iteratorINS6_11use_defaultEEESI_PmS8_NS6_8equal_toIjEEEE10hipError_tPvRmT2_T3_mT4_T5_T6_T7_T8_P12ihipStream_tbENKUlT_T0_E_clISt17integral_constantIbLb1EES15_IbLb0EEEEDaS11_S12_EUlS11_E_NS1_11comp_targetILNS1_3genE4ELNS1_11target_archE910ELNS1_3gpuE8ELNS1_3repE0EEENS1_30default_config_static_selectorELNS0_4arch9wavefront6targetE1EEEvT1_,@function
_ZN7rocprim17ROCPRIM_400000_NS6detail17trampoline_kernelINS0_14default_configENS1_29reduce_by_key_config_selectorIjxN6thrust23THRUST_200600_302600_NS4plusIxEEEEZZNS1_33reduce_by_key_impl_wrapped_configILNS1_25lookback_scan_determinismE0ES3_S9_NS6_6detail15normal_iteratorINS6_10device_ptrIjEEEENSD_INSE_IxEEEENS6_16discard_iteratorINS6_11use_defaultEEESI_PmS8_NS6_8equal_toIjEEEE10hipError_tPvRmT2_T3_mT4_T5_T6_T7_T8_P12ihipStream_tbENKUlT_T0_E_clISt17integral_constantIbLb1EES15_IbLb0EEEEDaS11_S12_EUlS11_E_NS1_11comp_targetILNS1_3genE4ELNS1_11target_archE910ELNS1_3gpuE8ELNS1_3repE0EEENS1_30default_config_static_selectorELNS0_4arch9wavefront6targetE1EEEvT1_: ; @_ZN7rocprim17ROCPRIM_400000_NS6detail17trampoline_kernelINS0_14default_configENS1_29reduce_by_key_config_selectorIjxN6thrust23THRUST_200600_302600_NS4plusIxEEEEZZNS1_33reduce_by_key_impl_wrapped_configILNS1_25lookback_scan_determinismE0ES3_S9_NS6_6detail15normal_iteratorINS6_10device_ptrIjEEEENSD_INSE_IxEEEENS6_16discard_iteratorINS6_11use_defaultEEESI_PmS8_NS6_8equal_toIjEEEE10hipError_tPvRmT2_T3_mT4_T5_T6_T7_T8_P12ihipStream_tbENKUlT_T0_E_clISt17integral_constantIbLb1EES15_IbLb0EEEEDaS11_S12_EUlS11_E_NS1_11comp_targetILNS1_3genE4ELNS1_11target_archE910ELNS1_3gpuE8ELNS1_3repE0EEENS1_30default_config_static_selectorELNS0_4arch9wavefront6targetE1EEEvT1_
; %bb.0:
	s_load_dwordx4 s[0:3], s[4:5], 0x0
	s_load_dwordx2 s[8:9], s[4:5], 0x10
	s_load_dwordx16 s[36:51], s[4:5], 0x40
	s_waitcnt lgkmcnt(0)
	s_lshl_b64 s[10:11], s[2:3], 2
	s_add_u32 s7, s0, s10
	s_addc_u32 s10, s1, s11
	s_lshl_b64 s[0:1], s[2:3], 3
	s_add_u32 s8, s8, s0
	s_addc_u32 s9, s9, s1
	s_mul_i32 s0, s44, s43
	s_mul_hi_u32 s1, s44, s42
	s_add_i32 s0, s1, s0
	s_mul_i32 s1, s45, s42
	s_add_i32 s11, s0, s1
	s_mul_i32 s0, s6, 0xf00
	s_mov_b32 s1, 0
	s_lshl_b64 s[2:3], s[0:1], 2
	s_add_u32 s7, s7, s2
	s_addc_u32 s60, s10, s3
	s_lshl_b64 s[0:1], s[0:1], 3
	s_add_u32 s61, s8, s0
	s_mul_i32 s12, s44, s42
	s_addc_u32 s62, s9, s1
	s_add_u32 s56, s12, s6
	s_addc_u32 s57, s11, 0
	s_add_u32 s2, s46, -1
	s_addc_u32 s3, s47, -1
	s_cmp_eq_u64 s[56:57], s[2:3]
	s_cselect_b64 s[52:53], -1, 0
	s_cmp_lg_u64 s[56:57], s[2:3]
	s_mov_b64 s[0:1], -1
	s_cselect_b64 s[58:59], -1, 0
	s_mul_i32 s33, s2, 0xfffff100
	s_and_b64 vcc, exec, s[52:53]
	s_cbranch_vccnz .LBB1005_2
; %bb.1:
	v_lshlrev_b32_e32 v1, 2, v0
	v_mov_b32_e32 v3, s60
	v_add_co_u32_e32 v2, vcc, s7, v1
	v_addc_co_u32_e32 v3, vcc, 0, v3, vcc
	v_add_co_u32_e32 v4, vcc, 0x1000, v2
	v_addc_co_u32_e32 v5, vcc, 0, v3, vcc
	flat_load_dword v6, v[2:3]
	flat_load_dword v7, v[2:3] offset:1024
	flat_load_dword v8, v[2:3] offset:2048
	;; [unrolled: 1-line block ×3, first 2 shown]
	flat_load_dword v10, v[4:5]
	flat_load_dword v11, v[4:5] offset:1024
	flat_load_dword v12, v[4:5] offset:2048
	;; [unrolled: 1-line block ×3, first 2 shown]
	v_add_co_u32_e32 v4, vcc, 0x2000, v2
	v_addc_co_u32_e32 v5, vcc, 0, v3, vcc
	v_add_co_u32_e32 v2, vcc, 0x3000, v2
	v_addc_co_u32_e32 v3, vcc, 0, v3, vcc
	flat_load_dword v14, v[4:5]
	flat_load_dword v15, v[4:5] offset:1024
	flat_load_dword v24, v[4:5] offset:2048
	;; [unrolled: 1-line block ×3, first 2 shown]
	flat_load_dword v26, v[2:3]
	flat_load_dword v27, v[2:3] offset:1024
	flat_load_dword v28, v[2:3] offset:2048
	v_lshlrev_b32_e32 v2, 3, v0
	v_mov_b32_e32 v3, s62
	v_add_co_u32_e32 v16, vcc, s61, v2
	s_movk_i32 s0, 0x1000
	v_addc_co_u32_e32 v17, vcc, 0, v3, vcc
	v_add_co_u32_e32 v18, vcc, s0, v16
	s_movk_i32 s1, 0x2000
	v_addc_co_u32_e32 v19, vcc, 0, v17, vcc
	;; [unrolled: 3-line block ×3, first 2 shown]
	v_add_co_u32_e32 v22, vcc, s2, v16
	v_mad_u32_u24 v46, v0, 56, v1
	v_addc_co_u32_e32 v23, vcc, 0, v17, vcc
	s_movk_i32 s0, 0x4000
	v_mul_u32_u24_e32 v54, 15, v0
	v_mad_u32_u24 v68, v0, 15, 1
	v_mad_u32_u24 v66, v0, 15, 2
	;; [unrolled: 1-line block ×14, first 2 shown]
	s_waitcnt vmcnt(0) lgkmcnt(0)
	ds_write2st64_b32 v1, v6, v7 offset1:4
	ds_write2st64_b32 v1, v8, v9 offset0:8 offset1:12
	ds_write2st64_b32 v1, v10, v11 offset0:16 offset1:20
	;; [unrolled: 1-line block ×6, first 2 shown]
	ds_write_b32 v1, v28 offset:14336
	s_waitcnt lgkmcnt(0)
	s_barrier
	ds_read2_b32 v[14:15], v46 offset1:1
	ds_read2_b32 v[12:13], v46 offset0:2 offset1:3
	ds_read2_b32 v[10:11], v46 offset0:4 offset1:5
	;; [unrolled: 1-line block ×6, first 2 shown]
	ds_read_b32 v1, v46 offset:56
	s_waitcnt lgkmcnt(0)
	s_barrier
	flat_load_dwordx2 v[24:25], v[16:17]
	flat_load_dwordx2 v[26:27], v[16:17] offset:2048
	flat_load_dwordx2 v[28:29], v[18:19]
	flat_load_dwordx2 v[30:31], v[18:19] offset:2048
	;; [unrolled: 2-line block ×4, first 2 shown]
	v_add_co_u32_e32 v18, vcc, s0, v16
	v_addc_co_u32_e32 v19, vcc, 0, v17, vcc
	s_movk_i32 s0, 0x5000
	v_add_co_u32_e32 v20, vcc, s0, v16
	v_addc_co_u32_e32 v21, vcc, 0, v17, vcc
	s_movk_i32 s0, 0x6000
	flat_load_dwordx2 v[22:23], v[18:19]
	flat_load_dwordx2 v[40:41], v[18:19] offset:2048
	flat_load_dwordx2 v[42:43], v[20:21]
	flat_load_dwordx2 v[44:45], v[20:21] offset:2048
	v_add_co_u32_e32 v18, vcc, s0, v16
	v_addc_co_u32_e32 v19, vcc, 0, v17, vcc
	s_movk_i32 s0, 0x7000
	v_add_co_u32_e32 v16, vcc, s0, v16
	v_addc_co_u32_e32 v17, vcc, 0, v17, vcc
	flat_load_dwordx2 v[20:21], v[18:19]
	flat_load_dwordx2 v[70:71], v[18:19] offset:2048
	flat_load_dwordx2 v[72:73], v[16:17]
	s_movk_i32 s0, 0xffcc
	v_mad_i32_i24 v16, v0, s0, v46
	v_mov_b32_e32 v52, v14
	v_mov_b32_e32 v53, v12
	;; [unrolled: 1-line block ×7, first 2 shown]
	s_waitcnt vmcnt(0) lgkmcnt(0)
	ds_write2st64_b64 v16, v[24:25], v[26:27] offset1:4
	ds_write2st64_b64 v16, v[28:29], v[30:31] offset0:8 offset1:12
	ds_write2st64_b64 v16, v[32:33], v[34:35] offset0:16 offset1:20
	;; [unrolled: 1-line block ×6, first 2 shown]
	ds_write_b64 v16, v[72:73] offset:28672
	s_waitcnt lgkmcnt(0)
	s_barrier
	s_load_dwordx2 s[54:55], s[4:5], 0x80
	s_add_i32 s33, s33, s48
	s_cbranch_execz .LBB1005_3
	s_branch .LBB1005_64
.LBB1005_2:
                                        ; implicit-def: $vgpr1
                                        ; implicit-def: $vgpr2
                                        ; implicit-def: $vgpr4
                                        ; implicit-def: $vgpr6
                                        ; implicit-def: $vgpr8
                                        ; implicit-def: $vgpr10
                                        ; implicit-def: $vgpr12
                                        ; implicit-def: $vgpr14
                                        ; implicit-def: $vgpr55
                                        ; implicit-def: $vgpr57
                                        ; implicit-def: $vgpr56
                                        ; implicit-def: $vgpr60
                                        ; implicit-def: $vgpr58
                                        ; implicit-def: $vgpr61
                                        ; implicit-def: $vgpr59
                                        ; implicit-def: $vgpr64
                                        ; implicit-def: $vgpr62
                                        ; implicit-def: $vgpr65
                                        ; implicit-def: $vgpr63
                                        ; implicit-def: $vgpr67
                                        ; implicit-def: $vgpr66
                                        ; implicit-def: $vgpr68
                                        ; implicit-def: $vgpr54
                                        ; implicit-def: $vgpr46_vgpr47
                                        ; implicit-def: $vgpr48_vgpr49
                                        ; implicit-def: $vgpr52_vgpr53
                                        ; implicit-def: $vgpr50_vgpr51
	s_load_dwordx2 s[54:55], s[4:5], 0x80
	s_andn2_b64 vcc, exec, s[0:1]
	s_add_i32 s33, s33, s48
	s_cbranch_vccnz .LBB1005_64
.LBB1005_3:
	v_cmp_gt_u32_e32 vcc, s33, v0
                                        ; implicit-def: $vgpr1
	s_and_saveexec_b64 s[2:3], vcc
	s_cbranch_execz .LBB1005_5
; %bb.4:
	v_lshlrev_b32_e32 v1, 2, v0
	v_mov_b32_e32 v3, s60
	v_add_co_u32_e64 v2, s[0:1], s7, v1
	v_addc_co_u32_e64 v3, s[0:1], 0, v3, s[0:1]
	flat_load_dword v1, v[2:3]
.LBB1005_5:
	s_or_b64 exec, exec, s[2:3]
	v_or_b32_e32 v2, 0x100, v0
	v_cmp_gt_u32_e64 s[0:1], s33, v2
                                        ; implicit-def: $vgpr2
	s_and_saveexec_b64 s[8:9], s[0:1]
	s_cbranch_execz .LBB1005_7
; %bb.6:
	v_lshlrev_b32_e32 v2, 2, v0
	v_mov_b32_e32 v3, s60
	v_add_co_u32_e64 v2, s[2:3], s7, v2
	v_addc_co_u32_e64 v3, s[2:3], 0, v3, s[2:3]
	flat_load_dword v2, v[2:3] offset:1024
.LBB1005_7:
	s_or_b64 exec, exec, s[8:9]
	v_or_b32_e32 v22, 0x200, v0
	v_cmp_gt_u32_e64 s[2:3], s33, v22
                                        ; implicit-def: $vgpr3
	s_and_saveexec_b64 s[10:11], s[2:3]
	s_cbranch_execz .LBB1005_9
; %bb.8:
	v_lshlrev_b32_e32 v3, 2, v0
	v_mov_b32_e32 v5, s60
	v_add_co_u32_e64 v4, s[8:9], s7, v3
	v_addc_co_u32_e64 v5, s[8:9], 0, v5, s[8:9]
	flat_load_dword v3, v[4:5] offset:2048
.LBB1005_9:
	s_or_b64 exec, exec, s[10:11]
	v_or_b32_e32 v24, 0x300, v0
	v_cmp_gt_u32_e64 s[30:31], s33, v24
                                        ; implicit-def: $vgpr4
	s_and_saveexec_b64 s[10:11], s[30:31]
	s_cbranch_execz .LBB1005_11
; %bb.10:
	v_lshlrev_b32_e32 v4, 2, v0
	v_mov_b32_e32 v5, s60
	v_add_co_u32_e64 v4, s[8:9], s7, v4
	v_addc_co_u32_e64 v5, s[8:9], 0, v5, s[8:9]
	flat_load_dword v4, v[4:5] offset:3072
.LBB1005_11:
	s_or_b64 exec, exec, s[10:11]
	v_or_b32_e32 v26, 0x400, v0
	v_cmp_gt_u32_e64 s[8:9], s33, v26
                                        ; implicit-def: $vgpr5
	s_and_saveexec_b64 s[12:13], s[8:9]
	s_cbranch_execz .LBB1005_13
; %bb.12:
	v_lshlrev_b32_e32 v5, 2, v26
	v_mov_b32_e32 v7, s60
	v_add_co_u32_e64 v6, s[10:11], s7, v5
	v_addc_co_u32_e64 v7, s[10:11], 0, v7, s[10:11]
	flat_load_dword v5, v[6:7]
.LBB1005_13:
	s_or_b64 exec, exec, s[12:13]
	v_or_b32_e32 v28, 0x500, v0
	v_cmp_gt_u32_e64 s[10:11], s33, v28
                                        ; implicit-def: $vgpr6
	s_and_saveexec_b64 s[14:15], s[10:11]
	s_cbranch_execz .LBB1005_15
; %bb.14:
	v_lshlrev_b32_e32 v6, 2, v28
	v_mov_b32_e32 v7, s60
	v_add_co_u32_e64 v6, s[12:13], s7, v6
	v_addc_co_u32_e64 v7, s[12:13], 0, v7, s[12:13]
	flat_load_dword v6, v[6:7]
.LBB1005_15:
	s_or_b64 exec, exec, s[14:15]
	v_or_b32_e32 v30, 0x600, v0
	v_cmp_gt_u32_e64 s[12:13], s33, v30
                                        ; implicit-def: $vgpr7
	s_and_saveexec_b64 s[16:17], s[12:13]
	s_cbranch_execz .LBB1005_17
; %bb.16:
	v_lshlrev_b32_e32 v7, 2, v30
	v_mov_b32_e32 v9, s60
	v_add_co_u32_e64 v8, s[14:15], s7, v7
	v_addc_co_u32_e64 v9, s[14:15], 0, v9, s[14:15]
	flat_load_dword v7, v[8:9]
.LBB1005_17:
	s_or_b64 exec, exec, s[16:17]
	v_or_b32_e32 v32, 0x700, v0
	v_cmp_gt_u32_e64 s[14:15], s33, v32
                                        ; implicit-def: $vgpr8
	s_and_saveexec_b64 s[18:19], s[14:15]
	s_cbranch_execz .LBB1005_19
; %bb.18:
	v_lshlrev_b32_e32 v8, 2, v32
	v_mov_b32_e32 v9, s60
	v_add_co_u32_e64 v8, s[16:17], s7, v8
	v_addc_co_u32_e64 v9, s[16:17], 0, v9, s[16:17]
	flat_load_dword v8, v[8:9]
.LBB1005_19:
	s_or_b64 exec, exec, s[18:19]
	v_or_b32_e32 v34, 0x800, v0
	v_cmp_gt_u32_e64 s[16:17], s33, v34
                                        ; implicit-def: $vgpr9
	s_and_saveexec_b64 s[20:21], s[16:17]
	s_cbranch_execz .LBB1005_21
; %bb.20:
	v_lshlrev_b32_e32 v9, 2, v34
	v_mov_b32_e32 v11, s60
	v_add_co_u32_e64 v10, s[18:19], s7, v9
	v_addc_co_u32_e64 v11, s[18:19], 0, v11, s[18:19]
	flat_load_dword v9, v[10:11]
.LBB1005_21:
	s_or_b64 exec, exec, s[20:21]
	v_or_b32_e32 v36, 0x900, v0
	v_cmp_gt_u32_e64 s[18:19], s33, v36
                                        ; implicit-def: $vgpr10
	s_and_saveexec_b64 s[22:23], s[18:19]
	s_cbranch_execz .LBB1005_23
; %bb.22:
	v_lshlrev_b32_e32 v10, 2, v36
	v_mov_b32_e32 v11, s60
	v_add_co_u32_e64 v10, s[20:21], s7, v10
	v_addc_co_u32_e64 v11, s[20:21], 0, v11, s[20:21]
	flat_load_dword v10, v[10:11]
.LBB1005_23:
	s_or_b64 exec, exec, s[22:23]
	v_or_b32_e32 v38, 0xa00, v0
	v_cmp_gt_u32_e64 s[20:21], s33, v38
                                        ; implicit-def: $vgpr11
	s_and_saveexec_b64 s[24:25], s[20:21]
	s_cbranch_execz .LBB1005_25
; %bb.24:
	v_lshlrev_b32_e32 v11, 2, v38
	v_mov_b32_e32 v13, s60
	v_add_co_u32_e64 v12, s[22:23], s7, v11
	v_addc_co_u32_e64 v13, s[22:23], 0, v13, s[22:23]
	flat_load_dword v11, v[12:13]
.LBB1005_25:
	s_or_b64 exec, exec, s[24:25]
	v_or_b32_e32 v40, 0xb00, v0
	v_cmp_gt_u32_e64 s[22:23], s33, v40
                                        ; implicit-def: $vgpr12
	s_and_saveexec_b64 s[26:27], s[22:23]
	s_cbranch_execz .LBB1005_27
; %bb.26:
	v_lshlrev_b32_e32 v12, 2, v40
	v_mov_b32_e32 v13, s60
	v_add_co_u32_e64 v12, s[24:25], s7, v12
	v_addc_co_u32_e64 v13, s[24:25], 0, v13, s[24:25]
	flat_load_dword v12, v[12:13]
.LBB1005_27:
	s_or_b64 exec, exec, s[26:27]
	v_or_b32_e32 v42, 0xc00, v0
	v_cmp_gt_u32_e64 s[24:25], s33, v42
                                        ; implicit-def: $vgpr13
	s_and_saveexec_b64 s[28:29], s[24:25]
	s_cbranch_execz .LBB1005_29
; %bb.28:
	v_lshlrev_b32_e32 v13, 2, v42
	v_mov_b32_e32 v15, s60
	v_add_co_u32_e64 v14, s[26:27], s7, v13
	v_addc_co_u32_e64 v15, s[26:27], 0, v15, s[26:27]
	flat_load_dword v13, v[14:15]
.LBB1005_29:
	s_or_b64 exec, exec, s[28:29]
	v_or_b32_e32 v44, 0xd00, v0
	v_cmp_gt_u32_e64 s[26:27], s33, v44
                                        ; implicit-def: $vgpr14
	s_and_saveexec_b64 s[34:35], s[26:27]
	s_cbranch_execz .LBB1005_31
; %bb.30:
	v_lshlrev_b32_e32 v14, 2, v44
	v_mov_b32_e32 v15, s60
	v_add_co_u32_e64 v14, s[28:29], s7, v14
	v_addc_co_u32_e64 v15, s[28:29], 0, v15, s[28:29]
	flat_load_dword v14, v[14:15]
.LBB1005_31:
	s_or_b64 exec, exec, s[34:35]
	v_or_b32_e32 v47, 0xe00, v0
	v_cmp_gt_u32_e64 s[28:29], s33, v47
                                        ; implicit-def: $vgpr15
	s_and_saveexec_b64 s[44:45], s[28:29]
	s_cbranch_execz .LBB1005_33
; %bb.32:
	v_lshlrev_b32_e32 v15, 2, v47
	v_mov_b32_e32 v17, s60
	v_add_co_u32_e64 v16, s[34:35], s7, v15
	v_addc_co_u32_e64 v17, s[34:35], 0, v17, s[34:35]
	flat_load_dword v15, v[16:17]
.LBB1005_33:
	s_or_b64 exec, exec, s[44:45]
	v_lshlrev_b32_e32 v16, 2, v0
	v_mad_u32_u24 v46, v0, 56, v16
	s_waitcnt vmcnt(0) lgkmcnt(0)
	ds_write2st64_b32 v16, v1, v2 offset1:4
	ds_write2st64_b32 v16, v3, v4 offset0:8 offset1:12
	ds_write2st64_b32 v16, v5, v6 offset0:16 offset1:20
	;; [unrolled: 1-line block ×6, first 2 shown]
	ds_write_b32 v16, v15 offset:14336
	s_waitcnt lgkmcnt(0)
	s_barrier
	ds_read2_b32 v[14:15], v46 offset1:1
	ds_read2_b32 v[12:13], v46 offset0:2 offset1:3
	ds_read2_b32 v[10:11], v46 offset0:4 offset1:5
	ds_read2_b32 v[8:9], v46 offset0:6 offset1:7
	ds_read2_b32 v[6:7], v46 offset0:8 offset1:9
	ds_read2_b32 v[4:5], v46 offset0:10 offset1:11
	ds_read2_b32 v[2:3], v46 offset0:12 offset1:13
	ds_read_b32 v1, v46 offset:56
	s_waitcnt lgkmcnt(0)
	s_barrier
	s_waitcnt lgkmcnt(0)
                                        ; implicit-def: $vgpr16_vgpr17
	s_and_saveexec_b64 s[34:35], vcc
	s_cbranch_execz .LBB1005_47
; %bb.34:
	v_lshlrev_b32_e32 v16, 3, v0
	v_mov_b32_e32 v17, s62
	v_add_co_u32_e32 v16, vcc, s61, v16
	v_addc_co_u32_e32 v17, vcc, 0, v17, vcc
	flat_load_dwordx2 v[16:17], v[16:17]
	s_or_b64 exec, exec, s[34:35]
                                        ; implicit-def: $vgpr18_vgpr19
	s_and_saveexec_b64 s[34:35], s[0:1]
	s_cbranch_execnz .LBB1005_48
.LBB1005_35:
	s_or_b64 exec, exec, s[34:35]
                                        ; implicit-def: $vgpr20_vgpr21
	s_and_saveexec_b64 s[0:1], s[2:3]
	s_cbranch_execz .LBB1005_49
.LBB1005_36:
	v_lshlrev_b32_e32 v20, 3, v22
	v_mov_b32_e32 v21, s62
	v_add_co_u32_e32 v20, vcc, s61, v20
	v_addc_co_u32_e32 v21, vcc, 0, v21, vcc
	flat_load_dwordx2 v[20:21], v[20:21]
	s_or_b64 exec, exec, s[0:1]
                                        ; implicit-def: $vgpr22_vgpr23
	s_and_saveexec_b64 s[0:1], s[30:31]
	s_cbranch_execnz .LBB1005_50
.LBB1005_37:
	s_or_b64 exec, exec, s[0:1]
                                        ; implicit-def: $vgpr24_vgpr25
	s_and_saveexec_b64 s[0:1], s[8:9]
	s_cbranch_execz .LBB1005_51
.LBB1005_38:
	v_lshlrev_b32_e32 v24, 3, v26
	v_mov_b32_e32 v25, s62
	v_add_co_u32_e32 v24, vcc, s61, v24
	v_addc_co_u32_e32 v25, vcc, 0, v25, vcc
	flat_load_dwordx2 v[24:25], v[24:25]
	s_or_b64 exec, exec, s[0:1]
                                        ; implicit-def: $vgpr26_vgpr27
	s_and_saveexec_b64 s[0:1], s[10:11]
	s_cbranch_execnz .LBB1005_52
.LBB1005_39:
	s_or_b64 exec, exec, s[0:1]
                                        ; implicit-def: $vgpr28_vgpr29
	s_and_saveexec_b64 s[0:1], s[12:13]
	s_cbranch_execz .LBB1005_53
.LBB1005_40:
	v_lshlrev_b32_e32 v28, 3, v30
	v_mov_b32_e32 v29, s62
	v_add_co_u32_e32 v28, vcc, s61, v28
	v_addc_co_u32_e32 v29, vcc, 0, v29, vcc
	flat_load_dwordx2 v[28:29], v[28:29]
	s_or_b64 exec, exec, s[0:1]
                                        ; implicit-def: $vgpr30_vgpr31
	s_and_saveexec_b64 s[0:1], s[14:15]
	s_cbranch_execnz .LBB1005_54
.LBB1005_41:
	s_or_b64 exec, exec, s[0:1]
                                        ; implicit-def: $vgpr32_vgpr33
	s_and_saveexec_b64 s[0:1], s[16:17]
	s_cbranch_execz .LBB1005_55
.LBB1005_42:
	v_lshlrev_b32_e32 v32, 3, v34
	v_mov_b32_e32 v33, s62
	v_add_co_u32_e32 v32, vcc, s61, v32
	v_addc_co_u32_e32 v33, vcc, 0, v33, vcc
	flat_load_dwordx2 v[32:33], v[32:33]
	s_or_b64 exec, exec, s[0:1]
                                        ; implicit-def: $vgpr34_vgpr35
	s_and_saveexec_b64 s[0:1], s[18:19]
	s_cbranch_execnz .LBB1005_56
.LBB1005_43:
	s_or_b64 exec, exec, s[0:1]
                                        ; implicit-def: $vgpr36_vgpr37
	s_and_saveexec_b64 s[0:1], s[20:21]
	s_cbranch_execz .LBB1005_57
.LBB1005_44:
	v_lshlrev_b32_e32 v36, 3, v38
	v_mov_b32_e32 v37, s62
	v_add_co_u32_e32 v36, vcc, s61, v36
	v_addc_co_u32_e32 v37, vcc, 0, v37, vcc
	flat_load_dwordx2 v[36:37], v[36:37]
	s_or_b64 exec, exec, s[0:1]
                                        ; implicit-def: $vgpr38_vgpr39
	s_and_saveexec_b64 s[0:1], s[22:23]
	s_cbranch_execnz .LBB1005_58
.LBB1005_45:
	s_or_b64 exec, exec, s[0:1]
                                        ; implicit-def: $vgpr40_vgpr41
	s_and_saveexec_b64 s[0:1], s[24:25]
	s_cbranch_execz .LBB1005_59
.LBB1005_46:
	v_lshlrev_b32_e32 v40, 3, v42
	v_mov_b32_e32 v41, s62
	v_add_co_u32_e32 v40, vcc, s61, v40
	v_addc_co_u32_e32 v41, vcc, 0, v41, vcc
	flat_load_dwordx2 v[40:41], v[40:41]
	s_or_b64 exec, exec, s[0:1]
                                        ; implicit-def: $vgpr42_vgpr43
	s_and_saveexec_b64 s[0:1], s[26:27]
	s_cbranch_execz .LBB1005_61
	s_branch .LBB1005_60
.LBB1005_47:
	s_or_b64 exec, exec, s[34:35]
                                        ; implicit-def: $vgpr18_vgpr19
	s_and_saveexec_b64 s[34:35], s[0:1]
	s_cbranch_execz .LBB1005_35
.LBB1005_48:
	v_lshlrev_b32_e32 v18, 3, v0
	v_mov_b32_e32 v19, s62
	v_add_co_u32_e32 v18, vcc, s61, v18
	v_addc_co_u32_e32 v19, vcc, 0, v19, vcc
	flat_load_dwordx2 v[18:19], v[18:19] offset:2048
	s_or_b64 exec, exec, s[34:35]
                                        ; implicit-def: $vgpr20_vgpr21
	s_and_saveexec_b64 s[0:1], s[2:3]
	s_cbranch_execnz .LBB1005_36
.LBB1005_49:
	s_or_b64 exec, exec, s[0:1]
                                        ; implicit-def: $vgpr22_vgpr23
	s_and_saveexec_b64 s[0:1], s[30:31]
	s_cbranch_execz .LBB1005_37
.LBB1005_50:
	v_lshlrev_b32_e32 v22, 3, v24
	v_mov_b32_e32 v23, s62
	v_add_co_u32_e32 v22, vcc, s61, v22
	v_addc_co_u32_e32 v23, vcc, 0, v23, vcc
	flat_load_dwordx2 v[22:23], v[22:23]
	s_or_b64 exec, exec, s[0:1]
                                        ; implicit-def: $vgpr24_vgpr25
	s_and_saveexec_b64 s[0:1], s[8:9]
	s_cbranch_execnz .LBB1005_38
.LBB1005_51:
	s_or_b64 exec, exec, s[0:1]
                                        ; implicit-def: $vgpr26_vgpr27
	s_and_saveexec_b64 s[0:1], s[10:11]
	s_cbranch_execz .LBB1005_39
.LBB1005_52:
	v_lshlrev_b32_e32 v26, 3, v28
	v_mov_b32_e32 v27, s62
	v_add_co_u32_e32 v26, vcc, s61, v26
	v_addc_co_u32_e32 v27, vcc, 0, v27, vcc
	flat_load_dwordx2 v[26:27], v[26:27]
	s_or_b64 exec, exec, s[0:1]
                                        ; implicit-def: $vgpr28_vgpr29
	s_and_saveexec_b64 s[0:1], s[12:13]
	s_cbranch_execnz .LBB1005_40
.LBB1005_53:
	s_or_b64 exec, exec, s[0:1]
                                        ; implicit-def: $vgpr30_vgpr31
	s_and_saveexec_b64 s[0:1], s[14:15]
	s_cbranch_execz .LBB1005_41
.LBB1005_54:
	v_lshlrev_b32_e32 v30, 3, v32
	v_mov_b32_e32 v31, s62
	v_add_co_u32_e32 v30, vcc, s61, v30
	v_addc_co_u32_e32 v31, vcc, 0, v31, vcc
	flat_load_dwordx2 v[30:31], v[30:31]
	s_or_b64 exec, exec, s[0:1]
                                        ; implicit-def: $vgpr32_vgpr33
	s_and_saveexec_b64 s[0:1], s[16:17]
	s_cbranch_execnz .LBB1005_42
.LBB1005_55:
	s_or_b64 exec, exec, s[0:1]
                                        ; implicit-def: $vgpr34_vgpr35
	s_and_saveexec_b64 s[0:1], s[18:19]
	s_cbranch_execz .LBB1005_43
.LBB1005_56:
	v_lshlrev_b32_e32 v34, 3, v36
	v_mov_b32_e32 v35, s62
	v_add_co_u32_e32 v34, vcc, s61, v34
	v_addc_co_u32_e32 v35, vcc, 0, v35, vcc
	flat_load_dwordx2 v[34:35], v[34:35]
	s_or_b64 exec, exec, s[0:1]
                                        ; implicit-def: $vgpr36_vgpr37
	s_and_saveexec_b64 s[0:1], s[20:21]
	s_cbranch_execnz .LBB1005_44
.LBB1005_57:
	s_or_b64 exec, exec, s[0:1]
                                        ; implicit-def: $vgpr38_vgpr39
	s_and_saveexec_b64 s[0:1], s[22:23]
	s_cbranch_execz .LBB1005_45
.LBB1005_58:
	v_lshlrev_b32_e32 v38, 3, v40
	v_mov_b32_e32 v39, s62
	v_add_co_u32_e32 v38, vcc, s61, v38
	v_addc_co_u32_e32 v39, vcc, 0, v39, vcc
	flat_load_dwordx2 v[38:39], v[38:39]
	s_or_b64 exec, exec, s[0:1]
                                        ; implicit-def: $vgpr40_vgpr41
	s_and_saveexec_b64 s[0:1], s[24:25]
	s_cbranch_execnz .LBB1005_46
.LBB1005_59:
	s_or_b64 exec, exec, s[0:1]
                                        ; implicit-def: $vgpr42_vgpr43
	s_and_saveexec_b64 s[0:1], s[26:27]
	s_cbranch_execz .LBB1005_61
.LBB1005_60:
	v_lshlrev_b32_e32 v42, 3, v44
	v_mov_b32_e32 v43, s62
	v_add_co_u32_e32 v42, vcc, s61, v42
	v_addc_co_u32_e32 v43, vcc, 0, v43, vcc
	flat_load_dwordx2 v[42:43], v[42:43]
.LBB1005_61:
	s_or_b64 exec, exec, s[0:1]
	v_mul_u32_u24_e32 v54, 15, v0
                                        ; implicit-def: $vgpr44_vgpr45
	s_and_saveexec_b64 s[0:1], s[28:29]
	s_cbranch_execz .LBB1005_63
; %bb.62:
	v_lshlrev_b32_e32 v44, 3, v47
	v_mov_b32_e32 v45, s62
	v_add_co_u32_e32 v44, vcc, s61, v44
	v_addc_co_u32_e32 v45, vcc, 0, v45, vcc
	flat_load_dwordx2 v[44:45], v[44:45]
.LBB1005_63:
	s_or_b64 exec, exec, s[0:1]
	s_movk_i32 s0, 0xffcc
	v_mad_i32_i24 v46, v0, s0, v46
	v_add_u32_e32 v68, 1, v54
	v_add_u32_e32 v66, 2, v54
	;; [unrolled: 1-line block ×14, first 2 shown]
	s_waitcnt vmcnt(0) lgkmcnt(0)
	ds_write2st64_b64 v46, v[16:17], v[18:19] offset1:4
	ds_write2st64_b64 v46, v[20:21], v[22:23] offset0:8 offset1:12
	ds_write2st64_b64 v46, v[24:25], v[26:27] offset0:16 offset1:20
	;; [unrolled: 1-line block ×6, first 2 shown]
	ds_write_b64 v46, v[44:45] offset:28672
	v_mov_b32_e32 v52, v14
	v_mov_b32_e32 v53, v12
	;; [unrolled: 1-line block ×7, first 2 shown]
	s_waitcnt lgkmcnt(0)
	s_barrier
.LBB1005_64:
	v_lshlrev_b32_e32 v16, 3, v54
	v_lshlrev_b32_e32 v17, 3, v68
	s_waitcnt lgkmcnt(0)
	v_lshlrev_b32_e32 v18, 3, v66
	v_lshlrev_b32_e32 v19, 3, v67
	ds_read_b64 v[42:43], v16
	ds_read_b64 v[40:41], v17
	ds_read_b64 v[38:39], v18
	ds_read_b64 v[34:35], v19
	v_lshlrev_b32_e32 v16, 3, v63
	v_lshlrev_b32_e32 v17, 3, v65
	v_lshlrev_b32_e32 v18, 3, v62
	v_lshlrev_b32_e32 v19, 3, v64
	ds_read_b64 v[36:37], v16
	ds_read_b64 v[32:33], v17
	ds_read_b64 v[30:31], v18
	ds_read_b64 v[26:27], v19
	v_lshlrev_b32_e32 v16, 3, v59
	v_lshlrev_b32_e32 v17, 3, v61
	;; [unrolled: 8-line block ×3, first 2 shown]
	v_lshlrev_b32_e32 v44, 3, v55
	ds_read_b64 v[18:19], v16
	ds_read_b64 v[16:17], v17
	ds_read_b64 v[44:45], v44
	s_load_dwordx4 s[44:47], s[4:5], 0x28
	s_cmp_eq_u64 s[56:57], 0
	s_cselect_b64 s[30:31], -1, 0
	s_cmp_lg_u64 s[56:57], 0
	s_mov_b64 s[2:3], 0
	s_cselect_b64 s[4:5], -1, 0
	s_and_b64 vcc, exec, s[58:59]
	s_waitcnt lgkmcnt(0)
	s_barrier
	s_cbranch_vccz .LBB1005_70
; %bb.65:
	s_and_b64 vcc, exec, s[4:5]
	s_cbranch_vccz .LBB1005_191
; %bb.66:
	v_mov_b32_e32 v51, s60
	v_add_co_u32_e64 v54, vcc, -4, s7
	v_addc_co_u32_e32 v55, vcc, -1, v51, vcc
	flat_load_dword v51, v[54:55]
	v_lshlrev_b32_e32 v54, 2, v0
	v_cmp_ne_u32_e32 vcc, 0, v0
	ds_write_b32 v54, v1
	s_waitcnt lgkmcnt(0)
	s_barrier
	s_and_saveexec_b64 s[0:1], vcc
	s_cbranch_execz .LBB1005_68
; %bb.67:
	s_waitcnt vmcnt(0)
	v_add_u32_e32 v51, -4, v54
	ds_read_b32 v51, v51
.LBB1005_68:
	s_or_b64 exec, exec, s[0:1]
	v_cmp_ne_u32_e32 vcc, v52, v15
	v_cndmask_b32_e64 v95, 0, 1, vcc
	v_cmp_ne_u32_e32 vcc, v53, v15
	v_cndmask_b32_e64 v94, 0, 1, vcc
	v_cmp_ne_u32_e32 vcc, v53, v13
	v_cndmask_b32_e64 v93, 0, 1, vcc
	v_cmp_ne_u32_e32 vcc, v48, v13
	v_cndmask_b32_e64 v92, 0, 1, vcc
	v_cmp_ne_u32_e32 vcc, v48, v11
	v_cndmask_b32_e64 v91, 0, 1, vcc
	v_cmp_ne_u32_e32 vcc, v49, v11
	v_cndmask_b32_e64 v90, 0, 1, vcc
	v_cmp_ne_u32_e32 vcc, v49, v9
	v_cndmask_b32_e64 v89, 0, 1, vcc
	v_cmp_ne_u32_e32 vcc, v46, v9
	v_cndmask_b32_e64 v88, 0, 1, vcc
	v_cmp_ne_u32_e32 vcc, v46, v7
	v_cndmask_b32_e64 v87, 0, 1, vcc
	v_cmp_ne_u32_e32 vcc, v47, v7
	v_cndmask_b32_e64 v86, 0, 1, vcc
	v_cmp_ne_u32_e32 vcc, v47, v5
	v_cndmask_b32_e64 v85, 0, 1, vcc
	v_cmp_ne_u32_e32 vcc, v50, v5
	v_cndmask_b32_e64 v84, 0, 1, vcc
	v_cmp_ne_u32_e32 vcc, v50, v3
	v_cndmask_b32_e64 v83, 0, 1, vcc
	v_cmp_ne_u32_e32 vcc, v1, v3
	v_cndmask_b32_e64 v82, 0, 1, vcc
	s_waitcnt vmcnt(0) lgkmcnt(0)
	v_cmp_ne_u32_e64 s[0:1], v51, v14
	s_mov_b64 s[2:3], -1
.LBB1005_69:
                                        ; implicit-def: $sgpr10
	s_branch .LBB1005_71
.LBB1005_70:
                                        ; implicit-def: $sgpr0_sgpr1
                                        ; implicit-def: $vgpr82
                                        ; implicit-def: $vgpr83
                                        ; implicit-def: $vgpr84
                                        ; implicit-def: $vgpr85
                                        ; implicit-def: $vgpr86
                                        ; implicit-def: $vgpr87
                                        ; implicit-def: $vgpr88
                                        ; implicit-def: $vgpr89
                                        ; implicit-def: $vgpr90
                                        ; implicit-def: $vgpr91
                                        ; implicit-def: $vgpr92
                                        ; implicit-def: $vgpr93
                                        ; implicit-def: $vgpr94
                                        ; implicit-def: $vgpr95
                                        ; implicit-def: $sgpr10
	s_cbranch_execnz .LBB1005_195
.LBB1005_71:
	v_mov_b32_e32 v96, s10
	s_and_saveexec_b64 s[4:5], s[2:3]
.LBB1005_72:
	v_cndmask_b32_e64 v96, 0, 1, s[0:1]
.LBB1005_73:
	s_or_b64 exec, exec, s[4:5]
	s_cmp_eq_u64 s[42:43], 0
	v_add3_u32 v46, v95, v96, v94
	s_cselect_b64 s[34:35], -1, 0
	s_cmp_lg_u32 s6, 0
	v_cmp_eq_u32_e64 s[24:25], 0, v95
	v_cmp_eq_u32_e64 s[22:23], 0, v94
	;; [unrolled: 1-line block ×3, first 2 shown]
	v_add3_u32 v98, v46, v93, v92
	v_cmp_eq_u32_e64 s[18:19], 0, v92
	v_cmp_eq_u32_e64 s[16:17], 0, v91
	;; [unrolled: 1-line block ×10, first 2 shown]
	v_cmp_eq_u32_e32 vcc, 0, v82
	v_mbcnt_lo_u32_b32 v97, -1, 0
	s_cbranch_scc0 .LBB1005_144
; %bb.74:
	v_cndmask_b32_e64 v47, 0, v42, s[24:25]
	v_cndmask_b32_e64 v46, 0, v43, s[24:25]
	v_add_co_u32_e64 v47, s[26:27], v47, v40
	v_addc_co_u32_e64 v46, s[26:27], v46, v41, s[26:27]
	v_cndmask_b32_e64 v47, 0, v47, s[22:23]
	v_cndmask_b32_e64 v46, 0, v46, s[22:23]
	v_add_co_u32_e64 v47, s[26:27], v47, v38
	v_addc_co_u32_e64 v46, s[26:27], v46, v39, s[26:27]
	;; [unrolled: 4-line block ×11, first 2 shown]
	v_cndmask_b32_e64 v47, 0, v47, s[2:3]
	v_add3_u32 v48, v98, v91, v90
	v_cndmask_b32_e64 v46, 0, v46, s[2:3]
	v_add_co_u32_e64 v47, s[26:27], v47, v18
	v_add3_u32 v48, v48, v89, v88
	v_addc_co_u32_e64 v46, s[26:27], v46, v19, s[26:27]
	v_cndmask_b32_e64 v47, 0, v47, s[0:1]
	v_add3_u32 v48, v48, v87, v86
	v_cndmask_b32_e64 v46, 0, v46, s[0:1]
	v_add_co_u32_e64 v47, s[26:27], v47, v16
	v_add3_u32 v48, v48, v85, v84
	v_addc_co_u32_e64 v46, s[26:27], v46, v17, s[26:27]
	v_cndmask_b32_e32 v47, 0, v47, vcc
	v_add3_u32 v50, v48, v83, v82
	v_cndmask_b32_e32 v46, 0, v46, vcc
	v_add_co_u32_e32 v48, vcc, v47, v44
	v_mbcnt_hi_u32_b32 v51, -1, v97
	v_addc_co_u32_e32 v49, vcc, v46, v45, vcc
	v_and_b32_e32 v46, 15, v51
	v_mov_b32_dpp v52, v50 row_shr:1 row_mask:0xf bank_mask:0xf
	v_mov_b32_dpp v47, v48 row_shr:1 row_mask:0xf bank_mask:0xf
	;; [unrolled: 1-line block ×3, first 2 shown]
	v_cmp_ne_u32_e32 vcc, 0, v46
	s_and_saveexec_b64 s[26:27], vcc
; %bb.75:
	v_cmp_eq_u32_e32 vcc, 0, v50
	v_cndmask_b32_e32 v47, 0, v47, vcc
	v_add_u32_e32 v52, v52, v50
	v_cndmask_b32_e32 v50, 0, v53, vcc
	v_add_co_u32_e32 v48, vcc, v47, v48
	v_addc_co_u32_e32 v49, vcc, v50, v49, vcc
	v_mov_b32_e32 v50, v52
; %bb.76:
	s_or_b64 exec, exec, s[26:27]
	s_nop 0
	v_mov_b32_dpp v52, v50 row_shr:2 row_mask:0xf bank_mask:0xf
	v_mov_b32_dpp v47, v48 row_shr:2 row_mask:0xf bank_mask:0xf
	v_mov_b32_dpp v53, v49 row_shr:2 row_mask:0xf bank_mask:0xf
	v_cmp_lt_u32_e32 vcc, 1, v46
	s_and_saveexec_b64 s[26:27], vcc
; %bb.77:
	v_cmp_eq_u32_e32 vcc, 0, v50
	v_cndmask_b32_e32 v47, 0, v47, vcc
	v_add_u32_e32 v52, v52, v50
	v_cndmask_b32_e32 v50, 0, v53, vcc
	v_add_co_u32_e32 v48, vcc, v47, v48
	v_addc_co_u32_e32 v49, vcc, v50, v49, vcc
	v_mov_b32_e32 v50, v52
; %bb.78:
	s_or_b64 exec, exec, s[26:27]
	s_nop 0
	v_mov_b32_dpp v52, v50 row_shr:4 row_mask:0xf bank_mask:0xf
	v_mov_b32_dpp v47, v48 row_shr:4 row_mask:0xf bank_mask:0xf
	v_mov_b32_dpp v53, v49 row_shr:4 row_mask:0xf bank_mask:0xf
	v_cmp_lt_u32_e32 vcc, 3, v46
	;; [unrolled: 16-line block ×3, first 2 shown]
	s_and_saveexec_b64 s[26:27], vcc
; %bb.81:
	v_cmp_eq_u32_e32 vcc, 0, v50
	v_cndmask_b32_e32 v47, 0, v47, vcc
	v_add_u32_e32 v46, v52, v50
	v_cndmask_b32_e32 v50, 0, v53, vcc
	v_add_co_u32_e32 v48, vcc, v47, v48
	v_addc_co_u32_e32 v49, vcc, v50, v49, vcc
	v_mov_b32_e32 v50, v46
; %bb.82:
	s_or_b64 exec, exec, s[26:27]
	v_and_b32_e32 v53, 16, v51
	v_mov_b32_dpp v47, v50 row_bcast:15 row_mask:0xf bank_mask:0xf
	v_mov_b32_dpp v46, v48 row_bcast:15 row_mask:0xf bank_mask:0xf
	;; [unrolled: 1-line block ×3, first 2 shown]
	v_cmp_ne_u32_e32 vcc, 0, v53
	s_and_saveexec_b64 s[26:27], vcc
; %bb.83:
	v_cmp_eq_u32_e32 vcc, 0, v50
	v_cndmask_b32_e32 v46, 0, v46, vcc
	v_add_u32_e32 v47, v47, v50
	v_cndmask_b32_e32 v50, 0, v52, vcc
	v_add_co_u32_e32 v48, vcc, v46, v48
	v_addc_co_u32_e32 v49, vcc, v50, v49, vcc
	v_mov_b32_e32 v50, v47
; %bb.84:
	s_or_b64 exec, exec, s[26:27]
	s_nop 0
	v_mov_b32_dpp v47, v50 row_bcast:31 row_mask:0xf bank_mask:0xf
	v_mov_b32_dpp v46, v48 row_bcast:31 row_mask:0xf bank_mask:0xf
	;; [unrolled: 1-line block ×3, first 2 shown]
	v_cmp_lt_u32_e32 vcc, 31, v51
	s_and_saveexec_b64 s[26:27], vcc
; %bb.85:
	v_cmp_eq_u32_e32 vcc, 0, v50
	v_cndmask_b32_e32 v46, 0, v46, vcc
	v_add_u32_e32 v47, v47, v50
	v_cndmask_b32_e32 v50, 0, v52, vcc
	v_add_co_u32_e32 v48, vcc, v46, v48
	v_addc_co_u32_e32 v49, vcc, v50, v49, vcc
	v_mov_b32_e32 v50, v47
; %bb.86:
	s_or_b64 exec, exec, s[26:27]
	v_lshrrev_b32_e32 v46, 6, v0
	v_or_b32_e32 v47, 63, v0
	v_cmp_eq_u32_e32 vcc, v47, v0
	v_lshlrev_b32_e32 v52, 4, v46
	s_and_saveexec_b64 s[26:27], vcc
	s_cbranch_execz .LBB1005_88
; %bb.87:
	ds_write_b32 v52, v50 offset:2080
	ds_write_b64 v52, v[48:49] offset:2088
.LBB1005_88:
	s_or_b64 exec, exec, s[26:27]
	v_cmp_gt_u32_e32 vcc, 4, v0
	s_waitcnt lgkmcnt(0)
	s_barrier
	s_and_saveexec_b64 s[26:27], vcc
	s_cbranch_execz .LBB1005_94
; %bb.89:
	v_lshlrev_b32_e32 v53, 4, v0
	ds_read_b32 v54, v53 offset:2080
	ds_read_b64 v[46:47], v53 offset:2088
	v_and_b32_e32 v55, 3, v51
	v_cmp_ne_u32_e32 vcc, 0, v55
	s_waitcnt lgkmcnt(1)
	v_mov_b32_dpp v57, v54 row_shr:1 row_mask:0xf bank_mask:0xf
	s_waitcnt lgkmcnt(0)
	v_mov_b32_dpp v56, v46 row_shr:1 row_mask:0xf bank_mask:0xf
	v_mov_b32_dpp v58, v47 row_shr:1 row_mask:0xf bank_mask:0xf
	s_and_saveexec_b64 s[42:43], vcc
; %bb.90:
	v_cmp_eq_u32_e32 vcc, 0, v54
	v_cndmask_b32_e32 v56, 0, v56, vcc
	v_add_u32_e32 v57, v57, v54
	v_cndmask_b32_e32 v54, 0, v58, vcc
	v_add_co_u32_e32 v46, vcc, v56, v46
	v_addc_co_u32_e32 v47, vcc, v54, v47, vcc
	v_mov_b32_e32 v54, v57
; %bb.91:
	s_or_b64 exec, exec, s[42:43]
	s_nop 0
	v_mov_b32_dpp v57, v54 row_shr:2 row_mask:0xf bank_mask:0xf
	v_mov_b32_dpp v56, v46 row_shr:2 row_mask:0xf bank_mask:0xf
	;; [unrolled: 1-line block ×3, first 2 shown]
	v_cmp_lt_u32_e32 vcc, 1, v55
	s_and_saveexec_b64 s[42:43], vcc
; %bb.92:
	v_cmp_eq_u32_e32 vcc, 0, v54
	v_cndmask_b32_e32 v56, 0, v56, vcc
	v_add_u32_e32 v55, v57, v54
	v_cndmask_b32_e32 v54, 0, v58, vcc
	v_add_co_u32_e32 v46, vcc, v56, v46
	v_addc_co_u32_e32 v47, vcc, v54, v47, vcc
	v_mov_b32_e32 v54, v55
; %bb.93:
	s_or_b64 exec, exec, s[42:43]
	ds_write_b32 v53, v54 offset:2080
	ds_write_b64 v53, v[46:47] offset:2088
.LBB1005_94:
	s_or_b64 exec, exec, s[26:27]
	v_cmp_gt_u32_e32 vcc, 64, v0
	v_cmp_lt_u32_e64 s[26:27], 63, v0
	v_pk_mov_b32 v[46:47], 0, 0
	v_mov_b32_e32 v58, 0
	s_waitcnt lgkmcnt(0)
	s_barrier
	s_and_saveexec_b64 s[42:43], s[26:27]
	s_cbranch_execz .LBB1005_96
; %bb.95:
	ds_read_b32 v58, v52 offset:2064
	ds_read_b64 v[46:47], v52 offset:2072
	v_cmp_eq_u32_e64 s[26:27], 0, v50
	s_waitcnt lgkmcnt(1)
	v_add_u32_e32 v52, v58, v50
	s_waitcnt lgkmcnt(0)
	v_cndmask_b32_e64 v53, 0, v46, s[26:27]
	v_cndmask_b32_e64 v50, 0, v47, s[26:27]
	v_add_co_u32_e64 v48, s[26:27], v53, v48
	v_addc_co_u32_e64 v49, s[26:27], v50, v49, s[26:27]
	v_mov_b32_e32 v50, v52
.LBB1005_96:
	s_or_b64 exec, exec, s[42:43]
	v_add_u32_e32 v52, -1, v51
	v_and_b32_e32 v53, 64, v51
	v_cmp_lt_i32_e64 s[26:27], v52, v53
	v_cndmask_b32_e64 v52, v52, v51, s[26:27]
	v_lshlrev_b32_e32 v52, 2, v52
	ds_bpermute_b32 v59, v52, v50
	ds_bpermute_b32 v60, v52, v48
	ds_bpermute_b32 v61, v52, v49
	v_cmp_eq_u32_e64 s[26:27], 0, v51
	s_and_saveexec_b64 s[42:43], vcc
	s_cbranch_execz .LBB1005_143
; %bb.97:
	v_mov_b32_e32 v53, 0
	ds_read_b32 v62, v53 offset:2128
	ds_read_b64 v[48:49], v53 offset:2136
	s_and_saveexec_b64 s[48:49], s[26:27]
	s_cbranch_execz .LBB1005_99
; %bb.98:
	s_add_i32 s56, s6, 64
	s_mov_b32 s57, 0
	s_lshl_b64 s[58:59], s[56:57], 4
	s_add_u32 s58, s36, s58
	s_addc_u32 s59, s37, s59
	v_mov_b32_e32 v50, s56
	v_mov_b32_e32 v52, 1
	s_waitcnt lgkmcnt(1)
	global_store_dword v53, v62, s[58:59]
	s_waitcnt lgkmcnt(0)
	global_store_dwordx2 v53, v[48:49], s[58:59] offset:8
	s_waitcnt vmcnt(0)
	buffer_wbinvl1_vol
	global_store_byte v50, v52, s[40:41]
.LBB1005_99:
	s_or_b64 exec, exec, s[48:49]
	v_xad_u32 v50, v51, -1, s6
	v_add_u32_e32 v52, 64, v50
	global_load_ubyte v63, v52, s[40:41] glc
	s_waitcnt vmcnt(0)
	v_cmp_eq_u16_e32 vcc, 0, v63
	s_and_saveexec_b64 s[48:49], vcc
	s_cbranch_execz .LBB1005_105
; %bb.100:
	v_mov_b32_e32 v55, s41
	v_add_co_u32_e32 v54, vcc, s40, v52
	v_addc_co_u32_e32 v55, vcc, 0, v55, vcc
	s_mov_b32 s7, 1
	s_mov_b64 s[56:57], 0
.LBB1005_101:                           ; =>This Loop Header: Depth=1
                                        ;     Child Loop BB1005_102 Depth 2
	s_max_u32 s58, s7, 1
.LBB1005_102:                           ;   Parent Loop BB1005_101 Depth=1
                                        ; =>  This Inner Loop Header: Depth=2
	s_add_i32 s58, s58, -1
	s_cmp_eq_u32 s58, 0
	s_sleep 1
	s_cbranch_scc0 .LBB1005_102
; %bb.103:                              ;   in Loop: Header=BB1005_101 Depth=1
	global_load_ubyte v63, v[54:55], off glc
	s_cmp_lt_u32 s7, 32
	s_cselect_b64 s[58:59], -1, 0
	s_cmp_lg_u64 s[58:59], 0
	s_addc_u32 s7, s7, 0
	s_waitcnt vmcnt(0)
	v_cmp_ne_u16_e32 vcc, 0, v63
	s_or_b64 s[56:57], vcc, s[56:57]
	s_andn2_b64 exec, exec, s[56:57]
	s_cbranch_execnz .LBB1005_101
; %bb.104:
	s_or_b64 exec, exec, s[56:57]
.LBB1005_105:
	s_or_b64 exec, exec, s[48:49]
	v_mov_b32_e32 v54, s39
	v_mov_b32_e32 v55, s37
	v_cmp_eq_u16_e32 vcc, 1, v63
	v_cndmask_b32_e32 v54, v54, v55, vcc
	v_mov_b32_e32 v55, s38
	v_mov_b32_e32 v56, s36
	v_cndmask_b32_e32 v55, v55, v56, vcc
	v_lshlrev_b64 v[52:53], 4, v[52:53]
	v_add_co_u32_e32 v52, vcc, v55, v52
	v_addc_co_u32_e32 v53, vcc, v54, v53, vcc
	s_waitcnt lgkmcnt(0)
	buffer_wbinvl1_vol
	global_load_dword v78, v[52:53], off
	global_load_dwordx2 v[56:57], v[52:53], off offset:8
	v_cmp_eq_u16_e32 vcc, 2, v63
	v_lshlrev_b64 v[52:53], v51, -1
	v_and_b32_e32 v64, 63, v51
	v_and_b32_e32 v54, vcc_hi, v53
	v_and_b32_e32 v68, vcc_lo, v52
	v_cmp_ne_u32_e32 vcc, 63, v64
	v_addc_co_u32_e32 v55, vcc, 0, v51, vcc
	v_lshlrev_b32_e32 v65, 2, v55
	v_or_b32_e32 v54, 0x80000000, v54
	v_ffbl_b32_e32 v54, v54
	v_add_u32_e32 v54, 32, v54
	v_ffbl_b32_e32 v68, v68
	v_min_u32_e32 v54, v68, v54
	v_cmp_lt_u32_e32 vcc, v64, v54
	s_waitcnt vmcnt(1)
	ds_bpermute_b32 v66, v65, v78
	s_waitcnt vmcnt(0)
	ds_bpermute_b32 v55, v65, v56
	ds_bpermute_b32 v67, v65, v57
	s_and_saveexec_b64 s[48:49], vcc
	s_cbranch_execz .LBB1005_107
; %bb.106:
	v_cmp_eq_u32_e32 vcc, 0, v78
	s_waitcnt lgkmcnt(1)
	v_cndmask_b32_e32 v55, 0, v55, vcc
	v_add_u32_e32 v66, v66, v78
	s_waitcnt lgkmcnt(0)
	v_cndmask_b32_e32 v67, 0, v67, vcc
	v_add_co_u32_e32 v56, vcc, v55, v56
	v_addc_co_u32_e32 v57, vcc, v67, v57, vcc
	v_mov_b32_e32 v78, v66
.LBB1005_107:
	s_or_b64 exec, exec, s[48:49]
	v_cmp_gt_u32_e32 vcc, 62, v64
	s_waitcnt lgkmcnt(1)
	v_cndmask_b32_e64 v55, 0, 1, vcc
	v_lshlrev_b32_e32 v55, 1, v55
	v_add_lshl_u32 v66, v55, v51, 2
	ds_bpermute_b32 v68, v66, v78
	ds_bpermute_b32 v55, v66, v56
	ds_bpermute_b32 v69, v66, v57
	s_waitcnt lgkmcnt(3)
	v_add_u32_e32 v67, 2, v64
	v_cmp_le_u32_e32 vcc, v67, v54
	s_and_saveexec_b64 s[48:49], vcc
	s_cbranch_execz .LBB1005_109
; %bb.108:
	v_cmp_eq_u32_e32 vcc, 0, v78
	s_waitcnt lgkmcnt(1)
	v_cndmask_b32_e32 v55, 0, v55, vcc
	v_add_u32_e32 v68, v68, v78
	s_waitcnt lgkmcnt(0)
	v_cndmask_b32_e32 v69, 0, v69, vcc
	v_add_co_u32_e32 v56, vcc, v55, v56
	v_addc_co_u32_e32 v57, vcc, v69, v57, vcc
	v_mov_b32_e32 v78, v68
.LBB1005_109:
	s_or_b64 exec, exec, s[48:49]
	v_cmp_gt_u32_e32 vcc, 60, v64
	s_waitcnt lgkmcnt(1)
	v_cndmask_b32_e64 v55, 0, 1, vcc
	v_lshlrev_b32_e32 v55, 2, v55
	v_add_lshl_u32 v68, v55, v51, 2
	ds_bpermute_b32 v70, v68, v78
	ds_bpermute_b32 v55, v68, v56
	ds_bpermute_b32 v71, v68, v57
	s_waitcnt lgkmcnt(3)
	v_add_u32_e32 v69, 4, v64
	v_cmp_le_u32_e32 vcc, v69, v54
	;; [unrolled: 25-line block ×4, first 2 shown]
	s_and_saveexec_b64 s[48:49], vcc
	s_cbranch_execz .LBB1005_115
; %bb.114:
	v_cmp_eq_u32_e32 vcc, 0, v78
	s_waitcnt lgkmcnt(1)
	v_cndmask_b32_e32 v55, 0, v55, vcc
	v_add_u32_e32 v74, v74, v78
	s_waitcnt lgkmcnt(0)
	v_cndmask_b32_e32 v75, 0, v75, vcc
	v_add_co_u32_e32 v56, vcc, v55, v56
	v_addc_co_u32_e32 v57, vcc, v75, v57, vcc
	v_mov_b32_e32 v78, v74
.LBB1005_115:
	s_or_b64 exec, exec, s[48:49]
	v_cmp_gt_u32_e32 vcc, 32, v64
	s_waitcnt lgkmcnt(1)
	v_cndmask_b32_e64 v55, 0, 1, vcc
	v_lshlrev_b32_e32 v55, 5, v55
	v_add_lshl_u32 v74, v55, v51, 2
	ds_bpermute_b32 v55, v74, v78
	ds_bpermute_b32 v51, v74, v56
	s_waitcnt lgkmcnt(2)
	ds_bpermute_b32 v75, v74, v57
	v_add_u32_e32 v76, 32, v64
	v_cmp_le_u32_e32 vcc, v76, v54
	s_and_saveexec_b64 s[48:49], vcc
	s_cbranch_execz .LBB1005_117
; %bb.116:
	v_cmp_eq_u32_e32 vcc, 0, v78
	s_waitcnt lgkmcnt(1)
	v_cndmask_b32_e32 v51, 0, v51, vcc
	v_add_u32_e32 v54, v55, v78
	s_waitcnt lgkmcnt(0)
	v_cndmask_b32_e32 v55, 0, v75, vcc
	v_add_co_u32_e32 v56, vcc, v51, v56
	v_addc_co_u32_e32 v57, vcc, v55, v57, vcc
	v_mov_b32_e32 v78, v54
.LBB1005_117:
	s_or_b64 exec, exec, s[48:49]
	s_waitcnt lgkmcnt(1)
	v_mov_b32_e32 v51, 0
	v_mov_b32_e32 v77, 2
	s_branch .LBB1005_119
.LBB1005_118:                           ;   in Loop: Header=BB1005_119 Depth=1
	s_or_b64 exec, exec, s[48:49]
	v_cmp_eq_u32_e32 vcc, 0, v75
	v_cndmask_b32_e32 v56, 0, v56, vcc
	v_cndmask_b32_e32 v57, 0, v57, vcc
	v_add_co_u32_e32 v56, vcc, v56, v54
	v_subrev_u32_e32 v50, 64, v50
	v_add_u32_e32 v78, v79, v75
	v_addc_co_u32_e32 v57, vcc, v57, v55, vcc
.LBB1005_119:                           ; =>This Loop Header: Depth=1
                                        ;     Child Loop BB1005_122 Depth 2
                                        ;       Child Loop BB1005_123 Depth 3
	v_cmp_ne_u16_sdwa s[48:49], v63, v77 src0_sel:BYTE_0 src1_sel:DWORD
	v_pk_mov_b32 v[54:55], v[56:57], v[56:57] op_sel:[0,1]
	v_cndmask_b32_e64 v56, 0, 1, s[48:49]
	;;#ASMSTART
	;;#ASMEND
	v_cmp_ne_u32_e32 vcc, 0, v56
	s_cmp_lg_u64 vcc, exec
	s_waitcnt lgkmcnt(0)
	v_mov_b32_e32 v75, v78
	s_cbranch_scc1 .LBB1005_138
; %bb.120:                              ;   in Loop: Header=BB1005_119 Depth=1
	global_load_ubyte v63, v50, s[40:41] glc
	s_waitcnt vmcnt(0)
	v_cmp_eq_u16_e32 vcc, 0, v63
	s_and_saveexec_b64 s[48:49], vcc
	s_cbranch_execz .LBB1005_126
; %bb.121:                              ;   in Loop: Header=BB1005_119 Depth=1
	v_mov_b32_e32 v57, s41
	v_add_co_u32_e32 v56, vcc, s40, v50
	v_addc_co_u32_e32 v57, vcc, 0, v57, vcc
	s_mov_b32 s7, 1
	s_mov_b64 s[56:57], 0
.LBB1005_122:                           ;   Parent Loop BB1005_119 Depth=1
                                        ; =>  This Loop Header: Depth=2
                                        ;       Child Loop BB1005_123 Depth 3
	s_max_u32 s58, s7, 1
.LBB1005_123:                           ;   Parent Loop BB1005_119 Depth=1
                                        ;     Parent Loop BB1005_122 Depth=2
                                        ; =>    This Inner Loop Header: Depth=3
	s_add_i32 s58, s58, -1
	s_cmp_eq_u32 s58, 0
	s_sleep 1
	s_cbranch_scc0 .LBB1005_123
; %bb.124:                              ;   in Loop: Header=BB1005_122 Depth=2
	global_load_ubyte v63, v[56:57], off glc
	s_cmp_lt_u32 s7, 32
	s_cselect_b64 s[58:59], -1, 0
	s_cmp_lg_u64 s[58:59], 0
	s_addc_u32 s7, s7, 0
	s_waitcnt vmcnt(0)
	v_cmp_ne_u16_e32 vcc, 0, v63
	s_or_b64 s[56:57], vcc, s[56:57]
	s_andn2_b64 exec, exec, s[56:57]
	s_cbranch_execnz .LBB1005_122
; %bb.125:                              ;   in Loop: Header=BB1005_119 Depth=1
	s_or_b64 exec, exec, s[56:57]
.LBB1005_126:                           ;   in Loop: Header=BB1005_119 Depth=1
	s_or_b64 exec, exec, s[48:49]
	v_mov_b32_e32 v56, s39
	v_mov_b32_e32 v57, s37
	v_cmp_eq_u16_e32 vcc, 1, v63
	v_cndmask_b32_e32 v78, v56, v57, vcc
	v_mov_b32_e32 v56, s38
	v_mov_b32_e32 v57, s36
	v_cndmask_b32_e32 v79, v56, v57, vcc
	v_lshlrev_b64 v[56:57], 4, v[50:51]
	v_add_co_u32_e32 v56, vcc, v79, v56
	v_addc_co_u32_e32 v57, vcc, v78, v57, vcc
	buffer_wbinvl1_vol
	global_load_dword v79, v[56:57], off
	s_nop 0
	global_load_dwordx2 v[56:57], v[56:57], off offset:8
	v_cmp_eq_u16_e32 vcc, 2, v63
	v_and_b32_e32 v78, vcc_hi, v53
	v_or_b32_e32 v78, 0x80000000, v78
	v_and_b32_e32 v100, vcc_lo, v52
	v_ffbl_b32_e32 v78, v78
	v_add_u32_e32 v78, 32, v78
	v_ffbl_b32_e32 v100, v100
	v_min_u32_e32 v78, v100, v78
	v_cmp_lt_u32_e32 vcc, v64, v78
	s_waitcnt vmcnt(1)
	ds_bpermute_b32 v81, v65, v79
	s_waitcnt vmcnt(0)
	ds_bpermute_b32 v80, v65, v56
	ds_bpermute_b32 v99, v65, v57
	s_and_saveexec_b64 s[48:49], vcc
	s_cbranch_execz .LBB1005_128
; %bb.127:                              ;   in Loop: Header=BB1005_119 Depth=1
	v_cmp_eq_u32_e32 vcc, 0, v79
	s_waitcnt lgkmcnt(1)
	v_cndmask_b32_e32 v80, 0, v80, vcc
	v_add_u32_e32 v81, v81, v79
	s_waitcnt lgkmcnt(0)
	v_cndmask_b32_e32 v79, 0, v99, vcc
	v_add_co_u32_e32 v56, vcc, v80, v56
	v_addc_co_u32_e32 v57, vcc, v79, v57, vcc
	v_mov_b32_e32 v79, v81
.LBB1005_128:                           ;   in Loop: Header=BB1005_119 Depth=1
	s_or_b64 exec, exec, s[48:49]
	s_waitcnt lgkmcnt(2)
	ds_bpermute_b32 v81, v66, v79
	s_waitcnt lgkmcnt(2)
	ds_bpermute_b32 v80, v66, v56
	s_waitcnt lgkmcnt(2)
	ds_bpermute_b32 v99, v66, v57
	v_cmp_le_u32_e32 vcc, v67, v78
	s_and_saveexec_b64 s[48:49], vcc
	s_cbranch_execz .LBB1005_130
; %bb.129:                              ;   in Loop: Header=BB1005_119 Depth=1
	v_cmp_eq_u32_e32 vcc, 0, v79
	s_waitcnt lgkmcnt(1)
	v_cndmask_b32_e32 v80, 0, v80, vcc
	v_add_u32_e32 v81, v81, v79
	s_waitcnt lgkmcnt(0)
	v_cndmask_b32_e32 v79, 0, v99, vcc
	v_add_co_u32_e32 v56, vcc, v80, v56
	v_addc_co_u32_e32 v57, vcc, v79, v57, vcc
	v_mov_b32_e32 v79, v81
.LBB1005_130:                           ;   in Loop: Header=BB1005_119 Depth=1
	s_or_b64 exec, exec, s[48:49]
	s_waitcnt lgkmcnt(2)
	ds_bpermute_b32 v81, v68, v79
	s_waitcnt lgkmcnt(2)
	ds_bpermute_b32 v80, v68, v56
	s_waitcnt lgkmcnt(2)
	ds_bpermute_b32 v99, v68, v57
	v_cmp_le_u32_e32 vcc, v69, v78
	;; [unrolled: 21-line block ×5, first 2 shown]
	s_and_saveexec_b64 s[48:49], vcc
	s_cbranch_execz .LBB1005_118
; %bb.137:                              ;   in Loop: Header=BB1005_119 Depth=1
	v_cmp_eq_u32_e32 vcc, 0, v79
	s_waitcnt lgkmcnt(1)
	v_cndmask_b32_e32 v80, 0, v80, vcc
	v_add_u32_e32 v78, v81, v79
	s_waitcnt lgkmcnt(0)
	v_cndmask_b32_e32 v79, 0, v99, vcc
	v_add_co_u32_e32 v56, vcc, v80, v56
	v_addc_co_u32_e32 v57, vcc, v79, v57, vcc
	v_mov_b32_e32 v79, v78
	s_branch .LBB1005_118
.LBB1005_138:                           ;   in Loop: Header=BB1005_119 Depth=1
                                        ; implicit-def: $vgpr56_vgpr57
                                        ; implicit-def: $vgpr78
                                        ; implicit-def: $vgpr63
	s_cbranch_execz .LBB1005_119
; %bb.139:
	s_and_saveexec_b64 s[36:37], s[26:27]
	s_cbranch_execz .LBB1005_141
; %bb.140:
	s_mov_b32 s7, 0
	v_cmp_eq_u32_e32 vcc, 0, v62
	s_add_i32 s6, s6, 64
	v_cndmask_b32_e32 v50, 0, v54, vcc
	s_lshl_b64 s[48:49], s[6:7], 4
	v_cndmask_b32_e32 v51, 0, v55, vcc
	v_add_co_u32_e32 v50, vcc, v50, v48
	s_add_u32 s48, s38, s48
	v_add_u32_e32 v52, v75, v62
	v_addc_co_u32_e32 v51, vcc, v51, v49, vcc
	s_addc_u32 s49, s39, s49
	v_mov_b32_e32 v53, 0
	global_store_dword v53, v52, s[48:49]
	global_store_dwordx2 v53, v[50:51], s[48:49] offset:8
	v_mov_b32_e32 v50, s6
	v_mov_b32_e32 v51, 2
	s_waitcnt vmcnt(0) lgkmcnt(0)
	buffer_wbinvl1_vol
	global_store_byte v50, v51, s[40:41]
	ds_write_b32 v53, v62 offset:2048
	ds_write_b64 v53, v[48:49] offset:2056
	ds_write_b32 v53, v75 offset:2064
	ds_write_b64 v53, v[54:55] offset:2072
.LBB1005_141:
	s_or_b64 exec, exec, s[36:37]
	v_cmp_eq_u32_e32 vcc, 0, v0
	s_and_b64 exec, exec, vcc
	s_cbranch_execz .LBB1005_143
; %bb.142:
	v_mov_b32_e32 v48, 0
	ds_write_b32 v48, v75 offset:2128
	ds_write_b64 v48, v[54:55] offset:2136
.LBB1005_143:
	s_or_b64 exec, exec, s[42:43]
	v_mov_b32_e32 v51, 0
	s_waitcnt lgkmcnt(0)
	s_barrier
	ds_read_b32 v50, v51 offset:2128
	ds_read_b64 v[48:49], v51 offset:2136
	v_cndmask_b32_e64 v52, v59, v58, s[26:27]
	v_cmp_eq_u32_e32 vcc, 0, v52
	v_cndmask_b32_e64 v46, v60, v46, s[26:27]
	v_cndmask_b32_e64 v47, v61, v47, s[26:27]
	s_waitcnt lgkmcnt(0)
	v_cndmask_b32_e32 v54, 0, v48, vcc
	v_cndmask_b32_e32 v53, 0, v49, vcc
	v_add_co_u32_e32 v46, vcc, v54, v46
	v_addc_co_u32_e32 v47, vcc, v53, v47, vcc
	v_cmp_eq_u32_e32 vcc, 0, v0
	v_cndmask_b32_e64 v52, v52, 0, vcc
	v_cndmask_b32_e32 v77, v47, v49, vcc
	v_cndmask_b32_e32 v76, v46, v48, vcc
	v_cmp_eq_u32_e32 vcc, 0, v96
	v_cndmask_b32_e32 v47, 0, v76, vcc
	v_add_u32_e32 v99, v50, v52
	v_cndmask_b32_e32 v46, 0, v77, vcc
	v_add_co_u32_e32 v52, vcc, v47, v42
	v_addc_co_u32_e32 v53, vcc, v46, v43, vcc
	v_cndmask_b32_e64 v47, 0, v52, s[24:25]
	v_cndmask_b32_e64 v46, 0, v53, s[24:25]
	v_add_co_u32_e32 v54, vcc, v47, v40
	v_addc_co_u32_e32 v55, vcc, v46, v41, vcc
	v_cndmask_b32_e64 v47, 0, v54, s[22:23]
	v_cndmask_b32_e64 v46, 0, v55, s[22:23]
	;; [unrolled: 4-line block ×11, first 2 shown]
	v_add_co_u32_e32 v74, vcc, v47, v20
	v_addc_co_u32_e32 v75, vcc, v46, v21, vcc
	s_barrier
	ds_read_b32 v46, v51 offset:2048
	ds_read_b64 v[48:49], v51 offset:2056
	ds_read_b32 v50, v51 offset:2064
	ds_read_b64 v[100:101], v51 offset:2072
	v_cndmask_b32_e64 v78, 0, v74, s[2:3]
	v_cndmask_b32_e64 v47, 0, v75, s[2:3]
	v_add_co_u32_e32 v78, vcc, v78, v18
	v_addc_co_u32_e32 v79, vcc, v47, v19, vcc
	s_waitcnt lgkmcnt(3)
	v_cmp_eq_u32_e32 vcc, 0, v46
	s_waitcnt lgkmcnt(0)
	v_cndmask_b32_e32 v51, 0, v100, vcc
	v_cndmask_b32_e32 v47, 0, v101, vcc
	v_add_co_u32_e32 v48, vcc, v51, v48
	v_cndmask_b32_e64 v81, 0, v79, s[0:1]
	v_cndmask_b32_e64 v80, 0, v78, s[0:1]
	v_addc_co_u32_e32 v49, vcc, v47, v49, vcc
	s_branch .LBB1005_172
.LBB1005_144:
                                        ; implicit-def: $vgpr46
                                        ; implicit-def: $vgpr48_vgpr49
                                        ; implicit-def: $vgpr50
                                        ; implicit-def: $vgpr76_vgpr77
                                        ; implicit-def: $vgpr52_vgpr53
                                        ; implicit-def: $vgpr54_vgpr55
                                        ; implicit-def: $vgpr56_vgpr57
                                        ; implicit-def: $vgpr58_vgpr59
                                        ; implicit-def: $vgpr60_vgpr61
                                        ; implicit-def: $vgpr62_vgpr63
                                        ; implicit-def: $vgpr64_vgpr65
                                        ; implicit-def: $vgpr66_vgpr67
                                        ; implicit-def: $vgpr68_vgpr69
                                        ; implicit-def: $vgpr70_vgpr71
                                        ; implicit-def: $vgpr72_vgpr73
                                        ; implicit-def: $vgpr74_vgpr75
                                        ; implicit-def: $vgpr78_vgpr79
                                        ; implicit-def: $vgpr80_vgpr81
                                        ; implicit-def: $vgpr99
	s_cbranch_execz .LBB1005_172
; %bb.145:
	s_and_b64 s[0:1], s[34:35], exec
	s_cselect_b32 s1, 0, s55
	s_cselect_b32 s0, 0, s54
	s_cmp_eq_u64 s[0:1], 0
	v_pk_mov_b32 v[50:51], v[42:43], v[42:43] op_sel:[0,1]
	s_cbranch_scc1 .LBB1005_147
; %bb.146:
	v_mov_b32_e32 v46, 0
	global_load_dwordx2 v[50:51], v46, s[0:1]
.LBB1005_147:
	v_cmp_eq_u32_e64 s[22:23], 0, v95
	v_cndmask_b32_e64 v47, 0, v42, s[22:23]
	v_cndmask_b32_e64 v46, 0, v43, s[22:23]
	v_add_co_u32_e32 v47, vcc, v47, v40
	v_cmp_eq_u32_e64 s[20:21], 0, v94
	v_addc_co_u32_e32 v46, vcc, v46, v41, vcc
	v_cndmask_b32_e64 v47, 0, v47, s[20:21]
	v_cndmask_b32_e64 v46, 0, v46, s[20:21]
	v_add_co_u32_e32 v47, vcc, v47, v38
	v_cmp_eq_u32_e64 s[18:19], 0, v93
	v_addc_co_u32_e32 v46, vcc, v46, v39, vcc
	v_cndmask_b32_e64 v47, 0, v47, s[18:19]
	v_cndmask_b32_e64 v46, 0, v46, s[18:19]
	v_add_co_u32_e32 v47, vcc, v47, v34
	v_cmp_eq_u32_e64 s[16:17], 0, v92
	v_addc_co_u32_e32 v46, vcc, v46, v35, vcc
	v_cndmask_b32_e64 v47, 0, v47, s[16:17]
	v_cndmask_b32_e64 v46, 0, v46, s[16:17]
	v_add_co_u32_e32 v47, vcc, v47, v36
	v_cmp_eq_u32_e64 s[12:13], 0, v91
	v_addc_co_u32_e32 v46, vcc, v46, v37, vcc
	v_cndmask_b32_e64 v47, 0, v47, s[12:13]
	v_cndmask_b32_e64 v46, 0, v46, s[12:13]
	v_add_co_u32_e32 v47, vcc, v47, v32
	v_cmp_eq_u32_e64 s[14:15], 0, v90
	v_addc_co_u32_e32 v46, vcc, v46, v33, vcc
	v_cndmask_b32_e64 v47, 0, v47, s[14:15]
	v_cndmask_b32_e64 v46, 0, v46, s[14:15]
	v_add_co_u32_e32 v47, vcc, v47, v30
	v_cmp_eq_u32_e64 s[8:9], 0, v89
	v_addc_co_u32_e32 v46, vcc, v46, v31, vcc
	v_cndmask_b32_e64 v47, 0, v47, s[8:9]
	v_cndmask_b32_e64 v46, 0, v46, s[8:9]
	v_add_co_u32_e32 v47, vcc, v47, v26
	v_cmp_eq_u32_e64 s[10:11], 0, v88
	v_addc_co_u32_e32 v46, vcc, v46, v27, vcc
	v_cndmask_b32_e64 v47, 0, v47, s[10:11]
	v_cndmask_b32_e64 v46, 0, v46, s[10:11]
	v_add_co_u32_e32 v47, vcc, v47, v28
	v_cmp_eq_u32_e64 s[4:5], 0, v87
	v_addc_co_u32_e32 v46, vcc, v46, v29, vcc
	v_cndmask_b32_e64 v47, 0, v47, s[4:5]
	v_cndmask_b32_e64 v46, 0, v46, s[4:5]
	v_add_co_u32_e32 v47, vcc, v47, v24
	v_cmp_eq_u32_e64 s[6:7], 0, v86
	v_addc_co_u32_e32 v46, vcc, v46, v25, vcc
	v_cndmask_b32_e64 v47, 0, v47, s[6:7]
	v_cndmask_b32_e64 v46, 0, v46, s[6:7]
	v_add_co_u32_e32 v47, vcc, v47, v22
	v_cmp_eq_u32_e64 s[0:1], 0, v85
	v_addc_co_u32_e32 v46, vcc, v46, v23, vcc
	v_cndmask_b32_e64 v47, 0, v47, s[0:1]
	v_cndmask_b32_e64 v46, 0, v46, s[0:1]
	v_add_co_u32_e32 v47, vcc, v47, v20
	v_cmp_eq_u32_e64 s[2:3], 0, v84
	v_addc_co_u32_e32 v46, vcc, v46, v21, vcc
	v_cndmask_b32_e64 v47, 0, v47, s[2:3]
	v_cndmask_b32_e64 v46, 0, v46, s[2:3]
	v_add_co_u32_e32 v47, vcc, v47, v18
	v_addc_co_u32_e32 v46, vcc, v46, v19, vcc
	v_cmp_eq_u32_e32 vcc, 0, v83
	v_cndmask_b32_e32 v47, 0, v47, vcc
	v_add3_u32 v48, v98, v91, v90
	v_cndmask_b32_e32 v46, 0, v46, vcc
	v_add_co_u32_e64 v47, s[24:25], v47, v16
	v_add3_u32 v48, v48, v89, v88
	v_addc_co_u32_e64 v46, s[24:25], v46, v17, s[24:25]
	v_add3_u32 v48, v48, v87, v86
	v_cmp_eq_u32_e64 s[24:25], 0, v82
	v_add3_u32 v48, v48, v85, v84
	v_cndmask_b32_e64 v47, 0, v47, s[24:25]
	v_add3_u32 v49, v48, v83, v82
	v_cndmask_b32_e64 v46, 0, v46, s[24:25]
	v_add_co_u32_e64 v44, s[24:25], v47, v44
	v_mbcnt_hi_u32_b32 v48, -1, v97
	v_addc_co_u32_e64 v45, s[24:25], v46, v45, s[24:25]
	v_and_b32_e32 v46, 15, v48
	v_mov_b32_dpp v52, v49 row_shr:1 row_mask:0xf bank_mask:0xf
	v_mov_b32_dpp v47, v44 row_shr:1 row_mask:0xf bank_mask:0xf
	;; [unrolled: 1-line block ×3, first 2 shown]
	v_cmp_ne_u32_e64 s[24:25], 0, v46
	s_and_saveexec_b64 s[26:27], s[24:25]
; %bb.148:
	v_cmp_eq_u32_e64 s[24:25], 0, v49
	v_cndmask_b32_e64 v47, 0, v47, s[24:25]
	v_add_u32_e32 v52, v52, v49
	v_cndmask_b32_e64 v49, 0, v53, s[24:25]
	v_add_co_u32_e64 v44, s[24:25], v47, v44
	v_addc_co_u32_e64 v45, s[24:25], v49, v45, s[24:25]
	v_mov_b32_e32 v49, v52
; %bb.149:
	s_or_b64 exec, exec, s[26:27]
	s_nop 0
	v_mov_b32_dpp v52, v49 row_shr:2 row_mask:0xf bank_mask:0xf
	v_mov_b32_dpp v47, v44 row_shr:2 row_mask:0xf bank_mask:0xf
	v_mov_b32_dpp v53, v45 row_shr:2 row_mask:0xf bank_mask:0xf
	v_cmp_lt_u32_e64 s[24:25], 1, v46
	s_and_saveexec_b64 s[26:27], s[24:25]
; %bb.150:
	v_cmp_eq_u32_e64 s[24:25], 0, v49
	v_cndmask_b32_e64 v47, 0, v47, s[24:25]
	v_add_u32_e32 v52, v52, v49
	v_cndmask_b32_e64 v49, 0, v53, s[24:25]
	v_add_co_u32_e64 v44, s[24:25], v47, v44
	v_addc_co_u32_e64 v45, s[24:25], v49, v45, s[24:25]
	v_mov_b32_e32 v49, v52
; %bb.151:
	s_or_b64 exec, exec, s[26:27]
	s_nop 0
	v_mov_b32_dpp v52, v49 row_shr:4 row_mask:0xf bank_mask:0xf
	v_mov_b32_dpp v47, v44 row_shr:4 row_mask:0xf bank_mask:0xf
	v_mov_b32_dpp v53, v45 row_shr:4 row_mask:0xf bank_mask:0xf
	v_cmp_lt_u32_e64 s[24:25], 3, v46
	;; [unrolled: 16-line block ×3, first 2 shown]
	s_and_saveexec_b64 s[26:27], s[24:25]
; %bb.154:
	v_cmp_eq_u32_e64 s[24:25], 0, v49
	v_cndmask_b32_e64 v47, 0, v47, s[24:25]
	v_add_u32_e32 v46, v52, v49
	v_cndmask_b32_e64 v49, 0, v53, s[24:25]
	v_add_co_u32_e64 v44, s[24:25], v47, v44
	v_addc_co_u32_e64 v45, s[24:25], v49, v45, s[24:25]
	v_mov_b32_e32 v49, v46
; %bb.155:
	s_or_b64 exec, exec, s[26:27]
	v_and_b32_e32 v53, 16, v48
	v_mov_b32_dpp v47, v49 row_bcast:15 row_mask:0xf bank_mask:0xf
	v_mov_b32_dpp v46, v44 row_bcast:15 row_mask:0xf bank_mask:0xf
	;; [unrolled: 1-line block ×3, first 2 shown]
	v_cmp_ne_u32_e64 s[24:25], 0, v53
	s_and_saveexec_b64 s[26:27], s[24:25]
; %bb.156:
	v_cmp_eq_u32_e64 s[24:25], 0, v49
	v_cndmask_b32_e64 v46, 0, v46, s[24:25]
	v_add_u32_e32 v47, v47, v49
	v_cndmask_b32_e64 v49, 0, v52, s[24:25]
	v_add_co_u32_e64 v44, s[24:25], v46, v44
	v_addc_co_u32_e64 v45, s[24:25], v49, v45, s[24:25]
	v_mov_b32_e32 v49, v47
; %bb.157:
	s_or_b64 exec, exec, s[26:27]
	s_nop 0
	v_mov_b32_dpp v47, v49 row_bcast:31 row_mask:0xf bank_mask:0xf
	v_mov_b32_dpp v46, v44 row_bcast:31 row_mask:0xf bank_mask:0xf
	;; [unrolled: 1-line block ×3, first 2 shown]
	v_cmp_lt_u32_e64 s[24:25], 31, v48
	s_and_saveexec_b64 s[26:27], s[24:25]
; %bb.158:
	v_cmp_eq_u32_e64 s[24:25], 0, v49
	v_cndmask_b32_e64 v46, 0, v46, s[24:25]
	v_add_u32_e32 v47, v47, v49
	v_cndmask_b32_e64 v49, 0, v52, s[24:25]
	v_add_co_u32_e64 v44, s[24:25], v46, v44
	v_addc_co_u32_e64 v45, s[24:25], v49, v45, s[24:25]
	v_mov_b32_e32 v49, v47
; %bb.159:
	s_or_b64 exec, exec, s[26:27]
	v_or_b32_e32 v46, 63, v0
	v_lshrrev_b32_e32 v52, 6, v0
	v_cmp_eq_u32_e64 s[24:25], v46, v0
	s_and_saveexec_b64 s[26:27], s[24:25]
	s_cbranch_execz .LBB1005_161
; %bb.160:
	v_lshlrev_b32_e32 v46, 4, v52
	ds_write_b32 v46, v49 offset:2080
	ds_write_b64 v46, v[44:45] offset:2088
.LBB1005_161:
	s_or_b64 exec, exec, s[26:27]
	v_cmp_gt_u32_e64 s[24:25], 4, v0
	s_waitcnt lgkmcnt(0)
	s_barrier
	s_and_saveexec_b64 s[26:27], s[24:25]
	s_cbranch_execz .LBB1005_167
; %bb.162:
	v_lshlrev_b32_e32 v53, 4, v0
	ds_read_b32 v54, v53 offset:2080
	ds_read_b64 v[46:47], v53 offset:2088
	v_and_b32_e32 v55, 3, v48
	v_cmp_ne_u32_e64 s[24:25], 0, v55
	s_waitcnt lgkmcnt(1)
	v_mov_b32_dpp v57, v54 row_shr:1 row_mask:0xf bank_mask:0xf
	s_waitcnt lgkmcnt(0)
	v_mov_b32_dpp v56, v46 row_shr:1 row_mask:0xf bank_mask:0xf
	v_mov_b32_dpp v58, v47 row_shr:1 row_mask:0xf bank_mask:0xf
	s_and_saveexec_b64 s[28:29], s[24:25]
; %bb.163:
	v_cmp_eq_u32_e64 s[24:25], 0, v54
	v_cndmask_b32_e64 v56, 0, v56, s[24:25]
	v_add_u32_e32 v57, v57, v54
	v_cndmask_b32_e64 v54, 0, v58, s[24:25]
	v_add_co_u32_e64 v46, s[24:25], v56, v46
	v_addc_co_u32_e64 v47, s[24:25], v54, v47, s[24:25]
	v_mov_b32_e32 v54, v57
; %bb.164:
	s_or_b64 exec, exec, s[28:29]
	s_nop 0
	v_mov_b32_dpp v57, v54 row_shr:2 row_mask:0xf bank_mask:0xf
	v_mov_b32_dpp v56, v46 row_shr:2 row_mask:0xf bank_mask:0xf
	;; [unrolled: 1-line block ×3, first 2 shown]
	v_cmp_lt_u32_e64 s[24:25], 1, v55
	s_and_saveexec_b64 s[28:29], s[24:25]
; %bb.165:
	v_cmp_eq_u32_e64 s[24:25], 0, v54
	v_cndmask_b32_e64 v56, 0, v56, s[24:25]
	v_add_u32_e32 v55, v57, v54
	v_cndmask_b32_e64 v54, 0, v58, s[24:25]
	v_add_co_u32_e64 v46, s[24:25], v56, v46
	v_addc_co_u32_e64 v47, s[24:25], v54, v47, s[24:25]
	v_mov_b32_e32 v54, v55
; %bb.166:
	s_or_b64 exec, exec, s[28:29]
	ds_write_b32 v53, v54 offset:2080
	ds_write_b64 v53, v[46:47] offset:2088
.LBB1005_167:
	s_or_b64 exec, exec, s[26:27]
	v_cmp_lt_u32_e64 s[24:25], 63, v0
	v_mov_b32_e32 v97, 0
	v_mov_b32_e32 v53, 0
	s_waitcnt vmcnt(0)
	v_pk_mov_b32 v[46:47], v[50:51], v[50:51] op_sel:[0,1]
	s_waitcnt lgkmcnt(0)
	s_barrier
	s_and_saveexec_b64 s[26:27], s[24:25]
	s_cbranch_execz .LBB1005_169
; %bb.168:
	v_lshlrev_b32_e32 v46, 4, v52
	ds_read_b32 v53, v46 offset:2064
	ds_read_b64 v[46:47], v46 offset:2072
	s_waitcnt lgkmcnt(1)
	v_cmp_eq_u32_e64 s[24:25], 0, v53
	v_cndmask_b32_e64 v54, 0, v50, s[24:25]
	v_cndmask_b32_e64 v52, 0, v51, s[24:25]
	s_waitcnt lgkmcnt(0)
	v_add_co_u32_e64 v46, s[24:25], v54, v46
	v_addc_co_u32_e64 v47, s[24:25], v52, v47, s[24:25]
.LBB1005_169:
	s_or_b64 exec, exec, s[26:27]
	v_cmp_eq_u32_e64 s[24:25], 0, v49
	v_cndmask_b32_e64 v54, 0, v46, s[24:25]
	v_add_u32_e32 v52, v53, v49
	v_cndmask_b32_e64 v49, 0, v47, s[24:25]
	v_add_co_u32_e64 v44, s[24:25], v54, v44
	v_addc_co_u32_e64 v45, s[24:25], v49, v45, s[24:25]
	v_add_u32_e32 v49, -1, v48
	v_and_b32_e32 v54, 64, v48
	v_cmp_lt_i32_e64 s[24:25], v49, v54
	v_cndmask_b32_e64 v49, v49, v48, s[24:25]
	v_lshlrev_b32_e32 v49, 2, v49
	ds_bpermute_b32 v52, v49, v52
	ds_bpermute_b32 v45, v49, v45
	;; [unrolled: 1-line block ×3, first 2 shown]
	v_cmp_eq_u32_e64 s[24:25], 0, v48
	v_cmp_eq_u32_e64 s[26:27], 0, v96
	s_waitcnt lgkmcnt(2)
	v_cndmask_b32_e64 v99, v52, v53, s[24:25]
	s_waitcnt lgkmcnt(1)
	v_cndmask_b32_e64 v77, v45, v47, s[24:25]
	;; [unrolled: 2-line block ×3, first 2 shown]
	v_cmp_eq_u32_e64 s[24:25], 0, v0
	v_cndmask_b32_e64 v44, v76, v50, s[24:25]
	v_cndmask_b32_e64 v45, v77, v51, s[24:25]
	v_cndmask_b32_e64 v44, 0, v44, s[26:27]
	v_cndmask_b32_e64 v45, 0, v45, s[26:27]
	v_add_co_u32_e64 v52, s[26:27], v44, v42
	v_addc_co_u32_e64 v53, s[26:27], v45, v43, s[26:27]
	v_cndmask_b32_e64 v43, 0, v52, s[22:23]
	v_cndmask_b32_e64 v42, 0, v53, s[22:23]
	v_add_co_u32_e64 v54, s[22:23], v43, v40
	v_addc_co_u32_e64 v55, s[22:23], v42, v41, s[22:23]
	v_cndmask_b32_e64 v41, 0, v54, s[20:21]
	v_cndmask_b32_e64 v40, 0, v55, s[20:21]
	;; [unrolled: 4-line block ×11, first 2 shown]
	v_add_co_u32_e64 v74, s[0:1], v23, v20
	v_addc_co_u32_e64 v75, s[0:1], v22, v21, s[0:1]
	v_cndmask_b32_e64 v21, 0, v74, s[2:3]
	ds_read_b32 v46, v97 offset:2128
	v_cndmask_b32_e64 v20, 0, v75, s[2:3]
	v_add_co_u32_e64 v78, s[0:1], v21, v18
	v_addc_co_u32_e64 v79, s[0:1], v20, v19, s[0:1]
	ds_read_b64 v[18:19], v97 offset:2136
	v_cndmask_b32_e32 v81, 0, v79, vcc
	v_cndmask_b32_e32 v80, 0, v78, vcc
	s_waitcnt lgkmcnt(1)
	v_cmp_eq_u32_e32 vcc, 0, v46
	v_cndmask_b32_e32 v21, 0, v50, vcc
	v_cndmask_b32_e32 v20, 0, v51, vcc
	s_waitcnt lgkmcnt(0)
	v_add_co_u32_e32 v48, vcc, v21, v18
	v_addc_co_u32_e32 v49, vcc, v20, v19, vcc
	s_and_saveexec_b64 s[0:1], s[24:25]
	s_cbranch_execz .LBB1005_171
; %bb.170:
	v_mov_b32_e32 v99, 0
	v_mov_b32_e32 v18, 2
	v_pk_mov_b32 v[76:77], v[50:51], v[50:51] op_sel:[0,1]
	global_store_dword v99, v46, s[38:39] offset:1024
	global_store_dwordx2 v99, v[48:49], s[38:39] offset:1032
	s_waitcnt vmcnt(0)
	buffer_wbinvl1_vol
	global_store_byte v99, v18, s[40:41] offset:64
.LBB1005_171:
	s_or_b64 exec, exec, s[0:1]
	v_mov_b32_e32 v50, 0
.LBB1005_172:
	s_and_b64 s[0:1], s[34:35], exec
	s_cselect_b32 s1, 0, s51
	s_cselect_b32 s0, 0, s50
	s_cmp_eq_u64 s[0:1], 0
	v_pk_mov_b32 v[18:19], 0, 0
	s_barrier
	s_cbranch_scc1 .LBB1005_174
; %bb.173:
	v_mov_b32_e32 v18, 0
	global_load_dwordx2 v[18:19], v18, s[0:1]
.LBB1005_174:
	v_add_u32_e32 v33, v99, v96
	v_add_u32_e32 v32, v33, v95
	v_add_u32_e32 v31, v32, v94
	v_add_u32_e32 v30, v31, v93
	v_add_u32_e32 v29, v30, v92
	v_add_u32_e32 v28, v29, v91
	v_add_u32_e32 v27, v28, v90
	v_add_u32_e32 v26, v27, v89
	v_add_u32_e32 v25, v26, v88
	v_add_u32_e32 v24, v25, v87
	v_add_u32_e32 v23, v24, v86
	v_add_u32_e32 v22, v23, v85
	s_movk_i32 s36, 0x100
	v_add_u32_e32 v21, v22, v84
	v_cmp_gt_u32_e32 vcc, s36, v46
	v_add_u32_e32 v20, v21, v83
	s_cbranch_vccnz .LBB1005_223
; %bb.175:
	v_cmp_eq_u32_e64 s[26:27], 0, v95
	v_cndmask_b32_e64 v51, 1, 2, s[26:27]
	v_cmp_eq_u32_e64 s[26:27], 0, v96
	v_cmp_eq_u32_e64 s[24:25], 0, v94
	v_cndmask_b32_e64 v97, 1, 2, s[26:27]
	v_cmp_eq_u32_e64 s[22:23], 0, v93
	v_cndmask_b32_e64 v47, 1, 2, s[24:25]
	v_and_b32_e32 v51, v51, v97
	v_cmp_eq_u32_e64 s[20:21], 0, v92
	v_cndmask_b32_e64 v45, 1, 2, s[22:23]
	v_and_b32_e32 v47, v51, v47
	;; [unrolled: 3-line block ×11, first 2 shown]
	v_cmp_eq_u32_e32 vcc, 0, v82
	v_cndmask_b32_e64 v35, 1, 2, s[0:1]
	v_and_b32_e32 v36, v37, v36
	v_cndmask_b32_e64 v34, 1, 2, vcc
	v_and_b32_e32 v35, v36, v35
	v_and_b32_e32 v34, v35, v34
	v_cmp_ne_u32_e64 s[18:19], 0, v96
	v_cmp_ne_u32_e32 vcc, 0, v83
	v_cmp_ne_u32_e64 s[0:1], 0, v84
	v_cmp_ne_u32_e64 s[2:3], 0, v85
	;; [unrolled: 1-line block ×12, first 2 shown]
	v_cmp_gt_i16_e64 s[26:27], 2, v34
	s_and_saveexec_b64 s[28:29], s[26:27]
	s_cbranch_execz .LBB1005_222
; %bb.176:
	v_cmp_ne_u16_e64 s[26:27], 1, v34
	s_mov_b64 s[34:35], 0
	s_and_saveexec_b64 s[38:39], s[26:27]
	s_xor_b64 s[26:27], exec, s[38:39]
	s_cbranch_execz .LBB1005_200
; %bb.177:
	s_and_saveexec_b64 s[34:35], s[18:19]
	s_cbranch_execz .LBB1005_205
; %bb.178:
	v_sub_u32_e32 v34, v99, v50
	v_lshlrev_b32_e32 v34, 2, v34
	ds_write_b32 v34, v14
	s_or_b64 exec, exec, s[34:35]
	s_and_saveexec_b64 s[18:19], s[24:25]
	s_cbranch_execnz .LBB1005_206
.LBB1005_179:
	s_or_b64 exec, exec, s[18:19]
	s_and_saveexec_b64 s[18:19], s[22:23]
	s_cbranch_execz .LBB1005_207
.LBB1005_180:
	v_sub_u32_e32 v14, v32, v50
	v_lshlrev_b32_e32 v14, 2, v14
	ds_write_b32 v14, v12
	s_or_b64 exec, exec, s[18:19]
	s_and_saveexec_b64 s[18:19], s[20:21]
	s_cbranch_execnz .LBB1005_208
.LBB1005_181:
	s_or_b64 exec, exec, s[18:19]
	s_and_saveexec_b64 s[18:19], s[16:17]
	s_cbranch_execz .LBB1005_209
.LBB1005_182:
	v_sub_u32_e32 v12, v30, v50
	v_lshlrev_b32_e32 v12, 2, v12
	ds_write_b32 v12, v10
	s_or_b64 exec, exec, s[18:19]
	s_and_saveexec_b64 s[16:17], s[14:15]
	s_cbranch_execnz .LBB1005_210
.LBB1005_183:
	s_or_b64 exec, exec, s[16:17]
	s_and_saveexec_b64 s[14:15], s[12:13]
	s_cbranch_execz .LBB1005_211
.LBB1005_184:
	v_sub_u32_e32 v10, v28, v50
	v_lshlrev_b32_e32 v10, 2, v10
	ds_write_b32 v10, v8
	s_or_b64 exec, exec, s[14:15]
	s_and_saveexec_b64 s[12:13], s[10:11]
	s_cbranch_execnz .LBB1005_212
.LBB1005_185:
	s_or_b64 exec, exec, s[12:13]
	s_and_saveexec_b64 s[10:11], s[8:9]
	s_cbranch_execz .LBB1005_213
.LBB1005_186:
	v_sub_u32_e32 v8, v26, v50
	v_lshlrev_b32_e32 v8, 2, v8
	ds_write_b32 v8, v6
	s_or_b64 exec, exec, s[10:11]
	s_and_saveexec_b64 s[8:9], s[6:7]
	s_cbranch_execnz .LBB1005_214
.LBB1005_187:
	s_or_b64 exec, exec, s[8:9]
	s_and_saveexec_b64 s[6:7], s[4:5]
	s_cbranch_execz .LBB1005_215
.LBB1005_188:
	v_sub_u32_e32 v6, v24, v50
	v_lshlrev_b32_e32 v6, 2, v6
	ds_write_b32 v6, v4
	s_or_b64 exec, exec, s[6:7]
	s_and_saveexec_b64 s[4:5], s[2:3]
	s_cbranch_execnz .LBB1005_216
.LBB1005_189:
	s_or_b64 exec, exec, s[4:5]
	s_and_saveexec_b64 s[2:3], s[0:1]
	s_cbranch_execz .LBB1005_217
.LBB1005_190:
	v_sub_u32_e32 v4, v22, v50
	v_lshlrev_b32_e32 v4, 2, v4
	ds_write_b32 v4, v2
	s_or_b64 exec, exec, s[2:3]
	v_cmp_ne_u32_e64 s[0:1], 0, v82
	s_and_saveexec_b64 s[2:3], vcc
	s_cbranch_execnz .LBB1005_218
	s_branch .LBB1005_219
.LBB1005_191:
                                        ; implicit-def: $sgpr0_sgpr1
                                        ; implicit-def: $vgpr82
                                        ; implicit-def: $vgpr83
                                        ; implicit-def: $vgpr84
                                        ; implicit-def: $vgpr85
                                        ; implicit-def: $vgpr86
                                        ; implicit-def: $vgpr87
                                        ; implicit-def: $vgpr88
                                        ; implicit-def: $vgpr89
                                        ; implicit-def: $vgpr90
                                        ; implicit-def: $vgpr91
                                        ; implicit-def: $vgpr92
                                        ; implicit-def: $vgpr93
                                        ; implicit-def: $vgpr94
                                        ; implicit-def: $vgpr95
	s_cbranch_execz .LBB1005_69
; %bb.192:
	v_cmp_ne_u32_e32 vcc, v15, v52
	v_cndmask_b32_e64 v95, 0, 1, vcc
	v_cmp_ne_u32_e32 vcc, v15, v53
	v_cndmask_b32_e64 v94, 0, 1, vcc
	;; [unrolled: 2-line block ×13, first 2 shown]
	v_cmp_ne_u32_e32 vcc, v3, v1
	v_lshlrev_b32_e32 v51, 2, v0
	v_cndmask_b32_e64 v82, 0, 1, vcc
	v_cmp_ne_u32_e32 vcc, 0, v0
	ds_write_b32 v51, v1
	s_waitcnt lgkmcnt(0)
	s_barrier
	s_waitcnt lgkmcnt(0)
                                        ; implicit-def: $sgpr0_sgpr1
	s_and_saveexec_b64 s[8:9], vcc
	s_xor_b64 s[8:9], exec, s[8:9]
	s_cbranch_execz .LBB1005_194
; %bb.193:
	v_add_u32_e32 v46, -4, v51
	ds_read_b32 v46, v46
	s_or_b64 s[2:3], s[2:3], exec
	s_waitcnt lgkmcnt(0)
	v_cmp_ne_u32_e32 vcc, v46, v14
	s_and_b64 s[0:1], vcc, exec
.LBB1005_194:
	s_or_b64 exec, exec, s[8:9]
	s_mov_b32 s10, 1
	s_branch .LBB1005_71
.LBB1005_195:
	s_mul_hi_u32 s1, s56, 0xfffff100
	s_mul_i32 s0, s57, 0xfffff100
	s_sub_i32 s1, s1, s56
	s_add_i32 s1, s1, s0
	s_mul_i32 s0, s56, 0xfffff100
	s_add_u32 s8, s0, s48
	s_addc_u32 s9, s1, s49
	s_and_b64 vcc, exec, s[4:5]
	s_cbranch_vccz .LBB1005_202
; %bb.196:
	v_mov_b32_e32 v47, s60
	v_add_co_u32_e64 v46, vcc, -4, s7
	v_addc_co_u32_e32 v47, vcc, -1, v47, vcc
	flat_load_dword v50, v[46:47]
	v_mad_u32_u24 v48, v0, 15, 14
	v_mov_b32_e32 v49, 0
	v_cmp_gt_u64_e32 vcc, s[8:9], v[48:49]
	v_cmp_ne_u32_e64 s[0:1], v3, v1
	v_mad_u32_u24 v48, v0, 15, 13
	s_and_b64 s[2:3], vcc, s[0:1]
	v_cmp_gt_u64_e32 vcc, s[8:9], v[48:49]
	v_cmp_ne_u32_e64 s[0:1], v2, v3
	v_mad_u32_u24 v48, v0, 15, 12
	s_and_b64 s[4:5], vcc, s[0:1]
	;; [unrolled: 4-line block ×13, first 2 shown]
	v_cmp_gt_u64_e32 vcc, s[8:9], v[48:49]
	v_cmp_ne_u32_e64 s[0:1], v14, v15
	v_lshlrev_b32_e32 v47, 2, v0
	v_mul_u32_u24_e32 v46, 15, v0
	s_and_b64 s[0:1], vcc, s[0:1]
	v_cmp_ne_u32_e32 vcc, 0, v0
	ds_write_b32 v47, v1
	s_waitcnt lgkmcnt(0)
	s_barrier
	s_and_saveexec_b64 s[48:49], vcc
	s_cbranch_execz .LBB1005_198
; %bb.197:
	v_add_u32_e32 v47, -4, v47
	s_waitcnt vmcnt(0)
	ds_read_b32 v50, v47
.LBB1005_198:
	s_or_b64 exec, exec, s[48:49]
	v_mov_b32_e32 v47, v49
	v_cndmask_b32_e64 v95, 0, 1, s[0:1]
	v_cmp_gt_u64_e32 vcc, s[8:9], v[46:47]
	s_waitcnt vmcnt(0) lgkmcnt(0)
	v_cmp_ne_u32_e64 s[0:1], v50, v14
	v_cndmask_b32_e64 v82, 0, 1, s[2:3]
	v_cndmask_b32_e64 v83, 0, 1, s[4:5]
	;; [unrolled: 1-line block ×13, first 2 shown]
	s_and_b64 s[0:1], vcc, s[0:1]
	s_mov_b64 s[2:3], -1
.LBB1005_199:
                                        ; implicit-def: $sgpr10
	v_mov_b32_e32 v96, s10
	s_and_saveexec_b64 s[4:5], s[2:3]
	s_cbranch_execnz .LBB1005_72
	s_branch .LBB1005_73
.LBB1005_200:
	s_andn2_saveexec_b64 s[0:1], s[26:27]
	s_cbranch_execz .LBB1005_220
.LBB1005_201:
	v_sub_u32_e32 v34, v99, v50
	v_lshlrev_b32_e32 v34, 2, v34
	ds_write_b32 v34, v14
	v_sub_u32_e32 v14, v33, v50
	v_lshlrev_b32_e32 v14, 2, v14
	ds_write_b32 v14, v15
	;; [unrolled: 3-line block ×13, first 2 shown]
	v_sub_u32_e32 v2, v21, v50
	v_lshlrev_b32_e32 v2, 2, v2
	s_or_b64 s[34:35], s[34:35], exec
	ds_write_b32 v2, v3
	s_or_b64 exec, exec, s[0:1]
	s_and_b64 exec, exec, s[34:35]
	s_cbranch_execnz .LBB1005_221
	s_branch .LBB1005_222
.LBB1005_202:
                                        ; implicit-def: $sgpr0_sgpr1
                                        ; implicit-def: $vgpr82
                                        ; implicit-def: $vgpr83
                                        ; implicit-def: $vgpr84
                                        ; implicit-def: $vgpr85
                                        ; implicit-def: $vgpr86
                                        ; implicit-def: $vgpr87
                                        ; implicit-def: $vgpr88
                                        ; implicit-def: $vgpr89
                                        ; implicit-def: $vgpr90
                                        ; implicit-def: $vgpr91
                                        ; implicit-def: $vgpr92
                                        ; implicit-def: $vgpr93
                                        ; implicit-def: $vgpr94
                                        ; implicit-def: $vgpr95
	s_cbranch_execz .LBB1005_199
; %bb.203:
	v_mad_u32_u24 v46, v0, 15, 14
	v_mov_b32_e32 v47, 0
	v_cmp_gt_u64_e32 vcc, s[8:9], v[46:47]
	v_cmp_ne_u32_e64 s[0:1], v3, v1
	s_and_b64 s[0:1], vcc, s[0:1]
	v_mad_u32_u24 v46, v0, 15, 13
	v_cndmask_b32_e64 v82, 0, 1, s[0:1]
	v_cmp_gt_u64_e32 vcc, s[8:9], v[46:47]
	v_cmp_ne_u32_e64 s[0:1], v2, v3
	s_and_b64 s[0:1], vcc, s[0:1]
	v_mad_u32_u24 v46, v0, 15, 12
	v_cndmask_b32_e64 v83, 0, 1, s[0:1]
	;; [unrolled: 5-line block ×13, first 2 shown]
	v_cmp_gt_u64_e32 vcc, s[8:9], v[46:47]
	v_cmp_ne_u32_e64 s[0:1], v14, v15
	s_and_b64 s[0:1], vcc, s[0:1]
	v_lshlrev_b32_e32 v48, 2, v0
	s_mov_b32 s10, 1
	v_cndmask_b32_e64 v95, 0, 1, s[0:1]
	v_cmp_ne_u32_e32 vcc, 0, v0
	ds_write_b32 v48, v1
	s_waitcnt lgkmcnt(0)
	s_barrier
	s_waitcnt lgkmcnt(0)
                                        ; implicit-def: $sgpr0_sgpr1
	s_and_saveexec_b64 s[4:5], vcc
	s_cbranch_execz .LBB1005_242
; %bb.204:
	v_add_u32_e32 v46, -4, v48
	ds_read_b32 v48, v46
	v_mul_u32_u24_e32 v46, 15, v0
	v_cmp_gt_u64_e32 vcc, s[8:9], v[46:47]
	s_or_b64 s[2:3], s[2:3], exec
	s_waitcnt lgkmcnt(0)
	v_cmp_ne_u32_e64 s[0:1], v48, v14
	s_and_b64 s[0:1], vcc, s[0:1]
	s_and_b64 s[0:1], s[0:1], exec
	s_or_b64 exec, exec, s[4:5]
	v_mov_b32_e32 v96, s10
	s_and_saveexec_b64 s[4:5], s[2:3]
	s_cbranch_execz .LBB1005_73
	s_branch .LBB1005_72
.LBB1005_205:
	s_or_b64 exec, exec, s[34:35]
	s_and_saveexec_b64 s[18:19], s[24:25]
	s_cbranch_execz .LBB1005_179
.LBB1005_206:
	v_sub_u32_e32 v14, v33, v50
	v_lshlrev_b32_e32 v14, 2, v14
	ds_write_b32 v14, v15
	s_or_b64 exec, exec, s[18:19]
	s_and_saveexec_b64 s[18:19], s[22:23]
	s_cbranch_execnz .LBB1005_180
.LBB1005_207:
	s_or_b64 exec, exec, s[18:19]
	s_and_saveexec_b64 s[18:19], s[20:21]
	s_cbranch_execz .LBB1005_181
.LBB1005_208:
	v_sub_u32_e32 v12, v31, v50
	v_lshlrev_b32_e32 v12, 2, v12
	ds_write_b32 v12, v13
	s_or_b64 exec, exec, s[18:19]
	s_and_saveexec_b64 s[18:19], s[16:17]
	s_cbranch_execnz .LBB1005_182
.LBB1005_209:
	s_or_b64 exec, exec, s[18:19]
	s_and_saveexec_b64 s[16:17], s[14:15]
	s_cbranch_execz .LBB1005_183
.LBB1005_210:
	v_sub_u32_e32 v10, v29, v50
	v_lshlrev_b32_e32 v10, 2, v10
	ds_write_b32 v10, v11
	s_or_b64 exec, exec, s[16:17]
	s_and_saveexec_b64 s[14:15], s[12:13]
	s_cbranch_execnz .LBB1005_184
.LBB1005_211:
	s_or_b64 exec, exec, s[14:15]
	s_and_saveexec_b64 s[12:13], s[10:11]
	s_cbranch_execz .LBB1005_185
.LBB1005_212:
	v_sub_u32_e32 v8, v27, v50
	v_lshlrev_b32_e32 v8, 2, v8
	ds_write_b32 v8, v9
	s_or_b64 exec, exec, s[12:13]
	s_and_saveexec_b64 s[10:11], s[8:9]
	s_cbranch_execnz .LBB1005_186
.LBB1005_213:
	s_or_b64 exec, exec, s[10:11]
	s_and_saveexec_b64 s[8:9], s[6:7]
	s_cbranch_execz .LBB1005_187
.LBB1005_214:
	v_sub_u32_e32 v6, v25, v50
	v_lshlrev_b32_e32 v6, 2, v6
	ds_write_b32 v6, v7
	s_or_b64 exec, exec, s[8:9]
	s_and_saveexec_b64 s[6:7], s[4:5]
	s_cbranch_execnz .LBB1005_188
.LBB1005_215:
	s_or_b64 exec, exec, s[6:7]
	s_and_saveexec_b64 s[4:5], s[2:3]
	s_cbranch_execz .LBB1005_189
.LBB1005_216:
	v_sub_u32_e32 v4, v23, v50
	v_lshlrev_b32_e32 v4, 2, v4
	ds_write_b32 v4, v5
	s_or_b64 exec, exec, s[4:5]
	s_and_saveexec_b64 s[2:3], s[0:1]
	s_cbranch_execnz .LBB1005_190
.LBB1005_217:
	s_or_b64 exec, exec, s[2:3]
	v_cmp_ne_u32_e64 s[0:1], 0, v82
	s_and_saveexec_b64 s[2:3], vcc
	s_cbranch_execz .LBB1005_219
.LBB1005_218:
	v_sub_u32_e32 v2, v21, v50
	v_lshlrev_b32_e32 v2, 2, v2
	ds_write_b32 v2, v3
.LBB1005_219:
	s_or_b64 exec, exec, s[2:3]
	s_and_b64 s[34:35], s[0:1], exec
                                        ; implicit-def: $vgpr2
                                        ; implicit-def: $vgpr4
                                        ; implicit-def: $vgpr6
                                        ; implicit-def: $vgpr8
                                        ; implicit-def: $vgpr10
                                        ; implicit-def: $vgpr12
                                        ; implicit-def: $vgpr14
	s_andn2_saveexec_b64 s[0:1], s[26:27]
	s_cbranch_execnz .LBB1005_201
.LBB1005_220:
	s_or_b64 exec, exec, s[0:1]
	s_and_b64 exec, exec, s[34:35]
	s_cbranch_execz .LBB1005_222
.LBB1005_221:
	v_sub_u32_e32 v2, v20, v50
	v_lshlrev_b32_e32 v2, 2, v2
	ds_write_b32 v2, v1
.LBB1005_222:
	s_or_b64 exec, exec, s[28:29]
	s_waitcnt lgkmcnt(0)
	s_barrier
.LBB1005_223:
	v_add_co_u32_e32 v2, vcc, v80, v16
	s_cmpk_lg_i32 s33, 0xf00
	v_addc_co_u32_e32 v3, vcc, v81, v17, vcc
	s_cselect_b64 s[0:1], -1, 0
	v_cndmask_b32_e64 v8, 0, 1, s[30:31]
	s_and_b64 s[0:1], s[52:53], s[0:1]
	v_cmp_eq_u32_e32 vcc, 0, v0
	v_sub_u32_e32 v1, v46, v8
	v_cndmask_b32_e64 v4, 0, 1, s[0:1]
	s_and_b64 s[0:1], vcc, s[30:31]
	v_add_u32_e32 v1, v1, v4
	v_cndmask_b32_e64 v4, v96, 0, s[0:1]
	s_mul_hi_u32 s0, s33, 0x88888889
	s_lshr_b32 s0, s0, 3
	v_mad_i32_i24 v5, v0, -15, s33
	v_cmp_eq_u32_e32 vcc, s0, v0
	v_cmp_ne_u32_e64 s[0:1], 0, v5
	v_cndmask_b32_e64 v6, 1, v4, s[0:1]
	v_cmp_ne_u32_e64 s[0:1], 1, v5
	v_cndmask_b32_e64 v7, 1, v95, s[0:1]
	;; [unrolled: 2-line block ×15, first 2 shown]
	s_and_b64 vcc, s[52:53], vcc
	v_cndmask_b32_e32 v37, v82, v5, vcc
	v_cndmask_b32_e32 v39, v4, v6, vcc
	s_waitcnt vmcnt(0)
	v_lshlrev_b64 v[4:5], 3, v[18:19]
	v_mov_b32_e32 v51, 0
	v_cndmask_b32_e32 v36, v83, v36, vcc
	v_cndmask_b32_e32 v35, v84, v35, vcc
	;; [unrolled: 1-line block ×13, first 2 shown]
	v_mov_b32_e32 v6, s45
	v_add_co_u32_e32 v7, vcc, s44, v4
	v_addc_co_u32_e32 v6, vcc, v6, v5, vcc
	v_lshlrev_b64 v[4:5], 3, v[50:51]
	v_add_co_u32_e32 v4, vcc, v7, v4
	v_addc_co_u32_e32 v5, vcc, v6, v5, vcc
	v_lshlrev_b32_e32 v6, 3, v8
	v_add_co_u32_e32 v6, vcc, v6, v4
	v_addc_co_u32_e32 v7, vcc, 0, v5, vcc
	v_add_co_u32_e32 v6, vcc, -8, v6
	v_addc_co_u32_e32 v7, vcc, -1, v7, vcc
	v_cmp_eq_u32_e32 vcc, 0, v39
	v_cmp_ne_u32_e64 s[28:29], 0, v39
	v_cndmask_b32_e64 v39, 1, 2, vcc
	v_cmp_eq_u32_e32 vcc, 0, v38
	v_cmp_ne_u32_e64 s[26:27], 0, v38
	v_cndmask_b32_e64 v38, 1, 2, vcc
	v_cmp_eq_u32_e32 vcc, 0, v9
	v_and_b32_e32 v38, v38, v39
	v_cmp_ne_u32_e64 s[24:25], 0, v9
	v_cndmask_b32_e64 v9, 1, 2, vcc
	v_cmp_eq_u32_e32 vcc, 0, v10
	v_and_b32_e32 v9, v38, v9
	;; [unrolled: 4-line block ×3, first 2 shown]
	v_cndmask_b32_e64 v10, 1, 2, vcc
	v_cmp_eq_u32_e32 vcc, 0, v12
	v_and_b32_e32 v9, v9, v10
	v_cndmask_b32_e64 v10, 1, 2, vcc
	v_cmp_eq_u32_e32 vcc, 0, v13
	v_and_b32_e32 v9, v9, v10
	;; [unrolled: 3-line block ×10, first 2 shown]
	v_cndmask_b32_e64 v10, 1, 2, vcc
	v_and_b32_e32 v9, v9, v10
	v_cmp_gt_u32_e32 vcc, s36, v1
	v_add_u32_e32 v8, v50, v8
	v_cmp_ne_u32_e64 s[20:21], 0, v11
	v_cmp_ne_u32_e64 s[18:19], 0, v12
	;; [unrolled: 1-line block ×11, first 2 shown]
	s_mov_b64 s[34:35], -1
	v_cmp_gt_i16_e64 s[30:31], 2, v9
	s_barrier
	s_cbranch_vccz .LBB1005_261
; %bb.224:
	s_and_saveexec_b64 s[34:35], s[30:31]
	s_cbranch_execz .LBB1005_260
; %bb.225:
	v_cmp_ne_u16_e32 vcc, 1, v9
	s_mov_b64 s[36:37], 0
	s_and_saveexec_b64 s[30:31], vcc
	s_xor_b64 s[30:31], exec, s[30:31]
	s_cbranch_execz .LBB1005_240
; %bb.226:
	s_and_saveexec_b64 s[36:37], s[28:29]
	s_cbranch_execz .LBB1005_243
; %bb.227:
	v_sub_u32_e32 v10, v99, v8
	v_mov_b32_e32 v11, 0
	v_lshlrev_b64 v[10:11], 3, v[10:11]
	v_add_co_u32_e32 v10, vcc, v6, v10
	v_addc_co_u32_e32 v11, vcc, v7, v11, vcc
	global_store_dwordx2 v[10:11], v[76:77], off
	s_or_b64 exec, exec, s[36:37]
	s_and_saveexec_b64 s[36:37], s[26:27]
	s_cbranch_execnz .LBB1005_244
.LBB1005_228:
	s_or_b64 exec, exec, s[36:37]
	s_and_saveexec_b64 s[36:37], s[24:25]
	s_cbranch_execz .LBB1005_245
.LBB1005_229:
	v_sub_u32_e32 v10, v32, v8
	v_mov_b32_e32 v11, 0
	v_lshlrev_b64 v[10:11], 3, v[10:11]
	v_add_co_u32_e32 v10, vcc, v6, v10
	v_addc_co_u32_e32 v11, vcc, v7, v11, vcc
	global_store_dwordx2 v[10:11], v[54:55], off
	s_or_b64 exec, exec, s[36:37]
	s_and_saveexec_b64 s[36:37], s[22:23]
	s_cbranch_execnz .LBB1005_246
.LBB1005_230:
	s_or_b64 exec, exec, s[36:37]
	s_and_saveexec_b64 s[36:37], s[20:21]
	s_cbranch_execz .LBB1005_247
.LBB1005_231:
	v_sub_u32_e32 v10, v30, v8
	v_mov_b32_e32 v11, 0
	v_lshlrev_b64 v[10:11], 3, v[10:11]
	v_add_co_u32_e32 v10, vcc, v6, v10
	v_addc_co_u32_e32 v11, vcc, v7, v11, vcc
	global_store_dwordx2 v[10:11], v[58:59], off
	s_or_b64 exec, exec, s[36:37]
	s_and_saveexec_b64 s[36:37], s[18:19]
	s_cbranch_execnz .LBB1005_248
.LBB1005_232:
	s_or_b64 exec, exec, s[36:37]
	s_and_saveexec_b64 s[36:37], s[16:17]
	s_cbranch_execz .LBB1005_249
.LBB1005_233:
	v_sub_u32_e32 v10, v28, v8
	v_mov_b32_e32 v11, 0
	v_lshlrev_b64 v[10:11], 3, v[10:11]
	v_add_co_u32_e32 v10, vcc, v6, v10
	v_addc_co_u32_e32 v11, vcc, v7, v11, vcc
	global_store_dwordx2 v[10:11], v[62:63], off
	s_or_b64 exec, exec, s[36:37]
	s_and_saveexec_b64 s[36:37], s[14:15]
	s_cbranch_execnz .LBB1005_250
.LBB1005_234:
	s_or_b64 exec, exec, s[36:37]
	s_and_saveexec_b64 s[36:37], s[12:13]
	s_cbranch_execz .LBB1005_251
.LBB1005_235:
	v_sub_u32_e32 v10, v26, v8
	v_mov_b32_e32 v11, 0
	v_lshlrev_b64 v[10:11], 3, v[10:11]
	v_add_co_u32_e32 v10, vcc, v6, v10
	v_addc_co_u32_e32 v11, vcc, v7, v11, vcc
	global_store_dwordx2 v[10:11], v[66:67], off
	s_or_b64 exec, exec, s[36:37]
	s_and_saveexec_b64 s[36:37], s[10:11]
	s_cbranch_execnz .LBB1005_252
.LBB1005_236:
	s_or_b64 exec, exec, s[36:37]
	s_and_saveexec_b64 s[36:37], s[8:9]
	s_cbranch_execz .LBB1005_253
.LBB1005_237:
	v_sub_u32_e32 v10, v24, v8
	v_mov_b32_e32 v11, 0
	v_lshlrev_b64 v[10:11], 3, v[10:11]
	v_add_co_u32_e32 v10, vcc, v6, v10
	v_addc_co_u32_e32 v11, vcc, v7, v11, vcc
	global_store_dwordx2 v[10:11], v[70:71], off
	s_or_b64 exec, exec, s[36:37]
	s_and_saveexec_b64 s[36:37], s[6:7]
	s_cbranch_execnz .LBB1005_254
.LBB1005_238:
	s_or_b64 exec, exec, s[36:37]
	s_and_saveexec_b64 s[36:37], s[4:5]
	s_cbranch_execz .LBB1005_255
.LBB1005_239:
	v_sub_u32_e32 v10, v22, v8
	v_mov_b32_e32 v11, 0
	v_lshlrev_b64 v[10:11], 3, v[10:11]
	v_add_co_u32_e32 v10, vcc, v6, v10
	v_addc_co_u32_e32 v11, vcc, v7, v11, vcc
	global_store_dwordx2 v[10:11], v[74:75], off
	s_or_b64 exec, exec, s[36:37]
	s_and_saveexec_b64 s[36:37], s[2:3]
	s_cbranch_execnz .LBB1005_256
	s_branch .LBB1005_257
.LBB1005_240:
	s_andn2_saveexec_b64 s[30:31], s[30:31]
	s_cbranch_execz .LBB1005_258
.LBB1005_241:
	v_sub_u32_e32 v10, v99, v8
	v_mov_b32_e32 v11, 0
	v_lshlrev_b64 v[12:13], 3, v[10:11]
	v_add_co_u32_e32 v12, vcc, v6, v12
	v_addc_co_u32_e32 v13, vcc, v7, v13, vcc
	v_sub_u32_e32 v10, v33, v8
	global_store_dwordx2 v[12:13], v[76:77], off
	v_lshlrev_b64 v[12:13], 3, v[10:11]
	v_add_co_u32_e32 v12, vcc, v6, v12
	v_addc_co_u32_e32 v13, vcc, v7, v13, vcc
	v_sub_u32_e32 v10, v32, v8
	global_store_dwordx2 v[12:13], v[52:53], off
	;; [unrolled: 5-line block ×12, first 2 shown]
	v_lshlrev_b64 v[12:13], 3, v[10:11]
	v_add_co_u32_e32 v12, vcc, v6, v12
	v_sub_u32_e32 v10, v21, v8
	v_addc_co_u32_e32 v13, vcc, v7, v13, vcc
	v_lshlrev_b64 v[10:11], 3, v[10:11]
	v_add_co_u32_e32 v10, vcc, v6, v10
	v_addc_co_u32_e32 v11, vcc, v7, v11, vcc
	s_or_b64 s[36:37], s[36:37], exec
	global_store_dwordx2 v[12:13], v[74:75], off
	global_store_dwordx2 v[10:11], v[78:79], off
	s_or_b64 exec, exec, s[30:31]
	s_and_b64 exec, exec, s[36:37]
	s_cbranch_execnz .LBB1005_259
	s_branch .LBB1005_260
.LBB1005_242:
	s_or_b64 exec, exec, s[4:5]
	v_mov_b32_e32 v96, s10
	s_and_saveexec_b64 s[4:5], s[2:3]
	s_cbranch_execnz .LBB1005_72
	s_branch .LBB1005_73
.LBB1005_243:
	s_or_b64 exec, exec, s[36:37]
	s_and_saveexec_b64 s[36:37], s[26:27]
	s_cbranch_execz .LBB1005_228
.LBB1005_244:
	v_sub_u32_e32 v10, v33, v8
	v_mov_b32_e32 v11, 0
	v_lshlrev_b64 v[10:11], 3, v[10:11]
	v_add_co_u32_e32 v10, vcc, v6, v10
	v_addc_co_u32_e32 v11, vcc, v7, v11, vcc
	global_store_dwordx2 v[10:11], v[52:53], off
	s_or_b64 exec, exec, s[36:37]
	s_and_saveexec_b64 s[36:37], s[24:25]
	s_cbranch_execnz .LBB1005_229
.LBB1005_245:
	s_or_b64 exec, exec, s[36:37]
	s_and_saveexec_b64 s[36:37], s[22:23]
	s_cbranch_execz .LBB1005_230
.LBB1005_246:
	v_sub_u32_e32 v10, v31, v8
	v_mov_b32_e32 v11, 0
	v_lshlrev_b64 v[10:11], 3, v[10:11]
	v_add_co_u32_e32 v10, vcc, v6, v10
	v_addc_co_u32_e32 v11, vcc, v7, v11, vcc
	global_store_dwordx2 v[10:11], v[56:57], off
	s_or_b64 exec, exec, s[36:37]
	s_and_saveexec_b64 s[36:37], s[20:21]
	s_cbranch_execnz .LBB1005_231
.LBB1005_247:
	s_or_b64 exec, exec, s[36:37]
	s_and_saveexec_b64 s[36:37], s[18:19]
	s_cbranch_execz .LBB1005_232
.LBB1005_248:
	v_sub_u32_e32 v10, v29, v8
	v_mov_b32_e32 v11, 0
	v_lshlrev_b64 v[10:11], 3, v[10:11]
	v_add_co_u32_e32 v10, vcc, v6, v10
	v_addc_co_u32_e32 v11, vcc, v7, v11, vcc
	global_store_dwordx2 v[10:11], v[60:61], off
	s_or_b64 exec, exec, s[36:37]
	s_and_saveexec_b64 s[36:37], s[16:17]
	s_cbranch_execnz .LBB1005_233
.LBB1005_249:
	s_or_b64 exec, exec, s[36:37]
	s_and_saveexec_b64 s[36:37], s[14:15]
	s_cbranch_execz .LBB1005_234
.LBB1005_250:
	v_sub_u32_e32 v10, v27, v8
	v_mov_b32_e32 v11, 0
	v_lshlrev_b64 v[10:11], 3, v[10:11]
	v_add_co_u32_e32 v10, vcc, v6, v10
	v_addc_co_u32_e32 v11, vcc, v7, v11, vcc
	global_store_dwordx2 v[10:11], v[64:65], off
	s_or_b64 exec, exec, s[36:37]
	s_and_saveexec_b64 s[36:37], s[12:13]
	s_cbranch_execnz .LBB1005_235
.LBB1005_251:
	s_or_b64 exec, exec, s[36:37]
	s_and_saveexec_b64 s[36:37], s[10:11]
	s_cbranch_execz .LBB1005_236
.LBB1005_252:
	v_sub_u32_e32 v10, v25, v8
	v_mov_b32_e32 v11, 0
	v_lshlrev_b64 v[10:11], 3, v[10:11]
	v_add_co_u32_e32 v10, vcc, v6, v10
	v_addc_co_u32_e32 v11, vcc, v7, v11, vcc
	global_store_dwordx2 v[10:11], v[68:69], off
	s_or_b64 exec, exec, s[36:37]
	s_and_saveexec_b64 s[36:37], s[8:9]
	s_cbranch_execnz .LBB1005_237
.LBB1005_253:
	s_or_b64 exec, exec, s[36:37]
	s_and_saveexec_b64 s[36:37], s[6:7]
	s_cbranch_execz .LBB1005_238
.LBB1005_254:
	v_sub_u32_e32 v10, v23, v8
	v_mov_b32_e32 v11, 0
	v_lshlrev_b64 v[10:11], 3, v[10:11]
	v_add_co_u32_e32 v10, vcc, v6, v10
	v_addc_co_u32_e32 v11, vcc, v7, v11, vcc
	global_store_dwordx2 v[10:11], v[72:73], off
	s_or_b64 exec, exec, s[36:37]
	s_and_saveexec_b64 s[36:37], s[4:5]
	s_cbranch_execnz .LBB1005_239
.LBB1005_255:
	s_or_b64 exec, exec, s[36:37]
	s_and_saveexec_b64 s[36:37], s[2:3]
	s_cbranch_execz .LBB1005_257
.LBB1005_256:
	v_sub_u32_e32 v10, v21, v8
	v_mov_b32_e32 v11, 0
	v_lshlrev_b64 v[10:11], 3, v[10:11]
	v_add_co_u32_e32 v10, vcc, v6, v10
	v_addc_co_u32_e32 v11, vcc, v7, v11, vcc
	global_store_dwordx2 v[10:11], v[78:79], off
.LBB1005_257:
	s_or_b64 exec, exec, s[36:37]
	s_and_b64 s[36:37], s[0:1], exec
	s_andn2_saveexec_b64 s[30:31], s[30:31]
	s_cbranch_execnz .LBB1005_241
.LBB1005_258:
	s_or_b64 exec, exec, s[30:31]
	s_and_b64 exec, exec, s[36:37]
	s_cbranch_execz .LBB1005_260
.LBB1005_259:
	v_sub_u32_e32 v10, v20, v8
	v_mov_b32_e32 v11, 0
	v_lshlrev_b64 v[10:11], 3, v[10:11]
	v_add_co_u32_e32 v10, vcc, v6, v10
	v_addc_co_u32_e32 v11, vcc, v7, v11, vcc
	global_store_dwordx2 v[10:11], v[2:3], off
.LBB1005_260:
	s_or_b64 exec, exec, s[34:35]
	s_mov_b64 s[34:35], 0
.LBB1005_261:
	s_and_b64 vcc, exec, s[34:35]
	s_cbranch_vccz .LBB1005_301
; %bb.262:
	v_cmp_gt_i16_e32 vcc, 2, v9
	s_and_saveexec_b64 s[30:31], vcc
	s_cbranch_execz .LBB1005_297
; %bb.263:
	v_cmp_ne_u16_e32 vcc, 1, v9
	s_mov_b64 s[36:37], 0
	s_and_saveexec_b64 s[34:35], vcc
	s_xor_b64 s[34:35], exec, s[34:35]
	s_cbranch_execz .LBB1005_278
; %bb.264:
	s_and_saveexec_b64 s[36:37], s[28:29]
	s_cbranch_execz .LBB1005_280
; %bb.265:
	v_sub_u32_e32 v9, v99, v8
	v_lshlrev_b32_e32 v9, 3, v9
	ds_write_b64 v9, v[76:77]
	s_or_b64 exec, exec, s[36:37]
	s_and_saveexec_b64 s[28:29], s[26:27]
	s_cbranch_execnz .LBB1005_281
.LBB1005_266:
	s_or_b64 exec, exec, s[28:29]
	s_and_saveexec_b64 s[26:27], s[24:25]
	s_cbranch_execz .LBB1005_282
.LBB1005_267:
	v_sub_u32_e32 v9, v32, v8
	v_lshlrev_b32_e32 v9, 3, v9
	ds_write_b64 v9, v[54:55]
	s_or_b64 exec, exec, s[26:27]
	s_and_saveexec_b64 s[24:25], s[22:23]
	s_cbranch_execnz .LBB1005_283
.LBB1005_268:
	s_or_b64 exec, exec, s[24:25]
	s_and_saveexec_b64 s[22:23], s[20:21]
	s_cbranch_execz .LBB1005_284
.LBB1005_269:
	v_sub_u32_e32 v9, v30, v8
	v_lshlrev_b32_e32 v9, 3, v9
	ds_write_b64 v9, v[58:59]
	s_or_b64 exec, exec, s[22:23]
	s_and_saveexec_b64 s[20:21], s[18:19]
	s_cbranch_execnz .LBB1005_285
.LBB1005_270:
	s_or_b64 exec, exec, s[20:21]
	s_and_saveexec_b64 s[18:19], s[16:17]
	s_cbranch_execz .LBB1005_286
.LBB1005_271:
	v_sub_u32_e32 v9, v28, v8
	v_lshlrev_b32_e32 v9, 3, v9
	ds_write_b64 v9, v[62:63]
	s_or_b64 exec, exec, s[18:19]
	s_and_saveexec_b64 s[16:17], s[14:15]
	s_cbranch_execnz .LBB1005_287
.LBB1005_272:
	s_or_b64 exec, exec, s[16:17]
	s_and_saveexec_b64 s[14:15], s[12:13]
	s_cbranch_execz .LBB1005_288
.LBB1005_273:
	v_sub_u32_e32 v9, v26, v8
	v_lshlrev_b32_e32 v9, 3, v9
	ds_write_b64 v9, v[66:67]
	s_or_b64 exec, exec, s[14:15]
	s_and_saveexec_b64 s[12:13], s[10:11]
	s_cbranch_execnz .LBB1005_289
.LBB1005_274:
	s_or_b64 exec, exec, s[12:13]
	s_and_saveexec_b64 s[10:11], s[8:9]
	s_cbranch_execz .LBB1005_290
.LBB1005_275:
	v_sub_u32_e32 v9, v24, v8
	v_lshlrev_b32_e32 v9, 3, v9
	ds_write_b64 v9, v[70:71]
	s_or_b64 exec, exec, s[10:11]
	s_and_saveexec_b64 s[8:9], s[6:7]
	s_cbranch_execnz .LBB1005_291
.LBB1005_276:
	s_or_b64 exec, exec, s[8:9]
	s_and_saveexec_b64 s[6:7], s[4:5]
	s_cbranch_execz .LBB1005_292
.LBB1005_277:
	v_sub_u32_e32 v9, v22, v8
	v_lshlrev_b32_e32 v9, 3, v9
	ds_write_b64 v9, v[74:75]
	s_or_b64 exec, exec, s[6:7]
	s_and_saveexec_b64 s[4:5], s[2:3]
	s_cbranch_execnz .LBB1005_293
	s_branch .LBB1005_294
.LBB1005_278:
	s_andn2_saveexec_b64 s[0:1], s[34:35]
	s_cbranch_execz .LBB1005_295
.LBB1005_279:
	v_sub_u32_e32 v9, v99, v8
	v_lshlrev_b32_e32 v9, 3, v9
	ds_write_b64 v9, v[76:77]
	v_sub_u32_e32 v9, v33, v8
	v_lshlrev_b32_e32 v9, 3, v9
	ds_write_b64 v9, v[52:53]
	;; [unrolled: 3-line block ×13, first 2 shown]
	v_sub_u32_e32 v9, v21, v8
	v_lshlrev_b32_e32 v9, 3, v9
	s_or_b64 s[36:37], s[36:37], exec
	ds_write_b64 v9, v[78:79]
	s_or_b64 exec, exec, s[0:1]
	s_and_b64 exec, exec, s[36:37]
	s_cbranch_execnz .LBB1005_296
	s_branch .LBB1005_297
.LBB1005_280:
	s_or_b64 exec, exec, s[36:37]
	s_and_saveexec_b64 s[28:29], s[26:27]
	s_cbranch_execz .LBB1005_266
.LBB1005_281:
	v_sub_u32_e32 v9, v33, v8
	v_lshlrev_b32_e32 v9, 3, v9
	ds_write_b64 v9, v[52:53]
	s_or_b64 exec, exec, s[28:29]
	s_and_saveexec_b64 s[26:27], s[24:25]
	s_cbranch_execnz .LBB1005_267
.LBB1005_282:
	s_or_b64 exec, exec, s[26:27]
	s_and_saveexec_b64 s[24:25], s[22:23]
	s_cbranch_execz .LBB1005_268
.LBB1005_283:
	v_sub_u32_e32 v9, v31, v8
	v_lshlrev_b32_e32 v9, 3, v9
	ds_write_b64 v9, v[56:57]
	s_or_b64 exec, exec, s[24:25]
	s_and_saveexec_b64 s[22:23], s[20:21]
	s_cbranch_execnz .LBB1005_269
.LBB1005_284:
	s_or_b64 exec, exec, s[22:23]
	s_and_saveexec_b64 s[20:21], s[18:19]
	s_cbranch_execz .LBB1005_270
.LBB1005_285:
	v_sub_u32_e32 v9, v29, v8
	v_lshlrev_b32_e32 v9, 3, v9
	ds_write_b64 v9, v[60:61]
	s_or_b64 exec, exec, s[20:21]
	s_and_saveexec_b64 s[18:19], s[16:17]
	s_cbranch_execnz .LBB1005_271
.LBB1005_286:
	s_or_b64 exec, exec, s[18:19]
	s_and_saveexec_b64 s[16:17], s[14:15]
	s_cbranch_execz .LBB1005_272
.LBB1005_287:
	v_sub_u32_e32 v9, v27, v8
	v_lshlrev_b32_e32 v9, 3, v9
	ds_write_b64 v9, v[64:65]
	s_or_b64 exec, exec, s[16:17]
	s_and_saveexec_b64 s[14:15], s[12:13]
	s_cbranch_execnz .LBB1005_273
.LBB1005_288:
	s_or_b64 exec, exec, s[14:15]
	s_and_saveexec_b64 s[12:13], s[10:11]
	s_cbranch_execz .LBB1005_274
.LBB1005_289:
	v_sub_u32_e32 v9, v25, v8
	v_lshlrev_b32_e32 v9, 3, v9
	ds_write_b64 v9, v[68:69]
	s_or_b64 exec, exec, s[12:13]
	s_and_saveexec_b64 s[10:11], s[8:9]
	s_cbranch_execnz .LBB1005_275
.LBB1005_290:
	s_or_b64 exec, exec, s[10:11]
	s_and_saveexec_b64 s[8:9], s[6:7]
	s_cbranch_execz .LBB1005_276
.LBB1005_291:
	v_sub_u32_e32 v9, v23, v8
	v_lshlrev_b32_e32 v9, 3, v9
	ds_write_b64 v9, v[72:73]
	s_or_b64 exec, exec, s[8:9]
	s_and_saveexec_b64 s[6:7], s[4:5]
	s_cbranch_execnz .LBB1005_277
.LBB1005_292:
	s_or_b64 exec, exec, s[6:7]
	s_and_saveexec_b64 s[4:5], s[2:3]
	s_cbranch_execz .LBB1005_294
.LBB1005_293:
	v_sub_u32_e32 v9, v21, v8
	v_lshlrev_b32_e32 v9, 3, v9
	ds_write_b64 v9, v[78:79]
.LBB1005_294:
	s_or_b64 exec, exec, s[4:5]
	s_and_b64 s[36:37], s[0:1], exec
                                        ; implicit-def: $vgpr76_vgpr77
                                        ; implicit-def: $vgpr52_vgpr53
                                        ; implicit-def: $vgpr54_vgpr55
                                        ; implicit-def: $vgpr56_vgpr57
                                        ; implicit-def: $vgpr58_vgpr59
                                        ; implicit-def: $vgpr60_vgpr61
                                        ; implicit-def: $vgpr62_vgpr63
                                        ; implicit-def: $vgpr64_vgpr65
                                        ; implicit-def: $vgpr66_vgpr67
                                        ; implicit-def: $vgpr68_vgpr69
                                        ; implicit-def: $vgpr70_vgpr71
                                        ; implicit-def: $vgpr72_vgpr73
                                        ; implicit-def: $vgpr74_vgpr75
                                        ; implicit-def: $vgpr78_vgpr79
                                        ; implicit-def: $vgpr99
                                        ; implicit-def: $vgpr33
                                        ; implicit-def: $vgpr32
                                        ; implicit-def: $vgpr31
                                        ; implicit-def: $vgpr30
                                        ; implicit-def: $vgpr29
                                        ; implicit-def: $vgpr28
                                        ; implicit-def: $vgpr27
                                        ; implicit-def: $vgpr26
                                        ; implicit-def: $vgpr25
                                        ; implicit-def: $vgpr24
                                        ; implicit-def: $vgpr23
                                        ; implicit-def: $vgpr22
                                        ; implicit-def: $vgpr21
	s_andn2_saveexec_b64 s[0:1], s[34:35]
	s_cbranch_execnz .LBB1005_279
.LBB1005_295:
	s_or_b64 exec, exec, s[0:1]
	s_and_b64 exec, exec, s[36:37]
	s_cbranch_execz .LBB1005_297
.LBB1005_296:
	v_sub_u32_e32 v8, v20, v8
	v_lshlrev_b32_e32 v8, 3, v8
	ds_write_b64 v8, v[2:3]
.LBB1005_297:
	s_or_b64 exec, exec, s[30:31]
	v_cmp_lt_u32_e32 vcc, v0, v1
	s_waitcnt lgkmcnt(0)
	s_barrier
	s_and_saveexec_b64 s[0:1], vcc
	s_cbranch_execz .LBB1005_300
; %bb.298:
	v_lshlrev_b32_e32 v8, 3, v0
	s_mov_b64 s[2:3], 0
	v_mov_b32_e32 v3, 0
	v_mov_b32_e32 v2, v0
.LBB1005_299:                           ; =>This Inner Loop Header: Depth=1
	v_lshlrev_b64 v[10:11], 3, v[2:3]
	ds_read_b64 v[12:13], v8
	v_add_co_u32_e32 v10, vcc, v6, v10
	v_add_u32_e32 v2, 0x100, v2
	v_addc_co_u32_e32 v11, vcc, v7, v11, vcc
	v_cmp_ge_u32_e32 vcc, v2, v1
	v_add_u32_e32 v8, 0x800, v8
	s_or_b64 s[2:3], vcc, s[2:3]
	s_waitcnt lgkmcnt(0)
	global_store_dwordx2 v[10:11], v[12:13], off
	s_andn2_b64 exec, exec, s[2:3]
	s_cbranch_execnz .LBB1005_299
.LBB1005_300:
	s_or_b64 exec, exec, s[0:1]
.LBB1005_301:
	s_movk_i32 s0, 0xff
	v_cmp_eq_u32_e32 vcc, s0, v0
	s_and_b64 s[0:1], vcc, s[52:53]
	s_and_saveexec_b64 s[2:3], s[0:1]
	s_cbranch_execz .LBB1005_304
; %bb.302:
	v_add_co_u32_e32 v0, vcc, v46, v50
	v_addc_co_u32_e64 v1, s[0:1], 0, 0, vcc
	v_add_co_u32_e32 v0, vcc, v0, v18
	v_mov_b32_e32 v47, 0
	v_addc_co_u32_e32 v1, vcc, v1, v19, vcc
	s_cmpk_lg_i32 s33, 0xf00
	global_store_dwordx2 v47, v[0:1], s[46:47]
	s_cbranch_scc1 .LBB1005_304
; %bb.303:
	v_lshlrev_b64 v[0:1], 3, v[46:47]
	v_add_co_u32_e32 v0, vcc, v4, v0
	v_addc_co_u32_e32 v1, vcc, v5, v1, vcc
	global_store_dwordx2 v[0:1], v[48:49], off offset:-8
.LBB1005_304:
	s_endpgm
	.section	.rodata,"a",@progbits
	.p2align	6, 0x0
	.amdhsa_kernel _ZN7rocprim17ROCPRIM_400000_NS6detail17trampoline_kernelINS0_14default_configENS1_29reduce_by_key_config_selectorIjxN6thrust23THRUST_200600_302600_NS4plusIxEEEEZZNS1_33reduce_by_key_impl_wrapped_configILNS1_25lookback_scan_determinismE0ES3_S9_NS6_6detail15normal_iteratorINS6_10device_ptrIjEEEENSD_INSE_IxEEEENS6_16discard_iteratorINS6_11use_defaultEEESI_PmS8_NS6_8equal_toIjEEEE10hipError_tPvRmT2_T3_mT4_T5_T6_T7_T8_P12ihipStream_tbENKUlT_T0_E_clISt17integral_constantIbLb1EES15_IbLb0EEEEDaS11_S12_EUlS11_E_NS1_11comp_targetILNS1_3genE4ELNS1_11target_archE910ELNS1_3gpuE8ELNS1_3repE0EEENS1_30default_config_static_selectorELNS0_4arch9wavefront6targetE1EEEvT1_
		.amdhsa_group_segment_fixed_size 30720
		.amdhsa_private_segment_fixed_size 0
		.amdhsa_kernarg_size 144
		.amdhsa_user_sgpr_count 6
		.amdhsa_user_sgpr_private_segment_buffer 1
		.amdhsa_user_sgpr_dispatch_ptr 0
		.amdhsa_user_sgpr_queue_ptr 0
		.amdhsa_user_sgpr_kernarg_segment_ptr 1
		.amdhsa_user_sgpr_dispatch_id 0
		.amdhsa_user_sgpr_flat_scratch_init 0
		.amdhsa_user_sgpr_kernarg_preload_length 0
		.amdhsa_user_sgpr_kernarg_preload_offset 0
		.amdhsa_user_sgpr_private_segment_size 0
		.amdhsa_uses_dynamic_stack 0
		.amdhsa_system_sgpr_private_segment_wavefront_offset 0
		.amdhsa_system_sgpr_workgroup_id_x 1
		.amdhsa_system_sgpr_workgroup_id_y 0
		.amdhsa_system_sgpr_workgroup_id_z 0
		.amdhsa_system_sgpr_workgroup_info 0
		.amdhsa_system_vgpr_workitem_id 0
		.amdhsa_next_free_vgpr 102
		.amdhsa_next_free_sgpr 63
		.amdhsa_accum_offset 104
		.amdhsa_reserve_vcc 1
		.amdhsa_reserve_flat_scratch 0
		.amdhsa_float_round_mode_32 0
		.amdhsa_float_round_mode_16_64 0
		.amdhsa_float_denorm_mode_32 3
		.amdhsa_float_denorm_mode_16_64 3
		.amdhsa_dx10_clamp 1
		.amdhsa_ieee_mode 1
		.amdhsa_fp16_overflow 0
		.amdhsa_tg_split 0
		.amdhsa_exception_fp_ieee_invalid_op 0
		.amdhsa_exception_fp_denorm_src 0
		.amdhsa_exception_fp_ieee_div_zero 0
		.amdhsa_exception_fp_ieee_overflow 0
		.amdhsa_exception_fp_ieee_underflow 0
		.amdhsa_exception_fp_ieee_inexact 0
		.amdhsa_exception_int_div_zero 0
	.end_amdhsa_kernel
	.section	.text._ZN7rocprim17ROCPRIM_400000_NS6detail17trampoline_kernelINS0_14default_configENS1_29reduce_by_key_config_selectorIjxN6thrust23THRUST_200600_302600_NS4plusIxEEEEZZNS1_33reduce_by_key_impl_wrapped_configILNS1_25lookback_scan_determinismE0ES3_S9_NS6_6detail15normal_iteratorINS6_10device_ptrIjEEEENSD_INSE_IxEEEENS6_16discard_iteratorINS6_11use_defaultEEESI_PmS8_NS6_8equal_toIjEEEE10hipError_tPvRmT2_T3_mT4_T5_T6_T7_T8_P12ihipStream_tbENKUlT_T0_E_clISt17integral_constantIbLb1EES15_IbLb0EEEEDaS11_S12_EUlS11_E_NS1_11comp_targetILNS1_3genE4ELNS1_11target_archE910ELNS1_3gpuE8ELNS1_3repE0EEENS1_30default_config_static_selectorELNS0_4arch9wavefront6targetE1EEEvT1_,"axG",@progbits,_ZN7rocprim17ROCPRIM_400000_NS6detail17trampoline_kernelINS0_14default_configENS1_29reduce_by_key_config_selectorIjxN6thrust23THRUST_200600_302600_NS4plusIxEEEEZZNS1_33reduce_by_key_impl_wrapped_configILNS1_25lookback_scan_determinismE0ES3_S9_NS6_6detail15normal_iteratorINS6_10device_ptrIjEEEENSD_INSE_IxEEEENS6_16discard_iteratorINS6_11use_defaultEEESI_PmS8_NS6_8equal_toIjEEEE10hipError_tPvRmT2_T3_mT4_T5_T6_T7_T8_P12ihipStream_tbENKUlT_T0_E_clISt17integral_constantIbLb1EES15_IbLb0EEEEDaS11_S12_EUlS11_E_NS1_11comp_targetILNS1_3genE4ELNS1_11target_archE910ELNS1_3gpuE8ELNS1_3repE0EEENS1_30default_config_static_selectorELNS0_4arch9wavefront6targetE1EEEvT1_,comdat
.Lfunc_end1005:
	.size	_ZN7rocprim17ROCPRIM_400000_NS6detail17trampoline_kernelINS0_14default_configENS1_29reduce_by_key_config_selectorIjxN6thrust23THRUST_200600_302600_NS4plusIxEEEEZZNS1_33reduce_by_key_impl_wrapped_configILNS1_25lookback_scan_determinismE0ES3_S9_NS6_6detail15normal_iteratorINS6_10device_ptrIjEEEENSD_INSE_IxEEEENS6_16discard_iteratorINS6_11use_defaultEEESI_PmS8_NS6_8equal_toIjEEEE10hipError_tPvRmT2_T3_mT4_T5_T6_T7_T8_P12ihipStream_tbENKUlT_T0_E_clISt17integral_constantIbLb1EES15_IbLb0EEEEDaS11_S12_EUlS11_E_NS1_11comp_targetILNS1_3genE4ELNS1_11target_archE910ELNS1_3gpuE8ELNS1_3repE0EEENS1_30default_config_static_selectorELNS0_4arch9wavefront6targetE1EEEvT1_, .Lfunc_end1005-_ZN7rocprim17ROCPRIM_400000_NS6detail17trampoline_kernelINS0_14default_configENS1_29reduce_by_key_config_selectorIjxN6thrust23THRUST_200600_302600_NS4plusIxEEEEZZNS1_33reduce_by_key_impl_wrapped_configILNS1_25lookback_scan_determinismE0ES3_S9_NS6_6detail15normal_iteratorINS6_10device_ptrIjEEEENSD_INSE_IxEEEENS6_16discard_iteratorINS6_11use_defaultEEESI_PmS8_NS6_8equal_toIjEEEE10hipError_tPvRmT2_T3_mT4_T5_T6_T7_T8_P12ihipStream_tbENKUlT_T0_E_clISt17integral_constantIbLb1EES15_IbLb0EEEEDaS11_S12_EUlS11_E_NS1_11comp_targetILNS1_3genE4ELNS1_11target_archE910ELNS1_3gpuE8ELNS1_3repE0EEENS1_30default_config_static_selectorELNS0_4arch9wavefront6targetE1EEEvT1_
                                        ; -- End function
	.section	.AMDGPU.csdata,"",@progbits
; Kernel info:
; codeLenInByte = 15736
; NumSgprs: 67
; NumVgprs: 102
; NumAgprs: 0
; TotalNumVgprs: 102
; ScratchSize: 0
; MemoryBound: 0
; FloatMode: 240
; IeeeMode: 1
; LDSByteSize: 30720 bytes/workgroup (compile time only)
; SGPRBlocks: 8
; VGPRBlocks: 12
; NumSGPRsForWavesPerEU: 67
; NumVGPRsForWavesPerEU: 102
; AccumOffset: 104
; Occupancy: 2
; WaveLimiterHint : 1
; COMPUTE_PGM_RSRC2:SCRATCH_EN: 0
; COMPUTE_PGM_RSRC2:USER_SGPR: 6
; COMPUTE_PGM_RSRC2:TRAP_HANDLER: 0
; COMPUTE_PGM_RSRC2:TGID_X_EN: 1
; COMPUTE_PGM_RSRC2:TGID_Y_EN: 0
; COMPUTE_PGM_RSRC2:TGID_Z_EN: 0
; COMPUTE_PGM_RSRC2:TIDIG_COMP_CNT: 0
; COMPUTE_PGM_RSRC3_GFX90A:ACCUM_OFFSET: 25
; COMPUTE_PGM_RSRC3_GFX90A:TG_SPLIT: 0
	.section	.text._ZN7rocprim17ROCPRIM_400000_NS6detail17trampoline_kernelINS0_14default_configENS1_29reduce_by_key_config_selectorIjxN6thrust23THRUST_200600_302600_NS4plusIxEEEEZZNS1_33reduce_by_key_impl_wrapped_configILNS1_25lookback_scan_determinismE0ES3_S9_NS6_6detail15normal_iteratorINS6_10device_ptrIjEEEENSD_INSE_IxEEEENS6_16discard_iteratorINS6_11use_defaultEEESI_PmS8_NS6_8equal_toIjEEEE10hipError_tPvRmT2_T3_mT4_T5_T6_T7_T8_P12ihipStream_tbENKUlT_T0_E_clISt17integral_constantIbLb1EES15_IbLb0EEEEDaS11_S12_EUlS11_E_NS1_11comp_targetILNS1_3genE3ELNS1_11target_archE908ELNS1_3gpuE7ELNS1_3repE0EEENS1_30default_config_static_selectorELNS0_4arch9wavefront6targetE1EEEvT1_,"axG",@progbits,_ZN7rocprim17ROCPRIM_400000_NS6detail17trampoline_kernelINS0_14default_configENS1_29reduce_by_key_config_selectorIjxN6thrust23THRUST_200600_302600_NS4plusIxEEEEZZNS1_33reduce_by_key_impl_wrapped_configILNS1_25lookback_scan_determinismE0ES3_S9_NS6_6detail15normal_iteratorINS6_10device_ptrIjEEEENSD_INSE_IxEEEENS6_16discard_iteratorINS6_11use_defaultEEESI_PmS8_NS6_8equal_toIjEEEE10hipError_tPvRmT2_T3_mT4_T5_T6_T7_T8_P12ihipStream_tbENKUlT_T0_E_clISt17integral_constantIbLb1EES15_IbLb0EEEEDaS11_S12_EUlS11_E_NS1_11comp_targetILNS1_3genE3ELNS1_11target_archE908ELNS1_3gpuE7ELNS1_3repE0EEENS1_30default_config_static_selectorELNS0_4arch9wavefront6targetE1EEEvT1_,comdat
	.protected	_ZN7rocprim17ROCPRIM_400000_NS6detail17trampoline_kernelINS0_14default_configENS1_29reduce_by_key_config_selectorIjxN6thrust23THRUST_200600_302600_NS4plusIxEEEEZZNS1_33reduce_by_key_impl_wrapped_configILNS1_25lookback_scan_determinismE0ES3_S9_NS6_6detail15normal_iteratorINS6_10device_ptrIjEEEENSD_INSE_IxEEEENS6_16discard_iteratorINS6_11use_defaultEEESI_PmS8_NS6_8equal_toIjEEEE10hipError_tPvRmT2_T3_mT4_T5_T6_T7_T8_P12ihipStream_tbENKUlT_T0_E_clISt17integral_constantIbLb1EES15_IbLb0EEEEDaS11_S12_EUlS11_E_NS1_11comp_targetILNS1_3genE3ELNS1_11target_archE908ELNS1_3gpuE7ELNS1_3repE0EEENS1_30default_config_static_selectorELNS0_4arch9wavefront6targetE1EEEvT1_ ; -- Begin function _ZN7rocprim17ROCPRIM_400000_NS6detail17trampoline_kernelINS0_14default_configENS1_29reduce_by_key_config_selectorIjxN6thrust23THRUST_200600_302600_NS4plusIxEEEEZZNS1_33reduce_by_key_impl_wrapped_configILNS1_25lookback_scan_determinismE0ES3_S9_NS6_6detail15normal_iteratorINS6_10device_ptrIjEEEENSD_INSE_IxEEEENS6_16discard_iteratorINS6_11use_defaultEEESI_PmS8_NS6_8equal_toIjEEEE10hipError_tPvRmT2_T3_mT4_T5_T6_T7_T8_P12ihipStream_tbENKUlT_T0_E_clISt17integral_constantIbLb1EES15_IbLb0EEEEDaS11_S12_EUlS11_E_NS1_11comp_targetILNS1_3genE3ELNS1_11target_archE908ELNS1_3gpuE7ELNS1_3repE0EEENS1_30default_config_static_selectorELNS0_4arch9wavefront6targetE1EEEvT1_
	.globl	_ZN7rocprim17ROCPRIM_400000_NS6detail17trampoline_kernelINS0_14default_configENS1_29reduce_by_key_config_selectorIjxN6thrust23THRUST_200600_302600_NS4plusIxEEEEZZNS1_33reduce_by_key_impl_wrapped_configILNS1_25lookback_scan_determinismE0ES3_S9_NS6_6detail15normal_iteratorINS6_10device_ptrIjEEEENSD_INSE_IxEEEENS6_16discard_iteratorINS6_11use_defaultEEESI_PmS8_NS6_8equal_toIjEEEE10hipError_tPvRmT2_T3_mT4_T5_T6_T7_T8_P12ihipStream_tbENKUlT_T0_E_clISt17integral_constantIbLb1EES15_IbLb0EEEEDaS11_S12_EUlS11_E_NS1_11comp_targetILNS1_3genE3ELNS1_11target_archE908ELNS1_3gpuE7ELNS1_3repE0EEENS1_30default_config_static_selectorELNS0_4arch9wavefront6targetE1EEEvT1_
	.p2align	8
	.type	_ZN7rocprim17ROCPRIM_400000_NS6detail17trampoline_kernelINS0_14default_configENS1_29reduce_by_key_config_selectorIjxN6thrust23THRUST_200600_302600_NS4plusIxEEEEZZNS1_33reduce_by_key_impl_wrapped_configILNS1_25lookback_scan_determinismE0ES3_S9_NS6_6detail15normal_iteratorINS6_10device_ptrIjEEEENSD_INSE_IxEEEENS6_16discard_iteratorINS6_11use_defaultEEESI_PmS8_NS6_8equal_toIjEEEE10hipError_tPvRmT2_T3_mT4_T5_T6_T7_T8_P12ihipStream_tbENKUlT_T0_E_clISt17integral_constantIbLb1EES15_IbLb0EEEEDaS11_S12_EUlS11_E_NS1_11comp_targetILNS1_3genE3ELNS1_11target_archE908ELNS1_3gpuE7ELNS1_3repE0EEENS1_30default_config_static_selectorELNS0_4arch9wavefront6targetE1EEEvT1_,@function
_ZN7rocprim17ROCPRIM_400000_NS6detail17trampoline_kernelINS0_14default_configENS1_29reduce_by_key_config_selectorIjxN6thrust23THRUST_200600_302600_NS4plusIxEEEEZZNS1_33reduce_by_key_impl_wrapped_configILNS1_25lookback_scan_determinismE0ES3_S9_NS6_6detail15normal_iteratorINS6_10device_ptrIjEEEENSD_INSE_IxEEEENS6_16discard_iteratorINS6_11use_defaultEEESI_PmS8_NS6_8equal_toIjEEEE10hipError_tPvRmT2_T3_mT4_T5_T6_T7_T8_P12ihipStream_tbENKUlT_T0_E_clISt17integral_constantIbLb1EES15_IbLb0EEEEDaS11_S12_EUlS11_E_NS1_11comp_targetILNS1_3genE3ELNS1_11target_archE908ELNS1_3gpuE7ELNS1_3repE0EEENS1_30default_config_static_selectorELNS0_4arch9wavefront6targetE1EEEvT1_: ; @_ZN7rocprim17ROCPRIM_400000_NS6detail17trampoline_kernelINS0_14default_configENS1_29reduce_by_key_config_selectorIjxN6thrust23THRUST_200600_302600_NS4plusIxEEEEZZNS1_33reduce_by_key_impl_wrapped_configILNS1_25lookback_scan_determinismE0ES3_S9_NS6_6detail15normal_iteratorINS6_10device_ptrIjEEEENSD_INSE_IxEEEENS6_16discard_iteratorINS6_11use_defaultEEESI_PmS8_NS6_8equal_toIjEEEE10hipError_tPvRmT2_T3_mT4_T5_T6_T7_T8_P12ihipStream_tbENKUlT_T0_E_clISt17integral_constantIbLb1EES15_IbLb0EEEEDaS11_S12_EUlS11_E_NS1_11comp_targetILNS1_3genE3ELNS1_11target_archE908ELNS1_3gpuE7ELNS1_3repE0EEENS1_30default_config_static_selectorELNS0_4arch9wavefront6targetE1EEEvT1_
; %bb.0:
	.section	.rodata,"a",@progbits
	.p2align	6, 0x0
	.amdhsa_kernel _ZN7rocprim17ROCPRIM_400000_NS6detail17trampoline_kernelINS0_14default_configENS1_29reduce_by_key_config_selectorIjxN6thrust23THRUST_200600_302600_NS4plusIxEEEEZZNS1_33reduce_by_key_impl_wrapped_configILNS1_25lookback_scan_determinismE0ES3_S9_NS6_6detail15normal_iteratorINS6_10device_ptrIjEEEENSD_INSE_IxEEEENS6_16discard_iteratorINS6_11use_defaultEEESI_PmS8_NS6_8equal_toIjEEEE10hipError_tPvRmT2_T3_mT4_T5_T6_T7_T8_P12ihipStream_tbENKUlT_T0_E_clISt17integral_constantIbLb1EES15_IbLb0EEEEDaS11_S12_EUlS11_E_NS1_11comp_targetILNS1_3genE3ELNS1_11target_archE908ELNS1_3gpuE7ELNS1_3repE0EEENS1_30default_config_static_selectorELNS0_4arch9wavefront6targetE1EEEvT1_
		.amdhsa_group_segment_fixed_size 0
		.amdhsa_private_segment_fixed_size 0
		.amdhsa_kernarg_size 144
		.amdhsa_user_sgpr_count 6
		.amdhsa_user_sgpr_private_segment_buffer 1
		.amdhsa_user_sgpr_dispatch_ptr 0
		.amdhsa_user_sgpr_queue_ptr 0
		.amdhsa_user_sgpr_kernarg_segment_ptr 1
		.amdhsa_user_sgpr_dispatch_id 0
		.amdhsa_user_sgpr_flat_scratch_init 0
		.amdhsa_user_sgpr_kernarg_preload_length 0
		.amdhsa_user_sgpr_kernarg_preload_offset 0
		.amdhsa_user_sgpr_private_segment_size 0
		.amdhsa_uses_dynamic_stack 0
		.amdhsa_system_sgpr_private_segment_wavefront_offset 0
		.amdhsa_system_sgpr_workgroup_id_x 1
		.amdhsa_system_sgpr_workgroup_id_y 0
		.amdhsa_system_sgpr_workgroup_id_z 0
		.amdhsa_system_sgpr_workgroup_info 0
		.amdhsa_system_vgpr_workitem_id 0
		.amdhsa_next_free_vgpr 1
		.amdhsa_next_free_sgpr 0
		.amdhsa_accum_offset 4
		.amdhsa_reserve_vcc 0
		.amdhsa_reserve_flat_scratch 0
		.amdhsa_float_round_mode_32 0
		.amdhsa_float_round_mode_16_64 0
		.amdhsa_float_denorm_mode_32 3
		.amdhsa_float_denorm_mode_16_64 3
		.amdhsa_dx10_clamp 1
		.amdhsa_ieee_mode 1
		.amdhsa_fp16_overflow 0
		.amdhsa_tg_split 0
		.amdhsa_exception_fp_ieee_invalid_op 0
		.amdhsa_exception_fp_denorm_src 0
		.amdhsa_exception_fp_ieee_div_zero 0
		.amdhsa_exception_fp_ieee_overflow 0
		.amdhsa_exception_fp_ieee_underflow 0
		.amdhsa_exception_fp_ieee_inexact 0
		.amdhsa_exception_int_div_zero 0
	.end_amdhsa_kernel
	.section	.text._ZN7rocprim17ROCPRIM_400000_NS6detail17trampoline_kernelINS0_14default_configENS1_29reduce_by_key_config_selectorIjxN6thrust23THRUST_200600_302600_NS4plusIxEEEEZZNS1_33reduce_by_key_impl_wrapped_configILNS1_25lookback_scan_determinismE0ES3_S9_NS6_6detail15normal_iteratorINS6_10device_ptrIjEEEENSD_INSE_IxEEEENS6_16discard_iteratorINS6_11use_defaultEEESI_PmS8_NS6_8equal_toIjEEEE10hipError_tPvRmT2_T3_mT4_T5_T6_T7_T8_P12ihipStream_tbENKUlT_T0_E_clISt17integral_constantIbLb1EES15_IbLb0EEEEDaS11_S12_EUlS11_E_NS1_11comp_targetILNS1_3genE3ELNS1_11target_archE908ELNS1_3gpuE7ELNS1_3repE0EEENS1_30default_config_static_selectorELNS0_4arch9wavefront6targetE1EEEvT1_,"axG",@progbits,_ZN7rocprim17ROCPRIM_400000_NS6detail17trampoline_kernelINS0_14default_configENS1_29reduce_by_key_config_selectorIjxN6thrust23THRUST_200600_302600_NS4plusIxEEEEZZNS1_33reduce_by_key_impl_wrapped_configILNS1_25lookback_scan_determinismE0ES3_S9_NS6_6detail15normal_iteratorINS6_10device_ptrIjEEEENSD_INSE_IxEEEENS6_16discard_iteratorINS6_11use_defaultEEESI_PmS8_NS6_8equal_toIjEEEE10hipError_tPvRmT2_T3_mT4_T5_T6_T7_T8_P12ihipStream_tbENKUlT_T0_E_clISt17integral_constantIbLb1EES15_IbLb0EEEEDaS11_S12_EUlS11_E_NS1_11comp_targetILNS1_3genE3ELNS1_11target_archE908ELNS1_3gpuE7ELNS1_3repE0EEENS1_30default_config_static_selectorELNS0_4arch9wavefront6targetE1EEEvT1_,comdat
.Lfunc_end1006:
	.size	_ZN7rocprim17ROCPRIM_400000_NS6detail17trampoline_kernelINS0_14default_configENS1_29reduce_by_key_config_selectorIjxN6thrust23THRUST_200600_302600_NS4plusIxEEEEZZNS1_33reduce_by_key_impl_wrapped_configILNS1_25lookback_scan_determinismE0ES3_S9_NS6_6detail15normal_iteratorINS6_10device_ptrIjEEEENSD_INSE_IxEEEENS6_16discard_iteratorINS6_11use_defaultEEESI_PmS8_NS6_8equal_toIjEEEE10hipError_tPvRmT2_T3_mT4_T5_T6_T7_T8_P12ihipStream_tbENKUlT_T0_E_clISt17integral_constantIbLb1EES15_IbLb0EEEEDaS11_S12_EUlS11_E_NS1_11comp_targetILNS1_3genE3ELNS1_11target_archE908ELNS1_3gpuE7ELNS1_3repE0EEENS1_30default_config_static_selectorELNS0_4arch9wavefront6targetE1EEEvT1_, .Lfunc_end1006-_ZN7rocprim17ROCPRIM_400000_NS6detail17trampoline_kernelINS0_14default_configENS1_29reduce_by_key_config_selectorIjxN6thrust23THRUST_200600_302600_NS4plusIxEEEEZZNS1_33reduce_by_key_impl_wrapped_configILNS1_25lookback_scan_determinismE0ES3_S9_NS6_6detail15normal_iteratorINS6_10device_ptrIjEEEENSD_INSE_IxEEEENS6_16discard_iteratorINS6_11use_defaultEEESI_PmS8_NS6_8equal_toIjEEEE10hipError_tPvRmT2_T3_mT4_T5_T6_T7_T8_P12ihipStream_tbENKUlT_T0_E_clISt17integral_constantIbLb1EES15_IbLb0EEEEDaS11_S12_EUlS11_E_NS1_11comp_targetILNS1_3genE3ELNS1_11target_archE908ELNS1_3gpuE7ELNS1_3repE0EEENS1_30default_config_static_selectorELNS0_4arch9wavefront6targetE1EEEvT1_
                                        ; -- End function
	.section	.AMDGPU.csdata,"",@progbits
; Kernel info:
; codeLenInByte = 0
; NumSgprs: 4
; NumVgprs: 0
; NumAgprs: 0
; TotalNumVgprs: 0
; ScratchSize: 0
; MemoryBound: 0
; FloatMode: 240
; IeeeMode: 1
; LDSByteSize: 0 bytes/workgroup (compile time only)
; SGPRBlocks: 0
; VGPRBlocks: 0
; NumSGPRsForWavesPerEU: 4
; NumVGPRsForWavesPerEU: 1
; AccumOffset: 4
; Occupancy: 8
; WaveLimiterHint : 0
; COMPUTE_PGM_RSRC2:SCRATCH_EN: 0
; COMPUTE_PGM_RSRC2:USER_SGPR: 6
; COMPUTE_PGM_RSRC2:TRAP_HANDLER: 0
; COMPUTE_PGM_RSRC2:TGID_X_EN: 1
; COMPUTE_PGM_RSRC2:TGID_Y_EN: 0
; COMPUTE_PGM_RSRC2:TGID_Z_EN: 0
; COMPUTE_PGM_RSRC2:TIDIG_COMP_CNT: 0
; COMPUTE_PGM_RSRC3_GFX90A:ACCUM_OFFSET: 0
; COMPUTE_PGM_RSRC3_GFX90A:TG_SPLIT: 0
	.section	.text._ZN7rocprim17ROCPRIM_400000_NS6detail17trampoline_kernelINS0_14default_configENS1_29reduce_by_key_config_selectorIjxN6thrust23THRUST_200600_302600_NS4plusIxEEEEZZNS1_33reduce_by_key_impl_wrapped_configILNS1_25lookback_scan_determinismE0ES3_S9_NS6_6detail15normal_iteratorINS6_10device_ptrIjEEEENSD_INSE_IxEEEENS6_16discard_iteratorINS6_11use_defaultEEESI_PmS8_NS6_8equal_toIjEEEE10hipError_tPvRmT2_T3_mT4_T5_T6_T7_T8_P12ihipStream_tbENKUlT_T0_E_clISt17integral_constantIbLb1EES15_IbLb0EEEEDaS11_S12_EUlS11_E_NS1_11comp_targetILNS1_3genE2ELNS1_11target_archE906ELNS1_3gpuE6ELNS1_3repE0EEENS1_30default_config_static_selectorELNS0_4arch9wavefront6targetE1EEEvT1_,"axG",@progbits,_ZN7rocprim17ROCPRIM_400000_NS6detail17trampoline_kernelINS0_14default_configENS1_29reduce_by_key_config_selectorIjxN6thrust23THRUST_200600_302600_NS4plusIxEEEEZZNS1_33reduce_by_key_impl_wrapped_configILNS1_25lookback_scan_determinismE0ES3_S9_NS6_6detail15normal_iteratorINS6_10device_ptrIjEEEENSD_INSE_IxEEEENS6_16discard_iteratorINS6_11use_defaultEEESI_PmS8_NS6_8equal_toIjEEEE10hipError_tPvRmT2_T3_mT4_T5_T6_T7_T8_P12ihipStream_tbENKUlT_T0_E_clISt17integral_constantIbLb1EES15_IbLb0EEEEDaS11_S12_EUlS11_E_NS1_11comp_targetILNS1_3genE2ELNS1_11target_archE906ELNS1_3gpuE6ELNS1_3repE0EEENS1_30default_config_static_selectorELNS0_4arch9wavefront6targetE1EEEvT1_,comdat
	.protected	_ZN7rocprim17ROCPRIM_400000_NS6detail17trampoline_kernelINS0_14default_configENS1_29reduce_by_key_config_selectorIjxN6thrust23THRUST_200600_302600_NS4plusIxEEEEZZNS1_33reduce_by_key_impl_wrapped_configILNS1_25lookback_scan_determinismE0ES3_S9_NS6_6detail15normal_iteratorINS6_10device_ptrIjEEEENSD_INSE_IxEEEENS6_16discard_iteratorINS6_11use_defaultEEESI_PmS8_NS6_8equal_toIjEEEE10hipError_tPvRmT2_T3_mT4_T5_T6_T7_T8_P12ihipStream_tbENKUlT_T0_E_clISt17integral_constantIbLb1EES15_IbLb0EEEEDaS11_S12_EUlS11_E_NS1_11comp_targetILNS1_3genE2ELNS1_11target_archE906ELNS1_3gpuE6ELNS1_3repE0EEENS1_30default_config_static_selectorELNS0_4arch9wavefront6targetE1EEEvT1_ ; -- Begin function _ZN7rocprim17ROCPRIM_400000_NS6detail17trampoline_kernelINS0_14default_configENS1_29reduce_by_key_config_selectorIjxN6thrust23THRUST_200600_302600_NS4plusIxEEEEZZNS1_33reduce_by_key_impl_wrapped_configILNS1_25lookback_scan_determinismE0ES3_S9_NS6_6detail15normal_iteratorINS6_10device_ptrIjEEEENSD_INSE_IxEEEENS6_16discard_iteratorINS6_11use_defaultEEESI_PmS8_NS6_8equal_toIjEEEE10hipError_tPvRmT2_T3_mT4_T5_T6_T7_T8_P12ihipStream_tbENKUlT_T0_E_clISt17integral_constantIbLb1EES15_IbLb0EEEEDaS11_S12_EUlS11_E_NS1_11comp_targetILNS1_3genE2ELNS1_11target_archE906ELNS1_3gpuE6ELNS1_3repE0EEENS1_30default_config_static_selectorELNS0_4arch9wavefront6targetE1EEEvT1_
	.globl	_ZN7rocprim17ROCPRIM_400000_NS6detail17trampoline_kernelINS0_14default_configENS1_29reduce_by_key_config_selectorIjxN6thrust23THRUST_200600_302600_NS4plusIxEEEEZZNS1_33reduce_by_key_impl_wrapped_configILNS1_25lookback_scan_determinismE0ES3_S9_NS6_6detail15normal_iteratorINS6_10device_ptrIjEEEENSD_INSE_IxEEEENS6_16discard_iteratorINS6_11use_defaultEEESI_PmS8_NS6_8equal_toIjEEEE10hipError_tPvRmT2_T3_mT4_T5_T6_T7_T8_P12ihipStream_tbENKUlT_T0_E_clISt17integral_constantIbLb1EES15_IbLb0EEEEDaS11_S12_EUlS11_E_NS1_11comp_targetILNS1_3genE2ELNS1_11target_archE906ELNS1_3gpuE6ELNS1_3repE0EEENS1_30default_config_static_selectorELNS0_4arch9wavefront6targetE1EEEvT1_
	.p2align	8
	.type	_ZN7rocprim17ROCPRIM_400000_NS6detail17trampoline_kernelINS0_14default_configENS1_29reduce_by_key_config_selectorIjxN6thrust23THRUST_200600_302600_NS4plusIxEEEEZZNS1_33reduce_by_key_impl_wrapped_configILNS1_25lookback_scan_determinismE0ES3_S9_NS6_6detail15normal_iteratorINS6_10device_ptrIjEEEENSD_INSE_IxEEEENS6_16discard_iteratorINS6_11use_defaultEEESI_PmS8_NS6_8equal_toIjEEEE10hipError_tPvRmT2_T3_mT4_T5_T6_T7_T8_P12ihipStream_tbENKUlT_T0_E_clISt17integral_constantIbLb1EES15_IbLb0EEEEDaS11_S12_EUlS11_E_NS1_11comp_targetILNS1_3genE2ELNS1_11target_archE906ELNS1_3gpuE6ELNS1_3repE0EEENS1_30default_config_static_selectorELNS0_4arch9wavefront6targetE1EEEvT1_,@function
_ZN7rocprim17ROCPRIM_400000_NS6detail17trampoline_kernelINS0_14default_configENS1_29reduce_by_key_config_selectorIjxN6thrust23THRUST_200600_302600_NS4plusIxEEEEZZNS1_33reduce_by_key_impl_wrapped_configILNS1_25lookback_scan_determinismE0ES3_S9_NS6_6detail15normal_iteratorINS6_10device_ptrIjEEEENSD_INSE_IxEEEENS6_16discard_iteratorINS6_11use_defaultEEESI_PmS8_NS6_8equal_toIjEEEE10hipError_tPvRmT2_T3_mT4_T5_T6_T7_T8_P12ihipStream_tbENKUlT_T0_E_clISt17integral_constantIbLb1EES15_IbLb0EEEEDaS11_S12_EUlS11_E_NS1_11comp_targetILNS1_3genE2ELNS1_11target_archE906ELNS1_3gpuE6ELNS1_3repE0EEENS1_30default_config_static_selectorELNS0_4arch9wavefront6targetE1EEEvT1_: ; @_ZN7rocprim17ROCPRIM_400000_NS6detail17trampoline_kernelINS0_14default_configENS1_29reduce_by_key_config_selectorIjxN6thrust23THRUST_200600_302600_NS4plusIxEEEEZZNS1_33reduce_by_key_impl_wrapped_configILNS1_25lookback_scan_determinismE0ES3_S9_NS6_6detail15normal_iteratorINS6_10device_ptrIjEEEENSD_INSE_IxEEEENS6_16discard_iteratorINS6_11use_defaultEEESI_PmS8_NS6_8equal_toIjEEEE10hipError_tPvRmT2_T3_mT4_T5_T6_T7_T8_P12ihipStream_tbENKUlT_T0_E_clISt17integral_constantIbLb1EES15_IbLb0EEEEDaS11_S12_EUlS11_E_NS1_11comp_targetILNS1_3genE2ELNS1_11target_archE906ELNS1_3gpuE6ELNS1_3repE0EEENS1_30default_config_static_selectorELNS0_4arch9wavefront6targetE1EEEvT1_
; %bb.0:
	.section	.rodata,"a",@progbits
	.p2align	6, 0x0
	.amdhsa_kernel _ZN7rocprim17ROCPRIM_400000_NS6detail17trampoline_kernelINS0_14default_configENS1_29reduce_by_key_config_selectorIjxN6thrust23THRUST_200600_302600_NS4plusIxEEEEZZNS1_33reduce_by_key_impl_wrapped_configILNS1_25lookback_scan_determinismE0ES3_S9_NS6_6detail15normal_iteratorINS6_10device_ptrIjEEEENSD_INSE_IxEEEENS6_16discard_iteratorINS6_11use_defaultEEESI_PmS8_NS6_8equal_toIjEEEE10hipError_tPvRmT2_T3_mT4_T5_T6_T7_T8_P12ihipStream_tbENKUlT_T0_E_clISt17integral_constantIbLb1EES15_IbLb0EEEEDaS11_S12_EUlS11_E_NS1_11comp_targetILNS1_3genE2ELNS1_11target_archE906ELNS1_3gpuE6ELNS1_3repE0EEENS1_30default_config_static_selectorELNS0_4arch9wavefront6targetE1EEEvT1_
		.amdhsa_group_segment_fixed_size 0
		.amdhsa_private_segment_fixed_size 0
		.amdhsa_kernarg_size 144
		.amdhsa_user_sgpr_count 6
		.amdhsa_user_sgpr_private_segment_buffer 1
		.amdhsa_user_sgpr_dispatch_ptr 0
		.amdhsa_user_sgpr_queue_ptr 0
		.amdhsa_user_sgpr_kernarg_segment_ptr 1
		.amdhsa_user_sgpr_dispatch_id 0
		.amdhsa_user_sgpr_flat_scratch_init 0
		.amdhsa_user_sgpr_kernarg_preload_length 0
		.amdhsa_user_sgpr_kernarg_preload_offset 0
		.amdhsa_user_sgpr_private_segment_size 0
		.amdhsa_uses_dynamic_stack 0
		.amdhsa_system_sgpr_private_segment_wavefront_offset 0
		.amdhsa_system_sgpr_workgroup_id_x 1
		.amdhsa_system_sgpr_workgroup_id_y 0
		.amdhsa_system_sgpr_workgroup_id_z 0
		.amdhsa_system_sgpr_workgroup_info 0
		.amdhsa_system_vgpr_workitem_id 0
		.amdhsa_next_free_vgpr 1
		.amdhsa_next_free_sgpr 0
		.amdhsa_accum_offset 4
		.amdhsa_reserve_vcc 0
		.amdhsa_reserve_flat_scratch 0
		.amdhsa_float_round_mode_32 0
		.amdhsa_float_round_mode_16_64 0
		.amdhsa_float_denorm_mode_32 3
		.amdhsa_float_denorm_mode_16_64 3
		.amdhsa_dx10_clamp 1
		.amdhsa_ieee_mode 1
		.amdhsa_fp16_overflow 0
		.amdhsa_tg_split 0
		.amdhsa_exception_fp_ieee_invalid_op 0
		.amdhsa_exception_fp_denorm_src 0
		.amdhsa_exception_fp_ieee_div_zero 0
		.amdhsa_exception_fp_ieee_overflow 0
		.amdhsa_exception_fp_ieee_underflow 0
		.amdhsa_exception_fp_ieee_inexact 0
		.amdhsa_exception_int_div_zero 0
	.end_amdhsa_kernel
	.section	.text._ZN7rocprim17ROCPRIM_400000_NS6detail17trampoline_kernelINS0_14default_configENS1_29reduce_by_key_config_selectorIjxN6thrust23THRUST_200600_302600_NS4plusIxEEEEZZNS1_33reduce_by_key_impl_wrapped_configILNS1_25lookback_scan_determinismE0ES3_S9_NS6_6detail15normal_iteratorINS6_10device_ptrIjEEEENSD_INSE_IxEEEENS6_16discard_iteratorINS6_11use_defaultEEESI_PmS8_NS6_8equal_toIjEEEE10hipError_tPvRmT2_T3_mT4_T5_T6_T7_T8_P12ihipStream_tbENKUlT_T0_E_clISt17integral_constantIbLb1EES15_IbLb0EEEEDaS11_S12_EUlS11_E_NS1_11comp_targetILNS1_3genE2ELNS1_11target_archE906ELNS1_3gpuE6ELNS1_3repE0EEENS1_30default_config_static_selectorELNS0_4arch9wavefront6targetE1EEEvT1_,"axG",@progbits,_ZN7rocprim17ROCPRIM_400000_NS6detail17trampoline_kernelINS0_14default_configENS1_29reduce_by_key_config_selectorIjxN6thrust23THRUST_200600_302600_NS4plusIxEEEEZZNS1_33reduce_by_key_impl_wrapped_configILNS1_25lookback_scan_determinismE0ES3_S9_NS6_6detail15normal_iteratorINS6_10device_ptrIjEEEENSD_INSE_IxEEEENS6_16discard_iteratorINS6_11use_defaultEEESI_PmS8_NS6_8equal_toIjEEEE10hipError_tPvRmT2_T3_mT4_T5_T6_T7_T8_P12ihipStream_tbENKUlT_T0_E_clISt17integral_constantIbLb1EES15_IbLb0EEEEDaS11_S12_EUlS11_E_NS1_11comp_targetILNS1_3genE2ELNS1_11target_archE906ELNS1_3gpuE6ELNS1_3repE0EEENS1_30default_config_static_selectorELNS0_4arch9wavefront6targetE1EEEvT1_,comdat
.Lfunc_end1007:
	.size	_ZN7rocprim17ROCPRIM_400000_NS6detail17trampoline_kernelINS0_14default_configENS1_29reduce_by_key_config_selectorIjxN6thrust23THRUST_200600_302600_NS4plusIxEEEEZZNS1_33reduce_by_key_impl_wrapped_configILNS1_25lookback_scan_determinismE0ES3_S9_NS6_6detail15normal_iteratorINS6_10device_ptrIjEEEENSD_INSE_IxEEEENS6_16discard_iteratorINS6_11use_defaultEEESI_PmS8_NS6_8equal_toIjEEEE10hipError_tPvRmT2_T3_mT4_T5_T6_T7_T8_P12ihipStream_tbENKUlT_T0_E_clISt17integral_constantIbLb1EES15_IbLb0EEEEDaS11_S12_EUlS11_E_NS1_11comp_targetILNS1_3genE2ELNS1_11target_archE906ELNS1_3gpuE6ELNS1_3repE0EEENS1_30default_config_static_selectorELNS0_4arch9wavefront6targetE1EEEvT1_, .Lfunc_end1007-_ZN7rocprim17ROCPRIM_400000_NS6detail17trampoline_kernelINS0_14default_configENS1_29reduce_by_key_config_selectorIjxN6thrust23THRUST_200600_302600_NS4plusIxEEEEZZNS1_33reduce_by_key_impl_wrapped_configILNS1_25lookback_scan_determinismE0ES3_S9_NS6_6detail15normal_iteratorINS6_10device_ptrIjEEEENSD_INSE_IxEEEENS6_16discard_iteratorINS6_11use_defaultEEESI_PmS8_NS6_8equal_toIjEEEE10hipError_tPvRmT2_T3_mT4_T5_T6_T7_T8_P12ihipStream_tbENKUlT_T0_E_clISt17integral_constantIbLb1EES15_IbLb0EEEEDaS11_S12_EUlS11_E_NS1_11comp_targetILNS1_3genE2ELNS1_11target_archE906ELNS1_3gpuE6ELNS1_3repE0EEENS1_30default_config_static_selectorELNS0_4arch9wavefront6targetE1EEEvT1_
                                        ; -- End function
	.section	.AMDGPU.csdata,"",@progbits
; Kernel info:
; codeLenInByte = 0
; NumSgprs: 4
; NumVgprs: 0
; NumAgprs: 0
; TotalNumVgprs: 0
; ScratchSize: 0
; MemoryBound: 0
; FloatMode: 240
; IeeeMode: 1
; LDSByteSize: 0 bytes/workgroup (compile time only)
; SGPRBlocks: 0
; VGPRBlocks: 0
; NumSGPRsForWavesPerEU: 4
; NumVGPRsForWavesPerEU: 1
; AccumOffset: 4
; Occupancy: 8
; WaveLimiterHint : 0
; COMPUTE_PGM_RSRC2:SCRATCH_EN: 0
; COMPUTE_PGM_RSRC2:USER_SGPR: 6
; COMPUTE_PGM_RSRC2:TRAP_HANDLER: 0
; COMPUTE_PGM_RSRC2:TGID_X_EN: 1
; COMPUTE_PGM_RSRC2:TGID_Y_EN: 0
; COMPUTE_PGM_RSRC2:TGID_Z_EN: 0
; COMPUTE_PGM_RSRC2:TIDIG_COMP_CNT: 0
; COMPUTE_PGM_RSRC3_GFX90A:ACCUM_OFFSET: 0
; COMPUTE_PGM_RSRC3_GFX90A:TG_SPLIT: 0
	.section	.text._ZN7rocprim17ROCPRIM_400000_NS6detail17trampoline_kernelINS0_14default_configENS1_29reduce_by_key_config_selectorIjxN6thrust23THRUST_200600_302600_NS4plusIxEEEEZZNS1_33reduce_by_key_impl_wrapped_configILNS1_25lookback_scan_determinismE0ES3_S9_NS6_6detail15normal_iteratorINS6_10device_ptrIjEEEENSD_INSE_IxEEEENS6_16discard_iteratorINS6_11use_defaultEEESI_PmS8_NS6_8equal_toIjEEEE10hipError_tPvRmT2_T3_mT4_T5_T6_T7_T8_P12ihipStream_tbENKUlT_T0_E_clISt17integral_constantIbLb1EES15_IbLb0EEEEDaS11_S12_EUlS11_E_NS1_11comp_targetILNS1_3genE10ELNS1_11target_archE1201ELNS1_3gpuE5ELNS1_3repE0EEENS1_30default_config_static_selectorELNS0_4arch9wavefront6targetE1EEEvT1_,"axG",@progbits,_ZN7rocprim17ROCPRIM_400000_NS6detail17trampoline_kernelINS0_14default_configENS1_29reduce_by_key_config_selectorIjxN6thrust23THRUST_200600_302600_NS4plusIxEEEEZZNS1_33reduce_by_key_impl_wrapped_configILNS1_25lookback_scan_determinismE0ES3_S9_NS6_6detail15normal_iteratorINS6_10device_ptrIjEEEENSD_INSE_IxEEEENS6_16discard_iteratorINS6_11use_defaultEEESI_PmS8_NS6_8equal_toIjEEEE10hipError_tPvRmT2_T3_mT4_T5_T6_T7_T8_P12ihipStream_tbENKUlT_T0_E_clISt17integral_constantIbLb1EES15_IbLb0EEEEDaS11_S12_EUlS11_E_NS1_11comp_targetILNS1_3genE10ELNS1_11target_archE1201ELNS1_3gpuE5ELNS1_3repE0EEENS1_30default_config_static_selectorELNS0_4arch9wavefront6targetE1EEEvT1_,comdat
	.protected	_ZN7rocprim17ROCPRIM_400000_NS6detail17trampoline_kernelINS0_14default_configENS1_29reduce_by_key_config_selectorIjxN6thrust23THRUST_200600_302600_NS4plusIxEEEEZZNS1_33reduce_by_key_impl_wrapped_configILNS1_25lookback_scan_determinismE0ES3_S9_NS6_6detail15normal_iteratorINS6_10device_ptrIjEEEENSD_INSE_IxEEEENS6_16discard_iteratorINS6_11use_defaultEEESI_PmS8_NS6_8equal_toIjEEEE10hipError_tPvRmT2_T3_mT4_T5_T6_T7_T8_P12ihipStream_tbENKUlT_T0_E_clISt17integral_constantIbLb1EES15_IbLb0EEEEDaS11_S12_EUlS11_E_NS1_11comp_targetILNS1_3genE10ELNS1_11target_archE1201ELNS1_3gpuE5ELNS1_3repE0EEENS1_30default_config_static_selectorELNS0_4arch9wavefront6targetE1EEEvT1_ ; -- Begin function _ZN7rocprim17ROCPRIM_400000_NS6detail17trampoline_kernelINS0_14default_configENS1_29reduce_by_key_config_selectorIjxN6thrust23THRUST_200600_302600_NS4plusIxEEEEZZNS1_33reduce_by_key_impl_wrapped_configILNS1_25lookback_scan_determinismE0ES3_S9_NS6_6detail15normal_iteratorINS6_10device_ptrIjEEEENSD_INSE_IxEEEENS6_16discard_iteratorINS6_11use_defaultEEESI_PmS8_NS6_8equal_toIjEEEE10hipError_tPvRmT2_T3_mT4_T5_T6_T7_T8_P12ihipStream_tbENKUlT_T0_E_clISt17integral_constantIbLb1EES15_IbLb0EEEEDaS11_S12_EUlS11_E_NS1_11comp_targetILNS1_3genE10ELNS1_11target_archE1201ELNS1_3gpuE5ELNS1_3repE0EEENS1_30default_config_static_selectorELNS0_4arch9wavefront6targetE1EEEvT1_
	.globl	_ZN7rocprim17ROCPRIM_400000_NS6detail17trampoline_kernelINS0_14default_configENS1_29reduce_by_key_config_selectorIjxN6thrust23THRUST_200600_302600_NS4plusIxEEEEZZNS1_33reduce_by_key_impl_wrapped_configILNS1_25lookback_scan_determinismE0ES3_S9_NS6_6detail15normal_iteratorINS6_10device_ptrIjEEEENSD_INSE_IxEEEENS6_16discard_iteratorINS6_11use_defaultEEESI_PmS8_NS6_8equal_toIjEEEE10hipError_tPvRmT2_T3_mT4_T5_T6_T7_T8_P12ihipStream_tbENKUlT_T0_E_clISt17integral_constantIbLb1EES15_IbLb0EEEEDaS11_S12_EUlS11_E_NS1_11comp_targetILNS1_3genE10ELNS1_11target_archE1201ELNS1_3gpuE5ELNS1_3repE0EEENS1_30default_config_static_selectorELNS0_4arch9wavefront6targetE1EEEvT1_
	.p2align	8
	.type	_ZN7rocprim17ROCPRIM_400000_NS6detail17trampoline_kernelINS0_14default_configENS1_29reduce_by_key_config_selectorIjxN6thrust23THRUST_200600_302600_NS4plusIxEEEEZZNS1_33reduce_by_key_impl_wrapped_configILNS1_25lookback_scan_determinismE0ES3_S9_NS6_6detail15normal_iteratorINS6_10device_ptrIjEEEENSD_INSE_IxEEEENS6_16discard_iteratorINS6_11use_defaultEEESI_PmS8_NS6_8equal_toIjEEEE10hipError_tPvRmT2_T3_mT4_T5_T6_T7_T8_P12ihipStream_tbENKUlT_T0_E_clISt17integral_constantIbLb1EES15_IbLb0EEEEDaS11_S12_EUlS11_E_NS1_11comp_targetILNS1_3genE10ELNS1_11target_archE1201ELNS1_3gpuE5ELNS1_3repE0EEENS1_30default_config_static_selectorELNS0_4arch9wavefront6targetE1EEEvT1_,@function
_ZN7rocprim17ROCPRIM_400000_NS6detail17trampoline_kernelINS0_14default_configENS1_29reduce_by_key_config_selectorIjxN6thrust23THRUST_200600_302600_NS4plusIxEEEEZZNS1_33reduce_by_key_impl_wrapped_configILNS1_25lookback_scan_determinismE0ES3_S9_NS6_6detail15normal_iteratorINS6_10device_ptrIjEEEENSD_INSE_IxEEEENS6_16discard_iteratorINS6_11use_defaultEEESI_PmS8_NS6_8equal_toIjEEEE10hipError_tPvRmT2_T3_mT4_T5_T6_T7_T8_P12ihipStream_tbENKUlT_T0_E_clISt17integral_constantIbLb1EES15_IbLb0EEEEDaS11_S12_EUlS11_E_NS1_11comp_targetILNS1_3genE10ELNS1_11target_archE1201ELNS1_3gpuE5ELNS1_3repE0EEENS1_30default_config_static_selectorELNS0_4arch9wavefront6targetE1EEEvT1_: ; @_ZN7rocprim17ROCPRIM_400000_NS6detail17trampoline_kernelINS0_14default_configENS1_29reduce_by_key_config_selectorIjxN6thrust23THRUST_200600_302600_NS4plusIxEEEEZZNS1_33reduce_by_key_impl_wrapped_configILNS1_25lookback_scan_determinismE0ES3_S9_NS6_6detail15normal_iteratorINS6_10device_ptrIjEEEENSD_INSE_IxEEEENS6_16discard_iteratorINS6_11use_defaultEEESI_PmS8_NS6_8equal_toIjEEEE10hipError_tPvRmT2_T3_mT4_T5_T6_T7_T8_P12ihipStream_tbENKUlT_T0_E_clISt17integral_constantIbLb1EES15_IbLb0EEEEDaS11_S12_EUlS11_E_NS1_11comp_targetILNS1_3genE10ELNS1_11target_archE1201ELNS1_3gpuE5ELNS1_3repE0EEENS1_30default_config_static_selectorELNS0_4arch9wavefront6targetE1EEEvT1_
; %bb.0:
	.section	.rodata,"a",@progbits
	.p2align	6, 0x0
	.amdhsa_kernel _ZN7rocprim17ROCPRIM_400000_NS6detail17trampoline_kernelINS0_14default_configENS1_29reduce_by_key_config_selectorIjxN6thrust23THRUST_200600_302600_NS4plusIxEEEEZZNS1_33reduce_by_key_impl_wrapped_configILNS1_25lookback_scan_determinismE0ES3_S9_NS6_6detail15normal_iteratorINS6_10device_ptrIjEEEENSD_INSE_IxEEEENS6_16discard_iteratorINS6_11use_defaultEEESI_PmS8_NS6_8equal_toIjEEEE10hipError_tPvRmT2_T3_mT4_T5_T6_T7_T8_P12ihipStream_tbENKUlT_T0_E_clISt17integral_constantIbLb1EES15_IbLb0EEEEDaS11_S12_EUlS11_E_NS1_11comp_targetILNS1_3genE10ELNS1_11target_archE1201ELNS1_3gpuE5ELNS1_3repE0EEENS1_30default_config_static_selectorELNS0_4arch9wavefront6targetE1EEEvT1_
		.amdhsa_group_segment_fixed_size 0
		.amdhsa_private_segment_fixed_size 0
		.amdhsa_kernarg_size 144
		.amdhsa_user_sgpr_count 6
		.amdhsa_user_sgpr_private_segment_buffer 1
		.amdhsa_user_sgpr_dispatch_ptr 0
		.amdhsa_user_sgpr_queue_ptr 0
		.amdhsa_user_sgpr_kernarg_segment_ptr 1
		.amdhsa_user_sgpr_dispatch_id 0
		.amdhsa_user_sgpr_flat_scratch_init 0
		.amdhsa_user_sgpr_kernarg_preload_length 0
		.amdhsa_user_sgpr_kernarg_preload_offset 0
		.amdhsa_user_sgpr_private_segment_size 0
		.amdhsa_uses_dynamic_stack 0
		.amdhsa_system_sgpr_private_segment_wavefront_offset 0
		.amdhsa_system_sgpr_workgroup_id_x 1
		.amdhsa_system_sgpr_workgroup_id_y 0
		.amdhsa_system_sgpr_workgroup_id_z 0
		.amdhsa_system_sgpr_workgroup_info 0
		.amdhsa_system_vgpr_workitem_id 0
		.amdhsa_next_free_vgpr 1
		.amdhsa_next_free_sgpr 0
		.amdhsa_accum_offset 4
		.amdhsa_reserve_vcc 0
		.amdhsa_reserve_flat_scratch 0
		.amdhsa_float_round_mode_32 0
		.amdhsa_float_round_mode_16_64 0
		.amdhsa_float_denorm_mode_32 3
		.amdhsa_float_denorm_mode_16_64 3
		.amdhsa_dx10_clamp 1
		.amdhsa_ieee_mode 1
		.amdhsa_fp16_overflow 0
		.amdhsa_tg_split 0
		.amdhsa_exception_fp_ieee_invalid_op 0
		.amdhsa_exception_fp_denorm_src 0
		.amdhsa_exception_fp_ieee_div_zero 0
		.amdhsa_exception_fp_ieee_overflow 0
		.amdhsa_exception_fp_ieee_underflow 0
		.amdhsa_exception_fp_ieee_inexact 0
		.amdhsa_exception_int_div_zero 0
	.end_amdhsa_kernel
	.section	.text._ZN7rocprim17ROCPRIM_400000_NS6detail17trampoline_kernelINS0_14default_configENS1_29reduce_by_key_config_selectorIjxN6thrust23THRUST_200600_302600_NS4plusIxEEEEZZNS1_33reduce_by_key_impl_wrapped_configILNS1_25lookback_scan_determinismE0ES3_S9_NS6_6detail15normal_iteratorINS6_10device_ptrIjEEEENSD_INSE_IxEEEENS6_16discard_iteratorINS6_11use_defaultEEESI_PmS8_NS6_8equal_toIjEEEE10hipError_tPvRmT2_T3_mT4_T5_T6_T7_T8_P12ihipStream_tbENKUlT_T0_E_clISt17integral_constantIbLb1EES15_IbLb0EEEEDaS11_S12_EUlS11_E_NS1_11comp_targetILNS1_3genE10ELNS1_11target_archE1201ELNS1_3gpuE5ELNS1_3repE0EEENS1_30default_config_static_selectorELNS0_4arch9wavefront6targetE1EEEvT1_,"axG",@progbits,_ZN7rocprim17ROCPRIM_400000_NS6detail17trampoline_kernelINS0_14default_configENS1_29reduce_by_key_config_selectorIjxN6thrust23THRUST_200600_302600_NS4plusIxEEEEZZNS1_33reduce_by_key_impl_wrapped_configILNS1_25lookback_scan_determinismE0ES3_S9_NS6_6detail15normal_iteratorINS6_10device_ptrIjEEEENSD_INSE_IxEEEENS6_16discard_iteratorINS6_11use_defaultEEESI_PmS8_NS6_8equal_toIjEEEE10hipError_tPvRmT2_T3_mT4_T5_T6_T7_T8_P12ihipStream_tbENKUlT_T0_E_clISt17integral_constantIbLb1EES15_IbLb0EEEEDaS11_S12_EUlS11_E_NS1_11comp_targetILNS1_3genE10ELNS1_11target_archE1201ELNS1_3gpuE5ELNS1_3repE0EEENS1_30default_config_static_selectorELNS0_4arch9wavefront6targetE1EEEvT1_,comdat
.Lfunc_end1008:
	.size	_ZN7rocprim17ROCPRIM_400000_NS6detail17trampoline_kernelINS0_14default_configENS1_29reduce_by_key_config_selectorIjxN6thrust23THRUST_200600_302600_NS4plusIxEEEEZZNS1_33reduce_by_key_impl_wrapped_configILNS1_25lookback_scan_determinismE0ES3_S9_NS6_6detail15normal_iteratorINS6_10device_ptrIjEEEENSD_INSE_IxEEEENS6_16discard_iteratorINS6_11use_defaultEEESI_PmS8_NS6_8equal_toIjEEEE10hipError_tPvRmT2_T3_mT4_T5_T6_T7_T8_P12ihipStream_tbENKUlT_T0_E_clISt17integral_constantIbLb1EES15_IbLb0EEEEDaS11_S12_EUlS11_E_NS1_11comp_targetILNS1_3genE10ELNS1_11target_archE1201ELNS1_3gpuE5ELNS1_3repE0EEENS1_30default_config_static_selectorELNS0_4arch9wavefront6targetE1EEEvT1_, .Lfunc_end1008-_ZN7rocprim17ROCPRIM_400000_NS6detail17trampoline_kernelINS0_14default_configENS1_29reduce_by_key_config_selectorIjxN6thrust23THRUST_200600_302600_NS4plusIxEEEEZZNS1_33reduce_by_key_impl_wrapped_configILNS1_25lookback_scan_determinismE0ES3_S9_NS6_6detail15normal_iteratorINS6_10device_ptrIjEEEENSD_INSE_IxEEEENS6_16discard_iteratorINS6_11use_defaultEEESI_PmS8_NS6_8equal_toIjEEEE10hipError_tPvRmT2_T3_mT4_T5_T6_T7_T8_P12ihipStream_tbENKUlT_T0_E_clISt17integral_constantIbLb1EES15_IbLb0EEEEDaS11_S12_EUlS11_E_NS1_11comp_targetILNS1_3genE10ELNS1_11target_archE1201ELNS1_3gpuE5ELNS1_3repE0EEENS1_30default_config_static_selectorELNS0_4arch9wavefront6targetE1EEEvT1_
                                        ; -- End function
	.section	.AMDGPU.csdata,"",@progbits
; Kernel info:
; codeLenInByte = 0
; NumSgprs: 4
; NumVgprs: 0
; NumAgprs: 0
; TotalNumVgprs: 0
; ScratchSize: 0
; MemoryBound: 0
; FloatMode: 240
; IeeeMode: 1
; LDSByteSize: 0 bytes/workgroup (compile time only)
; SGPRBlocks: 0
; VGPRBlocks: 0
; NumSGPRsForWavesPerEU: 4
; NumVGPRsForWavesPerEU: 1
; AccumOffset: 4
; Occupancy: 8
; WaveLimiterHint : 0
; COMPUTE_PGM_RSRC2:SCRATCH_EN: 0
; COMPUTE_PGM_RSRC2:USER_SGPR: 6
; COMPUTE_PGM_RSRC2:TRAP_HANDLER: 0
; COMPUTE_PGM_RSRC2:TGID_X_EN: 1
; COMPUTE_PGM_RSRC2:TGID_Y_EN: 0
; COMPUTE_PGM_RSRC2:TGID_Z_EN: 0
; COMPUTE_PGM_RSRC2:TIDIG_COMP_CNT: 0
; COMPUTE_PGM_RSRC3_GFX90A:ACCUM_OFFSET: 0
; COMPUTE_PGM_RSRC3_GFX90A:TG_SPLIT: 0
	.section	.text._ZN7rocprim17ROCPRIM_400000_NS6detail17trampoline_kernelINS0_14default_configENS1_29reduce_by_key_config_selectorIjxN6thrust23THRUST_200600_302600_NS4plusIxEEEEZZNS1_33reduce_by_key_impl_wrapped_configILNS1_25lookback_scan_determinismE0ES3_S9_NS6_6detail15normal_iteratorINS6_10device_ptrIjEEEENSD_INSE_IxEEEENS6_16discard_iteratorINS6_11use_defaultEEESI_PmS8_NS6_8equal_toIjEEEE10hipError_tPvRmT2_T3_mT4_T5_T6_T7_T8_P12ihipStream_tbENKUlT_T0_E_clISt17integral_constantIbLb1EES15_IbLb0EEEEDaS11_S12_EUlS11_E_NS1_11comp_targetILNS1_3genE10ELNS1_11target_archE1200ELNS1_3gpuE4ELNS1_3repE0EEENS1_30default_config_static_selectorELNS0_4arch9wavefront6targetE1EEEvT1_,"axG",@progbits,_ZN7rocprim17ROCPRIM_400000_NS6detail17trampoline_kernelINS0_14default_configENS1_29reduce_by_key_config_selectorIjxN6thrust23THRUST_200600_302600_NS4plusIxEEEEZZNS1_33reduce_by_key_impl_wrapped_configILNS1_25lookback_scan_determinismE0ES3_S9_NS6_6detail15normal_iteratorINS6_10device_ptrIjEEEENSD_INSE_IxEEEENS6_16discard_iteratorINS6_11use_defaultEEESI_PmS8_NS6_8equal_toIjEEEE10hipError_tPvRmT2_T3_mT4_T5_T6_T7_T8_P12ihipStream_tbENKUlT_T0_E_clISt17integral_constantIbLb1EES15_IbLb0EEEEDaS11_S12_EUlS11_E_NS1_11comp_targetILNS1_3genE10ELNS1_11target_archE1200ELNS1_3gpuE4ELNS1_3repE0EEENS1_30default_config_static_selectorELNS0_4arch9wavefront6targetE1EEEvT1_,comdat
	.protected	_ZN7rocprim17ROCPRIM_400000_NS6detail17trampoline_kernelINS0_14default_configENS1_29reduce_by_key_config_selectorIjxN6thrust23THRUST_200600_302600_NS4plusIxEEEEZZNS1_33reduce_by_key_impl_wrapped_configILNS1_25lookback_scan_determinismE0ES3_S9_NS6_6detail15normal_iteratorINS6_10device_ptrIjEEEENSD_INSE_IxEEEENS6_16discard_iteratorINS6_11use_defaultEEESI_PmS8_NS6_8equal_toIjEEEE10hipError_tPvRmT2_T3_mT4_T5_T6_T7_T8_P12ihipStream_tbENKUlT_T0_E_clISt17integral_constantIbLb1EES15_IbLb0EEEEDaS11_S12_EUlS11_E_NS1_11comp_targetILNS1_3genE10ELNS1_11target_archE1200ELNS1_3gpuE4ELNS1_3repE0EEENS1_30default_config_static_selectorELNS0_4arch9wavefront6targetE1EEEvT1_ ; -- Begin function _ZN7rocprim17ROCPRIM_400000_NS6detail17trampoline_kernelINS0_14default_configENS1_29reduce_by_key_config_selectorIjxN6thrust23THRUST_200600_302600_NS4plusIxEEEEZZNS1_33reduce_by_key_impl_wrapped_configILNS1_25lookback_scan_determinismE0ES3_S9_NS6_6detail15normal_iteratorINS6_10device_ptrIjEEEENSD_INSE_IxEEEENS6_16discard_iteratorINS6_11use_defaultEEESI_PmS8_NS6_8equal_toIjEEEE10hipError_tPvRmT2_T3_mT4_T5_T6_T7_T8_P12ihipStream_tbENKUlT_T0_E_clISt17integral_constantIbLb1EES15_IbLb0EEEEDaS11_S12_EUlS11_E_NS1_11comp_targetILNS1_3genE10ELNS1_11target_archE1200ELNS1_3gpuE4ELNS1_3repE0EEENS1_30default_config_static_selectorELNS0_4arch9wavefront6targetE1EEEvT1_
	.globl	_ZN7rocprim17ROCPRIM_400000_NS6detail17trampoline_kernelINS0_14default_configENS1_29reduce_by_key_config_selectorIjxN6thrust23THRUST_200600_302600_NS4plusIxEEEEZZNS1_33reduce_by_key_impl_wrapped_configILNS1_25lookback_scan_determinismE0ES3_S9_NS6_6detail15normal_iteratorINS6_10device_ptrIjEEEENSD_INSE_IxEEEENS6_16discard_iteratorINS6_11use_defaultEEESI_PmS8_NS6_8equal_toIjEEEE10hipError_tPvRmT2_T3_mT4_T5_T6_T7_T8_P12ihipStream_tbENKUlT_T0_E_clISt17integral_constantIbLb1EES15_IbLb0EEEEDaS11_S12_EUlS11_E_NS1_11comp_targetILNS1_3genE10ELNS1_11target_archE1200ELNS1_3gpuE4ELNS1_3repE0EEENS1_30default_config_static_selectorELNS0_4arch9wavefront6targetE1EEEvT1_
	.p2align	8
	.type	_ZN7rocprim17ROCPRIM_400000_NS6detail17trampoline_kernelINS0_14default_configENS1_29reduce_by_key_config_selectorIjxN6thrust23THRUST_200600_302600_NS4plusIxEEEEZZNS1_33reduce_by_key_impl_wrapped_configILNS1_25lookback_scan_determinismE0ES3_S9_NS6_6detail15normal_iteratorINS6_10device_ptrIjEEEENSD_INSE_IxEEEENS6_16discard_iteratorINS6_11use_defaultEEESI_PmS8_NS6_8equal_toIjEEEE10hipError_tPvRmT2_T3_mT4_T5_T6_T7_T8_P12ihipStream_tbENKUlT_T0_E_clISt17integral_constantIbLb1EES15_IbLb0EEEEDaS11_S12_EUlS11_E_NS1_11comp_targetILNS1_3genE10ELNS1_11target_archE1200ELNS1_3gpuE4ELNS1_3repE0EEENS1_30default_config_static_selectorELNS0_4arch9wavefront6targetE1EEEvT1_,@function
_ZN7rocprim17ROCPRIM_400000_NS6detail17trampoline_kernelINS0_14default_configENS1_29reduce_by_key_config_selectorIjxN6thrust23THRUST_200600_302600_NS4plusIxEEEEZZNS1_33reduce_by_key_impl_wrapped_configILNS1_25lookback_scan_determinismE0ES3_S9_NS6_6detail15normal_iteratorINS6_10device_ptrIjEEEENSD_INSE_IxEEEENS6_16discard_iteratorINS6_11use_defaultEEESI_PmS8_NS6_8equal_toIjEEEE10hipError_tPvRmT2_T3_mT4_T5_T6_T7_T8_P12ihipStream_tbENKUlT_T0_E_clISt17integral_constantIbLb1EES15_IbLb0EEEEDaS11_S12_EUlS11_E_NS1_11comp_targetILNS1_3genE10ELNS1_11target_archE1200ELNS1_3gpuE4ELNS1_3repE0EEENS1_30default_config_static_selectorELNS0_4arch9wavefront6targetE1EEEvT1_: ; @_ZN7rocprim17ROCPRIM_400000_NS6detail17trampoline_kernelINS0_14default_configENS1_29reduce_by_key_config_selectorIjxN6thrust23THRUST_200600_302600_NS4plusIxEEEEZZNS1_33reduce_by_key_impl_wrapped_configILNS1_25lookback_scan_determinismE0ES3_S9_NS6_6detail15normal_iteratorINS6_10device_ptrIjEEEENSD_INSE_IxEEEENS6_16discard_iteratorINS6_11use_defaultEEESI_PmS8_NS6_8equal_toIjEEEE10hipError_tPvRmT2_T3_mT4_T5_T6_T7_T8_P12ihipStream_tbENKUlT_T0_E_clISt17integral_constantIbLb1EES15_IbLb0EEEEDaS11_S12_EUlS11_E_NS1_11comp_targetILNS1_3genE10ELNS1_11target_archE1200ELNS1_3gpuE4ELNS1_3repE0EEENS1_30default_config_static_selectorELNS0_4arch9wavefront6targetE1EEEvT1_
; %bb.0:
	.section	.rodata,"a",@progbits
	.p2align	6, 0x0
	.amdhsa_kernel _ZN7rocprim17ROCPRIM_400000_NS6detail17trampoline_kernelINS0_14default_configENS1_29reduce_by_key_config_selectorIjxN6thrust23THRUST_200600_302600_NS4plusIxEEEEZZNS1_33reduce_by_key_impl_wrapped_configILNS1_25lookback_scan_determinismE0ES3_S9_NS6_6detail15normal_iteratorINS6_10device_ptrIjEEEENSD_INSE_IxEEEENS6_16discard_iteratorINS6_11use_defaultEEESI_PmS8_NS6_8equal_toIjEEEE10hipError_tPvRmT2_T3_mT4_T5_T6_T7_T8_P12ihipStream_tbENKUlT_T0_E_clISt17integral_constantIbLb1EES15_IbLb0EEEEDaS11_S12_EUlS11_E_NS1_11comp_targetILNS1_3genE10ELNS1_11target_archE1200ELNS1_3gpuE4ELNS1_3repE0EEENS1_30default_config_static_selectorELNS0_4arch9wavefront6targetE1EEEvT1_
		.amdhsa_group_segment_fixed_size 0
		.amdhsa_private_segment_fixed_size 0
		.amdhsa_kernarg_size 144
		.amdhsa_user_sgpr_count 6
		.amdhsa_user_sgpr_private_segment_buffer 1
		.amdhsa_user_sgpr_dispatch_ptr 0
		.amdhsa_user_sgpr_queue_ptr 0
		.amdhsa_user_sgpr_kernarg_segment_ptr 1
		.amdhsa_user_sgpr_dispatch_id 0
		.amdhsa_user_sgpr_flat_scratch_init 0
		.amdhsa_user_sgpr_kernarg_preload_length 0
		.amdhsa_user_sgpr_kernarg_preload_offset 0
		.amdhsa_user_sgpr_private_segment_size 0
		.amdhsa_uses_dynamic_stack 0
		.amdhsa_system_sgpr_private_segment_wavefront_offset 0
		.amdhsa_system_sgpr_workgroup_id_x 1
		.amdhsa_system_sgpr_workgroup_id_y 0
		.amdhsa_system_sgpr_workgroup_id_z 0
		.amdhsa_system_sgpr_workgroup_info 0
		.amdhsa_system_vgpr_workitem_id 0
		.amdhsa_next_free_vgpr 1
		.amdhsa_next_free_sgpr 0
		.amdhsa_accum_offset 4
		.amdhsa_reserve_vcc 0
		.amdhsa_reserve_flat_scratch 0
		.amdhsa_float_round_mode_32 0
		.amdhsa_float_round_mode_16_64 0
		.amdhsa_float_denorm_mode_32 3
		.amdhsa_float_denorm_mode_16_64 3
		.amdhsa_dx10_clamp 1
		.amdhsa_ieee_mode 1
		.amdhsa_fp16_overflow 0
		.amdhsa_tg_split 0
		.amdhsa_exception_fp_ieee_invalid_op 0
		.amdhsa_exception_fp_denorm_src 0
		.amdhsa_exception_fp_ieee_div_zero 0
		.amdhsa_exception_fp_ieee_overflow 0
		.amdhsa_exception_fp_ieee_underflow 0
		.amdhsa_exception_fp_ieee_inexact 0
		.amdhsa_exception_int_div_zero 0
	.end_amdhsa_kernel
	.section	.text._ZN7rocprim17ROCPRIM_400000_NS6detail17trampoline_kernelINS0_14default_configENS1_29reduce_by_key_config_selectorIjxN6thrust23THRUST_200600_302600_NS4plusIxEEEEZZNS1_33reduce_by_key_impl_wrapped_configILNS1_25lookback_scan_determinismE0ES3_S9_NS6_6detail15normal_iteratorINS6_10device_ptrIjEEEENSD_INSE_IxEEEENS6_16discard_iteratorINS6_11use_defaultEEESI_PmS8_NS6_8equal_toIjEEEE10hipError_tPvRmT2_T3_mT4_T5_T6_T7_T8_P12ihipStream_tbENKUlT_T0_E_clISt17integral_constantIbLb1EES15_IbLb0EEEEDaS11_S12_EUlS11_E_NS1_11comp_targetILNS1_3genE10ELNS1_11target_archE1200ELNS1_3gpuE4ELNS1_3repE0EEENS1_30default_config_static_selectorELNS0_4arch9wavefront6targetE1EEEvT1_,"axG",@progbits,_ZN7rocprim17ROCPRIM_400000_NS6detail17trampoline_kernelINS0_14default_configENS1_29reduce_by_key_config_selectorIjxN6thrust23THRUST_200600_302600_NS4plusIxEEEEZZNS1_33reduce_by_key_impl_wrapped_configILNS1_25lookback_scan_determinismE0ES3_S9_NS6_6detail15normal_iteratorINS6_10device_ptrIjEEEENSD_INSE_IxEEEENS6_16discard_iteratorINS6_11use_defaultEEESI_PmS8_NS6_8equal_toIjEEEE10hipError_tPvRmT2_T3_mT4_T5_T6_T7_T8_P12ihipStream_tbENKUlT_T0_E_clISt17integral_constantIbLb1EES15_IbLb0EEEEDaS11_S12_EUlS11_E_NS1_11comp_targetILNS1_3genE10ELNS1_11target_archE1200ELNS1_3gpuE4ELNS1_3repE0EEENS1_30default_config_static_selectorELNS0_4arch9wavefront6targetE1EEEvT1_,comdat
.Lfunc_end1009:
	.size	_ZN7rocprim17ROCPRIM_400000_NS6detail17trampoline_kernelINS0_14default_configENS1_29reduce_by_key_config_selectorIjxN6thrust23THRUST_200600_302600_NS4plusIxEEEEZZNS1_33reduce_by_key_impl_wrapped_configILNS1_25lookback_scan_determinismE0ES3_S9_NS6_6detail15normal_iteratorINS6_10device_ptrIjEEEENSD_INSE_IxEEEENS6_16discard_iteratorINS6_11use_defaultEEESI_PmS8_NS6_8equal_toIjEEEE10hipError_tPvRmT2_T3_mT4_T5_T6_T7_T8_P12ihipStream_tbENKUlT_T0_E_clISt17integral_constantIbLb1EES15_IbLb0EEEEDaS11_S12_EUlS11_E_NS1_11comp_targetILNS1_3genE10ELNS1_11target_archE1200ELNS1_3gpuE4ELNS1_3repE0EEENS1_30default_config_static_selectorELNS0_4arch9wavefront6targetE1EEEvT1_, .Lfunc_end1009-_ZN7rocprim17ROCPRIM_400000_NS6detail17trampoline_kernelINS0_14default_configENS1_29reduce_by_key_config_selectorIjxN6thrust23THRUST_200600_302600_NS4plusIxEEEEZZNS1_33reduce_by_key_impl_wrapped_configILNS1_25lookback_scan_determinismE0ES3_S9_NS6_6detail15normal_iteratorINS6_10device_ptrIjEEEENSD_INSE_IxEEEENS6_16discard_iteratorINS6_11use_defaultEEESI_PmS8_NS6_8equal_toIjEEEE10hipError_tPvRmT2_T3_mT4_T5_T6_T7_T8_P12ihipStream_tbENKUlT_T0_E_clISt17integral_constantIbLb1EES15_IbLb0EEEEDaS11_S12_EUlS11_E_NS1_11comp_targetILNS1_3genE10ELNS1_11target_archE1200ELNS1_3gpuE4ELNS1_3repE0EEENS1_30default_config_static_selectorELNS0_4arch9wavefront6targetE1EEEvT1_
                                        ; -- End function
	.section	.AMDGPU.csdata,"",@progbits
; Kernel info:
; codeLenInByte = 0
; NumSgprs: 4
; NumVgprs: 0
; NumAgprs: 0
; TotalNumVgprs: 0
; ScratchSize: 0
; MemoryBound: 0
; FloatMode: 240
; IeeeMode: 1
; LDSByteSize: 0 bytes/workgroup (compile time only)
; SGPRBlocks: 0
; VGPRBlocks: 0
; NumSGPRsForWavesPerEU: 4
; NumVGPRsForWavesPerEU: 1
; AccumOffset: 4
; Occupancy: 8
; WaveLimiterHint : 0
; COMPUTE_PGM_RSRC2:SCRATCH_EN: 0
; COMPUTE_PGM_RSRC2:USER_SGPR: 6
; COMPUTE_PGM_RSRC2:TRAP_HANDLER: 0
; COMPUTE_PGM_RSRC2:TGID_X_EN: 1
; COMPUTE_PGM_RSRC2:TGID_Y_EN: 0
; COMPUTE_PGM_RSRC2:TGID_Z_EN: 0
; COMPUTE_PGM_RSRC2:TIDIG_COMP_CNT: 0
; COMPUTE_PGM_RSRC3_GFX90A:ACCUM_OFFSET: 0
; COMPUTE_PGM_RSRC3_GFX90A:TG_SPLIT: 0
	.section	.text._ZN7rocprim17ROCPRIM_400000_NS6detail17trampoline_kernelINS0_14default_configENS1_29reduce_by_key_config_selectorIjxN6thrust23THRUST_200600_302600_NS4plusIxEEEEZZNS1_33reduce_by_key_impl_wrapped_configILNS1_25lookback_scan_determinismE0ES3_S9_NS6_6detail15normal_iteratorINS6_10device_ptrIjEEEENSD_INSE_IxEEEENS6_16discard_iteratorINS6_11use_defaultEEESI_PmS8_NS6_8equal_toIjEEEE10hipError_tPvRmT2_T3_mT4_T5_T6_T7_T8_P12ihipStream_tbENKUlT_T0_E_clISt17integral_constantIbLb1EES15_IbLb0EEEEDaS11_S12_EUlS11_E_NS1_11comp_targetILNS1_3genE9ELNS1_11target_archE1100ELNS1_3gpuE3ELNS1_3repE0EEENS1_30default_config_static_selectorELNS0_4arch9wavefront6targetE1EEEvT1_,"axG",@progbits,_ZN7rocprim17ROCPRIM_400000_NS6detail17trampoline_kernelINS0_14default_configENS1_29reduce_by_key_config_selectorIjxN6thrust23THRUST_200600_302600_NS4plusIxEEEEZZNS1_33reduce_by_key_impl_wrapped_configILNS1_25lookback_scan_determinismE0ES3_S9_NS6_6detail15normal_iteratorINS6_10device_ptrIjEEEENSD_INSE_IxEEEENS6_16discard_iteratorINS6_11use_defaultEEESI_PmS8_NS6_8equal_toIjEEEE10hipError_tPvRmT2_T3_mT4_T5_T6_T7_T8_P12ihipStream_tbENKUlT_T0_E_clISt17integral_constantIbLb1EES15_IbLb0EEEEDaS11_S12_EUlS11_E_NS1_11comp_targetILNS1_3genE9ELNS1_11target_archE1100ELNS1_3gpuE3ELNS1_3repE0EEENS1_30default_config_static_selectorELNS0_4arch9wavefront6targetE1EEEvT1_,comdat
	.protected	_ZN7rocprim17ROCPRIM_400000_NS6detail17trampoline_kernelINS0_14default_configENS1_29reduce_by_key_config_selectorIjxN6thrust23THRUST_200600_302600_NS4plusIxEEEEZZNS1_33reduce_by_key_impl_wrapped_configILNS1_25lookback_scan_determinismE0ES3_S9_NS6_6detail15normal_iteratorINS6_10device_ptrIjEEEENSD_INSE_IxEEEENS6_16discard_iteratorINS6_11use_defaultEEESI_PmS8_NS6_8equal_toIjEEEE10hipError_tPvRmT2_T3_mT4_T5_T6_T7_T8_P12ihipStream_tbENKUlT_T0_E_clISt17integral_constantIbLb1EES15_IbLb0EEEEDaS11_S12_EUlS11_E_NS1_11comp_targetILNS1_3genE9ELNS1_11target_archE1100ELNS1_3gpuE3ELNS1_3repE0EEENS1_30default_config_static_selectorELNS0_4arch9wavefront6targetE1EEEvT1_ ; -- Begin function _ZN7rocprim17ROCPRIM_400000_NS6detail17trampoline_kernelINS0_14default_configENS1_29reduce_by_key_config_selectorIjxN6thrust23THRUST_200600_302600_NS4plusIxEEEEZZNS1_33reduce_by_key_impl_wrapped_configILNS1_25lookback_scan_determinismE0ES3_S9_NS6_6detail15normal_iteratorINS6_10device_ptrIjEEEENSD_INSE_IxEEEENS6_16discard_iteratorINS6_11use_defaultEEESI_PmS8_NS6_8equal_toIjEEEE10hipError_tPvRmT2_T3_mT4_T5_T6_T7_T8_P12ihipStream_tbENKUlT_T0_E_clISt17integral_constantIbLb1EES15_IbLb0EEEEDaS11_S12_EUlS11_E_NS1_11comp_targetILNS1_3genE9ELNS1_11target_archE1100ELNS1_3gpuE3ELNS1_3repE0EEENS1_30default_config_static_selectorELNS0_4arch9wavefront6targetE1EEEvT1_
	.globl	_ZN7rocprim17ROCPRIM_400000_NS6detail17trampoline_kernelINS0_14default_configENS1_29reduce_by_key_config_selectorIjxN6thrust23THRUST_200600_302600_NS4plusIxEEEEZZNS1_33reduce_by_key_impl_wrapped_configILNS1_25lookback_scan_determinismE0ES3_S9_NS6_6detail15normal_iteratorINS6_10device_ptrIjEEEENSD_INSE_IxEEEENS6_16discard_iteratorINS6_11use_defaultEEESI_PmS8_NS6_8equal_toIjEEEE10hipError_tPvRmT2_T3_mT4_T5_T6_T7_T8_P12ihipStream_tbENKUlT_T0_E_clISt17integral_constantIbLb1EES15_IbLb0EEEEDaS11_S12_EUlS11_E_NS1_11comp_targetILNS1_3genE9ELNS1_11target_archE1100ELNS1_3gpuE3ELNS1_3repE0EEENS1_30default_config_static_selectorELNS0_4arch9wavefront6targetE1EEEvT1_
	.p2align	8
	.type	_ZN7rocprim17ROCPRIM_400000_NS6detail17trampoline_kernelINS0_14default_configENS1_29reduce_by_key_config_selectorIjxN6thrust23THRUST_200600_302600_NS4plusIxEEEEZZNS1_33reduce_by_key_impl_wrapped_configILNS1_25lookback_scan_determinismE0ES3_S9_NS6_6detail15normal_iteratorINS6_10device_ptrIjEEEENSD_INSE_IxEEEENS6_16discard_iteratorINS6_11use_defaultEEESI_PmS8_NS6_8equal_toIjEEEE10hipError_tPvRmT2_T3_mT4_T5_T6_T7_T8_P12ihipStream_tbENKUlT_T0_E_clISt17integral_constantIbLb1EES15_IbLb0EEEEDaS11_S12_EUlS11_E_NS1_11comp_targetILNS1_3genE9ELNS1_11target_archE1100ELNS1_3gpuE3ELNS1_3repE0EEENS1_30default_config_static_selectorELNS0_4arch9wavefront6targetE1EEEvT1_,@function
_ZN7rocprim17ROCPRIM_400000_NS6detail17trampoline_kernelINS0_14default_configENS1_29reduce_by_key_config_selectorIjxN6thrust23THRUST_200600_302600_NS4plusIxEEEEZZNS1_33reduce_by_key_impl_wrapped_configILNS1_25lookback_scan_determinismE0ES3_S9_NS6_6detail15normal_iteratorINS6_10device_ptrIjEEEENSD_INSE_IxEEEENS6_16discard_iteratorINS6_11use_defaultEEESI_PmS8_NS6_8equal_toIjEEEE10hipError_tPvRmT2_T3_mT4_T5_T6_T7_T8_P12ihipStream_tbENKUlT_T0_E_clISt17integral_constantIbLb1EES15_IbLb0EEEEDaS11_S12_EUlS11_E_NS1_11comp_targetILNS1_3genE9ELNS1_11target_archE1100ELNS1_3gpuE3ELNS1_3repE0EEENS1_30default_config_static_selectorELNS0_4arch9wavefront6targetE1EEEvT1_: ; @_ZN7rocprim17ROCPRIM_400000_NS6detail17trampoline_kernelINS0_14default_configENS1_29reduce_by_key_config_selectorIjxN6thrust23THRUST_200600_302600_NS4plusIxEEEEZZNS1_33reduce_by_key_impl_wrapped_configILNS1_25lookback_scan_determinismE0ES3_S9_NS6_6detail15normal_iteratorINS6_10device_ptrIjEEEENSD_INSE_IxEEEENS6_16discard_iteratorINS6_11use_defaultEEESI_PmS8_NS6_8equal_toIjEEEE10hipError_tPvRmT2_T3_mT4_T5_T6_T7_T8_P12ihipStream_tbENKUlT_T0_E_clISt17integral_constantIbLb1EES15_IbLb0EEEEDaS11_S12_EUlS11_E_NS1_11comp_targetILNS1_3genE9ELNS1_11target_archE1100ELNS1_3gpuE3ELNS1_3repE0EEENS1_30default_config_static_selectorELNS0_4arch9wavefront6targetE1EEEvT1_
; %bb.0:
	.section	.rodata,"a",@progbits
	.p2align	6, 0x0
	.amdhsa_kernel _ZN7rocprim17ROCPRIM_400000_NS6detail17trampoline_kernelINS0_14default_configENS1_29reduce_by_key_config_selectorIjxN6thrust23THRUST_200600_302600_NS4plusIxEEEEZZNS1_33reduce_by_key_impl_wrapped_configILNS1_25lookback_scan_determinismE0ES3_S9_NS6_6detail15normal_iteratorINS6_10device_ptrIjEEEENSD_INSE_IxEEEENS6_16discard_iteratorINS6_11use_defaultEEESI_PmS8_NS6_8equal_toIjEEEE10hipError_tPvRmT2_T3_mT4_T5_T6_T7_T8_P12ihipStream_tbENKUlT_T0_E_clISt17integral_constantIbLb1EES15_IbLb0EEEEDaS11_S12_EUlS11_E_NS1_11comp_targetILNS1_3genE9ELNS1_11target_archE1100ELNS1_3gpuE3ELNS1_3repE0EEENS1_30default_config_static_selectorELNS0_4arch9wavefront6targetE1EEEvT1_
		.amdhsa_group_segment_fixed_size 0
		.amdhsa_private_segment_fixed_size 0
		.amdhsa_kernarg_size 144
		.amdhsa_user_sgpr_count 6
		.amdhsa_user_sgpr_private_segment_buffer 1
		.amdhsa_user_sgpr_dispatch_ptr 0
		.amdhsa_user_sgpr_queue_ptr 0
		.amdhsa_user_sgpr_kernarg_segment_ptr 1
		.amdhsa_user_sgpr_dispatch_id 0
		.amdhsa_user_sgpr_flat_scratch_init 0
		.amdhsa_user_sgpr_kernarg_preload_length 0
		.amdhsa_user_sgpr_kernarg_preload_offset 0
		.amdhsa_user_sgpr_private_segment_size 0
		.amdhsa_uses_dynamic_stack 0
		.amdhsa_system_sgpr_private_segment_wavefront_offset 0
		.amdhsa_system_sgpr_workgroup_id_x 1
		.amdhsa_system_sgpr_workgroup_id_y 0
		.amdhsa_system_sgpr_workgroup_id_z 0
		.amdhsa_system_sgpr_workgroup_info 0
		.amdhsa_system_vgpr_workitem_id 0
		.amdhsa_next_free_vgpr 1
		.amdhsa_next_free_sgpr 0
		.amdhsa_accum_offset 4
		.amdhsa_reserve_vcc 0
		.amdhsa_reserve_flat_scratch 0
		.amdhsa_float_round_mode_32 0
		.amdhsa_float_round_mode_16_64 0
		.amdhsa_float_denorm_mode_32 3
		.amdhsa_float_denorm_mode_16_64 3
		.amdhsa_dx10_clamp 1
		.amdhsa_ieee_mode 1
		.amdhsa_fp16_overflow 0
		.amdhsa_tg_split 0
		.amdhsa_exception_fp_ieee_invalid_op 0
		.amdhsa_exception_fp_denorm_src 0
		.amdhsa_exception_fp_ieee_div_zero 0
		.amdhsa_exception_fp_ieee_overflow 0
		.amdhsa_exception_fp_ieee_underflow 0
		.amdhsa_exception_fp_ieee_inexact 0
		.amdhsa_exception_int_div_zero 0
	.end_amdhsa_kernel
	.section	.text._ZN7rocprim17ROCPRIM_400000_NS6detail17trampoline_kernelINS0_14default_configENS1_29reduce_by_key_config_selectorIjxN6thrust23THRUST_200600_302600_NS4plusIxEEEEZZNS1_33reduce_by_key_impl_wrapped_configILNS1_25lookback_scan_determinismE0ES3_S9_NS6_6detail15normal_iteratorINS6_10device_ptrIjEEEENSD_INSE_IxEEEENS6_16discard_iteratorINS6_11use_defaultEEESI_PmS8_NS6_8equal_toIjEEEE10hipError_tPvRmT2_T3_mT4_T5_T6_T7_T8_P12ihipStream_tbENKUlT_T0_E_clISt17integral_constantIbLb1EES15_IbLb0EEEEDaS11_S12_EUlS11_E_NS1_11comp_targetILNS1_3genE9ELNS1_11target_archE1100ELNS1_3gpuE3ELNS1_3repE0EEENS1_30default_config_static_selectorELNS0_4arch9wavefront6targetE1EEEvT1_,"axG",@progbits,_ZN7rocprim17ROCPRIM_400000_NS6detail17trampoline_kernelINS0_14default_configENS1_29reduce_by_key_config_selectorIjxN6thrust23THRUST_200600_302600_NS4plusIxEEEEZZNS1_33reduce_by_key_impl_wrapped_configILNS1_25lookback_scan_determinismE0ES3_S9_NS6_6detail15normal_iteratorINS6_10device_ptrIjEEEENSD_INSE_IxEEEENS6_16discard_iteratorINS6_11use_defaultEEESI_PmS8_NS6_8equal_toIjEEEE10hipError_tPvRmT2_T3_mT4_T5_T6_T7_T8_P12ihipStream_tbENKUlT_T0_E_clISt17integral_constantIbLb1EES15_IbLb0EEEEDaS11_S12_EUlS11_E_NS1_11comp_targetILNS1_3genE9ELNS1_11target_archE1100ELNS1_3gpuE3ELNS1_3repE0EEENS1_30default_config_static_selectorELNS0_4arch9wavefront6targetE1EEEvT1_,comdat
.Lfunc_end1010:
	.size	_ZN7rocprim17ROCPRIM_400000_NS6detail17trampoline_kernelINS0_14default_configENS1_29reduce_by_key_config_selectorIjxN6thrust23THRUST_200600_302600_NS4plusIxEEEEZZNS1_33reduce_by_key_impl_wrapped_configILNS1_25lookback_scan_determinismE0ES3_S9_NS6_6detail15normal_iteratorINS6_10device_ptrIjEEEENSD_INSE_IxEEEENS6_16discard_iteratorINS6_11use_defaultEEESI_PmS8_NS6_8equal_toIjEEEE10hipError_tPvRmT2_T3_mT4_T5_T6_T7_T8_P12ihipStream_tbENKUlT_T0_E_clISt17integral_constantIbLb1EES15_IbLb0EEEEDaS11_S12_EUlS11_E_NS1_11comp_targetILNS1_3genE9ELNS1_11target_archE1100ELNS1_3gpuE3ELNS1_3repE0EEENS1_30default_config_static_selectorELNS0_4arch9wavefront6targetE1EEEvT1_, .Lfunc_end1010-_ZN7rocprim17ROCPRIM_400000_NS6detail17trampoline_kernelINS0_14default_configENS1_29reduce_by_key_config_selectorIjxN6thrust23THRUST_200600_302600_NS4plusIxEEEEZZNS1_33reduce_by_key_impl_wrapped_configILNS1_25lookback_scan_determinismE0ES3_S9_NS6_6detail15normal_iteratorINS6_10device_ptrIjEEEENSD_INSE_IxEEEENS6_16discard_iteratorINS6_11use_defaultEEESI_PmS8_NS6_8equal_toIjEEEE10hipError_tPvRmT2_T3_mT4_T5_T6_T7_T8_P12ihipStream_tbENKUlT_T0_E_clISt17integral_constantIbLb1EES15_IbLb0EEEEDaS11_S12_EUlS11_E_NS1_11comp_targetILNS1_3genE9ELNS1_11target_archE1100ELNS1_3gpuE3ELNS1_3repE0EEENS1_30default_config_static_selectorELNS0_4arch9wavefront6targetE1EEEvT1_
                                        ; -- End function
	.section	.AMDGPU.csdata,"",@progbits
; Kernel info:
; codeLenInByte = 0
; NumSgprs: 4
; NumVgprs: 0
; NumAgprs: 0
; TotalNumVgprs: 0
; ScratchSize: 0
; MemoryBound: 0
; FloatMode: 240
; IeeeMode: 1
; LDSByteSize: 0 bytes/workgroup (compile time only)
; SGPRBlocks: 0
; VGPRBlocks: 0
; NumSGPRsForWavesPerEU: 4
; NumVGPRsForWavesPerEU: 1
; AccumOffset: 4
; Occupancy: 8
; WaveLimiterHint : 0
; COMPUTE_PGM_RSRC2:SCRATCH_EN: 0
; COMPUTE_PGM_RSRC2:USER_SGPR: 6
; COMPUTE_PGM_RSRC2:TRAP_HANDLER: 0
; COMPUTE_PGM_RSRC2:TGID_X_EN: 1
; COMPUTE_PGM_RSRC2:TGID_Y_EN: 0
; COMPUTE_PGM_RSRC2:TGID_Z_EN: 0
; COMPUTE_PGM_RSRC2:TIDIG_COMP_CNT: 0
; COMPUTE_PGM_RSRC3_GFX90A:ACCUM_OFFSET: 0
; COMPUTE_PGM_RSRC3_GFX90A:TG_SPLIT: 0
	.section	.text._ZN7rocprim17ROCPRIM_400000_NS6detail17trampoline_kernelINS0_14default_configENS1_29reduce_by_key_config_selectorIjxN6thrust23THRUST_200600_302600_NS4plusIxEEEEZZNS1_33reduce_by_key_impl_wrapped_configILNS1_25lookback_scan_determinismE0ES3_S9_NS6_6detail15normal_iteratorINS6_10device_ptrIjEEEENSD_INSE_IxEEEENS6_16discard_iteratorINS6_11use_defaultEEESI_PmS8_NS6_8equal_toIjEEEE10hipError_tPvRmT2_T3_mT4_T5_T6_T7_T8_P12ihipStream_tbENKUlT_T0_E_clISt17integral_constantIbLb1EES15_IbLb0EEEEDaS11_S12_EUlS11_E_NS1_11comp_targetILNS1_3genE8ELNS1_11target_archE1030ELNS1_3gpuE2ELNS1_3repE0EEENS1_30default_config_static_selectorELNS0_4arch9wavefront6targetE1EEEvT1_,"axG",@progbits,_ZN7rocprim17ROCPRIM_400000_NS6detail17trampoline_kernelINS0_14default_configENS1_29reduce_by_key_config_selectorIjxN6thrust23THRUST_200600_302600_NS4plusIxEEEEZZNS1_33reduce_by_key_impl_wrapped_configILNS1_25lookback_scan_determinismE0ES3_S9_NS6_6detail15normal_iteratorINS6_10device_ptrIjEEEENSD_INSE_IxEEEENS6_16discard_iteratorINS6_11use_defaultEEESI_PmS8_NS6_8equal_toIjEEEE10hipError_tPvRmT2_T3_mT4_T5_T6_T7_T8_P12ihipStream_tbENKUlT_T0_E_clISt17integral_constantIbLb1EES15_IbLb0EEEEDaS11_S12_EUlS11_E_NS1_11comp_targetILNS1_3genE8ELNS1_11target_archE1030ELNS1_3gpuE2ELNS1_3repE0EEENS1_30default_config_static_selectorELNS0_4arch9wavefront6targetE1EEEvT1_,comdat
	.protected	_ZN7rocprim17ROCPRIM_400000_NS6detail17trampoline_kernelINS0_14default_configENS1_29reduce_by_key_config_selectorIjxN6thrust23THRUST_200600_302600_NS4plusIxEEEEZZNS1_33reduce_by_key_impl_wrapped_configILNS1_25lookback_scan_determinismE0ES3_S9_NS6_6detail15normal_iteratorINS6_10device_ptrIjEEEENSD_INSE_IxEEEENS6_16discard_iteratorINS6_11use_defaultEEESI_PmS8_NS6_8equal_toIjEEEE10hipError_tPvRmT2_T3_mT4_T5_T6_T7_T8_P12ihipStream_tbENKUlT_T0_E_clISt17integral_constantIbLb1EES15_IbLb0EEEEDaS11_S12_EUlS11_E_NS1_11comp_targetILNS1_3genE8ELNS1_11target_archE1030ELNS1_3gpuE2ELNS1_3repE0EEENS1_30default_config_static_selectorELNS0_4arch9wavefront6targetE1EEEvT1_ ; -- Begin function _ZN7rocprim17ROCPRIM_400000_NS6detail17trampoline_kernelINS0_14default_configENS1_29reduce_by_key_config_selectorIjxN6thrust23THRUST_200600_302600_NS4plusIxEEEEZZNS1_33reduce_by_key_impl_wrapped_configILNS1_25lookback_scan_determinismE0ES3_S9_NS6_6detail15normal_iteratorINS6_10device_ptrIjEEEENSD_INSE_IxEEEENS6_16discard_iteratorINS6_11use_defaultEEESI_PmS8_NS6_8equal_toIjEEEE10hipError_tPvRmT2_T3_mT4_T5_T6_T7_T8_P12ihipStream_tbENKUlT_T0_E_clISt17integral_constantIbLb1EES15_IbLb0EEEEDaS11_S12_EUlS11_E_NS1_11comp_targetILNS1_3genE8ELNS1_11target_archE1030ELNS1_3gpuE2ELNS1_3repE0EEENS1_30default_config_static_selectorELNS0_4arch9wavefront6targetE1EEEvT1_
	.globl	_ZN7rocprim17ROCPRIM_400000_NS6detail17trampoline_kernelINS0_14default_configENS1_29reduce_by_key_config_selectorIjxN6thrust23THRUST_200600_302600_NS4plusIxEEEEZZNS1_33reduce_by_key_impl_wrapped_configILNS1_25lookback_scan_determinismE0ES3_S9_NS6_6detail15normal_iteratorINS6_10device_ptrIjEEEENSD_INSE_IxEEEENS6_16discard_iteratorINS6_11use_defaultEEESI_PmS8_NS6_8equal_toIjEEEE10hipError_tPvRmT2_T3_mT4_T5_T6_T7_T8_P12ihipStream_tbENKUlT_T0_E_clISt17integral_constantIbLb1EES15_IbLb0EEEEDaS11_S12_EUlS11_E_NS1_11comp_targetILNS1_3genE8ELNS1_11target_archE1030ELNS1_3gpuE2ELNS1_3repE0EEENS1_30default_config_static_selectorELNS0_4arch9wavefront6targetE1EEEvT1_
	.p2align	8
	.type	_ZN7rocprim17ROCPRIM_400000_NS6detail17trampoline_kernelINS0_14default_configENS1_29reduce_by_key_config_selectorIjxN6thrust23THRUST_200600_302600_NS4plusIxEEEEZZNS1_33reduce_by_key_impl_wrapped_configILNS1_25lookback_scan_determinismE0ES3_S9_NS6_6detail15normal_iteratorINS6_10device_ptrIjEEEENSD_INSE_IxEEEENS6_16discard_iteratorINS6_11use_defaultEEESI_PmS8_NS6_8equal_toIjEEEE10hipError_tPvRmT2_T3_mT4_T5_T6_T7_T8_P12ihipStream_tbENKUlT_T0_E_clISt17integral_constantIbLb1EES15_IbLb0EEEEDaS11_S12_EUlS11_E_NS1_11comp_targetILNS1_3genE8ELNS1_11target_archE1030ELNS1_3gpuE2ELNS1_3repE0EEENS1_30default_config_static_selectorELNS0_4arch9wavefront6targetE1EEEvT1_,@function
_ZN7rocprim17ROCPRIM_400000_NS6detail17trampoline_kernelINS0_14default_configENS1_29reduce_by_key_config_selectorIjxN6thrust23THRUST_200600_302600_NS4plusIxEEEEZZNS1_33reduce_by_key_impl_wrapped_configILNS1_25lookback_scan_determinismE0ES3_S9_NS6_6detail15normal_iteratorINS6_10device_ptrIjEEEENSD_INSE_IxEEEENS6_16discard_iteratorINS6_11use_defaultEEESI_PmS8_NS6_8equal_toIjEEEE10hipError_tPvRmT2_T3_mT4_T5_T6_T7_T8_P12ihipStream_tbENKUlT_T0_E_clISt17integral_constantIbLb1EES15_IbLb0EEEEDaS11_S12_EUlS11_E_NS1_11comp_targetILNS1_3genE8ELNS1_11target_archE1030ELNS1_3gpuE2ELNS1_3repE0EEENS1_30default_config_static_selectorELNS0_4arch9wavefront6targetE1EEEvT1_: ; @_ZN7rocprim17ROCPRIM_400000_NS6detail17trampoline_kernelINS0_14default_configENS1_29reduce_by_key_config_selectorIjxN6thrust23THRUST_200600_302600_NS4plusIxEEEEZZNS1_33reduce_by_key_impl_wrapped_configILNS1_25lookback_scan_determinismE0ES3_S9_NS6_6detail15normal_iteratorINS6_10device_ptrIjEEEENSD_INSE_IxEEEENS6_16discard_iteratorINS6_11use_defaultEEESI_PmS8_NS6_8equal_toIjEEEE10hipError_tPvRmT2_T3_mT4_T5_T6_T7_T8_P12ihipStream_tbENKUlT_T0_E_clISt17integral_constantIbLb1EES15_IbLb0EEEEDaS11_S12_EUlS11_E_NS1_11comp_targetILNS1_3genE8ELNS1_11target_archE1030ELNS1_3gpuE2ELNS1_3repE0EEENS1_30default_config_static_selectorELNS0_4arch9wavefront6targetE1EEEvT1_
; %bb.0:
	.section	.rodata,"a",@progbits
	.p2align	6, 0x0
	.amdhsa_kernel _ZN7rocprim17ROCPRIM_400000_NS6detail17trampoline_kernelINS0_14default_configENS1_29reduce_by_key_config_selectorIjxN6thrust23THRUST_200600_302600_NS4plusIxEEEEZZNS1_33reduce_by_key_impl_wrapped_configILNS1_25lookback_scan_determinismE0ES3_S9_NS6_6detail15normal_iteratorINS6_10device_ptrIjEEEENSD_INSE_IxEEEENS6_16discard_iteratorINS6_11use_defaultEEESI_PmS8_NS6_8equal_toIjEEEE10hipError_tPvRmT2_T3_mT4_T5_T6_T7_T8_P12ihipStream_tbENKUlT_T0_E_clISt17integral_constantIbLb1EES15_IbLb0EEEEDaS11_S12_EUlS11_E_NS1_11comp_targetILNS1_3genE8ELNS1_11target_archE1030ELNS1_3gpuE2ELNS1_3repE0EEENS1_30default_config_static_selectorELNS0_4arch9wavefront6targetE1EEEvT1_
		.amdhsa_group_segment_fixed_size 0
		.amdhsa_private_segment_fixed_size 0
		.amdhsa_kernarg_size 144
		.amdhsa_user_sgpr_count 6
		.amdhsa_user_sgpr_private_segment_buffer 1
		.amdhsa_user_sgpr_dispatch_ptr 0
		.amdhsa_user_sgpr_queue_ptr 0
		.amdhsa_user_sgpr_kernarg_segment_ptr 1
		.amdhsa_user_sgpr_dispatch_id 0
		.amdhsa_user_sgpr_flat_scratch_init 0
		.amdhsa_user_sgpr_kernarg_preload_length 0
		.amdhsa_user_sgpr_kernarg_preload_offset 0
		.amdhsa_user_sgpr_private_segment_size 0
		.amdhsa_uses_dynamic_stack 0
		.amdhsa_system_sgpr_private_segment_wavefront_offset 0
		.amdhsa_system_sgpr_workgroup_id_x 1
		.amdhsa_system_sgpr_workgroup_id_y 0
		.amdhsa_system_sgpr_workgroup_id_z 0
		.amdhsa_system_sgpr_workgroup_info 0
		.amdhsa_system_vgpr_workitem_id 0
		.amdhsa_next_free_vgpr 1
		.amdhsa_next_free_sgpr 0
		.amdhsa_accum_offset 4
		.amdhsa_reserve_vcc 0
		.amdhsa_reserve_flat_scratch 0
		.amdhsa_float_round_mode_32 0
		.amdhsa_float_round_mode_16_64 0
		.amdhsa_float_denorm_mode_32 3
		.amdhsa_float_denorm_mode_16_64 3
		.amdhsa_dx10_clamp 1
		.amdhsa_ieee_mode 1
		.amdhsa_fp16_overflow 0
		.amdhsa_tg_split 0
		.amdhsa_exception_fp_ieee_invalid_op 0
		.amdhsa_exception_fp_denorm_src 0
		.amdhsa_exception_fp_ieee_div_zero 0
		.amdhsa_exception_fp_ieee_overflow 0
		.amdhsa_exception_fp_ieee_underflow 0
		.amdhsa_exception_fp_ieee_inexact 0
		.amdhsa_exception_int_div_zero 0
	.end_amdhsa_kernel
	.section	.text._ZN7rocprim17ROCPRIM_400000_NS6detail17trampoline_kernelINS0_14default_configENS1_29reduce_by_key_config_selectorIjxN6thrust23THRUST_200600_302600_NS4plusIxEEEEZZNS1_33reduce_by_key_impl_wrapped_configILNS1_25lookback_scan_determinismE0ES3_S9_NS6_6detail15normal_iteratorINS6_10device_ptrIjEEEENSD_INSE_IxEEEENS6_16discard_iteratorINS6_11use_defaultEEESI_PmS8_NS6_8equal_toIjEEEE10hipError_tPvRmT2_T3_mT4_T5_T6_T7_T8_P12ihipStream_tbENKUlT_T0_E_clISt17integral_constantIbLb1EES15_IbLb0EEEEDaS11_S12_EUlS11_E_NS1_11comp_targetILNS1_3genE8ELNS1_11target_archE1030ELNS1_3gpuE2ELNS1_3repE0EEENS1_30default_config_static_selectorELNS0_4arch9wavefront6targetE1EEEvT1_,"axG",@progbits,_ZN7rocprim17ROCPRIM_400000_NS6detail17trampoline_kernelINS0_14default_configENS1_29reduce_by_key_config_selectorIjxN6thrust23THRUST_200600_302600_NS4plusIxEEEEZZNS1_33reduce_by_key_impl_wrapped_configILNS1_25lookback_scan_determinismE0ES3_S9_NS6_6detail15normal_iteratorINS6_10device_ptrIjEEEENSD_INSE_IxEEEENS6_16discard_iteratorINS6_11use_defaultEEESI_PmS8_NS6_8equal_toIjEEEE10hipError_tPvRmT2_T3_mT4_T5_T6_T7_T8_P12ihipStream_tbENKUlT_T0_E_clISt17integral_constantIbLb1EES15_IbLb0EEEEDaS11_S12_EUlS11_E_NS1_11comp_targetILNS1_3genE8ELNS1_11target_archE1030ELNS1_3gpuE2ELNS1_3repE0EEENS1_30default_config_static_selectorELNS0_4arch9wavefront6targetE1EEEvT1_,comdat
.Lfunc_end1011:
	.size	_ZN7rocprim17ROCPRIM_400000_NS6detail17trampoline_kernelINS0_14default_configENS1_29reduce_by_key_config_selectorIjxN6thrust23THRUST_200600_302600_NS4plusIxEEEEZZNS1_33reduce_by_key_impl_wrapped_configILNS1_25lookback_scan_determinismE0ES3_S9_NS6_6detail15normal_iteratorINS6_10device_ptrIjEEEENSD_INSE_IxEEEENS6_16discard_iteratorINS6_11use_defaultEEESI_PmS8_NS6_8equal_toIjEEEE10hipError_tPvRmT2_T3_mT4_T5_T6_T7_T8_P12ihipStream_tbENKUlT_T0_E_clISt17integral_constantIbLb1EES15_IbLb0EEEEDaS11_S12_EUlS11_E_NS1_11comp_targetILNS1_3genE8ELNS1_11target_archE1030ELNS1_3gpuE2ELNS1_3repE0EEENS1_30default_config_static_selectorELNS0_4arch9wavefront6targetE1EEEvT1_, .Lfunc_end1011-_ZN7rocprim17ROCPRIM_400000_NS6detail17trampoline_kernelINS0_14default_configENS1_29reduce_by_key_config_selectorIjxN6thrust23THRUST_200600_302600_NS4plusIxEEEEZZNS1_33reduce_by_key_impl_wrapped_configILNS1_25lookback_scan_determinismE0ES3_S9_NS6_6detail15normal_iteratorINS6_10device_ptrIjEEEENSD_INSE_IxEEEENS6_16discard_iteratorINS6_11use_defaultEEESI_PmS8_NS6_8equal_toIjEEEE10hipError_tPvRmT2_T3_mT4_T5_T6_T7_T8_P12ihipStream_tbENKUlT_T0_E_clISt17integral_constantIbLb1EES15_IbLb0EEEEDaS11_S12_EUlS11_E_NS1_11comp_targetILNS1_3genE8ELNS1_11target_archE1030ELNS1_3gpuE2ELNS1_3repE0EEENS1_30default_config_static_selectorELNS0_4arch9wavefront6targetE1EEEvT1_
                                        ; -- End function
	.section	.AMDGPU.csdata,"",@progbits
; Kernel info:
; codeLenInByte = 0
; NumSgprs: 4
; NumVgprs: 0
; NumAgprs: 0
; TotalNumVgprs: 0
; ScratchSize: 0
; MemoryBound: 0
; FloatMode: 240
; IeeeMode: 1
; LDSByteSize: 0 bytes/workgroup (compile time only)
; SGPRBlocks: 0
; VGPRBlocks: 0
; NumSGPRsForWavesPerEU: 4
; NumVGPRsForWavesPerEU: 1
; AccumOffset: 4
; Occupancy: 8
; WaveLimiterHint : 0
; COMPUTE_PGM_RSRC2:SCRATCH_EN: 0
; COMPUTE_PGM_RSRC2:USER_SGPR: 6
; COMPUTE_PGM_RSRC2:TRAP_HANDLER: 0
; COMPUTE_PGM_RSRC2:TGID_X_EN: 1
; COMPUTE_PGM_RSRC2:TGID_Y_EN: 0
; COMPUTE_PGM_RSRC2:TGID_Z_EN: 0
; COMPUTE_PGM_RSRC2:TIDIG_COMP_CNT: 0
; COMPUTE_PGM_RSRC3_GFX90A:ACCUM_OFFSET: 0
; COMPUTE_PGM_RSRC3_GFX90A:TG_SPLIT: 0
	.section	.text._ZN7rocprim17ROCPRIM_400000_NS6detail17trampoline_kernelINS0_14default_configENS1_29reduce_by_key_config_selectorIjxN6thrust23THRUST_200600_302600_NS4plusIxEEEEZZNS1_33reduce_by_key_impl_wrapped_configILNS1_25lookback_scan_determinismE0ES3_S9_NS6_6detail15normal_iteratorINS6_10device_ptrIjEEEENSD_INSE_IxEEEENS6_16discard_iteratorINS6_11use_defaultEEESI_PmS8_NS6_8equal_toIjEEEE10hipError_tPvRmT2_T3_mT4_T5_T6_T7_T8_P12ihipStream_tbENKUlT_T0_E_clISt17integral_constantIbLb0EES15_IbLb1EEEEDaS11_S12_EUlS11_E_NS1_11comp_targetILNS1_3genE0ELNS1_11target_archE4294967295ELNS1_3gpuE0ELNS1_3repE0EEENS1_30default_config_static_selectorELNS0_4arch9wavefront6targetE1EEEvT1_,"axG",@progbits,_ZN7rocprim17ROCPRIM_400000_NS6detail17trampoline_kernelINS0_14default_configENS1_29reduce_by_key_config_selectorIjxN6thrust23THRUST_200600_302600_NS4plusIxEEEEZZNS1_33reduce_by_key_impl_wrapped_configILNS1_25lookback_scan_determinismE0ES3_S9_NS6_6detail15normal_iteratorINS6_10device_ptrIjEEEENSD_INSE_IxEEEENS6_16discard_iteratorINS6_11use_defaultEEESI_PmS8_NS6_8equal_toIjEEEE10hipError_tPvRmT2_T3_mT4_T5_T6_T7_T8_P12ihipStream_tbENKUlT_T0_E_clISt17integral_constantIbLb0EES15_IbLb1EEEEDaS11_S12_EUlS11_E_NS1_11comp_targetILNS1_3genE0ELNS1_11target_archE4294967295ELNS1_3gpuE0ELNS1_3repE0EEENS1_30default_config_static_selectorELNS0_4arch9wavefront6targetE1EEEvT1_,comdat
	.protected	_ZN7rocprim17ROCPRIM_400000_NS6detail17trampoline_kernelINS0_14default_configENS1_29reduce_by_key_config_selectorIjxN6thrust23THRUST_200600_302600_NS4plusIxEEEEZZNS1_33reduce_by_key_impl_wrapped_configILNS1_25lookback_scan_determinismE0ES3_S9_NS6_6detail15normal_iteratorINS6_10device_ptrIjEEEENSD_INSE_IxEEEENS6_16discard_iteratorINS6_11use_defaultEEESI_PmS8_NS6_8equal_toIjEEEE10hipError_tPvRmT2_T3_mT4_T5_T6_T7_T8_P12ihipStream_tbENKUlT_T0_E_clISt17integral_constantIbLb0EES15_IbLb1EEEEDaS11_S12_EUlS11_E_NS1_11comp_targetILNS1_3genE0ELNS1_11target_archE4294967295ELNS1_3gpuE0ELNS1_3repE0EEENS1_30default_config_static_selectorELNS0_4arch9wavefront6targetE1EEEvT1_ ; -- Begin function _ZN7rocprim17ROCPRIM_400000_NS6detail17trampoline_kernelINS0_14default_configENS1_29reduce_by_key_config_selectorIjxN6thrust23THRUST_200600_302600_NS4plusIxEEEEZZNS1_33reduce_by_key_impl_wrapped_configILNS1_25lookback_scan_determinismE0ES3_S9_NS6_6detail15normal_iteratorINS6_10device_ptrIjEEEENSD_INSE_IxEEEENS6_16discard_iteratorINS6_11use_defaultEEESI_PmS8_NS6_8equal_toIjEEEE10hipError_tPvRmT2_T3_mT4_T5_T6_T7_T8_P12ihipStream_tbENKUlT_T0_E_clISt17integral_constantIbLb0EES15_IbLb1EEEEDaS11_S12_EUlS11_E_NS1_11comp_targetILNS1_3genE0ELNS1_11target_archE4294967295ELNS1_3gpuE0ELNS1_3repE0EEENS1_30default_config_static_selectorELNS0_4arch9wavefront6targetE1EEEvT1_
	.globl	_ZN7rocprim17ROCPRIM_400000_NS6detail17trampoline_kernelINS0_14default_configENS1_29reduce_by_key_config_selectorIjxN6thrust23THRUST_200600_302600_NS4plusIxEEEEZZNS1_33reduce_by_key_impl_wrapped_configILNS1_25lookback_scan_determinismE0ES3_S9_NS6_6detail15normal_iteratorINS6_10device_ptrIjEEEENSD_INSE_IxEEEENS6_16discard_iteratorINS6_11use_defaultEEESI_PmS8_NS6_8equal_toIjEEEE10hipError_tPvRmT2_T3_mT4_T5_T6_T7_T8_P12ihipStream_tbENKUlT_T0_E_clISt17integral_constantIbLb0EES15_IbLb1EEEEDaS11_S12_EUlS11_E_NS1_11comp_targetILNS1_3genE0ELNS1_11target_archE4294967295ELNS1_3gpuE0ELNS1_3repE0EEENS1_30default_config_static_selectorELNS0_4arch9wavefront6targetE1EEEvT1_
	.p2align	8
	.type	_ZN7rocprim17ROCPRIM_400000_NS6detail17trampoline_kernelINS0_14default_configENS1_29reduce_by_key_config_selectorIjxN6thrust23THRUST_200600_302600_NS4plusIxEEEEZZNS1_33reduce_by_key_impl_wrapped_configILNS1_25lookback_scan_determinismE0ES3_S9_NS6_6detail15normal_iteratorINS6_10device_ptrIjEEEENSD_INSE_IxEEEENS6_16discard_iteratorINS6_11use_defaultEEESI_PmS8_NS6_8equal_toIjEEEE10hipError_tPvRmT2_T3_mT4_T5_T6_T7_T8_P12ihipStream_tbENKUlT_T0_E_clISt17integral_constantIbLb0EES15_IbLb1EEEEDaS11_S12_EUlS11_E_NS1_11comp_targetILNS1_3genE0ELNS1_11target_archE4294967295ELNS1_3gpuE0ELNS1_3repE0EEENS1_30default_config_static_selectorELNS0_4arch9wavefront6targetE1EEEvT1_,@function
_ZN7rocprim17ROCPRIM_400000_NS6detail17trampoline_kernelINS0_14default_configENS1_29reduce_by_key_config_selectorIjxN6thrust23THRUST_200600_302600_NS4plusIxEEEEZZNS1_33reduce_by_key_impl_wrapped_configILNS1_25lookback_scan_determinismE0ES3_S9_NS6_6detail15normal_iteratorINS6_10device_ptrIjEEEENSD_INSE_IxEEEENS6_16discard_iteratorINS6_11use_defaultEEESI_PmS8_NS6_8equal_toIjEEEE10hipError_tPvRmT2_T3_mT4_T5_T6_T7_T8_P12ihipStream_tbENKUlT_T0_E_clISt17integral_constantIbLb0EES15_IbLb1EEEEDaS11_S12_EUlS11_E_NS1_11comp_targetILNS1_3genE0ELNS1_11target_archE4294967295ELNS1_3gpuE0ELNS1_3repE0EEENS1_30default_config_static_selectorELNS0_4arch9wavefront6targetE1EEEvT1_: ; @_ZN7rocprim17ROCPRIM_400000_NS6detail17trampoline_kernelINS0_14default_configENS1_29reduce_by_key_config_selectorIjxN6thrust23THRUST_200600_302600_NS4plusIxEEEEZZNS1_33reduce_by_key_impl_wrapped_configILNS1_25lookback_scan_determinismE0ES3_S9_NS6_6detail15normal_iteratorINS6_10device_ptrIjEEEENSD_INSE_IxEEEENS6_16discard_iteratorINS6_11use_defaultEEESI_PmS8_NS6_8equal_toIjEEEE10hipError_tPvRmT2_T3_mT4_T5_T6_T7_T8_P12ihipStream_tbENKUlT_T0_E_clISt17integral_constantIbLb0EES15_IbLb1EEEEDaS11_S12_EUlS11_E_NS1_11comp_targetILNS1_3genE0ELNS1_11target_archE4294967295ELNS1_3gpuE0ELNS1_3repE0EEENS1_30default_config_static_selectorELNS0_4arch9wavefront6targetE1EEEvT1_
; %bb.0:
	.section	.rodata,"a",@progbits
	.p2align	6, 0x0
	.amdhsa_kernel _ZN7rocprim17ROCPRIM_400000_NS6detail17trampoline_kernelINS0_14default_configENS1_29reduce_by_key_config_selectorIjxN6thrust23THRUST_200600_302600_NS4plusIxEEEEZZNS1_33reduce_by_key_impl_wrapped_configILNS1_25lookback_scan_determinismE0ES3_S9_NS6_6detail15normal_iteratorINS6_10device_ptrIjEEEENSD_INSE_IxEEEENS6_16discard_iteratorINS6_11use_defaultEEESI_PmS8_NS6_8equal_toIjEEEE10hipError_tPvRmT2_T3_mT4_T5_T6_T7_T8_P12ihipStream_tbENKUlT_T0_E_clISt17integral_constantIbLb0EES15_IbLb1EEEEDaS11_S12_EUlS11_E_NS1_11comp_targetILNS1_3genE0ELNS1_11target_archE4294967295ELNS1_3gpuE0ELNS1_3repE0EEENS1_30default_config_static_selectorELNS0_4arch9wavefront6targetE1EEEvT1_
		.amdhsa_group_segment_fixed_size 0
		.amdhsa_private_segment_fixed_size 0
		.amdhsa_kernarg_size 144
		.amdhsa_user_sgpr_count 6
		.amdhsa_user_sgpr_private_segment_buffer 1
		.amdhsa_user_sgpr_dispatch_ptr 0
		.amdhsa_user_sgpr_queue_ptr 0
		.amdhsa_user_sgpr_kernarg_segment_ptr 1
		.amdhsa_user_sgpr_dispatch_id 0
		.amdhsa_user_sgpr_flat_scratch_init 0
		.amdhsa_user_sgpr_kernarg_preload_length 0
		.amdhsa_user_sgpr_kernarg_preload_offset 0
		.amdhsa_user_sgpr_private_segment_size 0
		.amdhsa_uses_dynamic_stack 0
		.amdhsa_system_sgpr_private_segment_wavefront_offset 0
		.amdhsa_system_sgpr_workgroup_id_x 1
		.amdhsa_system_sgpr_workgroup_id_y 0
		.amdhsa_system_sgpr_workgroup_id_z 0
		.amdhsa_system_sgpr_workgroup_info 0
		.amdhsa_system_vgpr_workitem_id 0
		.amdhsa_next_free_vgpr 1
		.amdhsa_next_free_sgpr 0
		.amdhsa_accum_offset 4
		.amdhsa_reserve_vcc 0
		.amdhsa_reserve_flat_scratch 0
		.amdhsa_float_round_mode_32 0
		.amdhsa_float_round_mode_16_64 0
		.amdhsa_float_denorm_mode_32 3
		.amdhsa_float_denorm_mode_16_64 3
		.amdhsa_dx10_clamp 1
		.amdhsa_ieee_mode 1
		.amdhsa_fp16_overflow 0
		.amdhsa_tg_split 0
		.amdhsa_exception_fp_ieee_invalid_op 0
		.amdhsa_exception_fp_denorm_src 0
		.amdhsa_exception_fp_ieee_div_zero 0
		.amdhsa_exception_fp_ieee_overflow 0
		.amdhsa_exception_fp_ieee_underflow 0
		.amdhsa_exception_fp_ieee_inexact 0
		.amdhsa_exception_int_div_zero 0
	.end_amdhsa_kernel
	.section	.text._ZN7rocprim17ROCPRIM_400000_NS6detail17trampoline_kernelINS0_14default_configENS1_29reduce_by_key_config_selectorIjxN6thrust23THRUST_200600_302600_NS4plusIxEEEEZZNS1_33reduce_by_key_impl_wrapped_configILNS1_25lookback_scan_determinismE0ES3_S9_NS6_6detail15normal_iteratorINS6_10device_ptrIjEEEENSD_INSE_IxEEEENS6_16discard_iteratorINS6_11use_defaultEEESI_PmS8_NS6_8equal_toIjEEEE10hipError_tPvRmT2_T3_mT4_T5_T6_T7_T8_P12ihipStream_tbENKUlT_T0_E_clISt17integral_constantIbLb0EES15_IbLb1EEEEDaS11_S12_EUlS11_E_NS1_11comp_targetILNS1_3genE0ELNS1_11target_archE4294967295ELNS1_3gpuE0ELNS1_3repE0EEENS1_30default_config_static_selectorELNS0_4arch9wavefront6targetE1EEEvT1_,"axG",@progbits,_ZN7rocprim17ROCPRIM_400000_NS6detail17trampoline_kernelINS0_14default_configENS1_29reduce_by_key_config_selectorIjxN6thrust23THRUST_200600_302600_NS4plusIxEEEEZZNS1_33reduce_by_key_impl_wrapped_configILNS1_25lookback_scan_determinismE0ES3_S9_NS6_6detail15normal_iteratorINS6_10device_ptrIjEEEENSD_INSE_IxEEEENS6_16discard_iteratorINS6_11use_defaultEEESI_PmS8_NS6_8equal_toIjEEEE10hipError_tPvRmT2_T3_mT4_T5_T6_T7_T8_P12ihipStream_tbENKUlT_T0_E_clISt17integral_constantIbLb0EES15_IbLb1EEEEDaS11_S12_EUlS11_E_NS1_11comp_targetILNS1_3genE0ELNS1_11target_archE4294967295ELNS1_3gpuE0ELNS1_3repE0EEENS1_30default_config_static_selectorELNS0_4arch9wavefront6targetE1EEEvT1_,comdat
.Lfunc_end1012:
	.size	_ZN7rocprim17ROCPRIM_400000_NS6detail17trampoline_kernelINS0_14default_configENS1_29reduce_by_key_config_selectorIjxN6thrust23THRUST_200600_302600_NS4plusIxEEEEZZNS1_33reduce_by_key_impl_wrapped_configILNS1_25lookback_scan_determinismE0ES3_S9_NS6_6detail15normal_iteratorINS6_10device_ptrIjEEEENSD_INSE_IxEEEENS6_16discard_iteratorINS6_11use_defaultEEESI_PmS8_NS6_8equal_toIjEEEE10hipError_tPvRmT2_T3_mT4_T5_T6_T7_T8_P12ihipStream_tbENKUlT_T0_E_clISt17integral_constantIbLb0EES15_IbLb1EEEEDaS11_S12_EUlS11_E_NS1_11comp_targetILNS1_3genE0ELNS1_11target_archE4294967295ELNS1_3gpuE0ELNS1_3repE0EEENS1_30default_config_static_selectorELNS0_4arch9wavefront6targetE1EEEvT1_, .Lfunc_end1012-_ZN7rocprim17ROCPRIM_400000_NS6detail17trampoline_kernelINS0_14default_configENS1_29reduce_by_key_config_selectorIjxN6thrust23THRUST_200600_302600_NS4plusIxEEEEZZNS1_33reduce_by_key_impl_wrapped_configILNS1_25lookback_scan_determinismE0ES3_S9_NS6_6detail15normal_iteratorINS6_10device_ptrIjEEEENSD_INSE_IxEEEENS6_16discard_iteratorINS6_11use_defaultEEESI_PmS8_NS6_8equal_toIjEEEE10hipError_tPvRmT2_T3_mT4_T5_T6_T7_T8_P12ihipStream_tbENKUlT_T0_E_clISt17integral_constantIbLb0EES15_IbLb1EEEEDaS11_S12_EUlS11_E_NS1_11comp_targetILNS1_3genE0ELNS1_11target_archE4294967295ELNS1_3gpuE0ELNS1_3repE0EEENS1_30default_config_static_selectorELNS0_4arch9wavefront6targetE1EEEvT1_
                                        ; -- End function
	.section	.AMDGPU.csdata,"",@progbits
; Kernel info:
; codeLenInByte = 0
; NumSgprs: 4
; NumVgprs: 0
; NumAgprs: 0
; TotalNumVgprs: 0
; ScratchSize: 0
; MemoryBound: 0
; FloatMode: 240
; IeeeMode: 1
; LDSByteSize: 0 bytes/workgroup (compile time only)
; SGPRBlocks: 0
; VGPRBlocks: 0
; NumSGPRsForWavesPerEU: 4
; NumVGPRsForWavesPerEU: 1
; AccumOffset: 4
; Occupancy: 8
; WaveLimiterHint : 0
; COMPUTE_PGM_RSRC2:SCRATCH_EN: 0
; COMPUTE_PGM_RSRC2:USER_SGPR: 6
; COMPUTE_PGM_RSRC2:TRAP_HANDLER: 0
; COMPUTE_PGM_RSRC2:TGID_X_EN: 1
; COMPUTE_PGM_RSRC2:TGID_Y_EN: 0
; COMPUTE_PGM_RSRC2:TGID_Z_EN: 0
; COMPUTE_PGM_RSRC2:TIDIG_COMP_CNT: 0
; COMPUTE_PGM_RSRC3_GFX90A:ACCUM_OFFSET: 0
; COMPUTE_PGM_RSRC3_GFX90A:TG_SPLIT: 0
	.section	.text._ZN7rocprim17ROCPRIM_400000_NS6detail17trampoline_kernelINS0_14default_configENS1_29reduce_by_key_config_selectorIjxN6thrust23THRUST_200600_302600_NS4plusIxEEEEZZNS1_33reduce_by_key_impl_wrapped_configILNS1_25lookback_scan_determinismE0ES3_S9_NS6_6detail15normal_iteratorINS6_10device_ptrIjEEEENSD_INSE_IxEEEENS6_16discard_iteratorINS6_11use_defaultEEESI_PmS8_NS6_8equal_toIjEEEE10hipError_tPvRmT2_T3_mT4_T5_T6_T7_T8_P12ihipStream_tbENKUlT_T0_E_clISt17integral_constantIbLb0EES15_IbLb1EEEEDaS11_S12_EUlS11_E_NS1_11comp_targetILNS1_3genE5ELNS1_11target_archE942ELNS1_3gpuE9ELNS1_3repE0EEENS1_30default_config_static_selectorELNS0_4arch9wavefront6targetE1EEEvT1_,"axG",@progbits,_ZN7rocprim17ROCPRIM_400000_NS6detail17trampoline_kernelINS0_14default_configENS1_29reduce_by_key_config_selectorIjxN6thrust23THRUST_200600_302600_NS4plusIxEEEEZZNS1_33reduce_by_key_impl_wrapped_configILNS1_25lookback_scan_determinismE0ES3_S9_NS6_6detail15normal_iteratorINS6_10device_ptrIjEEEENSD_INSE_IxEEEENS6_16discard_iteratorINS6_11use_defaultEEESI_PmS8_NS6_8equal_toIjEEEE10hipError_tPvRmT2_T3_mT4_T5_T6_T7_T8_P12ihipStream_tbENKUlT_T0_E_clISt17integral_constantIbLb0EES15_IbLb1EEEEDaS11_S12_EUlS11_E_NS1_11comp_targetILNS1_3genE5ELNS1_11target_archE942ELNS1_3gpuE9ELNS1_3repE0EEENS1_30default_config_static_selectorELNS0_4arch9wavefront6targetE1EEEvT1_,comdat
	.protected	_ZN7rocprim17ROCPRIM_400000_NS6detail17trampoline_kernelINS0_14default_configENS1_29reduce_by_key_config_selectorIjxN6thrust23THRUST_200600_302600_NS4plusIxEEEEZZNS1_33reduce_by_key_impl_wrapped_configILNS1_25lookback_scan_determinismE0ES3_S9_NS6_6detail15normal_iteratorINS6_10device_ptrIjEEEENSD_INSE_IxEEEENS6_16discard_iteratorINS6_11use_defaultEEESI_PmS8_NS6_8equal_toIjEEEE10hipError_tPvRmT2_T3_mT4_T5_T6_T7_T8_P12ihipStream_tbENKUlT_T0_E_clISt17integral_constantIbLb0EES15_IbLb1EEEEDaS11_S12_EUlS11_E_NS1_11comp_targetILNS1_3genE5ELNS1_11target_archE942ELNS1_3gpuE9ELNS1_3repE0EEENS1_30default_config_static_selectorELNS0_4arch9wavefront6targetE1EEEvT1_ ; -- Begin function _ZN7rocprim17ROCPRIM_400000_NS6detail17trampoline_kernelINS0_14default_configENS1_29reduce_by_key_config_selectorIjxN6thrust23THRUST_200600_302600_NS4plusIxEEEEZZNS1_33reduce_by_key_impl_wrapped_configILNS1_25lookback_scan_determinismE0ES3_S9_NS6_6detail15normal_iteratorINS6_10device_ptrIjEEEENSD_INSE_IxEEEENS6_16discard_iteratorINS6_11use_defaultEEESI_PmS8_NS6_8equal_toIjEEEE10hipError_tPvRmT2_T3_mT4_T5_T6_T7_T8_P12ihipStream_tbENKUlT_T0_E_clISt17integral_constantIbLb0EES15_IbLb1EEEEDaS11_S12_EUlS11_E_NS1_11comp_targetILNS1_3genE5ELNS1_11target_archE942ELNS1_3gpuE9ELNS1_3repE0EEENS1_30default_config_static_selectorELNS0_4arch9wavefront6targetE1EEEvT1_
	.globl	_ZN7rocprim17ROCPRIM_400000_NS6detail17trampoline_kernelINS0_14default_configENS1_29reduce_by_key_config_selectorIjxN6thrust23THRUST_200600_302600_NS4plusIxEEEEZZNS1_33reduce_by_key_impl_wrapped_configILNS1_25lookback_scan_determinismE0ES3_S9_NS6_6detail15normal_iteratorINS6_10device_ptrIjEEEENSD_INSE_IxEEEENS6_16discard_iteratorINS6_11use_defaultEEESI_PmS8_NS6_8equal_toIjEEEE10hipError_tPvRmT2_T3_mT4_T5_T6_T7_T8_P12ihipStream_tbENKUlT_T0_E_clISt17integral_constantIbLb0EES15_IbLb1EEEEDaS11_S12_EUlS11_E_NS1_11comp_targetILNS1_3genE5ELNS1_11target_archE942ELNS1_3gpuE9ELNS1_3repE0EEENS1_30default_config_static_selectorELNS0_4arch9wavefront6targetE1EEEvT1_
	.p2align	8
	.type	_ZN7rocprim17ROCPRIM_400000_NS6detail17trampoline_kernelINS0_14default_configENS1_29reduce_by_key_config_selectorIjxN6thrust23THRUST_200600_302600_NS4plusIxEEEEZZNS1_33reduce_by_key_impl_wrapped_configILNS1_25lookback_scan_determinismE0ES3_S9_NS6_6detail15normal_iteratorINS6_10device_ptrIjEEEENSD_INSE_IxEEEENS6_16discard_iteratorINS6_11use_defaultEEESI_PmS8_NS6_8equal_toIjEEEE10hipError_tPvRmT2_T3_mT4_T5_T6_T7_T8_P12ihipStream_tbENKUlT_T0_E_clISt17integral_constantIbLb0EES15_IbLb1EEEEDaS11_S12_EUlS11_E_NS1_11comp_targetILNS1_3genE5ELNS1_11target_archE942ELNS1_3gpuE9ELNS1_3repE0EEENS1_30default_config_static_selectorELNS0_4arch9wavefront6targetE1EEEvT1_,@function
_ZN7rocprim17ROCPRIM_400000_NS6detail17trampoline_kernelINS0_14default_configENS1_29reduce_by_key_config_selectorIjxN6thrust23THRUST_200600_302600_NS4plusIxEEEEZZNS1_33reduce_by_key_impl_wrapped_configILNS1_25lookback_scan_determinismE0ES3_S9_NS6_6detail15normal_iteratorINS6_10device_ptrIjEEEENSD_INSE_IxEEEENS6_16discard_iteratorINS6_11use_defaultEEESI_PmS8_NS6_8equal_toIjEEEE10hipError_tPvRmT2_T3_mT4_T5_T6_T7_T8_P12ihipStream_tbENKUlT_T0_E_clISt17integral_constantIbLb0EES15_IbLb1EEEEDaS11_S12_EUlS11_E_NS1_11comp_targetILNS1_3genE5ELNS1_11target_archE942ELNS1_3gpuE9ELNS1_3repE0EEENS1_30default_config_static_selectorELNS0_4arch9wavefront6targetE1EEEvT1_: ; @_ZN7rocprim17ROCPRIM_400000_NS6detail17trampoline_kernelINS0_14default_configENS1_29reduce_by_key_config_selectorIjxN6thrust23THRUST_200600_302600_NS4plusIxEEEEZZNS1_33reduce_by_key_impl_wrapped_configILNS1_25lookback_scan_determinismE0ES3_S9_NS6_6detail15normal_iteratorINS6_10device_ptrIjEEEENSD_INSE_IxEEEENS6_16discard_iteratorINS6_11use_defaultEEESI_PmS8_NS6_8equal_toIjEEEE10hipError_tPvRmT2_T3_mT4_T5_T6_T7_T8_P12ihipStream_tbENKUlT_T0_E_clISt17integral_constantIbLb0EES15_IbLb1EEEEDaS11_S12_EUlS11_E_NS1_11comp_targetILNS1_3genE5ELNS1_11target_archE942ELNS1_3gpuE9ELNS1_3repE0EEENS1_30default_config_static_selectorELNS0_4arch9wavefront6targetE1EEEvT1_
; %bb.0:
	.section	.rodata,"a",@progbits
	.p2align	6, 0x0
	.amdhsa_kernel _ZN7rocprim17ROCPRIM_400000_NS6detail17trampoline_kernelINS0_14default_configENS1_29reduce_by_key_config_selectorIjxN6thrust23THRUST_200600_302600_NS4plusIxEEEEZZNS1_33reduce_by_key_impl_wrapped_configILNS1_25lookback_scan_determinismE0ES3_S9_NS6_6detail15normal_iteratorINS6_10device_ptrIjEEEENSD_INSE_IxEEEENS6_16discard_iteratorINS6_11use_defaultEEESI_PmS8_NS6_8equal_toIjEEEE10hipError_tPvRmT2_T3_mT4_T5_T6_T7_T8_P12ihipStream_tbENKUlT_T0_E_clISt17integral_constantIbLb0EES15_IbLb1EEEEDaS11_S12_EUlS11_E_NS1_11comp_targetILNS1_3genE5ELNS1_11target_archE942ELNS1_3gpuE9ELNS1_3repE0EEENS1_30default_config_static_selectorELNS0_4arch9wavefront6targetE1EEEvT1_
		.amdhsa_group_segment_fixed_size 0
		.amdhsa_private_segment_fixed_size 0
		.amdhsa_kernarg_size 144
		.amdhsa_user_sgpr_count 6
		.amdhsa_user_sgpr_private_segment_buffer 1
		.amdhsa_user_sgpr_dispatch_ptr 0
		.amdhsa_user_sgpr_queue_ptr 0
		.amdhsa_user_sgpr_kernarg_segment_ptr 1
		.amdhsa_user_sgpr_dispatch_id 0
		.amdhsa_user_sgpr_flat_scratch_init 0
		.amdhsa_user_sgpr_kernarg_preload_length 0
		.amdhsa_user_sgpr_kernarg_preload_offset 0
		.amdhsa_user_sgpr_private_segment_size 0
		.amdhsa_uses_dynamic_stack 0
		.amdhsa_system_sgpr_private_segment_wavefront_offset 0
		.amdhsa_system_sgpr_workgroup_id_x 1
		.amdhsa_system_sgpr_workgroup_id_y 0
		.amdhsa_system_sgpr_workgroup_id_z 0
		.amdhsa_system_sgpr_workgroup_info 0
		.amdhsa_system_vgpr_workitem_id 0
		.amdhsa_next_free_vgpr 1
		.amdhsa_next_free_sgpr 0
		.amdhsa_accum_offset 4
		.amdhsa_reserve_vcc 0
		.amdhsa_reserve_flat_scratch 0
		.amdhsa_float_round_mode_32 0
		.amdhsa_float_round_mode_16_64 0
		.amdhsa_float_denorm_mode_32 3
		.amdhsa_float_denorm_mode_16_64 3
		.amdhsa_dx10_clamp 1
		.amdhsa_ieee_mode 1
		.amdhsa_fp16_overflow 0
		.amdhsa_tg_split 0
		.amdhsa_exception_fp_ieee_invalid_op 0
		.amdhsa_exception_fp_denorm_src 0
		.amdhsa_exception_fp_ieee_div_zero 0
		.amdhsa_exception_fp_ieee_overflow 0
		.amdhsa_exception_fp_ieee_underflow 0
		.amdhsa_exception_fp_ieee_inexact 0
		.amdhsa_exception_int_div_zero 0
	.end_amdhsa_kernel
	.section	.text._ZN7rocprim17ROCPRIM_400000_NS6detail17trampoline_kernelINS0_14default_configENS1_29reduce_by_key_config_selectorIjxN6thrust23THRUST_200600_302600_NS4plusIxEEEEZZNS1_33reduce_by_key_impl_wrapped_configILNS1_25lookback_scan_determinismE0ES3_S9_NS6_6detail15normal_iteratorINS6_10device_ptrIjEEEENSD_INSE_IxEEEENS6_16discard_iteratorINS6_11use_defaultEEESI_PmS8_NS6_8equal_toIjEEEE10hipError_tPvRmT2_T3_mT4_T5_T6_T7_T8_P12ihipStream_tbENKUlT_T0_E_clISt17integral_constantIbLb0EES15_IbLb1EEEEDaS11_S12_EUlS11_E_NS1_11comp_targetILNS1_3genE5ELNS1_11target_archE942ELNS1_3gpuE9ELNS1_3repE0EEENS1_30default_config_static_selectorELNS0_4arch9wavefront6targetE1EEEvT1_,"axG",@progbits,_ZN7rocprim17ROCPRIM_400000_NS6detail17trampoline_kernelINS0_14default_configENS1_29reduce_by_key_config_selectorIjxN6thrust23THRUST_200600_302600_NS4plusIxEEEEZZNS1_33reduce_by_key_impl_wrapped_configILNS1_25lookback_scan_determinismE0ES3_S9_NS6_6detail15normal_iteratorINS6_10device_ptrIjEEEENSD_INSE_IxEEEENS6_16discard_iteratorINS6_11use_defaultEEESI_PmS8_NS6_8equal_toIjEEEE10hipError_tPvRmT2_T3_mT4_T5_T6_T7_T8_P12ihipStream_tbENKUlT_T0_E_clISt17integral_constantIbLb0EES15_IbLb1EEEEDaS11_S12_EUlS11_E_NS1_11comp_targetILNS1_3genE5ELNS1_11target_archE942ELNS1_3gpuE9ELNS1_3repE0EEENS1_30default_config_static_selectorELNS0_4arch9wavefront6targetE1EEEvT1_,comdat
.Lfunc_end1013:
	.size	_ZN7rocprim17ROCPRIM_400000_NS6detail17trampoline_kernelINS0_14default_configENS1_29reduce_by_key_config_selectorIjxN6thrust23THRUST_200600_302600_NS4plusIxEEEEZZNS1_33reduce_by_key_impl_wrapped_configILNS1_25lookback_scan_determinismE0ES3_S9_NS6_6detail15normal_iteratorINS6_10device_ptrIjEEEENSD_INSE_IxEEEENS6_16discard_iteratorINS6_11use_defaultEEESI_PmS8_NS6_8equal_toIjEEEE10hipError_tPvRmT2_T3_mT4_T5_T6_T7_T8_P12ihipStream_tbENKUlT_T0_E_clISt17integral_constantIbLb0EES15_IbLb1EEEEDaS11_S12_EUlS11_E_NS1_11comp_targetILNS1_3genE5ELNS1_11target_archE942ELNS1_3gpuE9ELNS1_3repE0EEENS1_30default_config_static_selectorELNS0_4arch9wavefront6targetE1EEEvT1_, .Lfunc_end1013-_ZN7rocprim17ROCPRIM_400000_NS6detail17trampoline_kernelINS0_14default_configENS1_29reduce_by_key_config_selectorIjxN6thrust23THRUST_200600_302600_NS4plusIxEEEEZZNS1_33reduce_by_key_impl_wrapped_configILNS1_25lookback_scan_determinismE0ES3_S9_NS6_6detail15normal_iteratorINS6_10device_ptrIjEEEENSD_INSE_IxEEEENS6_16discard_iteratorINS6_11use_defaultEEESI_PmS8_NS6_8equal_toIjEEEE10hipError_tPvRmT2_T3_mT4_T5_T6_T7_T8_P12ihipStream_tbENKUlT_T0_E_clISt17integral_constantIbLb0EES15_IbLb1EEEEDaS11_S12_EUlS11_E_NS1_11comp_targetILNS1_3genE5ELNS1_11target_archE942ELNS1_3gpuE9ELNS1_3repE0EEENS1_30default_config_static_selectorELNS0_4arch9wavefront6targetE1EEEvT1_
                                        ; -- End function
	.section	.AMDGPU.csdata,"",@progbits
; Kernel info:
; codeLenInByte = 0
; NumSgprs: 4
; NumVgprs: 0
; NumAgprs: 0
; TotalNumVgprs: 0
; ScratchSize: 0
; MemoryBound: 0
; FloatMode: 240
; IeeeMode: 1
; LDSByteSize: 0 bytes/workgroup (compile time only)
; SGPRBlocks: 0
; VGPRBlocks: 0
; NumSGPRsForWavesPerEU: 4
; NumVGPRsForWavesPerEU: 1
; AccumOffset: 4
; Occupancy: 8
; WaveLimiterHint : 0
; COMPUTE_PGM_RSRC2:SCRATCH_EN: 0
; COMPUTE_PGM_RSRC2:USER_SGPR: 6
; COMPUTE_PGM_RSRC2:TRAP_HANDLER: 0
; COMPUTE_PGM_RSRC2:TGID_X_EN: 1
; COMPUTE_PGM_RSRC2:TGID_Y_EN: 0
; COMPUTE_PGM_RSRC2:TGID_Z_EN: 0
; COMPUTE_PGM_RSRC2:TIDIG_COMP_CNT: 0
; COMPUTE_PGM_RSRC3_GFX90A:ACCUM_OFFSET: 0
; COMPUTE_PGM_RSRC3_GFX90A:TG_SPLIT: 0
	.section	.text._ZN7rocprim17ROCPRIM_400000_NS6detail17trampoline_kernelINS0_14default_configENS1_29reduce_by_key_config_selectorIjxN6thrust23THRUST_200600_302600_NS4plusIxEEEEZZNS1_33reduce_by_key_impl_wrapped_configILNS1_25lookback_scan_determinismE0ES3_S9_NS6_6detail15normal_iteratorINS6_10device_ptrIjEEEENSD_INSE_IxEEEENS6_16discard_iteratorINS6_11use_defaultEEESI_PmS8_NS6_8equal_toIjEEEE10hipError_tPvRmT2_T3_mT4_T5_T6_T7_T8_P12ihipStream_tbENKUlT_T0_E_clISt17integral_constantIbLb0EES15_IbLb1EEEEDaS11_S12_EUlS11_E_NS1_11comp_targetILNS1_3genE4ELNS1_11target_archE910ELNS1_3gpuE8ELNS1_3repE0EEENS1_30default_config_static_selectorELNS0_4arch9wavefront6targetE1EEEvT1_,"axG",@progbits,_ZN7rocprim17ROCPRIM_400000_NS6detail17trampoline_kernelINS0_14default_configENS1_29reduce_by_key_config_selectorIjxN6thrust23THRUST_200600_302600_NS4plusIxEEEEZZNS1_33reduce_by_key_impl_wrapped_configILNS1_25lookback_scan_determinismE0ES3_S9_NS6_6detail15normal_iteratorINS6_10device_ptrIjEEEENSD_INSE_IxEEEENS6_16discard_iteratorINS6_11use_defaultEEESI_PmS8_NS6_8equal_toIjEEEE10hipError_tPvRmT2_T3_mT4_T5_T6_T7_T8_P12ihipStream_tbENKUlT_T0_E_clISt17integral_constantIbLb0EES15_IbLb1EEEEDaS11_S12_EUlS11_E_NS1_11comp_targetILNS1_3genE4ELNS1_11target_archE910ELNS1_3gpuE8ELNS1_3repE0EEENS1_30default_config_static_selectorELNS0_4arch9wavefront6targetE1EEEvT1_,comdat
	.protected	_ZN7rocprim17ROCPRIM_400000_NS6detail17trampoline_kernelINS0_14default_configENS1_29reduce_by_key_config_selectorIjxN6thrust23THRUST_200600_302600_NS4plusIxEEEEZZNS1_33reduce_by_key_impl_wrapped_configILNS1_25lookback_scan_determinismE0ES3_S9_NS6_6detail15normal_iteratorINS6_10device_ptrIjEEEENSD_INSE_IxEEEENS6_16discard_iteratorINS6_11use_defaultEEESI_PmS8_NS6_8equal_toIjEEEE10hipError_tPvRmT2_T3_mT4_T5_T6_T7_T8_P12ihipStream_tbENKUlT_T0_E_clISt17integral_constantIbLb0EES15_IbLb1EEEEDaS11_S12_EUlS11_E_NS1_11comp_targetILNS1_3genE4ELNS1_11target_archE910ELNS1_3gpuE8ELNS1_3repE0EEENS1_30default_config_static_selectorELNS0_4arch9wavefront6targetE1EEEvT1_ ; -- Begin function _ZN7rocprim17ROCPRIM_400000_NS6detail17trampoline_kernelINS0_14default_configENS1_29reduce_by_key_config_selectorIjxN6thrust23THRUST_200600_302600_NS4plusIxEEEEZZNS1_33reduce_by_key_impl_wrapped_configILNS1_25lookback_scan_determinismE0ES3_S9_NS6_6detail15normal_iteratorINS6_10device_ptrIjEEEENSD_INSE_IxEEEENS6_16discard_iteratorINS6_11use_defaultEEESI_PmS8_NS6_8equal_toIjEEEE10hipError_tPvRmT2_T3_mT4_T5_T6_T7_T8_P12ihipStream_tbENKUlT_T0_E_clISt17integral_constantIbLb0EES15_IbLb1EEEEDaS11_S12_EUlS11_E_NS1_11comp_targetILNS1_3genE4ELNS1_11target_archE910ELNS1_3gpuE8ELNS1_3repE0EEENS1_30default_config_static_selectorELNS0_4arch9wavefront6targetE1EEEvT1_
	.globl	_ZN7rocprim17ROCPRIM_400000_NS6detail17trampoline_kernelINS0_14default_configENS1_29reduce_by_key_config_selectorIjxN6thrust23THRUST_200600_302600_NS4plusIxEEEEZZNS1_33reduce_by_key_impl_wrapped_configILNS1_25lookback_scan_determinismE0ES3_S9_NS6_6detail15normal_iteratorINS6_10device_ptrIjEEEENSD_INSE_IxEEEENS6_16discard_iteratorINS6_11use_defaultEEESI_PmS8_NS6_8equal_toIjEEEE10hipError_tPvRmT2_T3_mT4_T5_T6_T7_T8_P12ihipStream_tbENKUlT_T0_E_clISt17integral_constantIbLb0EES15_IbLb1EEEEDaS11_S12_EUlS11_E_NS1_11comp_targetILNS1_3genE4ELNS1_11target_archE910ELNS1_3gpuE8ELNS1_3repE0EEENS1_30default_config_static_selectorELNS0_4arch9wavefront6targetE1EEEvT1_
	.p2align	8
	.type	_ZN7rocprim17ROCPRIM_400000_NS6detail17trampoline_kernelINS0_14default_configENS1_29reduce_by_key_config_selectorIjxN6thrust23THRUST_200600_302600_NS4plusIxEEEEZZNS1_33reduce_by_key_impl_wrapped_configILNS1_25lookback_scan_determinismE0ES3_S9_NS6_6detail15normal_iteratorINS6_10device_ptrIjEEEENSD_INSE_IxEEEENS6_16discard_iteratorINS6_11use_defaultEEESI_PmS8_NS6_8equal_toIjEEEE10hipError_tPvRmT2_T3_mT4_T5_T6_T7_T8_P12ihipStream_tbENKUlT_T0_E_clISt17integral_constantIbLb0EES15_IbLb1EEEEDaS11_S12_EUlS11_E_NS1_11comp_targetILNS1_3genE4ELNS1_11target_archE910ELNS1_3gpuE8ELNS1_3repE0EEENS1_30default_config_static_selectorELNS0_4arch9wavefront6targetE1EEEvT1_,@function
_ZN7rocprim17ROCPRIM_400000_NS6detail17trampoline_kernelINS0_14default_configENS1_29reduce_by_key_config_selectorIjxN6thrust23THRUST_200600_302600_NS4plusIxEEEEZZNS1_33reduce_by_key_impl_wrapped_configILNS1_25lookback_scan_determinismE0ES3_S9_NS6_6detail15normal_iteratorINS6_10device_ptrIjEEEENSD_INSE_IxEEEENS6_16discard_iteratorINS6_11use_defaultEEESI_PmS8_NS6_8equal_toIjEEEE10hipError_tPvRmT2_T3_mT4_T5_T6_T7_T8_P12ihipStream_tbENKUlT_T0_E_clISt17integral_constantIbLb0EES15_IbLb1EEEEDaS11_S12_EUlS11_E_NS1_11comp_targetILNS1_3genE4ELNS1_11target_archE910ELNS1_3gpuE8ELNS1_3repE0EEENS1_30default_config_static_selectorELNS0_4arch9wavefront6targetE1EEEvT1_: ; @_ZN7rocprim17ROCPRIM_400000_NS6detail17trampoline_kernelINS0_14default_configENS1_29reduce_by_key_config_selectorIjxN6thrust23THRUST_200600_302600_NS4plusIxEEEEZZNS1_33reduce_by_key_impl_wrapped_configILNS1_25lookback_scan_determinismE0ES3_S9_NS6_6detail15normal_iteratorINS6_10device_ptrIjEEEENSD_INSE_IxEEEENS6_16discard_iteratorINS6_11use_defaultEEESI_PmS8_NS6_8equal_toIjEEEE10hipError_tPvRmT2_T3_mT4_T5_T6_T7_T8_P12ihipStream_tbENKUlT_T0_E_clISt17integral_constantIbLb0EES15_IbLb1EEEEDaS11_S12_EUlS11_E_NS1_11comp_targetILNS1_3genE4ELNS1_11target_archE910ELNS1_3gpuE8ELNS1_3repE0EEENS1_30default_config_static_selectorELNS0_4arch9wavefront6targetE1EEEvT1_
; %bb.0:
	s_load_dwordx4 s[8:11], s[4:5], 0x0
	s_load_dwordx2 s[6:7], s[4:5], 0x10
	s_load_dwordx2 s[56:57], s[4:5], 0x80
	v_cmp_ne_u32_e64 s[2:3], 0, v0
	v_cmp_eq_u32_e64 s[0:1], 0, v0
	s_and_saveexec_b64 s[12:13], s[0:1]
	s_cbranch_execz .LBB1014_4
; %bb.1:
	s_mov_b64 s[16:17], exec
	v_mbcnt_lo_u32_b32 v1, s16, 0
	v_mbcnt_hi_u32_b32 v1, s17, v1
	v_cmp_eq_u32_e32 vcc, 0, v1
                                        ; implicit-def: $vgpr2
	s_and_saveexec_b64 s[14:15], vcc
	s_cbranch_execz .LBB1014_3
; %bb.2:
	s_load_dwordx2 s[18:19], s[4:5], 0x88
	s_bcnt1_i32_b64 s16, s[16:17]
	v_mov_b32_e32 v2, 0
	v_mov_b32_e32 v3, s16
	s_waitcnt lgkmcnt(0)
	global_atomic_add v2, v2, v3, s[18:19] glc
.LBB1014_3:
	s_or_b64 exec, exec, s[14:15]
	s_waitcnt vmcnt(0)
	v_readfirstlane_b32 s14, v2
	v_add_u32_e32 v1, s14, v1
	v_mov_b32_e32 v2, 0
	ds_write_b32 v2, v1
.LBB1014_4:
	s_or_b64 exec, exec, s[12:13]
	s_load_dwordx4 s[52:55], s[4:5], 0x28
	s_load_dwordx16 s[36:51], s[4:5], 0x40
	s_waitcnt lgkmcnt(0)
	s_lshl_b64 s[4:5], s[10:11], 2
	v_mov_b32_e32 v3, 0
	s_add_u32 s8, s8, s4
	s_barrier
	ds_read_b32 v1, v3
	s_addc_u32 s9, s9, s5
	s_lshl_b64 s[4:5], s[10:11], 3
	s_add_u32 s4, s6, s4
	s_addc_u32 s5, s7, s5
	s_mul_i32 s6, s44, s43
	s_mul_hi_u32 s7, s44, s42
	s_add_i32 s6, s7, s6
	s_mul_i32 s7, s45, s42
	s_add_i32 s6, s6, s7
	s_mul_i32 s7, s44, s42
	s_waitcnt lgkmcnt(0)
	v_readfirstlane_b32 s62, v1
	s_movk_i32 s10, 0xf00
	v_mul_lo_u32 v2, v1, s10
	s_add_u32 s58, s7, s62
	v_lshlrev_b64 v[4:5], 2, v[2:3]
	s_addc_u32 s59, s6, 0
	v_mov_b32_e32 v1, s9
	v_add_co_u32_e32 v47, vcc, s8, v4
	s_add_u32 s6, s46, -1
	v_addc_co_u32_e32 v49, vcc, v1, v5, vcc
	v_lshlrev_b64 v[2:3], 3, v[2:3]
	s_addc_u32 s7, s47, -1
	v_mov_b32_e32 v1, s5
	v_add_co_u32_e32 v51, vcc, s4, v2
	s_cmp_eq_u64 s[58:59], s[6:7]
	v_addc_co_u32_e32 v53, vcc, v1, v3, vcc
	s_cselect_b64 s[44:45], -1, 0
	s_cmp_lg_u64 s[58:59], s[6:7]
	s_mov_b64 s[4:5], -1
	s_cselect_b64 s[46:47], -1, 0
	s_mul_i32 s33, s6, 0xfffff100
	s_and_b64 vcc, exec, s[44:45]
	v_lshlrev_b32_e32 v96, 2, v0
	v_mad_u32_u24 v48, v0, 15, 1
	v_mad_u32_u24 v50, v0, 15, 2
	;; [unrolled: 1-line block ×14, first 2 shown]
	s_barrier
	s_cbranch_vccnz .LBB1014_6
; %bb.5:
	v_add_co_u32_e32 v2, vcc, v47, v96
	v_addc_co_u32_e32 v3, vcc, 0, v49, vcc
	v_add_co_u32_e32 v4, vcc, 0x1000, v2
	v_addc_co_u32_e32 v5, vcc, 0, v3, vcc
	flat_load_dword v1, v[2:3]
	flat_load_dword v6, v[2:3] offset:1024
	flat_load_dword v7, v[2:3] offset:2048
	;; [unrolled: 1-line block ×3, first 2 shown]
	flat_load_dword v9, v[4:5]
	flat_load_dword v10, v[4:5] offset:1024
	flat_load_dword v11, v[4:5] offset:2048
	;; [unrolled: 1-line block ×3, first 2 shown]
	v_add_co_u32_e32 v4, vcc, 0x2000, v2
	v_addc_co_u32_e32 v5, vcc, 0, v3, vcc
	v_add_co_u32_e32 v2, vcc, 0x3000, v2
	v_addc_co_u32_e32 v3, vcc, 0, v3, vcc
	flat_load_dword v13, v[4:5]
	flat_load_dword v14, v[4:5] offset:1024
	flat_load_dword v15, v[4:5] offset:2048
	;; [unrolled: 1-line block ×3, first 2 shown]
	flat_load_dword v25, v[2:3]
	flat_load_dword v26, v[2:3] offset:1024
	flat_load_dword v27, v[2:3] offset:2048
	v_lshlrev_b32_e32 v2, 3, v0
	v_add_co_u32_e32 v16, vcc, v51, v2
	s_movk_i32 s4, 0x1000
	v_addc_co_u32_e32 v17, vcc, 0, v53, vcc
	v_add_co_u32_e32 v18, vcc, s4, v16
	s_movk_i32 s5, 0x2000
	v_addc_co_u32_e32 v19, vcc, 0, v17, vcc
	;; [unrolled: 3-line block ×3, first 2 shown]
	v_add_co_u32_e32 v22, vcc, s6, v16
	v_mad_u32_u24 v57, v0, 56, v96
	s_movk_i32 s7, 0x4000
	v_addc_co_u32_e32 v23, vcc, 0, v17, vcc
	s_movk_i32 s4, 0x5000
	v_mul_u32_u24_e32 v55, 15, v0
	s_waitcnt vmcnt(0) lgkmcnt(0)
	ds_write2st64_b32 v96, v1, v6 offset1:4
	ds_write2st64_b32 v96, v7, v8 offset0:8 offset1:12
	ds_write2st64_b32 v96, v9, v10 offset0:16 offset1:20
	;; [unrolled: 1-line block ×6, first 2 shown]
	ds_write_b32 v96, v27 offset:14336
	s_waitcnt lgkmcnt(0)
	s_barrier
	ds_read2_b32 v[14:15], v57 offset1:1
	ds_read2_b32 v[12:13], v57 offset0:2 offset1:3
	ds_read2_b32 v[10:11], v57 offset0:4 offset1:5
	;; [unrolled: 1-line block ×6, first 2 shown]
	ds_read_b32 v1, v57 offset:56
	s_waitcnt lgkmcnt(0)
	s_barrier
	flat_load_dwordx2 v[24:25], v[16:17]
	flat_load_dwordx2 v[26:27], v[16:17] offset:2048
	flat_load_dwordx2 v[28:29], v[18:19]
	flat_load_dwordx2 v[30:31], v[18:19] offset:2048
	;; [unrolled: 2-line block ×4, first 2 shown]
	v_add_co_u32_e32 v18, vcc, s7, v16
	v_addc_co_u32_e32 v19, vcc, 0, v17, vcc
	v_add_co_u32_e32 v20, vcc, s4, v16
	v_addc_co_u32_e32 v21, vcc, 0, v17, vcc
	s_movk_i32 s4, 0x6000
	flat_load_dwordx2 v[22:23], v[18:19]
	flat_load_dwordx2 v[40:41], v[18:19] offset:2048
	flat_load_dwordx2 v[42:43], v[20:21]
	flat_load_dwordx2 v[44:45], v[20:21] offset:2048
	v_add_co_u32_e32 v18, vcc, s4, v16
	v_addc_co_u32_e32 v19, vcc, 0, v17, vcc
	s_movk_i32 s4, 0x7000
	v_add_co_u32_e32 v16, vcc, s4, v16
	v_addc_co_u32_e32 v17, vcc, 0, v17, vcc
	flat_load_dwordx2 v[20:21], v[18:19]
	flat_load_dwordx2 v[82:83], v[18:19] offset:2048
	flat_load_dwordx2 v[84:85], v[16:17]
	s_movk_i32 s4, 0xffcc
	v_mad_i32_i24 v16, v0, s4, v57
	v_mov_b32_e32 v80, v14
	v_mov_b32_e32 v81, v12
	;; [unrolled: 1-line block ×7, first 2 shown]
	s_mov_b64 s[4:5], 0
	s_waitcnt vmcnt(0) lgkmcnt(0)
	ds_write2st64_b64 v16, v[24:25], v[26:27] offset1:4
	ds_write2st64_b64 v16, v[28:29], v[30:31] offset0:8 offset1:12
	ds_write2st64_b64 v16, v[32:33], v[34:35] offset0:16 offset1:20
	;; [unrolled: 1-line block ×6, first 2 shown]
	ds_write_b64 v16, v[84:85] offset:28672
	s_waitcnt lgkmcnt(0)
	s_barrier
	s_branch .LBB1014_7
.LBB1014_6:
                                        ; implicit-def: $vgpr1
                                        ; implicit-def: $vgpr2
                                        ; implicit-def: $vgpr4
                                        ; implicit-def: $vgpr6
                                        ; implicit-def: $vgpr8
                                        ; implicit-def: $vgpr10
                                        ; implicit-def: $vgpr12
                                        ; implicit-def: $vgpr14
                                        ; implicit-def: $vgpr55
                                        ; implicit-def: $vgpr74_vgpr75
                                        ; implicit-def: $vgpr76_vgpr77
                                        ; implicit-def: $vgpr80_vgpr81
                                        ; implicit-def: $vgpr78_vgpr79
.LBB1014_7:
	s_add_i32 s33, s33, s48
	s_andn2_b64 vcc, exec, s[4:5]
	v_mov_b32_e32 v59, v46
	v_mov_b32_e32 v61, v72
	;; [unrolled: 1-line block ×14, first 2 shown]
	s_cbranch_vccnz .LBB1014_69
; %bb.8:
	v_cmp_gt_u32_e32 vcc, s33, v0
                                        ; implicit-def: $vgpr1
	s_and_saveexec_b64 s[6:7], vcc
	s_cbranch_execz .LBB1014_10
; %bb.9:
	v_add_co_u32_e64 v2, s[4:5], v47, v96
	v_addc_co_u32_e64 v3, s[4:5], 0, v49, s[4:5]
	flat_load_dword v1, v[2:3]
.LBB1014_10:
	s_or_b64 exec, exec, s[6:7]
	v_or_b32_e32 v2, 0x100, v0
	v_cmp_gt_u32_e64 s[4:5], s33, v2
                                        ; implicit-def: $vgpr2
	s_and_saveexec_b64 s[8:9], s[4:5]
	s_cbranch_execz .LBB1014_12
; %bb.11:
	v_add_co_u32_e64 v2, s[6:7], v47, v96
	v_addc_co_u32_e64 v3, s[6:7], 0, v49, s[6:7]
	flat_load_dword v2, v[2:3] offset:1024
.LBB1014_12:
	s_or_b64 exec, exec, s[8:9]
	v_or_b32_e32 v22, 0x200, v0
	v_cmp_gt_u32_e64 s[6:7], s33, v22
                                        ; implicit-def: $vgpr3
	s_and_saveexec_b64 s[10:11], s[6:7]
	s_cbranch_execz .LBB1014_14
; %bb.13:
	v_add_co_u32_e64 v4, s[8:9], v47, v96
	v_addc_co_u32_e64 v5, s[8:9], 0, v49, s[8:9]
	flat_load_dword v3, v[4:5] offset:2048
.LBB1014_14:
	s_or_b64 exec, exec, s[10:11]
	v_or_b32_e32 v24, 0x300, v0
	v_cmp_gt_u32_e64 s[8:9], s33, v24
                                        ; implicit-def: $vgpr4
	s_and_saveexec_b64 s[12:13], s[8:9]
	s_cbranch_execz .LBB1014_16
; %bb.15:
	v_add_co_u32_e64 v4, s[10:11], v47, v96
	v_addc_co_u32_e64 v5, s[10:11], 0, v49, s[10:11]
	flat_load_dword v4, v[4:5] offset:3072
.LBB1014_16:
	s_or_b64 exec, exec, s[12:13]
	v_or_b32_e32 v26, 0x400, v0
	v_cmp_gt_u32_e64 s[10:11], s33, v26
                                        ; implicit-def: $vgpr5
	s_and_saveexec_b64 s[14:15], s[10:11]
	s_cbranch_execz .LBB1014_18
; %bb.17:
	v_lshlrev_b32_e32 v5, 2, v26
	v_add_co_u32_e64 v6, s[12:13], v47, v5
	v_addc_co_u32_e64 v7, s[12:13], 0, v49, s[12:13]
	flat_load_dword v5, v[6:7]
.LBB1014_18:
	s_or_b64 exec, exec, s[14:15]
	v_or_b32_e32 v28, 0x500, v0
	v_cmp_gt_u32_e64 s[12:13], s33, v28
                                        ; implicit-def: $vgpr6
	s_and_saveexec_b64 s[16:17], s[12:13]
	s_cbranch_execz .LBB1014_20
; %bb.19:
	v_lshlrev_b32_e32 v6, 2, v28
	v_add_co_u32_e64 v6, s[14:15], v47, v6
	v_addc_co_u32_e64 v7, s[14:15], 0, v49, s[14:15]
	flat_load_dword v6, v[6:7]
.LBB1014_20:
	s_or_b64 exec, exec, s[16:17]
	v_or_b32_e32 v30, 0x600, v0
	v_cmp_gt_u32_e64 s[14:15], s33, v30
                                        ; implicit-def: $vgpr7
	s_and_saveexec_b64 s[18:19], s[14:15]
	s_cbranch_execz .LBB1014_22
; %bb.21:
	v_lshlrev_b32_e32 v7, 2, v30
	v_add_co_u32_e64 v8, s[16:17], v47, v7
	v_addc_co_u32_e64 v9, s[16:17], 0, v49, s[16:17]
	flat_load_dword v7, v[8:9]
.LBB1014_22:
	s_or_b64 exec, exec, s[18:19]
	v_or_b32_e32 v32, 0x700, v0
	v_cmp_gt_u32_e64 s[16:17], s33, v32
                                        ; implicit-def: $vgpr8
	s_and_saveexec_b64 s[20:21], s[16:17]
	s_cbranch_execz .LBB1014_24
; %bb.23:
	v_lshlrev_b32_e32 v8, 2, v32
	v_add_co_u32_e64 v8, s[18:19], v47, v8
	v_addc_co_u32_e64 v9, s[18:19], 0, v49, s[18:19]
	flat_load_dword v8, v[8:9]
.LBB1014_24:
	s_or_b64 exec, exec, s[20:21]
	v_or_b32_e32 v34, 0x800, v0
	v_cmp_gt_u32_e64 s[18:19], s33, v34
                                        ; implicit-def: $vgpr9
	s_and_saveexec_b64 s[22:23], s[18:19]
	s_cbranch_execz .LBB1014_26
; %bb.25:
	v_lshlrev_b32_e32 v9, 2, v34
	v_add_co_u32_e64 v10, s[20:21], v47, v9
	v_addc_co_u32_e64 v11, s[20:21], 0, v49, s[20:21]
	flat_load_dword v9, v[10:11]
.LBB1014_26:
	s_or_b64 exec, exec, s[22:23]
	v_or_b32_e32 v36, 0x900, v0
	v_cmp_gt_u32_e64 s[20:21], s33, v36
                                        ; implicit-def: $vgpr10
	s_and_saveexec_b64 s[24:25], s[20:21]
	s_cbranch_execz .LBB1014_28
; %bb.27:
	v_lshlrev_b32_e32 v10, 2, v36
	v_add_co_u32_e64 v10, s[22:23], v47, v10
	v_addc_co_u32_e64 v11, s[22:23], 0, v49, s[22:23]
	flat_load_dword v10, v[10:11]
.LBB1014_28:
	s_or_b64 exec, exec, s[24:25]
	v_or_b32_e32 v38, 0xa00, v0
	v_cmp_gt_u32_e64 s[22:23], s33, v38
                                        ; implicit-def: $vgpr11
	s_and_saveexec_b64 s[26:27], s[22:23]
	s_cbranch_execz .LBB1014_30
; %bb.29:
	v_lshlrev_b32_e32 v11, 2, v38
	v_add_co_u32_e64 v12, s[24:25], v47, v11
	v_addc_co_u32_e64 v13, s[24:25], 0, v49, s[24:25]
	flat_load_dword v11, v[12:13]
.LBB1014_30:
	s_or_b64 exec, exec, s[26:27]
	v_or_b32_e32 v40, 0xb00, v0
	v_cmp_gt_u32_e64 s[24:25], s33, v40
                                        ; implicit-def: $vgpr12
	s_and_saveexec_b64 s[28:29], s[24:25]
	s_cbranch_execz .LBB1014_32
; %bb.31:
	v_lshlrev_b32_e32 v12, 2, v40
	v_add_co_u32_e64 v12, s[26:27], v47, v12
	v_addc_co_u32_e64 v13, s[26:27], 0, v49, s[26:27]
	flat_load_dword v12, v[12:13]
.LBB1014_32:
	s_or_b64 exec, exec, s[28:29]
	v_or_b32_e32 v42, 0xc00, v0
	v_cmp_gt_u32_e64 s[26:27], s33, v42
                                        ; implicit-def: $vgpr13
	s_and_saveexec_b64 s[30:31], s[26:27]
	s_cbranch_execz .LBB1014_34
; %bb.33:
	v_lshlrev_b32_e32 v13, 2, v42
	v_add_co_u32_e64 v14, s[28:29], v47, v13
	v_addc_co_u32_e64 v15, s[28:29], 0, v49, s[28:29]
	flat_load_dword v13, v[14:15]
.LBB1014_34:
	s_or_b64 exec, exec, s[30:31]
	v_or_b32_e32 v44, 0xd00, v0
	v_cmp_gt_u32_e64 s[28:29], s33, v44
                                        ; implicit-def: $vgpr14
	s_and_saveexec_b64 s[34:35], s[28:29]
	s_cbranch_execz .LBB1014_36
; %bb.35:
	v_lshlrev_b32_e32 v14, 2, v44
	v_add_co_u32_e64 v14, s[30:31], v47, v14
	v_addc_co_u32_e64 v15, s[30:31], 0, v49, s[30:31]
	flat_load_dword v14, v[14:15]
.LBB1014_36:
	s_or_b64 exec, exec, s[34:35]
	v_or_b32_e32 v59, 0xe00, v0
	v_cmp_gt_u32_e64 s[30:31], s33, v59
                                        ; implicit-def: $vgpr15
	s_and_saveexec_b64 s[60:61], s[30:31]
	s_cbranch_execz .LBB1014_38
; %bb.37:
	v_lshlrev_b32_e32 v15, 2, v59
	v_add_co_u32_e64 v16, s[34:35], v47, v15
	v_addc_co_u32_e64 v17, s[34:35], 0, v49, s[34:35]
	flat_load_dword v15, v[16:17]
.LBB1014_38:
	s_or_b64 exec, exec, s[60:61]
	v_mad_u32_u24 v57, v0, 56, v96
	s_waitcnt vmcnt(0) lgkmcnt(0)
	ds_write2st64_b32 v96, v1, v2 offset1:4
	ds_write2st64_b32 v96, v3, v4 offset0:8 offset1:12
	ds_write2st64_b32 v96, v5, v6 offset0:16 offset1:20
	;; [unrolled: 1-line block ×6, first 2 shown]
	ds_write_b32 v96, v15 offset:14336
	s_waitcnt lgkmcnt(0)
	s_barrier
	ds_read2_b32 v[14:15], v57 offset1:1
	ds_read2_b32 v[12:13], v57 offset0:2 offset1:3
	ds_read2_b32 v[10:11], v57 offset0:4 offset1:5
	;; [unrolled: 1-line block ×6, first 2 shown]
	ds_read_b32 v1, v57 offset:56
	s_waitcnt lgkmcnt(0)
	s_barrier
	s_waitcnt lgkmcnt(0)
                                        ; implicit-def: $vgpr16_vgpr17
	s_and_saveexec_b64 s[34:35], vcc
	s_cbranch_execz .LBB1014_52
; %bb.39:
	v_lshlrev_b32_e32 v16, 3, v0
	v_add_co_u32_e32 v16, vcc, v51, v16
	v_addc_co_u32_e32 v17, vcc, 0, v53, vcc
	flat_load_dwordx2 v[16:17], v[16:17]
	s_or_b64 exec, exec, s[34:35]
                                        ; implicit-def: $vgpr18_vgpr19
	s_and_saveexec_b64 s[34:35], s[4:5]
	s_cbranch_execnz .LBB1014_53
.LBB1014_40:
	s_or_b64 exec, exec, s[34:35]
                                        ; implicit-def: $vgpr20_vgpr21
	s_and_saveexec_b64 s[4:5], s[6:7]
	s_cbranch_execz .LBB1014_54
.LBB1014_41:
	v_lshlrev_b32_e32 v20, 3, v22
	v_add_co_u32_e32 v20, vcc, v51, v20
	v_addc_co_u32_e32 v21, vcc, 0, v53, vcc
	flat_load_dwordx2 v[20:21], v[20:21]
	s_or_b64 exec, exec, s[4:5]
                                        ; implicit-def: $vgpr22_vgpr23
	s_and_saveexec_b64 s[4:5], s[8:9]
	s_cbranch_execnz .LBB1014_55
.LBB1014_42:
	s_or_b64 exec, exec, s[4:5]
                                        ; implicit-def: $vgpr24_vgpr25
	s_and_saveexec_b64 s[4:5], s[10:11]
	s_cbranch_execz .LBB1014_56
.LBB1014_43:
	v_lshlrev_b32_e32 v24, 3, v26
	v_add_co_u32_e32 v24, vcc, v51, v24
	v_addc_co_u32_e32 v25, vcc, 0, v53, vcc
	flat_load_dwordx2 v[24:25], v[24:25]
	s_or_b64 exec, exec, s[4:5]
                                        ; implicit-def: $vgpr26_vgpr27
	s_and_saveexec_b64 s[4:5], s[12:13]
	s_cbranch_execnz .LBB1014_57
.LBB1014_44:
	s_or_b64 exec, exec, s[4:5]
                                        ; implicit-def: $vgpr28_vgpr29
	s_and_saveexec_b64 s[4:5], s[14:15]
	s_cbranch_execz .LBB1014_58
.LBB1014_45:
	v_lshlrev_b32_e32 v28, 3, v30
	v_add_co_u32_e32 v28, vcc, v51, v28
	v_addc_co_u32_e32 v29, vcc, 0, v53, vcc
	flat_load_dwordx2 v[28:29], v[28:29]
	s_or_b64 exec, exec, s[4:5]
                                        ; implicit-def: $vgpr30_vgpr31
	s_and_saveexec_b64 s[4:5], s[16:17]
	s_cbranch_execnz .LBB1014_59
.LBB1014_46:
	s_or_b64 exec, exec, s[4:5]
                                        ; implicit-def: $vgpr32_vgpr33
	s_and_saveexec_b64 s[4:5], s[18:19]
	s_cbranch_execz .LBB1014_60
.LBB1014_47:
	v_lshlrev_b32_e32 v32, 3, v34
	v_add_co_u32_e32 v32, vcc, v51, v32
	v_addc_co_u32_e32 v33, vcc, 0, v53, vcc
	flat_load_dwordx2 v[32:33], v[32:33]
	s_or_b64 exec, exec, s[4:5]
                                        ; implicit-def: $vgpr34_vgpr35
	s_and_saveexec_b64 s[4:5], s[20:21]
	s_cbranch_execnz .LBB1014_61
.LBB1014_48:
	s_or_b64 exec, exec, s[4:5]
                                        ; implicit-def: $vgpr36_vgpr37
	s_and_saveexec_b64 s[4:5], s[22:23]
	s_cbranch_execz .LBB1014_62
.LBB1014_49:
	v_lshlrev_b32_e32 v36, 3, v38
	v_add_co_u32_e32 v36, vcc, v51, v36
	v_addc_co_u32_e32 v37, vcc, 0, v53, vcc
	flat_load_dwordx2 v[36:37], v[36:37]
	s_or_b64 exec, exec, s[4:5]
                                        ; implicit-def: $vgpr38_vgpr39
	s_and_saveexec_b64 s[4:5], s[24:25]
	s_cbranch_execnz .LBB1014_63
.LBB1014_50:
	s_or_b64 exec, exec, s[4:5]
                                        ; implicit-def: $vgpr40_vgpr41
	s_and_saveexec_b64 s[4:5], s[26:27]
	s_cbranch_execz .LBB1014_64
.LBB1014_51:
	v_lshlrev_b32_e32 v40, 3, v42
	v_add_co_u32_e32 v40, vcc, v51, v40
	v_addc_co_u32_e32 v41, vcc, 0, v53, vcc
	flat_load_dwordx2 v[40:41], v[40:41]
	s_or_b64 exec, exec, s[4:5]
                                        ; implicit-def: $vgpr42_vgpr43
	s_and_saveexec_b64 s[4:5], s[28:29]
	s_cbranch_execz .LBB1014_66
	s_branch .LBB1014_65
.LBB1014_52:
	s_or_b64 exec, exec, s[34:35]
                                        ; implicit-def: $vgpr18_vgpr19
	s_and_saveexec_b64 s[34:35], s[4:5]
	s_cbranch_execz .LBB1014_40
.LBB1014_53:
	v_lshlrev_b32_e32 v18, 3, v0
	v_add_co_u32_e32 v18, vcc, v51, v18
	v_addc_co_u32_e32 v19, vcc, 0, v53, vcc
	flat_load_dwordx2 v[18:19], v[18:19] offset:2048
	s_or_b64 exec, exec, s[34:35]
                                        ; implicit-def: $vgpr20_vgpr21
	s_and_saveexec_b64 s[4:5], s[6:7]
	s_cbranch_execnz .LBB1014_41
.LBB1014_54:
	s_or_b64 exec, exec, s[4:5]
                                        ; implicit-def: $vgpr22_vgpr23
	s_and_saveexec_b64 s[4:5], s[8:9]
	s_cbranch_execz .LBB1014_42
.LBB1014_55:
	v_lshlrev_b32_e32 v22, 3, v24
	v_add_co_u32_e32 v22, vcc, v51, v22
	v_addc_co_u32_e32 v23, vcc, 0, v53, vcc
	flat_load_dwordx2 v[22:23], v[22:23]
	s_or_b64 exec, exec, s[4:5]
                                        ; implicit-def: $vgpr24_vgpr25
	s_and_saveexec_b64 s[4:5], s[10:11]
	s_cbranch_execnz .LBB1014_43
.LBB1014_56:
	s_or_b64 exec, exec, s[4:5]
                                        ; implicit-def: $vgpr26_vgpr27
	s_and_saveexec_b64 s[4:5], s[12:13]
	s_cbranch_execz .LBB1014_44
.LBB1014_57:
	v_lshlrev_b32_e32 v26, 3, v28
	v_add_co_u32_e32 v26, vcc, v51, v26
	v_addc_co_u32_e32 v27, vcc, 0, v53, vcc
	flat_load_dwordx2 v[26:27], v[26:27]
	s_or_b64 exec, exec, s[4:5]
                                        ; implicit-def: $vgpr28_vgpr29
	s_and_saveexec_b64 s[4:5], s[14:15]
	s_cbranch_execnz .LBB1014_45
.LBB1014_58:
	s_or_b64 exec, exec, s[4:5]
                                        ; implicit-def: $vgpr30_vgpr31
	s_and_saveexec_b64 s[4:5], s[16:17]
	s_cbranch_execz .LBB1014_46
.LBB1014_59:
	v_lshlrev_b32_e32 v30, 3, v32
	v_add_co_u32_e32 v30, vcc, v51, v30
	v_addc_co_u32_e32 v31, vcc, 0, v53, vcc
	flat_load_dwordx2 v[30:31], v[30:31]
	s_or_b64 exec, exec, s[4:5]
                                        ; implicit-def: $vgpr32_vgpr33
	s_and_saveexec_b64 s[4:5], s[18:19]
	s_cbranch_execnz .LBB1014_47
.LBB1014_60:
	s_or_b64 exec, exec, s[4:5]
                                        ; implicit-def: $vgpr34_vgpr35
	s_and_saveexec_b64 s[4:5], s[20:21]
	s_cbranch_execz .LBB1014_48
.LBB1014_61:
	v_lshlrev_b32_e32 v34, 3, v36
	v_add_co_u32_e32 v34, vcc, v51, v34
	v_addc_co_u32_e32 v35, vcc, 0, v53, vcc
	flat_load_dwordx2 v[34:35], v[34:35]
	s_or_b64 exec, exec, s[4:5]
                                        ; implicit-def: $vgpr36_vgpr37
	s_and_saveexec_b64 s[4:5], s[22:23]
	s_cbranch_execnz .LBB1014_49
.LBB1014_62:
	s_or_b64 exec, exec, s[4:5]
                                        ; implicit-def: $vgpr38_vgpr39
	s_and_saveexec_b64 s[4:5], s[24:25]
	s_cbranch_execz .LBB1014_50
.LBB1014_63:
	v_lshlrev_b32_e32 v38, 3, v40
	v_add_co_u32_e32 v38, vcc, v51, v38
	v_addc_co_u32_e32 v39, vcc, 0, v53, vcc
	flat_load_dwordx2 v[38:39], v[38:39]
	s_or_b64 exec, exec, s[4:5]
                                        ; implicit-def: $vgpr40_vgpr41
	s_and_saveexec_b64 s[4:5], s[26:27]
	s_cbranch_execnz .LBB1014_51
.LBB1014_64:
	s_or_b64 exec, exec, s[4:5]
                                        ; implicit-def: $vgpr42_vgpr43
	s_and_saveexec_b64 s[4:5], s[28:29]
	s_cbranch_execz .LBB1014_66
.LBB1014_65:
	v_lshlrev_b32_e32 v42, 3, v44
	v_add_co_u32_e32 v42, vcc, v51, v42
	v_addc_co_u32_e32 v43, vcc, 0, v53, vcc
	flat_load_dwordx2 v[42:43], v[42:43]
.LBB1014_66:
	s_or_b64 exec, exec, s[4:5]
	v_mul_u32_u24_e32 v55, 15, v0
                                        ; implicit-def: $vgpr44_vgpr45
	s_and_saveexec_b64 s[4:5], s[30:31]
	s_cbranch_execz .LBB1014_68
; %bb.67:
	v_lshlrev_b32_e32 v44, 3, v59
	v_add_co_u32_e32 v44, vcc, v51, v44
	v_addc_co_u32_e32 v45, vcc, 0, v53, vcc
	flat_load_dwordx2 v[44:45], v[44:45]
.LBB1014_68:
	s_or_b64 exec, exec, s[4:5]
	s_movk_i32 s4, 0xffcc
	v_add_u32_e32 v86, 1, v55
	v_add_u32_e32 v85, 2, v55
	;; [unrolled: 1-line block ×14, first 2 shown]
	v_mad_i32_i24 v51, v0, s4, v57
	v_mov_b32_e32 v80, v14
	v_mov_b32_e32 v81, v12
	v_mov_b32_e32 v76, v10
	v_mov_b32_e32 v77, v8
	v_mov_b32_e32 v74, v6
	v_mov_b32_e32 v75, v4
	v_mov_b32_e32 v78, v2
	s_waitcnt vmcnt(0) lgkmcnt(0)
	ds_write2st64_b64 v51, v[16:17], v[18:19] offset1:4
	ds_write2st64_b64 v51, v[20:21], v[22:23] offset0:8 offset1:12
	ds_write2st64_b64 v51, v[24:25], v[26:27] offset0:16 offset1:20
	;; [unrolled: 1-line block ×6, first 2 shown]
	ds_write_b64 v51, v[44:45] offset:28672
	s_waitcnt lgkmcnt(0)
	s_barrier
.LBB1014_69:
	v_lshlrev_b32_e32 v16, 3, v55
	v_lshlrev_b32_e32 v17, 3, v86
	v_lshlrev_b32_e32 v18, 3, v85
	v_lshlrev_b32_e32 v19, 3, v84
	ds_read_b64 v[42:43], v16
	ds_read_b64 v[40:41], v17
	ds_read_b64 v[38:39], v18
	ds_read_b64 v[34:35], v19
	v_lshlrev_b32_e32 v16, 3, v83
	v_lshlrev_b32_e32 v17, 3, v82
	v_lshlrev_b32_e32 v18, 3, v79
	v_lshlrev_b32_e32 v19, 3, v73
	ds_read_b64 v[36:37], v16
	ds_read_b64 v[32:33], v17
	ds_read_b64 v[30:31], v18
	ds_read_b64 v[26:27], v19
	;; [unrolled: 8-line block ×3, first 2 shown]
	v_lshlrev_b32_e32 v16, 3, v63
	v_lshlrev_b32_e32 v17, 3, v61
	;; [unrolled: 1-line block ×3, first 2 shown]
	ds_read_b64 v[18:19], v16
	ds_read_b64 v[16:17], v17
	;; [unrolled: 1-line block ×3, first 2 shown]
	s_cmp_eq_u64 s[58:59], 0
	s_cselect_b64 s[34:35], -1, 0
	s_cmp_lg_u64 s[58:59], 0
	s_mov_b64 s[60:61], 0
	s_cselect_b64 s[6:7], -1, 0
	s_and_b64 vcc, exec, s[46:47]
	s_waitcnt lgkmcnt(0)
	s_barrier
	s_cbranch_vccz .LBB1014_75
; %bb.70:
	s_and_b64 vcc, exec, s[6:7]
	s_cbranch_vccz .LBB1014_192
; %bb.71:
	v_add_co_u32_e32 v82, vcc, -4, v47
	v_addc_co_u32_e32 v83, vcc, -1, v49, vcc
	flat_load_dword v51, v[82:83]
	ds_write_b32 v96, v1
	s_waitcnt lgkmcnt(0)
	s_barrier
	s_and_saveexec_b64 s[4:5], s[2:3]
	s_cbranch_execz .LBB1014_73
; %bb.72:
	s_waitcnt vmcnt(0)
	v_add_u32_e32 v51, -4, v96
	ds_read_b32 v51, v51
.LBB1014_73:
	s_or_b64 exec, exec, s[4:5]
	v_cmp_ne_u32_e32 vcc, v80, v15
	v_cndmask_b32_e64 v95, 0, 1, vcc
	v_cmp_ne_u32_e32 vcc, v81, v15
	v_cndmask_b32_e64 v94, 0, 1, vcc
	;; [unrolled: 2-line block ×14, first 2 shown]
	s_waitcnt vmcnt(0) lgkmcnt(0)
	v_cmp_ne_u32_e64 s[4:5], v51, v14
	s_mov_b64 s[60:61], -1
.LBB1014_74:
                                        ; implicit-def: $sgpr10
	s_branch .LBB1014_76
.LBB1014_75:
                                        ; implicit-def: $sgpr4_sgpr5
                                        ; implicit-def: $vgpr82
                                        ; implicit-def: $vgpr83
                                        ; implicit-def: $vgpr84
                                        ; implicit-def: $vgpr85
                                        ; implicit-def: $vgpr86
                                        ; implicit-def: $vgpr87
                                        ; implicit-def: $vgpr88
                                        ; implicit-def: $vgpr89
                                        ; implicit-def: $vgpr90
                                        ; implicit-def: $vgpr91
                                        ; implicit-def: $vgpr92
                                        ; implicit-def: $vgpr93
                                        ; implicit-def: $vgpr94
                                        ; implicit-def: $vgpr95
                                        ; implicit-def: $sgpr10
	s_cbranch_execnz .LBB1014_196
.LBB1014_76:
	v_mov_b32_e32 v96, s10
	s_and_saveexec_b64 s[2:3], s[60:61]
.LBB1014_77:
	v_cndmask_b32_e64 v96, 0, 1, s[4:5]
.LBB1014_78:
	s_or_b64 exec, exec, s[2:3]
	s_cmp_eq_u64 s[42:43], 0
	v_add3_u32 v46, v95, v96, v94
	s_cselect_b64 s[30:31], -1, 0
	s_cmp_lg_u32 s62, 0
	v_cmp_eq_u32_e64 s[26:27], 0, v95
	v_cmp_eq_u32_e64 s[24:25], 0, v94
	;; [unrolled: 1-line block ×3, first 2 shown]
	v_add3_u32 v99, v46, v93, v92
	v_cmp_eq_u32_e64 s[20:21], 0, v92
	v_cmp_eq_u32_e64 s[18:19], 0, v91
	;; [unrolled: 1-line block ×10, first 2 shown]
	v_cmp_eq_u32_e32 vcc, 0, v82
	v_mbcnt_lo_u32_b32 v97, -1, 0
	s_cbranch_scc0 .LBB1014_145
; %bb.79:
	v_cndmask_b32_e64 v47, 0, v42, s[26:27]
	v_cndmask_b32_e64 v46, 0, v43, s[26:27]
	v_add_co_u32_e64 v47, s[28:29], v47, v40
	v_addc_co_u32_e64 v46, s[28:29], v46, v41, s[28:29]
	v_cndmask_b32_e64 v47, 0, v47, s[24:25]
	v_cndmask_b32_e64 v46, 0, v46, s[24:25]
	v_add_co_u32_e64 v47, s[28:29], v47, v38
	v_addc_co_u32_e64 v46, s[28:29], v46, v39, s[28:29]
	;; [unrolled: 4-line block ×11, first 2 shown]
	v_cndmask_b32_e64 v47, 0, v47, s[4:5]
	v_add3_u32 v48, v99, v91, v90
	v_cndmask_b32_e64 v46, 0, v46, s[4:5]
	v_add_co_u32_e64 v47, s[28:29], v47, v18
	v_add3_u32 v48, v48, v89, v88
	v_addc_co_u32_e64 v46, s[28:29], v46, v19, s[28:29]
	v_cndmask_b32_e64 v47, 0, v47, s[2:3]
	v_add3_u32 v48, v48, v87, v86
	v_cndmask_b32_e64 v46, 0, v46, s[2:3]
	v_add_co_u32_e64 v47, s[28:29], v47, v16
	v_add3_u32 v48, v48, v85, v84
	v_addc_co_u32_e64 v46, s[28:29], v46, v17, s[28:29]
	v_cndmask_b32_e32 v47, 0, v47, vcc
	v_add3_u32 v50, v48, v83, v82
	v_cndmask_b32_e32 v46, 0, v46, vcc
	v_add_co_u32_e32 v48, vcc, v47, v44
	v_mbcnt_hi_u32_b32 v51, -1, v97
	v_addc_co_u32_e32 v49, vcc, v46, v45, vcc
	v_and_b32_e32 v46, 15, v51
	v_mov_b32_dpp v52, v50 row_shr:1 row_mask:0xf bank_mask:0xf
	v_mov_b32_dpp v47, v48 row_shr:1 row_mask:0xf bank_mask:0xf
	;; [unrolled: 1-line block ×3, first 2 shown]
	v_cmp_ne_u32_e32 vcc, 0, v46
	s_and_saveexec_b64 s[28:29], vcc
; %bb.80:
	v_cmp_eq_u32_e32 vcc, 0, v50
	v_cndmask_b32_e32 v47, 0, v47, vcc
	v_add_u32_e32 v52, v52, v50
	v_cndmask_b32_e32 v50, 0, v53, vcc
	v_add_co_u32_e32 v48, vcc, v47, v48
	v_addc_co_u32_e32 v49, vcc, v50, v49, vcc
	v_mov_b32_e32 v50, v52
; %bb.81:
	s_or_b64 exec, exec, s[28:29]
	s_nop 0
	v_mov_b32_dpp v52, v50 row_shr:2 row_mask:0xf bank_mask:0xf
	v_mov_b32_dpp v47, v48 row_shr:2 row_mask:0xf bank_mask:0xf
	v_mov_b32_dpp v53, v49 row_shr:2 row_mask:0xf bank_mask:0xf
	v_cmp_lt_u32_e32 vcc, 1, v46
	s_and_saveexec_b64 s[28:29], vcc
; %bb.82:
	v_cmp_eq_u32_e32 vcc, 0, v50
	v_cndmask_b32_e32 v47, 0, v47, vcc
	v_add_u32_e32 v52, v52, v50
	v_cndmask_b32_e32 v50, 0, v53, vcc
	v_add_co_u32_e32 v48, vcc, v47, v48
	v_addc_co_u32_e32 v49, vcc, v50, v49, vcc
	v_mov_b32_e32 v50, v52
; %bb.83:
	s_or_b64 exec, exec, s[28:29]
	s_nop 0
	v_mov_b32_dpp v52, v50 row_shr:4 row_mask:0xf bank_mask:0xf
	v_mov_b32_dpp v47, v48 row_shr:4 row_mask:0xf bank_mask:0xf
	v_mov_b32_dpp v53, v49 row_shr:4 row_mask:0xf bank_mask:0xf
	v_cmp_lt_u32_e32 vcc, 3, v46
	;; [unrolled: 16-line block ×3, first 2 shown]
	s_and_saveexec_b64 s[28:29], vcc
; %bb.86:
	v_cmp_eq_u32_e32 vcc, 0, v50
	v_cndmask_b32_e32 v47, 0, v47, vcc
	v_add_u32_e32 v46, v52, v50
	v_cndmask_b32_e32 v50, 0, v53, vcc
	v_add_co_u32_e32 v48, vcc, v47, v48
	v_addc_co_u32_e32 v49, vcc, v50, v49, vcc
	v_mov_b32_e32 v50, v46
; %bb.87:
	s_or_b64 exec, exec, s[28:29]
	v_and_b32_e32 v53, 16, v51
	v_mov_b32_dpp v47, v50 row_bcast:15 row_mask:0xf bank_mask:0xf
	v_mov_b32_dpp v46, v48 row_bcast:15 row_mask:0xf bank_mask:0xf
	;; [unrolled: 1-line block ×3, first 2 shown]
	v_cmp_ne_u32_e32 vcc, 0, v53
	s_and_saveexec_b64 s[28:29], vcc
; %bb.88:
	v_cmp_eq_u32_e32 vcc, 0, v50
	v_cndmask_b32_e32 v46, 0, v46, vcc
	v_add_u32_e32 v47, v47, v50
	v_cndmask_b32_e32 v50, 0, v52, vcc
	v_add_co_u32_e32 v48, vcc, v46, v48
	v_addc_co_u32_e32 v49, vcc, v50, v49, vcc
	v_mov_b32_e32 v50, v47
; %bb.89:
	s_or_b64 exec, exec, s[28:29]
	s_nop 0
	v_mov_b32_dpp v47, v50 row_bcast:31 row_mask:0xf bank_mask:0xf
	v_mov_b32_dpp v46, v48 row_bcast:31 row_mask:0xf bank_mask:0xf
	;; [unrolled: 1-line block ×3, first 2 shown]
	v_cmp_lt_u32_e32 vcc, 31, v51
	s_and_saveexec_b64 s[28:29], vcc
; %bb.90:
	v_cmp_eq_u32_e32 vcc, 0, v50
	v_cndmask_b32_e32 v46, 0, v46, vcc
	v_add_u32_e32 v47, v47, v50
	v_cndmask_b32_e32 v50, 0, v52, vcc
	v_add_co_u32_e32 v48, vcc, v46, v48
	v_addc_co_u32_e32 v49, vcc, v50, v49, vcc
	v_mov_b32_e32 v50, v47
; %bb.91:
	s_or_b64 exec, exec, s[28:29]
	v_lshrrev_b32_e32 v46, 6, v0
	v_or_b32_e32 v47, 63, v0
	v_cmp_eq_u32_e32 vcc, v47, v0
	v_lshlrev_b32_e32 v52, 4, v46
	s_and_saveexec_b64 s[28:29], vcc
	s_cbranch_execz .LBB1014_93
; %bb.92:
	ds_write_b32 v52, v50 offset:2080
	ds_write_b64 v52, v[48:49] offset:2088
.LBB1014_93:
	s_or_b64 exec, exec, s[28:29]
	v_cmp_gt_u32_e32 vcc, 4, v0
	s_waitcnt lgkmcnt(0)
	s_barrier
	s_and_saveexec_b64 s[28:29], vcc
	s_cbranch_execz .LBB1014_99
; %bb.94:
	v_lshlrev_b32_e32 v53, 4, v0
	ds_read_b32 v54, v53 offset:2080
	ds_read_b64 v[46:47], v53 offset:2088
	v_and_b32_e32 v55, 3, v51
	v_cmp_ne_u32_e32 vcc, 0, v55
	s_waitcnt lgkmcnt(1)
	v_mov_b32_dpp v57, v54 row_shr:1 row_mask:0xf bank_mask:0xf
	s_waitcnt lgkmcnt(0)
	v_mov_b32_dpp v56, v46 row_shr:1 row_mask:0xf bank_mask:0xf
	v_mov_b32_dpp v58, v47 row_shr:1 row_mask:0xf bank_mask:0xf
	s_and_saveexec_b64 s[42:43], vcc
; %bb.95:
	v_cmp_eq_u32_e32 vcc, 0, v54
	v_cndmask_b32_e32 v56, 0, v56, vcc
	v_add_u32_e32 v57, v57, v54
	v_cndmask_b32_e32 v54, 0, v58, vcc
	v_add_co_u32_e32 v46, vcc, v56, v46
	v_addc_co_u32_e32 v47, vcc, v54, v47, vcc
	v_mov_b32_e32 v54, v57
; %bb.96:
	s_or_b64 exec, exec, s[42:43]
	s_nop 0
	v_mov_b32_dpp v57, v54 row_shr:2 row_mask:0xf bank_mask:0xf
	v_mov_b32_dpp v56, v46 row_shr:2 row_mask:0xf bank_mask:0xf
	;; [unrolled: 1-line block ×3, first 2 shown]
	v_cmp_lt_u32_e32 vcc, 1, v55
	s_and_saveexec_b64 s[42:43], vcc
; %bb.97:
	v_cmp_eq_u32_e32 vcc, 0, v54
	v_cndmask_b32_e32 v56, 0, v56, vcc
	v_add_u32_e32 v55, v57, v54
	v_cndmask_b32_e32 v54, 0, v58, vcc
	v_add_co_u32_e32 v46, vcc, v56, v46
	v_addc_co_u32_e32 v47, vcc, v54, v47, vcc
	v_mov_b32_e32 v54, v55
; %bb.98:
	s_or_b64 exec, exec, s[42:43]
	ds_write_b32 v53, v54 offset:2080
	ds_write_b64 v53, v[46:47] offset:2088
.LBB1014_99:
	s_or_b64 exec, exec, s[28:29]
	v_cmp_gt_u32_e32 vcc, 64, v0
	v_cmp_lt_u32_e64 s[28:29], 63, v0
	v_pk_mov_b32 v[46:47], 0, 0
	v_mov_b32_e32 v58, 0
	s_waitcnt lgkmcnt(0)
	s_barrier
	s_and_saveexec_b64 s[42:43], s[28:29]
	s_cbranch_execz .LBB1014_101
; %bb.100:
	ds_read_b32 v58, v52 offset:2064
	ds_read_b64 v[46:47], v52 offset:2072
	v_cmp_eq_u32_e64 s[28:29], 0, v50
	s_waitcnt lgkmcnt(1)
	v_add_u32_e32 v52, v58, v50
	s_waitcnt lgkmcnt(0)
	v_cndmask_b32_e64 v53, 0, v46, s[28:29]
	v_cndmask_b32_e64 v50, 0, v47, s[28:29]
	v_add_co_u32_e64 v48, s[28:29], v53, v48
	v_addc_co_u32_e64 v49, s[28:29], v50, v49, s[28:29]
	v_mov_b32_e32 v50, v52
.LBB1014_101:
	s_or_b64 exec, exec, s[42:43]
	v_add_u32_e32 v52, -1, v51
	v_and_b32_e32 v53, 64, v51
	v_cmp_lt_i32_e64 s[28:29], v52, v53
	v_cndmask_b32_e64 v52, v52, v51, s[28:29]
	v_lshlrev_b32_e32 v52, 2, v52
	ds_bpermute_b32 v59, v52, v50
	ds_bpermute_b32 v60, v52, v48
	;; [unrolled: 1-line block ×3, first 2 shown]
	v_cmp_eq_u32_e64 s[28:29], 0, v51
	s_and_saveexec_b64 s[42:43], vcc
	s_cbranch_execz .LBB1014_144
; %bb.102:
	v_mov_b32_e32 v53, 0
	ds_read_b32 v62, v53 offset:2128
	ds_read_b64 v[48:49], v53 offset:2136
	s_and_saveexec_b64 s[46:47], s[28:29]
	s_cbranch_execz .LBB1014_104
; %bb.103:
	s_add_i32 s48, s62, 64
	s_mov_b32 s49, 0
	s_lshl_b64 s[58:59], s[48:49], 4
	s_add_u32 s58, s36, s58
	s_addc_u32 s59, s37, s59
	v_mov_b32_e32 v50, s48
	v_mov_b32_e32 v52, 1
	s_waitcnt lgkmcnt(1)
	global_store_dword v53, v62, s[58:59]
	s_waitcnt lgkmcnt(0)
	global_store_dwordx2 v53, v[48:49], s[58:59] offset:8
	s_waitcnt vmcnt(0)
	buffer_wbinvl1_vol
	global_store_byte v50, v52, s[40:41]
.LBB1014_104:
	s_or_b64 exec, exec, s[46:47]
	v_xad_u32 v50, v51, -1, s62
	v_add_u32_e32 v52, 64, v50
	global_load_ubyte v63, v52, s[40:41] glc
	s_waitcnt vmcnt(0)
	v_cmp_eq_u16_e32 vcc, 0, v63
	s_and_saveexec_b64 s[46:47], vcc
	s_cbranch_execz .LBB1014_108
; %bb.105:
	v_mov_b32_e32 v55, s41
	v_add_co_u32_e32 v54, vcc, s40, v52
	v_addc_co_u32_e32 v55, vcc, 0, v55, vcc
	s_mov_b64 s[48:49], 0
.LBB1014_106:                           ; =>This Inner Loop Header: Depth=1
	global_load_ubyte v63, v[54:55], off glc
	s_waitcnt vmcnt(0)
	v_cmp_ne_u16_e32 vcc, 0, v63
	s_or_b64 s[48:49], vcc, s[48:49]
	s_andn2_b64 exec, exec, s[48:49]
	s_cbranch_execnz .LBB1014_106
; %bb.107:
	s_or_b64 exec, exec, s[48:49]
.LBB1014_108:
	s_or_b64 exec, exec, s[46:47]
	v_mov_b32_e32 v54, s39
	v_mov_b32_e32 v55, s37
	v_cmp_eq_u16_e32 vcc, 1, v63
	v_cndmask_b32_e32 v54, v54, v55, vcc
	v_mov_b32_e32 v55, s38
	v_mov_b32_e32 v56, s36
	v_cndmask_b32_e32 v55, v55, v56, vcc
	v_lshlrev_b64 v[52:53], 4, v[52:53]
	v_add_co_u32_e32 v52, vcc, v55, v52
	v_addc_co_u32_e32 v53, vcc, v54, v53, vcc
	s_waitcnt lgkmcnt(0)
	buffer_wbinvl1_vol
	global_load_dword v78, v[52:53], off
	global_load_dwordx2 v[56:57], v[52:53], off offset:8
	v_cmp_eq_u16_e32 vcc, 2, v63
	v_lshlrev_b64 v[52:53], v51, -1
	v_and_b32_e32 v64, 63, v51
	v_and_b32_e32 v54, vcc_hi, v53
	v_and_b32_e32 v68, vcc_lo, v52
	v_cmp_ne_u32_e32 vcc, 63, v64
	v_addc_co_u32_e32 v55, vcc, 0, v51, vcc
	v_lshlrev_b32_e32 v65, 2, v55
	v_or_b32_e32 v54, 0x80000000, v54
	v_ffbl_b32_e32 v54, v54
	v_add_u32_e32 v54, 32, v54
	v_ffbl_b32_e32 v68, v68
	v_min_u32_e32 v54, v68, v54
	v_cmp_lt_u32_e32 vcc, v64, v54
	s_waitcnt vmcnt(1)
	ds_bpermute_b32 v66, v65, v78
	s_waitcnt vmcnt(0)
	ds_bpermute_b32 v55, v65, v56
	ds_bpermute_b32 v67, v65, v57
	s_and_saveexec_b64 s[46:47], vcc
	s_cbranch_execz .LBB1014_110
; %bb.109:
	v_cmp_eq_u32_e32 vcc, 0, v78
	s_waitcnt lgkmcnt(1)
	v_cndmask_b32_e32 v55, 0, v55, vcc
	v_add_u32_e32 v66, v66, v78
	s_waitcnt lgkmcnt(0)
	v_cndmask_b32_e32 v67, 0, v67, vcc
	v_add_co_u32_e32 v56, vcc, v55, v56
	v_addc_co_u32_e32 v57, vcc, v67, v57, vcc
	v_mov_b32_e32 v78, v66
.LBB1014_110:
	s_or_b64 exec, exec, s[46:47]
	v_cmp_gt_u32_e32 vcc, 62, v64
	s_waitcnt lgkmcnt(1)
	v_cndmask_b32_e64 v55, 0, 1, vcc
	v_lshlrev_b32_e32 v55, 1, v55
	v_add_lshl_u32 v66, v55, v51, 2
	ds_bpermute_b32 v68, v66, v78
	ds_bpermute_b32 v55, v66, v56
	ds_bpermute_b32 v69, v66, v57
	s_waitcnt lgkmcnt(3)
	v_add_u32_e32 v67, 2, v64
	v_cmp_le_u32_e32 vcc, v67, v54
	s_and_saveexec_b64 s[46:47], vcc
	s_cbranch_execz .LBB1014_112
; %bb.111:
	v_cmp_eq_u32_e32 vcc, 0, v78
	s_waitcnt lgkmcnt(1)
	v_cndmask_b32_e32 v55, 0, v55, vcc
	v_add_u32_e32 v68, v68, v78
	s_waitcnt lgkmcnt(0)
	v_cndmask_b32_e32 v69, 0, v69, vcc
	v_add_co_u32_e32 v56, vcc, v55, v56
	v_addc_co_u32_e32 v57, vcc, v69, v57, vcc
	v_mov_b32_e32 v78, v68
.LBB1014_112:
	s_or_b64 exec, exec, s[46:47]
	v_cmp_gt_u32_e32 vcc, 60, v64
	s_waitcnt lgkmcnt(1)
	v_cndmask_b32_e64 v55, 0, 1, vcc
	v_lshlrev_b32_e32 v55, 2, v55
	v_add_lshl_u32 v68, v55, v51, 2
	ds_bpermute_b32 v70, v68, v78
	ds_bpermute_b32 v55, v68, v56
	ds_bpermute_b32 v71, v68, v57
	s_waitcnt lgkmcnt(3)
	v_add_u32_e32 v69, 4, v64
	v_cmp_le_u32_e32 vcc, v69, v54
	;; [unrolled: 25-line block ×4, first 2 shown]
	s_and_saveexec_b64 s[46:47], vcc
	s_cbranch_execz .LBB1014_118
; %bb.117:
	v_cmp_eq_u32_e32 vcc, 0, v78
	s_waitcnt lgkmcnt(1)
	v_cndmask_b32_e32 v55, 0, v55, vcc
	v_add_u32_e32 v74, v74, v78
	s_waitcnt lgkmcnt(0)
	v_cndmask_b32_e32 v75, 0, v75, vcc
	v_add_co_u32_e32 v56, vcc, v55, v56
	v_addc_co_u32_e32 v57, vcc, v75, v57, vcc
	v_mov_b32_e32 v78, v74
.LBB1014_118:
	s_or_b64 exec, exec, s[46:47]
	v_cmp_gt_u32_e32 vcc, 32, v64
	s_waitcnt lgkmcnt(1)
	v_cndmask_b32_e64 v55, 0, 1, vcc
	v_lshlrev_b32_e32 v55, 5, v55
	v_add_lshl_u32 v74, v55, v51, 2
	ds_bpermute_b32 v55, v74, v78
	ds_bpermute_b32 v51, v74, v56
	s_waitcnt lgkmcnt(2)
	ds_bpermute_b32 v75, v74, v57
	v_add_u32_e32 v76, 32, v64
	v_cmp_le_u32_e32 vcc, v76, v54
	s_and_saveexec_b64 s[46:47], vcc
	s_cbranch_execz .LBB1014_120
; %bb.119:
	v_cmp_eq_u32_e32 vcc, 0, v78
	s_waitcnt lgkmcnt(1)
	v_cndmask_b32_e32 v51, 0, v51, vcc
	v_add_u32_e32 v54, v55, v78
	s_waitcnt lgkmcnt(0)
	v_cndmask_b32_e32 v55, 0, v75, vcc
	v_add_co_u32_e32 v56, vcc, v51, v56
	v_addc_co_u32_e32 v57, vcc, v55, v57, vcc
	v_mov_b32_e32 v78, v54
.LBB1014_120:
	s_or_b64 exec, exec, s[46:47]
	s_waitcnt lgkmcnt(1)
	v_mov_b32_e32 v51, 0
	v_mov_b32_e32 v77, 2
	s_branch .LBB1014_122
.LBB1014_121:                           ;   in Loop: Header=BB1014_122 Depth=1
	s_or_b64 exec, exec, s[46:47]
	v_cmp_eq_u32_e32 vcc, 0, v75
	v_cndmask_b32_e32 v56, 0, v56, vcc
	v_cndmask_b32_e32 v57, 0, v57, vcc
	v_add_co_u32_e32 v56, vcc, v56, v54
	v_subrev_u32_e32 v50, 64, v50
	v_add_u32_e32 v78, v79, v75
	v_addc_co_u32_e32 v57, vcc, v57, v55, vcc
.LBB1014_122:                           ; =>This Loop Header: Depth=1
                                        ;     Child Loop BB1014_125 Depth 2
	v_cmp_ne_u16_sdwa s[46:47], v63, v77 src0_sel:BYTE_0 src1_sel:DWORD
	v_pk_mov_b32 v[54:55], v[56:57], v[56:57] op_sel:[0,1]
	v_cndmask_b32_e64 v56, 0, 1, s[46:47]
	;;#ASMSTART
	;;#ASMEND
	v_cmp_ne_u32_e32 vcc, 0, v56
	s_cmp_lg_u64 vcc, exec
	s_waitcnt lgkmcnt(0)
	v_mov_b32_e32 v75, v78
	s_cbranch_scc1 .LBB1014_139
; %bb.123:                              ;   in Loop: Header=BB1014_122 Depth=1
	global_load_ubyte v63, v50, s[40:41] glc
	s_waitcnt vmcnt(0)
	v_cmp_eq_u16_e32 vcc, 0, v63
	s_and_saveexec_b64 s[46:47], vcc
	s_cbranch_execz .LBB1014_127
; %bb.124:                              ;   in Loop: Header=BB1014_122 Depth=1
	v_mov_b32_e32 v57, s41
	v_add_co_u32_e32 v56, vcc, s40, v50
	v_addc_co_u32_e32 v57, vcc, 0, v57, vcc
	s_mov_b64 s[48:49], 0
.LBB1014_125:                           ;   Parent Loop BB1014_122 Depth=1
                                        ; =>  This Inner Loop Header: Depth=2
	global_load_ubyte v63, v[56:57], off glc
	s_waitcnt vmcnt(0)
	v_cmp_ne_u16_e32 vcc, 0, v63
	s_or_b64 s[48:49], vcc, s[48:49]
	s_andn2_b64 exec, exec, s[48:49]
	s_cbranch_execnz .LBB1014_125
; %bb.126:                              ;   in Loop: Header=BB1014_122 Depth=1
	s_or_b64 exec, exec, s[48:49]
.LBB1014_127:                           ;   in Loop: Header=BB1014_122 Depth=1
	s_or_b64 exec, exec, s[46:47]
	v_mov_b32_e32 v56, s39
	v_mov_b32_e32 v57, s37
	v_cmp_eq_u16_e32 vcc, 1, v63
	v_cndmask_b32_e32 v78, v56, v57, vcc
	v_mov_b32_e32 v56, s38
	v_mov_b32_e32 v57, s36
	v_cndmask_b32_e32 v79, v56, v57, vcc
	v_lshlrev_b64 v[56:57], 4, v[50:51]
	v_add_co_u32_e32 v56, vcc, v79, v56
	v_addc_co_u32_e32 v57, vcc, v78, v57, vcc
	buffer_wbinvl1_vol
	global_load_dword v79, v[56:57], off
	s_nop 0
	global_load_dwordx2 v[56:57], v[56:57], off offset:8
	v_cmp_eq_u16_e32 vcc, 2, v63
	v_and_b32_e32 v78, vcc_hi, v53
	v_or_b32_e32 v78, 0x80000000, v78
	v_and_b32_e32 v100, vcc_lo, v52
	v_ffbl_b32_e32 v78, v78
	v_add_u32_e32 v78, 32, v78
	v_ffbl_b32_e32 v100, v100
	v_min_u32_e32 v78, v100, v78
	v_cmp_lt_u32_e32 vcc, v64, v78
	s_waitcnt vmcnt(1)
	ds_bpermute_b32 v81, v65, v79
	s_waitcnt vmcnt(0)
	ds_bpermute_b32 v80, v65, v56
	ds_bpermute_b32 v98, v65, v57
	s_and_saveexec_b64 s[46:47], vcc
	s_cbranch_execz .LBB1014_129
; %bb.128:                              ;   in Loop: Header=BB1014_122 Depth=1
	v_cmp_eq_u32_e32 vcc, 0, v79
	s_waitcnt lgkmcnt(1)
	v_cndmask_b32_e32 v80, 0, v80, vcc
	v_add_u32_e32 v81, v81, v79
	s_waitcnt lgkmcnt(0)
	v_cndmask_b32_e32 v79, 0, v98, vcc
	v_add_co_u32_e32 v56, vcc, v80, v56
	v_addc_co_u32_e32 v57, vcc, v79, v57, vcc
	v_mov_b32_e32 v79, v81
.LBB1014_129:                           ;   in Loop: Header=BB1014_122 Depth=1
	s_or_b64 exec, exec, s[46:47]
	s_waitcnt lgkmcnt(2)
	ds_bpermute_b32 v81, v66, v79
	s_waitcnt lgkmcnt(2)
	ds_bpermute_b32 v80, v66, v56
	s_waitcnt lgkmcnt(2)
	ds_bpermute_b32 v98, v66, v57
	v_cmp_le_u32_e32 vcc, v67, v78
	s_and_saveexec_b64 s[46:47], vcc
	s_cbranch_execz .LBB1014_131
; %bb.130:                              ;   in Loop: Header=BB1014_122 Depth=1
	v_cmp_eq_u32_e32 vcc, 0, v79
	s_waitcnt lgkmcnt(1)
	v_cndmask_b32_e32 v80, 0, v80, vcc
	v_add_u32_e32 v81, v81, v79
	s_waitcnt lgkmcnt(0)
	v_cndmask_b32_e32 v79, 0, v98, vcc
	v_add_co_u32_e32 v56, vcc, v80, v56
	v_addc_co_u32_e32 v57, vcc, v79, v57, vcc
	v_mov_b32_e32 v79, v81
.LBB1014_131:                           ;   in Loop: Header=BB1014_122 Depth=1
	s_or_b64 exec, exec, s[46:47]
	s_waitcnt lgkmcnt(2)
	ds_bpermute_b32 v81, v68, v79
	s_waitcnt lgkmcnt(2)
	ds_bpermute_b32 v80, v68, v56
	s_waitcnt lgkmcnt(2)
	ds_bpermute_b32 v98, v68, v57
	v_cmp_le_u32_e32 vcc, v69, v78
	;; [unrolled: 21-line block ×5, first 2 shown]
	s_and_saveexec_b64 s[46:47], vcc
	s_cbranch_execz .LBB1014_121
; %bb.138:                              ;   in Loop: Header=BB1014_122 Depth=1
	v_cmp_eq_u32_e32 vcc, 0, v79
	s_waitcnt lgkmcnt(1)
	v_cndmask_b32_e32 v80, 0, v80, vcc
	v_add_u32_e32 v78, v81, v79
	s_waitcnt lgkmcnt(0)
	v_cndmask_b32_e32 v79, 0, v98, vcc
	v_add_co_u32_e32 v56, vcc, v80, v56
	v_addc_co_u32_e32 v57, vcc, v79, v57, vcc
	v_mov_b32_e32 v79, v78
	s_branch .LBB1014_121
.LBB1014_139:                           ;   in Loop: Header=BB1014_122 Depth=1
                                        ; implicit-def: $vgpr56_vgpr57
                                        ; implicit-def: $vgpr78
                                        ; implicit-def: $vgpr63
	s_cbranch_execz .LBB1014_122
; %bb.140:
	s_and_saveexec_b64 s[36:37], s[28:29]
	s_cbranch_execz .LBB1014_142
; %bb.141:
	s_mov_b32 s47, 0
	v_cmp_eq_u32_e32 vcc, 0, v62
	s_add_i32 s46, s62, 64
	v_cndmask_b32_e32 v50, 0, v54, vcc
	s_lshl_b64 s[48:49], s[46:47], 4
	v_cndmask_b32_e32 v51, 0, v55, vcc
	v_add_co_u32_e32 v50, vcc, v50, v48
	s_add_u32 s48, s38, s48
	v_add_u32_e32 v52, v75, v62
	v_addc_co_u32_e32 v51, vcc, v51, v49, vcc
	s_addc_u32 s49, s39, s49
	v_mov_b32_e32 v53, 0
	global_store_dword v53, v52, s[48:49]
	global_store_dwordx2 v53, v[50:51], s[48:49] offset:8
	v_mov_b32_e32 v50, s46
	v_mov_b32_e32 v51, 2
	s_waitcnt vmcnt(0) lgkmcnt(0)
	buffer_wbinvl1_vol
	global_store_byte v50, v51, s[40:41]
	ds_write_b32 v53, v62 offset:2048
	ds_write_b64 v53, v[48:49] offset:2056
	ds_write_b32 v53, v75 offset:2064
	ds_write_b64 v53, v[54:55] offset:2072
.LBB1014_142:
	s_or_b64 exec, exec, s[36:37]
	s_and_b64 exec, exec, s[0:1]
	s_cbranch_execz .LBB1014_144
; %bb.143:
	v_mov_b32_e32 v48, 0
	ds_write_b32 v48, v75 offset:2128
	ds_write_b64 v48, v[54:55] offset:2136
.LBB1014_144:
	s_or_b64 exec, exec, s[42:43]
	v_mov_b32_e32 v51, 0
	s_waitcnt lgkmcnt(0)
	s_barrier
	ds_read_b32 v50, v51 offset:2128
	ds_read_b64 v[48:49], v51 offset:2136
	v_cndmask_b32_e64 v52, v59, v58, s[28:29]
	v_cmp_eq_u32_e32 vcc, 0, v52
	v_cndmask_b32_e64 v46, v60, v46, s[28:29]
	v_cndmask_b32_e64 v47, v61, v47, s[28:29]
	s_waitcnt lgkmcnt(0)
	v_cndmask_b32_e32 v54, 0, v48, vcc
	v_cndmask_b32_e32 v53, 0, v49, vcc
	v_add_co_u32_e32 v46, vcc, v54, v46
	v_addc_co_u32_e32 v47, vcc, v53, v47, vcc
	v_cndmask_b32_e64 v76, v46, v48, s[0:1]
	v_cmp_eq_u32_e32 vcc, 0, v96
	v_cndmask_b32_e64 v52, v52, 0, s[0:1]
	v_cndmask_b32_e64 v77, v47, v49, s[0:1]
	v_cndmask_b32_e32 v47, 0, v76, vcc
	v_add_u32_e32 v98, v50, v52
	v_cndmask_b32_e32 v46, 0, v77, vcc
	v_add_co_u32_e32 v52, vcc, v47, v42
	v_addc_co_u32_e32 v53, vcc, v46, v43, vcc
	v_cndmask_b32_e64 v47, 0, v52, s[26:27]
	v_cndmask_b32_e64 v46, 0, v53, s[26:27]
	v_add_co_u32_e32 v54, vcc, v47, v40
	v_addc_co_u32_e32 v55, vcc, v46, v41, vcc
	v_cndmask_b32_e64 v47, 0, v54, s[24:25]
	v_cndmask_b32_e64 v46, 0, v55, s[24:25]
	v_add_co_u32_e32 v56, vcc, v47, v38
	v_addc_co_u32_e32 v57, vcc, v46, v39, vcc
	v_cndmask_b32_e64 v47, 0, v56, s[22:23]
	v_cndmask_b32_e64 v46, 0, v57, s[22:23]
	v_add_co_u32_e32 v58, vcc, v47, v34
	v_addc_co_u32_e32 v59, vcc, v46, v35, vcc
	v_cndmask_b32_e64 v47, 0, v58, s[20:21]
	v_cndmask_b32_e64 v46, 0, v59, s[20:21]
	v_add_co_u32_e32 v60, vcc, v47, v36
	v_addc_co_u32_e32 v61, vcc, v46, v37, vcc
	v_cndmask_b32_e64 v47, 0, v60, s[18:19]
	v_cndmask_b32_e64 v46, 0, v61, s[18:19]
	v_add_co_u32_e32 v62, vcc, v47, v32
	v_addc_co_u32_e32 v63, vcc, v46, v33, vcc
	v_cndmask_b32_e64 v47, 0, v62, s[16:17]
	v_cndmask_b32_e64 v46, 0, v63, s[16:17]
	v_add_co_u32_e32 v64, vcc, v47, v30
	v_addc_co_u32_e32 v65, vcc, v46, v31, vcc
	v_cndmask_b32_e64 v47, 0, v64, s[14:15]
	v_cndmask_b32_e64 v46, 0, v65, s[14:15]
	v_add_co_u32_e32 v66, vcc, v47, v26
	v_addc_co_u32_e32 v67, vcc, v46, v27, vcc
	v_cndmask_b32_e64 v47, 0, v66, s[12:13]
	v_cndmask_b32_e64 v46, 0, v67, s[12:13]
	v_add_co_u32_e32 v68, vcc, v47, v28
	v_addc_co_u32_e32 v69, vcc, v46, v29, vcc
	v_cndmask_b32_e64 v47, 0, v68, s[10:11]
	v_cndmask_b32_e64 v46, 0, v69, s[10:11]
	v_add_co_u32_e32 v70, vcc, v47, v24
	v_addc_co_u32_e32 v71, vcc, v46, v25, vcc
	v_cndmask_b32_e64 v47, 0, v70, s[8:9]
	v_cndmask_b32_e64 v46, 0, v71, s[8:9]
	v_add_co_u32_e32 v72, vcc, v47, v22
	v_addc_co_u32_e32 v73, vcc, v46, v23, vcc
	v_cndmask_b32_e64 v47, 0, v72, s[6:7]
	v_cndmask_b32_e64 v46, 0, v73, s[6:7]
	v_add_co_u32_e32 v74, vcc, v47, v20
	v_addc_co_u32_e32 v75, vcc, v46, v21, vcc
	s_barrier
	ds_read_b32 v46, v51 offset:2048
	ds_read_b64 v[48:49], v51 offset:2056
	ds_read_b32 v50, v51 offset:2064
	ds_read_b64 v[100:101], v51 offset:2072
	v_cndmask_b32_e64 v78, 0, v74, s[4:5]
	v_cndmask_b32_e64 v47, 0, v75, s[4:5]
	v_add_co_u32_e32 v78, vcc, v78, v18
	v_addc_co_u32_e32 v79, vcc, v47, v19, vcc
	s_waitcnt lgkmcnt(3)
	v_cmp_eq_u32_e32 vcc, 0, v46
	s_waitcnt lgkmcnt(0)
	v_cndmask_b32_e32 v51, 0, v100, vcc
	v_cndmask_b32_e32 v47, 0, v101, vcc
	v_add_co_u32_e32 v48, vcc, v51, v48
	v_cndmask_b32_e64 v81, 0, v79, s[2:3]
	v_cndmask_b32_e64 v80, 0, v78, s[2:3]
	v_addc_co_u32_e32 v49, vcc, v47, v49, vcc
	s_branch .LBB1014_173
.LBB1014_145:
                                        ; implicit-def: $vgpr46
                                        ; implicit-def: $vgpr48_vgpr49
                                        ; implicit-def: $vgpr50
                                        ; implicit-def: $vgpr76_vgpr77
                                        ; implicit-def: $vgpr52_vgpr53
                                        ; implicit-def: $vgpr54_vgpr55
                                        ; implicit-def: $vgpr56_vgpr57
                                        ; implicit-def: $vgpr58_vgpr59
                                        ; implicit-def: $vgpr60_vgpr61
                                        ; implicit-def: $vgpr62_vgpr63
                                        ; implicit-def: $vgpr64_vgpr65
                                        ; implicit-def: $vgpr66_vgpr67
                                        ; implicit-def: $vgpr68_vgpr69
                                        ; implicit-def: $vgpr70_vgpr71
                                        ; implicit-def: $vgpr72_vgpr73
                                        ; implicit-def: $vgpr74_vgpr75
                                        ; implicit-def: $vgpr78_vgpr79
                                        ; implicit-def: $vgpr80_vgpr81
                                        ; implicit-def: $vgpr98
	s_cbranch_execz .LBB1014_173
; %bb.146:
	s_and_b64 s[2:3], s[30:31], exec
	s_cselect_b32 s3, 0, s57
	s_cselect_b32 s2, 0, s56
	s_cmp_eq_u64 s[2:3], 0
	v_pk_mov_b32 v[50:51], v[42:43], v[42:43] op_sel:[0,1]
	s_cbranch_scc1 .LBB1014_148
; %bb.147:
	v_mov_b32_e32 v46, 0
	global_load_dwordx2 v[50:51], v46, s[2:3]
.LBB1014_148:
	v_cmp_eq_u32_e64 s[24:25], 0, v95
	v_cndmask_b32_e64 v47, 0, v42, s[24:25]
	v_cndmask_b32_e64 v46, 0, v43, s[24:25]
	v_add_co_u32_e32 v47, vcc, v47, v40
	v_cmp_eq_u32_e64 s[22:23], 0, v94
	v_addc_co_u32_e32 v46, vcc, v46, v41, vcc
	v_cndmask_b32_e64 v47, 0, v47, s[22:23]
	v_cndmask_b32_e64 v46, 0, v46, s[22:23]
	v_add_co_u32_e32 v47, vcc, v47, v38
	v_cmp_eq_u32_e64 s[20:21], 0, v93
	v_addc_co_u32_e32 v46, vcc, v46, v39, vcc
	;; [unrolled: 5-line block ×11, first 2 shown]
	v_cndmask_b32_e64 v47, 0, v47, s[4:5]
	v_cndmask_b32_e64 v46, 0, v46, s[4:5]
	v_add_co_u32_e32 v47, vcc, v47, v18
	v_addc_co_u32_e32 v46, vcc, v46, v19, vcc
	v_cmp_eq_u32_e32 vcc, 0, v83
	v_cndmask_b32_e32 v47, 0, v47, vcc
	v_add3_u32 v48, v99, v91, v90
	v_cndmask_b32_e32 v46, 0, v46, vcc
	v_add_co_u32_e64 v47, s[26:27], v47, v16
	v_add3_u32 v48, v48, v89, v88
	v_addc_co_u32_e64 v46, s[26:27], v46, v17, s[26:27]
	v_add3_u32 v48, v48, v87, v86
	v_cmp_eq_u32_e64 s[26:27], 0, v82
	v_add3_u32 v48, v48, v85, v84
	v_cndmask_b32_e64 v47, 0, v47, s[26:27]
	v_add3_u32 v49, v48, v83, v82
	v_cndmask_b32_e64 v46, 0, v46, s[26:27]
	v_add_co_u32_e64 v44, s[26:27], v47, v44
	v_mbcnt_hi_u32_b32 v48, -1, v97
	v_addc_co_u32_e64 v45, s[26:27], v46, v45, s[26:27]
	v_and_b32_e32 v46, 15, v48
	v_mov_b32_dpp v52, v49 row_shr:1 row_mask:0xf bank_mask:0xf
	v_mov_b32_dpp v47, v44 row_shr:1 row_mask:0xf bank_mask:0xf
	v_mov_b32_dpp v53, v45 row_shr:1 row_mask:0xf bank_mask:0xf
	v_cmp_ne_u32_e64 s[26:27], 0, v46
	s_and_saveexec_b64 s[28:29], s[26:27]
; %bb.149:
	v_cmp_eq_u32_e64 s[26:27], 0, v49
	v_cndmask_b32_e64 v47, 0, v47, s[26:27]
	v_add_u32_e32 v52, v52, v49
	v_cndmask_b32_e64 v49, 0, v53, s[26:27]
	v_add_co_u32_e64 v44, s[26:27], v47, v44
	v_addc_co_u32_e64 v45, s[26:27], v49, v45, s[26:27]
	v_mov_b32_e32 v49, v52
; %bb.150:
	s_or_b64 exec, exec, s[28:29]
	s_nop 0
	v_mov_b32_dpp v52, v49 row_shr:2 row_mask:0xf bank_mask:0xf
	v_mov_b32_dpp v47, v44 row_shr:2 row_mask:0xf bank_mask:0xf
	v_mov_b32_dpp v53, v45 row_shr:2 row_mask:0xf bank_mask:0xf
	v_cmp_lt_u32_e64 s[26:27], 1, v46
	s_and_saveexec_b64 s[28:29], s[26:27]
; %bb.151:
	v_cmp_eq_u32_e64 s[26:27], 0, v49
	v_cndmask_b32_e64 v47, 0, v47, s[26:27]
	v_add_u32_e32 v52, v52, v49
	v_cndmask_b32_e64 v49, 0, v53, s[26:27]
	v_add_co_u32_e64 v44, s[26:27], v47, v44
	v_addc_co_u32_e64 v45, s[26:27], v49, v45, s[26:27]
	v_mov_b32_e32 v49, v52
; %bb.152:
	s_or_b64 exec, exec, s[28:29]
	s_nop 0
	v_mov_b32_dpp v52, v49 row_shr:4 row_mask:0xf bank_mask:0xf
	v_mov_b32_dpp v47, v44 row_shr:4 row_mask:0xf bank_mask:0xf
	v_mov_b32_dpp v53, v45 row_shr:4 row_mask:0xf bank_mask:0xf
	v_cmp_lt_u32_e64 s[26:27], 3, v46
	;; [unrolled: 16-line block ×3, first 2 shown]
	s_and_saveexec_b64 s[28:29], s[26:27]
; %bb.155:
	v_cmp_eq_u32_e64 s[26:27], 0, v49
	v_cndmask_b32_e64 v47, 0, v47, s[26:27]
	v_add_u32_e32 v46, v52, v49
	v_cndmask_b32_e64 v49, 0, v53, s[26:27]
	v_add_co_u32_e64 v44, s[26:27], v47, v44
	v_addc_co_u32_e64 v45, s[26:27], v49, v45, s[26:27]
	v_mov_b32_e32 v49, v46
; %bb.156:
	s_or_b64 exec, exec, s[28:29]
	v_and_b32_e32 v53, 16, v48
	v_mov_b32_dpp v47, v49 row_bcast:15 row_mask:0xf bank_mask:0xf
	v_mov_b32_dpp v46, v44 row_bcast:15 row_mask:0xf bank_mask:0xf
	;; [unrolled: 1-line block ×3, first 2 shown]
	v_cmp_ne_u32_e64 s[26:27], 0, v53
	s_and_saveexec_b64 s[28:29], s[26:27]
; %bb.157:
	v_cmp_eq_u32_e64 s[26:27], 0, v49
	v_cndmask_b32_e64 v46, 0, v46, s[26:27]
	v_add_u32_e32 v47, v47, v49
	v_cndmask_b32_e64 v49, 0, v52, s[26:27]
	v_add_co_u32_e64 v44, s[26:27], v46, v44
	v_addc_co_u32_e64 v45, s[26:27], v49, v45, s[26:27]
	v_mov_b32_e32 v49, v47
; %bb.158:
	s_or_b64 exec, exec, s[28:29]
	s_nop 0
	v_mov_b32_dpp v47, v49 row_bcast:31 row_mask:0xf bank_mask:0xf
	v_mov_b32_dpp v46, v44 row_bcast:31 row_mask:0xf bank_mask:0xf
	;; [unrolled: 1-line block ×3, first 2 shown]
	v_cmp_lt_u32_e64 s[26:27], 31, v48
	s_and_saveexec_b64 s[28:29], s[26:27]
; %bb.159:
	v_cmp_eq_u32_e64 s[26:27], 0, v49
	v_cndmask_b32_e64 v46, 0, v46, s[26:27]
	v_add_u32_e32 v47, v47, v49
	v_cndmask_b32_e64 v49, 0, v52, s[26:27]
	v_add_co_u32_e64 v44, s[26:27], v46, v44
	v_addc_co_u32_e64 v45, s[26:27], v49, v45, s[26:27]
	v_mov_b32_e32 v49, v47
; %bb.160:
	s_or_b64 exec, exec, s[28:29]
	v_lshrrev_b32_e32 v46, 6, v0
	v_or_b32_e32 v47, 63, v0
	v_cmp_eq_u32_e64 s[26:27], v47, v0
	v_lshlrev_b32_e32 v52, 4, v46
	s_and_saveexec_b64 s[28:29], s[26:27]
	s_cbranch_execz .LBB1014_162
; %bb.161:
	ds_write_b32 v52, v49 offset:2080
	ds_write_b64 v52, v[44:45] offset:2088
.LBB1014_162:
	s_or_b64 exec, exec, s[28:29]
	v_cmp_gt_u32_e64 s[26:27], 4, v0
	s_waitcnt lgkmcnt(0)
	s_barrier
	s_and_saveexec_b64 s[28:29], s[26:27]
	s_cbranch_execz .LBB1014_168
; %bb.163:
	v_lshlrev_b32_e32 v53, 4, v0
	ds_read_b32 v54, v53 offset:2080
	ds_read_b64 v[46:47], v53 offset:2088
	v_and_b32_e32 v55, 3, v48
	v_cmp_ne_u32_e64 s[26:27], 0, v55
	s_waitcnt lgkmcnt(1)
	v_mov_b32_dpp v57, v54 row_shr:1 row_mask:0xf bank_mask:0xf
	s_waitcnt lgkmcnt(0)
	v_mov_b32_dpp v56, v46 row_shr:1 row_mask:0xf bank_mask:0xf
	v_mov_b32_dpp v58, v47 row_shr:1 row_mask:0xf bank_mask:0xf
	s_and_saveexec_b64 s[36:37], s[26:27]
; %bb.164:
	v_cmp_eq_u32_e64 s[26:27], 0, v54
	v_cndmask_b32_e64 v56, 0, v56, s[26:27]
	v_add_u32_e32 v57, v57, v54
	v_cndmask_b32_e64 v54, 0, v58, s[26:27]
	v_add_co_u32_e64 v46, s[26:27], v56, v46
	v_addc_co_u32_e64 v47, s[26:27], v54, v47, s[26:27]
	v_mov_b32_e32 v54, v57
; %bb.165:
	s_or_b64 exec, exec, s[36:37]
	s_nop 0
	v_mov_b32_dpp v57, v54 row_shr:2 row_mask:0xf bank_mask:0xf
	v_mov_b32_dpp v56, v46 row_shr:2 row_mask:0xf bank_mask:0xf
	;; [unrolled: 1-line block ×3, first 2 shown]
	v_cmp_lt_u32_e64 s[26:27], 1, v55
	s_and_saveexec_b64 s[36:37], s[26:27]
; %bb.166:
	v_cmp_eq_u32_e64 s[26:27], 0, v54
	v_cndmask_b32_e64 v56, 0, v56, s[26:27]
	v_add_u32_e32 v55, v57, v54
	v_cndmask_b32_e64 v54, 0, v58, s[26:27]
	v_add_co_u32_e64 v46, s[26:27], v56, v46
	v_addc_co_u32_e64 v47, s[26:27], v54, v47, s[26:27]
	v_mov_b32_e32 v54, v55
; %bb.167:
	s_or_b64 exec, exec, s[36:37]
	ds_write_b32 v53, v54 offset:2080
	ds_write_b64 v53, v[46:47] offset:2088
.LBB1014_168:
	s_or_b64 exec, exec, s[28:29]
	v_cmp_lt_u32_e64 s[26:27], 63, v0
	v_mov_b32_e32 v97, 0
	v_mov_b32_e32 v53, 0
	s_waitcnt vmcnt(0)
	v_pk_mov_b32 v[46:47], v[50:51], v[50:51] op_sel:[0,1]
	s_waitcnt lgkmcnt(0)
	s_barrier
	s_and_saveexec_b64 s[28:29], s[26:27]
	s_cbranch_execz .LBB1014_170
; %bb.169:
	ds_read_b32 v53, v52 offset:2064
	ds_read_b64 v[46:47], v52 offset:2072
	s_waitcnt lgkmcnt(1)
	v_cmp_eq_u32_e64 s[26:27], 0, v53
	v_cndmask_b32_e64 v54, 0, v50, s[26:27]
	v_cndmask_b32_e64 v52, 0, v51, s[26:27]
	s_waitcnt lgkmcnt(0)
	v_add_co_u32_e64 v46, s[26:27], v54, v46
	v_addc_co_u32_e64 v47, s[26:27], v52, v47, s[26:27]
.LBB1014_170:
	s_or_b64 exec, exec, s[28:29]
	v_cmp_eq_u32_e64 s[26:27], 0, v49
	v_cndmask_b32_e64 v54, 0, v46, s[26:27]
	v_add_u32_e32 v52, v53, v49
	v_cndmask_b32_e64 v49, 0, v47, s[26:27]
	v_add_co_u32_e64 v44, s[26:27], v54, v44
	v_addc_co_u32_e64 v45, s[26:27], v49, v45, s[26:27]
	v_add_u32_e32 v49, -1, v48
	v_and_b32_e32 v54, 64, v48
	v_cmp_lt_i32_e64 s[26:27], v49, v54
	v_cndmask_b32_e64 v49, v49, v48, s[26:27]
	v_lshlrev_b32_e32 v49, 2, v49
	ds_bpermute_b32 v44, v49, v44
	ds_bpermute_b32 v52, v49, v52
	;; [unrolled: 1-line block ×3, first 2 shown]
	v_cmp_eq_u32_e64 s[26:27], 0, v48
	s_waitcnt lgkmcnt(2)
	v_cndmask_b32_e64 v76, v44, v46, s[26:27]
	s_waitcnt lgkmcnt(1)
	v_cndmask_b32_e64 v98, v52, v53, s[26:27]
	;; [unrolled: 2-line block ×3, first 2 shown]
	v_cndmask_b32_e64 v44, v76, v50, s[0:1]
	v_cmp_eq_u32_e64 s[26:27], 0, v96
	v_cndmask_b32_e64 v45, v77, v51, s[0:1]
	v_cndmask_b32_e64 v44, 0, v44, s[26:27]
	;; [unrolled: 1-line block ×3, first 2 shown]
	v_add_co_u32_e64 v52, s[26:27], v44, v42
	v_addc_co_u32_e64 v53, s[26:27], v45, v43, s[26:27]
	v_cndmask_b32_e64 v43, 0, v52, s[24:25]
	v_cndmask_b32_e64 v42, 0, v53, s[24:25]
	v_add_co_u32_e64 v54, s[24:25], v43, v40
	v_addc_co_u32_e64 v55, s[24:25], v42, v41, s[24:25]
	v_cndmask_b32_e64 v41, 0, v54, s[22:23]
	v_cndmask_b32_e64 v40, 0, v55, s[22:23]
	;; [unrolled: 4-line block ×11, first 2 shown]
	v_add_co_u32_e64 v74, s[2:3], v23, v20
	v_addc_co_u32_e64 v75, s[2:3], v22, v21, s[2:3]
	v_cndmask_b32_e64 v21, 0, v74, s[4:5]
	ds_read_b32 v46, v97 offset:2128
	v_cndmask_b32_e64 v20, 0, v75, s[4:5]
	v_add_co_u32_e64 v78, s[2:3], v21, v18
	v_addc_co_u32_e64 v79, s[2:3], v20, v19, s[2:3]
	ds_read_b64 v[18:19], v97 offset:2136
	v_cndmask_b32_e32 v81, 0, v79, vcc
	v_cndmask_b32_e32 v80, 0, v78, vcc
	s_waitcnt lgkmcnt(1)
	v_cmp_eq_u32_e32 vcc, 0, v46
	v_cndmask_b32_e32 v21, 0, v50, vcc
	v_cndmask_b32_e32 v20, 0, v51, vcc
	s_waitcnt lgkmcnt(0)
	v_add_co_u32_e32 v48, vcc, v21, v18
	v_addc_co_u32_e32 v49, vcc, v20, v19, vcc
	s_and_saveexec_b64 s[2:3], s[0:1]
	s_cbranch_execz .LBB1014_172
; %bb.171:
	v_mov_b32_e32 v98, 0
	v_mov_b32_e32 v18, 2
	v_pk_mov_b32 v[76:77], v[50:51], v[50:51] op_sel:[0,1]
	global_store_dword v98, v46, s[38:39] offset:1024
	global_store_dwordx2 v98, v[48:49], s[38:39] offset:1032
	s_waitcnt vmcnt(0)
	buffer_wbinvl1_vol
	global_store_byte v98, v18, s[40:41] offset:64
.LBB1014_172:
	s_or_b64 exec, exec, s[2:3]
	v_mov_b32_e32 v50, 0
.LBB1014_173:
	s_and_b64 s[2:3], s[30:31], exec
	s_cselect_b32 s3, 0, s51
	s_cselect_b32 s2, 0, s50
	s_cmp_eq_u64 s[2:3], 0
	v_pk_mov_b32 v[18:19], 0, 0
	s_barrier
	s_cbranch_scc1 .LBB1014_175
; %bb.174:
	v_mov_b32_e32 v18, 0
	global_load_dwordx2 v[18:19], v18, s[2:3]
.LBB1014_175:
	v_add_u32_e32 v33, v98, v96
	v_add_u32_e32 v32, v33, v95
	;; [unrolled: 1-line block ×12, first 2 shown]
	s_movk_i32 s38, 0x100
	v_add_u32_e32 v21, v22, v84
	v_cmp_gt_u32_e32 vcc, s38, v46
	v_add_u32_e32 v20, v21, v83
	s_cbranch_vccnz .LBB1014_224
; %bb.176:
	v_cmp_eq_u32_e64 s[28:29], 0, v95
	v_cndmask_b32_e64 v51, 1, 2, s[28:29]
	v_cmp_eq_u32_e64 s[28:29], 0, v96
	v_cmp_eq_u32_e64 s[26:27], 0, v94
	v_cndmask_b32_e64 v97, 1, 2, s[28:29]
	v_cmp_eq_u32_e64 s[24:25], 0, v93
	v_cndmask_b32_e64 v47, 1, 2, s[26:27]
	v_and_b32_e32 v51, v51, v97
	v_cmp_eq_u32_e64 s[22:23], 0, v92
	v_cndmask_b32_e64 v45, 1, 2, s[24:25]
	v_and_b32_e32 v47, v51, v47
	;; [unrolled: 3-line block ×11, first 2 shown]
	v_cmp_eq_u32_e32 vcc, 0, v82
	v_cndmask_b32_e64 v35, 1, 2, s[2:3]
	v_and_b32_e32 v36, v37, v36
	v_cndmask_b32_e64 v34, 1, 2, vcc
	v_and_b32_e32 v35, v36, v35
	v_and_b32_e32 v34, v35, v34
	v_cmp_ne_u32_e64 s[20:21], 0, v96
	v_cmp_ne_u32_e32 vcc, 0, v83
	v_cmp_ne_u32_e64 s[2:3], 0, v84
	v_cmp_ne_u32_e64 s[4:5], 0, v85
	;; [unrolled: 1-line block ×12, first 2 shown]
	v_cmp_gt_i16_e64 s[28:29], 2, v34
	s_and_saveexec_b64 s[30:31], s[28:29]
	s_cbranch_execz .LBB1014_223
; %bb.177:
	v_cmp_ne_u16_e64 s[28:29], 1, v34
	s_mov_b64 s[36:37], 0
	s_and_saveexec_b64 s[40:41], s[28:29]
	s_xor_b64 s[28:29], exec, s[40:41]
	s_cbranch_execz .LBB1014_201
; %bb.178:
	s_and_saveexec_b64 s[36:37], s[20:21]
	s_cbranch_execz .LBB1014_206
; %bb.179:
	v_sub_u32_e32 v34, v98, v50
	v_lshlrev_b32_e32 v34, 2, v34
	ds_write_b32 v34, v14
	s_or_b64 exec, exec, s[36:37]
	s_and_saveexec_b64 s[20:21], s[26:27]
	s_cbranch_execnz .LBB1014_207
.LBB1014_180:
	s_or_b64 exec, exec, s[20:21]
	s_and_saveexec_b64 s[20:21], s[24:25]
	s_cbranch_execz .LBB1014_208
.LBB1014_181:
	v_sub_u32_e32 v14, v32, v50
	v_lshlrev_b32_e32 v14, 2, v14
	ds_write_b32 v14, v12
	s_or_b64 exec, exec, s[20:21]
	s_and_saveexec_b64 s[20:21], s[22:23]
	s_cbranch_execnz .LBB1014_209
.LBB1014_182:
	s_or_b64 exec, exec, s[20:21]
	s_and_saveexec_b64 s[20:21], s[18:19]
	s_cbranch_execz .LBB1014_210
.LBB1014_183:
	v_sub_u32_e32 v12, v30, v50
	v_lshlrev_b32_e32 v12, 2, v12
	ds_write_b32 v12, v10
	s_or_b64 exec, exec, s[20:21]
	s_and_saveexec_b64 s[18:19], s[16:17]
	s_cbranch_execnz .LBB1014_211
.LBB1014_184:
	s_or_b64 exec, exec, s[18:19]
	s_and_saveexec_b64 s[16:17], s[14:15]
	s_cbranch_execz .LBB1014_212
.LBB1014_185:
	v_sub_u32_e32 v10, v28, v50
	v_lshlrev_b32_e32 v10, 2, v10
	ds_write_b32 v10, v8
	s_or_b64 exec, exec, s[16:17]
	s_and_saveexec_b64 s[14:15], s[12:13]
	s_cbranch_execnz .LBB1014_213
.LBB1014_186:
	s_or_b64 exec, exec, s[14:15]
	s_and_saveexec_b64 s[12:13], s[10:11]
	s_cbranch_execz .LBB1014_214
.LBB1014_187:
	v_sub_u32_e32 v8, v26, v50
	v_lshlrev_b32_e32 v8, 2, v8
	ds_write_b32 v8, v6
	s_or_b64 exec, exec, s[12:13]
	s_and_saveexec_b64 s[10:11], s[8:9]
	s_cbranch_execnz .LBB1014_215
.LBB1014_188:
	s_or_b64 exec, exec, s[10:11]
	s_and_saveexec_b64 s[8:9], s[6:7]
	s_cbranch_execz .LBB1014_216
.LBB1014_189:
	v_sub_u32_e32 v6, v24, v50
	v_lshlrev_b32_e32 v6, 2, v6
	ds_write_b32 v6, v4
	s_or_b64 exec, exec, s[8:9]
	s_and_saveexec_b64 s[6:7], s[4:5]
	s_cbranch_execnz .LBB1014_217
.LBB1014_190:
	s_or_b64 exec, exec, s[6:7]
	s_and_saveexec_b64 s[4:5], s[2:3]
	s_cbranch_execz .LBB1014_218
.LBB1014_191:
	v_sub_u32_e32 v4, v22, v50
	v_lshlrev_b32_e32 v4, 2, v4
	ds_write_b32 v4, v2
	s_or_b64 exec, exec, s[4:5]
	v_cmp_ne_u32_e64 s[2:3], 0, v82
	s_and_saveexec_b64 s[4:5], vcc
	s_cbranch_execnz .LBB1014_219
	s_branch .LBB1014_220
.LBB1014_192:
                                        ; implicit-def: $sgpr4_sgpr5
                                        ; implicit-def: $vgpr82
                                        ; implicit-def: $vgpr83
                                        ; implicit-def: $vgpr84
                                        ; implicit-def: $vgpr85
                                        ; implicit-def: $vgpr86
                                        ; implicit-def: $vgpr87
                                        ; implicit-def: $vgpr88
                                        ; implicit-def: $vgpr89
                                        ; implicit-def: $vgpr90
                                        ; implicit-def: $vgpr91
                                        ; implicit-def: $vgpr92
                                        ; implicit-def: $vgpr93
                                        ; implicit-def: $vgpr94
                                        ; implicit-def: $vgpr95
	s_cbranch_execz .LBB1014_74
; %bb.193:
	v_cmp_ne_u32_e32 vcc, v15, v80
	v_cndmask_b32_e64 v95, 0, 1, vcc
	v_cmp_ne_u32_e32 vcc, v15, v81
	v_cndmask_b32_e64 v94, 0, 1, vcc
	;; [unrolled: 2-line block ×14, first 2 shown]
	ds_write_b32 v96, v1
	s_waitcnt lgkmcnt(0)
	s_barrier
	s_waitcnt lgkmcnt(0)
                                        ; implicit-def: $sgpr4_sgpr5
	s_and_saveexec_b64 s[8:9], s[2:3]
	s_xor_b64 s[8:9], exec, s[8:9]
	s_cbranch_execz .LBB1014_195
; %bb.194:
	v_add_u32_e32 v51, -4, v96
	ds_read_b32 v51, v51
	s_or_b64 s[60:61], s[60:61], exec
	s_waitcnt lgkmcnt(0)
	v_cmp_ne_u32_e32 vcc, v51, v14
	s_and_b64 s[4:5], vcc, exec
.LBB1014_195:
	s_or_b64 exec, exec, s[8:9]
	s_mov_b32 s10, 1
	s_branch .LBB1014_76
.LBB1014_196:
	s_mul_hi_u32 s5, s58, 0xfffff100
	s_mul_i32 s4, s59, 0xfffff100
	s_sub_i32 s5, s5, s58
	s_add_i32 s5, s5, s4
	s_mul_i32 s4, s58, 0xfffff100
	s_add_u32 s46, s4, s48
	s_addc_u32 s47, s5, s49
	s_and_b64 vcc, exec, s[6:7]
	v_cmp_ne_u32_e64 s[30:31], v3, v1
	v_cmp_ne_u32_e64 s[28:29], v2, v3
	v_cmp_ne_u32_e64 s[26:27], v5, v2
	v_cmp_ne_u32_e64 s[24:25], v4, v5
	v_cmp_ne_u32_e64 s[22:23], v7, v4
	v_cmp_ne_u32_e64 s[20:21], v6, v7
	v_cmp_ne_u32_e64 s[18:19], v9, v6
	v_cmp_ne_u32_e64 s[16:17], v8, v9
	v_cmp_ne_u32_e64 s[14:15], v11, v8
	v_cmp_ne_u32_e64 s[12:13], v10, v11
	v_cmp_ne_u32_e64 s[10:11], v13, v10
	v_cmp_ne_u32_e64 s[8:9], v12, v13
	v_cmp_ne_u32_e64 s[6:7], v15, v12
	v_cmp_ne_u32_e64 s[4:5], v14, v15
	s_cbranch_vccz .LBB1014_203
; %bb.197:
	v_add_co_u32_e32 v74, vcc, -4, v47
	v_addc_co_u32_e32 v75, vcc, -1, v49, vcc
	flat_load_dword v76, v[74:75]
	v_mov_b32_e32 v47, 0
	v_cmp_gt_u64_e32 vcc, s[46:47], v[46:47]
	v_mov_b32_e32 v73, v47
	s_and_b64 s[30:31], vcc, s[30:31]
	v_cmp_gt_u64_e32 vcc, s[46:47], v[72:73]
	v_mov_b32_e32 v71, v47
	s_and_b64 s[28:29], vcc, s[28:29]
	;; [unrolled: 3-line block ×13, first 2 shown]
	v_cmp_gt_u64_e32 vcc, s[46:47], v[48:49]
	v_mul_u32_u24_e32 v74, 15, v0
	s_and_b64 s[4:5], vcc, s[4:5]
	ds_write_b32 v96, v1
	s_waitcnt lgkmcnt(0)
	s_barrier
	s_and_saveexec_b64 s[48:49], s[2:3]
	s_cbranch_execz .LBB1014_199
; %bb.198:
	v_add_u32_e32 v49, -4, v96
	s_waitcnt vmcnt(0)
	ds_read_b32 v76, v49
.LBB1014_199:
	s_or_b64 exec, exec, s[48:49]
	v_mov_b32_e32 v75, v47
	v_cndmask_b32_e64 v95, 0, 1, s[4:5]
	v_cmp_gt_u64_e32 vcc, s[46:47], v[74:75]
	s_waitcnt vmcnt(0) lgkmcnt(0)
	v_cmp_ne_u32_e64 s[4:5], v76, v14
	v_cndmask_b32_e64 v82, 0, 1, s[30:31]
	v_cndmask_b32_e64 v83, 0, 1, s[28:29]
	;; [unrolled: 1-line block ×13, first 2 shown]
	s_and_b64 s[4:5], vcc, s[4:5]
	s_mov_b64 s[60:61], -1
.LBB1014_200:
                                        ; implicit-def: $sgpr10
	v_mov_b32_e32 v96, s10
	s_and_saveexec_b64 s[2:3], s[60:61]
	s_cbranch_execnz .LBB1014_77
	s_branch .LBB1014_78
.LBB1014_201:
	s_andn2_saveexec_b64 s[2:3], s[28:29]
	s_cbranch_execz .LBB1014_221
.LBB1014_202:
	v_sub_u32_e32 v34, v98, v50
	v_lshlrev_b32_e32 v34, 2, v34
	ds_write_b32 v34, v14
	v_sub_u32_e32 v14, v33, v50
	v_lshlrev_b32_e32 v14, 2, v14
	ds_write_b32 v14, v15
	;; [unrolled: 3-line block ×13, first 2 shown]
	v_sub_u32_e32 v2, v21, v50
	v_lshlrev_b32_e32 v2, 2, v2
	s_or_b64 s[36:37], s[36:37], exec
	ds_write_b32 v2, v3
	s_or_b64 exec, exec, s[2:3]
	s_and_b64 exec, exec, s[36:37]
	s_cbranch_execnz .LBB1014_222
	s_branch .LBB1014_223
.LBB1014_203:
                                        ; implicit-def: $sgpr4_sgpr5
                                        ; implicit-def: $vgpr82
                                        ; implicit-def: $vgpr83
                                        ; implicit-def: $vgpr84
                                        ; implicit-def: $vgpr85
                                        ; implicit-def: $vgpr86
                                        ; implicit-def: $vgpr87
                                        ; implicit-def: $vgpr88
                                        ; implicit-def: $vgpr89
                                        ; implicit-def: $vgpr90
                                        ; implicit-def: $vgpr91
                                        ; implicit-def: $vgpr92
                                        ; implicit-def: $vgpr93
                                        ; implicit-def: $vgpr94
                                        ; implicit-def: $vgpr95
	s_cbranch_execz .LBB1014_200
; %bb.204:
	v_mov_b32_e32 v47, 0
	v_cmp_gt_u64_e32 vcc, s[46:47], v[46:47]
	v_cmp_ne_u32_e64 s[4:5], v3, v1
	s_and_b64 s[4:5], vcc, s[4:5]
	v_mov_b32_e32 v73, v47
	v_cndmask_b32_e64 v82, 0, 1, s[4:5]
	v_cmp_gt_u64_e32 vcc, s[46:47], v[72:73]
	v_cmp_ne_u32_e64 s[4:5], v2, v3
	s_and_b64 s[4:5], vcc, s[4:5]
	v_mov_b32_e32 v71, v47
	v_cndmask_b32_e64 v83, 0, 1, s[4:5]
	;; [unrolled: 5-line block ×13, first 2 shown]
	v_cmp_gt_u64_e32 vcc, s[46:47], v[48:49]
	v_cmp_ne_u32_e64 s[4:5], v14, v15
	s_and_b64 s[4:5], vcc, s[4:5]
	s_mov_b32 s10, 1
	v_cndmask_b32_e64 v95, 0, 1, s[4:5]
	ds_write_b32 v96, v1
	s_waitcnt lgkmcnt(0)
	s_barrier
	s_waitcnt lgkmcnt(0)
                                        ; implicit-def: $sgpr4_sgpr5
	s_and_saveexec_b64 s[6:7], s[2:3]
	s_cbranch_execz .LBB1014_243
; %bb.205:
	v_add_u32_e32 v46, -4, v96
	ds_read_b32 v48, v46
	v_mul_u32_u24_e32 v46, 15, v0
	v_cmp_gt_u64_e32 vcc, s[46:47], v[46:47]
	s_or_b64 s[60:61], s[60:61], exec
	s_waitcnt lgkmcnt(0)
	v_cmp_ne_u32_e64 s[2:3], v48, v14
	s_and_b64 s[2:3], vcc, s[2:3]
	s_and_b64 s[4:5], s[2:3], exec
	s_or_b64 exec, exec, s[6:7]
	v_mov_b32_e32 v96, s10
	s_and_saveexec_b64 s[2:3], s[60:61]
	s_cbranch_execz .LBB1014_78
	s_branch .LBB1014_77
.LBB1014_206:
	s_or_b64 exec, exec, s[36:37]
	s_and_saveexec_b64 s[20:21], s[26:27]
	s_cbranch_execz .LBB1014_180
.LBB1014_207:
	v_sub_u32_e32 v14, v33, v50
	v_lshlrev_b32_e32 v14, 2, v14
	ds_write_b32 v14, v15
	s_or_b64 exec, exec, s[20:21]
	s_and_saveexec_b64 s[20:21], s[24:25]
	s_cbranch_execnz .LBB1014_181
.LBB1014_208:
	s_or_b64 exec, exec, s[20:21]
	s_and_saveexec_b64 s[20:21], s[22:23]
	s_cbranch_execz .LBB1014_182
.LBB1014_209:
	v_sub_u32_e32 v12, v31, v50
	v_lshlrev_b32_e32 v12, 2, v12
	ds_write_b32 v12, v13
	s_or_b64 exec, exec, s[20:21]
	s_and_saveexec_b64 s[20:21], s[18:19]
	s_cbranch_execnz .LBB1014_183
.LBB1014_210:
	s_or_b64 exec, exec, s[20:21]
	s_and_saveexec_b64 s[18:19], s[16:17]
	s_cbranch_execz .LBB1014_184
.LBB1014_211:
	v_sub_u32_e32 v10, v29, v50
	v_lshlrev_b32_e32 v10, 2, v10
	ds_write_b32 v10, v11
	s_or_b64 exec, exec, s[18:19]
	s_and_saveexec_b64 s[16:17], s[14:15]
	s_cbranch_execnz .LBB1014_185
.LBB1014_212:
	s_or_b64 exec, exec, s[16:17]
	s_and_saveexec_b64 s[14:15], s[12:13]
	s_cbranch_execz .LBB1014_186
.LBB1014_213:
	v_sub_u32_e32 v8, v27, v50
	v_lshlrev_b32_e32 v8, 2, v8
	ds_write_b32 v8, v9
	s_or_b64 exec, exec, s[14:15]
	s_and_saveexec_b64 s[12:13], s[10:11]
	s_cbranch_execnz .LBB1014_187
.LBB1014_214:
	s_or_b64 exec, exec, s[12:13]
	s_and_saveexec_b64 s[10:11], s[8:9]
	s_cbranch_execz .LBB1014_188
.LBB1014_215:
	v_sub_u32_e32 v6, v25, v50
	v_lshlrev_b32_e32 v6, 2, v6
	ds_write_b32 v6, v7
	s_or_b64 exec, exec, s[10:11]
	s_and_saveexec_b64 s[8:9], s[6:7]
	s_cbranch_execnz .LBB1014_189
.LBB1014_216:
	s_or_b64 exec, exec, s[8:9]
	s_and_saveexec_b64 s[6:7], s[4:5]
	s_cbranch_execz .LBB1014_190
.LBB1014_217:
	v_sub_u32_e32 v4, v23, v50
	v_lshlrev_b32_e32 v4, 2, v4
	ds_write_b32 v4, v5
	s_or_b64 exec, exec, s[6:7]
	s_and_saveexec_b64 s[4:5], s[2:3]
	s_cbranch_execnz .LBB1014_191
.LBB1014_218:
	s_or_b64 exec, exec, s[4:5]
	v_cmp_ne_u32_e64 s[2:3], 0, v82
	s_and_saveexec_b64 s[4:5], vcc
	s_cbranch_execz .LBB1014_220
.LBB1014_219:
	v_sub_u32_e32 v2, v21, v50
	v_lshlrev_b32_e32 v2, 2, v2
	ds_write_b32 v2, v3
.LBB1014_220:
	s_or_b64 exec, exec, s[4:5]
	s_and_b64 s[36:37], s[2:3], exec
                                        ; implicit-def: $vgpr2
                                        ; implicit-def: $vgpr4
                                        ; implicit-def: $vgpr6
                                        ; implicit-def: $vgpr8
                                        ; implicit-def: $vgpr10
                                        ; implicit-def: $vgpr12
                                        ; implicit-def: $vgpr14
	s_andn2_saveexec_b64 s[2:3], s[28:29]
	s_cbranch_execnz .LBB1014_202
.LBB1014_221:
	s_or_b64 exec, exec, s[2:3]
	s_and_b64 exec, exec, s[36:37]
	s_cbranch_execz .LBB1014_223
.LBB1014_222:
	v_sub_u32_e32 v2, v20, v50
	v_lshlrev_b32_e32 v2, 2, v2
	ds_write_b32 v2, v1
.LBB1014_223:
	s_or_b64 exec, exec, s[30:31]
	s_waitcnt lgkmcnt(0)
	s_barrier
.LBB1014_224:
	s_cmpk_lg_i32 s33, 0xf00
	s_cselect_b64 s[2:3], -1, 0
	v_cndmask_b32_e64 v8, 0, 1, s[34:35]
	s_and_b64 s[2:3], s[2:3], s[44:45]
	v_sub_u32_e32 v1, v46, v8
	v_cndmask_b32_e64 v4, 0, 1, s[2:3]
	s_and_b64 s[0:1], s[0:1], s[34:35]
	v_add_co_u32_e32 v2, vcc, v80, v16
	v_add_u32_e32 v1, v1, v4
	v_cndmask_b32_e64 v4, v96, 0, s[0:1]
	s_mul_hi_u32 s0, s33, 0x88888889
	v_addc_co_u32_e32 v3, vcc, v81, v17, vcc
	s_lshr_b32 s0, s0, 3
	v_mad_i32_i24 v5, v0, -15, s33
	v_cmp_eq_u32_e32 vcc, s0, v0
	v_cmp_ne_u32_e64 s[0:1], 0, v5
	v_cndmask_b32_e64 v6, 1, v4, s[0:1]
	v_cmp_ne_u32_e64 s[0:1], 1, v5
	v_cndmask_b32_e64 v7, 1, v95, s[0:1]
	;; [unrolled: 2-line block ×15, first 2 shown]
	s_and_b64 vcc, vcc, s[44:45]
	v_cndmask_b32_e32 v37, v82, v5, vcc
	v_cndmask_b32_e32 v39, v4, v6, vcc
	s_waitcnt vmcnt(0)
	v_lshlrev_b64 v[4:5], 3, v[18:19]
	v_mov_b32_e32 v51, 0
	v_cndmask_b32_e32 v36, v83, v36, vcc
	v_cndmask_b32_e32 v35, v84, v35, vcc
	;; [unrolled: 1-line block ×13, first 2 shown]
	v_mov_b32_e32 v6, s53
	v_add_co_u32_e32 v7, vcc, s52, v4
	v_addc_co_u32_e32 v6, vcc, v6, v5, vcc
	v_lshlrev_b64 v[4:5], 3, v[50:51]
	v_add_co_u32_e32 v4, vcc, v7, v4
	v_addc_co_u32_e32 v5, vcc, v6, v5, vcc
	v_lshlrev_b32_e32 v6, 3, v8
	v_add_co_u32_e32 v6, vcc, v6, v4
	v_addc_co_u32_e32 v7, vcc, 0, v5, vcc
	v_add_co_u32_e32 v6, vcc, -8, v6
	v_addc_co_u32_e32 v7, vcc, -1, v7, vcc
	v_cmp_eq_u32_e32 vcc, 0, v39
	v_cmp_ne_u32_e64 s[28:29], 0, v39
	v_cndmask_b32_e64 v39, 1, 2, vcc
	v_cmp_eq_u32_e32 vcc, 0, v38
	v_cmp_ne_u32_e64 s[26:27], 0, v38
	v_cndmask_b32_e64 v38, 1, 2, vcc
	v_cmp_eq_u32_e32 vcc, 0, v9
	v_and_b32_e32 v38, v38, v39
	v_cmp_ne_u32_e64 s[24:25], 0, v9
	v_cndmask_b32_e64 v9, 1, 2, vcc
	v_cmp_eq_u32_e32 vcc, 0, v10
	v_and_b32_e32 v9, v38, v9
	;; [unrolled: 4-line block ×3, first 2 shown]
	v_cndmask_b32_e64 v10, 1, 2, vcc
	v_cmp_eq_u32_e32 vcc, 0, v12
	v_and_b32_e32 v9, v9, v10
	v_cndmask_b32_e64 v10, 1, 2, vcc
	v_cmp_eq_u32_e32 vcc, 0, v13
	v_and_b32_e32 v9, v9, v10
	;; [unrolled: 3-line block ×10, first 2 shown]
	v_cndmask_b32_e64 v10, 1, 2, vcc
	v_and_b32_e32 v9, v9, v10
	v_cmp_gt_u32_e32 vcc, s38, v1
	v_add_u32_e32 v8, v50, v8
	v_cmp_ne_u32_e64 s[20:21], 0, v11
	v_cmp_ne_u32_e64 s[18:19], 0, v12
	;; [unrolled: 1-line block ×11, first 2 shown]
	s_mov_b64 s[34:35], -1
	v_cmp_gt_i16_e64 s[30:31], 2, v9
	s_barrier
	s_cbranch_vccz .LBB1014_262
; %bb.225:
	s_and_saveexec_b64 s[34:35], s[30:31]
	s_cbranch_execz .LBB1014_261
; %bb.226:
	v_cmp_ne_u16_e32 vcc, 1, v9
	s_mov_b64 s[36:37], 0
	s_and_saveexec_b64 s[30:31], vcc
	s_xor_b64 s[30:31], exec, s[30:31]
	s_cbranch_execz .LBB1014_241
; %bb.227:
	s_and_saveexec_b64 s[36:37], s[28:29]
	s_cbranch_execz .LBB1014_244
; %bb.228:
	v_sub_u32_e32 v10, v98, v8
	v_mov_b32_e32 v11, 0
	v_lshlrev_b64 v[10:11], 3, v[10:11]
	v_add_co_u32_e32 v10, vcc, v6, v10
	v_addc_co_u32_e32 v11, vcc, v7, v11, vcc
	global_store_dwordx2 v[10:11], v[76:77], off
	s_or_b64 exec, exec, s[36:37]
	s_and_saveexec_b64 s[36:37], s[26:27]
	s_cbranch_execnz .LBB1014_245
.LBB1014_229:
	s_or_b64 exec, exec, s[36:37]
	s_and_saveexec_b64 s[36:37], s[24:25]
	s_cbranch_execz .LBB1014_246
.LBB1014_230:
	v_sub_u32_e32 v10, v32, v8
	v_mov_b32_e32 v11, 0
	v_lshlrev_b64 v[10:11], 3, v[10:11]
	v_add_co_u32_e32 v10, vcc, v6, v10
	v_addc_co_u32_e32 v11, vcc, v7, v11, vcc
	global_store_dwordx2 v[10:11], v[54:55], off
	s_or_b64 exec, exec, s[36:37]
	s_and_saveexec_b64 s[36:37], s[22:23]
	s_cbranch_execnz .LBB1014_247
.LBB1014_231:
	s_or_b64 exec, exec, s[36:37]
	s_and_saveexec_b64 s[36:37], s[20:21]
	s_cbranch_execz .LBB1014_248
.LBB1014_232:
	v_sub_u32_e32 v10, v30, v8
	v_mov_b32_e32 v11, 0
	v_lshlrev_b64 v[10:11], 3, v[10:11]
	v_add_co_u32_e32 v10, vcc, v6, v10
	v_addc_co_u32_e32 v11, vcc, v7, v11, vcc
	global_store_dwordx2 v[10:11], v[58:59], off
	s_or_b64 exec, exec, s[36:37]
	s_and_saveexec_b64 s[36:37], s[18:19]
	s_cbranch_execnz .LBB1014_249
.LBB1014_233:
	s_or_b64 exec, exec, s[36:37]
	s_and_saveexec_b64 s[36:37], s[16:17]
	s_cbranch_execz .LBB1014_250
.LBB1014_234:
	v_sub_u32_e32 v10, v28, v8
	v_mov_b32_e32 v11, 0
	v_lshlrev_b64 v[10:11], 3, v[10:11]
	v_add_co_u32_e32 v10, vcc, v6, v10
	v_addc_co_u32_e32 v11, vcc, v7, v11, vcc
	global_store_dwordx2 v[10:11], v[62:63], off
	s_or_b64 exec, exec, s[36:37]
	s_and_saveexec_b64 s[36:37], s[14:15]
	s_cbranch_execnz .LBB1014_251
.LBB1014_235:
	s_or_b64 exec, exec, s[36:37]
	s_and_saveexec_b64 s[36:37], s[12:13]
	s_cbranch_execz .LBB1014_252
.LBB1014_236:
	v_sub_u32_e32 v10, v26, v8
	v_mov_b32_e32 v11, 0
	v_lshlrev_b64 v[10:11], 3, v[10:11]
	v_add_co_u32_e32 v10, vcc, v6, v10
	v_addc_co_u32_e32 v11, vcc, v7, v11, vcc
	global_store_dwordx2 v[10:11], v[66:67], off
	s_or_b64 exec, exec, s[36:37]
	s_and_saveexec_b64 s[36:37], s[10:11]
	s_cbranch_execnz .LBB1014_253
.LBB1014_237:
	s_or_b64 exec, exec, s[36:37]
	s_and_saveexec_b64 s[36:37], s[8:9]
	s_cbranch_execz .LBB1014_254
.LBB1014_238:
	v_sub_u32_e32 v10, v24, v8
	v_mov_b32_e32 v11, 0
	v_lshlrev_b64 v[10:11], 3, v[10:11]
	v_add_co_u32_e32 v10, vcc, v6, v10
	v_addc_co_u32_e32 v11, vcc, v7, v11, vcc
	global_store_dwordx2 v[10:11], v[70:71], off
	s_or_b64 exec, exec, s[36:37]
	s_and_saveexec_b64 s[36:37], s[6:7]
	s_cbranch_execnz .LBB1014_255
.LBB1014_239:
	s_or_b64 exec, exec, s[36:37]
	s_and_saveexec_b64 s[36:37], s[4:5]
	s_cbranch_execz .LBB1014_256
.LBB1014_240:
	v_sub_u32_e32 v10, v22, v8
	v_mov_b32_e32 v11, 0
	v_lshlrev_b64 v[10:11], 3, v[10:11]
	v_add_co_u32_e32 v10, vcc, v6, v10
	v_addc_co_u32_e32 v11, vcc, v7, v11, vcc
	global_store_dwordx2 v[10:11], v[74:75], off
	s_or_b64 exec, exec, s[36:37]
	s_and_saveexec_b64 s[36:37], s[2:3]
	s_cbranch_execnz .LBB1014_257
	s_branch .LBB1014_258
.LBB1014_241:
	s_andn2_saveexec_b64 s[30:31], s[30:31]
	s_cbranch_execz .LBB1014_259
.LBB1014_242:
	v_sub_u32_e32 v10, v98, v8
	v_mov_b32_e32 v11, 0
	v_lshlrev_b64 v[12:13], 3, v[10:11]
	v_add_co_u32_e32 v12, vcc, v6, v12
	v_addc_co_u32_e32 v13, vcc, v7, v13, vcc
	v_sub_u32_e32 v10, v33, v8
	global_store_dwordx2 v[12:13], v[76:77], off
	v_lshlrev_b64 v[12:13], 3, v[10:11]
	v_add_co_u32_e32 v12, vcc, v6, v12
	v_addc_co_u32_e32 v13, vcc, v7, v13, vcc
	v_sub_u32_e32 v10, v32, v8
	global_store_dwordx2 v[12:13], v[52:53], off
	;; [unrolled: 5-line block ×12, first 2 shown]
	v_lshlrev_b64 v[12:13], 3, v[10:11]
	v_add_co_u32_e32 v12, vcc, v6, v12
	v_sub_u32_e32 v10, v21, v8
	v_addc_co_u32_e32 v13, vcc, v7, v13, vcc
	v_lshlrev_b64 v[10:11], 3, v[10:11]
	v_add_co_u32_e32 v10, vcc, v6, v10
	v_addc_co_u32_e32 v11, vcc, v7, v11, vcc
	s_or_b64 s[36:37], s[36:37], exec
	global_store_dwordx2 v[12:13], v[74:75], off
	global_store_dwordx2 v[10:11], v[78:79], off
	s_or_b64 exec, exec, s[30:31]
	s_and_b64 exec, exec, s[36:37]
	s_cbranch_execnz .LBB1014_260
	s_branch .LBB1014_261
.LBB1014_243:
	s_or_b64 exec, exec, s[6:7]
	v_mov_b32_e32 v96, s10
	s_and_saveexec_b64 s[2:3], s[60:61]
	s_cbranch_execnz .LBB1014_77
	s_branch .LBB1014_78
.LBB1014_244:
	s_or_b64 exec, exec, s[36:37]
	s_and_saveexec_b64 s[36:37], s[26:27]
	s_cbranch_execz .LBB1014_229
.LBB1014_245:
	v_sub_u32_e32 v10, v33, v8
	v_mov_b32_e32 v11, 0
	v_lshlrev_b64 v[10:11], 3, v[10:11]
	v_add_co_u32_e32 v10, vcc, v6, v10
	v_addc_co_u32_e32 v11, vcc, v7, v11, vcc
	global_store_dwordx2 v[10:11], v[52:53], off
	s_or_b64 exec, exec, s[36:37]
	s_and_saveexec_b64 s[36:37], s[24:25]
	s_cbranch_execnz .LBB1014_230
.LBB1014_246:
	s_or_b64 exec, exec, s[36:37]
	s_and_saveexec_b64 s[36:37], s[22:23]
	s_cbranch_execz .LBB1014_231
.LBB1014_247:
	v_sub_u32_e32 v10, v31, v8
	v_mov_b32_e32 v11, 0
	v_lshlrev_b64 v[10:11], 3, v[10:11]
	v_add_co_u32_e32 v10, vcc, v6, v10
	v_addc_co_u32_e32 v11, vcc, v7, v11, vcc
	global_store_dwordx2 v[10:11], v[56:57], off
	s_or_b64 exec, exec, s[36:37]
	s_and_saveexec_b64 s[36:37], s[20:21]
	s_cbranch_execnz .LBB1014_232
.LBB1014_248:
	s_or_b64 exec, exec, s[36:37]
	s_and_saveexec_b64 s[36:37], s[18:19]
	s_cbranch_execz .LBB1014_233
.LBB1014_249:
	v_sub_u32_e32 v10, v29, v8
	v_mov_b32_e32 v11, 0
	v_lshlrev_b64 v[10:11], 3, v[10:11]
	v_add_co_u32_e32 v10, vcc, v6, v10
	v_addc_co_u32_e32 v11, vcc, v7, v11, vcc
	global_store_dwordx2 v[10:11], v[60:61], off
	s_or_b64 exec, exec, s[36:37]
	s_and_saveexec_b64 s[36:37], s[16:17]
	s_cbranch_execnz .LBB1014_234
.LBB1014_250:
	s_or_b64 exec, exec, s[36:37]
	s_and_saveexec_b64 s[36:37], s[14:15]
	s_cbranch_execz .LBB1014_235
.LBB1014_251:
	v_sub_u32_e32 v10, v27, v8
	v_mov_b32_e32 v11, 0
	v_lshlrev_b64 v[10:11], 3, v[10:11]
	v_add_co_u32_e32 v10, vcc, v6, v10
	v_addc_co_u32_e32 v11, vcc, v7, v11, vcc
	global_store_dwordx2 v[10:11], v[64:65], off
	s_or_b64 exec, exec, s[36:37]
	s_and_saveexec_b64 s[36:37], s[12:13]
	s_cbranch_execnz .LBB1014_236
.LBB1014_252:
	s_or_b64 exec, exec, s[36:37]
	s_and_saveexec_b64 s[36:37], s[10:11]
	s_cbranch_execz .LBB1014_237
.LBB1014_253:
	v_sub_u32_e32 v10, v25, v8
	v_mov_b32_e32 v11, 0
	v_lshlrev_b64 v[10:11], 3, v[10:11]
	v_add_co_u32_e32 v10, vcc, v6, v10
	v_addc_co_u32_e32 v11, vcc, v7, v11, vcc
	global_store_dwordx2 v[10:11], v[68:69], off
	s_or_b64 exec, exec, s[36:37]
	s_and_saveexec_b64 s[36:37], s[8:9]
	s_cbranch_execnz .LBB1014_238
.LBB1014_254:
	s_or_b64 exec, exec, s[36:37]
	s_and_saveexec_b64 s[36:37], s[6:7]
	s_cbranch_execz .LBB1014_239
.LBB1014_255:
	v_sub_u32_e32 v10, v23, v8
	v_mov_b32_e32 v11, 0
	v_lshlrev_b64 v[10:11], 3, v[10:11]
	v_add_co_u32_e32 v10, vcc, v6, v10
	v_addc_co_u32_e32 v11, vcc, v7, v11, vcc
	global_store_dwordx2 v[10:11], v[72:73], off
	s_or_b64 exec, exec, s[36:37]
	s_and_saveexec_b64 s[36:37], s[4:5]
	s_cbranch_execnz .LBB1014_240
.LBB1014_256:
	s_or_b64 exec, exec, s[36:37]
	s_and_saveexec_b64 s[36:37], s[2:3]
	s_cbranch_execz .LBB1014_258
.LBB1014_257:
	v_sub_u32_e32 v10, v21, v8
	v_mov_b32_e32 v11, 0
	v_lshlrev_b64 v[10:11], 3, v[10:11]
	v_add_co_u32_e32 v10, vcc, v6, v10
	v_addc_co_u32_e32 v11, vcc, v7, v11, vcc
	global_store_dwordx2 v[10:11], v[78:79], off
.LBB1014_258:
	s_or_b64 exec, exec, s[36:37]
	s_and_b64 s[36:37], s[0:1], exec
	s_andn2_saveexec_b64 s[30:31], s[30:31]
	s_cbranch_execnz .LBB1014_242
.LBB1014_259:
	s_or_b64 exec, exec, s[30:31]
	s_and_b64 exec, exec, s[36:37]
	s_cbranch_execz .LBB1014_261
.LBB1014_260:
	v_sub_u32_e32 v10, v20, v8
	v_mov_b32_e32 v11, 0
	v_lshlrev_b64 v[10:11], 3, v[10:11]
	v_add_co_u32_e32 v10, vcc, v6, v10
	v_addc_co_u32_e32 v11, vcc, v7, v11, vcc
	global_store_dwordx2 v[10:11], v[2:3], off
.LBB1014_261:
	s_or_b64 exec, exec, s[34:35]
	s_mov_b64 s[34:35], 0
.LBB1014_262:
	s_and_b64 vcc, exec, s[34:35]
	s_cbranch_vccz .LBB1014_302
; %bb.263:
	v_cmp_gt_i16_e32 vcc, 2, v9
	s_and_saveexec_b64 s[30:31], vcc
	s_cbranch_execz .LBB1014_298
; %bb.264:
	v_cmp_ne_u16_e32 vcc, 1, v9
	s_mov_b64 s[36:37], 0
	s_and_saveexec_b64 s[34:35], vcc
	s_xor_b64 s[34:35], exec, s[34:35]
	s_cbranch_execz .LBB1014_279
; %bb.265:
	s_and_saveexec_b64 s[36:37], s[28:29]
	s_cbranch_execz .LBB1014_281
; %bb.266:
	v_sub_u32_e32 v9, v98, v8
	v_lshlrev_b32_e32 v9, 3, v9
	ds_write_b64 v9, v[76:77]
	s_or_b64 exec, exec, s[36:37]
	s_and_saveexec_b64 s[28:29], s[26:27]
	s_cbranch_execnz .LBB1014_282
.LBB1014_267:
	s_or_b64 exec, exec, s[28:29]
	s_and_saveexec_b64 s[26:27], s[24:25]
	s_cbranch_execz .LBB1014_283
.LBB1014_268:
	v_sub_u32_e32 v9, v32, v8
	v_lshlrev_b32_e32 v9, 3, v9
	ds_write_b64 v9, v[54:55]
	s_or_b64 exec, exec, s[26:27]
	s_and_saveexec_b64 s[24:25], s[22:23]
	s_cbranch_execnz .LBB1014_284
.LBB1014_269:
	s_or_b64 exec, exec, s[24:25]
	s_and_saveexec_b64 s[22:23], s[20:21]
	s_cbranch_execz .LBB1014_285
.LBB1014_270:
	v_sub_u32_e32 v9, v30, v8
	v_lshlrev_b32_e32 v9, 3, v9
	ds_write_b64 v9, v[58:59]
	s_or_b64 exec, exec, s[22:23]
	s_and_saveexec_b64 s[20:21], s[18:19]
	s_cbranch_execnz .LBB1014_286
.LBB1014_271:
	s_or_b64 exec, exec, s[20:21]
	s_and_saveexec_b64 s[18:19], s[16:17]
	s_cbranch_execz .LBB1014_287
.LBB1014_272:
	v_sub_u32_e32 v9, v28, v8
	v_lshlrev_b32_e32 v9, 3, v9
	ds_write_b64 v9, v[62:63]
	s_or_b64 exec, exec, s[18:19]
	s_and_saveexec_b64 s[16:17], s[14:15]
	s_cbranch_execnz .LBB1014_288
.LBB1014_273:
	s_or_b64 exec, exec, s[16:17]
	s_and_saveexec_b64 s[14:15], s[12:13]
	s_cbranch_execz .LBB1014_289
.LBB1014_274:
	v_sub_u32_e32 v9, v26, v8
	v_lshlrev_b32_e32 v9, 3, v9
	ds_write_b64 v9, v[66:67]
	s_or_b64 exec, exec, s[14:15]
	s_and_saveexec_b64 s[12:13], s[10:11]
	s_cbranch_execnz .LBB1014_290
.LBB1014_275:
	s_or_b64 exec, exec, s[12:13]
	s_and_saveexec_b64 s[10:11], s[8:9]
	s_cbranch_execz .LBB1014_291
.LBB1014_276:
	v_sub_u32_e32 v9, v24, v8
	v_lshlrev_b32_e32 v9, 3, v9
	ds_write_b64 v9, v[70:71]
	s_or_b64 exec, exec, s[10:11]
	s_and_saveexec_b64 s[8:9], s[6:7]
	s_cbranch_execnz .LBB1014_292
.LBB1014_277:
	s_or_b64 exec, exec, s[8:9]
	s_and_saveexec_b64 s[6:7], s[4:5]
	s_cbranch_execz .LBB1014_293
.LBB1014_278:
	v_sub_u32_e32 v9, v22, v8
	v_lshlrev_b32_e32 v9, 3, v9
	ds_write_b64 v9, v[74:75]
	s_or_b64 exec, exec, s[6:7]
	s_and_saveexec_b64 s[4:5], s[2:3]
	s_cbranch_execnz .LBB1014_294
	s_branch .LBB1014_295
.LBB1014_279:
	s_andn2_saveexec_b64 s[0:1], s[34:35]
	s_cbranch_execz .LBB1014_296
.LBB1014_280:
	v_sub_u32_e32 v9, v98, v8
	v_lshlrev_b32_e32 v9, 3, v9
	ds_write_b64 v9, v[76:77]
	v_sub_u32_e32 v9, v33, v8
	v_lshlrev_b32_e32 v9, 3, v9
	ds_write_b64 v9, v[52:53]
	v_sub_u32_e32 v9, v32, v8
	v_lshlrev_b32_e32 v9, 3, v9
	ds_write_b64 v9, v[54:55]
	v_sub_u32_e32 v9, v31, v8
	v_lshlrev_b32_e32 v9, 3, v9
	ds_write_b64 v9, v[56:57]
	v_sub_u32_e32 v9, v30, v8
	v_lshlrev_b32_e32 v9, 3, v9
	ds_write_b64 v9, v[58:59]
	v_sub_u32_e32 v9, v29, v8
	v_lshlrev_b32_e32 v9, 3, v9
	ds_write_b64 v9, v[60:61]
	v_sub_u32_e32 v9, v28, v8
	v_lshlrev_b32_e32 v9, 3, v9
	ds_write_b64 v9, v[62:63]
	v_sub_u32_e32 v9, v27, v8
	v_lshlrev_b32_e32 v9, 3, v9
	ds_write_b64 v9, v[64:65]
	v_sub_u32_e32 v9, v26, v8
	v_lshlrev_b32_e32 v9, 3, v9
	ds_write_b64 v9, v[66:67]
	v_sub_u32_e32 v9, v25, v8
	v_lshlrev_b32_e32 v9, 3, v9
	ds_write_b64 v9, v[68:69]
	v_sub_u32_e32 v9, v24, v8
	v_lshlrev_b32_e32 v9, 3, v9
	ds_write_b64 v9, v[70:71]
	v_sub_u32_e32 v9, v23, v8
	v_lshlrev_b32_e32 v9, 3, v9
	ds_write_b64 v9, v[72:73]
	v_sub_u32_e32 v9, v22, v8
	v_lshlrev_b32_e32 v9, 3, v9
	ds_write_b64 v9, v[74:75]
	v_sub_u32_e32 v9, v21, v8
	v_lshlrev_b32_e32 v9, 3, v9
	s_or_b64 s[36:37], s[36:37], exec
	ds_write_b64 v9, v[78:79]
	s_or_b64 exec, exec, s[0:1]
	s_and_b64 exec, exec, s[36:37]
	s_cbranch_execnz .LBB1014_297
	s_branch .LBB1014_298
.LBB1014_281:
	s_or_b64 exec, exec, s[36:37]
	s_and_saveexec_b64 s[28:29], s[26:27]
	s_cbranch_execz .LBB1014_267
.LBB1014_282:
	v_sub_u32_e32 v9, v33, v8
	v_lshlrev_b32_e32 v9, 3, v9
	ds_write_b64 v9, v[52:53]
	s_or_b64 exec, exec, s[28:29]
	s_and_saveexec_b64 s[26:27], s[24:25]
	s_cbranch_execnz .LBB1014_268
.LBB1014_283:
	s_or_b64 exec, exec, s[26:27]
	s_and_saveexec_b64 s[24:25], s[22:23]
	s_cbranch_execz .LBB1014_269
.LBB1014_284:
	v_sub_u32_e32 v9, v31, v8
	v_lshlrev_b32_e32 v9, 3, v9
	ds_write_b64 v9, v[56:57]
	s_or_b64 exec, exec, s[24:25]
	s_and_saveexec_b64 s[22:23], s[20:21]
	s_cbranch_execnz .LBB1014_270
.LBB1014_285:
	s_or_b64 exec, exec, s[22:23]
	s_and_saveexec_b64 s[20:21], s[18:19]
	s_cbranch_execz .LBB1014_271
.LBB1014_286:
	v_sub_u32_e32 v9, v29, v8
	v_lshlrev_b32_e32 v9, 3, v9
	ds_write_b64 v9, v[60:61]
	s_or_b64 exec, exec, s[20:21]
	s_and_saveexec_b64 s[18:19], s[16:17]
	s_cbranch_execnz .LBB1014_272
.LBB1014_287:
	s_or_b64 exec, exec, s[18:19]
	s_and_saveexec_b64 s[16:17], s[14:15]
	s_cbranch_execz .LBB1014_273
.LBB1014_288:
	v_sub_u32_e32 v9, v27, v8
	v_lshlrev_b32_e32 v9, 3, v9
	ds_write_b64 v9, v[64:65]
	s_or_b64 exec, exec, s[16:17]
	s_and_saveexec_b64 s[14:15], s[12:13]
	s_cbranch_execnz .LBB1014_274
.LBB1014_289:
	s_or_b64 exec, exec, s[14:15]
	s_and_saveexec_b64 s[12:13], s[10:11]
	s_cbranch_execz .LBB1014_275
.LBB1014_290:
	v_sub_u32_e32 v9, v25, v8
	v_lshlrev_b32_e32 v9, 3, v9
	ds_write_b64 v9, v[68:69]
	s_or_b64 exec, exec, s[12:13]
	s_and_saveexec_b64 s[10:11], s[8:9]
	s_cbranch_execnz .LBB1014_276
.LBB1014_291:
	s_or_b64 exec, exec, s[10:11]
	s_and_saveexec_b64 s[8:9], s[6:7]
	s_cbranch_execz .LBB1014_277
.LBB1014_292:
	v_sub_u32_e32 v9, v23, v8
	v_lshlrev_b32_e32 v9, 3, v9
	ds_write_b64 v9, v[72:73]
	s_or_b64 exec, exec, s[8:9]
	s_and_saveexec_b64 s[6:7], s[4:5]
	s_cbranch_execnz .LBB1014_278
.LBB1014_293:
	s_or_b64 exec, exec, s[6:7]
	s_and_saveexec_b64 s[4:5], s[2:3]
	s_cbranch_execz .LBB1014_295
.LBB1014_294:
	v_sub_u32_e32 v9, v21, v8
	v_lshlrev_b32_e32 v9, 3, v9
	ds_write_b64 v9, v[78:79]
.LBB1014_295:
	s_or_b64 exec, exec, s[4:5]
	s_and_b64 s[36:37], s[0:1], exec
                                        ; implicit-def: $vgpr76_vgpr77
                                        ; implicit-def: $vgpr52_vgpr53
                                        ; implicit-def: $vgpr54_vgpr55
                                        ; implicit-def: $vgpr56_vgpr57
                                        ; implicit-def: $vgpr58_vgpr59
                                        ; implicit-def: $vgpr60_vgpr61
                                        ; implicit-def: $vgpr62_vgpr63
                                        ; implicit-def: $vgpr64_vgpr65
                                        ; implicit-def: $vgpr66_vgpr67
                                        ; implicit-def: $vgpr68_vgpr69
                                        ; implicit-def: $vgpr70_vgpr71
                                        ; implicit-def: $vgpr72_vgpr73
                                        ; implicit-def: $vgpr74_vgpr75
                                        ; implicit-def: $vgpr78_vgpr79
                                        ; implicit-def: $vgpr98
                                        ; implicit-def: $vgpr33
                                        ; implicit-def: $vgpr32
                                        ; implicit-def: $vgpr31
                                        ; implicit-def: $vgpr30
                                        ; implicit-def: $vgpr29
                                        ; implicit-def: $vgpr28
                                        ; implicit-def: $vgpr27
                                        ; implicit-def: $vgpr26
                                        ; implicit-def: $vgpr25
                                        ; implicit-def: $vgpr24
                                        ; implicit-def: $vgpr23
                                        ; implicit-def: $vgpr22
                                        ; implicit-def: $vgpr21
	s_andn2_saveexec_b64 s[0:1], s[34:35]
	s_cbranch_execnz .LBB1014_280
.LBB1014_296:
	s_or_b64 exec, exec, s[0:1]
	s_and_b64 exec, exec, s[36:37]
	s_cbranch_execz .LBB1014_298
.LBB1014_297:
	v_sub_u32_e32 v8, v20, v8
	v_lshlrev_b32_e32 v8, 3, v8
	ds_write_b64 v8, v[2:3]
.LBB1014_298:
	s_or_b64 exec, exec, s[30:31]
	v_cmp_lt_u32_e32 vcc, v0, v1
	s_waitcnt lgkmcnt(0)
	s_barrier
	s_and_saveexec_b64 s[0:1], vcc
	s_cbranch_execz .LBB1014_301
; %bb.299:
	v_lshlrev_b32_e32 v8, 3, v0
	s_mov_b64 s[2:3], 0
	v_mov_b32_e32 v3, 0
	v_mov_b32_e32 v2, v0
.LBB1014_300:                           ; =>This Inner Loop Header: Depth=1
	v_lshlrev_b64 v[10:11], 3, v[2:3]
	ds_read_b64 v[12:13], v8
	v_add_co_u32_e32 v10, vcc, v6, v10
	v_add_u32_e32 v2, 0x100, v2
	v_addc_co_u32_e32 v11, vcc, v7, v11, vcc
	v_cmp_ge_u32_e32 vcc, v2, v1
	v_add_u32_e32 v8, 0x800, v8
	s_or_b64 s[2:3], vcc, s[2:3]
	s_waitcnt lgkmcnt(0)
	global_store_dwordx2 v[10:11], v[12:13], off
	s_andn2_b64 exec, exec, s[2:3]
	s_cbranch_execnz .LBB1014_300
.LBB1014_301:
	s_or_b64 exec, exec, s[0:1]
.LBB1014_302:
	s_movk_i32 s0, 0xff
	v_cmp_eq_u32_e32 vcc, s0, v0
	s_and_b64 s[0:1], vcc, s[44:45]
	s_and_saveexec_b64 s[2:3], s[0:1]
	s_cbranch_execz .LBB1014_305
; %bb.303:
	v_add_co_u32_e32 v0, vcc, v46, v50
	v_addc_co_u32_e64 v1, s[0:1], 0, 0, vcc
	v_add_co_u32_e32 v0, vcc, v0, v18
	v_mov_b32_e32 v47, 0
	v_addc_co_u32_e32 v1, vcc, v1, v19, vcc
	s_cmpk_lg_i32 s33, 0xf00
	global_store_dwordx2 v47, v[0:1], s[54:55]
	s_cbranch_scc1 .LBB1014_305
; %bb.304:
	v_lshlrev_b64 v[0:1], 3, v[46:47]
	v_add_co_u32_e32 v0, vcc, v4, v0
	v_addc_co_u32_e32 v1, vcc, v5, v1, vcc
	global_store_dwordx2 v[0:1], v[48:49], off offset:-8
.LBB1014_305:
	s_endpgm
	.section	.rodata,"a",@progbits
	.p2align	6, 0x0
	.amdhsa_kernel _ZN7rocprim17ROCPRIM_400000_NS6detail17trampoline_kernelINS0_14default_configENS1_29reduce_by_key_config_selectorIjxN6thrust23THRUST_200600_302600_NS4plusIxEEEEZZNS1_33reduce_by_key_impl_wrapped_configILNS1_25lookback_scan_determinismE0ES3_S9_NS6_6detail15normal_iteratorINS6_10device_ptrIjEEEENSD_INSE_IxEEEENS6_16discard_iteratorINS6_11use_defaultEEESI_PmS8_NS6_8equal_toIjEEEE10hipError_tPvRmT2_T3_mT4_T5_T6_T7_T8_P12ihipStream_tbENKUlT_T0_E_clISt17integral_constantIbLb0EES15_IbLb1EEEEDaS11_S12_EUlS11_E_NS1_11comp_targetILNS1_3genE4ELNS1_11target_archE910ELNS1_3gpuE8ELNS1_3repE0EEENS1_30default_config_static_selectorELNS0_4arch9wavefront6targetE1EEEvT1_
		.amdhsa_group_segment_fixed_size 30720
		.amdhsa_private_segment_fixed_size 0
		.amdhsa_kernarg_size 144
		.amdhsa_user_sgpr_count 6
		.amdhsa_user_sgpr_private_segment_buffer 1
		.amdhsa_user_sgpr_dispatch_ptr 0
		.amdhsa_user_sgpr_queue_ptr 0
		.amdhsa_user_sgpr_kernarg_segment_ptr 1
		.amdhsa_user_sgpr_dispatch_id 0
		.amdhsa_user_sgpr_flat_scratch_init 0
		.amdhsa_user_sgpr_kernarg_preload_length 0
		.amdhsa_user_sgpr_kernarg_preload_offset 0
		.amdhsa_user_sgpr_private_segment_size 0
		.amdhsa_uses_dynamic_stack 0
		.amdhsa_system_sgpr_private_segment_wavefront_offset 0
		.amdhsa_system_sgpr_workgroup_id_x 1
		.amdhsa_system_sgpr_workgroup_id_y 0
		.amdhsa_system_sgpr_workgroup_id_z 0
		.amdhsa_system_sgpr_workgroup_info 0
		.amdhsa_system_vgpr_workitem_id 0
		.amdhsa_next_free_vgpr 102
		.amdhsa_next_free_sgpr 63
		.amdhsa_accum_offset 104
		.amdhsa_reserve_vcc 1
		.amdhsa_reserve_flat_scratch 0
		.amdhsa_float_round_mode_32 0
		.amdhsa_float_round_mode_16_64 0
		.amdhsa_float_denorm_mode_32 3
		.amdhsa_float_denorm_mode_16_64 3
		.amdhsa_dx10_clamp 1
		.amdhsa_ieee_mode 1
		.amdhsa_fp16_overflow 0
		.amdhsa_tg_split 0
		.amdhsa_exception_fp_ieee_invalid_op 0
		.amdhsa_exception_fp_denorm_src 0
		.amdhsa_exception_fp_ieee_div_zero 0
		.amdhsa_exception_fp_ieee_overflow 0
		.amdhsa_exception_fp_ieee_underflow 0
		.amdhsa_exception_fp_ieee_inexact 0
		.amdhsa_exception_int_div_zero 0
	.end_amdhsa_kernel
	.section	.text._ZN7rocprim17ROCPRIM_400000_NS6detail17trampoline_kernelINS0_14default_configENS1_29reduce_by_key_config_selectorIjxN6thrust23THRUST_200600_302600_NS4plusIxEEEEZZNS1_33reduce_by_key_impl_wrapped_configILNS1_25lookback_scan_determinismE0ES3_S9_NS6_6detail15normal_iteratorINS6_10device_ptrIjEEEENSD_INSE_IxEEEENS6_16discard_iteratorINS6_11use_defaultEEESI_PmS8_NS6_8equal_toIjEEEE10hipError_tPvRmT2_T3_mT4_T5_T6_T7_T8_P12ihipStream_tbENKUlT_T0_E_clISt17integral_constantIbLb0EES15_IbLb1EEEEDaS11_S12_EUlS11_E_NS1_11comp_targetILNS1_3genE4ELNS1_11target_archE910ELNS1_3gpuE8ELNS1_3repE0EEENS1_30default_config_static_selectorELNS0_4arch9wavefront6targetE1EEEvT1_,"axG",@progbits,_ZN7rocprim17ROCPRIM_400000_NS6detail17trampoline_kernelINS0_14default_configENS1_29reduce_by_key_config_selectorIjxN6thrust23THRUST_200600_302600_NS4plusIxEEEEZZNS1_33reduce_by_key_impl_wrapped_configILNS1_25lookback_scan_determinismE0ES3_S9_NS6_6detail15normal_iteratorINS6_10device_ptrIjEEEENSD_INSE_IxEEEENS6_16discard_iteratorINS6_11use_defaultEEESI_PmS8_NS6_8equal_toIjEEEE10hipError_tPvRmT2_T3_mT4_T5_T6_T7_T8_P12ihipStream_tbENKUlT_T0_E_clISt17integral_constantIbLb0EES15_IbLb1EEEEDaS11_S12_EUlS11_E_NS1_11comp_targetILNS1_3genE4ELNS1_11target_archE910ELNS1_3gpuE8ELNS1_3repE0EEENS1_30default_config_static_selectorELNS0_4arch9wavefront6targetE1EEEvT1_,comdat
.Lfunc_end1014:
	.size	_ZN7rocprim17ROCPRIM_400000_NS6detail17trampoline_kernelINS0_14default_configENS1_29reduce_by_key_config_selectorIjxN6thrust23THRUST_200600_302600_NS4plusIxEEEEZZNS1_33reduce_by_key_impl_wrapped_configILNS1_25lookback_scan_determinismE0ES3_S9_NS6_6detail15normal_iteratorINS6_10device_ptrIjEEEENSD_INSE_IxEEEENS6_16discard_iteratorINS6_11use_defaultEEESI_PmS8_NS6_8equal_toIjEEEE10hipError_tPvRmT2_T3_mT4_T5_T6_T7_T8_P12ihipStream_tbENKUlT_T0_E_clISt17integral_constantIbLb0EES15_IbLb1EEEEDaS11_S12_EUlS11_E_NS1_11comp_targetILNS1_3genE4ELNS1_11target_archE910ELNS1_3gpuE8ELNS1_3repE0EEENS1_30default_config_static_selectorELNS0_4arch9wavefront6targetE1EEEvT1_, .Lfunc_end1014-_ZN7rocprim17ROCPRIM_400000_NS6detail17trampoline_kernelINS0_14default_configENS1_29reduce_by_key_config_selectorIjxN6thrust23THRUST_200600_302600_NS4plusIxEEEEZZNS1_33reduce_by_key_impl_wrapped_configILNS1_25lookback_scan_determinismE0ES3_S9_NS6_6detail15normal_iteratorINS6_10device_ptrIjEEEENSD_INSE_IxEEEENS6_16discard_iteratorINS6_11use_defaultEEESI_PmS8_NS6_8equal_toIjEEEE10hipError_tPvRmT2_T3_mT4_T5_T6_T7_T8_P12ihipStream_tbENKUlT_T0_E_clISt17integral_constantIbLb0EES15_IbLb1EEEEDaS11_S12_EUlS11_E_NS1_11comp_targetILNS1_3genE4ELNS1_11target_archE910ELNS1_3gpuE8ELNS1_3repE0EEENS1_30default_config_static_selectorELNS0_4arch9wavefront6targetE1EEEvT1_
                                        ; -- End function
	.section	.AMDGPU.csdata,"",@progbits
; Kernel info:
; codeLenInByte = 15528
; NumSgprs: 67
; NumVgprs: 102
; NumAgprs: 0
; TotalNumVgprs: 102
; ScratchSize: 0
; MemoryBound: 0
; FloatMode: 240
; IeeeMode: 1
; LDSByteSize: 30720 bytes/workgroup (compile time only)
; SGPRBlocks: 8
; VGPRBlocks: 12
; NumSGPRsForWavesPerEU: 67
; NumVGPRsForWavesPerEU: 102
; AccumOffset: 104
; Occupancy: 2
; WaveLimiterHint : 1
; COMPUTE_PGM_RSRC2:SCRATCH_EN: 0
; COMPUTE_PGM_RSRC2:USER_SGPR: 6
; COMPUTE_PGM_RSRC2:TRAP_HANDLER: 0
; COMPUTE_PGM_RSRC2:TGID_X_EN: 1
; COMPUTE_PGM_RSRC2:TGID_Y_EN: 0
; COMPUTE_PGM_RSRC2:TGID_Z_EN: 0
; COMPUTE_PGM_RSRC2:TIDIG_COMP_CNT: 0
; COMPUTE_PGM_RSRC3_GFX90A:ACCUM_OFFSET: 25
; COMPUTE_PGM_RSRC3_GFX90A:TG_SPLIT: 0
	.section	.text._ZN7rocprim17ROCPRIM_400000_NS6detail17trampoline_kernelINS0_14default_configENS1_29reduce_by_key_config_selectorIjxN6thrust23THRUST_200600_302600_NS4plusIxEEEEZZNS1_33reduce_by_key_impl_wrapped_configILNS1_25lookback_scan_determinismE0ES3_S9_NS6_6detail15normal_iteratorINS6_10device_ptrIjEEEENSD_INSE_IxEEEENS6_16discard_iteratorINS6_11use_defaultEEESI_PmS8_NS6_8equal_toIjEEEE10hipError_tPvRmT2_T3_mT4_T5_T6_T7_T8_P12ihipStream_tbENKUlT_T0_E_clISt17integral_constantIbLb0EES15_IbLb1EEEEDaS11_S12_EUlS11_E_NS1_11comp_targetILNS1_3genE3ELNS1_11target_archE908ELNS1_3gpuE7ELNS1_3repE0EEENS1_30default_config_static_selectorELNS0_4arch9wavefront6targetE1EEEvT1_,"axG",@progbits,_ZN7rocprim17ROCPRIM_400000_NS6detail17trampoline_kernelINS0_14default_configENS1_29reduce_by_key_config_selectorIjxN6thrust23THRUST_200600_302600_NS4plusIxEEEEZZNS1_33reduce_by_key_impl_wrapped_configILNS1_25lookback_scan_determinismE0ES3_S9_NS6_6detail15normal_iteratorINS6_10device_ptrIjEEEENSD_INSE_IxEEEENS6_16discard_iteratorINS6_11use_defaultEEESI_PmS8_NS6_8equal_toIjEEEE10hipError_tPvRmT2_T3_mT4_T5_T6_T7_T8_P12ihipStream_tbENKUlT_T0_E_clISt17integral_constantIbLb0EES15_IbLb1EEEEDaS11_S12_EUlS11_E_NS1_11comp_targetILNS1_3genE3ELNS1_11target_archE908ELNS1_3gpuE7ELNS1_3repE0EEENS1_30default_config_static_selectorELNS0_4arch9wavefront6targetE1EEEvT1_,comdat
	.protected	_ZN7rocprim17ROCPRIM_400000_NS6detail17trampoline_kernelINS0_14default_configENS1_29reduce_by_key_config_selectorIjxN6thrust23THRUST_200600_302600_NS4plusIxEEEEZZNS1_33reduce_by_key_impl_wrapped_configILNS1_25lookback_scan_determinismE0ES3_S9_NS6_6detail15normal_iteratorINS6_10device_ptrIjEEEENSD_INSE_IxEEEENS6_16discard_iteratorINS6_11use_defaultEEESI_PmS8_NS6_8equal_toIjEEEE10hipError_tPvRmT2_T3_mT4_T5_T6_T7_T8_P12ihipStream_tbENKUlT_T0_E_clISt17integral_constantIbLb0EES15_IbLb1EEEEDaS11_S12_EUlS11_E_NS1_11comp_targetILNS1_3genE3ELNS1_11target_archE908ELNS1_3gpuE7ELNS1_3repE0EEENS1_30default_config_static_selectorELNS0_4arch9wavefront6targetE1EEEvT1_ ; -- Begin function _ZN7rocprim17ROCPRIM_400000_NS6detail17trampoline_kernelINS0_14default_configENS1_29reduce_by_key_config_selectorIjxN6thrust23THRUST_200600_302600_NS4plusIxEEEEZZNS1_33reduce_by_key_impl_wrapped_configILNS1_25lookback_scan_determinismE0ES3_S9_NS6_6detail15normal_iteratorINS6_10device_ptrIjEEEENSD_INSE_IxEEEENS6_16discard_iteratorINS6_11use_defaultEEESI_PmS8_NS6_8equal_toIjEEEE10hipError_tPvRmT2_T3_mT4_T5_T6_T7_T8_P12ihipStream_tbENKUlT_T0_E_clISt17integral_constantIbLb0EES15_IbLb1EEEEDaS11_S12_EUlS11_E_NS1_11comp_targetILNS1_3genE3ELNS1_11target_archE908ELNS1_3gpuE7ELNS1_3repE0EEENS1_30default_config_static_selectorELNS0_4arch9wavefront6targetE1EEEvT1_
	.globl	_ZN7rocprim17ROCPRIM_400000_NS6detail17trampoline_kernelINS0_14default_configENS1_29reduce_by_key_config_selectorIjxN6thrust23THRUST_200600_302600_NS4plusIxEEEEZZNS1_33reduce_by_key_impl_wrapped_configILNS1_25lookback_scan_determinismE0ES3_S9_NS6_6detail15normal_iteratorINS6_10device_ptrIjEEEENSD_INSE_IxEEEENS6_16discard_iteratorINS6_11use_defaultEEESI_PmS8_NS6_8equal_toIjEEEE10hipError_tPvRmT2_T3_mT4_T5_T6_T7_T8_P12ihipStream_tbENKUlT_T0_E_clISt17integral_constantIbLb0EES15_IbLb1EEEEDaS11_S12_EUlS11_E_NS1_11comp_targetILNS1_3genE3ELNS1_11target_archE908ELNS1_3gpuE7ELNS1_3repE0EEENS1_30default_config_static_selectorELNS0_4arch9wavefront6targetE1EEEvT1_
	.p2align	8
	.type	_ZN7rocprim17ROCPRIM_400000_NS6detail17trampoline_kernelINS0_14default_configENS1_29reduce_by_key_config_selectorIjxN6thrust23THRUST_200600_302600_NS4plusIxEEEEZZNS1_33reduce_by_key_impl_wrapped_configILNS1_25lookback_scan_determinismE0ES3_S9_NS6_6detail15normal_iteratorINS6_10device_ptrIjEEEENSD_INSE_IxEEEENS6_16discard_iteratorINS6_11use_defaultEEESI_PmS8_NS6_8equal_toIjEEEE10hipError_tPvRmT2_T3_mT4_T5_T6_T7_T8_P12ihipStream_tbENKUlT_T0_E_clISt17integral_constantIbLb0EES15_IbLb1EEEEDaS11_S12_EUlS11_E_NS1_11comp_targetILNS1_3genE3ELNS1_11target_archE908ELNS1_3gpuE7ELNS1_3repE0EEENS1_30default_config_static_selectorELNS0_4arch9wavefront6targetE1EEEvT1_,@function
_ZN7rocprim17ROCPRIM_400000_NS6detail17trampoline_kernelINS0_14default_configENS1_29reduce_by_key_config_selectorIjxN6thrust23THRUST_200600_302600_NS4plusIxEEEEZZNS1_33reduce_by_key_impl_wrapped_configILNS1_25lookback_scan_determinismE0ES3_S9_NS6_6detail15normal_iteratorINS6_10device_ptrIjEEEENSD_INSE_IxEEEENS6_16discard_iteratorINS6_11use_defaultEEESI_PmS8_NS6_8equal_toIjEEEE10hipError_tPvRmT2_T3_mT4_T5_T6_T7_T8_P12ihipStream_tbENKUlT_T0_E_clISt17integral_constantIbLb0EES15_IbLb1EEEEDaS11_S12_EUlS11_E_NS1_11comp_targetILNS1_3genE3ELNS1_11target_archE908ELNS1_3gpuE7ELNS1_3repE0EEENS1_30default_config_static_selectorELNS0_4arch9wavefront6targetE1EEEvT1_: ; @_ZN7rocprim17ROCPRIM_400000_NS6detail17trampoline_kernelINS0_14default_configENS1_29reduce_by_key_config_selectorIjxN6thrust23THRUST_200600_302600_NS4plusIxEEEEZZNS1_33reduce_by_key_impl_wrapped_configILNS1_25lookback_scan_determinismE0ES3_S9_NS6_6detail15normal_iteratorINS6_10device_ptrIjEEEENSD_INSE_IxEEEENS6_16discard_iteratorINS6_11use_defaultEEESI_PmS8_NS6_8equal_toIjEEEE10hipError_tPvRmT2_T3_mT4_T5_T6_T7_T8_P12ihipStream_tbENKUlT_T0_E_clISt17integral_constantIbLb0EES15_IbLb1EEEEDaS11_S12_EUlS11_E_NS1_11comp_targetILNS1_3genE3ELNS1_11target_archE908ELNS1_3gpuE7ELNS1_3repE0EEENS1_30default_config_static_selectorELNS0_4arch9wavefront6targetE1EEEvT1_
; %bb.0:
	.section	.rodata,"a",@progbits
	.p2align	6, 0x0
	.amdhsa_kernel _ZN7rocprim17ROCPRIM_400000_NS6detail17trampoline_kernelINS0_14default_configENS1_29reduce_by_key_config_selectorIjxN6thrust23THRUST_200600_302600_NS4plusIxEEEEZZNS1_33reduce_by_key_impl_wrapped_configILNS1_25lookback_scan_determinismE0ES3_S9_NS6_6detail15normal_iteratorINS6_10device_ptrIjEEEENSD_INSE_IxEEEENS6_16discard_iteratorINS6_11use_defaultEEESI_PmS8_NS6_8equal_toIjEEEE10hipError_tPvRmT2_T3_mT4_T5_T6_T7_T8_P12ihipStream_tbENKUlT_T0_E_clISt17integral_constantIbLb0EES15_IbLb1EEEEDaS11_S12_EUlS11_E_NS1_11comp_targetILNS1_3genE3ELNS1_11target_archE908ELNS1_3gpuE7ELNS1_3repE0EEENS1_30default_config_static_selectorELNS0_4arch9wavefront6targetE1EEEvT1_
		.amdhsa_group_segment_fixed_size 0
		.amdhsa_private_segment_fixed_size 0
		.amdhsa_kernarg_size 144
		.amdhsa_user_sgpr_count 6
		.amdhsa_user_sgpr_private_segment_buffer 1
		.amdhsa_user_sgpr_dispatch_ptr 0
		.amdhsa_user_sgpr_queue_ptr 0
		.amdhsa_user_sgpr_kernarg_segment_ptr 1
		.amdhsa_user_sgpr_dispatch_id 0
		.amdhsa_user_sgpr_flat_scratch_init 0
		.amdhsa_user_sgpr_kernarg_preload_length 0
		.amdhsa_user_sgpr_kernarg_preload_offset 0
		.amdhsa_user_sgpr_private_segment_size 0
		.amdhsa_uses_dynamic_stack 0
		.amdhsa_system_sgpr_private_segment_wavefront_offset 0
		.amdhsa_system_sgpr_workgroup_id_x 1
		.amdhsa_system_sgpr_workgroup_id_y 0
		.amdhsa_system_sgpr_workgroup_id_z 0
		.amdhsa_system_sgpr_workgroup_info 0
		.amdhsa_system_vgpr_workitem_id 0
		.amdhsa_next_free_vgpr 1
		.amdhsa_next_free_sgpr 0
		.amdhsa_accum_offset 4
		.amdhsa_reserve_vcc 0
		.amdhsa_reserve_flat_scratch 0
		.amdhsa_float_round_mode_32 0
		.amdhsa_float_round_mode_16_64 0
		.amdhsa_float_denorm_mode_32 3
		.amdhsa_float_denorm_mode_16_64 3
		.amdhsa_dx10_clamp 1
		.amdhsa_ieee_mode 1
		.amdhsa_fp16_overflow 0
		.amdhsa_tg_split 0
		.amdhsa_exception_fp_ieee_invalid_op 0
		.amdhsa_exception_fp_denorm_src 0
		.amdhsa_exception_fp_ieee_div_zero 0
		.amdhsa_exception_fp_ieee_overflow 0
		.amdhsa_exception_fp_ieee_underflow 0
		.amdhsa_exception_fp_ieee_inexact 0
		.amdhsa_exception_int_div_zero 0
	.end_amdhsa_kernel
	.section	.text._ZN7rocprim17ROCPRIM_400000_NS6detail17trampoline_kernelINS0_14default_configENS1_29reduce_by_key_config_selectorIjxN6thrust23THRUST_200600_302600_NS4plusIxEEEEZZNS1_33reduce_by_key_impl_wrapped_configILNS1_25lookback_scan_determinismE0ES3_S9_NS6_6detail15normal_iteratorINS6_10device_ptrIjEEEENSD_INSE_IxEEEENS6_16discard_iteratorINS6_11use_defaultEEESI_PmS8_NS6_8equal_toIjEEEE10hipError_tPvRmT2_T3_mT4_T5_T6_T7_T8_P12ihipStream_tbENKUlT_T0_E_clISt17integral_constantIbLb0EES15_IbLb1EEEEDaS11_S12_EUlS11_E_NS1_11comp_targetILNS1_3genE3ELNS1_11target_archE908ELNS1_3gpuE7ELNS1_3repE0EEENS1_30default_config_static_selectorELNS0_4arch9wavefront6targetE1EEEvT1_,"axG",@progbits,_ZN7rocprim17ROCPRIM_400000_NS6detail17trampoline_kernelINS0_14default_configENS1_29reduce_by_key_config_selectorIjxN6thrust23THRUST_200600_302600_NS4plusIxEEEEZZNS1_33reduce_by_key_impl_wrapped_configILNS1_25lookback_scan_determinismE0ES3_S9_NS6_6detail15normal_iteratorINS6_10device_ptrIjEEEENSD_INSE_IxEEEENS6_16discard_iteratorINS6_11use_defaultEEESI_PmS8_NS6_8equal_toIjEEEE10hipError_tPvRmT2_T3_mT4_T5_T6_T7_T8_P12ihipStream_tbENKUlT_T0_E_clISt17integral_constantIbLb0EES15_IbLb1EEEEDaS11_S12_EUlS11_E_NS1_11comp_targetILNS1_3genE3ELNS1_11target_archE908ELNS1_3gpuE7ELNS1_3repE0EEENS1_30default_config_static_selectorELNS0_4arch9wavefront6targetE1EEEvT1_,comdat
.Lfunc_end1015:
	.size	_ZN7rocprim17ROCPRIM_400000_NS6detail17trampoline_kernelINS0_14default_configENS1_29reduce_by_key_config_selectorIjxN6thrust23THRUST_200600_302600_NS4plusIxEEEEZZNS1_33reduce_by_key_impl_wrapped_configILNS1_25lookback_scan_determinismE0ES3_S9_NS6_6detail15normal_iteratorINS6_10device_ptrIjEEEENSD_INSE_IxEEEENS6_16discard_iteratorINS6_11use_defaultEEESI_PmS8_NS6_8equal_toIjEEEE10hipError_tPvRmT2_T3_mT4_T5_T6_T7_T8_P12ihipStream_tbENKUlT_T0_E_clISt17integral_constantIbLb0EES15_IbLb1EEEEDaS11_S12_EUlS11_E_NS1_11comp_targetILNS1_3genE3ELNS1_11target_archE908ELNS1_3gpuE7ELNS1_3repE0EEENS1_30default_config_static_selectorELNS0_4arch9wavefront6targetE1EEEvT1_, .Lfunc_end1015-_ZN7rocprim17ROCPRIM_400000_NS6detail17trampoline_kernelINS0_14default_configENS1_29reduce_by_key_config_selectorIjxN6thrust23THRUST_200600_302600_NS4plusIxEEEEZZNS1_33reduce_by_key_impl_wrapped_configILNS1_25lookback_scan_determinismE0ES3_S9_NS6_6detail15normal_iteratorINS6_10device_ptrIjEEEENSD_INSE_IxEEEENS6_16discard_iteratorINS6_11use_defaultEEESI_PmS8_NS6_8equal_toIjEEEE10hipError_tPvRmT2_T3_mT4_T5_T6_T7_T8_P12ihipStream_tbENKUlT_T0_E_clISt17integral_constantIbLb0EES15_IbLb1EEEEDaS11_S12_EUlS11_E_NS1_11comp_targetILNS1_3genE3ELNS1_11target_archE908ELNS1_3gpuE7ELNS1_3repE0EEENS1_30default_config_static_selectorELNS0_4arch9wavefront6targetE1EEEvT1_
                                        ; -- End function
	.section	.AMDGPU.csdata,"",@progbits
; Kernel info:
; codeLenInByte = 0
; NumSgprs: 4
; NumVgprs: 0
; NumAgprs: 0
; TotalNumVgprs: 0
; ScratchSize: 0
; MemoryBound: 0
; FloatMode: 240
; IeeeMode: 1
; LDSByteSize: 0 bytes/workgroup (compile time only)
; SGPRBlocks: 0
; VGPRBlocks: 0
; NumSGPRsForWavesPerEU: 4
; NumVGPRsForWavesPerEU: 1
; AccumOffset: 4
; Occupancy: 8
; WaveLimiterHint : 0
; COMPUTE_PGM_RSRC2:SCRATCH_EN: 0
; COMPUTE_PGM_RSRC2:USER_SGPR: 6
; COMPUTE_PGM_RSRC2:TRAP_HANDLER: 0
; COMPUTE_PGM_RSRC2:TGID_X_EN: 1
; COMPUTE_PGM_RSRC2:TGID_Y_EN: 0
; COMPUTE_PGM_RSRC2:TGID_Z_EN: 0
; COMPUTE_PGM_RSRC2:TIDIG_COMP_CNT: 0
; COMPUTE_PGM_RSRC3_GFX90A:ACCUM_OFFSET: 0
; COMPUTE_PGM_RSRC3_GFX90A:TG_SPLIT: 0
	.section	.text._ZN7rocprim17ROCPRIM_400000_NS6detail17trampoline_kernelINS0_14default_configENS1_29reduce_by_key_config_selectorIjxN6thrust23THRUST_200600_302600_NS4plusIxEEEEZZNS1_33reduce_by_key_impl_wrapped_configILNS1_25lookback_scan_determinismE0ES3_S9_NS6_6detail15normal_iteratorINS6_10device_ptrIjEEEENSD_INSE_IxEEEENS6_16discard_iteratorINS6_11use_defaultEEESI_PmS8_NS6_8equal_toIjEEEE10hipError_tPvRmT2_T3_mT4_T5_T6_T7_T8_P12ihipStream_tbENKUlT_T0_E_clISt17integral_constantIbLb0EES15_IbLb1EEEEDaS11_S12_EUlS11_E_NS1_11comp_targetILNS1_3genE2ELNS1_11target_archE906ELNS1_3gpuE6ELNS1_3repE0EEENS1_30default_config_static_selectorELNS0_4arch9wavefront6targetE1EEEvT1_,"axG",@progbits,_ZN7rocprim17ROCPRIM_400000_NS6detail17trampoline_kernelINS0_14default_configENS1_29reduce_by_key_config_selectorIjxN6thrust23THRUST_200600_302600_NS4plusIxEEEEZZNS1_33reduce_by_key_impl_wrapped_configILNS1_25lookback_scan_determinismE0ES3_S9_NS6_6detail15normal_iteratorINS6_10device_ptrIjEEEENSD_INSE_IxEEEENS6_16discard_iteratorINS6_11use_defaultEEESI_PmS8_NS6_8equal_toIjEEEE10hipError_tPvRmT2_T3_mT4_T5_T6_T7_T8_P12ihipStream_tbENKUlT_T0_E_clISt17integral_constantIbLb0EES15_IbLb1EEEEDaS11_S12_EUlS11_E_NS1_11comp_targetILNS1_3genE2ELNS1_11target_archE906ELNS1_3gpuE6ELNS1_3repE0EEENS1_30default_config_static_selectorELNS0_4arch9wavefront6targetE1EEEvT1_,comdat
	.protected	_ZN7rocprim17ROCPRIM_400000_NS6detail17trampoline_kernelINS0_14default_configENS1_29reduce_by_key_config_selectorIjxN6thrust23THRUST_200600_302600_NS4plusIxEEEEZZNS1_33reduce_by_key_impl_wrapped_configILNS1_25lookback_scan_determinismE0ES3_S9_NS6_6detail15normal_iteratorINS6_10device_ptrIjEEEENSD_INSE_IxEEEENS6_16discard_iteratorINS6_11use_defaultEEESI_PmS8_NS6_8equal_toIjEEEE10hipError_tPvRmT2_T3_mT4_T5_T6_T7_T8_P12ihipStream_tbENKUlT_T0_E_clISt17integral_constantIbLb0EES15_IbLb1EEEEDaS11_S12_EUlS11_E_NS1_11comp_targetILNS1_3genE2ELNS1_11target_archE906ELNS1_3gpuE6ELNS1_3repE0EEENS1_30default_config_static_selectorELNS0_4arch9wavefront6targetE1EEEvT1_ ; -- Begin function _ZN7rocprim17ROCPRIM_400000_NS6detail17trampoline_kernelINS0_14default_configENS1_29reduce_by_key_config_selectorIjxN6thrust23THRUST_200600_302600_NS4plusIxEEEEZZNS1_33reduce_by_key_impl_wrapped_configILNS1_25lookback_scan_determinismE0ES3_S9_NS6_6detail15normal_iteratorINS6_10device_ptrIjEEEENSD_INSE_IxEEEENS6_16discard_iteratorINS6_11use_defaultEEESI_PmS8_NS6_8equal_toIjEEEE10hipError_tPvRmT2_T3_mT4_T5_T6_T7_T8_P12ihipStream_tbENKUlT_T0_E_clISt17integral_constantIbLb0EES15_IbLb1EEEEDaS11_S12_EUlS11_E_NS1_11comp_targetILNS1_3genE2ELNS1_11target_archE906ELNS1_3gpuE6ELNS1_3repE0EEENS1_30default_config_static_selectorELNS0_4arch9wavefront6targetE1EEEvT1_
	.globl	_ZN7rocprim17ROCPRIM_400000_NS6detail17trampoline_kernelINS0_14default_configENS1_29reduce_by_key_config_selectorIjxN6thrust23THRUST_200600_302600_NS4plusIxEEEEZZNS1_33reduce_by_key_impl_wrapped_configILNS1_25lookback_scan_determinismE0ES3_S9_NS6_6detail15normal_iteratorINS6_10device_ptrIjEEEENSD_INSE_IxEEEENS6_16discard_iteratorINS6_11use_defaultEEESI_PmS8_NS6_8equal_toIjEEEE10hipError_tPvRmT2_T3_mT4_T5_T6_T7_T8_P12ihipStream_tbENKUlT_T0_E_clISt17integral_constantIbLb0EES15_IbLb1EEEEDaS11_S12_EUlS11_E_NS1_11comp_targetILNS1_3genE2ELNS1_11target_archE906ELNS1_3gpuE6ELNS1_3repE0EEENS1_30default_config_static_selectorELNS0_4arch9wavefront6targetE1EEEvT1_
	.p2align	8
	.type	_ZN7rocprim17ROCPRIM_400000_NS6detail17trampoline_kernelINS0_14default_configENS1_29reduce_by_key_config_selectorIjxN6thrust23THRUST_200600_302600_NS4plusIxEEEEZZNS1_33reduce_by_key_impl_wrapped_configILNS1_25lookback_scan_determinismE0ES3_S9_NS6_6detail15normal_iteratorINS6_10device_ptrIjEEEENSD_INSE_IxEEEENS6_16discard_iteratorINS6_11use_defaultEEESI_PmS8_NS6_8equal_toIjEEEE10hipError_tPvRmT2_T3_mT4_T5_T6_T7_T8_P12ihipStream_tbENKUlT_T0_E_clISt17integral_constantIbLb0EES15_IbLb1EEEEDaS11_S12_EUlS11_E_NS1_11comp_targetILNS1_3genE2ELNS1_11target_archE906ELNS1_3gpuE6ELNS1_3repE0EEENS1_30default_config_static_selectorELNS0_4arch9wavefront6targetE1EEEvT1_,@function
_ZN7rocprim17ROCPRIM_400000_NS6detail17trampoline_kernelINS0_14default_configENS1_29reduce_by_key_config_selectorIjxN6thrust23THRUST_200600_302600_NS4plusIxEEEEZZNS1_33reduce_by_key_impl_wrapped_configILNS1_25lookback_scan_determinismE0ES3_S9_NS6_6detail15normal_iteratorINS6_10device_ptrIjEEEENSD_INSE_IxEEEENS6_16discard_iteratorINS6_11use_defaultEEESI_PmS8_NS6_8equal_toIjEEEE10hipError_tPvRmT2_T3_mT4_T5_T6_T7_T8_P12ihipStream_tbENKUlT_T0_E_clISt17integral_constantIbLb0EES15_IbLb1EEEEDaS11_S12_EUlS11_E_NS1_11comp_targetILNS1_3genE2ELNS1_11target_archE906ELNS1_3gpuE6ELNS1_3repE0EEENS1_30default_config_static_selectorELNS0_4arch9wavefront6targetE1EEEvT1_: ; @_ZN7rocprim17ROCPRIM_400000_NS6detail17trampoline_kernelINS0_14default_configENS1_29reduce_by_key_config_selectorIjxN6thrust23THRUST_200600_302600_NS4plusIxEEEEZZNS1_33reduce_by_key_impl_wrapped_configILNS1_25lookback_scan_determinismE0ES3_S9_NS6_6detail15normal_iteratorINS6_10device_ptrIjEEEENSD_INSE_IxEEEENS6_16discard_iteratorINS6_11use_defaultEEESI_PmS8_NS6_8equal_toIjEEEE10hipError_tPvRmT2_T3_mT4_T5_T6_T7_T8_P12ihipStream_tbENKUlT_T0_E_clISt17integral_constantIbLb0EES15_IbLb1EEEEDaS11_S12_EUlS11_E_NS1_11comp_targetILNS1_3genE2ELNS1_11target_archE906ELNS1_3gpuE6ELNS1_3repE0EEENS1_30default_config_static_selectorELNS0_4arch9wavefront6targetE1EEEvT1_
; %bb.0:
	.section	.rodata,"a",@progbits
	.p2align	6, 0x0
	.amdhsa_kernel _ZN7rocprim17ROCPRIM_400000_NS6detail17trampoline_kernelINS0_14default_configENS1_29reduce_by_key_config_selectorIjxN6thrust23THRUST_200600_302600_NS4plusIxEEEEZZNS1_33reduce_by_key_impl_wrapped_configILNS1_25lookback_scan_determinismE0ES3_S9_NS6_6detail15normal_iteratorINS6_10device_ptrIjEEEENSD_INSE_IxEEEENS6_16discard_iteratorINS6_11use_defaultEEESI_PmS8_NS6_8equal_toIjEEEE10hipError_tPvRmT2_T3_mT4_T5_T6_T7_T8_P12ihipStream_tbENKUlT_T0_E_clISt17integral_constantIbLb0EES15_IbLb1EEEEDaS11_S12_EUlS11_E_NS1_11comp_targetILNS1_3genE2ELNS1_11target_archE906ELNS1_3gpuE6ELNS1_3repE0EEENS1_30default_config_static_selectorELNS0_4arch9wavefront6targetE1EEEvT1_
		.amdhsa_group_segment_fixed_size 0
		.amdhsa_private_segment_fixed_size 0
		.amdhsa_kernarg_size 144
		.amdhsa_user_sgpr_count 6
		.amdhsa_user_sgpr_private_segment_buffer 1
		.amdhsa_user_sgpr_dispatch_ptr 0
		.amdhsa_user_sgpr_queue_ptr 0
		.amdhsa_user_sgpr_kernarg_segment_ptr 1
		.amdhsa_user_sgpr_dispatch_id 0
		.amdhsa_user_sgpr_flat_scratch_init 0
		.amdhsa_user_sgpr_kernarg_preload_length 0
		.amdhsa_user_sgpr_kernarg_preload_offset 0
		.amdhsa_user_sgpr_private_segment_size 0
		.amdhsa_uses_dynamic_stack 0
		.amdhsa_system_sgpr_private_segment_wavefront_offset 0
		.amdhsa_system_sgpr_workgroup_id_x 1
		.amdhsa_system_sgpr_workgroup_id_y 0
		.amdhsa_system_sgpr_workgroup_id_z 0
		.amdhsa_system_sgpr_workgroup_info 0
		.amdhsa_system_vgpr_workitem_id 0
		.amdhsa_next_free_vgpr 1
		.amdhsa_next_free_sgpr 0
		.amdhsa_accum_offset 4
		.amdhsa_reserve_vcc 0
		.amdhsa_reserve_flat_scratch 0
		.amdhsa_float_round_mode_32 0
		.amdhsa_float_round_mode_16_64 0
		.amdhsa_float_denorm_mode_32 3
		.amdhsa_float_denorm_mode_16_64 3
		.amdhsa_dx10_clamp 1
		.amdhsa_ieee_mode 1
		.amdhsa_fp16_overflow 0
		.amdhsa_tg_split 0
		.amdhsa_exception_fp_ieee_invalid_op 0
		.amdhsa_exception_fp_denorm_src 0
		.amdhsa_exception_fp_ieee_div_zero 0
		.amdhsa_exception_fp_ieee_overflow 0
		.amdhsa_exception_fp_ieee_underflow 0
		.amdhsa_exception_fp_ieee_inexact 0
		.amdhsa_exception_int_div_zero 0
	.end_amdhsa_kernel
	.section	.text._ZN7rocprim17ROCPRIM_400000_NS6detail17trampoline_kernelINS0_14default_configENS1_29reduce_by_key_config_selectorIjxN6thrust23THRUST_200600_302600_NS4plusIxEEEEZZNS1_33reduce_by_key_impl_wrapped_configILNS1_25lookback_scan_determinismE0ES3_S9_NS6_6detail15normal_iteratorINS6_10device_ptrIjEEEENSD_INSE_IxEEEENS6_16discard_iteratorINS6_11use_defaultEEESI_PmS8_NS6_8equal_toIjEEEE10hipError_tPvRmT2_T3_mT4_T5_T6_T7_T8_P12ihipStream_tbENKUlT_T0_E_clISt17integral_constantIbLb0EES15_IbLb1EEEEDaS11_S12_EUlS11_E_NS1_11comp_targetILNS1_3genE2ELNS1_11target_archE906ELNS1_3gpuE6ELNS1_3repE0EEENS1_30default_config_static_selectorELNS0_4arch9wavefront6targetE1EEEvT1_,"axG",@progbits,_ZN7rocprim17ROCPRIM_400000_NS6detail17trampoline_kernelINS0_14default_configENS1_29reduce_by_key_config_selectorIjxN6thrust23THRUST_200600_302600_NS4plusIxEEEEZZNS1_33reduce_by_key_impl_wrapped_configILNS1_25lookback_scan_determinismE0ES3_S9_NS6_6detail15normal_iteratorINS6_10device_ptrIjEEEENSD_INSE_IxEEEENS6_16discard_iteratorINS6_11use_defaultEEESI_PmS8_NS6_8equal_toIjEEEE10hipError_tPvRmT2_T3_mT4_T5_T6_T7_T8_P12ihipStream_tbENKUlT_T0_E_clISt17integral_constantIbLb0EES15_IbLb1EEEEDaS11_S12_EUlS11_E_NS1_11comp_targetILNS1_3genE2ELNS1_11target_archE906ELNS1_3gpuE6ELNS1_3repE0EEENS1_30default_config_static_selectorELNS0_4arch9wavefront6targetE1EEEvT1_,comdat
.Lfunc_end1016:
	.size	_ZN7rocprim17ROCPRIM_400000_NS6detail17trampoline_kernelINS0_14default_configENS1_29reduce_by_key_config_selectorIjxN6thrust23THRUST_200600_302600_NS4plusIxEEEEZZNS1_33reduce_by_key_impl_wrapped_configILNS1_25lookback_scan_determinismE0ES3_S9_NS6_6detail15normal_iteratorINS6_10device_ptrIjEEEENSD_INSE_IxEEEENS6_16discard_iteratorINS6_11use_defaultEEESI_PmS8_NS6_8equal_toIjEEEE10hipError_tPvRmT2_T3_mT4_T5_T6_T7_T8_P12ihipStream_tbENKUlT_T0_E_clISt17integral_constantIbLb0EES15_IbLb1EEEEDaS11_S12_EUlS11_E_NS1_11comp_targetILNS1_3genE2ELNS1_11target_archE906ELNS1_3gpuE6ELNS1_3repE0EEENS1_30default_config_static_selectorELNS0_4arch9wavefront6targetE1EEEvT1_, .Lfunc_end1016-_ZN7rocprim17ROCPRIM_400000_NS6detail17trampoline_kernelINS0_14default_configENS1_29reduce_by_key_config_selectorIjxN6thrust23THRUST_200600_302600_NS4plusIxEEEEZZNS1_33reduce_by_key_impl_wrapped_configILNS1_25lookback_scan_determinismE0ES3_S9_NS6_6detail15normal_iteratorINS6_10device_ptrIjEEEENSD_INSE_IxEEEENS6_16discard_iteratorINS6_11use_defaultEEESI_PmS8_NS6_8equal_toIjEEEE10hipError_tPvRmT2_T3_mT4_T5_T6_T7_T8_P12ihipStream_tbENKUlT_T0_E_clISt17integral_constantIbLb0EES15_IbLb1EEEEDaS11_S12_EUlS11_E_NS1_11comp_targetILNS1_3genE2ELNS1_11target_archE906ELNS1_3gpuE6ELNS1_3repE0EEENS1_30default_config_static_selectorELNS0_4arch9wavefront6targetE1EEEvT1_
                                        ; -- End function
	.section	.AMDGPU.csdata,"",@progbits
; Kernel info:
; codeLenInByte = 0
; NumSgprs: 4
; NumVgprs: 0
; NumAgprs: 0
; TotalNumVgprs: 0
; ScratchSize: 0
; MemoryBound: 0
; FloatMode: 240
; IeeeMode: 1
; LDSByteSize: 0 bytes/workgroup (compile time only)
; SGPRBlocks: 0
; VGPRBlocks: 0
; NumSGPRsForWavesPerEU: 4
; NumVGPRsForWavesPerEU: 1
; AccumOffset: 4
; Occupancy: 8
; WaveLimiterHint : 0
; COMPUTE_PGM_RSRC2:SCRATCH_EN: 0
; COMPUTE_PGM_RSRC2:USER_SGPR: 6
; COMPUTE_PGM_RSRC2:TRAP_HANDLER: 0
; COMPUTE_PGM_RSRC2:TGID_X_EN: 1
; COMPUTE_PGM_RSRC2:TGID_Y_EN: 0
; COMPUTE_PGM_RSRC2:TGID_Z_EN: 0
; COMPUTE_PGM_RSRC2:TIDIG_COMP_CNT: 0
; COMPUTE_PGM_RSRC3_GFX90A:ACCUM_OFFSET: 0
; COMPUTE_PGM_RSRC3_GFX90A:TG_SPLIT: 0
	.section	.text._ZN7rocprim17ROCPRIM_400000_NS6detail17trampoline_kernelINS0_14default_configENS1_29reduce_by_key_config_selectorIjxN6thrust23THRUST_200600_302600_NS4plusIxEEEEZZNS1_33reduce_by_key_impl_wrapped_configILNS1_25lookback_scan_determinismE0ES3_S9_NS6_6detail15normal_iteratorINS6_10device_ptrIjEEEENSD_INSE_IxEEEENS6_16discard_iteratorINS6_11use_defaultEEESI_PmS8_NS6_8equal_toIjEEEE10hipError_tPvRmT2_T3_mT4_T5_T6_T7_T8_P12ihipStream_tbENKUlT_T0_E_clISt17integral_constantIbLb0EES15_IbLb1EEEEDaS11_S12_EUlS11_E_NS1_11comp_targetILNS1_3genE10ELNS1_11target_archE1201ELNS1_3gpuE5ELNS1_3repE0EEENS1_30default_config_static_selectorELNS0_4arch9wavefront6targetE1EEEvT1_,"axG",@progbits,_ZN7rocprim17ROCPRIM_400000_NS6detail17trampoline_kernelINS0_14default_configENS1_29reduce_by_key_config_selectorIjxN6thrust23THRUST_200600_302600_NS4plusIxEEEEZZNS1_33reduce_by_key_impl_wrapped_configILNS1_25lookback_scan_determinismE0ES3_S9_NS6_6detail15normal_iteratorINS6_10device_ptrIjEEEENSD_INSE_IxEEEENS6_16discard_iteratorINS6_11use_defaultEEESI_PmS8_NS6_8equal_toIjEEEE10hipError_tPvRmT2_T3_mT4_T5_T6_T7_T8_P12ihipStream_tbENKUlT_T0_E_clISt17integral_constantIbLb0EES15_IbLb1EEEEDaS11_S12_EUlS11_E_NS1_11comp_targetILNS1_3genE10ELNS1_11target_archE1201ELNS1_3gpuE5ELNS1_3repE0EEENS1_30default_config_static_selectorELNS0_4arch9wavefront6targetE1EEEvT1_,comdat
	.protected	_ZN7rocprim17ROCPRIM_400000_NS6detail17trampoline_kernelINS0_14default_configENS1_29reduce_by_key_config_selectorIjxN6thrust23THRUST_200600_302600_NS4plusIxEEEEZZNS1_33reduce_by_key_impl_wrapped_configILNS1_25lookback_scan_determinismE0ES3_S9_NS6_6detail15normal_iteratorINS6_10device_ptrIjEEEENSD_INSE_IxEEEENS6_16discard_iteratorINS6_11use_defaultEEESI_PmS8_NS6_8equal_toIjEEEE10hipError_tPvRmT2_T3_mT4_T5_T6_T7_T8_P12ihipStream_tbENKUlT_T0_E_clISt17integral_constantIbLb0EES15_IbLb1EEEEDaS11_S12_EUlS11_E_NS1_11comp_targetILNS1_3genE10ELNS1_11target_archE1201ELNS1_3gpuE5ELNS1_3repE0EEENS1_30default_config_static_selectorELNS0_4arch9wavefront6targetE1EEEvT1_ ; -- Begin function _ZN7rocprim17ROCPRIM_400000_NS6detail17trampoline_kernelINS0_14default_configENS1_29reduce_by_key_config_selectorIjxN6thrust23THRUST_200600_302600_NS4plusIxEEEEZZNS1_33reduce_by_key_impl_wrapped_configILNS1_25lookback_scan_determinismE0ES3_S9_NS6_6detail15normal_iteratorINS6_10device_ptrIjEEEENSD_INSE_IxEEEENS6_16discard_iteratorINS6_11use_defaultEEESI_PmS8_NS6_8equal_toIjEEEE10hipError_tPvRmT2_T3_mT4_T5_T6_T7_T8_P12ihipStream_tbENKUlT_T0_E_clISt17integral_constantIbLb0EES15_IbLb1EEEEDaS11_S12_EUlS11_E_NS1_11comp_targetILNS1_3genE10ELNS1_11target_archE1201ELNS1_3gpuE5ELNS1_3repE0EEENS1_30default_config_static_selectorELNS0_4arch9wavefront6targetE1EEEvT1_
	.globl	_ZN7rocprim17ROCPRIM_400000_NS6detail17trampoline_kernelINS0_14default_configENS1_29reduce_by_key_config_selectorIjxN6thrust23THRUST_200600_302600_NS4plusIxEEEEZZNS1_33reduce_by_key_impl_wrapped_configILNS1_25lookback_scan_determinismE0ES3_S9_NS6_6detail15normal_iteratorINS6_10device_ptrIjEEEENSD_INSE_IxEEEENS6_16discard_iteratorINS6_11use_defaultEEESI_PmS8_NS6_8equal_toIjEEEE10hipError_tPvRmT2_T3_mT4_T5_T6_T7_T8_P12ihipStream_tbENKUlT_T0_E_clISt17integral_constantIbLb0EES15_IbLb1EEEEDaS11_S12_EUlS11_E_NS1_11comp_targetILNS1_3genE10ELNS1_11target_archE1201ELNS1_3gpuE5ELNS1_3repE0EEENS1_30default_config_static_selectorELNS0_4arch9wavefront6targetE1EEEvT1_
	.p2align	8
	.type	_ZN7rocprim17ROCPRIM_400000_NS6detail17trampoline_kernelINS0_14default_configENS1_29reduce_by_key_config_selectorIjxN6thrust23THRUST_200600_302600_NS4plusIxEEEEZZNS1_33reduce_by_key_impl_wrapped_configILNS1_25lookback_scan_determinismE0ES3_S9_NS6_6detail15normal_iteratorINS6_10device_ptrIjEEEENSD_INSE_IxEEEENS6_16discard_iteratorINS6_11use_defaultEEESI_PmS8_NS6_8equal_toIjEEEE10hipError_tPvRmT2_T3_mT4_T5_T6_T7_T8_P12ihipStream_tbENKUlT_T0_E_clISt17integral_constantIbLb0EES15_IbLb1EEEEDaS11_S12_EUlS11_E_NS1_11comp_targetILNS1_3genE10ELNS1_11target_archE1201ELNS1_3gpuE5ELNS1_3repE0EEENS1_30default_config_static_selectorELNS0_4arch9wavefront6targetE1EEEvT1_,@function
_ZN7rocprim17ROCPRIM_400000_NS6detail17trampoline_kernelINS0_14default_configENS1_29reduce_by_key_config_selectorIjxN6thrust23THRUST_200600_302600_NS4plusIxEEEEZZNS1_33reduce_by_key_impl_wrapped_configILNS1_25lookback_scan_determinismE0ES3_S9_NS6_6detail15normal_iteratorINS6_10device_ptrIjEEEENSD_INSE_IxEEEENS6_16discard_iteratorINS6_11use_defaultEEESI_PmS8_NS6_8equal_toIjEEEE10hipError_tPvRmT2_T3_mT4_T5_T6_T7_T8_P12ihipStream_tbENKUlT_T0_E_clISt17integral_constantIbLb0EES15_IbLb1EEEEDaS11_S12_EUlS11_E_NS1_11comp_targetILNS1_3genE10ELNS1_11target_archE1201ELNS1_3gpuE5ELNS1_3repE0EEENS1_30default_config_static_selectorELNS0_4arch9wavefront6targetE1EEEvT1_: ; @_ZN7rocprim17ROCPRIM_400000_NS6detail17trampoline_kernelINS0_14default_configENS1_29reduce_by_key_config_selectorIjxN6thrust23THRUST_200600_302600_NS4plusIxEEEEZZNS1_33reduce_by_key_impl_wrapped_configILNS1_25lookback_scan_determinismE0ES3_S9_NS6_6detail15normal_iteratorINS6_10device_ptrIjEEEENSD_INSE_IxEEEENS6_16discard_iteratorINS6_11use_defaultEEESI_PmS8_NS6_8equal_toIjEEEE10hipError_tPvRmT2_T3_mT4_T5_T6_T7_T8_P12ihipStream_tbENKUlT_T0_E_clISt17integral_constantIbLb0EES15_IbLb1EEEEDaS11_S12_EUlS11_E_NS1_11comp_targetILNS1_3genE10ELNS1_11target_archE1201ELNS1_3gpuE5ELNS1_3repE0EEENS1_30default_config_static_selectorELNS0_4arch9wavefront6targetE1EEEvT1_
; %bb.0:
	.section	.rodata,"a",@progbits
	.p2align	6, 0x0
	.amdhsa_kernel _ZN7rocprim17ROCPRIM_400000_NS6detail17trampoline_kernelINS0_14default_configENS1_29reduce_by_key_config_selectorIjxN6thrust23THRUST_200600_302600_NS4plusIxEEEEZZNS1_33reduce_by_key_impl_wrapped_configILNS1_25lookback_scan_determinismE0ES3_S9_NS6_6detail15normal_iteratorINS6_10device_ptrIjEEEENSD_INSE_IxEEEENS6_16discard_iteratorINS6_11use_defaultEEESI_PmS8_NS6_8equal_toIjEEEE10hipError_tPvRmT2_T3_mT4_T5_T6_T7_T8_P12ihipStream_tbENKUlT_T0_E_clISt17integral_constantIbLb0EES15_IbLb1EEEEDaS11_S12_EUlS11_E_NS1_11comp_targetILNS1_3genE10ELNS1_11target_archE1201ELNS1_3gpuE5ELNS1_3repE0EEENS1_30default_config_static_selectorELNS0_4arch9wavefront6targetE1EEEvT1_
		.amdhsa_group_segment_fixed_size 0
		.amdhsa_private_segment_fixed_size 0
		.amdhsa_kernarg_size 144
		.amdhsa_user_sgpr_count 6
		.amdhsa_user_sgpr_private_segment_buffer 1
		.amdhsa_user_sgpr_dispatch_ptr 0
		.amdhsa_user_sgpr_queue_ptr 0
		.amdhsa_user_sgpr_kernarg_segment_ptr 1
		.amdhsa_user_sgpr_dispatch_id 0
		.amdhsa_user_sgpr_flat_scratch_init 0
		.amdhsa_user_sgpr_kernarg_preload_length 0
		.amdhsa_user_sgpr_kernarg_preload_offset 0
		.amdhsa_user_sgpr_private_segment_size 0
		.amdhsa_uses_dynamic_stack 0
		.amdhsa_system_sgpr_private_segment_wavefront_offset 0
		.amdhsa_system_sgpr_workgroup_id_x 1
		.amdhsa_system_sgpr_workgroup_id_y 0
		.amdhsa_system_sgpr_workgroup_id_z 0
		.amdhsa_system_sgpr_workgroup_info 0
		.amdhsa_system_vgpr_workitem_id 0
		.amdhsa_next_free_vgpr 1
		.amdhsa_next_free_sgpr 0
		.amdhsa_accum_offset 4
		.amdhsa_reserve_vcc 0
		.amdhsa_reserve_flat_scratch 0
		.amdhsa_float_round_mode_32 0
		.amdhsa_float_round_mode_16_64 0
		.amdhsa_float_denorm_mode_32 3
		.amdhsa_float_denorm_mode_16_64 3
		.amdhsa_dx10_clamp 1
		.amdhsa_ieee_mode 1
		.amdhsa_fp16_overflow 0
		.amdhsa_tg_split 0
		.amdhsa_exception_fp_ieee_invalid_op 0
		.amdhsa_exception_fp_denorm_src 0
		.amdhsa_exception_fp_ieee_div_zero 0
		.amdhsa_exception_fp_ieee_overflow 0
		.amdhsa_exception_fp_ieee_underflow 0
		.amdhsa_exception_fp_ieee_inexact 0
		.amdhsa_exception_int_div_zero 0
	.end_amdhsa_kernel
	.section	.text._ZN7rocprim17ROCPRIM_400000_NS6detail17trampoline_kernelINS0_14default_configENS1_29reduce_by_key_config_selectorIjxN6thrust23THRUST_200600_302600_NS4plusIxEEEEZZNS1_33reduce_by_key_impl_wrapped_configILNS1_25lookback_scan_determinismE0ES3_S9_NS6_6detail15normal_iteratorINS6_10device_ptrIjEEEENSD_INSE_IxEEEENS6_16discard_iteratorINS6_11use_defaultEEESI_PmS8_NS6_8equal_toIjEEEE10hipError_tPvRmT2_T3_mT4_T5_T6_T7_T8_P12ihipStream_tbENKUlT_T0_E_clISt17integral_constantIbLb0EES15_IbLb1EEEEDaS11_S12_EUlS11_E_NS1_11comp_targetILNS1_3genE10ELNS1_11target_archE1201ELNS1_3gpuE5ELNS1_3repE0EEENS1_30default_config_static_selectorELNS0_4arch9wavefront6targetE1EEEvT1_,"axG",@progbits,_ZN7rocprim17ROCPRIM_400000_NS6detail17trampoline_kernelINS0_14default_configENS1_29reduce_by_key_config_selectorIjxN6thrust23THRUST_200600_302600_NS4plusIxEEEEZZNS1_33reduce_by_key_impl_wrapped_configILNS1_25lookback_scan_determinismE0ES3_S9_NS6_6detail15normal_iteratorINS6_10device_ptrIjEEEENSD_INSE_IxEEEENS6_16discard_iteratorINS6_11use_defaultEEESI_PmS8_NS6_8equal_toIjEEEE10hipError_tPvRmT2_T3_mT4_T5_T6_T7_T8_P12ihipStream_tbENKUlT_T0_E_clISt17integral_constantIbLb0EES15_IbLb1EEEEDaS11_S12_EUlS11_E_NS1_11comp_targetILNS1_3genE10ELNS1_11target_archE1201ELNS1_3gpuE5ELNS1_3repE0EEENS1_30default_config_static_selectorELNS0_4arch9wavefront6targetE1EEEvT1_,comdat
.Lfunc_end1017:
	.size	_ZN7rocprim17ROCPRIM_400000_NS6detail17trampoline_kernelINS0_14default_configENS1_29reduce_by_key_config_selectorIjxN6thrust23THRUST_200600_302600_NS4plusIxEEEEZZNS1_33reduce_by_key_impl_wrapped_configILNS1_25lookback_scan_determinismE0ES3_S9_NS6_6detail15normal_iteratorINS6_10device_ptrIjEEEENSD_INSE_IxEEEENS6_16discard_iteratorINS6_11use_defaultEEESI_PmS8_NS6_8equal_toIjEEEE10hipError_tPvRmT2_T3_mT4_T5_T6_T7_T8_P12ihipStream_tbENKUlT_T0_E_clISt17integral_constantIbLb0EES15_IbLb1EEEEDaS11_S12_EUlS11_E_NS1_11comp_targetILNS1_3genE10ELNS1_11target_archE1201ELNS1_3gpuE5ELNS1_3repE0EEENS1_30default_config_static_selectorELNS0_4arch9wavefront6targetE1EEEvT1_, .Lfunc_end1017-_ZN7rocprim17ROCPRIM_400000_NS6detail17trampoline_kernelINS0_14default_configENS1_29reduce_by_key_config_selectorIjxN6thrust23THRUST_200600_302600_NS4plusIxEEEEZZNS1_33reduce_by_key_impl_wrapped_configILNS1_25lookback_scan_determinismE0ES3_S9_NS6_6detail15normal_iteratorINS6_10device_ptrIjEEEENSD_INSE_IxEEEENS6_16discard_iteratorINS6_11use_defaultEEESI_PmS8_NS6_8equal_toIjEEEE10hipError_tPvRmT2_T3_mT4_T5_T6_T7_T8_P12ihipStream_tbENKUlT_T0_E_clISt17integral_constantIbLb0EES15_IbLb1EEEEDaS11_S12_EUlS11_E_NS1_11comp_targetILNS1_3genE10ELNS1_11target_archE1201ELNS1_3gpuE5ELNS1_3repE0EEENS1_30default_config_static_selectorELNS0_4arch9wavefront6targetE1EEEvT1_
                                        ; -- End function
	.section	.AMDGPU.csdata,"",@progbits
; Kernel info:
; codeLenInByte = 0
; NumSgprs: 4
; NumVgprs: 0
; NumAgprs: 0
; TotalNumVgprs: 0
; ScratchSize: 0
; MemoryBound: 0
; FloatMode: 240
; IeeeMode: 1
; LDSByteSize: 0 bytes/workgroup (compile time only)
; SGPRBlocks: 0
; VGPRBlocks: 0
; NumSGPRsForWavesPerEU: 4
; NumVGPRsForWavesPerEU: 1
; AccumOffset: 4
; Occupancy: 8
; WaveLimiterHint : 0
; COMPUTE_PGM_RSRC2:SCRATCH_EN: 0
; COMPUTE_PGM_RSRC2:USER_SGPR: 6
; COMPUTE_PGM_RSRC2:TRAP_HANDLER: 0
; COMPUTE_PGM_RSRC2:TGID_X_EN: 1
; COMPUTE_PGM_RSRC2:TGID_Y_EN: 0
; COMPUTE_PGM_RSRC2:TGID_Z_EN: 0
; COMPUTE_PGM_RSRC2:TIDIG_COMP_CNT: 0
; COMPUTE_PGM_RSRC3_GFX90A:ACCUM_OFFSET: 0
; COMPUTE_PGM_RSRC3_GFX90A:TG_SPLIT: 0
	.section	.text._ZN7rocprim17ROCPRIM_400000_NS6detail17trampoline_kernelINS0_14default_configENS1_29reduce_by_key_config_selectorIjxN6thrust23THRUST_200600_302600_NS4plusIxEEEEZZNS1_33reduce_by_key_impl_wrapped_configILNS1_25lookback_scan_determinismE0ES3_S9_NS6_6detail15normal_iteratorINS6_10device_ptrIjEEEENSD_INSE_IxEEEENS6_16discard_iteratorINS6_11use_defaultEEESI_PmS8_NS6_8equal_toIjEEEE10hipError_tPvRmT2_T3_mT4_T5_T6_T7_T8_P12ihipStream_tbENKUlT_T0_E_clISt17integral_constantIbLb0EES15_IbLb1EEEEDaS11_S12_EUlS11_E_NS1_11comp_targetILNS1_3genE10ELNS1_11target_archE1200ELNS1_3gpuE4ELNS1_3repE0EEENS1_30default_config_static_selectorELNS0_4arch9wavefront6targetE1EEEvT1_,"axG",@progbits,_ZN7rocprim17ROCPRIM_400000_NS6detail17trampoline_kernelINS0_14default_configENS1_29reduce_by_key_config_selectorIjxN6thrust23THRUST_200600_302600_NS4plusIxEEEEZZNS1_33reduce_by_key_impl_wrapped_configILNS1_25lookback_scan_determinismE0ES3_S9_NS6_6detail15normal_iteratorINS6_10device_ptrIjEEEENSD_INSE_IxEEEENS6_16discard_iteratorINS6_11use_defaultEEESI_PmS8_NS6_8equal_toIjEEEE10hipError_tPvRmT2_T3_mT4_T5_T6_T7_T8_P12ihipStream_tbENKUlT_T0_E_clISt17integral_constantIbLb0EES15_IbLb1EEEEDaS11_S12_EUlS11_E_NS1_11comp_targetILNS1_3genE10ELNS1_11target_archE1200ELNS1_3gpuE4ELNS1_3repE0EEENS1_30default_config_static_selectorELNS0_4arch9wavefront6targetE1EEEvT1_,comdat
	.protected	_ZN7rocprim17ROCPRIM_400000_NS6detail17trampoline_kernelINS0_14default_configENS1_29reduce_by_key_config_selectorIjxN6thrust23THRUST_200600_302600_NS4plusIxEEEEZZNS1_33reduce_by_key_impl_wrapped_configILNS1_25lookback_scan_determinismE0ES3_S9_NS6_6detail15normal_iteratorINS6_10device_ptrIjEEEENSD_INSE_IxEEEENS6_16discard_iteratorINS6_11use_defaultEEESI_PmS8_NS6_8equal_toIjEEEE10hipError_tPvRmT2_T3_mT4_T5_T6_T7_T8_P12ihipStream_tbENKUlT_T0_E_clISt17integral_constantIbLb0EES15_IbLb1EEEEDaS11_S12_EUlS11_E_NS1_11comp_targetILNS1_3genE10ELNS1_11target_archE1200ELNS1_3gpuE4ELNS1_3repE0EEENS1_30default_config_static_selectorELNS0_4arch9wavefront6targetE1EEEvT1_ ; -- Begin function _ZN7rocprim17ROCPRIM_400000_NS6detail17trampoline_kernelINS0_14default_configENS1_29reduce_by_key_config_selectorIjxN6thrust23THRUST_200600_302600_NS4plusIxEEEEZZNS1_33reduce_by_key_impl_wrapped_configILNS1_25lookback_scan_determinismE0ES3_S9_NS6_6detail15normal_iteratorINS6_10device_ptrIjEEEENSD_INSE_IxEEEENS6_16discard_iteratorINS6_11use_defaultEEESI_PmS8_NS6_8equal_toIjEEEE10hipError_tPvRmT2_T3_mT4_T5_T6_T7_T8_P12ihipStream_tbENKUlT_T0_E_clISt17integral_constantIbLb0EES15_IbLb1EEEEDaS11_S12_EUlS11_E_NS1_11comp_targetILNS1_3genE10ELNS1_11target_archE1200ELNS1_3gpuE4ELNS1_3repE0EEENS1_30default_config_static_selectorELNS0_4arch9wavefront6targetE1EEEvT1_
	.globl	_ZN7rocprim17ROCPRIM_400000_NS6detail17trampoline_kernelINS0_14default_configENS1_29reduce_by_key_config_selectorIjxN6thrust23THRUST_200600_302600_NS4plusIxEEEEZZNS1_33reduce_by_key_impl_wrapped_configILNS1_25lookback_scan_determinismE0ES3_S9_NS6_6detail15normal_iteratorINS6_10device_ptrIjEEEENSD_INSE_IxEEEENS6_16discard_iteratorINS6_11use_defaultEEESI_PmS8_NS6_8equal_toIjEEEE10hipError_tPvRmT2_T3_mT4_T5_T6_T7_T8_P12ihipStream_tbENKUlT_T0_E_clISt17integral_constantIbLb0EES15_IbLb1EEEEDaS11_S12_EUlS11_E_NS1_11comp_targetILNS1_3genE10ELNS1_11target_archE1200ELNS1_3gpuE4ELNS1_3repE0EEENS1_30default_config_static_selectorELNS0_4arch9wavefront6targetE1EEEvT1_
	.p2align	8
	.type	_ZN7rocprim17ROCPRIM_400000_NS6detail17trampoline_kernelINS0_14default_configENS1_29reduce_by_key_config_selectorIjxN6thrust23THRUST_200600_302600_NS4plusIxEEEEZZNS1_33reduce_by_key_impl_wrapped_configILNS1_25lookback_scan_determinismE0ES3_S9_NS6_6detail15normal_iteratorINS6_10device_ptrIjEEEENSD_INSE_IxEEEENS6_16discard_iteratorINS6_11use_defaultEEESI_PmS8_NS6_8equal_toIjEEEE10hipError_tPvRmT2_T3_mT4_T5_T6_T7_T8_P12ihipStream_tbENKUlT_T0_E_clISt17integral_constantIbLb0EES15_IbLb1EEEEDaS11_S12_EUlS11_E_NS1_11comp_targetILNS1_3genE10ELNS1_11target_archE1200ELNS1_3gpuE4ELNS1_3repE0EEENS1_30default_config_static_selectorELNS0_4arch9wavefront6targetE1EEEvT1_,@function
_ZN7rocprim17ROCPRIM_400000_NS6detail17trampoline_kernelINS0_14default_configENS1_29reduce_by_key_config_selectorIjxN6thrust23THRUST_200600_302600_NS4plusIxEEEEZZNS1_33reduce_by_key_impl_wrapped_configILNS1_25lookback_scan_determinismE0ES3_S9_NS6_6detail15normal_iteratorINS6_10device_ptrIjEEEENSD_INSE_IxEEEENS6_16discard_iteratorINS6_11use_defaultEEESI_PmS8_NS6_8equal_toIjEEEE10hipError_tPvRmT2_T3_mT4_T5_T6_T7_T8_P12ihipStream_tbENKUlT_T0_E_clISt17integral_constantIbLb0EES15_IbLb1EEEEDaS11_S12_EUlS11_E_NS1_11comp_targetILNS1_3genE10ELNS1_11target_archE1200ELNS1_3gpuE4ELNS1_3repE0EEENS1_30default_config_static_selectorELNS0_4arch9wavefront6targetE1EEEvT1_: ; @_ZN7rocprim17ROCPRIM_400000_NS6detail17trampoline_kernelINS0_14default_configENS1_29reduce_by_key_config_selectorIjxN6thrust23THRUST_200600_302600_NS4plusIxEEEEZZNS1_33reduce_by_key_impl_wrapped_configILNS1_25lookback_scan_determinismE0ES3_S9_NS6_6detail15normal_iteratorINS6_10device_ptrIjEEEENSD_INSE_IxEEEENS6_16discard_iteratorINS6_11use_defaultEEESI_PmS8_NS6_8equal_toIjEEEE10hipError_tPvRmT2_T3_mT4_T5_T6_T7_T8_P12ihipStream_tbENKUlT_T0_E_clISt17integral_constantIbLb0EES15_IbLb1EEEEDaS11_S12_EUlS11_E_NS1_11comp_targetILNS1_3genE10ELNS1_11target_archE1200ELNS1_3gpuE4ELNS1_3repE0EEENS1_30default_config_static_selectorELNS0_4arch9wavefront6targetE1EEEvT1_
; %bb.0:
	.section	.rodata,"a",@progbits
	.p2align	6, 0x0
	.amdhsa_kernel _ZN7rocprim17ROCPRIM_400000_NS6detail17trampoline_kernelINS0_14default_configENS1_29reduce_by_key_config_selectorIjxN6thrust23THRUST_200600_302600_NS4plusIxEEEEZZNS1_33reduce_by_key_impl_wrapped_configILNS1_25lookback_scan_determinismE0ES3_S9_NS6_6detail15normal_iteratorINS6_10device_ptrIjEEEENSD_INSE_IxEEEENS6_16discard_iteratorINS6_11use_defaultEEESI_PmS8_NS6_8equal_toIjEEEE10hipError_tPvRmT2_T3_mT4_T5_T6_T7_T8_P12ihipStream_tbENKUlT_T0_E_clISt17integral_constantIbLb0EES15_IbLb1EEEEDaS11_S12_EUlS11_E_NS1_11comp_targetILNS1_3genE10ELNS1_11target_archE1200ELNS1_3gpuE4ELNS1_3repE0EEENS1_30default_config_static_selectorELNS0_4arch9wavefront6targetE1EEEvT1_
		.amdhsa_group_segment_fixed_size 0
		.amdhsa_private_segment_fixed_size 0
		.amdhsa_kernarg_size 144
		.amdhsa_user_sgpr_count 6
		.amdhsa_user_sgpr_private_segment_buffer 1
		.amdhsa_user_sgpr_dispatch_ptr 0
		.amdhsa_user_sgpr_queue_ptr 0
		.amdhsa_user_sgpr_kernarg_segment_ptr 1
		.amdhsa_user_sgpr_dispatch_id 0
		.amdhsa_user_sgpr_flat_scratch_init 0
		.amdhsa_user_sgpr_kernarg_preload_length 0
		.amdhsa_user_sgpr_kernarg_preload_offset 0
		.amdhsa_user_sgpr_private_segment_size 0
		.amdhsa_uses_dynamic_stack 0
		.amdhsa_system_sgpr_private_segment_wavefront_offset 0
		.amdhsa_system_sgpr_workgroup_id_x 1
		.amdhsa_system_sgpr_workgroup_id_y 0
		.amdhsa_system_sgpr_workgroup_id_z 0
		.amdhsa_system_sgpr_workgroup_info 0
		.amdhsa_system_vgpr_workitem_id 0
		.amdhsa_next_free_vgpr 1
		.amdhsa_next_free_sgpr 0
		.amdhsa_accum_offset 4
		.amdhsa_reserve_vcc 0
		.amdhsa_reserve_flat_scratch 0
		.amdhsa_float_round_mode_32 0
		.amdhsa_float_round_mode_16_64 0
		.amdhsa_float_denorm_mode_32 3
		.amdhsa_float_denorm_mode_16_64 3
		.amdhsa_dx10_clamp 1
		.amdhsa_ieee_mode 1
		.amdhsa_fp16_overflow 0
		.amdhsa_tg_split 0
		.amdhsa_exception_fp_ieee_invalid_op 0
		.amdhsa_exception_fp_denorm_src 0
		.amdhsa_exception_fp_ieee_div_zero 0
		.amdhsa_exception_fp_ieee_overflow 0
		.amdhsa_exception_fp_ieee_underflow 0
		.amdhsa_exception_fp_ieee_inexact 0
		.amdhsa_exception_int_div_zero 0
	.end_amdhsa_kernel
	.section	.text._ZN7rocprim17ROCPRIM_400000_NS6detail17trampoline_kernelINS0_14default_configENS1_29reduce_by_key_config_selectorIjxN6thrust23THRUST_200600_302600_NS4plusIxEEEEZZNS1_33reduce_by_key_impl_wrapped_configILNS1_25lookback_scan_determinismE0ES3_S9_NS6_6detail15normal_iteratorINS6_10device_ptrIjEEEENSD_INSE_IxEEEENS6_16discard_iteratorINS6_11use_defaultEEESI_PmS8_NS6_8equal_toIjEEEE10hipError_tPvRmT2_T3_mT4_T5_T6_T7_T8_P12ihipStream_tbENKUlT_T0_E_clISt17integral_constantIbLb0EES15_IbLb1EEEEDaS11_S12_EUlS11_E_NS1_11comp_targetILNS1_3genE10ELNS1_11target_archE1200ELNS1_3gpuE4ELNS1_3repE0EEENS1_30default_config_static_selectorELNS0_4arch9wavefront6targetE1EEEvT1_,"axG",@progbits,_ZN7rocprim17ROCPRIM_400000_NS6detail17trampoline_kernelINS0_14default_configENS1_29reduce_by_key_config_selectorIjxN6thrust23THRUST_200600_302600_NS4plusIxEEEEZZNS1_33reduce_by_key_impl_wrapped_configILNS1_25lookback_scan_determinismE0ES3_S9_NS6_6detail15normal_iteratorINS6_10device_ptrIjEEEENSD_INSE_IxEEEENS6_16discard_iteratorINS6_11use_defaultEEESI_PmS8_NS6_8equal_toIjEEEE10hipError_tPvRmT2_T3_mT4_T5_T6_T7_T8_P12ihipStream_tbENKUlT_T0_E_clISt17integral_constantIbLb0EES15_IbLb1EEEEDaS11_S12_EUlS11_E_NS1_11comp_targetILNS1_3genE10ELNS1_11target_archE1200ELNS1_3gpuE4ELNS1_3repE0EEENS1_30default_config_static_selectorELNS0_4arch9wavefront6targetE1EEEvT1_,comdat
.Lfunc_end1018:
	.size	_ZN7rocprim17ROCPRIM_400000_NS6detail17trampoline_kernelINS0_14default_configENS1_29reduce_by_key_config_selectorIjxN6thrust23THRUST_200600_302600_NS4plusIxEEEEZZNS1_33reduce_by_key_impl_wrapped_configILNS1_25lookback_scan_determinismE0ES3_S9_NS6_6detail15normal_iteratorINS6_10device_ptrIjEEEENSD_INSE_IxEEEENS6_16discard_iteratorINS6_11use_defaultEEESI_PmS8_NS6_8equal_toIjEEEE10hipError_tPvRmT2_T3_mT4_T5_T6_T7_T8_P12ihipStream_tbENKUlT_T0_E_clISt17integral_constantIbLb0EES15_IbLb1EEEEDaS11_S12_EUlS11_E_NS1_11comp_targetILNS1_3genE10ELNS1_11target_archE1200ELNS1_3gpuE4ELNS1_3repE0EEENS1_30default_config_static_selectorELNS0_4arch9wavefront6targetE1EEEvT1_, .Lfunc_end1018-_ZN7rocprim17ROCPRIM_400000_NS6detail17trampoline_kernelINS0_14default_configENS1_29reduce_by_key_config_selectorIjxN6thrust23THRUST_200600_302600_NS4plusIxEEEEZZNS1_33reduce_by_key_impl_wrapped_configILNS1_25lookback_scan_determinismE0ES3_S9_NS6_6detail15normal_iteratorINS6_10device_ptrIjEEEENSD_INSE_IxEEEENS6_16discard_iteratorINS6_11use_defaultEEESI_PmS8_NS6_8equal_toIjEEEE10hipError_tPvRmT2_T3_mT4_T5_T6_T7_T8_P12ihipStream_tbENKUlT_T0_E_clISt17integral_constantIbLb0EES15_IbLb1EEEEDaS11_S12_EUlS11_E_NS1_11comp_targetILNS1_3genE10ELNS1_11target_archE1200ELNS1_3gpuE4ELNS1_3repE0EEENS1_30default_config_static_selectorELNS0_4arch9wavefront6targetE1EEEvT1_
                                        ; -- End function
	.section	.AMDGPU.csdata,"",@progbits
; Kernel info:
; codeLenInByte = 0
; NumSgprs: 4
; NumVgprs: 0
; NumAgprs: 0
; TotalNumVgprs: 0
; ScratchSize: 0
; MemoryBound: 0
; FloatMode: 240
; IeeeMode: 1
; LDSByteSize: 0 bytes/workgroup (compile time only)
; SGPRBlocks: 0
; VGPRBlocks: 0
; NumSGPRsForWavesPerEU: 4
; NumVGPRsForWavesPerEU: 1
; AccumOffset: 4
; Occupancy: 8
; WaveLimiterHint : 0
; COMPUTE_PGM_RSRC2:SCRATCH_EN: 0
; COMPUTE_PGM_RSRC2:USER_SGPR: 6
; COMPUTE_PGM_RSRC2:TRAP_HANDLER: 0
; COMPUTE_PGM_RSRC2:TGID_X_EN: 1
; COMPUTE_PGM_RSRC2:TGID_Y_EN: 0
; COMPUTE_PGM_RSRC2:TGID_Z_EN: 0
; COMPUTE_PGM_RSRC2:TIDIG_COMP_CNT: 0
; COMPUTE_PGM_RSRC3_GFX90A:ACCUM_OFFSET: 0
; COMPUTE_PGM_RSRC3_GFX90A:TG_SPLIT: 0
	.section	.text._ZN7rocprim17ROCPRIM_400000_NS6detail17trampoline_kernelINS0_14default_configENS1_29reduce_by_key_config_selectorIjxN6thrust23THRUST_200600_302600_NS4plusIxEEEEZZNS1_33reduce_by_key_impl_wrapped_configILNS1_25lookback_scan_determinismE0ES3_S9_NS6_6detail15normal_iteratorINS6_10device_ptrIjEEEENSD_INSE_IxEEEENS6_16discard_iteratorINS6_11use_defaultEEESI_PmS8_NS6_8equal_toIjEEEE10hipError_tPvRmT2_T3_mT4_T5_T6_T7_T8_P12ihipStream_tbENKUlT_T0_E_clISt17integral_constantIbLb0EES15_IbLb1EEEEDaS11_S12_EUlS11_E_NS1_11comp_targetILNS1_3genE9ELNS1_11target_archE1100ELNS1_3gpuE3ELNS1_3repE0EEENS1_30default_config_static_selectorELNS0_4arch9wavefront6targetE1EEEvT1_,"axG",@progbits,_ZN7rocprim17ROCPRIM_400000_NS6detail17trampoline_kernelINS0_14default_configENS1_29reduce_by_key_config_selectorIjxN6thrust23THRUST_200600_302600_NS4plusIxEEEEZZNS1_33reduce_by_key_impl_wrapped_configILNS1_25lookback_scan_determinismE0ES3_S9_NS6_6detail15normal_iteratorINS6_10device_ptrIjEEEENSD_INSE_IxEEEENS6_16discard_iteratorINS6_11use_defaultEEESI_PmS8_NS6_8equal_toIjEEEE10hipError_tPvRmT2_T3_mT4_T5_T6_T7_T8_P12ihipStream_tbENKUlT_T0_E_clISt17integral_constantIbLb0EES15_IbLb1EEEEDaS11_S12_EUlS11_E_NS1_11comp_targetILNS1_3genE9ELNS1_11target_archE1100ELNS1_3gpuE3ELNS1_3repE0EEENS1_30default_config_static_selectorELNS0_4arch9wavefront6targetE1EEEvT1_,comdat
	.protected	_ZN7rocprim17ROCPRIM_400000_NS6detail17trampoline_kernelINS0_14default_configENS1_29reduce_by_key_config_selectorIjxN6thrust23THRUST_200600_302600_NS4plusIxEEEEZZNS1_33reduce_by_key_impl_wrapped_configILNS1_25lookback_scan_determinismE0ES3_S9_NS6_6detail15normal_iteratorINS6_10device_ptrIjEEEENSD_INSE_IxEEEENS6_16discard_iteratorINS6_11use_defaultEEESI_PmS8_NS6_8equal_toIjEEEE10hipError_tPvRmT2_T3_mT4_T5_T6_T7_T8_P12ihipStream_tbENKUlT_T0_E_clISt17integral_constantIbLb0EES15_IbLb1EEEEDaS11_S12_EUlS11_E_NS1_11comp_targetILNS1_3genE9ELNS1_11target_archE1100ELNS1_3gpuE3ELNS1_3repE0EEENS1_30default_config_static_selectorELNS0_4arch9wavefront6targetE1EEEvT1_ ; -- Begin function _ZN7rocprim17ROCPRIM_400000_NS6detail17trampoline_kernelINS0_14default_configENS1_29reduce_by_key_config_selectorIjxN6thrust23THRUST_200600_302600_NS4plusIxEEEEZZNS1_33reduce_by_key_impl_wrapped_configILNS1_25lookback_scan_determinismE0ES3_S9_NS6_6detail15normal_iteratorINS6_10device_ptrIjEEEENSD_INSE_IxEEEENS6_16discard_iteratorINS6_11use_defaultEEESI_PmS8_NS6_8equal_toIjEEEE10hipError_tPvRmT2_T3_mT4_T5_T6_T7_T8_P12ihipStream_tbENKUlT_T0_E_clISt17integral_constantIbLb0EES15_IbLb1EEEEDaS11_S12_EUlS11_E_NS1_11comp_targetILNS1_3genE9ELNS1_11target_archE1100ELNS1_3gpuE3ELNS1_3repE0EEENS1_30default_config_static_selectorELNS0_4arch9wavefront6targetE1EEEvT1_
	.globl	_ZN7rocprim17ROCPRIM_400000_NS6detail17trampoline_kernelINS0_14default_configENS1_29reduce_by_key_config_selectorIjxN6thrust23THRUST_200600_302600_NS4plusIxEEEEZZNS1_33reduce_by_key_impl_wrapped_configILNS1_25lookback_scan_determinismE0ES3_S9_NS6_6detail15normal_iteratorINS6_10device_ptrIjEEEENSD_INSE_IxEEEENS6_16discard_iteratorINS6_11use_defaultEEESI_PmS8_NS6_8equal_toIjEEEE10hipError_tPvRmT2_T3_mT4_T5_T6_T7_T8_P12ihipStream_tbENKUlT_T0_E_clISt17integral_constantIbLb0EES15_IbLb1EEEEDaS11_S12_EUlS11_E_NS1_11comp_targetILNS1_3genE9ELNS1_11target_archE1100ELNS1_3gpuE3ELNS1_3repE0EEENS1_30default_config_static_selectorELNS0_4arch9wavefront6targetE1EEEvT1_
	.p2align	8
	.type	_ZN7rocprim17ROCPRIM_400000_NS6detail17trampoline_kernelINS0_14default_configENS1_29reduce_by_key_config_selectorIjxN6thrust23THRUST_200600_302600_NS4plusIxEEEEZZNS1_33reduce_by_key_impl_wrapped_configILNS1_25lookback_scan_determinismE0ES3_S9_NS6_6detail15normal_iteratorINS6_10device_ptrIjEEEENSD_INSE_IxEEEENS6_16discard_iteratorINS6_11use_defaultEEESI_PmS8_NS6_8equal_toIjEEEE10hipError_tPvRmT2_T3_mT4_T5_T6_T7_T8_P12ihipStream_tbENKUlT_T0_E_clISt17integral_constantIbLb0EES15_IbLb1EEEEDaS11_S12_EUlS11_E_NS1_11comp_targetILNS1_3genE9ELNS1_11target_archE1100ELNS1_3gpuE3ELNS1_3repE0EEENS1_30default_config_static_selectorELNS0_4arch9wavefront6targetE1EEEvT1_,@function
_ZN7rocprim17ROCPRIM_400000_NS6detail17trampoline_kernelINS0_14default_configENS1_29reduce_by_key_config_selectorIjxN6thrust23THRUST_200600_302600_NS4plusIxEEEEZZNS1_33reduce_by_key_impl_wrapped_configILNS1_25lookback_scan_determinismE0ES3_S9_NS6_6detail15normal_iteratorINS6_10device_ptrIjEEEENSD_INSE_IxEEEENS6_16discard_iteratorINS6_11use_defaultEEESI_PmS8_NS6_8equal_toIjEEEE10hipError_tPvRmT2_T3_mT4_T5_T6_T7_T8_P12ihipStream_tbENKUlT_T0_E_clISt17integral_constantIbLb0EES15_IbLb1EEEEDaS11_S12_EUlS11_E_NS1_11comp_targetILNS1_3genE9ELNS1_11target_archE1100ELNS1_3gpuE3ELNS1_3repE0EEENS1_30default_config_static_selectorELNS0_4arch9wavefront6targetE1EEEvT1_: ; @_ZN7rocprim17ROCPRIM_400000_NS6detail17trampoline_kernelINS0_14default_configENS1_29reduce_by_key_config_selectorIjxN6thrust23THRUST_200600_302600_NS4plusIxEEEEZZNS1_33reduce_by_key_impl_wrapped_configILNS1_25lookback_scan_determinismE0ES3_S9_NS6_6detail15normal_iteratorINS6_10device_ptrIjEEEENSD_INSE_IxEEEENS6_16discard_iteratorINS6_11use_defaultEEESI_PmS8_NS6_8equal_toIjEEEE10hipError_tPvRmT2_T3_mT4_T5_T6_T7_T8_P12ihipStream_tbENKUlT_T0_E_clISt17integral_constantIbLb0EES15_IbLb1EEEEDaS11_S12_EUlS11_E_NS1_11comp_targetILNS1_3genE9ELNS1_11target_archE1100ELNS1_3gpuE3ELNS1_3repE0EEENS1_30default_config_static_selectorELNS0_4arch9wavefront6targetE1EEEvT1_
; %bb.0:
	.section	.rodata,"a",@progbits
	.p2align	6, 0x0
	.amdhsa_kernel _ZN7rocprim17ROCPRIM_400000_NS6detail17trampoline_kernelINS0_14default_configENS1_29reduce_by_key_config_selectorIjxN6thrust23THRUST_200600_302600_NS4plusIxEEEEZZNS1_33reduce_by_key_impl_wrapped_configILNS1_25lookback_scan_determinismE0ES3_S9_NS6_6detail15normal_iteratorINS6_10device_ptrIjEEEENSD_INSE_IxEEEENS6_16discard_iteratorINS6_11use_defaultEEESI_PmS8_NS6_8equal_toIjEEEE10hipError_tPvRmT2_T3_mT4_T5_T6_T7_T8_P12ihipStream_tbENKUlT_T0_E_clISt17integral_constantIbLb0EES15_IbLb1EEEEDaS11_S12_EUlS11_E_NS1_11comp_targetILNS1_3genE9ELNS1_11target_archE1100ELNS1_3gpuE3ELNS1_3repE0EEENS1_30default_config_static_selectorELNS0_4arch9wavefront6targetE1EEEvT1_
		.amdhsa_group_segment_fixed_size 0
		.amdhsa_private_segment_fixed_size 0
		.amdhsa_kernarg_size 144
		.amdhsa_user_sgpr_count 6
		.amdhsa_user_sgpr_private_segment_buffer 1
		.amdhsa_user_sgpr_dispatch_ptr 0
		.amdhsa_user_sgpr_queue_ptr 0
		.amdhsa_user_sgpr_kernarg_segment_ptr 1
		.amdhsa_user_sgpr_dispatch_id 0
		.amdhsa_user_sgpr_flat_scratch_init 0
		.amdhsa_user_sgpr_kernarg_preload_length 0
		.amdhsa_user_sgpr_kernarg_preload_offset 0
		.amdhsa_user_sgpr_private_segment_size 0
		.amdhsa_uses_dynamic_stack 0
		.amdhsa_system_sgpr_private_segment_wavefront_offset 0
		.amdhsa_system_sgpr_workgroup_id_x 1
		.amdhsa_system_sgpr_workgroup_id_y 0
		.amdhsa_system_sgpr_workgroup_id_z 0
		.amdhsa_system_sgpr_workgroup_info 0
		.amdhsa_system_vgpr_workitem_id 0
		.amdhsa_next_free_vgpr 1
		.amdhsa_next_free_sgpr 0
		.amdhsa_accum_offset 4
		.amdhsa_reserve_vcc 0
		.amdhsa_reserve_flat_scratch 0
		.amdhsa_float_round_mode_32 0
		.amdhsa_float_round_mode_16_64 0
		.amdhsa_float_denorm_mode_32 3
		.amdhsa_float_denorm_mode_16_64 3
		.amdhsa_dx10_clamp 1
		.amdhsa_ieee_mode 1
		.amdhsa_fp16_overflow 0
		.amdhsa_tg_split 0
		.amdhsa_exception_fp_ieee_invalid_op 0
		.amdhsa_exception_fp_denorm_src 0
		.amdhsa_exception_fp_ieee_div_zero 0
		.amdhsa_exception_fp_ieee_overflow 0
		.amdhsa_exception_fp_ieee_underflow 0
		.amdhsa_exception_fp_ieee_inexact 0
		.amdhsa_exception_int_div_zero 0
	.end_amdhsa_kernel
	.section	.text._ZN7rocprim17ROCPRIM_400000_NS6detail17trampoline_kernelINS0_14default_configENS1_29reduce_by_key_config_selectorIjxN6thrust23THRUST_200600_302600_NS4plusIxEEEEZZNS1_33reduce_by_key_impl_wrapped_configILNS1_25lookback_scan_determinismE0ES3_S9_NS6_6detail15normal_iteratorINS6_10device_ptrIjEEEENSD_INSE_IxEEEENS6_16discard_iteratorINS6_11use_defaultEEESI_PmS8_NS6_8equal_toIjEEEE10hipError_tPvRmT2_T3_mT4_T5_T6_T7_T8_P12ihipStream_tbENKUlT_T0_E_clISt17integral_constantIbLb0EES15_IbLb1EEEEDaS11_S12_EUlS11_E_NS1_11comp_targetILNS1_3genE9ELNS1_11target_archE1100ELNS1_3gpuE3ELNS1_3repE0EEENS1_30default_config_static_selectorELNS0_4arch9wavefront6targetE1EEEvT1_,"axG",@progbits,_ZN7rocprim17ROCPRIM_400000_NS6detail17trampoline_kernelINS0_14default_configENS1_29reduce_by_key_config_selectorIjxN6thrust23THRUST_200600_302600_NS4plusIxEEEEZZNS1_33reduce_by_key_impl_wrapped_configILNS1_25lookback_scan_determinismE0ES3_S9_NS6_6detail15normal_iteratorINS6_10device_ptrIjEEEENSD_INSE_IxEEEENS6_16discard_iteratorINS6_11use_defaultEEESI_PmS8_NS6_8equal_toIjEEEE10hipError_tPvRmT2_T3_mT4_T5_T6_T7_T8_P12ihipStream_tbENKUlT_T0_E_clISt17integral_constantIbLb0EES15_IbLb1EEEEDaS11_S12_EUlS11_E_NS1_11comp_targetILNS1_3genE9ELNS1_11target_archE1100ELNS1_3gpuE3ELNS1_3repE0EEENS1_30default_config_static_selectorELNS0_4arch9wavefront6targetE1EEEvT1_,comdat
.Lfunc_end1019:
	.size	_ZN7rocprim17ROCPRIM_400000_NS6detail17trampoline_kernelINS0_14default_configENS1_29reduce_by_key_config_selectorIjxN6thrust23THRUST_200600_302600_NS4plusIxEEEEZZNS1_33reduce_by_key_impl_wrapped_configILNS1_25lookback_scan_determinismE0ES3_S9_NS6_6detail15normal_iteratorINS6_10device_ptrIjEEEENSD_INSE_IxEEEENS6_16discard_iteratorINS6_11use_defaultEEESI_PmS8_NS6_8equal_toIjEEEE10hipError_tPvRmT2_T3_mT4_T5_T6_T7_T8_P12ihipStream_tbENKUlT_T0_E_clISt17integral_constantIbLb0EES15_IbLb1EEEEDaS11_S12_EUlS11_E_NS1_11comp_targetILNS1_3genE9ELNS1_11target_archE1100ELNS1_3gpuE3ELNS1_3repE0EEENS1_30default_config_static_selectorELNS0_4arch9wavefront6targetE1EEEvT1_, .Lfunc_end1019-_ZN7rocprim17ROCPRIM_400000_NS6detail17trampoline_kernelINS0_14default_configENS1_29reduce_by_key_config_selectorIjxN6thrust23THRUST_200600_302600_NS4plusIxEEEEZZNS1_33reduce_by_key_impl_wrapped_configILNS1_25lookback_scan_determinismE0ES3_S9_NS6_6detail15normal_iteratorINS6_10device_ptrIjEEEENSD_INSE_IxEEEENS6_16discard_iteratorINS6_11use_defaultEEESI_PmS8_NS6_8equal_toIjEEEE10hipError_tPvRmT2_T3_mT4_T5_T6_T7_T8_P12ihipStream_tbENKUlT_T0_E_clISt17integral_constantIbLb0EES15_IbLb1EEEEDaS11_S12_EUlS11_E_NS1_11comp_targetILNS1_3genE9ELNS1_11target_archE1100ELNS1_3gpuE3ELNS1_3repE0EEENS1_30default_config_static_selectorELNS0_4arch9wavefront6targetE1EEEvT1_
                                        ; -- End function
	.section	.AMDGPU.csdata,"",@progbits
; Kernel info:
; codeLenInByte = 0
; NumSgprs: 4
; NumVgprs: 0
; NumAgprs: 0
; TotalNumVgprs: 0
; ScratchSize: 0
; MemoryBound: 0
; FloatMode: 240
; IeeeMode: 1
; LDSByteSize: 0 bytes/workgroup (compile time only)
; SGPRBlocks: 0
; VGPRBlocks: 0
; NumSGPRsForWavesPerEU: 4
; NumVGPRsForWavesPerEU: 1
; AccumOffset: 4
; Occupancy: 8
; WaveLimiterHint : 0
; COMPUTE_PGM_RSRC2:SCRATCH_EN: 0
; COMPUTE_PGM_RSRC2:USER_SGPR: 6
; COMPUTE_PGM_RSRC2:TRAP_HANDLER: 0
; COMPUTE_PGM_RSRC2:TGID_X_EN: 1
; COMPUTE_PGM_RSRC2:TGID_Y_EN: 0
; COMPUTE_PGM_RSRC2:TGID_Z_EN: 0
; COMPUTE_PGM_RSRC2:TIDIG_COMP_CNT: 0
; COMPUTE_PGM_RSRC3_GFX90A:ACCUM_OFFSET: 0
; COMPUTE_PGM_RSRC3_GFX90A:TG_SPLIT: 0
	.section	.text._ZN7rocprim17ROCPRIM_400000_NS6detail17trampoline_kernelINS0_14default_configENS1_29reduce_by_key_config_selectorIjxN6thrust23THRUST_200600_302600_NS4plusIxEEEEZZNS1_33reduce_by_key_impl_wrapped_configILNS1_25lookback_scan_determinismE0ES3_S9_NS6_6detail15normal_iteratorINS6_10device_ptrIjEEEENSD_INSE_IxEEEENS6_16discard_iteratorINS6_11use_defaultEEESI_PmS8_NS6_8equal_toIjEEEE10hipError_tPvRmT2_T3_mT4_T5_T6_T7_T8_P12ihipStream_tbENKUlT_T0_E_clISt17integral_constantIbLb0EES15_IbLb1EEEEDaS11_S12_EUlS11_E_NS1_11comp_targetILNS1_3genE8ELNS1_11target_archE1030ELNS1_3gpuE2ELNS1_3repE0EEENS1_30default_config_static_selectorELNS0_4arch9wavefront6targetE1EEEvT1_,"axG",@progbits,_ZN7rocprim17ROCPRIM_400000_NS6detail17trampoline_kernelINS0_14default_configENS1_29reduce_by_key_config_selectorIjxN6thrust23THRUST_200600_302600_NS4plusIxEEEEZZNS1_33reduce_by_key_impl_wrapped_configILNS1_25lookback_scan_determinismE0ES3_S9_NS6_6detail15normal_iteratorINS6_10device_ptrIjEEEENSD_INSE_IxEEEENS6_16discard_iteratorINS6_11use_defaultEEESI_PmS8_NS6_8equal_toIjEEEE10hipError_tPvRmT2_T3_mT4_T5_T6_T7_T8_P12ihipStream_tbENKUlT_T0_E_clISt17integral_constantIbLb0EES15_IbLb1EEEEDaS11_S12_EUlS11_E_NS1_11comp_targetILNS1_3genE8ELNS1_11target_archE1030ELNS1_3gpuE2ELNS1_3repE0EEENS1_30default_config_static_selectorELNS0_4arch9wavefront6targetE1EEEvT1_,comdat
	.protected	_ZN7rocprim17ROCPRIM_400000_NS6detail17trampoline_kernelINS0_14default_configENS1_29reduce_by_key_config_selectorIjxN6thrust23THRUST_200600_302600_NS4plusIxEEEEZZNS1_33reduce_by_key_impl_wrapped_configILNS1_25lookback_scan_determinismE0ES3_S9_NS6_6detail15normal_iteratorINS6_10device_ptrIjEEEENSD_INSE_IxEEEENS6_16discard_iteratorINS6_11use_defaultEEESI_PmS8_NS6_8equal_toIjEEEE10hipError_tPvRmT2_T3_mT4_T5_T6_T7_T8_P12ihipStream_tbENKUlT_T0_E_clISt17integral_constantIbLb0EES15_IbLb1EEEEDaS11_S12_EUlS11_E_NS1_11comp_targetILNS1_3genE8ELNS1_11target_archE1030ELNS1_3gpuE2ELNS1_3repE0EEENS1_30default_config_static_selectorELNS0_4arch9wavefront6targetE1EEEvT1_ ; -- Begin function _ZN7rocprim17ROCPRIM_400000_NS6detail17trampoline_kernelINS0_14default_configENS1_29reduce_by_key_config_selectorIjxN6thrust23THRUST_200600_302600_NS4plusIxEEEEZZNS1_33reduce_by_key_impl_wrapped_configILNS1_25lookback_scan_determinismE0ES3_S9_NS6_6detail15normal_iteratorINS6_10device_ptrIjEEEENSD_INSE_IxEEEENS6_16discard_iteratorINS6_11use_defaultEEESI_PmS8_NS6_8equal_toIjEEEE10hipError_tPvRmT2_T3_mT4_T5_T6_T7_T8_P12ihipStream_tbENKUlT_T0_E_clISt17integral_constantIbLb0EES15_IbLb1EEEEDaS11_S12_EUlS11_E_NS1_11comp_targetILNS1_3genE8ELNS1_11target_archE1030ELNS1_3gpuE2ELNS1_3repE0EEENS1_30default_config_static_selectorELNS0_4arch9wavefront6targetE1EEEvT1_
	.globl	_ZN7rocprim17ROCPRIM_400000_NS6detail17trampoline_kernelINS0_14default_configENS1_29reduce_by_key_config_selectorIjxN6thrust23THRUST_200600_302600_NS4plusIxEEEEZZNS1_33reduce_by_key_impl_wrapped_configILNS1_25lookback_scan_determinismE0ES3_S9_NS6_6detail15normal_iteratorINS6_10device_ptrIjEEEENSD_INSE_IxEEEENS6_16discard_iteratorINS6_11use_defaultEEESI_PmS8_NS6_8equal_toIjEEEE10hipError_tPvRmT2_T3_mT4_T5_T6_T7_T8_P12ihipStream_tbENKUlT_T0_E_clISt17integral_constantIbLb0EES15_IbLb1EEEEDaS11_S12_EUlS11_E_NS1_11comp_targetILNS1_3genE8ELNS1_11target_archE1030ELNS1_3gpuE2ELNS1_3repE0EEENS1_30default_config_static_selectorELNS0_4arch9wavefront6targetE1EEEvT1_
	.p2align	8
	.type	_ZN7rocprim17ROCPRIM_400000_NS6detail17trampoline_kernelINS0_14default_configENS1_29reduce_by_key_config_selectorIjxN6thrust23THRUST_200600_302600_NS4plusIxEEEEZZNS1_33reduce_by_key_impl_wrapped_configILNS1_25lookback_scan_determinismE0ES3_S9_NS6_6detail15normal_iteratorINS6_10device_ptrIjEEEENSD_INSE_IxEEEENS6_16discard_iteratorINS6_11use_defaultEEESI_PmS8_NS6_8equal_toIjEEEE10hipError_tPvRmT2_T3_mT4_T5_T6_T7_T8_P12ihipStream_tbENKUlT_T0_E_clISt17integral_constantIbLb0EES15_IbLb1EEEEDaS11_S12_EUlS11_E_NS1_11comp_targetILNS1_3genE8ELNS1_11target_archE1030ELNS1_3gpuE2ELNS1_3repE0EEENS1_30default_config_static_selectorELNS0_4arch9wavefront6targetE1EEEvT1_,@function
_ZN7rocprim17ROCPRIM_400000_NS6detail17trampoline_kernelINS0_14default_configENS1_29reduce_by_key_config_selectorIjxN6thrust23THRUST_200600_302600_NS4plusIxEEEEZZNS1_33reduce_by_key_impl_wrapped_configILNS1_25lookback_scan_determinismE0ES3_S9_NS6_6detail15normal_iteratorINS6_10device_ptrIjEEEENSD_INSE_IxEEEENS6_16discard_iteratorINS6_11use_defaultEEESI_PmS8_NS6_8equal_toIjEEEE10hipError_tPvRmT2_T3_mT4_T5_T6_T7_T8_P12ihipStream_tbENKUlT_T0_E_clISt17integral_constantIbLb0EES15_IbLb1EEEEDaS11_S12_EUlS11_E_NS1_11comp_targetILNS1_3genE8ELNS1_11target_archE1030ELNS1_3gpuE2ELNS1_3repE0EEENS1_30default_config_static_selectorELNS0_4arch9wavefront6targetE1EEEvT1_: ; @_ZN7rocprim17ROCPRIM_400000_NS6detail17trampoline_kernelINS0_14default_configENS1_29reduce_by_key_config_selectorIjxN6thrust23THRUST_200600_302600_NS4plusIxEEEEZZNS1_33reduce_by_key_impl_wrapped_configILNS1_25lookback_scan_determinismE0ES3_S9_NS6_6detail15normal_iteratorINS6_10device_ptrIjEEEENSD_INSE_IxEEEENS6_16discard_iteratorINS6_11use_defaultEEESI_PmS8_NS6_8equal_toIjEEEE10hipError_tPvRmT2_T3_mT4_T5_T6_T7_T8_P12ihipStream_tbENKUlT_T0_E_clISt17integral_constantIbLb0EES15_IbLb1EEEEDaS11_S12_EUlS11_E_NS1_11comp_targetILNS1_3genE8ELNS1_11target_archE1030ELNS1_3gpuE2ELNS1_3repE0EEENS1_30default_config_static_selectorELNS0_4arch9wavefront6targetE1EEEvT1_
; %bb.0:
	.section	.rodata,"a",@progbits
	.p2align	6, 0x0
	.amdhsa_kernel _ZN7rocprim17ROCPRIM_400000_NS6detail17trampoline_kernelINS0_14default_configENS1_29reduce_by_key_config_selectorIjxN6thrust23THRUST_200600_302600_NS4plusIxEEEEZZNS1_33reduce_by_key_impl_wrapped_configILNS1_25lookback_scan_determinismE0ES3_S9_NS6_6detail15normal_iteratorINS6_10device_ptrIjEEEENSD_INSE_IxEEEENS6_16discard_iteratorINS6_11use_defaultEEESI_PmS8_NS6_8equal_toIjEEEE10hipError_tPvRmT2_T3_mT4_T5_T6_T7_T8_P12ihipStream_tbENKUlT_T0_E_clISt17integral_constantIbLb0EES15_IbLb1EEEEDaS11_S12_EUlS11_E_NS1_11comp_targetILNS1_3genE8ELNS1_11target_archE1030ELNS1_3gpuE2ELNS1_3repE0EEENS1_30default_config_static_selectorELNS0_4arch9wavefront6targetE1EEEvT1_
		.amdhsa_group_segment_fixed_size 0
		.amdhsa_private_segment_fixed_size 0
		.amdhsa_kernarg_size 144
		.amdhsa_user_sgpr_count 6
		.amdhsa_user_sgpr_private_segment_buffer 1
		.amdhsa_user_sgpr_dispatch_ptr 0
		.amdhsa_user_sgpr_queue_ptr 0
		.amdhsa_user_sgpr_kernarg_segment_ptr 1
		.amdhsa_user_sgpr_dispatch_id 0
		.amdhsa_user_sgpr_flat_scratch_init 0
		.amdhsa_user_sgpr_kernarg_preload_length 0
		.amdhsa_user_sgpr_kernarg_preload_offset 0
		.amdhsa_user_sgpr_private_segment_size 0
		.amdhsa_uses_dynamic_stack 0
		.amdhsa_system_sgpr_private_segment_wavefront_offset 0
		.amdhsa_system_sgpr_workgroup_id_x 1
		.amdhsa_system_sgpr_workgroup_id_y 0
		.amdhsa_system_sgpr_workgroup_id_z 0
		.amdhsa_system_sgpr_workgroup_info 0
		.amdhsa_system_vgpr_workitem_id 0
		.amdhsa_next_free_vgpr 1
		.amdhsa_next_free_sgpr 0
		.amdhsa_accum_offset 4
		.amdhsa_reserve_vcc 0
		.amdhsa_reserve_flat_scratch 0
		.amdhsa_float_round_mode_32 0
		.amdhsa_float_round_mode_16_64 0
		.amdhsa_float_denorm_mode_32 3
		.amdhsa_float_denorm_mode_16_64 3
		.amdhsa_dx10_clamp 1
		.amdhsa_ieee_mode 1
		.amdhsa_fp16_overflow 0
		.amdhsa_tg_split 0
		.amdhsa_exception_fp_ieee_invalid_op 0
		.amdhsa_exception_fp_denorm_src 0
		.amdhsa_exception_fp_ieee_div_zero 0
		.amdhsa_exception_fp_ieee_overflow 0
		.amdhsa_exception_fp_ieee_underflow 0
		.amdhsa_exception_fp_ieee_inexact 0
		.amdhsa_exception_int_div_zero 0
	.end_amdhsa_kernel
	.section	.text._ZN7rocprim17ROCPRIM_400000_NS6detail17trampoline_kernelINS0_14default_configENS1_29reduce_by_key_config_selectorIjxN6thrust23THRUST_200600_302600_NS4plusIxEEEEZZNS1_33reduce_by_key_impl_wrapped_configILNS1_25lookback_scan_determinismE0ES3_S9_NS6_6detail15normal_iteratorINS6_10device_ptrIjEEEENSD_INSE_IxEEEENS6_16discard_iteratorINS6_11use_defaultEEESI_PmS8_NS6_8equal_toIjEEEE10hipError_tPvRmT2_T3_mT4_T5_T6_T7_T8_P12ihipStream_tbENKUlT_T0_E_clISt17integral_constantIbLb0EES15_IbLb1EEEEDaS11_S12_EUlS11_E_NS1_11comp_targetILNS1_3genE8ELNS1_11target_archE1030ELNS1_3gpuE2ELNS1_3repE0EEENS1_30default_config_static_selectorELNS0_4arch9wavefront6targetE1EEEvT1_,"axG",@progbits,_ZN7rocprim17ROCPRIM_400000_NS6detail17trampoline_kernelINS0_14default_configENS1_29reduce_by_key_config_selectorIjxN6thrust23THRUST_200600_302600_NS4plusIxEEEEZZNS1_33reduce_by_key_impl_wrapped_configILNS1_25lookback_scan_determinismE0ES3_S9_NS6_6detail15normal_iteratorINS6_10device_ptrIjEEEENSD_INSE_IxEEEENS6_16discard_iteratorINS6_11use_defaultEEESI_PmS8_NS6_8equal_toIjEEEE10hipError_tPvRmT2_T3_mT4_T5_T6_T7_T8_P12ihipStream_tbENKUlT_T0_E_clISt17integral_constantIbLb0EES15_IbLb1EEEEDaS11_S12_EUlS11_E_NS1_11comp_targetILNS1_3genE8ELNS1_11target_archE1030ELNS1_3gpuE2ELNS1_3repE0EEENS1_30default_config_static_selectorELNS0_4arch9wavefront6targetE1EEEvT1_,comdat
.Lfunc_end1020:
	.size	_ZN7rocprim17ROCPRIM_400000_NS6detail17trampoline_kernelINS0_14default_configENS1_29reduce_by_key_config_selectorIjxN6thrust23THRUST_200600_302600_NS4plusIxEEEEZZNS1_33reduce_by_key_impl_wrapped_configILNS1_25lookback_scan_determinismE0ES3_S9_NS6_6detail15normal_iteratorINS6_10device_ptrIjEEEENSD_INSE_IxEEEENS6_16discard_iteratorINS6_11use_defaultEEESI_PmS8_NS6_8equal_toIjEEEE10hipError_tPvRmT2_T3_mT4_T5_T6_T7_T8_P12ihipStream_tbENKUlT_T0_E_clISt17integral_constantIbLb0EES15_IbLb1EEEEDaS11_S12_EUlS11_E_NS1_11comp_targetILNS1_3genE8ELNS1_11target_archE1030ELNS1_3gpuE2ELNS1_3repE0EEENS1_30default_config_static_selectorELNS0_4arch9wavefront6targetE1EEEvT1_, .Lfunc_end1020-_ZN7rocprim17ROCPRIM_400000_NS6detail17trampoline_kernelINS0_14default_configENS1_29reduce_by_key_config_selectorIjxN6thrust23THRUST_200600_302600_NS4plusIxEEEEZZNS1_33reduce_by_key_impl_wrapped_configILNS1_25lookback_scan_determinismE0ES3_S9_NS6_6detail15normal_iteratorINS6_10device_ptrIjEEEENSD_INSE_IxEEEENS6_16discard_iteratorINS6_11use_defaultEEESI_PmS8_NS6_8equal_toIjEEEE10hipError_tPvRmT2_T3_mT4_T5_T6_T7_T8_P12ihipStream_tbENKUlT_T0_E_clISt17integral_constantIbLb0EES15_IbLb1EEEEDaS11_S12_EUlS11_E_NS1_11comp_targetILNS1_3genE8ELNS1_11target_archE1030ELNS1_3gpuE2ELNS1_3repE0EEENS1_30default_config_static_selectorELNS0_4arch9wavefront6targetE1EEEvT1_
                                        ; -- End function
	.section	.AMDGPU.csdata,"",@progbits
; Kernel info:
; codeLenInByte = 0
; NumSgprs: 4
; NumVgprs: 0
; NumAgprs: 0
; TotalNumVgprs: 0
; ScratchSize: 0
; MemoryBound: 0
; FloatMode: 240
; IeeeMode: 1
; LDSByteSize: 0 bytes/workgroup (compile time only)
; SGPRBlocks: 0
; VGPRBlocks: 0
; NumSGPRsForWavesPerEU: 4
; NumVGPRsForWavesPerEU: 1
; AccumOffset: 4
; Occupancy: 8
; WaveLimiterHint : 0
; COMPUTE_PGM_RSRC2:SCRATCH_EN: 0
; COMPUTE_PGM_RSRC2:USER_SGPR: 6
; COMPUTE_PGM_RSRC2:TRAP_HANDLER: 0
; COMPUTE_PGM_RSRC2:TGID_X_EN: 1
; COMPUTE_PGM_RSRC2:TGID_Y_EN: 0
; COMPUTE_PGM_RSRC2:TGID_Z_EN: 0
; COMPUTE_PGM_RSRC2:TIDIG_COMP_CNT: 0
; COMPUTE_PGM_RSRC3_GFX90A:ACCUM_OFFSET: 0
; COMPUTE_PGM_RSRC3_GFX90A:TG_SPLIT: 0
	.section	.text._ZN7rocprim17ROCPRIM_400000_NS6detail17trampoline_kernelINS0_14default_configENS1_29reduce_by_key_config_selectorIjiN6thrust23THRUST_200600_302600_NS4plusIiEEEEZZNS1_33reduce_by_key_impl_wrapped_configILNS1_25lookback_scan_determinismE0ES3_S9_NS6_6detail15normal_iteratorINS6_10device_ptrIjEEEENSD_INSE_IiEEEENS6_16discard_iteratorINS6_11use_defaultEEESI_PmS8_NS6_8equal_toIjEEEE10hipError_tPvRmT2_T3_mT4_T5_T6_T7_T8_P12ihipStream_tbENKUlT_T0_E_clISt17integral_constantIbLb0EES16_EEDaS11_S12_EUlS11_E_NS1_11comp_targetILNS1_3genE0ELNS1_11target_archE4294967295ELNS1_3gpuE0ELNS1_3repE0EEENS1_30default_config_static_selectorELNS0_4arch9wavefront6targetE1EEEvT1_,"axG",@progbits,_ZN7rocprim17ROCPRIM_400000_NS6detail17trampoline_kernelINS0_14default_configENS1_29reduce_by_key_config_selectorIjiN6thrust23THRUST_200600_302600_NS4plusIiEEEEZZNS1_33reduce_by_key_impl_wrapped_configILNS1_25lookback_scan_determinismE0ES3_S9_NS6_6detail15normal_iteratorINS6_10device_ptrIjEEEENSD_INSE_IiEEEENS6_16discard_iteratorINS6_11use_defaultEEESI_PmS8_NS6_8equal_toIjEEEE10hipError_tPvRmT2_T3_mT4_T5_T6_T7_T8_P12ihipStream_tbENKUlT_T0_E_clISt17integral_constantIbLb0EES16_EEDaS11_S12_EUlS11_E_NS1_11comp_targetILNS1_3genE0ELNS1_11target_archE4294967295ELNS1_3gpuE0ELNS1_3repE0EEENS1_30default_config_static_selectorELNS0_4arch9wavefront6targetE1EEEvT1_,comdat
	.protected	_ZN7rocprim17ROCPRIM_400000_NS6detail17trampoline_kernelINS0_14default_configENS1_29reduce_by_key_config_selectorIjiN6thrust23THRUST_200600_302600_NS4plusIiEEEEZZNS1_33reduce_by_key_impl_wrapped_configILNS1_25lookback_scan_determinismE0ES3_S9_NS6_6detail15normal_iteratorINS6_10device_ptrIjEEEENSD_INSE_IiEEEENS6_16discard_iteratorINS6_11use_defaultEEESI_PmS8_NS6_8equal_toIjEEEE10hipError_tPvRmT2_T3_mT4_T5_T6_T7_T8_P12ihipStream_tbENKUlT_T0_E_clISt17integral_constantIbLb0EES16_EEDaS11_S12_EUlS11_E_NS1_11comp_targetILNS1_3genE0ELNS1_11target_archE4294967295ELNS1_3gpuE0ELNS1_3repE0EEENS1_30default_config_static_selectorELNS0_4arch9wavefront6targetE1EEEvT1_ ; -- Begin function _ZN7rocprim17ROCPRIM_400000_NS6detail17trampoline_kernelINS0_14default_configENS1_29reduce_by_key_config_selectorIjiN6thrust23THRUST_200600_302600_NS4plusIiEEEEZZNS1_33reduce_by_key_impl_wrapped_configILNS1_25lookback_scan_determinismE0ES3_S9_NS6_6detail15normal_iteratorINS6_10device_ptrIjEEEENSD_INSE_IiEEEENS6_16discard_iteratorINS6_11use_defaultEEESI_PmS8_NS6_8equal_toIjEEEE10hipError_tPvRmT2_T3_mT4_T5_T6_T7_T8_P12ihipStream_tbENKUlT_T0_E_clISt17integral_constantIbLb0EES16_EEDaS11_S12_EUlS11_E_NS1_11comp_targetILNS1_3genE0ELNS1_11target_archE4294967295ELNS1_3gpuE0ELNS1_3repE0EEENS1_30default_config_static_selectorELNS0_4arch9wavefront6targetE1EEEvT1_
	.globl	_ZN7rocprim17ROCPRIM_400000_NS6detail17trampoline_kernelINS0_14default_configENS1_29reduce_by_key_config_selectorIjiN6thrust23THRUST_200600_302600_NS4plusIiEEEEZZNS1_33reduce_by_key_impl_wrapped_configILNS1_25lookback_scan_determinismE0ES3_S9_NS6_6detail15normal_iteratorINS6_10device_ptrIjEEEENSD_INSE_IiEEEENS6_16discard_iteratorINS6_11use_defaultEEESI_PmS8_NS6_8equal_toIjEEEE10hipError_tPvRmT2_T3_mT4_T5_T6_T7_T8_P12ihipStream_tbENKUlT_T0_E_clISt17integral_constantIbLb0EES16_EEDaS11_S12_EUlS11_E_NS1_11comp_targetILNS1_3genE0ELNS1_11target_archE4294967295ELNS1_3gpuE0ELNS1_3repE0EEENS1_30default_config_static_selectorELNS0_4arch9wavefront6targetE1EEEvT1_
	.p2align	8
	.type	_ZN7rocprim17ROCPRIM_400000_NS6detail17trampoline_kernelINS0_14default_configENS1_29reduce_by_key_config_selectorIjiN6thrust23THRUST_200600_302600_NS4plusIiEEEEZZNS1_33reduce_by_key_impl_wrapped_configILNS1_25lookback_scan_determinismE0ES3_S9_NS6_6detail15normal_iteratorINS6_10device_ptrIjEEEENSD_INSE_IiEEEENS6_16discard_iteratorINS6_11use_defaultEEESI_PmS8_NS6_8equal_toIjEEEE10hipError_tPvRmT2_T3_mT4_T5_T6_T7_T8_P12ihipStream_tbENKUlT_T0_E_clISt17integral_constantIbLb0EES16_EEDaS11_S12_EUlS11_E_NS1_11comp_targetILNS1_3genE0ELNS1_11target_archE4294967295ELNS1_3gpuE0ELNS1_3repE0EEENS1_30default_config_static_selectorELNS0_4arch9wavefront6targetE1EEEvT1_,@function
_ZN7rocprim17ROCPRIM_400000_NS6detail17trampoline_kernelINS0_14default_configENS1_29reduce_by_key_config_selectorIjiN6thrust23THRUST_200600_302600_NS4plusIiEEEEZZNS1_33reduce_by_key_impl_wrapped_configILNS1_25lookback_scan_determinismE0ES3_S9_NS6_6detail15normal_iteratorINS6_10device_ptrIjEEEENSD_INSE_IiEEEENS6_16discard_iteratorINS6_11use_defaultEEESI_PmS8_NS6_8equal_toIjEEEE10hipError_tPvRmT2_T3_mT4_T5_T6_T7_T8_P12ihipStream_tbENKUlT_T0_E_clISt17integral_constantIbLb0EES16_EEDaS11_S12_EUlS11_E_NS1_11comp_targetILNS1_3genE0ELNS1_11target_archE4294967295ELNS1_3gpuE0ELNS1_3repE0EEENS1_30default_config_static_selectorELNS0_4arch9wavefront6targetE1EEEvT1_: ; @_ZN7rocprim17ROCPRIM_400000_NS6detail17trampoline_kernelINS0_14default_configENS1_29reduce_by_key_config_selectorIjiN6thrust23THRUST_200600_302600_NS4plusIiEEEEZZNS1_33reduce_by_key_impl_wrapped_configILNS1_25lookback_scan_determinismE0ES3_S9_NS6_6detail15normal_iteratorINS6_10device_ptrIjEEEENSD_INSE_IiEEEENS6_16discard_iteratorINS6_11use_defaultEEESI_PmS8_NS6_8equal_toIjEEEE10hipError_tPvRmT2_T3_mT4_T5_T6_T7_T8_P12ihipStream_tbENKUlT_T0_E_clISt17integral_constantIbLb0EES16_EEDaS11_S12_EUlS11_E_NS1_11comp_targetILNS1_3genE0ELNS1_11target_archE4294967295ELNS1_3gpuE0ELNS1_3repE0EEENS1_30default_config_static_selectorELNS0_4arch9wavefront6targetE1EEEvT1_
; %bb.0:
	.section	.rodata,"a",@progbits
	.p2align	6, 0x0
	.amdhsa_kernel _ZN7rocprim17ROCPRIM_400000_NS6detail17trampoline_kernelINS0_14default_configENS1_29reduce_by_key_config_selectorIjiN6thrust23THRUST_200600_302600_NS4plusIiEEEEZZNS1_33reduce_by_key_impl_wrapped_configILNS1_25lookback_scan_determinismE0ES3_S9_NS6_6detail15normal_iteratorINS6_10device_ptrIjEEEENSD_INSE_IiEEEENS6_16discard_iteratorINS6_11use_defaultEEESI_PmS8_NS6_8equal_toIjEEEE10hipError_tPvRmT2_T3_mT4_T5_T6_T7_T8_P12ihipStream_tbENKUlT_T0_E_clISt17integral_constantIbLb0EES16_EEDaS11_S12_EUlS11_E_NS1_11comp_targetILNS1_3genE0ELNS1_11target_archE4294967295ELNS1_3gpuE0ELNS1_3repE0EEENS1_30default_config_static_selectorELNS0_4arch9wavefront6targetE1EEEvT1_
		.amdhsa_group_segment_fixed_size 0
		.amdhsa_private_segment_fixed_size 0
		.amdhsa_kernarg_size 128
		.amdhsa_user_sgpr_count 6
		.amdhsa_user_sgpr_private_segment_buffer 1
		.amdhsa_user_sgpr_dispatch_ptr 0
		.amdhsa_user_sgpr_queue_ptr 0
		.amdhsa_user_sgpr_kernarg_segment_ptr 1
		.amdhsa_user_sgpr_dispatch_id 0
		.amdhsa_user_sgpr_flat_scratch_init 0
		.amdhsa_user_sgpr_kernarg_preload_length 0
		.amdhsa_user_sgpr_kernarg_preload_offset 0
		.amdhsa_user_sgpr_private_segment_size 0
		.amdhsa_uses_dynamic_stack 0
		.amdhsa_system_sgpr_private_segment_wavefront_offset 0
		.amdhsa_system_sgpr_workgroup_id_x 1
		.amdhsa_system_sgpr_workgroup_id_y 0
		.amdhsa_system_sgpr_workgroup_id_z 0
		.amdhsa_system_sgpr_workgroup_info 0
		.amdhsa_system_vgpr_workitem_id 0
		.amdhsa_next_free_vgpr 1
		.amdhsa_next_free_sgpr 0
		.amdhsa_accum_offset 4
		.amdhsa_reserve_vcc 0
		.amdhsa_reserve_flat_scratch 0
		.amdhsa_float_round_mode_32 0
		.amdhsa_float_round_mode_16_64 0
		.amdhsa_float_denorm_mode_32 3
		.amdhsa_float_denorm_mode_16_64 3
		.amdhsa_dx10_clamp 1
		.amdhsa_ieee_mode 1
		.amdhsa_fp16_overflow 0
		.amdhsa_tg_split 0
		.amdhsa_exception_fp_ieee_invalid_op 0
		.amdhsa_exception_fp_denorm_src 0
		.amdhsa_exception_fp_ieee_div_zero 0
		.amdhsa_exception_fp_ieee_overflow 0
		.amdhsa_exception_fp_ieee_underflow 0
		.amdhsa_exception_fp_ieee_inexact 0
		.amdhsa_exception_int_div_zero 0
	.end_amdhsa_kernel
	.section	.text._ZN7rocprim17ROCPRIM_400000_NS6detail17trampoline_kernelINS0_14default_configENS1_29reduce_by_key_config_selectorIjiN6thrust23THRUST_200600_302600_NS4plusIiEEEEZZNS1_33reduce_by_key_impl_wrapped_configILNS1_25lookback_scan_determinismE0ES3_S9_NS6_6detail15normal_iteratorINS6_10device_ptrIjEEEENSD_INSE_IiEEEENS6_16discard_iteratorINS6_11use_defaultEEESI_PmS8_NS6_8equal_toIjEEEE10hipError_tPvRmT2_T3_mT4_T5_T6_T7_T8_P12ihipStream_tbENKUlT_T0_E_clISt17integral_constantIbLb0EES16_EEDaS11_S12_EUlS11_E_NS1_11comp_targetILNS1_3genE0ELNS1_11target_archE4294967295ELNS1_3gpuE0ELNS1_3repE0EEENS1_30default_config_static_selectorELNS0_4arch9wavefront6targetE1EEEvT1_,"axG",@progbits,_ZN7rocprim17ROCPRIM_400000_NS6detail17trampoline_kernelINS0_14default_configENS1_29reduce_by_key_config_selectorIjiN6thrust23THRUST_200600_302600_NS4plusIiEEEEZZNS1_33reduce_by_key_impl_wrapped_configILNS1_25lookback_scan_determinismE0ES3_S9_NS6_6detail15normal_iteratorINS6_10device_ptrIjEEEENSD_INSE_IiEEEENS6_16discard_iteratorINS6_11use_defaultEEESI_PmS8_NS6_8equal_toIjEEEE10hipError_tPvRmT2_T3_mT4_T5_T6_T7_T8_P12ihipStream_tbENKUlT_T0_E_clISt17integral_constantIbLb0EES16_EEDaS11_S12_EUlS11_E_NS1_11comp_targetILNS1_3genE0ELNS1_11target_archE4294967295ELNS1_3gpuE0ELNS1_3repE0EEENS1_30default_config_static_selectorELNS0_4arch9wavefront6targetE1EEEvT1_,comdat
.Lfunc_end1021:
	.size	_ZN7rocprim17ROCPRIM_400000_NS6detail17trampoline_kernelINS0_14default_configENS1_29reduce_by_key_config_selectorIjiN6thrust23THRUST_200600_302600_NS4plusIiEEEEZZNS1_33reduce_by_key_impl_wrapped_configILNS1_25lookback_scan_determinismE0ES3_S9_NS6_6detail15normal_iteratorINS6_10device_ptrIjEEEENSD_INSE_IiEEEENS6_16discard_iteratorINS6_11use_defaultEEESI_PmS8_NS6_8equal_toIjEEEE10hipError_tPvRmT2_T3_mT4_T5_T6_T7_T8_P12ihipStream_tbENKUlT_T0_E_clISt17integral_constantIbLb0EES16_EEDaS11_S12_EUlS11_E_NS1_11comp_targetILNS1_3genE0ELNS1_11target_archE4294967295ELNS1_3gpuE0ELNS1_3repE0EEENS1_30default_config_static_selectorELNS0_4arch9wavefront6targetE1EEEvT1_, .Lfunc_end1021-_ZN7rocprim17ROCPRIM_400000_NS6detail17trampoline_kernelINS0_14default_configENS1_29reduce_by_key_config_selectorIjiN6thrust23THRUST_200600_302600_NS4plusIiEEEEZZNS1_33reduce_by_key_impl_wrapped_configILNS1_25lookback_scan_determinismE0ES3_S9_NS6_6detail15normal_iteratorINS6_10device_ptrIjEEEENSD_INSE_IiEEEENS6_16discard_iteratorINS6_11use_defaultEEESI_PmS8_NS6_8equal_toIjEEEE10hipError_tPvRmT2_T3_mT4_T5_T6_T7_T8_P12ihipStream_tbENKUlT_T0_E_clISt17integral_constantIbLb0EES16_EEDaS11_S12_EUlS11_E_NS1_11comp_targetILNS1_3genE0ELNS1_11target_archE4294967295ELNS1_3gpuE0ELNS1_3repE0EEENS1_30default_config_static_selectorELNS0_4arch9wavefront6targetE1EEEvT1_
                                        ; -- End function
	.section	.AMDGPU.csdata,"",@progbits
; Kernel info:
; codeLenInByte = 0
; NumSgprs: 4
; NumVgprs: 0
; NumAgprs: 0
; TotalNumVgprs: 0
; ScratchSize: 0
; MemoryBound: 0
; FloatMode: 240
; IeeeMode: 1
; LDSByteSize: 0 bytes/workgroup (compile time only)
; SGPRBlocks: 0
; VGPRBlocks: 0
; NumSGPRsForWavesPerEU: 4
; NumVGPRsForWavesPerEU: 1
; AccumOffset: 4
; Occupancy: 8
; WaveLimiterHint : 0
; COMPUTE_PGM_RSRC2:SCRATCH_EN: 0
; COMPUTE_PGM_RSRC2:USER_SGPR: 6
; COMPUTE_PGM_RSRC2:TRAP_HANDLER: 0
; COMPUTE_PGM_RSRC2:TGID_X_EN: 1
; COMPUTE_PGM_RSRC2:TGID_Y_EN: 0
; COMPUTE_PGM_RSRC2:TGID_Z_EN: 0
; COMPUTE_PGM_RSRC2:TIDIG_COMP_CNT: 0
; COMPUTE_PGM_RSRC3_GFX90A:ACCUM_OFFSET: 0
; COMPUTE_PGM_RSRC3_GFX90A:TG_SPLIT: 0
	.section	.text._ZN7rocprim17ROCPRIM_400000_NS6detail17trampoline_kernelINS0_14default_configENS1_29reduce_by_key_config_selectorIjiN6thrust23THRUST_200600_302600_NS4plusIiEEEEZZNS1_33reduce_by_key_impl_wrapped_configILNS1_25lookback_scan_determinismE0ES3_S9_NS6_6detail15normal_iteratorINS6_10device_ptrIjEEEENSD_INSE_IiEEEENS6_16discard_iteratorINS6_11use_defaultEEESI_PmS8_NS6_8equal_toIjEEEE10hipError_tPvRmT2_T3_mT4_T5_T6_T7_T8_P12ihipStream_tbENKUlT_T0_E_clISt17integral_constantIbLb0EES16_EEDaS11_S12_EUlS11_E_NS1_11comp_targetILNS1_3genE5ELNS1_11target_archE942ELNS1_3gpuE9ELNS1_3repE0EEENS1_30default_config_static_selectorELNS0_4arch9wavefront6targetE1EEEvT1_,"axG",@progbits,_ZN7rocprim17ROCPRIM_400000_NS6detail17trampoline_kernelINS0_14default_configENS1_29reduce_by_key_config_selectorIjiN6thrust23THRUST_200600_302600_NS4plusIiEEEEZZNS1_33reduce_by_key_impl_wrapped_configILNS1_25lookback_scan_determinismE0ES3_S9_NS6_6detail15normal_iteratorINS6_10device_ptrIjEEEENSD_INSE_IiEEEENS6_16discard_iteratorINS6_11use_defaultEEESI_PmS8_NS6_8equal_toIjEEEE10hipError_tPvRmT2_T3_mT4_T5_T6_T7_T8_P12ihipStream_tbENKUlT_T0_E_clISt17integral_constantIbLb0EES16_EEDaS11_S12_EUlS11_E_NS1_11comp_targetILNS1_3genE5ELNS1_11target_archE942ELNS1_3gpuE9ELNS1_3repE0EEENS1_30default_config_static_selectorELNS0_4arch9wavefront6targetE1EEEvT1_,comdat
	.protected	_ZN7rocprim17ROCPRIM_400000_NS6detail17trampoline_kernelINS0_14default_configENS1_29reduce_by_key_config_selectorIjiN6thrust23THRUST_200600_302600_NS4plusIiEEEEZZNS1_33reduce_by_key_impl_wrapped_configILNS1_25lookback_scan_determinismE0ES3_S9_NS6_6detail15normal_iteratorINS6_10device_ptrIjEEEENSD_INSE_IiEEEENS6_16discard_iteratorINS6_11use_defaultEEESI_PmS8_NS6_8equal_toIjEEEE10hipError_tPvRmT2_T3_mT4_T5_T6_T7_T8_P12ihipStream_tbENKUlT_T0_E_clISt17integral_constantIbLb0EES16_EEDaS11_S12_EUlS11_E_NS1_11comp_targetILNS1_3genE5ELNS1_11target_archE942ELNS1_3gpuE9ELNS1_3repE0EEENS1_30default_config_static_selectorELNS0_4arch9wavefront6targetE1EEEvT1_ ; -- Begin function _ZN7rocprim17ROCPRIM_400000_NS6detail17trampoline_kernelINS0_14default_configENS1_29reduce_by_key_config_selectorIjiN6thrust23THRUST_200600_302600_NS4plusIiEEEEZZNS1_33reduce_by_key_impl_wrapped_configILNS1_25lookback_scan_determinismE0ES3_S9_NS6_6detail15normal_iteratorINS6_10device_ptrIjEEEENSD_INSE_IiEEEENS6_16discard_iteratorINS6_11use_defaultEEESI_PmS8_NS6_8equal_toIjEEEE10hipError_tPvRmT2_T3_mT4_T5_T6_T7_T8_P12ihipStream_tbENKUlT_T0_E_clISt17integral_constantIbLb0EES16_EEDaS11_S12_EUlS11_E_NS1_11comp_targetILNS1_3genE5ELNS1_11target_archE942ELNS1_3gpuE9ELNS1_3repE0EEENS1_30default_config_static_selectorELNS0_4arch9wavefront6targetE1EEEvT1_
	.globl	_ZN7rocprim17ROCPRIM_400000_NS6detail17trampoline_kernelINS0_14default_configENS1_29reduce_by_key_config_selectorIjiN6thrust23THRUST_200600_302600_NS4plusIiEEEEZZNS1_33reduce_by_key_impl_wrapped_configILNS1_25lookback_scan_determinismE0ES3_S9_NS6_6detail15normal_iteratorINS6_10device_ptrIjEEEENSD_INSE_IiEEEENS6_16discard_iteratorINS6_11use_defaultEEESI_PmS8_NS6_8equal_toIjEEEE10hipError_tPvRmT2_T3_mT4_T5_T6_T7_T8_P12ihipStream_tbENKUlT_T0_E_clISt17integral_constantIbLb0EES16_EEDaS11_S12_EUlS11_E_NS1_11comp_targetILNS1_3genE5ELNS1_11target_archE942ELNS1_3gpuE9ELNS1_3repE0EEENS1_30default_config_static_selectorELNS0_4arch9wavefront6targetE1EEEvT1_
	.p2align	8
	.type	_ZN7rocprim17ROCPRIM_400000_NS6detail17trampoline_kernelINS0_14default_configENS1_29reduce_by_key_config_selectorIjiN6thrust23THRUST_200600_302600_NS4plusIiEEEEZZNS1_33reduce_by_key_impl_wrapped_configILNS1_25lookback_scan_determinismE0ES3_S9_NS6_6detail15normal_iteratorINS6_10device_ptrIjEEEENSD_INSE_IiEEEENS6_16discard_iteratorINS6_11use_defaultEEESI_PmS8_NS6_8equal_toIjEEEE10hipError_tPvRmT2_T3_mT4_T5_T6_T7_T8_P12ihipStream_tbENKUlT_T0_E_clISt17integral_constantIbLb0EES16_EEDaS11_S12_EUlS11_E_NS1_11comp_targetILNS1_3genE5ELNS1_11target_archE942ELNS1_3gpuE9ELNS1_3repE0EEENS1_30default_config_static_selectorELNS0_4arch9wavefront6targetE1EEEvT1_,@function
_ZN7rocprim17ROCPRIM_400000_NS6detail17trampoline_kernelINS0_14default_configENS1_29reduce_by_key_config_selectorIjiN6thrust23THRUST_200600_302600_NS4plusIiEEEEZZNS1_33reduce_by_key_impl_wrapped_configILNS1_25lookback_scan_determinismE0ES3_S9_NS6_6detail15normal_iteratorINS6_10device_ptrIjEEEENSD_INSE_IiEEEENS6_16discard_iteratorINS6_11use_defaultEEESI_PmS8_NS6_8equal_toIjEEEE10hipError_tPvRmT2_T3_mT4_T5_T6_T7_T8_P12ihipStream_tbENKUlT_T0_E_clISt17integral_constantIbLb0EES16_EEDaS11_S12_EUlS11_E_NS1_11comp_targetILNS1_3genE5ELNS1_11target_archE942ELNS1_3gpuE9ELNS1_3repE0EEENS1_30default_config_static_selectorELNS0_4arch9wavefront6targetE1EEEvT1_: ; @_ZN7rocprim17ROCPRIM_400000_NS6detail17trampoline_kernelINS0_14default_configENS1_29reduce_by_key_config_selectorIjiN6thrust23THRUST_200600_302600_NS4plusIiEEEEZZNS1_33reduce_by_key_impl_wrapped_configILNS1_25lookback_scan_determinismE0ES3_S9_NS6_6detail15normal_iteratorINS6_10device_ptrIjEEEENSD_INSE_IiEEEENS6_16discard_iteratorINS6_11use_defaultEEESI_PmS8_NS6_8equal_toIjEEEE10hipError_tPvRmT2_T3_mT4_T5_T6_T7_T8_P12ihipStream_tbENKUlT_T0_E_clISt17integral_constantIbLb0EES16_EEDaS11_S12_EUlS11_E_NS1_11comp_targetILNS1_3genE5ELNS1_11target_archE942ELNS1_3gpuE9ELNS1_3repE0EEENS1_30default_config_static_selectorELNS0_4arch9wavefront6targetE1EEEvT1_
; %bb.0:
	.section	.rodata,"a",@progbits
	.p2align	6, 0x0
	.amdhsa_kernel _ZN7rocprim17ROCPRIM_400000_NS6detail17trampoline_kernelINS0_14default_configENS1_29reduce_by_key_config_selectorIjiN6thrust23THRUST_200600_302600_NS4plusIiEEEEZZNS1_33reduce_by_key_impl_wrapped_configILNS1_25lookback_scan_determinismE0ES3_S9_NS6_6detail15normal_iteratorINS6_10device_ptrIjEEEENSD_INSE_IiEEEENS6_16discard_iteratorINS6_11use_defaultEEESI_PmS8_NS6_8equal_toIjEEEE10hipError_tPvRmT2_T3_mT4_T5_T6_T7_T8_P12ihipStream_tbENKUlT_T0_E_clISt17integral_constantIbLb0EES16_EEDaS11_S12_EUlS11_E_NS1_11comp_targetILNS1_3genE5ELNS1_11target_archE942ELNS1_3gpuE9ELNS1_3repE0EEENS1_30default_config_static_selectorELNS0_4arch9wavefront6targetE1EEEvT1_
		.amdhsa_group_segment_fixed_size 0
		.amdhsa_private_segment_fixed_size 0
		.amdhsa_kernarg_size 128
		.amdhsa_user_sgpr_count 6
		.amdhsa_user_sgpr_private_segment_buffer 1
		.amdhsa_user_sgpr_dispatch_ptr 0
		.amdhsa_user_sgpr_queue_ptr 0
		.amdhsa_user_sgpr_kernarg_segment_ptr 1
		.amdhsa_user_sgpr_dispatch_id 0
		.amdhsa_user_sgpr_flat_scratch_init 0
		.amdhsa_user_sgpr_kernarg_preload_length 0
		.amdhsa_user_sgpr_kernarg_preload_offset 0
		.amdhsa_user_sgpr_private_segment_size 0
		.amdhsa_uses_dynamic_stack 0
		.amdhsa_system_sgpr_private_segment_wavefront_offset 0
		.amdhsa_system_sgpr_workgroup_id_x 1
		.amdhsa_system_sgpr_workgroup_id_y 0
		.amdhsa_system_sgpr_workgroup_id_z 0
		.amdhsa_system_sgpr_workgroup_info 0
		.amdhsa_system_vgpr_workitem_id 0
		.amdhsa_next_free_vgpr 1
		.amdhsa_next_free_sgpr 0
		.amdhsa_accum_offset 4
		.amdhsa_reserve_vcc 0
		.amdhsa_reserve_flat_scratch 0
		.amdhsa_float_round_mode_32 0
		.amdhsa_float_round_mode_16_64 0
		.amdhsa_float_denorm_mode_32 3
		.amdhsa_float_denorm_mode_16_64 3
		.amdhsa_dx10_clamp 1
		.amdhsa_ieee_mode 1
		.amdhsa_fp16_overflow 0
		.amdhsa_tg_split 0
		.amdhsa_exception_fp_ieee_invalid_op 0
		.amdhsa_exception_fp_denorm_src 0
		.amdhsa_exception_fp_ieee_div_zero 0
		.amdhsa_exception_fp_ieee_overflow 0
		.amdhsa_exception_fp_ieee_underflow 0
		.amdhsa_exception_fp_ieee_inexact 0
		.amdhsa_exception_int_div_zero 0
	.end_amdhsa_kernel
	.section	.text._ZN7rocprim17ROCPRIM_400000_NS6detail17trampoline_kernelINS0_14default_configENS1_29reduce_by_key_config_selectorIjiN6thrust23THRUST_200600_302600_NS4plusIiEEEEZZNS1_33reduce_by_key_impl_wrapped_configILNS1_25lookback_scan_determinismE0ES3_S9_NS6_6detail15normal_iteratorINS6_10device_ptrIjEEEENSD_INSE_IiEEEENS6_16discard_iteratorINS6_11use_defaultEEESI_PmS8_NS6_8equal_toIjEEEE10hipError_tPvRmT2_T3_mT4_T5_T6_T7_T8_P12ihipStream_tbENKUlT_T0_E_clISt17integral_constantIbLb0EES16_EEDaS11_S12_EUlS11_E_NS1_11comp_targetILNS1_3genE5ELNS1_11target_archE942ELNS1_3gpuE9ELNS1_3repE0EEENS1_30default_config_static_selectorELNS0_4arch9wavefront6targetE1EEEvT1_,"axG",@progbits,_ZN7rocprim17ROCPRIM_400000_NS6detail17trampoline_kernelINS0_14default_configENS1_29reduce_by_key_config_selectorIjiN6thrust23THRUST_200600_302600_NS4plusIiEEEEZZNS1_33reduce_by_key_impl_wrapped_configILNS1_25lookback_scan_determinismE0ES3_S9_NS6_6detail15normal_iteratorINS6_10device_ptrIjEEEENSD_INSE_IiEEEENS6_16discard_iteratorINS6_11use_defaultEEESI_PmS8_NS6_8equal_toIjEEEE10hipError_tPvRmT2_T3_mT4_T5_T6_T7_T8_P12ihipStream_tbENKUlT_T0_E_clISt17integral_constantIbLb0EES16_EEDaS11_S12_EUlS11_E_NS1_11comp_targetILNS1_3genE5ELNS1_11target_archE942ELNS1_3gpuE9ELNS1_3repE0EEENS1_30default_config_static_selectorELNS0_4arch9wavefront6targetE1EEEvT1_,comdat
.Lfunc_end1022:
	.size	_ZN7rocprim17ROCPRIM_400000_NS6detail17trampoline_kernelINS0_14default_configENS1_29reduce_by_key_config_selectorIjiN6thrust23THRUST_200600_302600_NS4plusIiEEEEZZNS1_33reduce_by_key_impl_wrapped_configILNS1_25lookback_scan_determinismE0ES3_S9_NS6_6detail15normal_iteratorINS6_10device_ptrIjEEEENSD_INSE_IiEEEENS6_16discard_iteratorINS6_11use_defaultEEESI_PmS8_NS6_8equal_toIjEEEE10hipError_tPvRmT2_T3_mT4_T5_T6_T7_T8_P12ihipStream_tbENKUlT_T0_E_clISt17integral_constantIbLb0EES16_EEDaS11_S12_EUlS11_E_NS1_11comp_targetILNS1_3genE5ELNS1_11target_archE942ELNS1_3gpuE9ELNS1_3repE0EEENS1_30default_config_static_selectorELNS0_4arch9wavefront6targetE1EEEvT1_, .Lfunc_end1022-_ZN7rocprim17ROCPRIM_400000_NS6detail17trampoline_kernelINS0_14default_configENS1_29reduce_by_key_config_selectorIjiN6thrust23THRUST_200600_302600_NS4plusIiEEEEZZNS1_33reduce_by_key_impl_wrapped_configILNS1_25lookback_scan_determinismE0ES3_S9_NS6_6detail15normal_iteratorINS6_10device_ptrIjEEEENSD_INSE_IiEEEENS6_16discard_iteratorINS6_11use_defaultEEESI_PmS8_NS6_8equal_toIjEEEE10hipError_tPvRmT2_T3_mT4_T5_T6_T7_T8_P12ihipStream_tbENKUlT_T0_E_clISt17integral_constantIbLb0EES16_EEDaS11_S12_EUlS11_E_NS1_11comp_targetILNS1_3genE5ELNS1_11target_archE942ELNS1_3gpuE9ELNS1_3repE0EEENS1_30default_config_static_selectorELNS0_4arch9wavefront6targetE1EEEvT1_
                                        ; -- End function
	.section	.AMDGPU.csdata,"",@progbits
; Kernel info:
; codeLenInByte = 0
; NumSgprs: 4
; NumVgprs: 0
; NumAgprs: 0
; TotalNumVgprs: 0
; ScratchSize: 0
; MemoryBound: 0
; FloatMode: 240
; IeeeMode: 1
; LDSByteSize: 0 bytes/workgroup (compile time only)
; SGPRBlocks: 0
; VGPRBlocks: 0
; NumSGPRsForWavesPerEU: 4
; NumVGPRsForWavesPerEU: 1
; AccumOffset: 4
; Occupancy: 8
; WaveLimiterHint : 0
; COMPUTE_PGM_RSRC2:SCRATCH_EN: 0
; COMPUTE_PGM_RSRC2:USER_SGPR: 6
; COMPUTE_PGM_RSRC2:TRAP_HANDLER: 0
; COMPUTE_PGM_RSRC2:TGID_X_EN: 1
; COMPUTE_PGM_RSRC2:TGID_Y_EN: 0
; COMPUTE_PGM_RSRC2:TGID_Z_EN: 0
; COMPUTE_PGM_RSRC2:TIDIG_COMP_CNT: 0
; COMPUTE_PGM_RSRC3_GFX90A:ACCUM_OFFSET: 0
; COMPUTE_PGM_RSRC3_GFX90A:TG_SPLIT: 0
	.section	.text._ZN7rocprim17ROCPRIM_400000_NS6detail17trampoline_kernelINS0_14default_configENS1_29reduce_by_key_config_selectorIjiN6thrust23THRUST_200600_302600_NS4plusIiEEEEZZNS1_33reduce_by_key_impl_wrapped_configILNS1_25lookback_scan_determinismE0ES3_S9_NS6_6detail15normal_iteratorINS6_10device_ptrIjEEEENSD_INSE_IiEEEENS6_16discard_iteratorINS6_11use_defaultEEESI_PmS8_NS6_8equal_toIjEEEE10hipError_tPvRmT2_T3_mT4_T5_T6_T7_T8_P12ihipStream_tbENKUlT_T0_E_clISt17integral_constantIbLb0EES16_EEDaS11_S12_EUlS11_E_NS1_11comp_targetILNS1_3genE4ELNS1_11target_archE910ELNS1_3gpuE8ELNS1_3repE0EEENS1_30default_config_static_selectorELNS0_4arch9wavefront6targetE1EEEvT1_,"axG",@progbits,_ZN7rocprim17ROCPRIM_400000_NS6detail17trampoline_kernelINS0_14default_configENS1_29reduce_by_key_config_selectorIjiN6thrust23THRUST_200600_302600_NS4plusIiEEEEZZNS1_33reduce_by_key_impl_wrapped_configILNS1_25lookback_scan_determinismE0ES3_S9_NS6_6detail15normal_iteratorINS6_10device_ptrIjEEEENSD_INSE_IiEEEENS6_16discard_iteratorINS6_11use_defaultEEESI_PmS8_NS6_8equal_toIjEEEE10hipError_tPvRmT2_T3_mT4_T5_T6_T7_T8_P12ihipStream_tbENKUlT_T0_E_clISt17integral_constantIbLb0EES16_EEDaS11_S12_EUlS11_E_NS1_11comp_targetILNS1_3genE4ELNS1_11target_archE910ELNS1_3gpuE8ELNS1_3repE0EEENS1_30default_config_static_selectorELNS0_4arch9wavefront6targetE1EEEvT1_,comdat
	.protected	_ZN7rocprim17ROCPRIM_400000_NS6detail17trampoline_kernelINS0_14default_configENS1_29reduce_by_key_config_selectorIjiN6thrust23THRUST_200600_302600_NS4plusIiEEEEZZNS1_33reduce_by_key_impl_wrapped_configILNS1_25lookback_scan_determinismE0ES3_S9_NS6_6detail15normal_iteratorINS6_10device_ptrIjEEEENSD_INSE_IiEEEENS6_16discard_iteratorINS6_11use_defaultEEESI_PmS8_NS6_8equal_toIjEEEE10hipError_tPvRmT2_T3_mT4_T5_T6_T7_T8_P12ihipStream_tbENKUlT_T0_E_clISt17integral_constantIbLb0EES16_EEDaS11_S12_EUlS11_E_NS1_11comp_targetILNS1_3genE4ELNS1_11target_archE910ELNS1_3gpuE8ELNS1_3repE0EEENS1_30default_config_static_selectorELNS0_4arch9wavefront6targetE1EEEvT1_ ; -- Begin function _ZN7rocprim17ROCPRIM_400000_NS6detail17trampoline_kernelINS0_14default_configENS1_29reduce_by_key_config_selectorIjiN6thrust23THRUST_200600_302600_NS4plusIiEEEEZZNS1_33reduce_by_key_impl_wrapped_configILNS1_25lookback_scan_determinismE0ES3_S9_NS6_6detail15normal_iteratorINS6_10device_ptrIjEEEENSD_INSE_IiEEEENS6_16discard_iteratorINS6_11use_defaultEEESI_PmS8_NS6_8equal_toIjEEEE10hipError_tPvRmT2_T3_mT4_T5_T6_T7_T8_P12ihipStream_tbENKUlT_T0_E_clISt17integral_constantIbLb0EES16_EEDaS11_S12_EUlS11_E_NS1_11comp_targetILNS1_3genE4ELNS1_11target_archE910ELNS1_3gpuE8ELNS1_3repE0EEENS1_30default_config_static_selectorELNS0_4arch9wavefront6targetE1EEEvT1_
	.globl	_ZN7rocprim17ROCPRIM_400000_NS6detail17trampoline_kernelINS0_14default_configENS1_29reduce_by_key_config_selectorIjiN6thrust23THRUST_200600_302600_NS4plusIiEEEEZZNS1_33reduce_by_key_impl_wrapped_configILNS1_25lookback_scan_determinismE0ES3_S9_NS6_6detail15normal_iteratorINS6_10device_ptrIjEEEENSD_INSE_IiEEEENS6_16discard_iteratorINS6_11use_defaultEEESI_PmS8_NS6_8equal_toIjEEEE10hipError_tPvRmT2_T3_mT4_T5_T6_T7_T8_P12ihipStream_tbENKUlT_T0_E_clISt17integral_constantIbLb0EES16_EEDaS11_S12_EUlS11_E_NS1_11comp_targetILNS1_3genE4ELNS1_11target_archE910ELNS1_3gpuE8ELNS1_3repE0EEENS1_30default_config_static_selectorELNS0_4arch9wavefront6targetE1EEEvT1_
	.p2align	8
	.type	_ZN7rocprim17ROCPRIM_400000_NS6detail17trampoline_kernelINS0_14default_configENS1_29reduce_by_key_config_selectorIjiN6thrust23THRUST_200600_302600_NS4plusIiEEEEZZNS1_33reduce_by_key_impl_wrapped_configILNS1_25lookback_scan_determinismE0ES3_S9_NS6_6detail15normal_iteratorINS6_10device_ptrIjEEEENSD_INSE_IiEEEENS6_16discard_iteratorINS6_11use_defaultEEESI_PmS8_NS6_8equal_toIjEEEE10hipError_tPvRmT2_T3_mT4_T5_T6_T7_T8_P12ihipStream_tbENKUlT_T0_E_clISt17integral_constantIbLb0EES16_EEDaS11_S12_EUlS11_E_NS1_11comp_targetILNS1_3genE4ELNS1_11target_archE910ELNS1_3gpuE8ELNS1_3repE0EEENS1_30default_config_static_selectorELNS0_4arch9wavefront6targetE1EEEvT1_,@function
_ZN7rocprim17ROCPRIM_400000_NS6detail17trampoline_kernelINS0_14default_configENS1_29reduce_by_key_config_selectorIjiN6thrust23THRUST_200600_302600_NS4plusIiEEEEZZNS1_33reduce_by_key_impl_wrapped_configILNS1_25lookback_scan_determinismE0ES3_S9_NS6_6detail15normal_iteratorINS6_10device_ptrIjEEEENSD_INSE_IiEEEENS6_16discard_iteratorINS6_11use_defaultEEESI_PmS8_NS6_8equal_toIjEEEE10hipError_tPvRmT2_T3_mT4_T5_T6_T7_T8_P12ihipStream_tbENKUlT_T0_E_clISt17integral_constantIbLb0EES16_EEDaS11_S12_EUlS11_E_NS1_11comp_targetILNS1_3genE4ELNS1_11target_archE910ELNS1_3gpuE8ELNS1_3repE0EEENS1_30default_config_static_selectorELNS0_4arch9wavefront6targetE1EEEvT1_: ; @_ZN7rocprim17ROCPRIM_400000_NS6detail17trampoline_kernelINS0_14default_configENS1_29reduce_by_key_config_selectorIjiN6thrust23THRUST_200600_302600_NS4plusIiEEEEZZNS1_33reduce_by_key_impl_wrapped_configILNS1_25lookback_scan_determinismE0ES3_S9_NS6_6detail15normal_iteratorINS6_10device_ptrIjEEEENSD_INSE_IiEEEENS6_16discard_iteratorINS6_11use_defaultEEESI_PmS8_NS6_8equal_toIjEEEE10hipError_tPvRmT2_T3_mT4_T5_T6_T7_T8_P12ihipStream_tbENKUlT_T0_E_clISt17integral_constantIbLb0EES16_EEDaS11_S12_EUlS11_E_NS1_11comp_targetILNS1_3genE4ELNS1_11target_archE910ELNS1_3gpuE8ELNS1_3repE0EEENS1_30default_config_static_selectorELNS0_4arch9wavefront6targetE1EEEvT1_
; %bb.0:
	s_load_dwordx4 s[0:3], s[4:5], 0x0
	s_load_dwordx2 s[8:9], s[4:5], 0x10
	s_load_dwordx2 s[50:51], s[4:5], 0x70
	s_load_dwordx4 s[44:47], s[4:5], 0x60
	s_load_dwordx8 s[36:43], s[4:5], 0x40
	s_waitcnt lgkmcnt(0)
	s_lshl_b64 s[2:3], s[2:3], 2
	s_add_u32 s7, s0, s2
	s_addc_u32 s10, s1, s3
	s_add_u32 s2, s8, s2
	s_mul_i32 s0, s40, s39
	s_mul_hi_u32 s1, s40, s38
	s_addc_u32 s3, s9, s3
	s_add_i32 s0, s1, s0
	s_mul_i32 s1, s41, s38
	s_add_i32 s8, s0, s1
	s_mul_i32 s0, s6, 0xf00
	s_mov_b32 s1, 0
	s_lshl_b64 s[0:1], s[0:1], 2
	s_add_u32 s7, s7, s0
	s_addc_u32 s58, s10, s1
	s_add_u32 s56, s2, s0
	s_mul_i32 s9, s40, s38
	s_addc_u32 s57, s3, s1
	s_add_u32 s52, s9, s6
	s_addc_u32 s53, s8, 0
	s_add_u32 s2, s42, -1
	s_addc_u32 s3, s43, -1
	s_cmp_eq_u64 s[52:53], s[2:3]
	s_cselect_b64 s[48:49], -1, 0
	s_cmp_lg_u64 s[52:53], s[2:3]
	s_mov_b64 s[0:1], -1
	s_cselect_b64 s[54:55], -1, 0
	s_mul_i32 s33, s2, 0xfffff100
	s_and_b64 vcc, exec, s[48:49]
	s_cbranch_vccnz .LBB1023_2
; %bb.1:
	v_lshlrev_b32_e32 v24, 2, v0
	v_mov_b32_e32 v1, s58
	v_add_co_u32_e32 v2, vcc, s7, v24
	v_addc_co_u32_e32 v3, vcc, 0, v1, vcc
	v_add_co_u32_e32 v4, vcc, 0x1000, v2
	v_addc_co_u32_e32 v5, vcc, 0, v3, vcc
	flat_load_dword v1, v[2:3]
	flat_load_dword v8, v[2:3] offset:1024
	flat_load_dword v9, v[2:3] offset:2048
	;; [unrolled: 1-line block ×3, first 2 shown]
	flat_load_dword v11, v[4:5]
	flat_load_dword v12, v[4:5] offset:1024
	flat_load_dword v13, v[4:5] offset:2048
	;; [unrolled: 1-line block ×3, first 2 shown]
	v_add_co_u32_e32 v4, vcc, 0x2000, v2
	v_addc_co_u32_e32 v5, vcc, 0, v3, vcc
	v_add_co_u32_e32 v2, vcc, 0x3000, v2
	v_addc_co_u32_e32 v3, vcc, 0, v3, vcc
	flat_load_dword v15, v[4:5]
	flat_load_dword v16, v[4:5] offset:1024
	flat_load_dword v17, v[4:5] offset:2048
	;; [unrolled: 1-line block ×3, first 2 shown]
	flat_load_dword v19, v[2:3]
	flat_load_dword v20, v[2:3] offset:1024
	flat_load_dword v21, v[2:3] offset:2048
	v_mov_b32_e32 v3, s57
	v_add_co_u32_e32 v2, vcc, s56, v24
	s_movk_i32 s0, 0x1000
	v_addc_co_u32_e32 v3, vcc, 0, v3, vcc
	v_add_co_u32_e32 v4, vcc, s0, v2
	s_movk_i32 s1, 0x2000
	v_addc_co_u32_e32 v5, vcc, 0, v3, vcc
	;; [unrolled: 3-line block ×3, first 2 shown]
	v_mad_u32_u24 v38, v0, 56, v24
	v_add_co_u32_e32 v22, vcc, s2, v2
	v_addc_co_u32_e32 v23, vcc, 0, v3, vcc
	s_waitcnt vmcnt(0) lgkmcnt(0)
	ds_write2st64_b32 v24, v1, v8 offset1:4
	ds_write2st64_b32 v24, v9, v10 offset0:8 offset1:12
	ds_write2st64_b32 v24, v11, v12 offset0:16 offset1:20
	;; [unrolled: 1-line block ×6, first 2 shown]
	ds_write_b32 v24, v21 offset:14336
	s_waitcnt lgkmcnt(0)
	s_barrier
	ds_read2_b32 v[20:21], v38 offset1:1
	ds_read2_b32 v[18:19], v38 offset0:2 offset1:3
	ds_read2_b32 v[16:17], v38 offset0:4 offset1:5
	;; [unrolled: 1-line block ×6, first 2 shown]
	ds_read_b32 v1, v38 offset:56
	s_waitcnt lgkmcnt(0)
	s_barrier
	flat_load_dword v25, v[2:3]
	flat_load_dword v26, v[2:3] offset:1024
	flat_load_dword v27, v[2:3] offset:2048
	flat_load_dword v28, v[2:3] offset:3072
	flat_load_dword v29, v[4:5]
	flat_load_dword v30, v[4:5] offset:1024
	flat_load_dword v31, v[4:5] offset:2048
	flat_load_dword v32, v[4:5] offset:3072
	;; [unrolled: 4-line block ×3, first 2 shown]
	flat_load_dword v40, v[22:23]
	flat_load_dword v41, v[22:23] offset:1024
	flat_load_dword v42, v[22:23] offset:2048
	v_mov_b32_e32 v36, v20
	v_mov_b32_e32 v37, v18
	;; [unrolled: 1-line block ×7, first 2 shown]
	s_waitcnt vmcnt(0) lgkmcnt(0)
	ds_write2st64_b32 v24, v25, v26 offset1:4
	ds_write2st64_b32 v24, v27, v28 offset0:8 offset1:12
	ds_write2st64_b32 v24, v29, v30 offset0:16 offset1:20
	ds_write2st64_b32 v24, v31, v32 offset0:24 offset1:28
	ds_write2st64_b32 v24, v33, v34 offset0:32 offset1:36
	ds_write2st64_b32 v24, v35, v39 offset0:40 offset1:44
	ds_write2st64_b32 v24, v40, v41 offset0:48 offset1:52
	ds_write_b32 v24, v42 offset:14336
	s_waitcnt lgkmcnt(0)
	s_barrier
	s_add_i32 s33, s33, s44
	s_cbranch_execz .LBB1023_3
	s_branch .LBB1023_50
.LBB1023_2:
                                        ; implicit-def: $vgpr1
                                        ; implicit-def: $vgpr8
                                        ; implicit-def: $vgpr10
                                        ; implicit-def: $vgpr12
                                        ; implicit-def: $vgpr14
                                        ; implicit-def: $vgpr16
                                        ; implicit-def: $vgpr18
                                        ; implicit-def: $vgpr20
                                        ; implicit-def: $vgpr38
                                        ; implicit-def: $vgpr2_vgpr3
                                        ; implicit-def: $vgpr4_vgpr5
                                        ; implicit-def: $vgpr36_vgpr37
                                        ; implicit-def: $vgpr6_vgpr7
	s_andn2_b64 vcc, exec, s[0:1]
	s_add_i32 s33, s33, s44
	s_cbranch_vccnz .LBB1023_50
.LBB1023_3:
	v_cmp_gt_u32_e32 vcc, s33, v0
                                        ; implicit-def: $vgpr1
	s_and_saveexec_b64 s[2:3], vcc
	s_cbranch_execz .LBB1023_5
; %bb.4:
	v_lshlrev_b32_e32 v1, 2, v0
	v_mov_b32_e32 v3, s58
	v_add_co_u32_e64 v2, s[0:1], s7, v1
	v_addc_co_u32_e64 v3, s[0:1], 0, v3, s[0:1]
	flat_load_dword v1, v[2:3]
.LBB1023_5:
	s_or_b64 exec, exec, s[2:3]
	v_or_b32_e32 v2, 0x100, v0
	v_cmp_gt_u32_e64 s[0:1], s33, v2
                                        ; implicit-def: $vgpr8
	s_and_saveexec_b64 s[8:9], s[0:1]
	s_cbranch_execz .LBB1023_7
; %bb.6:
	v_lshlrev_b32_e32 v2, 2, v0
	v_mov_b32_e32 v3, s58
	v_add_co_u32_e64 v2, s[2:3], s7, v2
	v_addc_co_u32_e64 v3, s[2:3], 0, v3, s[2:3]
	flat_load_dword v8, v[2:3] offset:1024
.LBB1023_7:
	s_or_b64 exec, exec, s[8:9]
	v_or_b32_e32 v2, 0x200, v0
	v_cmp_gt_u32_e64 s[2:3], s33, v2
                                        ; implicit-def: $vgpr9
	s_and_saveexec_b64 s[10:11], s[2:3]
	s_cbranch_execz .LBB1023_9
; %bb.8:
	v_lshlrev_b32_e32 v2, 2, v0
	v_mov_b32_e32 v3, s58
	v_add_co_u32_e64 v2, s[8:9], s7, v2
	v_addc_co_u32_e64 v3, s[8:9], 0, v3, s[8:9]
	flat_load_dword v9, v[2:3] offset:2048
.LBB1023_9:
	s_or_b64 exec, exec, s[10:11]
	v_or_b32_e32 v2, 0x300, v0
	v_cmp_gt_u32_e64 s[30:31], s33, v2
                                        ; implicit-def: $vgpr10
	s_and_saveexec_b64 s[10:11], s[30:31]
	s_cbranch_execz .LBB1023_11
; %bb.10:
	v_lshlrev_b32_e32 v2, 2, v0
	v_mov_b32_e32 v3, s58
	v_add_co_u32_e64 v2, s[8:9], s7, v2
	v_addc_co_u32_e64 v3, s[8:9], 0, v3, s[8:9]
	flat_load_dword v10, v[2:3] offset:3072
.LBB1023_11:
	s_or_b64 exec, exec, s[10:11]
	v_or_b32_e32 v2, 0x400, v0
	v_cmp_gt_u32_e64 s[8:9], s33, v2
	v_lshlrev_b32_e32 v2, 2, v2
                                        ; implicit-def: $vgpr11
	s_and_saveexec_b64 s[12:13], s[8:9]
	s_cbranch_execz .LBB1023_13
; %bb.12:
	v_mov_b32_e32 v3, s58
	v_add_co_u32_e64 v4, s[10:11], s7, v2
	v_addc_co_u32_e64 v5, s[10:11], 0, v3, s[10:11]
	flat_load_dword v11, v[4:5]
.LBB1023_13:
	s_or_b64 exec, exec, s[12:13]
	v_or_b32_e32 v3, 0x500, v0
	v_cmp_gt_u32_e64 s[10:11], s33, v3
	v_lshlrev_b32_e32 v3, 2, v3
                                        ; implicit-def: $vgpr12
	s_and_saveexec_b64 s[14:15], s[10:11]
	s_cbranch_execz .LBB1023_15
; %bb.14:
	v_mov_b32_e32 v5, s58
	v_add_co_u32_e64 v4, s[12:13], s7, v3
	v_addc_co_u32_e64 v5, s[12:13], 0, v5, s[12:13]
	flat_load_dword v12, v[4:5]
.LBB1023_15:
	s_or_b64 exec, exec, s[14:15]
	v_or_b32_e32 v4, 0x600, v0
	v_cmp_gt_u32_e64 s[12:13], s33, v4
	v_lshlrev_b32_e32 v4, 2, v4
                                        ; implicit-def: $vgpr13
	s_and_saveexec_b64 s[16:17], s[12:13]
	s_cbranch_execz .LBB1023_17
; %bb.16:
	v_mov_b32_e32 v5, s58
	v_add_co_u32_e64 v6, s[14:15], s7, v4
	v_addc_co_u32_e64 v7, s[14:15], 0, v5, s[14:15]
	flat_load_dword v13, v[6:7]
.LBB1023_17:
	s_or_b64 exec, exec, s[16:17]
	v_or_b32_e32 v5, 0x700, v0
	v_cmp_gt_u32_e64 s[14:15], s33, v5
	v_lshlrev_b32_e32 v5, 2, v5
                                        ; implicit-def: $vgpr14
	s_and_saveexec_b64 s[18:19], s[14:15]
	s_cbranch_execz .LBB1023_19
; %bb.18:
	v_mov_b32_e32 v7, s58
	v_add_co_u32_e64 v6, s[16:17], s7, v5
	v_addc_co_u32_e64 v7, s[16:17], 0, v7, s[16:17]
	flat_load_dword v14, v[6:7]
.LBB1023_19:
	s_or_b64 exec, exec, s[18:19]
	v_or_b32_e32 v6, 0x800, v0
	v_cmp_gt_u32_e64 s[16:17], s33, v6
	v_lshlrev_b32_e32 v6, 2, v6
                                        ; implicit-def: $vgpr15
	s_and_saveexec_b64 s[20:21], s[16:17]
	s_cbranch_execz .LBB1023_21
; %bb.20:
	v_mov_b32_e32 v7, s58
	v_add_co_u32_e64 v16, s[18:19], s7, v6
	v_addc_co_u32_e64 v17, s[18:19], 0, v7, s[18:19]
	flat_load_dword v15, v[16:17]
.LBB1023_21:
	s_or_b64 exec, exec, s[20:21]
	v_or_b32_e32 v7, 0x900, v0
	v_cmp_gt_u32_e64 s[18:19], s33, v7
	v_lshlrev_b32_e32 v7, 2, v7
                                        ; implicit-def: $vgpr16
	s_and_saveexec_b64 s[22:23], s[18:19]
	s_cbranch_execz .LBB1023_23
; %bb.22:
	v_mov_b32_e32 v17, s58
	v_add_co_u32_e64 v16, s[20:21], s7, v7
	v_addc_co_u32_e64 v17, s[20:21], 0, v17, s[20:21]
	flat_load_dword v16, v[16:17]
.LBB1023_23:
	s_or_b64 exec, exec, s[22:23]
	v_or_b32_e32 v17, 0xa00, v0
	v_cmp_gt_u32_e64 s[20:21], s33, v17
	v_lshlrev_b32_e32 v22, 2, v17
                                        ; implicit-def: $vgpr17
	s_and_saveexec_b64 s[24:25], s[20:21]
	s_cbranch_execz .LBB1023_25
; %bb.24:
	v_mov_b32_e32 v17, s58
	v_add_co_u32_e64 v18, s[22:23], s7, v22
	v_addc_co_u32_e64 v19, s[22:23], 0, v17, s[22:23]
	flat_load_dword v17, v[18:19]
.LBB1023_25:
	s_or_b64 exec, exec, s[24:25]
	v_or_b32_e32 v18, 0xb00, v0
	v_cmp_gt_u32_e64 s[22:23], s33, v18
	v_lshlrev_b32_e32 v24, 2, v18
                                        ; implicit-def: $vgpr18
	s_and_saveexec_b64 s[26:27], s[22:23]
	s_cbranch_execz .LBB1023_27
; %bb.26:
	v_mov_b32_e32 v19, s58
	v_add_co_u32_e64 v18, s[24:25], s7, v24
	v_addc_co_u32_e64 v19, s[24:25], 0, v19, s[24:25]
	flat_load_dword v18, v[18:19]
.LBB1023_27:
	s_or_b64 exec, exec, s[26:27]
	v_or_b32_e32 v19, 0xc00, v0
	v_cmp_gt_u32_e64 s[24:25], s33, v19
	v_lshlrev_b32_e32 v25, 2, v19
                                        ; implicit-def: $vgpr19
	s_and_saveexec_b64 s[28:29], s[24:25]
	s_cbranch_execz .LBB1023_29
; %bb.28:
	v_mov_b32_e32 v19, s58
	v_add_co_u32_e64 v20, s[26:27], s7, v25
	v_addc_co_u32_e64 v21, s[26:27], 0, v19, s[26:27]
	flat_load_dword v19, v[20:21]
.LBB1023_29:
	s_or_b64 exec, exec, s[28:29]
	v_or_b32_e32 v20, 0xd00, v0
	v_cmp_gt_u32_e64 s[26:27], s33, v20
	v_lshlrev_b32_e32 v26, 2, v20
                                        ; implicit-def: $vgpr20
	s_and_saveexec_b64 s[34:35], s[26:27]
	s_cbranch_execz .LBB1023_31
; %bb.30:
	v_mov_b32_e32 v21, s58
	v_add_co_u32_e64 v20, s[28:29], s7, v26
	v_addc_co_u32_e64 v21, s[28:29], 0, v21, s[28:29]
	flat_load_dword v20, v[20:21]
.LBB1023_31:
	s_or_b64 exec, exec, s[34:35]
	v_or_b32_e32 v21, 0xe00, v0
	v_cmp_gt_u32_e64 s[28:29], s33, v21
	v_lshlrev_b32_e32 v27, 2, v21
                                        ; implicit-def: $vgpr21
	s_and_saveexec_b64 s[40:41], s[28:29]
	s_cbranch_execz .LBB1023_33
; %bb.32:
	v_mov_b32_e32 v21, s58
	v_add_co_u32_e64 v28, s[34:35], s7, v27
	v_addc_co_u32_e64 v29, s[34:35], 0, v21, s[34:35]
	flat_load_dword v21, v[28:29]
.LBB1023_33:
	s_or_b64 exec, exec, s[40:41]
	v_lshlrev_b32_e32 v23, 2, v0
	v_mad_u32_u24 v38, v0, 56, v23
	s_waitcnt vmcnt(0) lgkmcnt(0)
	ds_write2st64_b32 v23, v1, v8 offset1:4
	ds_write2st64_b32 v23, v9, v10 offset0:8 offset1:12
	ds_write2st64_b32 v23, v11, v12 offset0:16 offset1:20
	;; [unrolled: 1-line block ×6, first 2 shown]
	ds_write_b32 v23, v21 offset:14336
	s_waitcnt lgkmcnt(0)
	s_barrier
	ds_read2_b32 v[20:21], v38 offset1:1
	ds_read2_b32 v[18:19], v38 offset0:2 offset1:3
	ds_read2_b32 v[16:17], v38 offset0:4 offset1:5
	;; [unrolled: 1-line block ×6, first 2 shown]
	ds_read_b32 v1, v38 offset:56
	s_waitcnt lgkmcnt(0)
	s_barrier
	s_waitcnt lgkmcnt(0)
                                        ; implicit-def: $vgpr28
	s_and_saveexec_b64 s[34:35], vcc
	s_cbranch_execnz .LBB1023_57
; %bb.34:
	s_or_b64 exec, exec, s[34:35]
                                        ; implicit-def: $vgpr29
	s_and_saveexec_b64 s[34:35], s[0:1]
	s_cbranch_execnz .LBB1023_58
.LBB1023_35:
	s_or_b64 exec, exec, s[34:35]
                                        ; implicit-def: $vgpr30
	s_and_saveexec_b64 s[0:1], s[2:3]
	s_cbranch_execnz .LBB1023_59
.LBB1023_36:
	s_or_b64 exec, exec, s[0:1]
                                        ; implicit-def: $vgpr31
	s_and_saveexec_b64 s[0:1], s[30:31]
	s_cbranch_execnz .LBB1023_60
.LBB1023_37:
	s_or_b64 exec, exec, s[0:1]
                                        ; implicit-def: $vgpr32
	s_and_saveexec_b64 s[0:1], s[8:9]
	s_cbranch_execnz .LBB1023_61
.LBB1023_38:
	s_or_b64 exec, exec, s[0:1]
                                        ; implicit-def: $vgpr2
	s_and_saveexec_b64 s[0:1], s[10:11]
	s_cbranch_execnz .LBB1023_62
.LBB1023_39:
	s_or_b64 exec, exec, s[0:1]
                                        ; implicit-def: $vgpr3
	s_and_saveexec_b64 s[0:1], s[12:13]
	s_cbranch_execnz .LBB1023_63
.LBB1023_40:
	s_or_b64 exec, exec, s[0:1]
                                        ; implicit-def: $vgpr4
	s_and_saveexec_b64 s[0:1], s[14:15]
	s_cbranch_execnz .LBB1023_64
.LBB1023_41:
	s_or_b64 exec, exec, s[0:1]
                                        ; implicit-def: $vgpr5
	s_and_saveexec_b64 s[0:1], s[16:17]
	s_cbranch_execnz .LBB1023_65
.LBB1023_42:
	s_or_b64 exec, exec, s[0:1]
                                        ; implicit-def: $vgpr6
	s_and_saveexec_b64 s[0:1], s[18:19]
	s_cbranch_execnz .LBB1023_66
.LBB1023_43:
	s_or_b64 exec, exec, s[0:1]
                                        ; implicit-def: $vgpr7
	s_and_saveexec_b64 s[0:1], s[20:21]
	s_cbranch_execnz .LBB1023_67
.LBB1023_44:
	s_or_b64 exec, exec, s[0:1]
                                        ; implicit-def: $vgpr22
	s_and_saveexec_b64 s[0:1], s[22:23]
	s_cbranch_execnz .LBB1023_68
.LBB1023_45:
	s_or_b64 exec, exec, s[0:1]
                                        ; implicit-def: $vgpr24
	s_and_saveexec_b64 s[0:1], s[24:25]
	s_cbranch_execnz .LBB1023_69
.LBB1023_46:
	s_or_b64 exec, exec, s[0:1]
                                        ; implicit-def: $vgpr25
	s_and_saveexec_b64 s[0:1], s[26:27]
	s_cbranch_execnz .LBB1023_70
.LBB1023_47:
	s_or_b64 exec, exec, s[0:1]
                                        ; implicit-def: $vgpr26
	s_and_saveexec_b64 s[0:1], s[28:29]
	s_cbranch_execz .LBB1023_49
.LBB1023_48:
	v_mov_b32_e32 v33, s57
	v_add_co_u32_e32 v26, vcc, s56, v27
	v_addc_co_u32_e32 v27, vcc, 0, v33, vcc
	flat_load_dword v26, v[26:27]
.LBB1023_49:
	s_or_b64 exec, exec, s[0:1]
	s_waitcnt vmcnt(0) lgkmcnt(0)
	ds_write2st64_b32 v23, v28, v29 offset1:4
	ds_write2st64_b32 v23, v30, v31 offset0:8 offset1:12
	ds_write2st64_b32 v23, v32, v2 offset0:16 offset1:20
	;; [unrolled: 1-line block ×6, first 2 shown]
	ds_write_b32 v23, v26 offset:14336
	v_mov_b32_e32 v36, v20
	v_mov_b32_e32 v37, v18
	;; [unrolled: 1-line block ×7, first 2 shown]
	s_waitcnt lgkmcnt(0)
	s_barrier
.LBB1023_50:
	ds_read2_b32 v[34:35], v38 offset1:1
	ds_read2_b32 v[32:33], v38 offset0:2 offset1:3
	ds_read2_b32 v[30:31], v38 offset0:4 offset1:5
	;; [unrolled: 1-line block ×6, first 2 shown]
	ds_read_b32 v80, v38 offset:56
	s_load_dwordx4 s[40:43], s[4:5], 0x28
	s_cmp_eq_u64 s[52:53], 0
	s_cselect_b64 s[34:35], -1, 0
	s_cmp_lg_u64 s[52:53], 0
	s_mov_b64 s[56:57], 0
	s_cselect_b64 s[2:3], -1, 0
	s_and_b64 vcc, exec, s[54:55]
	s_waitcnt lgkmcnt(0)
	s_barrier
	s_cbranch_vccz .LBB1023_56
; %bb.51:
	s_and_b64 vcc, exec, s[2:3]
	s_cbranch_vccz .LBB1023_71
; %bb.52:
	v_mov_b32_e32 v7, s58
	v_add_co_u32_e64 v38, vcc, -4, s7
	v_addc_co_u32_e32 v39, vcc, -1, v7, vcc
	flat_load_dword v7, v[38:39]
	v_lshlrev_b32_e32 v38, 2, v0
	v_cmp_ne_u32_e32 vcc, 0, v0
	ds_write_b32 v38, v1
	s_waitcnt lgkmcnt(0)
	s_barrier
	s_and_saveexec_b64 s[0:1], vcc
	s_cbranch_execz .LBB1023_54
; %bb.53:
	s_waitcnt vmcnt(0)
	v_add_u32_e32 v7, -4, v38
	ds_read_b32 v7, v7
.LBB1023_54:
	s_or_b64 exec, exec, s[0:1]
	v_cmp_ne_u32_e32 vcc, v36, v21
	v_cndmask_b32_e64 v79, 0, 1, vcc
	v_cmp_ne_u32_e32 vcc, v37, v21
	v_cndmask_b32_e64 v78, 0, 1, vcc
	;; [unrolled: 2-line block ×14, first 2 shown]
	s_waitcnt vmcnt(0) lgkmcnt(0)
	v_cmp_ne_u32_e64 s[0:1], v7, v20
	s_mov_b64 s[56:57], -1
.LBB1023_55:
                                        ; implicit-def: $sgpr8
	s_branch .LBB1023_83
.LBB1023_56:
                                        ; implicit-def: $sgpr0_sgpr1
                                        ; implicit-def: $vgpr66
                                        ; implicit-def: $vgpr67
                                        ; implicit-def: $vgpr68
                                        ; implicit-def: $vgpr69
                                        ; implicit-def: $vgpr70
                                        ; implicit-def: $vgpr71
                                        ; implicit-def: $vgpr72
                                        ; implicit-def: $vgpr73
                                        ; implicit-def: $vgpr74
                                        ; implicit-def: $vgpr75
                                        ; implicit-def: $vgpr76
                                        ; implicit-def: $vgpr77
                                        ; implicit-def: $vgpr78
                                        ; implicit-def: $vgpr79
                                        ; implicit-def: $sgpr8
	s_cbranch_execnz .LBB1023_75
	s_branch .LBB1023_83
.LBB1023_57:
	v_mov_b32_e32 v29, s57
	v_add_co_u32_e32 v28, vcc, s56, v23
	v_addc_co_u32_e32 v29, vcc, 0, v29, vcc
	flat_load_dword v28, v[28:29]
	s_or_b64 exec, exec, s[34:35]
                                        ; implicit-def: $vgpr29
	s_and_saveexec_b64 s[34:35], s[0:1]
	s_cbranch_execz .LBB1023_35
.LBB1023_58:
	v_mov_b32_e32 v29, s57
	v_add_co_u32_e32 v30, vcc, s56, v23
	v_addc_co_u32_e32 v31, vcc, 0, v29, vcc
	flat_load_dword v29, v[30:31] offset:1024
	s_or_b64 exec, exec, s[34:35]
                                        ; implicit-def: $vgpr30
	s_and_saveexec_b64 s[0:1], s[2:3]
	s_cbranch_execz .LBB1023_36
.LBB1023_59:
	v_mov_b32_e32 v31, s57
	v_add_co_u32_e32 v30, vcc, s56, v23
	v_addc_co_u32_e32 v31, vcc, 0, v31, vcc
	flat_load_dword v30, v[30:31] offset:2048
	s_or_b64 exec, exec, s[0:1]
                                        ; implicit-def: $vgpr31
	s_and_saveexec_b64 s[0:1], s[30:31]
	s_cbranch_execz .LBB1023_37
.LBB1023_60:
	v_mov_b32_e32 v31, s57
	v_add_co_u32_e32 v32, vcc, s56, v23
	v_addc_co_u32_e32 v33, vcc, 0, v31, vcc
	flat_load_dword v31, v[32:33] offset:3072
	s_or_b64 exec, exec, s[0:1]
                                        ; implicit-def: $vgpr32
	s_and_saveexec_b64 s[0:1], s[8:9]
	s_cbranch_execz .LBB1023_38
.LBB1023_61:
	v_mov_b32_e32 v33, s57
	v_add_co_u32_e32 v32, vcc, s56, v2
	v_addc_co_u32_e32 v33, vcc, 0, v33, vcc
	flat_load_dword v32, v[32:33]
	s_or_b64 exec, exec, s[0:1]
                                        ; implicit-def: $vgpr2
	s_and_saveexec_b64 s[0:1], s[10:11]
	s_cbranch_execz .LBB1023_39
.LBB1023_62:
	v_mov_b32_e32 v33, s57
	v_add_co_u32_e32 v2, vcc, s56, v3
	v_addc_co_u32_e32 v3, vcc, 0, v33, vcc
	flat_load_dword v2, v[2:3]
	s_or_b64 exec, exec, s[0:1]
                                        ; implicit-def: $vgpr3
	s_and_saveexec_b64 s[0:1], s[12:13]
	s_cbranch_execz .LBB1023_40
.LBB1023_63:
	v_mov_b32_e32 v3, s57
	v_add_co_u32_e32 v34, vcc, s56, v4
	v_addc_co_u32_e32 v35, vcc, 0, v3, vcc
	flat_load_dword v3, v[34:35]
	s_or_b64 exec, exec, s[0:1]
                                        ; implicit-def: $vgpr4
	s_and_saveexec_b64 s[0:1], s[14:15]
	s_cbranch_execz .LBB1023_41
.LBB1023_64:
	v_mov_b32_e32 v33, s57
	v_add_co_u32_e32 v4, vcc, s56, v5
	v_addc_co_u32_e32 v5, vcc, 0, v33, vcc
	flat_load_dword v4, v[4:5]
	s_or_b64 exec, exec, s[0:1]
                                        ; implicit-def: $vgpr5
	s_and_saveexec_b64 s[0:1], s[16:17]
	s_cbranch_execz .LBB1023_42
.LBB1023_65:
	v_mov_b32_e32 v5, s57
	v_add_co_u32_e32 v34, vcc, s56, v6
	v_addc_co_u32_e32 v35, vcc, 0, v5, vcc
	flat_load_dword v5, v[34:35]
	s_or_b64 exec, exec, s[0:1]
                                        ; implicit-def: $vgpr6
	s_and_saveexec_b64 s[0:1], s[18:19]
	s_cbranch_execz .LBB1023_43
.LBB1023_66:
	v_mov_b32_e32 v33, s57
	v_add_co_u32_e32 v6, vcc, s56, v7
	v_addc_co_u32_e32 v7, vcc, 0, v33, vcc
	flat_load_dword v6, v[6:7]
	s_or_b64 exec, exec, s[0:1]
                                        ; implicit-def: $vgpr7
	s_and_saveexec_b64 s[0:1], s[20:21]
	s_cbranch_execz .LBB1023_44
.LBB1023_67:
	v_mov_b32_e32 v7, s57
	v_add_co_u32_e32 v34, vcc, s56, v22
	v_addc_co_u32_e32 v35, vcc, 0, v7, vcc
	flat_load_dword v7, v[34:35]
	s_or_b64 exec, exec, s[0:1]
                                        ; implicit-def: $vgpr22
	s_and_saveexec_b64 s[0:1], s[22:23]
	s_cbranch_execz .LBB1023_45
.LBB1023_68:
	v_mov_b32_e32 v22, s57
	v_add_co_u32_e32 v34, vcc, s56, v24
	v_addc_co_u32_e32 v35, vcc, 0, v22, vcc
	flat_load_dword v22, v[34:35]
	s_or_b64 exec, exec, s[0:1]
                                        ; implicit-def: $vgpr24
	s_and_saveexec_b64 s[0:1], s[24:25]
	s_cbranch_execz .LBB1023_46
.LBB1023_69:
	v_mov_b32_e32 v33, s57
	v_add_co_u32_e32 v24, vcc, s56, v25
	v_addc_co_u32_e32 v25, vcc, 0, v33, vcc
	flat_load_dword v24, v[24:25]
	s_or_b64 exec, exec, s[0:1]
                                        ; implicit-def: $vgpr25
	s_and_saveexec_b64 s[0:1], s[26:27]
	s_cbranch_execz .LBB1023_47
.LBB1023_70:
	v_mov_b32_e32 v25, s57
	v_add_co_u32_e32 v34, vcc, s56, v26
	v_addc_co_u32_e32 v35, vcc, 0, v25, vcc
	flat_load_dword v25, v[34:35]
	s_or_b64 exec, exec, s[0:1]
                                        ; implicit-def: $vgpr26
	s_and_saveexec_b64 s[0:1], s[28:29]
	s_cbranch_execnz .LBB1023_48
	s_branch .LBB1023_49
.LBB1023_71:
                                        ; implicit-def: $sgpr0_sgpr1
                                        ; implicit-def: $vgpr66
                                        ; implicit-def: $vgpr67
                                        ; implicit-def: $vgpr68
                                        ; implicit-def: $vgpr69
                                        ; implicit-def: $vgpr70
                                        ; implicit-def: $vgpr71
                                        ; implicit-def: $vgpr72
                                        ; implicit-def: $vgpr73
                                        ; implicit-def: $vgpr74
                                        ; implicit-def: $vgpr75
                                        ; implicit-def: $vgpr76
                                        ; implicit-def: $vgpr77
                                        ; implicit-def: $vgpr78
                                        ; implicit-def: $vgpr79
	s_cbranch_execz .LBB1023_55
; %bb.72:
	v_cmp_ne_u32_e32 vcc, v21, v36
	v_cndmask_b32_e64 v79, 0, 1, vcc
	v_cmp_ne_u32_e32 vcc, v21, v37
	v_cndmask_b32_e64 v78, 0, 1, vcc
	;; [unrolled: 2-line block ×13, first 2 shown]
	v_cmp_ne_u32_e32 vcc, v9, v1
	v_lshlrev_b32_e32 v7, 2, v0
	v_cndmask_b32_e64 v66, 0, 1, vcc
	v_cmp_ne_u32_e32 vcc, 0, v0
	ds_write_b32 v7, v1
	s_waitcnt lgkmcnt(0)
	s_barrier
	s_waitcnt lgkmcnt(0)
                                        ; implicit-def: $sgpr0_sgpr1
	s_and_saveexec_b64 s[4:5], vcc
	s_xor_b64 s[4:5], exec, s[4:5]
	s_cbranch_execz .LBB1023_74
; %bb.73:
	v_add_u32_e32 v2, -4, v7
	ds_read_b32 v2, v2
	s_or_b64 s[56:57], s[56:57], exec
	s_waitcnt lgkmcnt(0)
	v_cmp_ne_u32_e32 vcc, v2, v20
	s_and_b64 s[0:1], vcc, exec
.LBB1023_74:
	s_or_b64 exec, exec, s[4:5]
	s_mov_b32 s8, 1
	s_branch .LBB1023_83
.LBB1023_75:
	s_mul_hi_u32 s1, s52, 0xfffff100
	s_mul_i32 s0, s53, 0xfffff100
	s_sub_i32 s1, s1, s52
	s_add_i32 s1, s1, s0
	s_mul_i32 s0, s52, 0xfffff100
	s_add_u32 s44, s0, s44
	s_addc_u32 s45, s1, s45
	s_and_b64 vcc, exec, s[2:3]
	v_cmp_ne_u32_e64 s[28:29], v9, v1
	v_cmp_ne_u32_e64 s[26:27], v8, v9
	v_cmp_ne_u32_e64 s[24:25], v11, v8
	v_cmp_ne_u32_e64 s[22:23], v10, v11
	v_cmp_ne_u32_e64 s[20:21], v13, v10
	v_cmp_ne_u32_e64 s[18:19], v12, v13
	v_cmp_ne_u32_e64 s[16:17], v15, v12
	v_cmp_ne_u32_e64 s[14:15], v14, v15
	v_cmp_ne_u32_e64 s[12:13], v17, v14
	v_cmp_ne_u32_e64 s[10:11], v16, v17
	v_cmp_ne_u32_e64 s[30:31], v19, v16
	v_cmp_ne_u32_e64 s[4:5], v18, v19
	v_cmp_ne_u32_e64 s[2:3], v21, v18
	v_cmp_ne_u32_e64 s[0:1], v20, v21
	v_mad_u32_u24 v2, v0, 15, 14
	v_mad_u32_u24 v56, v0, 15, 13
	;; [unrolled: 1-line block ×14, first 2 shown]
	v_cmp_ne_u32_e64 s[8:9], 0, v0
	s_cbranch_vccz .LBB1023_80
; %bb.76:
	v_mov_b32_e32 v3, s58
	v_add_co_u32_e64 v58, vcc, -4, s7
	v_addc_co_u32_e32 v59, vcc, -1, v3, vcc
	flat_load_dword v60, v[58:59]
	v_mov_b32_e32 v3, 0
	v_cmp_gt_u64_e32 vcc, s[44:45], v[2:3]
	v_mov_b32_e32 v57, v3
	s_and_b64 s[28:29], vcc, s[28:29]
	v_cmp_gt_u64_e32 vcc, s[44:45], v[56:57]
	v_mov_b32_e32 v55, v3
	s_and_b64 s[26:27], vcc, s[26:27]
	;; [unrolled: 3-line block ×13, first 2 shown]
	v_cmp_gt_u64_e32 vcc, s[44:45], v[4:5]
	v_lshlrev_b32_e32 v59, 2, v0
	v_mul_u32_u24_e32 v58, 15, v0
	s_and_b64 s[0:1], vcc, s[0:1]
	ds_write_b32 v59, v1
	s_waitcnt lgkmcnt(0)
	s_barrier
	s_and_saveexec_b64 s[52:53], s[8:9]
	s_cbranch_execz .LBB1023_78
; %bb.77:
	v_add_u32_e32 v5, -4, v59
	s_waitcnt vmcnt(0)
	ds_read_b32 v60, v5
.LBB1023_78:
	s_or_b64 exec, exec, s[52:53]
	v_mov_b32_e32 v59, v3
	v_cndmask_b32_e64 v79, 0, 1, s[0:1]
	v_cmp_gt_u64_e32 vcc, s[44:45], v[58:59]
	s_waitcnt vmcnt(0) lgkmcnt(0)
	v_cmp_ne_u32_e64 s[0:1], v60, v20
	v_cndmask_b32_e64 v66, 0, 1, s[28:29]
	v_cndmask_b32_e64 v67, 0, 1, s[26:27]
	;; [unrolled: 1-line block ×13, first 2 shown]
	s_and_b64 s[0:1], vcc, s[0:1]
	s_mov_b64 s[56:57], -1
.LBB1023_79:
                                        ; implicit-def: $sgpr8
	v_mov_b32_e32 v82, s8
	s_and_saveexec_b64 s[2:3], s[56:57]
	s_cbranch_execnz .LBB1023_84
	s_branch .LBB1023_85
.LBB1023_80:
                                        ; implicit-def: $sgpr0_sgpr1
                                        ; implicit-def: $vgpr66
                                        ; implicit-def: $vgpr67
                                        ; implicit-def: $vgpr68
                                        ; implicit-def: $vgpr69
                                        ; implicit-def: $vgpr70
                                        ; implicit-def: $vgpr71
                                        ; implicit-def: $vgpr72
                                        ; implicit-def: $vgpr73
                                        ; implicit-def: $vgpr74
                                        ; implicit-def: $vgpr75
                                        ; implicit-def: $vgpr76
                                        ; implicit-def: $vgpr77
                                        ; implicit-def: $vgpr78
                                        ; implicit-def: $vgpr79
	s_cbranch_execz .LBB1023_79
; %bb.81:
	v_mov_b32_e32 v3, 0
	v_cmp_gt_u64_e32 vcc, s[44:45], v[2:3]
	v_cmp_ne_u32_e64 s[0:1], v9, v1
	s_and_b64 s[0:1], vcc, s[0:1]
	v_mov_b32_e32 v57, v3
	v_cndmask_b32_e64 v66, 0, 1, s[0:1]
	v_cmp_gt_u64_e32 vcc, s[44:45], v[56:57]
	v_cmp_ne_u32_e64 s[0:1], v8, v9
	s_and_b64 s[0:1], vcc, s[0:1]
	v_mov_b32_e32 v55, v3
	v_cndmask_b32_e64 v67, 0, 1, s[0:1]
	;; [unrolled: 5-line block ×13, first 2 shown]
	v_cmp_gt_u64_e32 vcc, s[44:45], v[4:5]
	v_cmp_ne_u32_e64 s[0:1], v20, v21
	s_and_b64 s[0:1], vcc, s[0:1]
	v_lshlrev_b32_e32 v58, 2, v0
	s_mov_b32 s8, 1
	v_cndmask_b32_e64 v79, 0, 1, s[0:1]
	v_cmp_ne_u32_e32 vcc, 0, v0
	ds_write_b32 v58, v1
	s_waitcnt lgkmcnt(0)
	s_barrier
	s_waitcnt lgkmcnt(0)
                                        ; implicit-def: $sgpr0_sgpr1
	s_and_saveexec_b64 s[2:3], vcc
	s_cbranch_execz .LBB1023_166
; %bb.82:
	v_add_u32_e32 v2, -4, v58
	ds_read_b32 v4, v2
	v_mul_u32_u24_e32 v2, 15, v0
	v_cmp_gt_u64_e32 vcc, s[44:45], v[2:3]
	s_or_b64 s[56:57], s[56:57], exec
	s_waitcnt lgkmcnt(0)
	v_cmp_ne_u32_e64 s[0:1], v4, v20
	s_and_b64 s[0:1], vcc, s[0:1]
	s_and_b64 s[0:1], s[0:1], exec
	s_or_b64 exec, exec, s[2:3]
.LBB1023_83:
	v_mov_b32_e32 v82, s8
	s_and_saveexec_b64 s[2:3], s[56:57]
.LBB1023_84:
	v_cndmask_b32_e64 v82, 0, 1, s[0:1]
.LBB1023_85:
	s_or_b64 exec, exec, s[2:3]
	s_cmp_eq_u64 s[38:39], 0
	v_add3_u32 v2, v79, v82, v78
	s_cselect_b64 s[38:39], -1, 0
	s_cmp_lg_u32 s6, 0
	v_cmp_eq_u32_e64 s[24:25], 0, v79
	v_cmp_eq_u32_e64 s[22:23], 0, v78
	;; [unrolled: 1-line block ×3, first 2 shown]
	v_add3_u32 v86, v2, v77, v76
	v_cmp_eq_u32_e64 s[18:19], 0, v76
	v_cmp_eq_u32_e64 s[16:17], 0, v75
	;; [unrolled: 1-line block ×10, first 2 shown]
	v_cmp_eq_u32_e32 vcc, 0, v66
	v_mbcnt_lo_u32_b32 v85, -1, 0
	v_lshrrev_b32_e32 v83, 6, v0
	v_or_b32_e32 v84, 63, v0
	s_cbranch_scc0 .LBB1023_112
; %bb.86:
	v_cndmask_b32_e64 v2, 0, v34, s[24:25]
	v_add_u32_e32 v2, v2, v35
	v_cndmask_b32_e64 v2, 0, v2, s[22:23]
	v_add_u32_e32 v2, v2, v32
	;; [unrolled: 2-line block ×11, first 2 shown]
	v_cndmask_b32_e64 v2, 0, v2, s[2:3]
	v_add3_u32 v3, v86, v75, v74
	v_add_u32_e32 v2, v2, v22
	v_add3_u32 v3, v3, v73, v72
	v_cndmask_b32_e64 v2, 0, v2, s[0:1]
	v_add3_u32 v3, v3, v71, v70
	v_add_u32_e32 v2, v2, v23
	v_add3_u32 v3, v3, v69, v68
	v_cndmask_b32_e32 v2, 0, v2, vcc
	v_add3_u32 v3, v3, v67, v66
	v_add_u32_e32 v2, v2, v80
	v_mbcnt_hi_u32_b32 v39, -1, v85
	v_and_b32_e32 v4, 15, v39
	v_mov_b32_dpp v6, v2 row_shr:1 row_mask:0xf bank_mask:0xf
	v_cmp_eq_u32_e32 vcc, 0, v3
	v_mov_b32_dpp v5, v3 row_shr:1 row_mask:0xf bank_mask:0xf
	v_cndmask_b32_e32 v6, 0, v6, vcc
	v_cmp_eq_u32_e32 vcc, 0, v4
	v_cndmask_b32_e64 v5, v5, 0, vcc
	v_add_u32_e32 v3, v5, v3
	v_cndmask_b32_e64 v5, v6, 0, vcc
	v_add_u32_e32 v2, v5, v2
	v_cmp_eq_u32_e32 vcc, 0, v3
	v_mov_b32_dpp v5, v3 row_shr:2 row_mask:0xf bank_mask:0xf
	v_cmp_lt_u32_e64 s[26:27], 1, v4
	v_mov_b32_dpp v6, v2 row_shr:2 row_mask:0xf bank_mask:0xf
	v_cndmask_b32_e64 v5, 0, v5, s[26:27]
	s_and_b64 vcc, s[26:27], vcc
	v_cndmask_b32_e32 v6, 0, v6, vcc
	v_add_u32_e32 v3, v3, v5
	v_add_u32_e32 v2, v6, v2
	v_cmp_eq_u32_e32 vcc, 0, v3
	v_mov_b32_dpp v5, v3 row_shr:4 row_mask:0xf bank_mask:0xf
	v_cmp_lt_u32_e64 s[26:27], 3, v4
	v_mov_b32_dpp v6, v2 row_shr:4 row_mask:0xf bank_mask:0xf
	v_cndmask_b32_e64 v5, 0, v5, s[26:27]
	s_and_b64 vcc, s[26:27], vcc
	v_cndmask_b32_e32 v6, 0, v6, vcc
	v_add_u32_e32 v3, v5, v3
	v_add_u32_e32 v2, v2, v6
	v_cmp_eq_u32_e32 vcc, 0, v3
	v_cmp_lt_u32_e64 s[26:27], 7, v4
	v_mov_b32_dpp v5, v3 row_shr:8 row_mask:0xf bank_mask:0xf
	v_mov_b32_dpp v6, v2 row_shr:8 row_mask:0xf bank_mask:0xf
	s_and_b64 vcc, s[26:27], vcc
	v_cndmask_b32_e64 v4, 0, v5, s[26:27]
	v_cndmask_b32_e32 v5, 0, v6, vcc
	v_add_u32_e32 v2, v5, v2
	v_add_u32_e32 v3, v4, v3
	v_bfe_i32 v6, v39, 4, 1
	v_mov_b32_dpp v5, v2 row_bcast:15 row_mask:0xf bank_mask:0xf
	v_mov_b32_dpp v4, v3 row_bcast:15 row_mask:0xf bank_mask:0xf
	v_cmp_eq_u32_e32 vcc, 0, v3
	v_cndmask_b32_e32 v5, 0, v5, vcc
	v_and_b32_e32 v4, v6, v4
	v_add_u32_e32 v3, v4, v3
	v_and_b32_e32 v4, v6, v5
	v_add_u32_e32 v4, v4, v2
	v_mov_b32_dpp v2, v3 row_bcast:31 row_mask:0xf bank_mask:0xf
	v_cmp_eq_u32_e32 vcc, 0, v3
	v_cmp_lt_u32_e64 s[26:27], 31, v39
	v_mov_b32_dpp v5, v4 row_bcast:31 row_mask:0xf bank_mask:0xf
	v_cndmask_b32_e64 v2, 0, v2, s[26:27]
	s_and_b64 vcc, s[26:27], vcc
	v_add_u32_e32 v2, v2, v3
	v_cndmask_b32_e32 v3, 0, v5, vcc
	v_add_u32_e32 v3, v3, v4
	v_cmp_eq_u32_e32 vcc, v84, v0
	v_lshlrev_b32_e32 v4, 3, v83
	s_and_saveexec_b64 s[26:27], vcc
	s_cbranch_execz .LBB1023_88
; %bb.87:
	ds_write_b64 v4, v[2:3] offset:2064
.LBB1023_88:
	s_or_b64 exec, exec, s[26:27]
	v_cmp_gt_u32_e32 vcc, 4, v0
	s_waitcnt lgkmcnt(0)
	s_barrier
	s_and_saveexec_b64 s[30:31], vcc
	s_cbranch_execz .LBB1023_90
; %bb.89:
	v_lshlrev_b32_e32 v5, 3, v0
	ds_read_b64 v[6:7], v5 offset:2064
	v_and_b32_e32 v36, 3, v39
	v_cmp_lt_u32_e64 s[26:27], 1, v36
	s_waitcnt lgkmcnt(0)
	v_mov_b32_dpp v38, v7 row_shr:1 row_mask:0xf bank_mask:0xf
	v_cmp_eq_u32_e32 vcc, 0, v6
	v_mov_b32_dpp v37, v6 row_shr:1 row_mask:0xf bank_mask:0xf
	v_cndmask_b32_e32 v38, 0, v38, vcc
	v_cmp_eq_u32_e32 vcc, 0, v36
	v_cndmask_b32_e64 v37, v37, 0, vcc
	v_add_u32_e32 v6, v37, v6
	v_cndmask_b32_e64 v37, v38, 0, vcc
	v_add_u32_e32 v7, v37, v7
	v_cmp_eq_u32_e32 vcc, 0, v6
	v_mov_b32_dpp v37, v6 row_shr:2 row_mask:0xf bank_mask:0xf
	v_mov_b32_dpp v38, v7 row_shr:2 row_mask:0xf bank_mask:0xf
	v_cndmask_b32_e64 v36, 0, v37, s[26:27]
	s_and_b64 vcc, s[26:27], vcc
	v_add_u32_e32 v6, v36, v6
	v_cndmask_b32_e32 v36, 0, v38, vcc
	v_add_u32_e32 v7, v36, v7
	ds_write_b64 v5, v[6:7] offset:2064
.LBB1023_90:
	s_or_b64 exec, exec, s[30:31]
	v_cmp_gt_u32_e32 vcc, 64, v0
	v_cmp_lt_u32_e64 s[26:27], 63, v0
	v_mov_b32_e32 v36, 0
	v_mov_b32_e32 v37, 0
	s_waitcnt lgkmcnt(0)
	s_barrier
	s_and_saveexec_b64 s[30:31], s[26:27]
	s_cbranch_execz .LBB1023_92
; %bb.91:
	ds_read_b64 v[36:37], v4 offset:2056
	v_cmp_eq_u32_e64 s[26:27], 0, v2
	s_waitcnt lgkmcnt(0)
	v_add_u32_e32 v4, v36, v2
	v_cndmask_b32_e64 v2, 0, v37, s[26:27]
	v_add_u32_e32 v3, v2, v3
	v_mov_b32_e32 v2, v4
.LBB1023_92:
	s_or_b64 exec, exec, s[30:31]
	v_add_u32_e32 v4, -1, v39
	v_and_b32_e32 v5, 64, v39
	v_cmp_lt_i32_e64 s[26:27], v4, v5
	v_cndmask_b32_e64 v4, v4, v39, s[26:27]
	v_lshlrev_b32_e32 v4, 2, v4
	ds_bpermute_b32 v44, v4, v2
	ds_bpermute_b32 v45, v4, v3
	v_cmp_eq_u32_e64 s[26:27], 0, v39
	s_and_saveexec_b64 s[44:45], vcc
	s_cbranch_execz .LBB1023_111
; %bb.93:
	v_mov_b32_e32 v7, 0
	ds_read_b64 v[2:3], v7 offset:2088
	s_waitcnt lgkmcnt(0)
	v_readfirstlane_b32 s7, v2
	v_readfirstlane_b32 s54, v3
	s_and_saveexec_b64 s[30:31], s[26:27]
	s_cbranch_execz .LBB1023_95
; %bb.94:
	s_add_i32 s52, s6, 64
	s_mov_b32 s53, 0
	s_lshl_b64 s[56:57], s[52:53], 4
	s_add_u32 s56, s36, s56
	s_addc_u32 s57, s37, s57
	s_and_b32 s59, s54, 0xff000000
	s_mov_b32 s58, s53
	s_and_b32 s61, s54, 0xff0000
	s_mov_b32 s60, s53
	s_or_b64 s[58:59], s[60:61], s[58:59]
	s_and_b32 s61, s54, 0xff00
	s_or_b64 s[58:59], s[58:59], s[60:61]
	s_and_b32 s61, s54, 0xff
	s_or_b64 s[52:53], s[58:59], s[60:61]
	v_mov_b32_e32 v4, s7
	v_mov_b32_e32 v5, s53
	;; [unrolled: 1-line block ×3, first 2 shown]
	v_pk_mov_b32 v[2:3], s[56:57], s[56:57] op_sel:[0,1]
	;;#ASMSTART
	global_store_dwordx4 v[2:3], v[4:7] off	
s_waitcnt vmcnt(0)
	;;#ASMEND
.LBB1023_95:
	s_or_b64 exec, exec, s[30:31]
	v_xad_u32 v38, v39, -1, s6
	v_add_u32_e32 v6, 64, v38
	v_lshlrev_b64 v[2:3], 4, v[6:7]
	v_mov_b32_e32 v4, s37
	v_add_co_u32_e32 v40, vcc, s36, v2
	v_addc_co_u32_e32 v41, vcc, v4, v3, vcc
	;;#ASMSTART
	global_load_dwordx4 v[2:5], v[40:41] off glc	
s_waitcnt vmcnt(0)
	;;#ASMEND
	v_and_b32_e32 v5, 0xff, v3
	v_and_b32_e32 v6, 0xff00, v3
	;; [unrolled: 1-line block ×3, first 2 shown]
	v_or3_b32 v5, 0, v5, v6
	v_or3_b32 v2, v2, 0, 0
	v_and_b32_e32 v3, 0xff000000, v3
	v_or3_b32 v3, v5, v42, v3
	v_or3_b32 v2, v2, 0, 0
	v_cmp_eq_u16_sdwa s[52:53], v4, v7 src0_sel:BYTE_0 src1_sel:DWORD
	s_and_saveexec_b64 s[30:31], s[52:53]
	s_cbranch_execz .LBB1023_99
; %bb.96:
	s_mov_b64 s[52:53], 0
	v_mov_b32_e32 v6, 0
.LBB1023_97:                            ; =>This Inner Loop Header: Depth=1
	;;#ASMSTART
	global_load_dwordx4 v[2:5], v[40:41] off glc	
s_waitcnt vmcnt(0)
	;;#ASMEND
	v_cmp_ne_u16_sdwa s[56:57], v4, v6 src0_sel:BYTE_0 src1_sel:DWORD
	s_or_b64 s[52:53], s[56:57], s[52:53]
	s_andn2_b64 exec, exec, s[52:53]
	s_cbranch_execnz .LBB1023_97
; %bb.98:
	s_or_b64 exec, exec, s[52:53]
.LBB1023_99:
	s_or_b64 exec, exec, s[30:31]
	v_mov_b32_e32 v46, 2
	v_cmp_eq_u16_sdwa s[30:31], v4, v46 src0_sel:BYTE_0 src1_sel:DWORD
	v_lshlrev_b64 v[40:41], v39, -1
	v_and_b32_e32 v5, s31, v41
	v_and_b32_e32 v47, 63, v39
	v_or_b32_e32 v5, 0x80000000, v5
	v_cmp_ne_u32_e32 vcc, 63, v47
	v_and_b32_e32 v6, s30, v40
	v_ffbl_b32_e32 v5, v5
	v_addc_co_u32_e32 v7, vcc, 0, v39, vcc
	v_add_u32_e32 v5, 32, v5
	v_ffbl_b32_e32 v6, v6
	v_lshlrev_b32_e32 v48, 2, v7
	v_min_u32_e32 v5, v6, v5
	ds_bpermute_b32 v6, v48, v3
	v_cmp_eq_u32_e32 vcc, 0, v2
	v_cmp_lt_u32_e64 s[30:31], v47, v5
	ds_bpermute_b32 v7, v48, v2
	s_and_b64 vcc, s[30:31], vcc
	s_waitcnt lgkmcnt(1)
	v_cndmask_b32_e32 v6, 0, v6, vcc
	v_cmp_gt_u32_e32 vcc, 62, v47
	v_add_u32_e32 v3, v6, v3
	v_cndmask_b32_e64 v6, 0, 1, vcc
	v_lshlrev_b32_e32 v6, 1, v6
	v_add_lshl_u32 v49, v6, v39, 2
	s_waitcnt lgkmcnt(0)
	v_cndmask_b32_e64 v7, 0, v7, s[30:31]
	ds_bpermute_b32 v6, v49, v3
	v_add_u32_e32 v2, v7, v2
	ds_bpermute_b32 v7, v49, v2
	v_add_u32_e32 v50, 2, v47
	v_cmp_eq_u32_e32 vcc, 0, v2
	s_waitcnt lgkmcnt(1)
	v_cndmask_b32_e32 v6, 0, v6, vcc
	v_cmp_gt_u32_e32 vcc, v50, v5
	v_cndmask_b32_e64 v6, v6, 0, vcc
	v_add_u32_e32 v3, v6, v3
	s_waitcnt lgkmcnt(0)
	v_cndmask_b32_e64 v6, v7, 0, vcc
	v_cmp_gt_u32_e32 vcc, 60, v47
	v_cndmask_b32_e64 v7, 0, 1, vcc
	v_lshlrev_b32_e32 v7, 2, v7
	v_add_lshl_u32 v51, v7, v39, 2
	ds_bpermute_b32 v7, v51, v3
	v_add_u32_e32 v2, v2, v6
	ds_bpermute_b32 v6, v51, v2
	v_add_u32_e32 v52, 4, v47
	v_cmp_eq_u32_e32 vcc, 0, v2
	s_waitcnt lgkmcnt(1)
	v_cndmask_b32_e32 v7, 0, v7, vcc
	v_cmp_gt_u32_e32 vcc, v52, v5
	v_cndmask_b32_e64 v7, v7, 0, vcc
	s_waitcnt lgkmcnt(0)
	v_cndmask_b32_e64 v6, v6, 0, vcc
	v_cmp_gt_u32_e32 vcc, 56, v47
	v_add_u32_e32 v3, v3, v7
	v_cndmask_b32_e64 v7, 0, 1, vcc
	v_lshlrev_b32_e32 v7, 3, v7
	v_add_lshl_u32 v53, v7, v39, 2
	ds_bpermute_b32 v7, v53, v3
	v_add_u32_e32 v2, v2, v6
	ds_bpermute_b32 v6, v53, v2
	v_add_u32_e32 v54, 8, v47
	v_cmp_eq_u32_e32 vcc, 0, v2
	s_waitcnt lgkmcnt(1)
	v_cndmask_b32_e32 v7, 0, v7, vcc
	v_cmp_gt_u32_e32 vcc, v54, v5
	v_cndmask_b32_e64 v7, v7, 0, vcc
	s_waitcnt lgkmcnt(0)
	v_cndmask_b32_e64 v6, v6, 0, vcc
	v_cmp_gt_u32_e32 vcc, 48, v47
	v_add_u32_e32 v3, v3, v7
	;; [unrolled: 16-line block ×3, first 2 shown]
	v_cndmask_b32_e64 v7, 0, 1, vcc
	v_lshlrev_b32_e32 v7, 5, v7
	v_add_lshl_u32 v57, v7, v39, 2
	ds_bpermute_b32 v7, v57, v3
	v_add_u32_e32 v2, v2, v6
	ds_bpermute_b32 v6, v57, v2
	v_add_u32_e32 v58, 32, v47
	v_cmp_eq_u32_e32 vcc, 0, v2
	s_waitcnt lgkmcnt(1)
	v_cndmask_b32_e32 v7, 0, v7, vcc
	v_cmp_gt_u32_e32 vcc, v58, v5
	v_cndmask_b32_e64 v5, v7, 0, vcc
	v_add_u32_e32 v3, v5, v3
	s_waitcnt lgkmcnt(0)
	v_cndmask_b32_e64 v5, v6, 0, vcc
	v_add_u32_e32 v2, v5, v2
	v_mov_b32_e32 v39, 0
	s_branch .LBB1023_101
.LBB1023_100:                           ;   in Loop: Header=BB1023_101 Depth=1
	s_or_b64 exec, exec, s[30:31]
	v_cmp_eq_u16_sdwa s[30:31], v4, v46 src0_sel:BYTE_0 src1_sel:DWORD
	v_and_b32_e32 v5, s31, v41
	v_or_b32_e32 v5, 0x80000000, v5
	v_and_b32_e32 v42, s30, v40
	v_ffbl_b32_e32 v5, v5
	v_add_u32_e32 v5, 32, v5
	v_ffbl_b32_e32 v42, v42
	v_min_u32_e32 v5, v42, v5
	ds_bpermute_b32 v42, v48, v3
	v_cmp_eq_u32_e32 vcc, 0, v2
	v_cmp_lt_u32_e64 s[30:31], v47, v5
	ds_bpermute_b32 v43, v48, v2
	s_and_b64 vcc, s[30:31], vcc
	s_waitcnt lgkmcnt(1)
	v_cndmask_b32_e32 v42, 0, v42, vcc
	v_add_u32_e32 v3, v42, v3
	ds_bpermute_b32 v42, v49, v3
	s_waitcnt lgkmcnt(1)
	v_cndmask_b32_e64 v43, 0, v43, s[30:31]
	v_add_u32_e32 v2, v43, v2
	v_cmp_eq_u32_e32 vcc, 0, v2
	ds_bpermute_b32 v43, v49, v2
	s_waitcnt lgkmcnt(1)
	v_cndmask_b32_e32 v42, 0, v42, vcc
	v_cmp_gt_u32_e32 vcc, v50, v5
	v_cndmask_b32_e64 v42, v42, 0, vcc
	v_add_u32_e32 v3, v42, v3
	ds_bpermute_b32 v42, v51, v3
	s_waitcnt lgkmcnt(1)
	v_cndmask_b32_e64 v43, v43, 0, vcc
	v_add_u32_e32 v2, v2, v43
	v_cmp_eq_u32_e32 vcc, 0, v2
	ds_bpermute_b32 v43, v51, v2
	s_waitcnt lgkmcnt(1)
	v_cndmask_b32_e32 v42, 0, v42, vcc
	v_cmp_gt_u32_e32 vcc, v52, v5
	v_cndmask_b32_e64 v42, v42, 0, vcc
	v_add_u32_e32 v3, v3, v42
	ds_bpermute_b32 v42, v53, v3
	s_waitcnt lgkmcnt(1)
	v_cndmask_b32_e64 v43, v43, 0, vcc
	v_add_u32_e32 v2, v2, v43
	ds_bpermute_b32 v43, v53, v2
	v_cmp_eq_u32_e32 vcc, 0, v2
	s_waitcnt lgkmcnt(1)
	v_cndmask_b32_e32 v42, 0, v42, vcc
	v_cmp_gt_u32_e32 vcc, v54, v5
	v_cndmask_b32_e64 v42, v42, 0, vcc
	v_add_u32_e32 v3, v3, v42
	ds_bpermute_b32 v42, v55, v3
	s_waitcnt lgkmcnt(1)
	v_cndmask_b32_e64 v43, v43, 0, vcc
	v_add_u32_e32 v2, v2, v43
	ds_bpermute_b32 v43, v55, v2
	v_cmp_eq_u32_e32 vcc, 0, v2
	;; [unrolled: 11-line block ×3, first 2 shown]
	s_waitcnt lgkmcnt(1)
	v_cndmask_b32_e32 v42, 0, v42, vcc
	v_cmp_gt_u32_e32 vcc, v58, v5
	v_cndmask_b32_e64 v5, v42, 0, vcc
	v_add_u32_e32 v3, v5, v3
	s_waitcnt lgkmcnt(0)
	v_cndmask_b32_e64 v5, v43, 0, vcc
	v_cmp_eq_u32_e32 vcc, 0, v6
	v_cndmask_b32_e32 v3, 0, v3, vcc
	v_subrev_u32_e32 v38, 64, v38
	v_add3_u32 v2, v2, v6, v5
	v_add_u32_e32 v3, v3, v7
.LBB1023_101:                           ; =>This Loop Header: Depth=1
                                        ;     Child Loop BB1023_104 Depth 2
	v_cmp_ne_u16_sdwa s[30:31], v4, v46 src0_sel:BYTE_0 src1_sel:DWORD
	v_mov_b32_e32 v7, v3
	v_cndmask_b32_e64 v3, 0, 1, s[30:31]
	;;#ASMSTART
	;;#ASMEND
	v_cmp_ne_u32_e32 vcc, 0, v3
	s_cmp_lg_u64 vcc, exec
	v_mov_b32_e32 v6, v2
	s_cbranch_scc1 .LBB1023_106
; %bb.102:                              ;   in Loop: Header=BB1023_101 Depth=1
	v_lshlrev_b64 v[2:3], 4, v[38:39]
	v_mov_b32_e32 v4, s37
	v_add_co_u32_e32 v42, vcc, s36, v2
	v_addc_co_u32_e32 v43, vcc, v4, v3, vcc
	;;#ASMSTART
	global_load_dwordx4 v[2:5], v[42:43] off glc	
s_waitcnt vmcnt(0)
	;;#ASMEND
	v_and_b32_e32 v5, 0xff, v3
	v_and_b32_e32 v59, 0xff00, v3
	;; [unrolled: 1-line block ×3, first 2 shown]
	v_or3_b32 v5, 0, v5, v59
	v_or3_b32 v2, v2, 0, 0
	v_and_b32_e32 v3, 0xff000000, v3
	v_or3_b32 v3, v5, v60, v3
	v_or3_b32 v2, v2, 0, 0
	v_cmp_eq_u16_sdwa s[52:53], v4, v39 src0_sel:BYTE_0 src1_sel:DWORD
	s_and_saveexec_b64 s[30:31], s[52:53]
	s_cbranch_execz .LBB1023_100
; %bb.103:                              ;   in Loop: Header=BB1023_101 Depth=1
	s_mov_b64 s[52:53], 0
.LBB1023_104:                           ;   Parent Loop BB1023_101 Depth=1
                                        ; =>  This Inner Loop Header: Depth=2
	;;#ASMSTART
	global_load_dwordx4 v[2:5], v[42:43] off glc	
s_waitcnt vmcnt(0)
	;;#ASMEND
	v_cmp_ne_u16_sdwa s[56:57], v4, v39 src0_sel:BYTE_0 src1_sel:DWORD
	s_or_b64 s[52:53], s[56:57], s[52:53]
	s_andn2_b64 exec, exec, s[52:53]
	s_cbranch_execnz .LBB1023_104
; %bb.105:                              ;   in Loop: Header=BB1023_101 Depth=1
	s_or_b64 exec, exec, s[52:53]
	s_branch .LBB1023_100
.LBB1023_106:                           ;   in Loop: Header=BB1023_101 Depth=1
                                        ; implicit-def: $vgpr3
                                        ; implicit-def: $vgpr2
                                        ; implicit-def: $vgpr4
	s_cbranch_execz .LBB1023_101
; %bb.107:
	s_and_saveexec_b64 s[30:31], s[26:27]
	s_cbranch_execz .LBB1023_109
; %bb.108:
	s_cmp_eq_u32 s7, 0
	s_cselect_b64 vcc, -1, 0
	s_mov_b32 s53, 0
	v_cndmask_b32_e32 v2, 0, v7, vcc
	s_add_i32 s52, s6, 64
	v_add_u32_e32 v2, s54, v2
	s_lshl_b64 s[52:53], s[52:53], 4
	s_add_u32 s52, s36, s52
	v_and_b32_e32 v3, 0xff000000, v2
	v_and_b32_e32 v4, 0xff0000, v2
	s_addc_u32 s53, s37, s53
	v_or_b32_e32 v3, v4, v3
	v_and_b32_e32 v4, 0xff00, v2
	v_and_b32_e32 v2, 0xff, v2
	v_add_u32_e32 v38, s7, v6
	v_mov_b32_e32 v41, 0
	v_or3_b32 v39, v3, v4, v2
	v_mov_b32_e32 v40, 2
	v_pk_mov_b32 v[2:3], s[52:53], s[52:53] op_sel:[0,1]
	;;#ASMSTART
	global_store_dwordx4 v[2:3], v[38:41] off	
s_waitcnt vmcnt(0)
	;;#ASMEND
	v_mov_b32_e32 v4, s7
	v_mov_b32_e32 v5, s54
	ds_write_b128 v41, v[4:7] offset:2048
.LBB1023_109:
	s_or_b64 exec, exec, s[30:31]
	v_cmp_eq_u32_e32 vcc, 0, v0
	s_and_b64 exec, exec, vcc
	s_cbranch_execz .LBB1023_111
; %bb.110:
	v_mov_b32_e32 v2, 0
	ds_write_b64 v2, v[6:7] offset:2088
.LBB1023_111:
	s_or_b64 exec, exec, s[44:45]
	v_mov_b32_e32 v4, 0
	s_waitcnt lgkmcnt(0)
	s_barrier
	ds_read_b64 v[2:3], v4 offset:2088
	v_cndmask_b32_e64 v6, v44, v36, s[26:27]
	v_cmp_eq_u32_e32 vcc, 0, v6
	v_cndmask_b32_e64 v5, v45, v37, s[26:27]
	s_waitcnt lgkmcnt(0)
	v_cndmask_b32_e32 v7, 0, v3, vcc
	v_add_u32_e32 v5, v7, v5
	v_cmp_eq_u32_e32 vcc, 0, v0
	v_cndmask_b32_e32 v65, v5, v3, vcc
	v_cndmask_b32_e64 v3, v6, 0, vcc
	v_cmp_eq_u32_e32 vcc, 0, v82
	v_add_u32_e32 v64, v2, v3
	v_cndmask_b32_e32 v2, 0, v65, vcc
	v_add_u32_e32 v63, v2, v34
	v_cndmask_b32_e64 v2, 0, v63, s[24:25]
	v_add_u32_e32 v61, v2, v35
	v_cndmask_b32_e64 v2, 0, v61, s[22:23]
	;; [unrolled: 2-line block ×8, first 2 shown]
	v_add_u32_e32 v62, v64, v82
	v_add_u32_e32 v47, v2, v26
	v_add_u32_e32 v60, v62, v79
	v_cndmask_b32_e64 v2, 0, v47, s[8:9]
	v_add_u32_e32 v58, v60, v78
	v_add_u32_e32 v45, v2, v27
	v_add_u32_e32 v56, v58, v77
	v_cndmask_b32_e64 v2, 0, v45, s[28:29]
	v_add_u32_e32 v54, v56, v76
	v_add_u32_e32 v43, v2, v24
	v_add_u32_e32 v52, v54, v75
	v_cndmask_b32_e64 v2, 0, v43, s[4:5]
	v_add_u32_e32 v50, v52, v74
	v_add_u32_e32 v41, v2, v25
	s_barrier
	ds_read_b128 v[2:5], v4 offset:2048
	v_add_u32_e32 v48, v50, v73
	v_add_u32_e32 v46, v48, v72
	;; [unrolled: 1-line block ×4, first 2 shown]
	v_cndmask_b32_e64 v6, 0, v41, s[2:3]
	v_add_u32_e32 v40, v42, v69
	v_add_u32_e32 v39, v6, v22
	s_waitcnt lgkmcnt(0)
	v_cmp_eq_u32_e32 vcc, 0, v2
	v_add_u32_e32 v38, v40, v68
	v_cndmask_b32_e64 v6, 0, v39, s[0:1]
	v_cndmask_b32_e32 v5, 0, v5, vcc
	v_add_u32_e32 v36, v38, v67
	v_add_u32_e32 v37, v6, v23
	;; [unrolled: 1-line block ×3, first 2 shown]
	s_branch .LBB1023_124
.LBB1023_112:
                                        ; implicit-def: $vgpr2
                                        ; implicit-def: $vgpr81
                                        ; implicit-def: $vgpr64_vgpr65
                                        ; implicit-def: $vgpr62_vgpr63
                                        ; implicit-def: $vgpr60_vgpr61
                                        ; implicit-def: $vgpr58_vgpr59
                                        ; implicit-def: $vgpr56_vgpr57
                                        ; implicit-def: $vgpr54_vgpr55
                                        ; implicit-def: $vgpr52_vgpr53
                                        ; implicit-def: $vgpr50_vgpr51
                                        ; implicit-def: $vgpr48_vgpr49
                                        ; implicit-def: $vgpr46_vgpr47
                                        ; implicit-def: $vgpr44_vgpr45
                                        ; implicit-def: $vgpr42_vgpr43
                                        ; implicit-def: $vgpr40_vgpr41
                                        ; implicit-def: $vgpr38_vgpr39
                                        ; implicit-def: $vgpr36_vgpr37
	s_cbranch_execz .LBB1023_124
; %bb.113:
	s_and_b64 s[0:1], s[38:39], exec
	s_cselect_b32 s1, 0, s51
	s_cselect_b32 s0, 0, s50
	s_cmp_eq_u64 s[0:1], 0
	v_mov_b32_e32 v6, v34
	s_cbranch_scc1 .LBB1023_115
; %bb.114:
	v_mov_b32_e32 v2, 0
	global_load_dword v6, v2, s[0:1]
.LBB1023_115:
	v_cmp_eq_u32_e64 s[0:1], 0, v79
	v_cndmask_b32_e64 v2, 0, v34, s[0:1]
	v_add_u32_e32 v2, v2, v35
	v_cmp_eq_u32_e64 s[2:3], 0, v78
	v_cndmask_b32_e64 v2, 0, v2, s[2:3]
	v_add_u32_e32 v2, v2, v32
	;; [unrolled: 3-line block ×11, first 2 shown]
	v_cmp_eq_u32_e64 s[22:23], 0, v68
	v_cndmask_b32_e64 v2, 0, v2, s[22:23]
	v_add3_u32 v3, v86, v75, v74
	v_add_u32_e32 v2, v2, v22
	v_cmp_eq_u32_e32 vcc, 0, v67
	v_add3_u32 v3, v3, v73, v72
	v_cndmask_b32_e32 v2, 0, v2, vcc
	v_add3_u32 v3, v3, v71, v70
	v_add_u32_e32 v2, v2, v23
	v_cmp_eq_u32_e64 s[24:25], 0, v66
	v_add3_u32 v3, v3, v69, v68
	v_cndmask_b32_e64 v2, 0, v2, s[24:25]
	v_add3_u32 v3, v3, v67, v66
	v_add_u32_e32 v2, v2, v80
	v_mbcnt_hi_u32_b32 v7, -1, v85
	v_and_b32_e32 v4, 15, v7
	v_mov_b32_dpp v36, v2 row_shr:1 row_mask:0xf bank_mask:0xf
	v_cmp_eq_u32_e64 s[24:25], 0, v3
	v_mov_b32_dpp v5, v3 row_shr:1 row_mask:0xf bank_mask:0xf
	v_cndmask_b32_e64 v36, 0, v36, s[24:25]
	v_cmp_eq_u32_e64 s[24:25], 0, v4
	v_cndmask_b32_e64 v5, v5, 0, s[24:25]
	v_add_u32_e32 v3, v5, v3
	v_cndmask_b32_e64 v5, v36, 0, s[24:25]
	v_add_u32_e32 v2, v5, v2
	v_cmp_eq_u32_e64 s[24:25], 0, v3
	v_mov_b32_dpp v5, v3 row_shr:2 row_mask:0xf bank_mask:0xf
	v_cmp_lt_u32_e64 s[26:27], 1, v4
	v_mov_b32_dpp v36, v2 row_shr:2 row_mask:0xf bank_mask:0xf
	v_cndmask_b32_e64 v5, 0, v5, s[26:27]
	s_and_b64 s[24:25], s[26:27], s[24:25]
	v_cndmask_b32_e64 v36, 0, v36, s[24:25]
	v_add_u32_e32 v3, v3, v5
	v_add_u32_e32 v2, v36, v2
	v_cmp_eq_u32_e64 s[24:25], 0, v3
	v_mov_b32_dpp v5, v3 row_shr:4 row_mask:0xf bank_mask:0xf
	v_cmp_lt_u32_e64 s[26:27], 3, v4
	v_mov_b32_dpp v36, v2 row_shr:4 row_mask:0xf bank_mask:0xf
	v_cndmask_b32_e64 v5, 0, v5, s[26:27]
	s_and_b64 s[24:25], s[26:27], s[24:25]
	v_cndmask_b32_e64 v36, 0, v36, s[24:25]
	v_add_u32_e32 v3, v5, v3
	v_add_u32_e32 v2, v2, v36
	v_cmp_eq_u32_e64 s[24:25], 0, v3
	v_cmp_lt_u32_e64 s[26:27], 7, v4
	v_mov_b32_dpp v5, v3 row_shr:8 row_mask:0xf bank_mask:0xf
	v_mov_b32_dpp v36, v2 row_shr:8 row_mask:0xf bank_mask:0xf
	s_and_b64 s[24:25], s[26:27], s[24:25]
	v_cndmask_b32_e64 v4, 0, v5, s[26:27]
	v_cndmask_b32_e64 v5, 0, v36, s[24:25]
	v_add_u32_e32 v2, v5, v2
	v_add_u32_e32 v3, v4, v3
	v_bfe_i32 v36, v7, 4, 1
	v_mov_b32_dpp v5, v2 row_bcast:15 row_mask:0xf bank_mask:0xf
	v_mov_b32_dpp v4, v3 row_bcast:15 row_mask:0xf bank_mask:0xf
	v_cmp_eq_u32_e64 s[24:25], 0, v3
	v_cndmask_b32_e64 v5, 0, v5, s[24:25]
	v_and_b32_e32 v4, v36, v4
	v_add_u32_e32 v3, v4, v3
	v_and_b32_e32 v4, v36, v5
	v_add_u32_e32 v4, v4, v2
	v_mov_b32_dpp v2, v3 row_bcast:31 row_mask:0xf bank_mask:0xf
	v_cmp_eq_u32_e64 s[24:25], 0, v3
	v_cmp_lt_u32_e64 s[26:27], 31, v7
	v_mov_b32_dpp v5, v4 row_bcast:31 row_mask:0xf bank_mask:0xf
	v_cndmask_b32_e64 v2, 0, v2, s[26:27]
	s_and_b64 s[24:25], s[26:27], s[24:25]
	v_add_u32_e32 v2, v2, v3
	v_cndmask_b32_e64 v3, 0, v5, s[24:25]
	v_add_u32_e32 v3, v3, v4
	v_cmp_eq_u32_e64 s[24:25], v84, v0
	v_lshlrev_b32_e32 v5, 3, v83
	s_and_saveexec_b64 s[26:27], s[24:25]
	s_cbranch_execz .LBB1023_117
; %bb.116:
	ds_write_b64 v5, v[2:3] offset:2064
.LBB1023_117:
	s_or_b64 exec, exec, s[26:27]
	v_cmp_gt_u32_e64 s[24:25], 4, v0
	s_waitcnt lgkmcnt(0)
	s_barrier
	s_and_saveexec_b64 s[28:29], s[24:25]
	s_cbranch_execz .LBB1023_119
; %bb.118:
	v_lshlrev_b32_e32 v4, 3, v0
	ds_read_b64 v[36:37], v4 offset:2064
	v_and_b32_e32 v38, 3, v7
	v_cmp_lt_u32_e64 s[26:27], 1, v38
	s_waitcnt lgkmcnt(0)
	v_mov_b32_dpp v40, v37 row_shr:1 row_mask:0xf bank_mask:0xf
	v_cmp_eq_u32_e64 s[24:25], 0, v36
	v_mov_b32_dpp v39, v36 row_shr:1 row_mask:0xf bank_mask:0xf
	v_cndmask_b32_e64 v40, 0, v40, s[24:25]
	v_cmp_eq_u32_e64 s[24:25], 0, v38
	v_cndmask_b32_e64 v39, v39, 0, s[24:25]
	v_add_u32_e32 v36, v39, v36
	v_cndmask_b32_e64 v39, v40, 0, s[24:25]
	v_add_u32_e32 v37, v39, v37
	v_cmp_eq_u32_e64 s[24:25], 0, v36
	v_mov_b32_dpp v39, v36 row_shr:2 row_mask:0xf bank_mask:0xf
	v_mov_b32_dpp v40, v37 row_shr:2 row_mask:0xf bank_mask:0xf
	v_cndmask_b32_e64 v38, 0, v39, s[26:27]
	s_and_b64 s[24:25], s[26:27], s[24:25]
	v_add_u32_e32 v36, v38, v36
	v_cndmask_b32_e64 v38, 0, v40, s[24:25]
	v_add_u32_e32 v37, v38, v37
	ds_write_b64 v4, v[36:37] offset:2064
.LBB1023_119:
	s_or_b64 exec, exec, s[28:29]
	v_cmp_lt_u32_e64 s[24:25], 63, v0
	v_mov_b32_e32 v36, 0
	v_mov_b32_e32 v4, 0
	s_waitcnt vmcnt(0)
	v_mov_b32_e32 v37, v6
	s_waitcnt lgkmcnt(0)
	s_barrier
	s_and_saveexec_b64 s[26:27], s[24:25]
	s_cbranch_execz .LBB1023_121
; %bb.120:
	ds_read_b64 v[4:5], v5 offset:2056
	s_waitcnt lgkmcnt(0)
	v_cmp_eq_u32_e64 s[24:25], 0, v4
	v_cndmask_b32_e64 v37, 0, v6, s[24:25]
	v_add_u32_e32 v37, v37, v5
.LBB1023_121:
	s_or_b64 exec, exec, s[26:27]
	v_cmp_eq_u32_e64 s[24:25], 0, v2
	v_add_u32_e32 v5, v4, v2
	v_cndmask_b32_e64 v2, 0, v37, s[24:25]
	v_add_u32_e32 v2, v2, v3
	v_add_u32_e32 v3, -1, v7
	v_and_b32_e32 v38, 64, v7
	v_cmp_lt_i32_e64 s[24:25], v3, v38
	v_cndmask_b32_e64 v3, v3, v7, s[24:25]
	v_lshlrev_b32_e32 v3, 2, v3
	ds_bpermute_b32 v5, v3, v5
	ds_bpermute_b32 v2, v3, v2
	v_cmp_eq_u32_e64 s[24:25], 0, v7
	v_cmp_eq_u32_e64 s[26:27], 0, v82
	s_waitcnt lgkmcnt(1)
	v_cndmask_b32_e64 v3, v5, v4, s[24:25]
	s_waitcnt lgkmcnt(0)
	v_cndmask_b32_e64 v2, v2, v37, s[24:25]
	v_cmp_eq_u32_e64 s[24:25], 0, v0
	v_cndmask_b32_e64 v65, v2, v6, s[24:25]
	v_cndmask_b32_e64 v2, 0, v65, s[26:27]
	v_add_u32_e32 v63, v2, v34
	v_cndmask_b32_e64 v2, 0, v63, s[0:1]
	v_add_u32_e32 v61, v2, v35
	;; [unrolled: 2-line block ×8, first 2 shown]
	v_cndmask_b32_e64 v64, v3, 0, s[24:25]
	v_cndmask_b32_e64 v2, 0, v49, s[14:15]
	v_add_u32_e32 v62, v64, v82
	v_add_u32_e32 v47, v2, v26
	v_add_u32_e32 v60, v62, v79
	v_cndmask_b32_e64 v2, 0, v47, s[16:17]
	v_add_u32_e32 v58, v60, v78
	v_add_u32_e32 v45, v2, v27
	v_add_u32_e32 v56, v58, v77
	v_cndmask_b32_e64 v2, 0, v45, s[18:19]
	v_add_u32_e32 v54, v56, v76
	v_add_u32_e32 v43, v2, v24
	v_add_u32_e32 v52, v54, v75
	v_cndmask_b32_e64 v2, 0, v43, s[20:21]
	v_add_u32_e32 v50, v52, v74
	v_add_u32_e32 v41, v2, v25
	ds_read_b64 v[2:3], v36 offset:2088
	v_add_u32_e32 v48, v50, v73
	v_add_u32_e32 v46, v48, v72
	;; [unrolled: 1-line block ×3, first 2 shown]
	v_cndmask_b32_e64 v4, 0, v41, s[22:23]
	v_add_u32_e32 v42, v44, v70
	v_add_u32_e32 v39, v4, v22
	;; [unrolled: 1-line block ×3, first 2 shown]
	v_cndmask_b32_e32 v4, 0, v39, vcc
	s_waitcnt lgkmcnt(0)
	v_cmp_eq_u32_e32 vcc, 0, v2
	v_add_u32_e32 v38, v40, v68
	v_add_u32_e32 v37, v4, v23
	v_cndmask_b32_e32 v4, 0, v6, vcc
	v_add_u32_e32 v36, v38, v67
	v_add_u32_e32 v81, v4, v3
	s_and_saveexec_b64 s[0:1], s[24:25]
	s_cbranch_execz .LBB1023_123
; %bb.122:
	s_add_u32 s2, s36, 0x400
	v_and_b32_e32 v3, 0xff000000, v81
	v_and_b32_e32 v4, 0xff0000, v81
	s_addc_u32 s3, s37, 0
	v_or_b32_e32 v3, v4, v3
	v_and_b32_e32 v4, 0xff00, v81
	v_and_b32_e32 v6, 0xff, v81
	v_mov_b32_e32 v5, 0
	v_or3_b32 v3, v3, v4, v6
	v_mov_b32_e32 v4, 2
	v_pk_mov_b32 v[6:7], s[2:3], s[2:3] op_sel:[0,1]
	;;#ASMSTART
	global_store_dwordx4 v[6:7], v[2:5] off	
s_waitcnt vmcnt(0)
	;;#ASMEND
.LBB1023_123:
	s_or_b64 exec, exec, s[0:1]
	v_mov_b32_e32 v4, 0
.LBB1023_124:
	s_and_b64 s[0:1], s[38:39], exec
	s_cselect_b32 s1, 0, s47
	s_cselect_b32 s0, 0, s46
	s_cmp_eq_u64 s[0:1], 0
	v_pk_mov_b32 v[6:7], 0, 0
	s_barrier
	s_cbranch_scc1 .LBB1023_126
; %bb.125:
	v_mov_b32_e32 v3, 0
	global_load_dwordx2 v[6:7], v3, s[0:1]
.LBB1023_126:
	s_movk_i32 s36, 0x100
	v_cmp_gt_u32_e32 vcc, s36, v2
	s_cbranch_vccnz .LBB1023_133
; %bb.127:
	v_cmp_eq_u32_e64 s[26:27], 0, v79
	v_cndmask_b32_e64 v33, 1, 2, s[26:27]
	v_cmp_eq_u32_e64 s[26:27], 0, v82
	v_cmp_eq_u32_e64 s[24:25], 0, v78
	v_cndmask_b32_e64 v34, 1, 2, s[26:27]
	v_cmp_eq_u32_e64 s[22:23], 0, v77
	v_cndmask_b32_e64 v32, 1, 2, s[24:25]
	v_and_b32_e32 v33, v33, v34
	v_cmp_eq_u32_e64 s[20:21], 0, v76
	v_cndmask_b32_e64 v31, 1, 2, s[22:23]
	v_and_b32_e32 v32, v33, v32
	;; [unrolled: 3-line block ×11, first 2 shown]
	v_cmp_eq_u32_e32 vcc, 0, v66
	v_cndmask_b32_e64 v5, 1, 2, s[0:1]
	v_and_b32_e32 v22, v23, v22
	v_cndmask_b32_e64 v3, 1, 2, vcc
	v_and_b32_e32 v5, v22, v5
	v_and_b32_e32 v3, v5, v3
	v_cmp_ne_u32_e64 s[18:19], 0, v82
	v_cmp_ne_u32_e32 vcc, 0, v67
	v_cmp_ne_u32_e64 s[0:1], 0, v68
	v_cmp_ne_u32_e64 s[2:3], 0, v69
	;; [unrolled: 1-line block ×12, first 2 shown]
	v_cmp_gt_i16_e64 s[26:27], 2, v3
	s_and_saveexec_b64 s[28:29], s[26:27]
	s_cbranch_execz .LBB1023_132
; %bb.128:
	v_cmp_ne_u16_e64 s[26:27], 1, v3
	s_mov_b64 s[30:31], 0
	s_and_saveexec_b64 s[38:39], s[26:27]
	s_xor_b64 s[26:27], exec, s[38:39]
	s_cbranch_execnz .LBB1023_167
; %bb.129:
	s_andn2_saveexec_b64 s[0:1], s[26:27]
	s_cbranch_execnz .LBB1023_183
.LBB1023_130:
	s_or_b64 exec, exec, s[0:1]
	s_and_b64 exec, exec, s[30:31]
	s_cbranch_execz .LBB1023_132
.LBB1023_131:
	v_sub_u32_e32 v3, v36, v4
	v_lshlrev_b32_e32 v3, 2, v3
	ds_write_b32 v3, v1
.LBB1023_132:
	s_or_b64 exec, exec, s[28:29]
	s_waitcnt lgkmcnt(0)
	s_barrier
.LBB1023_133:
	s_cmpk_lg_i32 s33, 0xf00
	s_cselect_b64 s[0:1], -1, 0
	s_and_b64 s[0:1], s[48:49], s[0:1]
	v_cmp_eq_u32_e32 vcc, 0, v0
	v_cndmask_b32_e64 v8, 0, 1, s[0:1]
	s_and_b64 s[0:1], vcc, s[34:35]
	v_cndmask_b32_e64 v9, v82, 0, s[0:1]
	s_mul_hi_u32 s0, s33, 0x88888889
	s_lshr_b32 s0, s0, 3
	v_mad_i32_i24 v10, v0, -15, s33
	v_cmp_eq_u32_e32 vcc, s0, v0
	v_cmp_ne_u32_e64 s[0:1], 0, v10
	v_cndmask_b32_e64 v11, 1, v9, s[0:1]
	v_cmp_ne_u32_e64 s[0:1], 1, v10
	v_cndmask_b32_e64 v12, 1, v79, s[0:1]
	;; [unrolled: 2-line block ×15, first 2 shown]
	s_and_b64 vcc, s[48:49], vcc
	v_cndmask_b32_e32 v25, v66, v10, vcc
	v_cndmask_b32_e32 v29, v9, v11, vcc
	s_waitcnt vmcnt(0)
	v_lshlrev_b64 v[10:11], 2, v[6:7]
	v_mov_b32_e32 v5, 0
	v_cndmask_b32_e32 v24, v67, v24, vcc
	v_cndmask_b32_e32 v23, v68, v23, vcc
	;; [unrolled: 1-line block ×13, first 2 shown]
	v_mov_b32_e32 v9, s41
	v_add_co_u32_e32 v12, vcc, s40, v10
	v_addc_co_u32_e32 v9, vcc, v9, v11, vcc
	v_lshlrev_b64 v[10:11], 2, v[4:5]
	v_cndmask_b32_e64 v1, 0, 1, s[34:35]
	v_add_co_u32_e32 v5, vcc, v12, v10
	v_addc_co_u32_e32 v12, vcc, v9, v11, vcc
	v_lshlrev_b32_e32 v9, 2, v1
	v_add_co_u32_e32 v9, vcc, v9, v5
	v_addc_co_u32_e32 v10, vcc, 0, v12, vcc
	v_add_co_u32_e32 v13, vcc, -4, v9
	v_addc_co_u32_e32 v14, vcc, -1, v10, vcc
	v_cmp_eq_u32_e32 vcc, 0, v29
	v_cndmask_b32_e64 v10, 1, 2, vcc
	v_cmp_eq_u32_e32 vcc, 0, v28
	v_cndmask_b32_e64 v11, 1, 2, vcc
	v_cmp_eq_u32_e32 vcc, 0, v27
	v_and_b32_e32 v10, v11, v10
	v_cndmask_b32_e64 v11, 1, 2, vcc
	v_cmp_eq_u32_e32 vcc, 0, v26
	v_and_b32_e32 v10, v10, v11
	;; [unrolled: 3-line block ×11, first 2 shown]
	v_cndmask_b32_e64 v11, 1, 2, vcc
	v_cmp_eq_u32_e32 vcc, 0, v24
	v_sub_u32_e32 v3, v2, v1
	v_and_b32_e32 v10, v10, v11
	v_cndmask_b32_e64 v11, 1, 2, vcc
	v_cmp_eq_u32_e32 vcc, 0, v25
	v_add_u32_e32 v3, v3, v8
	v_and_b32_e32 v10, v10, v11
	v_cndmask_b32_e64 v11, 1, 2, vcc
	v_and_b32_e32 v10, v10, v11
	v_cmp_gt_u32_e32 vcc, s36, v3
	v_add_u32_e32 v9, v4, v1
	v_cmp_ne_u32_e64 s[28:29], 0, v29
	v_cmp_ne_u32_e64 s[26:27], 0, v28
	v_cmp_ne_u32_e64 s[24:25], 0, v27
	v_cmp_ne_u32_e64 s[22:23], 0, v26
	v_cmp_ne_u32_e64 s[20:21], 0, v15
	v_cmp_ne_u32_e64 s[18:19], 0, v16
	v_cmp_ne_u32_e64 s[16:17], 0, v17
	v_cmp_ne_u32_e64 s[14:15], 0, v18
	v_cmp_ne_u32_e64 s[12:13], 0, v19
	v_cmp_ne_u32_e64 s[10:11], 0, v20
	v_cmp_ne_u32_e64 s[8:9], 0, v21
	v_cmp_ne_u32_e64 s[6:7], 0, v22
	v_cmp_ne_u32_e64 s[4:5], 0, v23
	v_cmp_ne_u32_e64 s[2:3], 0, v24
	v_cmp_ne_u32_e64 s[0:1], 0, v25
	s_mov_b64 s[34:35], -1
	v_cmp_gt_i16_e64 s[30:31], 2, v10
	s_barrier
	s_cbranch_vccz .LBB1023_140
; %bb.134:
	s_and_saveexec_b64 s[34:35], s[30:31]
	s_cbranch_execz .LBB1023_139
; %bb.135:
	v_cmp_ne_u16_e32 vcc, 1, v10
	s_mov_b64 s[36:37], 0
	s_and_saveexec_b64 s[30:31], vcc
	s_xor_b64 s[30:31], exec, s[30:31]
	s_cbranch_execnz .LBB1023_184
; %bb.136:
	s_andn2_saveexec_b64 s[30:31], s[30:31]
	s_cbranch_execnz .LBB1023_200
.LBB1023_137:
	s_or_b64 exec, exec, s[30:31]
	s_and_b64 exec, exec, s[36:37]
	s_cbranch_execz .LBB1023_139
.LBB1023_138:
	v_sub_u32_e32 v16, v36, v9
	v_mov_b32_e32 v17, 0
	v_lshlrev_b64 v[16:17], 2, v[16:17]
	v_add_co_u32_e32 v16, vcc, v13, v16
	v_addc_co_u32_e32 v17, vcc, v14, v17, vcc
	global_store_dword v[16:17], v37, off
.LBB1023_139:
	s_or_b64 exec, exec, s[34:35]
	s_mov_b64 s[34:35], 0
.LBB1023_140:
	s_and_b64 vcc, exec, s[34:35]
	s_cbranch_vccz .LBB1023_162
; %bb.141:
	v_cmp_gt_i16_e32 vcc, 2, v10
	s_and_saveexec_b64 s[30:31], vcc
	s_cbranch_execz .LBB1023_146
; %bb.142:
	v_cmp_ne_u16_e32 vcc, 1, v10
	s_mov_b64 s[36:37], 0
	s_and_saveexec_b64 s[34:35], vcc
	s_xor_b64 s[34:35], exec, s[34:35]
	s_cbranch_execnz .LBB1023_201
; %bb.143:
	s_andn2_saveexec_b64 s[0:1], s[34:35]
	s_cbranch_execnz .LBB1023_217
.LBB1023_144:
	s_or_b64 exec, exec, s[0:1]
	s_and_b64 exec, exec, s[36:37]
	s_cbranch_execz .LBB1023_146
.LBB1023_145:
	v_sub_u32_e32 v9, v36, v9
	v_lshlrev_b32_e32 v9, 2, v9
	ds_write_b32 v9, v37
.LBB1023_146:
	s_or_b64 exec, exec, s[30:31]
	v_cmp_lt_u32_e32 vcc, v0, v3
	s_waitcnt lgkmcnt(0)
	s_barrier
	s_and_saveexec_b64 s[2:3], vcc
	s_cbranch_execz .LBB1023_161
; %bb.147:
	v_add_u32_e32 v10, v2, v8
	v_xad_u32 v8, v0, -1, v10
	v_sub_u32_e32 v9, v8, v1
	s_movk_i32 s0, 0x1900
	v_cmp_gt_u32_e64 s[4:5], s0, v9
	s_movk_i32 s0, 0x18ff
	v_cmp_lt_u32_e32 vcc, s0, v9
	v_mov_b32_e32 v8, v0
	s_and_saveexec_b64 s[6:7], vcc
	s_cbranch_execz .LBB1023_158
; %bb.148:
	v_sub_u32_e32 v8, v0, v10
	v_add_u32_e32 v1, v8, v1
	v_or_b32_e32 v1, 0xff, v1
	v_cmp_ge_u32_e32 vcc, v1, v0
	s_mov_b64 s[0:1], -1
	v_mov_b32_e32 v8, v0
	s_and_saveexec_b64 s[8:9], vcc
	s_cbranch_execz .LBB1023_157
; %bb.149:
	v_lshrrev_b32_e32 v15, 8, v9
	v_add_u32_e32 v8, -1, v15
	v_or_b32_e32 v1, 0x100, v0
	v_lshrrev_b32_e32 v9, 1, v8
	v_add_u32_e32 v17, 1, v9
	v_cmp_lt_u32_e32 vcc, 13, v8
	v_mov_b32_e32 v20, 0
	v_lshlrev_b32_e32 v16, 2, v0
	v_pk_mov_b32 v[8:9], v[0:1], v[0:1] op_sel:[0,1]
	s_and_saveexec_b64 s[10:11], vcc
	s_cbranch_execz .LBB1023_153
; %bb.150:
	v_and_b32_e32 v18, -8, v17
	s_mov_b32 s14, 0
	s_mov_b64 s[12:13], 0
	v_mov_b32_e32 v11, 0
	v_mov_b32_e32 v19, v16
	v_pk_mov_b32 v[8:9], v[0:1], v[0:1] op_sel:[0,1]
.LBB1023_151:                           ; =>This Inner Loop Header: Depth=1
	v_mov_b32_e32 v10, v8
	v_add_u32_e32 v18, -8, v18
	v_lshlrev_b64 v[50:51], 2, v[10:11]
	v_mov_b32_e32 v10, v9
	ds_read2st64_b32 v[22:23], v19 offset1:4
	s_add_i32 s14, s14, 16
	v_cmp_eq_u32_e32 vcc, 0, v18
	v_lshlrev_b64 v[54:55], 2, v[10:11]
	v_add_u32_e32 v10, 0x200, v8
	s_or_b64 s[12:13], vcc, s[12:13]
	v_add_co_u32_e32 v54, vcc, v13, v54
	v_add_u32_e32 v20, 0x200, v9
	v_mov_b32_e32 v21, v11
	ds_read2st64_b32 v[24:25], v19 offset0:8 offset1:12
	ds_read2st64_b32 v[28:29], v19 offset0:16 offset1:20
	v_add_co_u32_e64 v50, s[0:1], v13, v50
	v_addc_co_u32_e32 v55, vcc, v14, v55, vcc
	v_lshlrev_b64 v[56:57], 2, v[10:11]
	v_lshlrev_b64 v[52:53], 2, v[20:21]
	v_addc_co_u32_e64 v51, s[0:1], v14, v51, s[0:1]
	v_add_u32_e32 v10, 0x400, v8
	v_add_co_u32_e32 v56, vcc, v13, v56
	v_add_u32_e32 v26, 0x400, v9
	v_mov_b32_e32 v27, v11
	ds_read2st64_b32 v[32:33], v19 offset0:24 offset1:28
	v_add_co_u32_e64 v52, s[0:1], v13, v52
	v_addc_co_u32_e32 v57, vcc, v14, v57, vcc
	v_lshlrev_b64 v[58:59], 2, v[10:11]
	ds_read2st64_b32 v[36:37], v19 offset0:32 offset1:36
	ds_read2st64_b32 v[40:41], v19 offset0:40 offset1:44
	;; [unrolled: 1-line block ×4, first 2 shown]
	v_lshlrev_b64 v[26:27], 2, v[26:27]
	v_addc_co_u32_e64 v53, s[0:1], v14, v53, s[0:1]
	v_add_u32_e32 v10, 0x600, v8
	s_waitcnt lgkmcnt(7)
	global_store_dword v[50:51], v22, off
	global_store_dword v[54:55], v23, off
	s_waitcnt lgkmcnt(6)
	global_store_dword v[56:57], v24, off
	global_store_dword v[52:53], v25, off
	v_add_co_u32_e32 v22, vcc, v13, v58
	v_add_u32_e32 v30, 0x600, v9
	v_mov_b32_e32 v31, v11
	v_add_co_u32_e64 v26, s[0:1], v13, v26
	v_addc_co_u32_e32 v23, vcc, v14, v59, vcc
	v_lshlrev_b64 v[24:25], 2, v[10:11]
	v_lshlrev_b64 v[30:31], 2, v[30:31]
	v_addc_co_u32_e64 v27, s[0:1], v14, v27, s[0:1]
	v_add_u32_e32 v10, 0x800, v8
	s_waitcnt lgkmcnt(5)
	global_store_dword v[22:23], v28, off
	global_store_dword v[26:27], v29, off
	v_add_co_u32_e32 v22, vcc, v13, v24
	v_add_u32_e32 v34, 0x800, v9
	v_mov_b32_e32 v35, v11
	v_add_co_u32_e64 v30, s[0:1], v13, v30
	v_addc_co_u32_e32 v23, vcc, v14, v25, vcc
	v_lshlrev_b64 v[24:25], 2, v[10:11]
	v_lshlrev_b64 v[34:35], 2, v[34:35]
	v_addc_co_u32_e64 v31, s[0:1], v14, v31, s[0:1]
	v_add_u32_e32 v10, 0xa00, v8
	;; [unrolled: 12-line block ×4, first 2 shown]
	s_waitcnt lgkmcnt(2)
	global_store_dword v[22:23], v40, off
	global_store_dword v[38:39], v41, off
	v_add_co_u32_e32 v22, vcc, v13, v24
	v_add_u32_e32 v46, 0xe00, v9
	v_mov_b32_e32 v47, v11
	v_add_co_u32_e64 v42, s[0:1], v13, v42
	v_addc_co_u32_e32 v23, vcc, v14, v25, vcc
	v_lshlrev_b64 v[24:25], 2, v[10:11]
	v_lshlrev_b64 v[46:47], 2, v[46:47]
	v_addc_co_u32_e64 v43, s[0:1], v14, v43, s[0:1]
	s_waitcnt lgkmcnt(1)
	global_store_dword v[22:23], v44, off
	global_store_dword v[42:43], v45, off
	v_add_co_u32_e32 v22, vcc, v13, v24
	v_add_u32_e32 v19, 0x4000, v19
	v_add_u32_e32 v9, 0x1000, v9
	v_mov_b32_e32 v20, s14
	v_add_co_u32_e64 v46, s[0:1], v13, v46
	v_add_u32_e32 v8, 0x1000, v8
	v_addc_co_u32_e32 v23, vcc, v14, v25, vcc
	v_addc_co_u32_e64 v47, s[0:1], v14, v47, s[0:1]
	s_waitcnt lgkmcnt(0)
	global_store_dword v[22:23], v48, off
	global_store_dword v[46:47], v49, off
	s_andn2_b64 exec, exec, s[12:13]
	s_cbranch_execnz .LBB1023_151
; %bb.152:
	s_or_b64 exec, exec, s[12:13]
.LBB1023_153:
	s_or_b64 exec, exec, s[10:11]
	v_and_b32_e32 v1, 7, v17
	v_cmp_ne_u32_e32 vcc, 0, v1
	s_and_saveexec_b64 s[10:11], vcc
	s_cbranch_execz .LBB1023_156
; %bb.154:
	v_lshl_or_b32 v16, v20, 10, v16
	s_mov_b64 s[12:13], 0
	v_mov_b32_e32 v11, 0
.LBB1023_155:                           ; =>This Inner Loop Header: Depth=1
	ds_read2st64_b32 v[18:19], v16 offset1:4
	v_mov_b32_e32 v10, v8
	v_add_u32_e32 v1, -1, v1
	v_lshlrev_b64 v[20:21], 2, v[10:11]
	v_mov_b32_e32 v10, v9
	v_cmp_eq_u32_e32 vcc, 0, v1
	v_add_co_u32_e64 v20, s[0:1], v13, v20
	v_lshlrev_b64 v[22:23], 2, v[10:11]
	v_add_u32_e32 v8, 0x200, v8
	v_add_u32_e32 v16, 0x800, v16
	;; [unrolled: 1-line block ×3, first 2 shown]
	v_addc_co_u32_e64 v21, s[0:1], v14, v21, s[0:1]
	s_or_b64 s[12:13], vcc, s[12:13]
	v_add_co_u32_e32 v22, vcc, v13, v22
	v_addc_co_u32_e32 v23, vcc, v14, v23, vcc
	s_waitcnt lgkmcnt(0)
	global_store_dword v[20:21], v18, off
	global_store_dword v[22:23], v19, off
	s_andn2_b64 exec, exec, s[12:13]
	s_cbranch_execnz .LBB1023_155
.LBB1023_156:
	s_or_b64 exec, exec, s[10:11]
	v_add_u32_e32 v1, 1, v15
	v_and_b32_e32 v9, 0x1fffffe, v1
	v_cmp_ne_u32_e32 vcc, v1, v9
	v_lshl_or_b32 v8, v9, 8, v0
	s_orn2_b64 s[0:1], vcc, exec
.LBB1023_157:
	s_or_b64 exec, exec, s[8:9]
	s_andn2_b64 s[4:5], s[4:5], exec
	s_and_b64 s[0:1], s[0:1], exec
	s_or_b64 s[4:5], s[4:5], s[0:1]
.LBB1023_158:
	s_or_b64 exec, exec, s[6:7]
	s_and_b64 exec, exec, s[4:5]
	s_cbranch_execz .LBB1023_161
; %bb.159:
	v_lshlrev_b32_e32 v1, 2, v8
	s_mov_b64 s[0:1], 0
	v_mov_b32_e32 v9, 0
.LBB1023_160:                           ; =>This Inner Loop Header: Depth=1
	v_lshlrev_b64 v[10:11], 2, v[8:9]
	ds_read_b32 v15, v1
	v_add_co_u32_e32 v10, vcc, v13, v10
	v_add_u32_e32 v8, 0x100, v8
	v_addc_co_u32_e32 v11, vcc, v14, v11, vcc
	v_cmp_ge_u32_e32 vcc, v8, v3
	v_add_u32_e32 v1, 0x400, v1
	s_or_b64 s[0:1], vcc, s[0:1]
	s_waitcnt lgkmcnt(0)
	global_store_dword v[10:11], v15, off
	s_andn2_b64 exec, exec, s[0:1]
	s_cbranch_execnz .LBB1023_160
.LBB1023_161:
	s_or_b64 exec, exec, s[2:3]
.LBB1023_162:
	s_movk_i32 s0, 0xff
	v_cmp_eq_u32_e32 vcc, s0, v0
	s_and_b64 s[0:1], vcc, s[48:49]
	s_and_saveexec_b64 s[2:3], s[0:1]
	s_cbranch_execz .LBB1023_165
; %bb.163:
	v_add_co_u32_e32 v0, vcc, v2, v4
	v_addc_co_u32_e64 v1, s[0:1], 0, 0, vcc
	v_add_co_u32_e32 v0, vcc, v0, v6
	v_mov_b32_e32 v3, 0
	v_addc_co_u32_e32 v1, vcc, v1, v7, vcc
	s_cmpk_lg_i32 s33, 0xf00
	global_store_dwordx2 v3, v[0:1], s[42:43]
	s_cbranch_scc1 .LBB1023_165
; %bb.164:
	v_lshlrev_b64 v[0:1], 2, v[2:3]
	v_add_co_u32_e32 v0, vcc, v5, v0
	v_addc_co_u32_e32 v1, vcc, v12, v1, vcc
	global_store_dword v[0:1], v81, off offset:-4
.LBB1023_165:
	s_endpgm
.LBB1023_166:
	s_or_b64 exec, exec, s[2:3]
	v_mov_b32_e32 v82, s8
	s_and_saveexec_b64 s[2:3], s[56:57]
	s_cbranch_execnz .LBB1023_84
	s_branch .LBB1023_85
.LBB1023_167:
	s_and_saveexec_b64 s[30:31], s[18:19]
	s_cbranch_execnz .LBB1023_218
; %bb.168:
	s_or_b64 exec, exec, s[30:31]
	s_and_saveexec_b64 s[18:19], s[24:25]
	s_cbranch_execnz .LBB1023_219
.LBB1023_169:
	s_or_b64 exec, exec, s[18:19]
	s_and_saveexec_b64 s[18:19], s[22:23]
	s_cbranch_execnz .LBB1023_220
.LBB1023_170:
	s_or_b64 exec, exec, s[18:19]
	s_and_saveexec_b64 s[18:19], s[20:21]
	s_cbranch_execnz .LBB1023_221
.LBB1023_171:
	s_or_b64 exec, exec, s[18:19]
	s_and_saveexec_b64 s[18:19], s[16:17]
	s_cbranch_execnz .LBB1023_222
.LBB1023_172:
	s_or_b64 exec, exec, s[18:19]
	s_and_saveexec_b64 s[16:17], s[14:15]
	s_cbranch_execnz .LBB1023_223
.LBB1023_173:
	s_or_b64 exec, exec, s[16:17]
	s_and_saveexec_b64 s[14:15], s[12:13]
	s_cbranch_execnz .LBB1023_224
.LBB1023_174:
	s_or_b64 exec, exec, s[14:15]
	s_and_saveexec_b64 s[12:13], s[10:11]
	s_cbranch_execnz .LBB1023_225
.LBB1023_175:
	s_or_b64 exec, exec, s[12:13]
	s_and_saveexec_b64 s[10:11], s[8:9]
	s_cbranch_execnz .LBB1023_226
.LBB1023_176:
	s_or_b64 exec, exec, s[10:11]
	s_and_saveexec_b64 s[8:9], s[6:7]
	s_cbranch_execnz .LBB1023_227
.LBB1023_177:
	s_or_b64 exec, exec, s[8:9]
	s_and_saveexec_b64 s[6:7], s[4:5]
	s_cbranch_execnz .LBB1023_228
.LBB1023_178:
	s_or_b64 exec, exec, s[6:7]
	s_and_saveexec_b64 s[4:5], s[2:3]
	s_cbranch_execnz .LBB1023_229
.LBB1023_179:
	s_or_b64 exec, exec, s[4:5]
	s_and_saveexec_b64 s[2:3], s[0:1]
	s_cbranch_execnz .LBB1023_230
.LBB1023_180:
	s_or_b64 exec, exec, s[2:3]
	v_cmp_ne_u32_e64 s[0:1], 0, v66
	s_and_saveexec_b64 s[2:3], vcc
	s_cbranch_execz .LBB1023_182
.LBB1023_181:
	v_sub_u32_e32 v3, v38, v4
	v_lshlrev_b32_e32 v3, 2, v3
	ds_write_b32 v3, v9
.LBB1023_182:
	s_or_b64 exec, exec, s[2:3]
	s_and_b64 s[30:31], s[0:1], exec
                                        ; implicit-def: $vgpr8
                                        ; implicit-def: $vgpr10
                                        ; implicit-def: $vgpr12
                                        ; implicit-def: $vgpr14
                                        ; implicit-def: $vgpr16
                                        ; implicit-def: $vgpr18
                                        ; implicit-def: $vgpr20
	s_andn2_saveexec_b64 s[0:1], s[26:27]
	s_cbranch_execz .LBB1023_130
.LBB1023_183:
	v_sub_u32_e32 v3, v64, v4
	v_lshlrev_b32_e32 v3, 2, v3
	ds_write_b32 v3, v20
	v_sub_u32_e32 v3, v62, v4
	v_lshlrev_b32_e32 v3, 2, v3
	ds_write_b32 v3, v21
	;; [unrolled: 3-line block ×13, first 2 shown]
	v_sub_u32_e32 v3, v38, v4
	v_lshlrev_b32_e32 v3, 2, v3
	s_or_b64 s[30:31], s[30:31], exec
	ds_write_b32 v3, v9
	s_or_b64 exec, exec, s[0:1]
	s_and_b64 exec, exec, s[30:31]
	s_cbranch_execnz .LBB1023_131
	s_branch .LBB1023_132
.LBB1023_184:
	s_and_saveexec_b64 s[36:37], s[28:29]
	s_cbranch_execnz .LBB1023_231
; %bb.185:
	s_or_b64 exec, exec, s[36:37]
	s_and_saveexec_b64 s[36:37], s[26:27]
	s_cbranch_execnz .LBB1023_232
.LBB1023_186:
	s_or_b64 exec, exec, s[36:37]
	s_and_saveexec_b64 s[36:37], s[24:25]
	s_cbranch_execnz .LBB1023_233
.LBB1023_187:
	s_or_b64 exec, exec, s[36:37]
	s_and_saveexec_b64 s[36:37], s[22:23]
	s_cbranch_execnz .LBB1023_234
.LBB1023_188:
	s_or_b64 exec, exec, s[36:37]
	s_and_saveexec_b64 s[36:37], s[20:21]
	s_cbranch_execnz .LBB1023_235
.LBB1023_189:
	s_or_b64 exec, exec, s[36:37]
	s_and_saveexec_b64 s[36:37], s[18:19]
	s_cbranch_execnz .LBB1023_236
.LBB1023_190:
	s_or_b64 exec, exec, s[36:37]
	s_and_saveexec_b64 s[36:37], s[16:17]
	s_cbranch_execnz .LBB1023_237
.LBB1023_191:
	s_or_b64 exec, exec, s[36:37]
	s_and_saveexec_b64 s[36:37], s[14:15]
	s_cbranch_execnz .LBB1023_238
.LBB1023_192:
	s_or_b64 exec, exec, s[36:37]
	s_and_saveexec_b64 s[36:37], s[12:13]
	s_cbranch_execnz .LBB1023_239
.LBB1023_193:
	s_or_b64 exec, exec, s[36:37]
	s_and_saveexec_b64 s[36:37], s[10:11]
	s_cbranch_execnz .LBB1023_240
.LBB1023_194:
	s_or_b64 exec, exec, s[36:37]
	s_and_saveexec_b64 s[36:37], s[8:9]
	s_cbranch_execnz .LBB1023_241
.LBB1023_195:
	s_or_b64 exec, exec, s[36:37]
	s_and_saveexec_b64 s[36:37], s[6:7]
	s_cbranch_execnz .LBB1023_242
.LBB1023_196:
	s_or_b64 exec, exec, s[36:37]
	s_and_saveexec_b64 s[36:37], s[4:5]
	s_cbranch_execnz .LBB1023_243
.LBB1023_197:
	s_or_b64 exec, exec, s[36:37]
	s_and_saveexec_b64 s[36:37], s[2:3]
	s_cbranch_execz .LBB1023_199
.LBB1023_198:
	v_sub_u32_e32 v16, v38, v9
	v_mov_b32_e32 v17, 0
	v_lshlrev_b64 v[16:17], 2, v[16:17]
	v_add_co_u32_e32 v16, vcc, v13, v16
	v_addc_co_u32_e32 v17, vcc, v14, v17, vcc
	global_store_dword v[16:17], v39, off
.LBB1023_199:
	s_or_b64 exec, exec, s[36:37]
	s_and_b64 s[36:37], s[0:1], exec
	s_andn2_saveexec_b64 s[30:31], s[30:31]
	s_cbranch_execz .LBB1023_137
.LBB1023_200:
	v_sub_u32_e32 v16, v64, v9
	v_mov_b32_e32 v17, 0
	v_lshlrev_b64 v[18:19], 2, v[16:17]
	v_add_co_u32_e32 v18, vcc, v13, v18
	v_addc_co_u32_e32 v19, vcc, v14, v19, vcc
	v_sub_u32_e32 v16, v62, v9
	global_store_dword v[18:19], v65, off
	v_lshlrev_b64 v[18:19], 2, v[16:17]
	v_add_co_u32_e32 v18, vcc, v13, v18
	v_addc_co_u32_e32 v19, vcc, v14, v19, vcc
	v_sub_u32_e32 v16, v60, v9
	global_store_dword v[18:19], v63, off
	;; [unrolled: 5-line block ×12, first 2 shown]
	v_lshlrev_b64 v[18:19], 2, v[16:17]
	v_add_co_u32_e32 v18, vcc, v13, v18
	v_sub_u32_e32 v16, v38, v9
	v_addc_co_u32_e32 v19, vcc, v14, v19, vcc
	v_lshlrev_b64 v[16:17], 2, v[16:17]
	v_add_co_u32_e32 v16, vcc, v13, v16
	v_addc_co_u32_e32 v17, vcc, v14, v17, vcc
	s_or_b64 s[36:37], s[36:37], exec
	global_store_dword v[18:19], v41, off
	global_store_dword v[16:17], v39, off
	s_or_b64 exec, exec, s[30:31]
	s_and_b64 exec, exec, s[36:37]
	s_cbranch_execnz .LBB1023_138
	s_branch .LBB1023_139
.LBB1023_201:
	s_and_saveexec_b64 s[36:37], s[28:29]
	s_cbranch_execnz .LBB1023_244
; %bb.202:
	s_or_b64 exec, exec, s[36:37]
	s_and_saveexec_b64 s[28:29], s[26:27]
	s_cbranch_execnz .LBB1023_245
.LBB1023_203:
	s_or_b64 exec, exec, s[28:29]
	s_and_saveexec_b64 s[26:27], s[24:25]
	s_cbranch_execnz .LBB1023_246
.LBB1023_204:
	s_or_b64 exec, exec, s[26:27]
	s_and_saveexec_b64 s[24:25], s[22:23]
	s_cbranch_execnz .LBB1023_247
.LBB1023_205:
	s_or_b64 exec, exec, s[24:25]
	s_and_saveexec_b64 s[22:23], s[20:21]
	s_cbranch_execnz .LBB1023_248
.LBB1023_206:
	s_or_b64 exec, exec, s[22:23]
	s_and_saveexec_b64 s[20:21], s[18:19]
	s_cbranch_execnz .LBB1023_249
.LBB1023_207:
	s_or_b64 exec, exec, s[20:21]
	s_and_saveexec_b64 s[18:19], s[16:17]
	s_cbranch_execnz .LBB1023_250
.LBB1023_208:
	s_or_b64 exec, exec, s[18:19]
	s_and_saveexec_b64 s[16:17], s[14:15]
	s_cbranch_execnz .LBB1023_251
.LBB1023_209:
	s_or_b64 exec, exec, s[16:17]
	s_and_saveexec_b64 s[14:15], s[12:13]
	s_cbranch_execnz .LBB1023_252
.LBB1023_210:
	s_or_b64 exec, exec, s[14:15]
	s_and_saveexec_b64 s[12:13], s[10:11]
	s_cbranch_execnz .LBB1023_253
.LBB1023_211:
	s_or_b64 exec, exec, s[12:13]
	s_and_saveexec_b64 s[10:11], s[8:9]
	s_cbranch_execnz .LBB1023_254
.LBB1023_212:
	s_or_b64 exec, exec, s[10:11]
	s_and_saveexec_b64 s[8:9], s[6:7]
	s_cbranch_execnz .LBB1023_255
.LBB1023_213:
	s_or_b64 exec, exec, s[8:9]
	s_and_saveexec_b64 s[6:7], s[4:5]
	s_cbranch_execnz .LBB1023_256
.LBB1023_214:
	s_or_b64 exec, exec, s[6:7]
	s_and_saveexec_b64 s[4:5], s[2:3]
	s_cbranch_execz .LBB1023_216
.LBB1023_215:
	v_sub_u32_e32 v10, v38, v9
	v_lshlrev_b32_e32 v10, 2, v10
	ds_write_b32 v10, v39
.LBB1023_216:
	s_or_b64 exec, exec, s[4:5]
	s_and_b64 s[36:37], s[0:1], exec
                                        ; implicit-def: $vgpr64_vgpr65
                                        ; implicit-def: $vgpr62_vgpr63
                                        ; implicit-def: $vgpr60_vgpr61
                                        ; implicit-def: $vgpr58_vgpr59
                                        ; implicit-def: $vgpr56_vgpr57
                                        ; implicit-def: $vgpr54_vgpr55
                                        ; implicit-def: $vgpr52_vgpr53
                                        ; implicit-def: $vgpr50_vgpr51
                                        ; implicit-def: $vgpr48_vgpr49
                                        ; implicit-def: $vgpr46_vgpr47
                                        ; implicit-def: $vgpr44_vgpr45
                                        ; implicit-def: $vgpr42_vgpr43
                                        ; implicit-def: $vgpr40_vgpr41
                                        ; implicit-def: $vgpr38_vgpr39
	s_andn2_saveexec_b64 s[0:1], s[34:35]
	s_cbranch_execz .LBB1023_144
.LBB1023_217:
	v_sub_u32_e32 v10, v64, v9
	v_lshlrev_b32_e32 v10, 2, v10
	ds_write_b32 v10, v65
	v_sub_u32_e32 v10, v62, v9
	v_lshlrev_b32_e32 v10, 2, v10
	ds_write_b32 v10, v63
	v_sub_u32_e32 v10, v60, v9
	v_lshlrev_b32_e32 v10, 2, v10
	ds_write_b32 v10, v61
	v_sub_u32_e32 v10, v58, v9
	v_lshlrev_b32_e32 v10, 2, v10
	ds_write_b32 v10, v59
	v_sub_u32_e32 v10, v56, v9
	v_lshlrev_b32_e32 v10, 2, v10
	ds_write_b32 v10, v57
	v_sub_u32_e32 v10, v54, v9
	v_lshlrev_b32_e32 v10, 2, v10
	ds_write_b32 v10, v55
	v_sub_u32_e32 v10, v52, v9
	v_lshlrev_b32_e32 v10, 2, v10
	ds_write_b32 v10, v53
	v_sub_u32_e32 v10, v50, v9
	v_lshlrev_b32_e32 v10, 2, v10
	ds_write_b32 v10, v51
	v_sub_u32_e32 v10, v48, v9
	v_lshlrev_b32_e32 v10, 2, v10
	ds_write_b32 v10, v49
	v_sub_u32_e32 v10, v46, v9
	v_lshlrev_b32_e32 v10, 2, v10
	ds_write_b32 v10, v47
	v_sub_u32_e32 v10, v44, v9
	v_lshlrev_b32_e32 v10, 2, v10
	ds_write_b32 v10, v45
	v_sub_u32_e32 v10, v42, v9
	v_lshlrev_b32_e32 v10, 2, v10
	ds_write_b32 v10, v43
	v_sub_u32_e32 v10, v40, v9
	v_lshlrev_b32_e32 v10, 2, v10
	ds_write_b32 v10, v41
	v_sub_u32_e32 v10, v38, v9
	v_lshlrev_b32_e32 v10, 2, v10
	s_or_b64 s[36:37], s[36:37], exec
	ds_write_b32 v10, v39
	s_or_b64 exec, exec, s[0:1]
	s_and_b64 exec, exec, s[36:37]
	s_cbranch_execnz .LBB1023_145
	s_branch .LBB1023_146
.LBB1023_218:
	v_sub_u32_e32 v3, v64, v4
	v_lshlrev_b32_e32 v3, 2, v3
	ds_write_b32 v3, v20
	s_or_b64 exec, exec, s[30:31]
	s_and_saveexec_b64 s[18:19], s[24:25]
	s_cbranch_execz .LBB1023_169
.LBB1023_219:
	v_sub_u32_e32 v3, v62, v4
	v_lshlrev_b32_e32 v3, 2, v3
	ds_write_b32 v3, v21
	s_or_b64 exec, exec, s[18:19]
	s_and_saveexec_b64 s[18:19], s[22:23]
	s_cbranch_execz .LBB1023_170
.LBB1023_220:
	v_sub_u32_e32 v3, v60, v4
	v_lshlrev_b32_e32 v3, 2, v3
	ds_write_b32 v3, v18
	s_or_b64 exec, exec, s[18:19]
	s_and_saveexec_b64 s[18:19], s[20:21]
	s_cbranch_execz .LBB1023_171
.LBB1023_221:
	v_sub_u32_e32 v3, v58, v4
	v_lshlrev_b32_e32 v3, 2, v3
	ds_write_b32 v3, v19
	s_or_b64 exec, exec, s[18:19]
	s_and_saveexec_b64 s[18:19], s[16:17]
	s_cbranch_execz .LBB1023_172
.LBB1023_222:
	v_sub_u32_e32 v3, v56, v4
	v_lshlrev_b32_e32 v3, 2, v3
	ds_write_b32 v3, v16
	s_or_b64 exec, exec, s[18:19]
	s_and_saveexec_b64 s[16:17], s[14:15]
	s_cbranch_execz .LBB1023_173
.LBB1023_223:
	v_sub_u32_e32 v3, v54, v4
	v_lshlrev_b32_e32 v3, 2, v3
	ds_write_b32 v3, v17
	s_or_b64 exec, exec, s[16:17]
	s_and_saveexec_b64 s[14:15], s[12:13]
	s_cbranch_execz .LBB1023_174
.LBB1023_224:
	v_sub_u32_e32 v3, v52, v4
	v_lshlrev_b32_e32 v3, 2, v3
	ds_write_b32 v3, v14
	s_or_b64 exec, exec, s[14:15]
	s_and_saveexec_b64 s[12:13], s[10:11]
	s_cbranch_execz .LBB1023_175
.LBB1023_225:
	v_sub_u32_e32 v3, v50, v4
	v_lshlrev_b32_e32 v3, 2, v3
	ds_write_b32 v3, v15
	s_or_b64 exec, exec, s[12:13]
	s_and_saveexec_b64 s[10:11], s[8:9]
	s_cbranch_execz .LBB1023_176
.LBB1023_226:
	v_sub_u32_e32 v3, v48, v4
	v_lshlrev_b32_e32 v3, 2, v3
	ds_write_b32 v3, v12
	s_or_b64 exec, exec, s[10:11]
	s_and_saveexec_b64 s[8:9], s[6:7]
	s_cbranch_execz .LBB1023_177
.LBB1023_227:
	v_sub_u32_e32 v3, v46, v4
	v_lshlrev_b32_e32 v3, 2, v3
	ds_write_b32 v3, v13
	s_or_b64 exec, exec, s[8:9]
	s_and_saveexec_b64 s[6:7], s[4:5]
	s_cbranch_execz .LBB1023_178
.LBB1023_228:
	v_sub_u32_e32 v3, v44, v4
	v_lshlrev_b32_e32 v3, 2, v3
	ds_write_b32 v3, v10
	s_or_b64 exec, exec, s[6:7]
	s_and_saveexec_b64 s[4:5], s[2:3]
	s_cbranch_execz .LBB1023_179
.LBB1023_229:
	v_sub_u32_e32 v3, v42, v4
	v_lshlrev_b32_e32 v3, 2, v3
	ds_write_b32 v3, v11
	s_or_b64 exec, exec, s[4:5]
	s_and_saveexec_b64 s[2:3], s[0:1]
	s_cbranch_execz .LBB1023_180
.LBB1023_230:
	v_sub_u32_e32 v3, v40, v4
	v_lshlrev_b32_e32 v3, 2, v3
	ds_write_b32 v3, v8
	s_or_b64 exec, exec, s[2:3]
	v_cmp_ne_u32_e64 s[0:1], 0, v66
	s_and_saveexec_b64 s[2:3], vcc
	s_cbranch_execnz .LBB1023_181
	s_branch .LBB1023_182
.LBB1023_231:
	v_sub_u32_e32 v16, v64, v9
	v_mov_b32_e32 v17, 0
	v_lshlrev_b64 v[16:17], 2, v[16:17]
	v_add_co_u32_e32 v16, vcc, v13, v16
	v_addc_co_u32_e32 v17, vcc, v14, v17, vcc
	global_store_dword v[16:17], v65, off
	s_or_b64 exec, exec, s[36:37]
	s_and_saveexec_b64 s[36:37], s[26:27]
	s_cbranch_execz .LBB1023_186
.LBB1023_232:
	v_sub_u32_e32 v16, v62, v9
	v_mov_b32_e32 v17, 0
	v_lshlrev_b64 v[16:17], 2, v[16:17]
	v_add_co_u32_e32 v16, vcc, v13, v16
	v_addc_co_u32_e32 v17, vcc, v14, v17, vcc
	global_store_dword v[16:17], v63, off
	s_or_b64 exec, exec, s[36:37]
	s_and_saveexec_b64 s[36:37], s[24:25]
	s_cbranch_execz .LBB1023_187
.LBB1023_233:
	v_sub_u32_e32 v16, v60, v9
	v_mov_b32_e32 v17, 0
	v_lshlrev_b64 v[16:17], 2, v[16:17]
	v_add_co_u32_e32 v16, vcc, v13, v16
	v_addc_co_u32_e32 v17, vcc, v14, v17, vcc
	global_store_dword v[16:17], v61, off
	s_or_b64 exec, exec, s[36:37]
	s_and_saveexec_b64 s[36:37], s[22:23]
	s_cbranch_execz .LBB1023_188
.LBB1023_234:
	v_sub_u32_e32 v16, v58, v9
	v_mov_b32_e32 v17, 0
	v_lshlrev_b64 v[16:17], 2, v[16:17]
	v_add_co_u32_e32 v16, vcc, v13, v16
	v_addc_co_u32_e32 v17, vcc, v14, v17, vcc
	global_store_dword v[16:17], v59, off
	s_or_b64 exec, exec, s[36:37]
	s_and_saveexec_b64 s[36:37], s[20:21]
	s_cbranch_execz .LBB1023_189
.LBB1023_235:
	v_sub_u32_e32 v16, v56, v9
	v_mov_b32_e32 v17, 0
	v_lshlrev_b64 v[16:17], 2, v[16:17]
	v_add_co_u32_e32 v16, vcc, v13, v16
	v_addc_co_u32_e32 v17, vcc, v14, v17, vcc
	global_store_dword v[16:17], v57, off
	s_or_b64 exec, exec, s[36:37]
	s_and_saveexec_b64 s[36:37], s[18:19]
	s_cbranch_execz .LBB1023_190
.LBB1023_236:
	v_sub_u32_e32 v16, v54, v9
	v_mov_b32_e32 v17, 0
	v_lshlrev_b64 v[16:17], 2, v[16:17]
	v_add_co_u32_e32 v16, vcc, v13, v16
	v_addc_co_u32_e32 v17, vcc, v14, v17, vcc
	global_store_dword v[16:17], v55, off
	s_or_b64 exec, exec, s[36:37]
	s_and_saveexec_b64 s[36:37], s[16:17]
	s_cbranch_execz .LBB1023_191
.LBB1023_237:
	v_sub_u32_e32 v16, v52, v9
	v_mov_b32_e32 v17, 0
	v_lshlrev_b64 v[16:17], 2, v[16:17]
	v_add_co_u32_e32 v16, vcc, v13, v16
	v_addc_co_u32_e32 v17, vcc, v14, v17, vcc
	global_store_dword v[16:17], v53, off
	s_or_b64 exec, exec, s[36:37]
	s_and_saveexec_b64 s[36:37], s[14:15]
	s_cbranch_execz .LBB1023_192
.LBB1023_238:
	v_sub_u32_e32 v16, v50, v9
	v_mov_b32_e32 v17, 0
	v_lshlrev_b64 v[16:17], 2, v[16:17]
	v_add_co_u32_e32 v16, vcc, v13, v16
	v_addc_co_u32_e32 v17, vcc, v14, v17, vcc
	global_store_dword v[16:17], v51, off
	s_or_b64 exec, exec, s[36:37]
	s_and_saveexec_b64 s[36:37], s[12:13]
	s_cbranch_execz .LBB1023_193
.LBB1023_239:
	v_sub_u32_e32 v16, v48, v9
	v_mov_b32_e32 v17, 0
	v_lshlrev_b64 v[16:17], 2, v[16:17]
	v_add_co_u32_e32 v16, vcc, v13, v16
	v_addc_co_u32_e32 v17, vcc, v14, v17, vcc
	global_store_dword v[16:17], v49, off
	s_or_b64 exec, exec, s[36:37]
	s_and_saveexec_b64 s[36:37], s[10:11]
	s_cbranch_execz .LBB1023_194
.LBB1023_240:
	v_sub_u32_e32 v16, v46, v9
	v_mov_b32_e32 v17, 0
	v_lshlrev_b64 v[16:17], 2, v[16:17]
	v_add_co_u32_e32 v16, vcc, v13, v16
	v_addc_co_u32_e32 v17, vcc, v14, v17, vcc
	global_store_dword v[16:17], v47, off
	s_or_b64 exec, exec, s[36:37]
	s_and_saveexec_b64 s[36:37], s[8:9]
	s_cbranch_execz .LBB1023_195
.LBB1023_241:
	v_sub_u32_e32 v16, v44, v9
	v_mov_b32_e32 v17, 0
	v_lshlrev_b64 v[16:17], 2, v[16:17]
	v_add_co_u32_e32 v16, vcc, v13, v16
	v_addc_co_u32_e32 v17, vcc, v14, v17, vcc
	global_store_dword v[16:17], v45, off
	s_or_b64 exec, exec, s[36:37]
	s_and_saveexec_b64 s[36:37], s[6:7]
	s_cbranch_execz .LBB1023_196
.LBB1023_242:
	v_sub_u32_e32 v16, v42, v9
	v_mov_b32_e32 v17, 0
	v_lshlrev_b64 v[16:17], 2, v[16:17]
	v_add_co_u32_e32 v16, vcc, v13, v16
	v_addc_co_u32_e32 v17, vcc, v14, v17, vcc
	global_store_dword v[16:17], v43, off
	s_or_b64 exec, exec, s[36:37]
	s_and_saveexec_b64 s[36:37], s[4:5]
	s_cbranch_execz .LBB1023_197
.LBB1023_243:
	v_sub_u32_e32 v16, v40, v9
	v_mov_b32_e32 v17, 0
	v_lshlrev_b64 v[16:17], 2, v[16:17]
	v_add_co_u32_e32 v16, vcc, v13, v16
	v_addc_co_u32_e32 v17, vcc, v14, v17, vcc
	global_store_dword v[16:17], v41, off
	s_or_b64 exec, exec, s[36:37]
	s_and_saveexec_b64 s[36:37], s[2:3]
	s_cbranch_execnz .LBB1023_198
	s_branch .LBB1023_199
.LBB1023_244:
	v_sub_u32_e32 v10, v64, v9
	v_lshlrev_b32_e32 v10, 2, v10
	ds_write_b32 v10, v65
	s_or_b64 exec, exec, s[36:37]
	s_and_saveexec_b64 s[28:29], s[26:27]
	s_cbranch_execz .LBB1023_203
.LBB1023_245:
	v_sub_u32_e32 v10, v62, v9
	v_lshlrev_b32_e32 v10, 2, v10
	ds_write_b32 v10, v63
	s_or_b64 exec, exec, s[28:29]
	s_and_saveexec_b64 s[26:27], s[24:25]
	s_cbranch_execz .LBB1023_204
.LBB1023_246:
	v_sub_u32_e32 v10, v60, v9
	v_lshlrev_b32_e32 v10, 2, v10
	ds_write_b32 v10, v61
	s_or_b64 exec, exec, s[26:27]
	s_and_saveexec_b64 s[24:25], s[22:23]
	s_cbranch_execz .LBB1023_205
.LBB1023_247:
	v_sub_u32_e32 v10, v58, v9
	v_lshlrev_b32_e32 v10, 2, v10
	ds_write_b32 v10, v59
	s_or_b64 exec, exec, s[24:25]
	s_and_saveexec_b64 s[22:23], s[20:21]
	s_cbranch_execz .LBB1023_206
.LBB1023_248:
	v_sub_u32_e32 v10, v56, v9
	v_lshlrev_b32_e32 v10, 2, v10
	ds_write_b32 v10, v57
	s_or_b64 exec, exec, s[22:23]
	s_and_saveexec_b64 s[20:21], s[18:19]
	s_cbranch_execz .LBB1023_207
.LBB1023_249:
	v_sub_u32_e32 v10, v54, v9
	v_lshlrev_b32_e32 v10, 2, v10
	ds_write_b32 v10, v55
	s_or_b64 exec, exec, s[20:21]
	s_and_saveexec_b64 s[18:19], s[16:17]
	s_cbranch_execz .LBB1023_208
.LBB1023_250:
	v_sub_u32_e32 v10, v52, v9
	v_lshlrev_b32_e32 v10, 2, v10
	ds_write_b32 v10, v53
	s_or_b64 exec, exec, s[18:19]
	s_and_saveexec_b64 s[16:17], s[14:15]
	s_cbranch_execz .LBB1023_209
.LBB1023_251:
	v_sub_u32_e32 v10, v50, v9
	v_lshlrev_b32_e32 v10, 2, v10
	ds_write_b32 v10, v51
	s_or_b64 exec, exec, s[16:17]
	s_and_saveexec_b64 s[14:15], s[12:13]
	s_cbranch_execz .LBB1023_210
.LBB1023_252:
	v_sub_u32_e32 v10, v48, v9
	v_lshlrev_b32_e32 v10, 2, v10
	ds_write_b32 v10, v49
	s_or_b64 exec, exec, s[14:15]
	s_and_saveexec_b64 s[12:13], s[10:11]
	s_cbranch_execz .LBB1023_211
.LBB1023_253:
	v_sub_u32_e32 v10, v46, v9
	v_lshlrev_b32_e32 v10, 2, v10
	ds_write_b32 v10, v47
	s_or_b64 exec, exec, s[12:13]
	s_and_saveexec_b64 s[10:11], s[8:9]
	s_cbranch_execz .LBB1023_212
.LBB1023_254:
	v_sub_u32_e32 v10, v44, v9
	v_lshlrev_b32_e32 v10, 2, v10
	ds_write_b32 v10, v45
	s_or_b64 exec, exec, s[10:11]
	s_and_saveexec_b64 s[8:9], s[6:7]
	s_cbranch_execz .LBB1023_213
.LBB1023_255:
	v_sub_u32_e32 v10, v42, v9
	v_lshlrev_b32_e32 v10, 2, v10
	ds_write_b32 v10, v43
	s_or_b64 exec, exec, s[8:9]
	s_and_saveexec_b64 s[6:7], s[4:5]
	s_cbranch_execz .LBB1023_214
.LBB1023_256:
	v_sub_u32_e32 v10, v40, v9
	v_lshlrev_b32_e32 v10, 2, v10
	ds_write_b32 v10, v41
	s_or_b64 exec, exec, s[6:7]
	s_and_saveexec_b64 s[4:5], s[2:3]
	s_cbranch_execnz .LBB1023_215
	s_branch .LBB1023_216
	.section	.rodata,"a",@progbits
	.p2align	6, 0x0
	.amdhsa_kernel _ZN7rocprim17ROCPRIM_400000_NS6detail17trampoline_kernelINS0_14default_configENS1_29reduce_by_key_config_selectorIjiN6thrust23THRUST_200600_302600_NS4plusIiEEEEZZNS1_33reduce_by_key_impl_wrapped_configILNS1_25lookback_scan_determinismE0ES3_S9_NS6_6detail15normal_iteratorINS6_10device_ptrIjEEEENSD_INSE_IiEEEENS6_16discard_iteratorINS6_11use_defaultEEESI_PmS8_NS6_8equal_toIjEEEE10hipError_tPvRmT2_T3_mT4_T5_T6_T7_T8_P12ihipStream_tbENKUlT_T0_E_clISt17integral_constantIbLb0EES16_EEDaS11_S12_EUlS11_E_NS1_11comp_targetILNS1_3genE4ELNS1_11target_archE910ELNS1_3gpuE8ELNS1_3repE0EEENS1_30default_config_static_selectorELNS0_4arch9wavefront6targetE1EEEvT1_
		.amdhsa_group_segment_fixed_size 15360
		.amdhsa_private_segment_fixed_size 0
		.amdhsa_kernarg_size 128
		.amdhsa_user_sgpr_count 6
		.amdhsa_user_sgpr_private_segment_buffer 1
		.amdhsa_user_sgpr_dispatch_ptr 0
		.amdhsa_user_sgpr_queue_ptr 0
		.amdhsa_user_sgpr_kernarg_segment_ptr 1
		.amdhsa_user_sgpr_dispatch_id 0
		.amdhsa_user_sgpr_flat_scratch_init 0
		.amdhsa_user_sgpr_kernarg_preload_length 0
		.amdhsa_user_sgpr_kernarg_preload_offset 0
		.amdhsa_user_sgpr_private_segment_size 0
		.amdhsa_uses_dynamic_stack 0
		.amdhsa_system_sgpr_private_segment_wavefront_offset 0
		.amdhsa_system_sgpr_workgroup_id_x 1
		.amdhsa_system_sgpr_workgroup_id_y 0
		.amdhsa_system_sgpr_workgroup_id_z 0
		.amdhsa_system_sgpr_workgroup_info 0
		.amdhsa_system_vgpr_workitem_id 0
		.amdhsa_next_free_vgpr 87
		.amdhsa_next_free_sgpr 62
		.amdhsa_accum_offset 88
		.amdhsa_reserve_vcc 1
		.amdhsa_reserve_flat_scratch 0
		.amdhsa_float_round_mode_32 0
		.amdhsa_float_round_mode_16_64 0
		.amdhsa_float_denorm_mode_32 3
		.amdhsa_float_denorm_mode_16_64 3
		.amdhsa_dx10_clamp 1
		.amdhsa_ieee_mode 1
		.amdhsa_fp16_overflow 0
		.amdhsa_tg_split 0
		.amdhsa_exception_fp_ieee_invalid_op 0
		.amdhsa_exception_fp_denorm_src 0
		.amdhsa_exception_fp_ieee_div_zero 0
		.amdhsa_exception_fp_ieee_overflow 0
		.amdhsa_exception_fp_ieee_underflow 0
		.amdhsa_exception_fp_ieee_inexact 0
		.amdhsa_exception_int_div_zero 0
	.end_amdhsa_kernel
	.section	.text._ZN7rocprim17ROCPRIM_400000_NS6detail17trampoline_kernelINS0_14default_configENS1_29reduce_by_key_config_selectorIjiN6thrust23THRUST_200600_302600_NS4plusIiEEEEZZNS1_33reduce_by_key_impl_wrapped_configILNS1_25lookback_scan_determinismE0ES3_S9_NS6_6detail15normal_iteratorINS6_10device_ptrIjEEEENSD_INSE_IiEEEENS6_16discard_iteratorINS6_11use_defaultEEESI_PmS8_NS6_8equal_toIjEEEE10hipError_tPvRmT2_T3_mT4_T5_T6_T7_T8_P12ihipStream_tbENKUlT_T0_E_clISt17integral_constantIbLb0EES16_EEDaS11_S12_EUlS11_E_NS1_11comp_targetILNS1_3genE4ELNS1_11target_archE910ELNS1_3gpuE8ELNS1_3repE0EEENS1_30default_config_static_selectorELNS0_4arch9wavefront6targetE1EEEvT1_,"axG",@progbits,_ZN7rocprim17ROCPRIM_400000_NS6detail17trampoline_kernelINS0_14default_configENS1_29reduce_by_key_config_selectorIjiN6thrust23THRUST_200600_302600_NS4plusIiEEEEZZNS1_33reduce_by_key_impl_wrapped_configILNS1_25lookback_scan_determinismE0ES3_S9_NS6_6detail15normal_iteratorINS6_10device_ptrIjEEEENSD_INSE_IiEEEENS6_16discard_iteratorINS6_11use_defaultEEESI_PmS8_NS6_8equal_toIjEEEE10hipError_tPvRmT2_T3_mT4_T5_T6_T7_T8_P12ihipStream_tbENKUlT_T0_E_clISt17integral_constantIbLb0EES16_EEDaS11_S12_EUlS11_E_NS1_11comp_targetILNS1_3genE4ELNS1_11target_archE910ELNS1_3gpuE8ELNS1_3repE0EEENS1_30default_config_static_selectorELNS0_4arch9wavefront6targetE1EEEvT1_,comdat
.Lfunc_end1023:
	.size	_ZN7rocprim17ROCPRIM_400000_NS6detail17trampoline_kernelINS0_14default_configENS1_29reduce_by_key_config_selectorIjiN6thrust23THRUST_200600_302600_NS4plusIiEEEEZZNS1_33reduce_by_key_impl_wrapped_configILNS1_25lookback_scan_determinismE0ES3_S9_NS6_6detail15normal_iteratorINS6_10device_ptrIjEEEENSD_INSE_IiEEEENS6_16discard_iteratorINS6_11use_defaultEEESI_PmS8_NS6_8equal_toIjEEEE10hipError_tPvRmT2_T3_mT4_T5_T6_T7_T8_P12ihipStream_tbENKUlT_T0_E_clISt17integral_constantIbLb0EES16_EEDaS11_S12_EUlS11_E_NS1_11comp_targetILNS1_3genE4ELNS1_11target_archE910ELNS1_3gpuE8ELNS1_3repE0EEENS1_30default_config_static_selectorELNS0_4arch9wavefront6targetE1EEEvT1_, .Lfunc_end1023-_ZN7rocprim17ROCPRIM_400000_NS6detail17trampoline_kernelINS0_14default_configENS1_29reduce_by_key_config_selectorIjiN6thrust23THRUST_200600_302600_NS4plusIiEEEEZZNS1_33reduce_by_key_impl_wrapped_configILNS1_25lookback_scan_determinismE0ES3_S9_NS6_6detail15normal_iteratorINS6_10device_ptrIjEEEENSD_INSE_IiEEEENS6_16discard_iteratorINS6_11use_defaultEEESI_PmS8_NS6_8equal_toIjEEEE10hipError_tPvRmT2_T3_mT4_T5_T6_T7_T8_P12ihipStream_tbENKUlT_T0_E_clISt17integral_constantIbLb0EES16_EEDaS11_S12_EUlS11_E_NS1_11comp_targetILNS1_3genE4ELNS1_11target_archE910ELNS1_3gpuE8ELNS1_3repE0EEENS1_30default_config_static_selectorELNS0_4arch9wavefront6targetE1EEEvT1_
                                        ; -- End function
	.section	.AMDGPU.csdata,"",@progbits
; Kernel info:
; codeLenInByte = 14668
; NumSgprs: 66
; NumVgprs: 87
; NumAgprs: 0
; TotalNumVgprs: 87
; ScratchSize: 0
; MemoryBound: 0
; FloatMode: 240
; IeeeMode: 1
; LDSByteSize: 15360 bytes/workgroup (compile time only)
; SGPRBlocks: 8
; VGPRBlocks: 10
; NumSGPRsForWavesPerEU: 66
; NumVGPRsForWavesPerEU: 87
; AccumOffset: 88
; Occupancy: 4
; WaveLimiterHint : 1
; COMPUTE_PGM_RSRC2:SCRATCH_EN: 0
; COMPUTE_PGM_RSRC2:USER_SGPR: 6
; COMPUTE_PGM_RSRC2:TRAP_HANDLER: 0
; COMPUTE_PGM_RSRC2:TGID_X_EN: 1
; COMPUTE_PGM_RSRC2:TGID_Y_EN: 0
; COMPUTE_PGM_RSRC2:TGID_Z_EN: 0
; COMPUTE_PGM_RSRC2:TIDIG_COMP_CNT: 0
; COMPUTE_PGM_RSRC3_GFX90A:ACCUM_OFFSET: 21
; COMPUTE_PGM_RSRC3_GFX90A:TG_SPLIT: 0
	.section	.text._ZN7rocprim17ROCPRIM_400000_NS6detail17trampoline_kernelINS0_14default_configENS1_29reduce_by_key_config_selectorIjiN6thrust23THRUST_200600_302600_NS4plusIiEEEEZZNS1_33reduce_by_key_impl_wrapped_configILNS1_25lookback_scan_determinismE0ES3_S9_NS6_6detail15normal_iteratorINS6_10device_ptrIjEEEENSD_INSE_IiEEEENS6_16discard_iteratorINS6_11use_defaultEEESI_PmS8_NS6_8equal_toIjEEEE10hipError_tPvRmT2_T3_mT4_T5_T6_T7_T8_P12ihipStream_tbENKUlT_T0_E_clISt17integral_constantIbLb0EES16_EEDaS11_S12_EUlS11_E_NS1_11comp_targetILNS1_3genE3ELNS1_11target_archE908ELNS1_3gpuE7ELNS1_3repE0EEENS1_30default_config_static_selectorELNS0_4arch9wavefront6targetE1EEEvT1_,"axG",@progbits,_ZN7rocprim17ROCPRIM_400000_NS6detail17trampoline_kernelINS0_14default_configENS1_29reduce_by_key_config_selectorIjiN6thrust23THRUST_200600_302600_NS4plusIiEEEEZZNS1_33reduce_by_key_impl_wrapped_configILNS1_25lookback_scan_determinismE0ES3_S9_NS6_6detail15normal_iteratorINS6_10device_ptrIjEEEENSD_INSE_IiEEEENS6_16discard_iteratorINS6_11use_defaultEEESI_PmS8_NS6_8equal_toIjEEEE10hipError_tPvRmT2_T3_mT4_T5_T6_T7_T8_P12ihipStream_tbENKUlT_T0_E_clISt17integral_constantIbLb0EES16_EEDaS11_S12_EUlS11_E_NS1_11comp_targetILNS1_3genE3ELNS1_11target_archE908ELNS1_3gpuE7ELNS1_3repE0EEENS1_30default_config_static_selectorELNS0_4arch9wavefront6targetE1EEEvT1_,comdat
	.protected	_ZN7rocprim17ROCPRIM_400000_NS6detail17trampoline_kernelINS0_14default_configENS1_29reduce_by_key_config_selectorIjiN6thrust23THRUST_200600_302600_NS4plusIiEEEEZZNS1_33reduce_by_key_impl_wrapped_configILNS1_25lookback_scan_determinismE0ES3_S9_NS6_6detail15normal_iteratorINS6_10device_ptrIjEEEENSD_INSE_IiEEEENS6_16discard_iteratorINS6_11use_defaultEEESI_PmS8_NS6_8equal_toIjEEEE10hipError_tPvRmT2_T3_mT4_T5_T6_T7_T8_P12ihipStream_tbENKUlT_T0_E_clISt17integral_constantIbLb0EES16_EEDaS11_S12_EUlS11_E_NS1_11comp_targetILNS1_3genE3ELNS1_11target_archE908ELNS1_3gpuE7ELNS1_3repE0EEENS1_30default_config_static_selectorELNS0_4arch9wavefront6targetE1EEEvT1_ ; -- Begin function _ZN7rocprim17ROCPRIM_400000_NS6detail17trampoline_kernelINS0_14default_configENS1_29reduce_by_key_config_selectorIjiN6thrust23THRUST_200600_302600_NS4plusIiEEEEZZNS1_33reduce_by_key_impl_wrapped_configILNS1_25lookback_scan_determinismE0ES3_S9_NS6_6detail15normal_iteratorINS6_10device_ptrIjEEEENSD_INSE_IiEEEENS6_16discard_iteratorINS6_11use_defaultEEESI_PmS8_NS6_8equal_toIjEEEE10hipError_tPvRmT2_T3_mT4_T5_T6_T7_T8_P12ihipStream_tbENKUlT_T0_E_clISt17integral_constantIbLb0EES16_EEDaS11_S12_EUlS11_E_NS1_11comp_targetILNS1_3genE3ELNS1_11target_archE908ELNS1_3gpuE7ELNS1_3repE0EEENS1_30default_config_static_selectorELNS0_4arch9wavefront6targetE1EEEvT1_
	.globl	_ZN7rocprim17ROCPRIM_400000_NS6detail17trampoline_kernelINS0_14default_configENS1_29reduce_by_key_config_selectorIjiN6thrust23THRUST_200600_302600_NS4plusIiEEEEZZNS1_33reduce_by_key_impl_wrapped_configILNS1_25lookback_scan_determinismE0ES3_S9_NS6_6detail15normal_iteratorINS6_10device_ptrIjEEEENSD_INSE_IiEEEENS6_16discard_iteratorINS6_11use_defaultEEESI_PmS8_NS6_8equal_toIjEEEE10hipError_tPvRmT2_T3_mT4_T5_T6_T7_T8_P12ihipStream_tbENKUlT_T0_E_clISt17integral_constantIbLb0EES16_EEDaS11_S12_EUlS11_E_NS1_11comp_targetILNS1_3genE3ELNS1_11target_archE908ELNS1_3gpuE7ELNS1_3repE0EEENS1_30default_config_static_selectorELNS0_4arch9wavefront6targetE1EEEvT1_
	.p2align	8
	.type	_ZN7rocprim17ROCPRIM_400000_NS6detail17trampoline_kernelINS0_14default_configENS1_29reduce_by_key_config_selectorIjiN6thrust23THRUST_200600_302600_NS4plusIiEEEEZZNS1_33reduce_by_key_impl_wrapped_configILNS1_25lookback_scan_determinismE0ES3_S9_NS6_6detail15normal_iteratorINS6_10device_ptrIjEEEENSD_INSE_IiEEEENS6_16discard_iteratorINS6_11use_defaultEEESI_PmS8_NS6_8equal_toIjEEEE10hipError_tPvRmT2_T3_mT4_T5_T6_T7_T8_P12ihipStream_tbENKUlT_T0_E_clISt17integral_constantIbLb0EES16_EEDaS11_S12_EUlS11_E_NS1_11comp_targetILNS1_3genE3ELNS1_11target_archE908ELNS1_3gpuE7ELNS1_3repE0EEENS1_30default_config_static_selectorELNS0_4arch9wavefront6targetE1EEEvT1_,@function
_ZN7rocprim17ROCPRIM_400000_NS6detail17trampoline_kernelINS0_14default_configENS1_29reduce_by_key_config_selectorIjiN6thrust23THRUST_200600_302600_NS4plusIiEEEEZZNS1_33reduce_by_key_impl_wrapped_configILNS1_25lookback_scan_determinismE0ES3_S9_NS6_6detail15normal_iteratorINS6_10device_ptrIjEEEENSD_INSE_IiEEEENS6_16discard_iteratorINS6_11use_defaultEEESI_PmS8_NS6_8equal_toIjEEEE10hipError_tPvRmT2_T3_mT4_T5_T6_T7_T8_P12ihipStream_tbENKUlT_T0_E_clISt17integral_constantIbLb0EES16_EEDaS11_S12_EUlS11_E_NS1_11comp_targetILNS1_3genE3ELNS1_11target_archE908ELNS1_3gpuE7ELNS1_3repE0EEENS1_30default_config_static_selectorELNS0_4arch9wavefront6targetE1EEEvT1_: ; @_ZN7rocprim17ROCPRIM_400000_NS6detail17trampoline_kernelINS0_14default_configENS1_29reduce_by_key_config_selectorIjiN6thrust23THRUST_200600_302600_NS4plusIiEEEEZZNS1_33reduce_by_key_impl_wrapped_configILNS1_25lookback_scan_determinismE0ES3_S9_NS6_6detail15normal_iteratorINS6_10device_ptrIjEEEENSD_INSE_IiEEEENS6_16discard_iteratorINS6_11use_defaultEEESI_PmS8_NS6_8equal_toIjEEEE10hipError_tPvRmT2_T3_mT4_T5_T6_T7_T8_P12ihipStream_tbENKUlT_T0_E_clISt17integral_constantIbLb0EES16_EEDaS11_S12_EUlS11_E_NS1_11comp_targetILNS1_3genE3ELNS1_11target_archE908ELNS1_3gpuE7ELNS1_3repE0EEENS1_30default_config_static_selectorELNS0_4arch9wavefront6targetE1EEEvT1_
; %bb.0:
	.section	.rodata,"a",@progbits
	.p2align	6, 0x0
	.amdhsa_kernel _ZN7rocprim17ROCPRIM_400000_NS6detail17trampoline_kernelINS0_14default_configENS1_29reduce_by_key_config_selectorIjiN6thrust23THRUST_200600_302600_NS4plusIiEEEEZZNS1_33reduce_by_key_impl_wrapped_configILNS1_25lookback_scan_determinismE0ES3_S9_NS6_6detail15normal_iteratorINS6_10device_ptrIjEEEENSD_INSE_IiEEEENS6_16discard_iteratorINS6_11use_defaultEEESI_PmS8_NS6_8equal_toIjEEEE10hipError_tPvRmT2_T3_mT4_T5_T6_T7_T8_P12ihipStream_tbENKUlT_T0_E_clISt17integral_constantIbLb0EES16_EEDaS11_S12_EUlS11_E_NS1_11comp_targetILNS1_3genE3ELNS1_11target_archE908ELNS1_3gpuE7ELNS1_3repE0EEENS1_30default_config_static_selectorELNS0_4arch9wavefront6targetE1EEEvT1_
		.amdhsa_group_segment_fixed_size 0
		.amdhsa_private_segment_fixed_size 0
		.amdhsa_kernarg_size 128
		.amdhsa_user_sgpr_count 6
		.amdhsa_user_sgpr_private_segment_buffer 1
		.amdhsa_user_sgpr_dispatch_ptr 0
		.amdhsa_user_sgpr_queue_ptr 0
		.amdhsa_user_sgpr_kernarg_segment_ptr 1
		.amdhsa_user_sgpr_dispatch_id 0
		.amdhsa_user_sgpr_flat_scratch_init 0
		.amdhsa_user_sgpr_kernarg_preload_length 0
		.amdhsa_user_sgpr_kernarg_preload_offset 0
		.amdhsa_user_sgpr_private_segment_size 0
		.amdhsa_uses_dynamic_stack 0
		.amdhsa_system_sgpr_private_segment_wavefront_offset 0
		.amdhsa_system_sgpr_workgroup_id_x 1
		.amdhsa_system_sgpr_workgroup_id_y 0
		.amdhsa_system_sgpr_workgroup_id_z 0
		.amdhsa_system_sgpr_workgroup_info 0
		.amdhsa_system_vgpr_workitem_id 0
		.amdhsa_next_free_vgpr 1
		.amdhsa_next_free_sgpr 0
		.amdhsa_accum_offset 4
		.amdhsa_reserve_vcc 0
		.amdhsa_reserve_flat_scratch 0
		.amdhsa_float_round_mode_32 0
		.amdhsa_float_round_mode_16_64 0
		.amdhsa_float_denorm_mode_32 3
		.amdhsa_float_denorm_mode_16_64 3
		.amdhsa_dx10_clamp 1
		.amdhsa_ieee_mode 1
		.amdhsa_fp16_overflow 0
		.amdhsa_tg_split 0
		.amdhsa_exception_fp_ieee_invalid_op 0
		.amdhsa_exception_fp_denorm_src 0
		.amdhsa_exception_fp_ieee_div_zero 0
		.amdhsa_exception_fp_ieee_overflow 0
		.amdhsa_exception_fp_ieee_underflow 0
		.amdhsa_exception_fp_ieee_inexact 0
		.amdhsa_exception_int_div_zero 0
	.end_amdhsa_kernel
	.section	.text._ZN7rocprim17ROCPRIM_400000_NS6detail17trampoline_kernelINS0_14default_configENS1_29reduce_by_key_config_selectorIjiN6thrust23THRUST_200600_302600_NS4plusIiEEEEZZNS1_33reduce_by_key_impl_wrapped_configILNS1_25lookback_scan_determinismE0ES3_S9_NS6_6detail15normal_iteratorINS6_10device_ptrIjEEEENSD_INSE_IiEEEENS6_16discard_iteratorINS6_11use_defaultEEESI_PmS8_NS6_8equal_toIjEEEE10hipError_tPvRmT2_T3_mT4_T5_T6_T7_T8_P12ihipStream_tbENKUlT_T0_E_clISt17integral_constantIbLb0EES16_EEDaS11_S12_EUlS11_E_NS1_11comp_targetILNS1_3genE3ELNS1_11target_archE908ELNS1_3gpuE7ELNS1_3repE0EEENS1_30default_config_static_selectorELNS0_4arch9wavefront6targetE1EEEvT1_,"axG",@progbits,_ZN7rocprim17ROCPRIM_400000_NS6detail17trampoline_kernelINS0_14default_configENS1_29reduce_by_key_config_selectorIjiN6thrust23THRUST_200600_302600_NS4plusIiEEEEZZNS1_33reduce_by_key_impl_wrapped_configILNS1_25lookback_scan_determinismE0ES3_S9_NS6_6detail15normal_iteratorINS6_10device_ptrIjEEEENSD_INSE_IiEEEENS6_16discard_iteratorINS6_11use_defaultEEESI_PmS8_NS6_8equal_toIjEEEE10hipError_tPvRmT2_T3_mT4_T5_T6_T7_T8_P12ihipStream_tbENKUlT_T0_E_clISt17integral_constantIbLb0EES16_EEDaS11_S12_EUlS11_E_NS1_11comp_targetILNS1_3genE3ELNS1_11target_archE908ELNS1_3gpuE7ELNS1_3repE0EEENS1_30default_config_static_selectorELNS0_4arch9wavefront6targetE1EEEvT1_,comdat
.Lfunc_end1024:
	.size	_ZN7rocprim17ROCPRIM_400000_NS6detail17trampoline_kernelINS0_14default_configENS1_29reduce_by_key_config_selectorIjiN6thrust23THRUST_200600_302600_NS4plusIiEEEEZZNS1_33reduce_by_key_impl_wrapped_configILNS1_25lookback_scan_determinismE0ES3_S9_NS6_6detail15normal_iteratorINS6_10device_ptrIjEEEENSD_INSE_IiEEEENS6_16discard_iteratorINS6_11use_defaultEEESI_PmS8_NS6_8equal_toIjEEEE10hipError_tPvRmT2_T3_mT4_T5_T6_T7_T8_P12ihipStream_tbENKUlT_T0_E_clISt17integral_constantIbLb0EES16_EEDaS11_S12_EUlS11_E_NS1_11comp_targetILNS1_3genE3ELNS1_11target_archE908ELNS1_3gpuE7ELNS1_3repE0EEENS1_30default_config_static_selectorELNS0_4arch9wavefront6targetE1EEEvT1_, .Lfunc_end1024-_ZN7rocprim17ROCPRIM_400000_NS6detail17trampoline_kernelINS0_14default_configENS1_29reduce_by_key_config_selectorIjiN6thrust23THRUST_200600_302600_NS4plusIiEEEEZZNS1_33reduce_by_key_impl_wrapped_configILNS1_25lookback_scan_determinismE0ES3_S9_NS6_6detail15normal_iteratorINS6_10device_ptrIjEEEENSD_INSE_IiEEEENS6_16discard_iteratorINS6_11use_defaultEEESI_PmS8_NS6_8equal_toIjEEEE10hipError_tPvRmT2_T3_mT4_T5_T6_T7_T8_P12ihipStream_tbENKUlT_T0_E_clISt17integral_constantIbLb0EES16_EEDaS11_S12_EUlS11_E_NS1_11comp_targetILNS1_3genE3ELNS1_11target_archE908ELNS1_3gpuE7ELNS1_3repE0EEENS1_30default_config_static_selectorELNS0_4arch9wavefront6targetE1EEEvT1_
                                        ; -- End function
	.section	.AMDGPU.csdata,"",@progbits
; Kernel info:
; codeLenInByte = 0
; NumSgprs: 4
; NumVgprs: 0
; NumAgprs: 0
; TotalNumVgprs: 0
; ScratchSize: 0
; MemoryBound: 0
; FloatMode: 240
; IeeeMode: 1
; LDSByteSize: 0 bytes/workgroup (compile time only)
; SGPRBlocks: 0
; VGPRBlocks: 0
; NumSGPRsForWavesPerEU: 4
; NumVGPRsForWavesPerEU: 1
; AccumOffset: 4
; Occupancy: 8
; WaveLimiterHint : 0
; COMPUTE_PGM_RSRC2:SCRATCH_EN: 0
; COMPUTE_PGM_RSRC2:USER_SGPR: 6
; COMPUTE_PGM_RSRC2:TRAP_HANDLER: 0
; COMPUTE_PGM_RSRC2:TGID_X_EN: 1
; COMPUTE_PGM_RSRC2:TGID_Y_EN: 0
; COMPUTE_PGM_RSRC2:TGID_Z_EN: 0
; COMPUTE_PGM_RSRC2:TIDIG_COMP_CNT: 0
; COMPUTE_PGM_RSRC3_GFX90A:ACCUM_OFFSET: 0
; COMPUTE_PGM_RSRC3_GFX90A:TG_SPLIT: 0
	.section	.text._ZN7rocprim17ROCPRIM_400000_NS6detail17trampoline_kernelINS0_14default_configENS1_29reduce_by_key_config_selectorIjiN6thrust23THRUST_200600_302600_NS4plusIiEEEEZZNS1_33reduce_by_key_impl_wrapped_configILNS1_25lookback_scan_determinismE0ES3_S9_NS6_6detail15normal_iteratorINS6_10device_ptrIjEEEENSD_INSE_IiEEEENS6_16discard_iteratorINS6_11use_defaultEEESI_PmS8_NS6_8equal_toIjEEEE10hipError_tPvRmT2_T3_mT4_T5_T6_T7_T8_P12ihipStream_tbENKUlT_T0_E_clISt17integral_constantIbLb0EES16_EEDaS11_S12_EUlS11_E_NS1_11comp_targetILNS1_3genE2ELNS1_11target_archE906ELNS1_3gpuE6ELNS1_3repE0EEENS1_30default_config_static_selectorELNS0_4arch9wavefront6targetE1EEEvT1_,"axG",@progbits,_ZN7rocprim17ROCPRIM_400000_NS6detail17trampoline_kernelINS0_14default_configENS1_29reduce_by_key_config_selectorIjiN6thrust23THRUST_200600_302600_NS4plusIiEEEEZZNS1_33reduce_by_key_impl_wrapped_configILNS1_25lookback_scan_determinismE0ES3_S9_NS6_6detail15normal_iteratorINS6_10device_ptrIjEEEENSD_INSE_IiEEEENS6_16discard_iteratorINS6_11use_defaultEEESI_PmS8_NS6_8equal_toIjEEEE10hipError_tPvRmT2_T3_mT4_T5_T6_T7_T8_P12ihipStream_tbENKUlT_T0_E_clISt17integral_constantIbLb0EES16_EEDaS11_S12_EUlS11_E_NS1_11comp_targetILNS1_3genE2ELNS1_11target_archE906ELNS1_3gpuE6ELNS1_3repE0EEENS1_30default_config_static_selectorELNS0_4arch9wavefront6targetE1EEEvT1_,comdat
	.protected	_ZN7rocprim17ROCPRIM_400000_NS6detail17trampoline_kernelINS0_14default_configENS1_29reduce_by_key_config_selectorIjiN6thrust23THRUST_200600_302600_NS4plusIiEEEEZZNS1_33reduce_by_key_impl_wrapped_configILNS1_25lookback_scan_determinismE0ES3_S9_NS6_6detail15normal_iteratorINS6_10device_ptrIjEEEENSD_INSE_IiEEEENS6_16discard_iteratorINS6_11use_defaultEEESI_PmS8_NS6_8equal_toIjEEEE10hipError_tPvRmT2_T3_mT4_T5_T6_T7_T8_P12ihipStream_tbENKUlT_T0_E_clISt17integral_constantIbLb0EES16_EEDaS11_S12_EUlS11_E_NS1_11comp_targetILNS1_3genE2ELNS1_11target_archE906ELNS1_3gpuE6ELNS1_3repE0EEENS1_30default_config_static_selectorELNS0_4arch9wavefront6targetE1EEEvT1_ ; -- Begin function _ZN7rocprim17ROCPRIM_400000_NS6detail17trampoline_kernelINS0_14default_configENS1_29reduce_by_key_config_selectorIjiN6thrust23THRUST_200600_302600_NS4plusIiEEEEZZNS1_33reduce_by_key_impl_wrapped_configILNS1_25lookback_scan_determinismE0ES3_S9_NS6_6detail15normal_iteratorINS6_10device_ptrIjEEEENSD_INSE_IiEEEENS6_16discard_iteratorINS6_11use_defaultEEESI_PmS8_NS6_8equal_toIjEEEE10hipError_tPvRmT2_T3_mT4_T5_T6_T7_T8_P12ihipStream_tbENKUlT_T0_E_clISt17integral_constantIbLb0EES16_EEDaS11_S12_EUlS11_E_NS1_11comp_targetILNS1_3genE2ELNS1_11target_archE906ELNS1_3gpuE6ELNS1_3repE0EEENS1_30default_config_static_selectorELNS0_4arch9wavefront6targetE1EEEvT1_
	.globl	_ZN7rocprim17ROCPRIM_400000_NS6detail17trampoline_kernelINS0_14default_configENS1_29reduce_by_key_config_selectorIjiN6thrust23THRUST_200600_302600_NS4plusIiEEEEZZNS1_33reduce_by_key_impl_wrapped_configILNS1_25lookback_scan_determinismE0ES3_S9_NS6_6detail15normal_iteratorINS6_10device_ptrIjEEEENSD_INSE_IiEEEENS6_16discard_iteratorINS6_11use_defaultEEESI_PmS8_NS6_8equal_toIjEEEE10hipError_tPvRmT2_T3_mT4_T5_T6_T7_T8_P12ihipStream_tbENKUlT_T0_E_clISt17integral_constantIbLb0EES16_EEDaS11_S12_EUlS11_E_NS1_11comp_targetILNS1_3genE2ELNS1_11target_archE906ELNS1_3gpuE6ELNS1_3repE0EEENS1_30default_config_static_selectorELNS0_4arch9wavefront6targetE1EEEvT1_
	.p2align	8
	.type	_ZN7rocprim17ROCPRIM_400000_NS6detail17trampoline_kernelINS0_14default_configENS1_29reduce_by_key_config_selectorIjiN6thrust23THRUST_200600_302600_NS4plusIiEEEEZZNS1_33reduce_by_key_impl_wrapped_configILNS1_25lookback_scan_determinismE0ES3_S9_NS6_6detail15normal_iteratorINS6_10device_ptrIjEEEENSD_INSE_IiEEEENS6_16discard_iteratorINS6_11use_defaultEEESI_PmS8_NS6_8equal_toIjEEEE10hipError_tPvRmT2_T3_mT4_T5_T6_T7_T8_P12ihipStream_tbENKUlT_T0_E_clISt17integral_constantIbLb0EES16_EEDaS11_S12_EUlS11_E_NS1_11comp_targetILNS1_3genE2ELNS1_11target_archE906ELNS1_3gpuE6ELNS1_3repE0EEENS1_30default_config_static_selectorELNS0_4arch9wavefront6targetE1EEEvT1_,@function
_ZN7rocprim17ROCPRIM_400000_NS6detail17trampoline_kernelINS0_14default_configENS1_29reduce_by_key_config_selectorIjiN6thrust23THRUST_200600_302600_NS4plusIiEEEEZZNS1_33reduce_by_key_impl_wrapped_configILNS1_25lookback_scan_determinismE0ES3_S9_NS6_6detail15normal_iteratorINS6_10device_ptrIjEEEENSD_INSE_IiEEEENS6_16discard_iteratorINS6_11use_defaultEEESI_PmS8_NS6_8equal_toIjEEEE10hipError_tPvRmT2_T3_mT4_T5_T6_T7_T8_P12ihipStream_tbENKUlT_T0_E_clISt17integral_constantIbLb0EES16_EEDaS11_S12_EUlS11_E_NS1_11comp_targetILNS1_3genE2ELNS1_11target_archE906ELNS1_3gpuE6ELNS1_3repE0EEENS1_30default_config_static_selectorELNS0_4arch9wavefront6targetE1EEEvT1_: ; @_ZN7rocprim17ROCPRIM_400000_NS6detail17trampoline_kernelINS0_14default_configENS1_29reduce_by_key_config_selectorIjiN6thrust23THRUST_200600_302600_NS4plusIiEEEEZZNS1_33reduce_by_key_impl_wrapped_configILNS1_25lookback_scan_determinismE0ES3_S9_NS6_6detail15normal_iteratorINS6_10device_ptrIjEEEENSD_INSE_IiEEEENS6_16discard_iteratorINS6_11use_defaultEEESI_PmS8_NS6_8equal_toIjEEEE10hipError_tPvRmT2_T3_mT4_T5_T6_T7_T8_P12ihipStream_tbENKUlT_T0_E_clISt17integral_constantIbLb0EES16_EEDaS11_S12_EUlS11_E_NS1_11comp_targetILNS1_3genE2ELNS1_11target_archE906ELNS1_3gpuE6ELNS1_3repE0EEENS1_30default_config_static_selectorELNS0_4arch9wavefront6targetE1EEEvT1_
; %bb.0:
	.section	.rodata,"a",@progbits
	.p2align	6, 0x0
	.amdhsa_kernel _ZN7rocprim17ROCPRIM_400000_NS6detail17trampoline_kernelINS0_14default_configENS1_29reduce_by_key_config_selectorIjiN6thrust23THRUST_200600_302600_NS4plusIiEEEEZZNS1_33reduce_by_key_impl_wrapped_configILNS1_25lookback_scan_determinismE0ES3_S9_NS6_6detail15normal_iteratorINS6_10device_ptrIjEEEENSD_INSE_IiEEEENS6_16discard_iteratorINS6_11use_defaultEEESI_PmS8_NS6_8equal_toIjEEEE10hipError_tPvRmT2_T3_mT4_T5_T6_T7_T8_P12ihipStream_tbENKUlT_T0_E_clISt17integral_constantIbLb0EES16_EEDaS11_S12_EUlS11_E_NS1_11comp_targetILNS1_3genE2ELNS1_11target_archE906ELNS1_3gpuE6ELNS1_3repE0EEENS1_30default_config_static_selectorELNS0_4arch9wavefront6targetE1EEEvT1_
		.amdhsa_group_segment_fixed_size 0
		.amdhsa_private_segment_fixed_size 0
		.amdhsa_kernarg_size 128
		.amdhsa_user_sgpr_count 6
		.amdhsa_user_sgpr_private_segment_buffer 1
		.amdhsa_user_sgpr_dispatch_ptr 0
		.amdhsa_user_sgpr_queue_ptr 0
		.amdhsa_user_sgpr_kernarg_segment_ptr 1
		.amdhsa_user_sgpr_dispatch_id 0
		.amdhsa_user_sgpr_flat_scratch_init 0
		.amdhsa_user_sgpr_kernarg_preload_length 0
		.amdhsa_user_sgpr_kernarg_preload_offset 0
		.amdhsa_user_sgpr_private_segment_size 0
		.amdhsa_uses_dynamic_stack 0
		.amdhsa_system_sgpr_private_segment_wavefront_offset 0
		.amdhsa_system_sgpr_workgroup_id_x 1
		.amdhsa_system_sgpr_workgroup_id_y 0
		.amdhsa_system_sgpr_workgroup_id_z 0
		.amdhsa_system_sgpr_workgroup_info 0
		.amdhsa_system_vgpr_workitem_id 0
		.amdhsa_next_free_vgpr 1
		.amdhsa_next_free_sgpr 0
		.amdhsa_accum_offset 4
		.amdhsa_reserve_vcc 0
		.amdhsa_reserve_flat_scratch 0
		.amdhsa_float_round_mode_32 0
		.amdhsa_float_round_mode_16_64 0
		.amdhsa_float_denorm_mode_32 3
		.amdhsa_float_denorm_mode_16_64 3
		.amdhsa_dx10_clamp 1
		.amdhsa_ieee_mode 1
		.amdhsa_fp16_overflow 0
		.amdhsa_tg_split 0
		.amdhsa_exception_fp_ieee_invalid_op 0
		.amdhsa_exception_fp_denorm_src 0
		.amdhsa_exception_fp_ieee_div_zero 0
		.amdhsa_exception_fp_ieee_overflow 0
		.amdhsa_exception_fp_ieee_underflow 0
		.amdhsa_exception_fp_ieee_inexact 0
		.amdhsa_exception_int_div_zero 0
	.end_amdhsa_kernel
	.section	.text._ZN7rocprim17ROCPRIM_400000_NS6detail17trampoline_kernelINS0_14default_configENS1_29reduce_by_key_config_selectorIjiN6thrust23THRUST_200600_302600_NS4plusIiEEEEZZNS1_33reduce_by_key_impl_wrapped_configILNS1_25lookback_scan_determinismE0ES3_S9_NS6_6detail15normal_iteratorINS6_10device_ptrIjEEEENSD_INSE_IiEEEENS6_16discard_iteratorINS6_11use_defaultEEESI_PmS8_NS6_8equal_toIjEEEE10hipError_tPvRmT2_T3_mT4_T5_T6_T7_T8_P12ihipStream_tbENKUlT_T0_E_clISt17integral_constantIbLb0EES16_EEDaS11_S12_EUlS11_E_NS1_11comp_targetILNS1_3genE2ELNS1_11target_archE906ELNS1_3gpuE6ELNS1_3repE0EEENS1_30default_config_static_selectorELNS0_4arch9wavefront6targetE1EEEvT1_,"axG",@progbits,_ZN7rocprim17ROCPRIM_400000_NS6detail17trampoline_kernelINS0_14default_configENS1_29reduce_by_key_config_selectorIjiN6thrust23THRUST_200600_302600_NS4plusIiEEEEZZNS1_33reduce_by_key_impl_wrapped_configILNS1_25lookback_scan_determinismE0ES3_S9_NS6_6detail15normal_iteratorINS6_10device_ptrIjEEEENSD_INSE_IiEEEENS6_16discard_iteratorINS6_11use_defaultEEESI_PmS8_NS6_8equal_toIjEEEE10hipError_tPvRmT2_T3_mT4_T5_T6_T7_T8_P12ihipStream_tbENKUlT_T0_E_clISt17integral_constantIbLb0EES16_EEDaS11_S12_EUlS11_E_NS1_11comp_targetILNS1_3genE2ELNS1_11target_archE906ELNS1_3gpuE6ELNS1_3repE0EEENS1_30default_config_static_selectorELNS0_4arch9wavefront6targetE1EEEvT1_,comdat
.Lfunc_end1025:
	.size	_ZN7rocprim17ROCPRIM_400000_NS6detail17trampoline_kernelINS0_14default_configENS1_29reduce_by_key_config_selectorIjiN6thrust23THRUST_200600_302600_NS4plusIiEEEEZZNS1_33reduce_by_key_impl_wrapped_configILNS1_25lookback_scan_determinismE0ES3_S9_NS6_6detail15normal_iteratorINS6_10device_ptrIjEEEENSD_INSE_IiEEEENS6_16discard_iteratorINS6_11use_defaultEEESI_PmS8_NS6_8equal_toIjEEEE10hipError_tPvRmT2_T3_mT4_T5_T6_T7_T8_P12ihipStream_tbENKUlT_T0_E_clISt17integral_constantIbLb0EES16_EEDaS11_S12_EUlS11_E_NS1_11comp_targetILNS1_3genE2ELNS1_11target_archE906ELNS1_3gpuE6ELNS1_3repE0EEENS1_30default_config_static_selectorELNS0_4arch9wavefront6targetE1EEEvT1_, .Lfunc_end1025-_ZN7rocprim17ROCPRIM_400000_NS6detail17trampoline_kernelINS0_14default_configENS1_29reduce_by_key_config_selectorIjiN6thrust23THRUST_200600_302600_NS4plusIiEEEEZZNS1_33reduce_by_key_impl_wrapped_configILNS1_25lookback_scan_determinismE0ES3_S9_NS6_6detail15normal_iteratorINS6_10device_ptrIjEEEENSD_INSE_IiEEEENS6_16discard_iteratorINS6_11use_defaultEEESI_PmS8_NS6_8equal_toIjEEEE10hipError_tPvRmT2_T3_mT4_T5_T6_T7_T8_P12ihipStream_tbENKUlT_T0_E_clISt17integral_constantIbLb0EES16_EEDaS11_S12_EUlS11_E_NS1_11comp_targetILNS1_3genE2ELNS1_11target_archE906ELNS1_3gpuE6ELNS1_3repE0EEENS1_30default_config_static_selectorELNS0_4arch9wavefront6targetE1EEEvT1_
                                        ; -- End function
	.section	.AMDGPU.csdata,"",@progbits
; Kernel info:
; codeLenInByte = 0
; NumSgprs: 4
; NumVgprs: 0
; NumAgprs: 0
; TotalNumVgprs: 0
; ScratchSize: 0
; MemoryBound: 0
; FloatMode: 240
; IeeeMode: 1
; LDSByteSize: 0 bytes/workgroup (compile time only)
; SGPRBlocks: 0
; VGPRBlocks: 0
; NumSGPRsForWavesPerEU: 4
; NumVGPRsForWavesPerEU: 1
; AccumOffset: 4
; Occupancy: 8
; WaveLimiterHint : 0
; COMPUTE_PGM_RSRC2:SCRATCH_EN: 0
; COMPUTE_PGM_RSRC2:USER_SGPR: 6
; COMPUTE_PGM_RSRC2:TRAP_HANDLER: 0
; COMPUTE_PGM_RSRC2:TGID_X_EN: 1
; COMPUTE_PGM_RSRC2:TGID_Y_EN: 0
; COMPUTE_PGM_RSRC2:TGID_Z_EN: 0
; COMPUTE_PGM_RSRC2:TIDIG_COMP_CNT: 0
; COMPUTE_PGM_RSRC3_GFX90A:ACCUM_OFFSET: 0
; COMPUTE_PGM_RSRC3_GFX90A:TG_SPLIT: 0
	.section	.text._ZN7rocprim17ROCPRIM_400000_NS6detail17trampoline_kernelINS0_14default_configENS1_29reduce_by_key_config_selectorIjiN6thrust23THRUST_200600_302600_NS4plusIiEEEEZZNS1_33reduce_by_key_impl_wrapped_configILNS1_25lookback_scan_determinismE0ES3_S9_NS6_6detail15normal_iteratorINS6_10device_ptrIjEEEENSD_INSE_IiEEEENS6_16discard_iteratorINS6_11use_defaultEEESI_PmS8_NS6_8equal_toIjEEEE10hipError_tPvRmT2_T3_mT4_T5_T6_T7_T8_P12ihipStream_tbENKUlT_T0_E_clISt17integral_constantIbLb0EES16_EEDaS11_S12_EUlS11_E_NS1_11comp_targetILNS1_3genE10ELNS1_11target_archE1201ELNS1_3gpuE5ELNS1_3repE0EEENS1_30default_config_static_selectorELNS0_4arch9wavefront6targetE1EEEvT1_,"axG",@progbits,_ZN7rocprim17ROCPRIM_400000_NS6detail17trampoline_kernelINS0_14default_configENS1_29reduce_by_key_config_selectorIjiN6thrust23THRUST_200600_302600_NS4plusIiEEEEZZNS1_33reduce_by_key_impl_wrapped_configILNS1_25lookback_scan_determinismE0ES3_S9_NS6_6detail15normal_iteratorINS6_10device_ptrIjEEEENSD_INSE_IiEEEENS6_16discard_iteratorINS6_11use_defaultEEESI_PmS8_NS6_8equal_toIjEEEE10hipError_tPvRmT2_T3_mT4_T5_T6_T7_T8_P12ihipStream_tbENKUlT_T0_E_clISt17integral_constantIbLb0EES16_EEDaS11_S12_EUlS11_E_NS1_11comp_targetILNS1_3genE10ELNS1_11target_archE1201ELNS1_3gpuE5ELNS1_3repE0EEENS1_30default_config_static_selectorELNS0_4arch9wavefront6targetE1EEEvT1_,comdat
	.protected	_ZN7rocprim17ROCPRIM_400000_NS6detail17trampoline_kernelINS0_14default_configENS1_29reduce_by_key_config_selectorIjiN6thrust23THRUST_200600_302600_NS4plusIiEEEEZZNS1_33reduce_by_key_impl_wrapped_configILNS1_25lookback_scan_determinismE0ES3_S9_NS6_6detail15normal_iteratorINS6_10device_ptrIjEEEENSD_INSE_IiEEEENS6_16discard_iteratorINS6_11use_defaultEEESI_PmS8_NS6_8equal_toIjEEEE10hipError_tPvRmT2_T3_mT4_T5_T6_T7_T8_P12ihipStream_tbENKUlT_T0_E_clISt17integral_constantIbLb0EES16_EEDaS11_S12_EUlS11_E_NS1_11comp_targetILNS1_3genE10ELNS1_11target_archE1201ELNS1_3gpuE5ELNS1_3repE0EEENS1_30default_config_static_selectorELNS0_4arch9wavefront6targetE1EEEvT1_ ; -- Begin function _ZN7rocprim17ROCPRIM_400000_NS6detail17trampoline_kernelINS0_14default_configENS1_29reduce_by_key_config_selectorIjiN6thrust23THRUST_200600_302600_NS4plusIiEEEEZZNS1_33reduce_by_key_impl_wrapped_configILNS1_25lookback_scan_determinismE0ES3_S9_NS6_6detail15normal_iteratorINS6_10device_ptrIjEEEENSD_INSE_IiEEEENS6_16discard_iteratorINS6_11use_defaultEEESI_PmS8_NS6_8equal_toIjEEEE10hipError_tPvRmT2_T3_mT4_T5_T6_T7_T8_P12ihipStream_tbENKUlT_T0_E_clISt17integral_constantIbLb0EES16_EEDaS11_S12_EUlS11_E_NS1_11comp_targetILNS1_3genE10ELNS1_11target_archE1201ELNS1_3gpuE5ELNS1_3repE0EEENS1_30default_config_static_selectorELNS0_4arch9wavefront6targetE1EEEvT1_
	.globl	_ZN7rocprim17ROCPRIM_400000_NS6detail17trampoline_kernelINS0_14default_configENS1_29reduce_by_key_config_selectorIjiN6thrust23THRUST_200600_302600_NS4plusIiEEEEZZNS1_33reduce_by_key_impl_wrapped_configILNS1_25lookback_scan_determinismE0ES3_S9_NS6_6detail15normal_iteratorINS6_10device_ptrIjEEEENSD_INSE_IiEEEENS6_16discard_iteratorINS6_11use_defaultEEESI_PmS8_NS6_8equal_toIjEEEE10hipError_tPvRmT2_T3_mT4_T5_T6_T7_T8_P12ihipStream_tbENKUlT_T0_E_clISt17integral_constantIbLb0EES16_EEDaS11_S12_EUlS11_E_NS1_11comp_targetILNS1_3genE10ELNS1_11target_archE1201ELNS1_3gpuE5ELNS1_3repE0EEENS1_30default_config_static_selectorELNS0_4arch9wavefront6targetE1EEEvT1_
	.p2align	8
	.type	_ZN7rocprim17ROCPRIM_400000_NS6detail17trampoline_kernelINS0_14default_configENS1_29reduce_by_key_config_selectorIjiN6thrust23THRUST_200600_302600_NS4plusIiEEEEZZNS1_33reduce_by_key_impl_wrapped_configILNS1_25lookback_scan_determinismE0ES3_S9_NS6_6detail15normal_iteratorINS6_10device_ptrIjEEEENSD_INSE_IiEEEENS6_16discard_iteratorINS6_11use_defaultEEESI_PmS8_NS6_8equal_toIjEEEE10hipError_tPvRmT2_T3_mT4_T5_T6_T7_T8_P12ihipStream_tbENKUlT_T0_E_clISt17integral_constantIbLb0EES16_EEDaS11_S12_EUlS11_E_NS1_11comp_targetILNS1_3genE10ELNS1_11target_archE1201ELNS1_3gpuE5ELNS1_3repE0EEENS1_30default_config_static_selectorELNS0_4arch9wavefront6targetE1EEEvT1_,@function
_ZN7rocprim17ROCPRIM_400000_NS6detail17trampoline_kernelINS0_14default_configENS1_29reduce_by_key_config_selectorIjiN6thrust23THRUST_200600_302600_NS4plusIiEEEEZZNS1_33reduce_by_key_impl_wrapped_configILNS1_25lookback_scan_determinismE0ES3_S9_NS6_6detail15normal_iteratorINS6_10device_ptrIjEEEENSD_INSE_IiEEEENS6_16discard_iteratorINS6_11use_defaultEEESI_PmS8_NS6_8equal_toIjEEEE10hipError_tPvRmT2_T3_mT4_T5_T6_T7_T8_P12ihipStream_tbENKUlT_T0_E_clISt17integral_constantIbLb0EES16_EEDaS11_S12_EUlS11_E_NS1_11comp_targetILNS1_3genE10ELNS1_11target_archE1201ELNS1_3gpuE5ELNS1_3repE0EEENS1_30default_config_static_selectorELNS0_4arch9wavefront6targetE1EEEvT1_: ; @_ZN7rocprim17ROCPRIM_400000_NS6detail17trampoline_kernelINS0_14default_configENS1_29reduce_by_key_config_selectorIjiN6thrust23THRUST_200600_302600_NS4plusIiEEEEZZNS1_33reduce_by_key_impl_wrapped_configILNS1_25lookback_scan_determinismE0ES3_S9_NS6_6detail15normal_iteratorINS6_10device_ptrIjEEEENSD_INSE_IiEEEENS6_16discard_iteratorINS6_11use_defaultEEESI_PmS8_NS6_8equal_toIjEEEE10hipError_tPvRmT2_T3_mT4_T5_T6_T7_T8_P12ihipStream_tbENKUlT_T0_E_clISt17integral_constantIbLb0EES16_EEDaS11_S12_EUlS11_E_NS1_11comp_targetILNS1_3genE10ELNS1_11target_archE1201ELNS1_3gpuE5ELNS1_3repE0EEENS1_30default_config_static_selectorELNS0_4arch9wavefront6targetE1EEEvT1_
; %bb.0:
	.section	.rodata,"a",@progbits
	.p2align	6, 0x0
	.amdhsa_kernel _ZN7rocprim17ROCPRIM_400000_NS6detail17trampoline_kernelINS0_14default_configENS1_29reduce_by_key_config_selectorIjiN6thrust23THRUST_200600_302600_NS4plusIiEEEEZZNS1_33reduce_by_key_impl_wrapped_configILNS1_25lookback_scan_determinismE0ES3_S9_NS6_6detail15normal_iteratorINS6_10device_ptrIjEEEENSD_INSE_IiEEEENS6_16discard_iteratorINS6_11use_defaultEEESI_PmS8_NS6_8equal_toIjEEEE10hipError_tPvRmT2_T3_mT4_T5_T6_T7_T8_P12ihipStream_tbENKUlT_T0_E_clISt17integral_constantIbLb0EES16_EEDaS11_S12_EUlS11_E_NS1_11comp_targetILNS1_3genE10ELNS1_11target_archE1201ELNS1_3gpuE5ELNS1_3repE0EEENS1_30default_config_static_selectorELNS0_4arch9wavefront6targetE1EEEvT1_
		.amdhsa_group_segment_fixed_size 0
		.amdhsa_private_segment_fixed_size 0
		.amdhsa_kernarg_size 128
		.amdhsa_user_sgpr_count 6
		.amdhsa_user_sgpr_private_segment_buffer 1
		.amdhsa_user_sgpr_dispatch_ptr 0
		.amdhsa_user_sgpr_queue_ptr 0
		.amdhsa_user_sgpr_kernarg_segment_ptr 1
		.amdhsa_user_sgpr_dispatch_id 0
		.amdhsa_user_sgpr_flat_scratch_init 0
		.amdhsa_user_sgpr_kernarg_preload_length 0
		.amdhsa_user_sgpr_kernarg_preload_offset 0
		.amdhsa_user_sgpr_private_segment_size 0
		.amdhsa_uses_dynamic_stack 0
		.amdhsa_system_sgpr_private_segment_wavefront_offset 0
		.amdhsa_system_sgpr_workgroup_id_x 1
		.amdhsa_system_sgpr_workgroup_id_y 0
		.amdhsa_system_sgpr_workgroup_id_z 0
		.amdhsa_system_sgpr_workgroup_info 0
		.amdhsa_system_vgpr_workitem_id 0
		.amdhsa_next_free_vgpr 1
		.amdhsa_next_free_sgpr 0
		.amdhsa_accum_offset 4
		.amdhsa_reserve_vcc 0
		.amdhsa_reserve_flat_scratch 0
		.amdhsa_float_round_mode_32 0
		.amdhsa_float_round_mode_16_64 0
		.amdhsa_float_denorm_mode_32 3
		.amdhsa_float_denorm_mode_16_64 3
		.amdhsa_dx10_clamp 1
		.amdhsa_ieee_mode 1
		.amdhsa_fp16_overflow 0
		.amdhsa_tg_split 0
		.amdhsa_exception_fp_ieee_invalid_op 0
		.amdhsa_exception_fp_denorm_src 0
		.amdhsa_exception_fp_ieee_div_zero 0
		.amdhsa_exception_fp_ieee_overflow 0
		.amdhsa_exception_fp_ieee_underflow 0
		.amdhsa_exception_fp_ieee_inexact 0
		.amdhsa_exception_int_div_zero 0
	.end_amdhsa_kernel
	.section	.text._ZN7rocprim17ROCPRIM_400000_NS6detail17trampoline_kernelINS0_14default_configENS1_29reduce_by_key_config_selectorIjiN6thrust23THRUST_200600_302600_NS4plusIiEEEEZZNS1_33reduce_by_key_impl_wrapped_configILNS1_25lookback_scan_determinismE0ES3_S9_NS6_6detail15normal_iteratorINS6_10device_ptrIjEEEENSD_INSE_IiEEEENS6_16discard_iteratorINS6_11use_defaultEEESI_PmS8_NS6_8equal_toIjEEEE10hipError_tPvRmT2_T3_mT4_T5_T6_T7_T8_P12ihipStream_tbENKUlT_T0_E_clISt17integral_constantIbLb0EES16_EEDaS11_S12_EUlS11_E_NS1_11comp_targetILNS1_3genE10ELNS1_11target_archE1201ELNS1_3gpuE5ELNS1_3repE0EEENS1_30default_config_static_selectorELNS0_4arch9wavefront6targetE1EEEvT1_,"axG",@progbits,_ZN7rocprim17ROCPRIM_400000_NS6detail17trampoline_kernelINS0_14default_configENS1_29reduce_by_key_config_selectorIjiN6thrust23THRUST_200600_302600_NS4plusIiEEEEZZNS1_33reduce_by_key_impl_wrapped_configILNS1_25lookback_scan_determinismE0ES3_S9_NS6_6detail15normal_iteratorINS6_10device_ptrIjEEEENSD_INSE_IiEEEENS6_16discard_iteratorINS6_11use_defaultEEESI_PmS8_NS6_8equal_toIjEEEE10hipError_tPvRmT2_T3_mT4_T5_T6_T7_T8_P12ihipStream_tbENKUlT_T0_E_clISt17integral_constantIbLb0EES16_EEDaS11_S12_EUlS11_E_NS1_11comp_targetILNS1_3genE10ELNS1_11target_archE1201ELNS1_3gpuE5ELNS1_3repE0EEENS1_30default_config_static_selectorELNS0_4arch9wavefront6targetE1EEEvT1_,comdat
.Lfunc_end1026:
	.size	_ZN7rocprim17ROCPRIM_400000_NS6detail17trampoline_kernelINS0_14default_configENS1_29reduce_by_key_config_selectorIjiN6thrust23THRUST_200600_302600_NS4plusIiEEEEZZNS1_33reduce_by_key_impl_wrapped_configILNS1_25lookback_scan_determinismE0ES3_S9_NS6_6detail15normal_iteratorINS6_10device_ptrIjEEEENSD_INSE_IiEEEENS6_16discard_iteratorINS6_11use_defaultEEESI_PmS8_NS6_8equal_toIjEEEE10hipError_tPvRmT2_T3_mT4_T5_T6_T7_T8_P12ihipStream_tbENKUlT_T0_E_clISt17integral_constantIbLb0EES16_EEDaS11_S12_EUlS11_E_NS1_11comp_targetILNS1_3genE10ELNS1_11target_archE1201ELNS1_3gpuE5ELNS1_3repE0EEENS1_30default_config_static_selectorELNS0_4arch9wavefront6targetE1EEEvT1_, .Lfunc_end1026-_ZN7rocprim17ROCPRIM_400000_NS6detail17trampoline_kernelINS0_14default_configENS1_29reduce_by_key_config_selectorIjiN6thrust23THRUST_200600_302600_NS4plusIiEEEEZZNS1_33reduce_by_key_impl_wrapped_configILNS1_25lookback_scan_determinismE0ES3_S9_NS6_6detail15normal_iteratorINS6_10device_ptrIjEEEENSD_INSE_IiEEEENS6_16discard_iteratorINS6_11use_defaultEEESI_PmS8_NS6_8equal_toIjEEEE10hipError_tPvRmT2_T3_mT4_T5_T6_T7_T8_P12ihipStream_tbENKUlT_T0_E_clISt17integral_constantIbLb0EES16_EEDaS11_S12_EUlS11_E_NS1_11comp_targetILNS1_3genE10ELNS1_11target_archE1201ELNS1_3gpuE5ELNS1_3repE0EEENS1_30default_config_static_selectorELNS0_4arch9wavefront6targetE1EEEvT1_
                                        ; -- End function
	.section	.AMDGPU.csdata,"",@progbits
; Kernel info:
; codeLenInByte = 0
; NumSgprs: 4
; NumVgprs: 0
; NumAgprs: 0
; TotalNumVgprs: 0
; ScratchSize: 0
; MemoryBound: 0
; FloatMode: 240
; IeeeMode: 1
; LDSByteSize: 0 bytes/workgroup (compile time only)
; SGPRBlocks: 0
; VGPRBlocks: 0
; NumSGPRsForWavesPerEU: 4
; NumVGPRsForWavesPerEU: 1
; AccumOffset: 4
; Occupancy: 8
; WaveLimiterHint : 0
; COMPUTE_PGM_RSRC2:SCRATCH_EN: 0
; COMPUTE_PGM_RSRC2:USER_SGPR: 6
; COMPUTE_PGM_RSRC2:TRAP_HANDLER: 0
; COMPUTE_PGM_RSRC2:TGID_X_EN: 1
; COMPUTE_PGM_RSRC2:TGID_Y_EN: 0
; COMPUTE_PGM_RSRC2:TGID_Z_EN: 0
; COMPUTE_PGM_RSRC2:TIDIG_COMP_CNT: 0
; COMPUTE_PGM_RSRC3_GFX90A:ACCUM_OFFSET: 0
; COMPUTE_PGM_RSRC3_GFX90A:TG_SPLIT: 0
	.section	.text._ZN7rocprim17ROCPRIM_400000_NS6detail17trampoline_kernelINS0_14default_configENS1_29reduce_by_key_config_selectorIjiN6thrust23THRUST_200600_302600_NS4plusIiEEEEZZNS1_33reduce_by_key_impl_wrapped_configILNS1_25lookback_scan_determinismE0ES3_S9_NS6_6detail15normal_iteratorINS6_10device_ptrIjEEEENSD_INSE_IiEEEENS6_16discard_iteratorINS6_11use_defaultEEESI_PmS8_NS6_8equal_toIjEEEE10hipError_tPvRmT2_T3_mT4_T5_T6_T7_T8_P12ihipStream_tbENKUlT_T0_E_clISt17integral_constantIbLb0EES16_EEDaS11_S12_EUlS11_E_NS1_11comp_targetILNS1_3genE10ELNS1_11target_archE1200ELNS1_3gpuE4ELNS1_3repE0EEENS1_30default_config_static_selectorELNS0_4arch9wavefront6targetE1EEEvT1_,"axG",@progbits,_ZN7rocprim17ROCPRIM_400000_NS6detail17trampoline_kernelINS0_14default_configENS1_29reduce_by_key_config_selectorIjiN6thrust23THRUST_200600_302600_NS4plusIiEEEEZZNS1_33reduce_by_key_impl_wrapped_configILNS1_25lookback_scan_determinismE0ES3_S9_NS6_6detail15normal_iteratorINS6_10device_ptrIjEEEENSD_INSE_IiEEEENS6_16discard_iteratorINS6_11use_defaultEEESI_PmS8_NS6_8equal_toIjEEEE10hipError_tPvRmT2_T3_mT4_T5_T6_T7_T8_P12ihipStream_tbENKUlT_T0_E_clISt17integral_constantIbLb0EES16_EEDaS11_S12_EUlS11_E_NS1_11comp_targetILNS1_3genE10ELNS1_11target_archE1200ELNS1_3gpuE4ELNS1_3repE0EEENS1_30default_config_static_selectorELNS0_4arch9wavefront6targetE1EEEvT1_,comdat
	.protected	_ZN7rocprim17ROCPRIM_400000_NS6detail17trampoline_kernelINS0_14default_configENS1_29reduce_by_key_config_selectorIjiN6thrust23THRUST_200600_302600_NS4plusIiEEEEZZNS1_33reduce_by_key_impl_wrapped_configILNS1_25lookback_scan_determinismE0ES3_S9_NS6_6detail15normal_iteratorINS6_10device_ptrIjEEEENSD_INSE_IiEEEENS6_16discard_iteratorINS6_11use_defaultEEESI_PmS8_NS6_8equal_toIjEEEE10hipError_tPvRmT2_T3_mT4_T5_T6_T7_T8_P12ihipStream_tbENKUlT_T0_E_clISt17integral_constantIbLb0EES16_EEDaS11_S12_EUlS11_E_NS1_11comp_targetILNS1_3genE10ELNS1_11target_archE1200ELNS1_3gpuE4ELNS1_3repE0EEENS1_30default_config_static_selectorELNS0_4arch9wavefront6targetE1EEEvT1_ ; -- Begin function _ZN7rocprim17ROCPRIM_400000_NS6detail17trampoline_kernelINS0_14default_configENS1_29reduce_by_key_config_selectorIjiN6thrust23THRUST_200600_302600_NS4plusIiEEEEZZNS1_33reduce_by_key_impl_wrapped_configILNS1_25lookback_scan_determinismE0ES3_S9_NS6_6detail15normal_iteratorINS6_10device_ptrIjEEEENSD_INSE_IiEEEENS6_16discard_iteratorINS6_11use_defaultEEESI_PmS8_NS6_8equal_toIjEEEE10hipError_tPvRmT2_T3_mT4_T5_T6_T7_T8_P12ihipStream_tbENKUlT_T0_E_clISt17integral_constantIbLb0EES16_EEDaS11_S12_EUlS11_E_NS1_11comp_targetILNS1_3genE10ELNS1_11target_archE1200ELNS1_3gpuE4ELNS1_3repE0EEENS1_30default_config_static_selectorELNS0_4arch9wavefront6targetE1EEEvT1_
	.globl	_ZN7rocprim17ROCPRIM_400000_NS6detail17trampoline_kernelINS0_14default_configENS1_29reduce_by_key_config_selectorIjiN6thrust23THRUST_200600_302600_NS4plusIiEEEEZZNS1_33reduce_by_key_impl_wrapped_configILNS1_25lookback_scan_determinismE0ES3_S9_NS6_6detail15normal_iteratorINS6_10device_ptrIjEEEENSD_INSE_IiEEEENS6_16discard_iteratorINS6_11use_defaultEEESI_PmS8_NS6_8equal_toIjEEEE10hipError_tPvRmT2_T3_mT4_T5_T6_T7_T8_P12ihipStream_tbENKUlT_T0_E_clISt17integral_constantIbLb0EES16_EEDaS11_S12_EUlS11_E_NS1_11comp_targetILNS1_3genE10ELNS1_11target_archE1200ELNS1_3gpuE4ELNS1_3repE0EEENS1_30default_config_static_selectorELNS0_4arch9wavefront6targetE1EEEvT1_
	.p2align	8
	.type	_ZN7rocprim17ROCPRIM_400000_NS6detail17trampoline_kernelINS0_14default_configENS1_29reduce_by_key_config_selectorIjiN6thrust23THRUST_200600_302600_NS4plusIiEEEEZZNS1_33reduce_by_key_impl_wrapped_configILNS1_25lookback_scan_determinismE0ES3_S9_NS6_6detail15normal_iteratorINS6_10device_ptrIjEEEENSD_INSE_IiEEEENS6_16discard_iteratorINS6_11use_defaultEEESI_PmS8_NS6_8equal_toIjEEEE10hipError_tPvRmT2_T3_mT4_T5_T6_T7_T8_P12ihipStream_tbENKUlT_T0_E_clISt17integral_constantIbLb0EES16_EEDaS11_S12_EUlS11_E_NS1_11comp_targetILNS1_3genE10ELNS1_11target_archE1200ELNS1_3gpuE4ELNS1_3repE0EEENS1_30default_config_static_selectorELNS0_4arch9wavefront6targetE1EEEvT1_,@function
_ZN7rocprim17ROCPRIM_400000_NS6detail17trampoline_kernelINS0_14default_configENS1_29reduce_by_key_config_selectorIjiN6thrust23THRUST_200600_302600_NS4plusIiEEEEZZNS1_33reduce_by_key_impl_wrapped_configILNS1_25lookback_scan_determinismE0ES3_S9_NS6_6detail15normal_iteratorINS6_10device_ptrIjEEEENSD_INSE_IiEEEENS6_16discard_iteratorINS6_11use_defaultEEESI_PmS8_NS6_8equal_toIjEEEE10hipError_tPvRmT2_T3_mT4_T5_T6_T7_T8_P12ihipStream_tbENKUlT_T0_E_clISt17integral_constantIbLb0EES16_EEDaS11_S12_EUlS11_E_NS1_11comp_targetILNS1_3genE10ELNS1_11target_archE1200ELNS1_3gpuE4ELNS1_3repE0EEENS1_30default_config_static_selectorELNS0_4arch9wavefront6targetE1EEEvT1_: ; @_ZN7rocprim17ROCPRIM_400000_NS6detail17trampoline_kernelINS0_14default_configENS1_29reduce_by_key_config_selectorIjiN6thrust23THRUST_200600_302600_NS4plusIiEEEEZZNS1_33reduce_by_key_impl_wrapped_configILNS1_25lookback_scan_determinismE0ES3_S9_NS6_6detail15normal_iteratorINS6_10device_ptrIjEEEENSD_INSE_IiEEEENS6_16discard_iteratorINS6_11use_defaultEEESI_PmS8_NS6_8equal_toIjEEEE10hipError_tPvRmT2_T3_mT4_T5_T6_T7_T8_P12ihipStream_tbENKUlT_T0_E_clISt17integral_constantIbLb0EES16_EEDaS11_S12_EUlS11_E_NS1_11comp_targetILNS1_3genE10ELNS1_11target_archE1200ELNS1_3gpuE4ELNS1_3repE0EEENS1_30default_config_static_selectorELNS0_4arch9wavefront6targetE1EEEvT1_
; %bb.0:
	.section	.rodata,"a",@progbits
	.p2align	6, 0x0
	.amdhsa_kernel _ZN7rocprim17ROCPRIM_400000_NS6detail17trampoline_kernelINS0_14default_configENS1_29reduce_by_key_config_selectorIjiN6thrust23THRUST_200600_302600_NS4plusIiEEEEZZNS1_33reduce_by_key_impl_wrapped_configILNS1_25lookback_scan_determinismE0ES3_S9_NS6_6detail15normal_iteratorINS6_10device_ptrIjEEEENSD_INSE_IiEEEENS6_16discard_iteratorINS6_11use_defaultEEESI_PmS8_NS6_8equal_toIjEEEE10hipError_tPvRmT2_T3_mT4_T5_T6_T7_T8_P12ihipStream_tbENKUlT_T0_E_clISt17integral_constantIbLb0EES16_EEDaS11_S12_EUlS11_E_NS1_11comp_targetILNS1_3genE10ELNS1_11target_archE1200ELNS1_3gpuE4ELNS1_3repE0EEENS1_30default_config_static_selectorELNS0_4arch9wavefront6targetE1EEEvT1_
		.amdhsa_group_segment_fixed_size 0
		.amdhsa_private_segment_fixed_size 0
		.amdhsa_kernarg_size 128
		.amdhsa_user_sgpr_count 6
		.amdhsa_user_sgpr_private_segment_buffer 1
		.amdhsa_user_sgpr_dispatch_ptr 0
		.amdhsa_user_sgpr_queue_ptr 0
		.amdhsa_user_sgpr_kernarg_segment_ptr 1
		.amdhsa_user_sgpr_dispatch_id 0
		.amdhsa_user_sgpr_flat_scratch_init 0
		.amdhsa_user_sgpr_kernarg_preload_length 0
		.amdhsa_user_sgpr_kernarg_preload_offset 0
		.amdhsa_user_sgpr_private_segment_size 0
		.amdhsa_uses_dynamic_stack 0
		.amdhsa_system_sgpr_private_segment_wavefront_offset 0
		.amdhsa_system_sgpr_workgroup_id_x 1
		.amdhsa_system_sgpr_workgroup_id_y 0
		.amdhsa_system_sgpr_workgroup_id_z 0
		.amdhsa_system_sgpr_workgroup_info 0
		.amdhsa_system_vgpr_workitem_id 0
		.amdhsa_next_free_vgpr 1
		.amdhsa_next_free_sgpr 0
		.amdhsa_accum_offset 4
		.amdhsa_reserve_vcc 0
		.amdhsa_reserve_flat_scratch 0
		.amdhsa_float_round_mode_32 0
		.amdhsa_float_round_mode_16_64 0
		.amdhsa_float_denorm_mode_32 3
		.amdhsa_float_denorm_mode_16_64 3
		.amdhsa_dx10_clamp 1
		.amdhsa_ieee_mode 1
		.amdhsa_fp16_overflow 0
		.amdhsa_tg_split 0
		.amdhsa_exception_fp_ieee_invalid_op 0
		.amdhsa_exception_fp_denorm_src 0
		.amdhsa_exception_fp_ieee_div_zero 0
		.amdhsa_exception_fp_ieee_overflow 0
		.amdhsa_exception_fp_ieee_underflow 0
		.amdhsa_exception_fp_ieee_inexact 0
		.amdhsa_exception_int_div_zero 0
	.end_amdhsa_kernel
	.section	.text._ZN7rocprim17ROCPRIM_400000_NS6detail17trampoline_kernelINS0_14default_configENS1_29reduce_by_key_config_selectorIjiN6thrust23THRUST_200600_302600_NS4plusIiEEEEZZNS1_33reduce_by_key_impl_wrapped_configILNS1_25lookback_scan_determinismE0ES3_S9_NS6_6detail15normal_iteratorINS6_10device_ptrIjEEEENSD_INSE_IiEEEENS6_16discard_iteratorINS6_11use_defaultEEESI_PmS8_NS6_8equal_toIjEEEE10hipError_tPvRmT2_T3_mT4_T5_T6_T7_T8_P12ihipStream_tbENKUlT_T0_E_clISt17integral_constantIbLb0EES16_EEDaS11_S12_EUlS11_E_NS1_11comp_targetILNS1_3genE10ELNS1_11target_archE1200ELNS1_3gpuE4ELNS1_3repE0EEENS1_30default_config_static_selectorELNS0_4arch9wavefront6targetE1EEEvT1_,"axG",@progbits,_ZN7rocprim17ROCPRIM_400000_NS6detail17trampoline_kernelINS0_14default_configENS1_29reduce_by_key_config_selectorIjiN6thrust23THRUST_200600_302600_NS4plusIiEEEEZZNS1_33reduce_by_key_impl_wrapped_configILNS1_25lookback_scan_determinismE0ES3_S9_NS6_6detail15normal_iteratorINS6_10device_ptrIjEEEENSD_INSE_IiEEEENS6_16discard_iteratorINS6_11use_defaultEEESI_PmS8_NS6_8equal_toIjEEEE10hipError_tPvRmT2_T3_mT4_T5_T6_T7_T8_P12ihipStream_tbENKUlT_T0_E_clISt17integral_constantIbLb0EES16_EEDaS11_S12_EUlS11_E_NS1_11comp_targetILNS1_3genE10ELNS1_11target_archE1200ELNS1_3gpuE4ELNS1_3repE0EEENS1_30default_config_static_selectorELNS0_4arch9wavefront6targetE1EEEvT1_,comdat
.Lfunc_end1027:
	.size	_ZN7rocprim17ROCPRIM_400000_NS6detail17trampoline_kernelINS0_14default_configENS1_29reduce_by_key_config_selectorIjiN6thrust23THRUST_200600_302600_NS4plusIiEEEEZZNS1_33reduce_by_key_impl_wrapped_configILNS1_25lookback_scan_determinismE0ES3_S9_NS6_6detail15normal_iteratorINS6_10device_ptrIjEEEENSD_INSE_IiEEEENS6_16discard_iteratorINS6_11use_defaultEEESI_PmS8_NS6_8equal_toIjEEEE10hipError_tPvRmT2_T3_mT4_T5_T6_T7_T8_P12ihipStream_tbENKUlT_T0_E_clISt17integral_constantIbLb0EES16_EEDaS11_S12_EUlS11_E_NS1_11comp_targetILNS1_3genE10ELNS1_11target_archE1200ELNS1_3gpuE4ELNS1_3repE0EEENS1_30default_config_static_selectorELNS0_4arch9wavefront6targetE1EEEvT1_, .Lfunc_end1027-_ZN7rocprim17ROCPRIM_400000_NS6detail17trampoline_kernelINS0_14default_configENS1_29reduce_by_key_config_selectorIjiN6thrust23THRUST_200600_302600_NS4plusIiEEEEZZNS1_33reduce_by_key_impl_wrapped_configILNS1_25lookback_scan_determinismE0ES3_S9_NS6_6detail15normal_iteratorINS6_10device_ptrIjEEEENSD_INSE_IiEEEENS6_16discard_iteratorINS6_11use_defaultEEESI_PmS8_NS6_8equal_toIjEEEE10hipError_tPvRmT2_T3_mT4_T5_T6_T7_T8_P12ihipStream_tbENKUlT_T0_E_clISt17integral_constantIbLb0EES16_EEDaS11_S12_EUlS11_E_NS1_11comp_targetILNS1_3genE10ELNS1_11target_archE1200ELNS1_3gpuE4ELNS1_3repE0EEENS1_30default_config_static_selectorELNS0_4arch9wavefront6targetE1EEEvT1_
                                        ; -- End function
	.section	.AMDGPU.csdata,"",@progbits
; Kernel info:
; codeLenInByte = 0
; NumSgprs: 4
; NumVgprs: 0
; NumAgprs: 0
; TotalNumVgprs: 0
; ScratchSize: 0
; MemoryBound: 0
; FloatMode: 240
; IeeeMode: 1
; LDSByteSize: 0 bytes/workgroup (compile time only)
; SGPRBlocks: 0
; VGPRBlocks: 0
; NumSGPRsForWavesPerEU: 4
; NumVGPRsForWavesPerEU: 1
; AccumOffset: 4
; Occupancy: 8
; WaveLimiterHint : 0
; COMPUTE_PGM_RSRC2:SCRATCH_EN: 0
; COMPUTE_PGM_RSRC2:USER_SGPR: 6
; COMPUTE_PGM_RSRC2:TRAP_HANDLER: 0
; COMPUTE_PGM_RSRC2:TGID_X_EN: 1
; COMPUTE_PGM_RSRC2:TGID_Y_EN: 0
; COMPUTE_PGM_RSRC2:TGID_Z_EN: 0
; COMPUTE_PGM_RSRC2:TIDIG_COMP_CNT: 0
; COMPUTE_PGM_RSRC3_GFX90A:ACCUM_OFFSET: 0
; COMPUTE_PGM_RSRC3_GFX90A:TG_SPLIT: 0
	.section	.text._ZN7rocprim17ROCPRIM_400000_NS6detail17trampoline_kernelINS0_14default_configENS1_29reduce_by_key_config_selectorIjiN6thrust23THRUST_200600_302600_NS4plusIiEEEEZZNS1_33reduce_by_key_impl_wrapped_configILNS1_25lookback_scan_determinismE0ES3_S9_NS6_6detail15normal_iteratorINS6_10device_ptrIjEEEENSD_INSE_IiEEEENS6_16discard_iteratorINS6_11use_defaultEEESI_PmS8_NS6_8equal_toIjEEEE10hipError_tPvRmT2_T3_mT4_T5_T6_T7_T8_P12ihipStream_tbENKUlT_T0_E_clISt17integral_constantIbLb0EES16_EEDaS11_S12_EUlS11_E_NS1_11comp_targetILNS1_3genE9ELNS1_11target_archE1100ELNS1_3gpuE3ELNS1_3repE0EEENS1_30default_config_static_selectorELNS0_4arch9wavefront6targetE1EEEvT1_,"axG",@progbits,_ZN7rocprim17ROCPRIM_400000_NS6detail17trampoline_kernelINS0_14default_configENS1_29reduce_by_key_config_selectorIjiN6thrust23THRUST_200600_302600_NS4plusIiEEEEZZNS1_33reduce_by_key_impl_wrapped_configILNS1_25lookback_scan_determinismE0ES3_S9_NS6_6detail15normal_iteratorINS6_10device_ptrIjEEEENSD_INSE_IiEEEENS6_16discard_iteratorINS6_11use_defaultEEESI_PmS8_NS6_8equal_toIjEEEE10hipError_tPvRmT2_T3_mT4_T5_T6_T7_T8_P12ihipStream_tbENKUlT_T0_E_clISt17integral_constantIbLb0EES16_EEDaS11_S12_EUlS11_E_NS1_11comp_targetILNS1_3genE9ELNS1_11target_archE1100ELNS1_3gpuE3ELNS1_3repE0EEENS1_30default_config_static_selectorELNS0_4arch9wavefront6targetE1EEEvT1_,comdat
	.protected	_ZN7rocprim17ROCPRIM_400000_NS6detail17trampoline_kernelINS0_14default_configENS1_29reduce_by_key_config_selectorIjiN6thrust23THRUST_200600_302600_NS4plusIiEEEEZZNS1_33reduce_by_key_impl_wrapped_configILNS1_25lookback_scan_determinismE0ES3_S9_NS6_6detail15normal_iteratorINS6_10device_ptrIjEEEENSD_INSE_IiEEEENS6_16discard_iteratorINS6_11use_defaultEEESI_PmS8_NS6_8equal_toIjEEEE10hipError_tPvRmT2_T3_mT4_T5_T6_T7_T8_P12ihipStream_tbENKUlT_T0_E_clISt17integral_constantIbLb0EES16_EEDaS11_S12_EUlS11_E_NS1_11comp_targetILNS1_3genE9ELNS1_11target_archE1100ELNS1_3gpuE3ELNS1_3repE0EEENS1_30default_config_static_selectorELNS0_4arch9wavefront6targetE1EEEvT1_ ; -- Begin function _ZN7rocprim17ROCPRIM_400000_NS6detail17trampoline_kernelINS0_14default_configENS1_29reduce_by_key_config_selectorIjiN6thrust23THRUST_200600_302600_NS4plusIiEEEEZZNS1_33reduce_by_key_impl_wrapped_configILNS1_25lookback_scan_determinismE0ES3_S9_NS6_6detail15normal_iteratorINS6_10device_ptrIjEEEENSD_INSE_IiEEEENS6_16discard_iteratorINS6_11use_defaultEEESI_PmS8_NS6_8equal_toIjEEEE10hipError_tPvRmT2_T3_mT4_T5_T6_T7_T8_P12ihipStream_tbENKUlT_T0_E_clISt17integral_constantIbLb0EES16_EEDaS11_S12_EUlS11_E_NS1_11comp_targetILNS1_3genE9ELNS1_11target_archE1100ELNS1_3gpuE3ELNS1_3repE0EEENS1_30default_config_static_selectorELNS0_4arch9wavefront6targetE1EEEvT1_
	.globl	_ZN7rocprim17ROCPRIM_400000_NS6detail17trampoline_kernelINS0_14default_configENS1_29reduce_by_key_config_selectorIjiN6thrust23THRUST_200600_302600_NS4plusIiEEEEZZNS1_33reduce_by_key_impl_wrapped_configILNS1_25lookback_scan_determinismE0ES3_S9_NS6_6detail15normal_iteratorINS6_10device_ptrIjEEEENSD_INSE_IiEEEENS6_16discard_iteratorINS6_11use_defaultEEESI_PmS8_NS6_8equal_toIjEEEE10hipError_tPvRmT2_T3_mT4_T5_T6_T7_T8_P12ihipStream_tbENKUlT_T0_E_clISt17integral_constantIbLb0EES16_EEDaS11_S12_EUlS11_E_NS1_11comp_targetILNS1_3genE9ELNS1_11target_archE1100ELNS1_3gpuE3ELNS1_3repE0EEENS1_30default_config_static_selectorELNS0_4arch9wavefront6targetE1EEEvT1_
	.p2align	8
	.type	_ZN7rocprim17ROCPRIM_400000_NS6detail17trampoline_kernelINS0_14default_configENS1_29reduce_by_key_config_selectorIjiN6thrust23THRUST_200600_302600_NS4plusIiEEEEZZNS1_33reduce_by_key_impl_wrapped_configILNS1_25lookback_scan_determinismE0ES3_S9_NS6_6detail15normal_iteratorINS6_10device_ptrIjEEEENSD_INSE_IiEEEENS6_16discard_iteratorINS6_11use_defaultEEESI_PmS8_NS6_8equal_toIjEEEE10hipError_tPvRmT2_T3_mT4_T5_T6_T7_T8_P12ihipStream_tbENKUlT_T0_E_clISt17integral_constantIbLb0EES16_EEDaS11_S12_EUlS11_E_NS1_11comp_targetILNS1_3genE9ELNS1_11target_archE1100ELNS1_3gpuE3ELNS1_3repE0EEENS1_30default_config_static_selectorELNS0_4arch9wavefront6targetE1EEEvT1_,@function
_ZN7rocprim17ROCPRIM_400000_NS6detail17trampoline_kernelINS0_14default_configENS1_29reduce_by_key_config_selectorIjiN6thrust23THRUST_200600_302600_NS4plusIiEEEEZZNS1_33reduce_by_key_impl_wrapped_configILNS1_25lookback_scan_determinismE0ES3_S9_NS6_6detail15normal_iteratorINS6_10device_ptrIjEEEENSD_INSE_IiEEEENS6_16discard_iteratorINS6_11use_defaultEEESI_PmS8_NS6_8equal_toIjEEEE10hipError_tPvRmT2_T3_mT4_T5_T6_T7_T8_P12ihipStream_tbENKUlT_T0_E_clISt17integral_constantIbLb0EES16_EEDaS11_S12_EUlS11_E_NS1_11comp_targetILNS1_3genE9ELNS1_11target_archE1100ELNS1_3gpuE3ELNS1_3repE0EEENS1_30default_config_static_selectorELNS0_4arch9wavefront6targetE1EEEvT1_: ; @_ZN7rocprim17ROCPRIM_400000_NS6detail17trampoline_kernelINS0_14default_configENS1_29reduce_by_key_config_selectorIjiN6thrust23THRUST_200600_302600_NS4plusIiEEEEZZNS1_33reduce_by_key_impl_wrapped_configILNS1_25lookback_scan_determinismE0ES3_S9_NS6_6detail15normal_iteratorINS6_10device_ptrIjEEEENSD_INSE_IiEEEENS6_16discard_iteratorINS6_11use_defaultEEESI_PmS8_NS6_8equal_toIjEEEE10hipError_tPvRmT2_T3_mT4_T5_T6_T7_T8_P12ihipStream_tbENKUlT_T0_E_clISt17integral_constantIbLb0EES16_EEDaS11_S12_EUlS11_E_NS1_11comp_targetILNS1_3genE9ELNS1_11target_archE1100ELNS1_3gpuE3ELNS1_3repE0EEENS1_30default_config_static_selectorELNS0_4arch9wavefront6targetE1EEEvT1_
; %bb.0:
	.section	.rodata,"a",@progbits
	.p2align	6, 0x0
	.amdhsa_kernel _ZN7rocprim17ROCPRIM_400000_NS6detail17trampoline_kernelINS0_14default_configENS1_29reduce_by_key_config_selectorIjiN6thrust23THRUST_200600_302600_NS4plusIiEEEEZZNS1_33reduce_by_key_impl_wrapped_configILNS1_25lookback_scan_determinismE0ES3_S9_NS6_6detail15normal_iteratorINS6_10device_ptrIjEEEENSD_INSE_IiEEEENS6_16discard_iteratorINS6_11use_defaultEEESI_PmS8_NS6_8equal_toIjEEEE10hipError_tPvRmT2_T3_mT4_T5_T6_T7_T8_P12ihipStream_tbENKUlT_T0_E_clISt17integral_constantIbLb0EES16_EEDaS11_S12_EUlS11_E_NS1_11comp_targetILNS1_3genE9ELNS1_11target_archE1100ELNS1_3gpuE3ELNS1_3repE0EEENS1_30default_config_static_selectorELNS0_4arch9wavefront6targetE1EEEvT1_
		.amdhsa_group_segment_fixed_size 0
		.amdhsa_private_segment_fixed_size 0
		.amdhsa_kernarg_size 128
		.amdhsa_user_sgpr_count 6
		.amdhsa_user_sgpr_private_segment_buffer 1
		.amdhsa_user_sgpr_dispatch_ptr 0
		.amdhsa_user_sgpr_queue_ptr 0
		.amdhsa_user_sgpr_kernarg_segment_ptr 1
		.amdhsa_user_sgpr_dispatch_id 0
		.amdhsa_user_sgpr_flat_scratch_init 0
		.amdhsa_user_sgpr_kernarg_preload_length 0
		.amdhsa_user_sgpr_kernarg_preload_offset 0
		.amdhsa_user_sgpr_private_segment_size 0
		.amdhsa_uses_dynamic_stack 0
		.amdhsa_system_sgpr_private_segment_wavefront_offset 0
		.amdhsa_system_sgpr_workgroup_id_x 1
		.amdhsa_system_sgpr_workgroup_id_y 0
		.amdhsa_system_sgpr_workgroup_id_z 0
		.amdhsa_system_sgpr_workgroup_info 0
		.amdhsa_system_vgpr_workitem_id 0
		.amdhsa_next_free_vgpr 1
		.amdhsa_next_free_sgpr 0
		.amdhsa_accum_offset 4
		.amdhsa_reserve_vcc 0
		.amdhsa_reserve_flat_scratch 0
		.amdhsa_float_round_mode_32 0
		.amdhsa_float_round_mode_16_64 0
		.amdhsa_float_denorm_mode_32 3
		.amdhsa_float_denorm_mode_16_64 3
		.amdhsa_dx10_clamp 1
		.amdhsa_ieee_mode 1
		.amdhsa_fp16_overflow 0
		.amdhsa_tg_split 0
		.amdhsa_exception_fp_ieee_invalid_op 0
		.amdhsa_exception_fp_denorm_src 0
		.amdhsa_exception_fp_ieee_div_zero 0
		.amdhsa_exception_fp_ieee_overflow 0
		.amdhsa_exception_fp_ieee_underflow 0
		.amdhsa_exception_fp_ieee_inexact 0
		.amdhsa_exception_int_div_zero 0
	.end_amdhsa_kernel
	.section	.text._ZN7rocprim17ROCPRIM_400000_NS6detail17trampoline_kernelINS0_14default_configENS1_29reduce_by_key_config_selectorIjiN6thrust23THRUST_200600_302600_NS4plusIiEEEEZZNS1_33reduce_by_key_impl_wrapped_configILNS1_25lookback_scan_determinismE0ES3_S9_NS6_6detail15normal_iteratorINS6_10device_ptrIjEEEENSD_INSE_IiEEEENS6_16discard_iteratorINS6_11use_defaultEEESI_PmS8_NS6_8equal_toIjEEEE10hipError_tPvRmT2_T3_mT4_T5_T6_T7_T8_P12ihipStream_tbENKUlT_T0_E_clISt17integral_constantIbLb0EES16_EEDaS11_S12_EUlS11_E_NS1_11comp_targetILNS1_3genE9ELNS1_11target_archE1100ELNS1_3gpuE3ELNS1_3repE0EEENS1_30default_config_static_selectorELNS0_4arch9wavefront6targetE1EEEvT1_,"axG",@progbits,_ZN7rocprim17ROCPRIM_400000_NS6detail17trampoline_kernelINS0_14default_configENS1_29reduce_by_key_config_selectorIjiN6thrust23THRUST_200600_302600_NS4plusIiEEEEZZNS1_33reduce_by_key_impl_wrapped_configILNS1_25lookback_scan_determinismE0ES3_S9_NS6_6detail15normal_iteratorINS6_10device_ptrIjEEEENSD_INSE_IiEEEENS6_16discard_iteratorINS6_11use_defaultEEESI_PmS8_NS6_8equal_toIjEEEE10hipError_tPvRmT2_T3_mT4_T5_T6_T7_T8_P12ihipStream_tbENKUlT_T0_E_clISt17integral_constantIbLb0EES16_EEDaS11_S12_EUlS11_E_NS1_11comp_targetILNS1_3genE9ELNS1_11target_archE1100ELNS1_3gpuE3ELNS1_3repE0EEENS1_30default_config_static_selectorELNS0_4arch9wavefront6targetE1EEEvT1_,comdat
.Lfunc_end1028:
	.size	_ZN7rocprim17ROCPRIM_400000_NS6detail17trampoline_kernelINS0_14default_configENS1_29reduce_by_key_config_selectorIjiN6thrust23THRUST_200600_302600_NS4plusIiEEEEZZNS1_33reduce_by_key_impl_wrapped_configILNS1_25lookback_scan_determinismE0ES3_S9_NS6_6detail15normal_iteratorINS6_10device_ptrIjEEEENSD_INSE_IiEEEENS6_16discard_iteratorINS6_11use_defaultEEESI_PmS8_NS6_8equal_toIjEEEE10hipError_tPvRmT2_T3_mT4_T5_T6_T7_T8_P12ihipStream_tbENKUlT_T0_E_clISt17integral_constantIbLb0EES16_EEDaS11_S12_EUlS11_E_NS1_11comp_targetILNS1_3genE9ELNS1_11target_archE1100ELNS1_3gpuE3ELNS1_3repE0EEENS1_30default_config_static_selectorELNS0_4arch9wavefront6targetE1EEEvT1_, .Lfunc_end1028-_ZN7rocprim17ROCPRIM_400000_NS6detail17trampoline_kernelINS0_14default_configENS1_29reduce_by_key_config_selectorIjiN6thrust23THRUST_200600_302600_NS4plusIiEEEEZZNS1_33reduce_by_key_impl_wrapped_configILNS1_25lookback_scan_determinismE0ES3_S9_NS6_6detail15normal_iteratorINS6_10device_ptrIjEEEENSD_INSE_IiEEEENS6_16discard_iteratorINS6_11use_defaultEEESI_PmS8_NS6_8equal_toIjEEEE10hipError_tPvRmT2_T3_mT4_T5_T6_T7_T8_P12ihipStream_tbENKUlT_T0_E_clISt17integral_constantIbLb0EES16_EEDaS11_S12_EUlS11_E_NS1_11comp_targetILNS1_3genE9ELNS1_11target_archE1100ELNS1_3gpuE3ELNS1_3repE0EEENS1_30default_config_static_selectorELNS0_4arch9wavefront6targetE1EEEvT1_
                                        ; -- End function
	.section	.AMDGPU.csdata,"",@progbits
; Kernel info:
; codeLenInByte = 0
; NumSgprs: 4
; NumVgprs: 0
; NumAgprs: 0
; TotalNumVgprs: 0
; ScratchSize: 0
; MemoryBound: 0
; FloatMode: 240
; IeeeMode: 1
; LDSByteSize: 0 bytes/workgroup (compile time only)
; SGPRBlocks: 0
; VGPRBlocks: 0
; NumSGPRsForWavesPerEU: 4
; NumVGPRsForWavesPerEU: 1
; AccumOffset: 4
; Occupancy: 8
; WaveLimiterHint : 0
; COMPUTE_PGM_RSRC2:SCRATCH_EN: 0
; COMPUTE_PGM_RSRC2:USER_SGPR: 6
; COMPUTE_PGM_RSRC2:TRAP_HANDLER: 0
; COMPUTE_PGM_RSRC2:TGID_X_EN: 1
; COMPUTE_PGM_RSRC2:TGID_Y_EN: 0
; COMPUTE_PGM_RSRC2:TGID_Z_EN: 0
; COMPUTE_PGM_RSRC2:TIDIG_COMP_CNT: 0
; COMPUTE_PGM_RSRC3_GFX90A:ACCUM_OFFSET: 0
; COMPUTE_PGM_RSRC3_GFX90A:TG_SPLIT: 0
	.section	.text._ZN7rocprim17ROCPRIM_400000_NS6detail17trampoline_kernelINS0_14default_configENS1_29reduce_by_key_config_selectorIjiN6thrust23THRUST_200600_302600_NS4plusIiEEEEZZNS1_33reduce_by_key_impl_wrapped_configILNS1_25lookback_scan_determinismE0ES3_S9_NS6_6detail15normal_iteratorINS6_10device_ptrIjEEEENSD_INSE_IiEEEENS6_16discard_iteratorINS6_11use_defaultEEESI_PmS8_NS6_8equal_toIjEEEE10hipError_tPvRmT2_T3_mT4_T5_T6_T7_T8_P12ihipStream_tbENKUlT_T0_E_clISt17integral_constantIbLb0EES16_EEDaS11_S12_EUlS11_E_NS1_11comp_targetILNS1_3genE8ELNS1_11target_archE1030ELNS1_3gpuE2ELNS1_3repE0EEENS1_30default_config_static_selectorELNS0_4arch9wavefront6targetE1EEEvT1_,"axG",@progbits,_ZN7rocprim17ROCPRIM_400000_NS6detail17trampoline_kernelINS0_14default_configENS1_29reduce_by_key_config_selectorIjiN6thrust23THRUST_200600_302600_NS4plusIiEEEEZZNS1_33reduce_by_key_impl_wrapped_configILNS1_25lookback_scan_determinismE0ES3_S9_NS6_6detail15normal_iteratorINS6_10device_ptrIjEEEENSD_INSE_IiEEEENS6_16discard_iteratorINS6_11use_defaultEEESI_PmS8_NS6_8equal_toIjEEEE10hipError_tPvRmT2_T3_mT4_T5_T6_T7_T8_P12ihipStream_tbENKUlT_T0_E_clISt17integral_constantIbLb0EES16_EEDaS11_S12_EUlS11_E_NS1_11comp_targetILNS1_3genE8ELNS1_11target_archE1030ELNS1_3gpuE2ELNS1_3repE0EEENS1_30default_config_static_selectorELNS0_4arch9wavefront6targetE1EEEvT1_,comdat
	.protected	_ZN7rocprim17ROCPRIM_400000_NS6detail17trampoline_kernelINS0_14default_configENS1_29reduce_by_key_config_selectorIjiN6thrust23THRUST_200600_302600_NS4plusIiEEEEZZNS1_33reduce_by_key_impl_wrapped_configILNS1_25lookback_scan_determinismE0ES3_S9_NS6_6detail15normal_iteratorINS6_10device_ptrIjEEEENSD_INSE_IiEEEENS6_16discard_iteratorINS6_11use_defaultEEESI_PmS8_NS6_8equal_toIjEEEE10hipError_tPvRmT2_T3_mT4_T5_T6_T7_T8_P12ihipStream_tbENKUlT_T0_E_clISt17integral_constantIbLb0EES16_EEDaS11_S12_EUlS11_E_NS1_11comp_targetILNS1_3genE8ELNS1_11target_archE1030ELNS1_3gpuE2ELNS1_3repE0EEENS1_30default_config_static_selectorELNS0_4arch9wavefront6targetE1EEEvT1_ ; -- Begin function _ZN7rocprim17ROCPRIM_400000_NS6detail17trampoline_kernelINS0_14default_configENS1_29reduce_by_key_config_selectorIjiN6thrust23THRUST_200600_302600_NS4plusIiEEEEZZNS1_33reduce_by_key_impl_wrapped_configILNS1_25lookback_scan_determinismE0ES3_S9_NS6_6detail15normal_iteratorINS6_10device_ptrIjEEEENSD_INSE_IiEEEENS6_16discard_iteratorINS6_11use_defaultEEESI_PmS8_NS6_8equal_toIjEEEE10hipError_tPvRmT2_T3_mT4_T5_T6_T7_T8_P12ihipStream_tbENKUlT_T0_E_clISt17integral_constantIbLb0EES16_EEDaS11_S12_EUlS11_E_NS1_11comp_targetILNS1_3genE8ELNS1_11target_archE1030ELNS1_3gpuE2ELNS1_3repE0EEENS1_30default_config_static_selectorELNS0_4arch9wavefront6targetE1EEEvT1_
	.globl	_ZN7rocprim17ROCPRIM_400000_NS6detail17trampoline_kernelINS0_14default_configENS1_29reduce_by_key_config_selectorIjiN6thrust23THRUST_200600_302600_NS4plusIiEEEEZZNS1_33reduce_by_key_impl_wrapped_configILNS1_25lookback_scan_determinismE0ES3_S9_NS6_6detail15normal_iteratorINS6_10device_ptrIjEEEENSD_INSE_IiEEEENS6_16discard_iteratorINS6_11use_defaultEEESI_PmS8_NS6_8equal_toIjEEEE10hipError_tPvRmT2_T3_mT4_T5_T6_T7_T8_P12ihipStream_tbENKUlT_T0_E_clISt17integral_constantIbLb0EES16_EEDaS11_S12_EUlS11_E_NS1_11comp_targetILNS1_3genE8ELNS1_11target_archE1030ELNS1_3gpuE2ELNS1_3repE0EEENS1_30default_config_static_selectorELNS0_4arch9wavefront6targetE1EEEvT1_
	.p2align	8
	.type	_ZN7rocprim17ROCPRIM_400000_NS6detail17trampoline_kernelINS0_14default_configENS1_29reduce_by_key_config_selectorIjiN6thrust23THRUST_200600_302600_NS4plusIiEEEEZZNS1_33reduce_by_key_impl_wrapped_configILNS1_25lookback_scan_determinismE0ES3_S9_NS6_6detail15normal_iteratorINS6_10device_ptrIjEEEENSD_INSE_IiEEEENS6_16discard_iteratorINS6_11use_defaultEEESI_PmS8_NS6_8equal_toIjEEEE10hipError_tPvRmT2_T3_mT4_T5_T6_T7_T8_P12ihipStream_tbENKUlT_T0_E_clISt17integral_constantIbLb0EES16_EEDaS11_S12_EUlS11_E_NS1_11comp_targetILNS1_3genE8ELNS1_11target_archE1030ELNS1_3gpuE2ELNS1_3repE0EEENS1_30default_config_static_selectorELNS0_4arch9wavefront6targetE1EEEvT1_,@function
_ZN7rocprim17ROCPRIM_400000_NS6detail17trampoline_kernelINS0_14default_configENS1_29reduce_by_key_config_selectorIjiN6thrust23THRUST_200600_302600_NS4plusIiEEEEZZNS1_33reduce_by_key_impl_wrapped_configILNS1_25lookback_scan_determinismE0ES3_S9_NS6_6detail15normal_iteratorINS6_10device_ptrIjEEEENSD_INSE_IiEEEENS6_16discard_iteratorINS6_11use_defaultEEESI_PmS8_NS6_8equal_toIjEEEE10hipError_tPvRmT2_T3_mT4_T5_T6_T7_T8_P12ihipStream_tbENKUlT_T0_E_clISt17integral_constantIbLb0EES16_EEDaS11_S12_EUlS11_E_NS1_11comp_targetILNS1_3genE8ELNS1_11target_archE1030ELNS1_3gpuE2ELNS1_3repE0EEENS1_30default_config_static_selectorELNS0_4arch9wavefront6targetE1EEEvT1_: ; @_ZN7rocprim17ROCPRIM_400000_NS6detail17trampoline_kernelINS0_14default_configENS1_29reduce_by_key_config_selectorIjiN6thrust23THRUST_200600_302600_NS4plusIiEEEEZZNS1_33reduce_by_key_impl_wrapped_configILNS1_25lookback_scan_determinismE0ES3_S9_NS6_6detail15normal_iteratorINS6_10device_ptrIjEEEENSD_INSE_IiEEEENS6_16discard_iteratorINS6_11use_defaultEEESI_PmS8_NS6_8equal_toIjEEEE10hipError_tPvRmT2_T3_mT4_T5_T6_T7_T8_P12ihipStream_tbENKUlT_T0_E_clISt17integral_constantIbLb0EES16_EEDaS11_S12_EUlS11_E_NS1_11comp_targetILNS1_3genE8ELNS1_11target_archE1030ELNS1_3gpuE2ELNS1_3repE0EEENS1_30default_config_static_selectorELNS0_4arch9wavefront6targetE1EEEvT1_
; %bb.0:
	.section	.rodata,"a",@progbits
	.p2align	6, 0x0
	.amdhsa_kernel _ZN7rocprim17ROCPRIM_400000_NS6detail17trampoline_kernelINS0_14default_configENS1_29reduce_by_key_config_selectorIjiN6thrust23THRUST_200600_302600_NS4plusIiEEEEZZNS1_33reduce_by_key_impl_wrapped_configILNS1_25lookback_scan_determinismE0ES3_S9_NS6_6detail15normal_iteratorINS6_10device_ptrIjEEEENSD_INSE_IiEEEENS6_16discard_iteratorINS6_11use_defaultEEESI_PmS8_NS6_8equal_toIjEEEE10hipError_tPvRmT2_T3_mT4_T5_T6_T7_T8_P12ihipStream_tbENKUlT_T0_E_clISt17integral_constantIbLb0EES16_EEDaS11_S12_EUlS11_E_NS1_11comp_targetILNS1_3genE8ELNS1_11target_archE1030ELNS1_3gpuE2ELNS1_3repE0EEENS1_30default_config_static_selectorELNS0_4arch9wavefront6targetE1EEEvT1_
		.amdhsa_group_segment_fixed_size 0
		.amdhsa_private_segment_fixed_size 0
		.amdhsa_kernarg_size 128
		.amdhsa_user_sgpr_count 6
		.amdhsa_user_sgpr_private_segment_buffer 1
		.amdhsa_user_sgpr_dispatch_ptr 0
		.amdhsa_user_sgpr_queue_ptr 0
		.amdhsa_user_sgpr_kernarg_segment_ptr 1
		.amdhsa_user_sgpr_dispatch_id 0
		.amdhsa_user_sgpr_flat_scratch_init 0
		.amdhsa_user_sgpr_kernarg_preload_length 0
		.amdhsa_user_sgpr_kernarg_preload_offset 0
		.amdhsa_user_sgpr_private_segment_size 0
		.amdhsa_uses_dynamic_stack 0
		.amdhsa_system_sgpr_private_segment_wavefront_offset 0
		.amdhsa_system_sgpr_workgroup_id_x 1
		.amdhsa_system_sgpr_workgroup_id_y 0
		.amdhsa_system_sgpr_workgroup_id_z 0
		.amdhsa_system_sgpr_workgroup_info 0
		.amdhsa_system_vgpr_workitem_id 0
		.amdhsa_next_free_vgpr 1
		.amdhsa_next_free_sgpr 0
		.amdhsa_accum_offset 4
		.amdhsa_reserve_vcc 0
		.amdhsa_reserve_flat_scratch 0
		.amdhsa_float_round_mode_32 0
		.amdhsa_float_round_mode_16_64 0
		.amdhsa_float_denorm_mode_32 3
		.amdhsa_float_denorm_mode_16_64 3
		.amdhsa_dx10_clamp 1
		.amdhsa_ieee_mode 1
		.amdhsa_fp16_overflow 0
		.amdhsa_tg_split 0
		.amdhsa_exception_fp_ieee_invalid_op 0
		.amdhsa_exception_fp_denorm_src 0
		.amdhsa_exception_fp_ieee_div_zero 0
		.amdhsa_exception_fp_ieee_overflow 0
		.amdhsa_exception_fp_ieee_underflow 0
		.amdhsa_exception_fp_ieee_inexact 0
		.amdhsa_exception_int_div_zero 0
	.end_amdhsa_kernel
	.section	.text._ZN7rocprim17ROCPRIM_400000_NS6detail17trampoline_kernelINS0_14default_configENS1_29reduce_by_key_config_selectorIjiN6thrust23THRUST_200600_302600_NS4plusIiEEEEZZNS1_33reduce_by_key_impl_wrapped_configILNS1_25lookback_scan_determinismE0ES3_S9_NS6_6detail15normal_iteratorINS6_10device_ptrIjEEEENSD_INSE_IiEEEENS6_16discard_iteratorINS6_11use_defaultEEESI_PmS8_NS6_8equal_toIjEEEE10hipError_tPvRmT2_T3_mT4_T5_T6_T7_T8_P12ihipStream_tbENKUlT_T0_E_clISt17integral_constantIbLb0EES16_EEDaS11_S12_EUlS11_E_NS1_11comp_targetILNS1_3genE8ELNS1_11target_archE1030ELNS1_3gpuE2ELNS1_3repE0EEENS1_30default_config_static_selectorELNS0_4arch9wavefront6targetE1EEEvT1_,"axG",@progbits,_ZN7rocprim17ROCPRIM_400000_NS6detail17trampoline_kernelINS0_14default_configENS1_29reduce_by_key_config_selectorIjiN6thrust23THRUST_200600_302600_NS4plusIiEEEEZZNS1_33reduce_by_key_impl_wrapped_configILNS1_25lookback_scan_determinismE0ES3_S9_NS6_6detail15normal_iteratorINS6_10device_ptrIjEEEENSD_INSE_IiEEEENS6_16discard_iteratorINS6_11use_defaultEEESI_PmS8_NS6_8equal_toIjEEEE10hipError_tPvRmT2_T3_mT4_T5_T6_T7_T8_P12ihipStream_tbENKUlT_T0_E_clISt17integral_constantIbLb0EES16_EEDaS11_S12_EUlS11_E_NS1_11comp_targetILNS1_3genE8ELNS1_11target_archE1030ELNS1_3gpuE2ELNS1_3repE0EEENS1_30default_config_static_selectorELNS0_4arch9wavefront6targetE1EEEvT1_,comdat
.Lfunc_end1029:
	.size	_ZN7rocprim17ROCPRIM_400000_NS6detail17trampoline_kernelINS0_14default_configENS1_29reduce_by_key_config_selectorIjiN6thrust23THRUST_200600_302600_NS4plusIiEEEEZZNS1_33reduce_by_key_impl_wrapped_configILNS1_25lookback_scan_determinismE0ES3_S9_NS6_6detail15normal_iteratorINS6_10device_ptrIjEEEENSD_INSE_IiEEEENS6_16discard_iteratorINS6_11use_defaultEEESI_PmS8_NS6_8equal_toIjEEEE10hipError_tPvRmT2_T3_mT4_T5_T6_T7_T8_P12ihipStream_tbENKUlT_T0_E_clISt17integral_constantIbLb0EES16_EEDaS11_S12_EUlS11_E_NS1_11comp_targetILNS1_3genE8ELNS1_11target_archE1030ELNS1_3gpuE2ELNS1_3repE0EEENS1_30default_config_static_selectorELNS0_4arch9wavefront6targetE1EEEvT1_, .Lfunc_end1029-_ZN7rocprim17ROCPRIM_400000_NS6detail17trampoline_kernelINS0_14default_configENS1_29reduce_by_key_config_selectorIjiN6thrust23THRUST_200600_302600_NS4plusIiEEEEZZNS1_33reduce_by_key_impl_wrapped_configILNS1_25lookback_scan_determinismE0ES3_S9_NS6_6detail15normal_iteratorINS6_10device_ptrIjEEEENSD_INSE_IiEEEENS6_16discard_iteratorINS6_11use_defaultEEESI_PmS8_NS6_8equal_toIjEEEE10hipError_tPvRmT2_T3_mT4_T5_T6_T7_T8_P12ihipStream_tbENKUlT_T0_E_clISt17integral_constantIbLb0EES16_EEDaS11_S12_EUlS11_E_NS1_11comp_targetILNS1_3genE8ELNS1_11target_archE1030ELNS1_3gpuE2ELNS1_3repE0EEENS1_30default_config_static_selectorELNS0_4arch9wavefront6targetE1EEEvT1_
                                        ; -- End function
	.section	.AMDGPU.csdata,"",@progbits
; Kernel info:
; codeLenInByte = 0
; NumSgprs: 4
; NumVgprs: 0
; NumAgprs: 0
; TotalNumVgprs: 0
; ScratchSize: 0
; MemoryBound: 0
; FloatMode: 240
; IeeeMode: 1
; LDSByteSize: 0 bytes/workgroup (compile time only)
; SGPRBlocks: 0
; VGPRBlocks: 0
; NumSGPRsForWavesPerEU: 4
; NumVGPRsForWavesPerEU: 1
; AccumOffset: 4
; Occupancy: 8
; WaveLimiterHint : 0
; COMPUTE_PGM_RSRC2:SCRATCH_EN: 0
; COMPUTE_PGM_RSRC2:USER_SGPR: 6
; COMPUTE_PGM_RSRC2:TRAP_HANDLER: 0
; COMPUTE_PGM_RSRC2:TGID_X_EN: 1
; COMPUTE_PGM_RSRC2:TGID_Y_EN: 0
; COMPUTE_PGM_RSRC2:TGID_Z_EN: 0
; COMPUTE_PGM_RSRC2:TIDIG_COMP_CNT: 0
; COMPUTE_PGM_RSRC3_GFX90A:ACCUM_OFFSET: 0
; COMPUTE_PGM_RSRC3_GFX90A:TG_SPLIT: 0
	.section	.text._ZN7rocprim17ROCPRIM_400000_NS6detail17trampoline_kernelINS0_14default_configENS1_29reduce_by_key_config_selectorIjiN6thrust23THRUST_200600_302600_NS4plusIiEEEEZZNS1_33reduce_by_key_impl_wrapped_configILNS1_25lookback_scan_determinismE0ES3_S9_NS6_6detail15normal_iteratorINS6_10device_ptrIjEEEENSD_INSE_IiEEEENS6_16discard_iteratorINS6_11use_defaultEEESI_PmS8_NS6_8equal_toIjEEEE10hipError_tPvRmT2_T3_mT4_T5_T6_T7_T8_P12ihipStream_tbENKUlT_T0_E_clISt17integral_constantIbLb1EES16_EEDaS11_S12_EUlS11_E_NS1_11comp_targetILNS1_3genE0ELNS1_11target_archE4294967295ELNS1_3gpuE0ELNS1_3repE0EEENS1_30default_config_static_selectorELNS0_4arch9wavefront6targetE1EEEvT1_,"axG",@progbits,_ZN7rocprim17ROCPRIM_400000_NS6detail17trampoline_kernelINS0_14default_configENS1_29reduce_by_key_config_selectorIjiN6thrust23THRUST_200600_302600_NS4plusIiEEEEZZNS1_33reduce_by_key_impl_wrapped_configILNS1_25lookback_scan_determinismE0ES3_S9_NS6_6detail15normal_iteratorINS6_10device_ptrIjEEEENSD_INSE_IiEEEENS6_16discard_iteratorINS6_11use_defaultEEESI_PmS8_NS6_8equal_toIjEEEE10hipError_tPvRmT2_T3_mT4_T5_T6_T7_T8_P12ihipStream_tbENKUlT_T0_E_clISt17integral_constantIbLb1EES16_EEDaS11_S12_EUlS11_E_NS1_11comp_targetILNS1_3genE0ELNS1_11target_archE4294967295ELNS1_3gpuE0ELNS1_3repE0EEENS1_30default_config_static_selectorELNS0_4arch9wavefront6targetE1EEEvT1_,comdat
	.protected	_ZN7rocprim17ROCPRIM_400000_NS6detail17trampoline_kernelINS0_14default_configENS1_29reduce_by_key_config_selectorIjiN6thrust23THRUST_200600_302600_NS4plusIiEEEEZZNS1_33reduce_by_key_impl_wrapped_configILNS1_25lookback_scan_determinismE0ES3_S9_NS6_6detail15normal_iteratorINS6_10device_ptrIjEEEENSD_INSE_IiEEEENS6_16discard_iteratorINS6_11use_defaultEEESI_PmS8_NS6_8equal_toIjEEEE10hipError_tPvRmT2_T3_mT4_T5_T6_T7_T8_P12ihipStream_tbENKUlT_T0_E_clISt17integral_constantIbLb1EES16_EEDaS11_S12_EUlS11_E_NS1_11comp_targetILNS1_3genE0ELNS1_11target_archE4294967295ELNS1_3gpuE0ELNS1_3repE0EEENS1_30default_config_static_selectorELNS0_4arch9wavefront6targetE1EEEvT1_ ; -- Begin function _ZN7rocprim17ROCPRIM_400000_NS6detail17trampoline_kernelINS0_14default_configENS1_29reduce_by_key_config_selectorIjiN6thrust23THRUST_200600_302600_NS4plusIiEEEEZZNS1_33reduce_by_key_impl_wrapped_configILNS1_25lookback_scan_determinismE0ES3_S9_NS6_6detail15normal_iteratorINS6_10device_ptrIjEEEENSD_INSE_IiEEEENS6_16discard_iteratorINS6_11use_defaultEEESI_PmS8_NS6_8equal_toIjEEEE10hipError_tPvRmT2_T3_mT4_T5_T6_T7_T8_P12ihipStream_tbENKUlT_T0_E_clISt17integral_constantIbLb1EES16_EEDaS11_S12_EUlS11_E_NS1_11comp_targetILNS1_3genE0ELNS1_11target_archE4294967295ELNS1_3gpuE0ELNS1_3repE0EEENS1_30default_config_static_selectorELNS0_4arch9wavefront6targetE1EEEvT1_
	.globl	_ZN7rocprim17ROCPRIM_400000_NS6detail17trampoline_kernelINS0_14default_configENS1_29reduce_by_key_config_selectorIjiN6thrust23THRUST_200600_302600_NS4plusIiEEEEZZNS1_33reduce_by_key_impl_wrapped_configILNS1_25lookback_scan_determinismE0ES3_S9_NS6_6detail15normal_iteratorINS6_10device_ptrIjEEEENSD_INSE_IiEEEENS6_16discard_iteratorINS6_11use_defaultEEESI_PmS8_NS6_8equal_toIjEEEE10hipError_tPvRmT2_T3_mT4_T5_T6_T7_T8_P12ihipStream_tbENKUlT_T0_E_clISt17integral_constantIbLb1EES16_EEDaS11_S12_EUlS11_E_NS1_11comp_targetILNS1_3genE0ELNS1_11target_archE4294967295ELNS1_3gpuE0ELNS1_3repE0EEENS1_30default_config_static_selectorELNS0_4arch9wavefront6targetE1EEEvT1_
	.p2align	8
	.type	_ZN7rocprim17ROCPRIM_400000_NS6detail17trampoline_kernelINS0_14default_configENS1_29reduce_by_key_config_selectorIjiN6thrust23THRUST_200600_302600_NS4plusIiEEEEZZNS1_33reduce_by_key_impl_wrapped_configILNS1_25lookback_scan_determinismE0ES3_S9_NS6_6detail15normal_iteratorINS6_10device_ptrIjEEEENSD_INSE_IiEEEENS6_16discard_iteratorINS6_11use_defaultEEESI_PmS8_NS6_8equal_toIjEEEE10hipError_tPvRmT2_T3_mT4_T5_T6_T7_T8_P12ihipStream_tbENKUlT_T0_E_clISt17integral_constantIbLb1EES16_EEDaS11_S12_EUlS11_E_NS1_11comp_targetILNS1_3genE0ELNS1_11target_archE4294967295ELNS1_3gpuE0ELNS1_3repE0EEENS1_30default_config_static_selectorELNS0_4arch9wavefront6targetE1EEEvT1_,@function
_ZN7rocprim17ROCPRIM_400000_NS6detail17trampoline_kernelINS0_14default_configENS1_29reduce_by_key_config_selectorIjiN6thrust23THRUST_200600_302600_NS4plusIiEEEEZZNS1_33reduce_by_key_impl_wrapped_configILNS1_25lookback_scan_determinismE0ES3_S9_NS6_6detail15normal_iteratorINS6_10device_ptrIjEEEENSD_INSE_IiEEEENS6_16discard_iteratorINS6_11use_defaultEEESI_PmS8_NS6_8equal_toIjEEEE10hipError_tPvRmT2_T3_mT4_T5_T6_T7_T8_P12ihipStream_tbENKUlT_T0_E_clISt17integral_constantIbLb1EES16_EEDaS11_S12_EUlS11_E_NS1_11comp_targetILNS1_3genE0ELNS1_11target_archE4294967295ELNS1_3gpuE0ELNS1_3repE0EEENS1_30default_config_static_selectorELNS0_4arch9wavefront6targetE1EEEvT1_: ; @_ZN7rocprim17ROCPRIM_400000_NS6detail17trampoline_kernelINS0_14default_configENS1_29reduce_by_key_config_selectorIjiN6thrust23THRUST_200600_302600_NS4plusIiEEEEZZNS1_33reduce_by_key_impl_wrapped_configILNS1_25lookback_scan_determinismE0ES3_S9_NS6_6detail15normal_iteratorINS6_10device_ptrIjEEEENSD_INSE_IiEEEENS6_16discard_iteratorINS6_11use_defaultEEESI_PmS8_NS6_8equal_toIjEEEE10hipError_tPvRmT2_T3_mT4_T5_T6_T7_T8_P12ihipStream_tbENKUlT_T0_E_clISt17integral_constantIbLb1EES16_EEDaS11_S12_EUlS11_E_NS1_11comp_targetILNS1_3genE0ELNS1_11target_archE4294967295ELNS1_3gpuE0ELNS1_3repE0EEENS1_30default_config_static_selectorELNS0_4arch9wavefront6targetE1EEEvT1_
; %bb.0:
	.section	.rodata,"a",@progbits
	.p2align	6, 0x0
	.amdhsa_kernel _ZN7rocprim17ROCPRIM_400000_NS6detail17trampoline_kernelINS0_14default_configENS1_29reduce_by_key_config_selectorIjiN6thrust23THRUST_200600_302600_NS4plusIiEEEEZZNS1_33reduce_by_key_impl_wrapped_configILNS1_25lookback_scan_determinismE0ES3_S9_NS6_6detail15normal_iteratorINS6_10device_ptrIjEEEENSD_INSE_IiEEEENS6_16discard_iteratorINS6_11use_defaultEEESI_PmS8_NS6_8equal_toIjEEEE10hipError_tPvRmT2_T3_mT4_T5_T6_T7_T8_P12ihipStream_tbENKUlT_T0_E_clISt17integral_constantIbLb1EES16_EEDaS11_S12_EUlS11_E_NS1_11comp_targetILNS1_3genE0ELNS1_11target_archE4294967295ELNS1_3gpuE0ELNS1_3repE0EEENS1_30default_config_static_selectorELNS0_4arch9wavefront6targetE1EEEvT1_
		.amdhsa_group_segment_fixed_size 0
		.amdhsa_private_segment_fixed_size 0
		.amdhsa_kernarg_size 128
		.amdhsa_user_sgpr_count 6
		.amdhsa_user_sgpr_private_segment_buffer 1
		.amdhsa_user_sgpr_dispatch_ptr 0
		.amdhsa_user_sgpr_queue_ptr 0
		.amdhsa_user_sgpr_kernarg_segment_ptr 1
		.amdhsa_user_sgpr_dispatch_id 0
		.amdhsa_user_sgpr_flat_scratch_init 0
		.amdhsa_user_sgpr_kernarg_preload_length 0
		.amdhsa_user_sgpr_kernarg_preload_offset 0
		.amdhsa_user_sgpr_private_segment_size 0
		.amdhsa_uses_dynamic_stack 0
		.amdhsa_system_sgpr_private_segment_wavefront_offset 0
		.amdhsa_system_sgpr_workgroup_id_x 1
		.amdhsa_system_sgpr_workgroup_id_y 0
		.amdhsa_system_sgpr_workgroup_id_z 0
		.amdhsa_system_sgpr_workgroup_info 0
		.amdhsa_system_vgpr_workitem_id 0
		.amdhsa_next_free_vgpr 1
		.amdhsa_next_free_sgpr 0
		.amdhsa_accum_offset 4
		.amdhsa_reserve_vcc 0
		.amdhsa_reserve_flat_scratch 0
		.amdhsa_float_round_mode_32 0
		.amdhsa_float_round_mode_16_64 0
		.amdhsa_float_denorm_mode_32 3
		.amdhsa_float_denorm_mode_16_64 3
		.amdhsa_dx10_clamp 1
		.amdhsa_ieee_mode 1
		.amdhsa_fp16_overflow 0
		.amdhsa_tg_split 0
		.amdhsa_exception_fp_ieee_invalid_op 0
		.amdhsa_exception_fp_denorm_src 0
		.amdhsa_exception_fp_ieee_div_zero 0
		.amdhsa_exception_fp_ieee_overflow 0
		.amdhsa_exception_fp_ieee_underflow 0
		.amdhsa_exception_fp_ieee_inexact 0
		.amdhsa_exception_int_div_zero 0
	.end_amdhsa_kernel
	.section	.text._ZN7rocprim17ROCPRIM_400000_NS6detail17trampoline_kernelINS0_14default_configENS1_29reduce_by_key_config_selectorIjiN6thrust23THRUST_200600_302600_NS4plusIiEEEEZZNS1_33reduce_by_key_impl_wrapped_configILNS1_25lookback_scan_determinismE0ES3_S9_NS6_6detail15normal_iteratorINS6_10device_ptrIjEEEENSD_INSE_IiEEEENS6_16discard_iteratorINS6_11use_defaultEEESI_PmS8_NS6_8equal_toIjEEEE10hipError_tPvRmT2_T3_mT4_T5_T6_T7_T8_P12ihipStream_tbENKUlT_T0_E_clISt17integral_constantIbLb1EES16_EEDaS11_S12_EUlS11_E_NS1_11comp_targetILNS1_3genE0ELNS1_11target_archE4294967295ELNS1_3gpuE0ELNS1_3repE0EEENS1_30default_config_static_selectorELNS0_4arch9wavefront6targetE1EEEvT1_,"axG",@progbits,_ZN7rocprim17ROCPRIM_400000_NS6detail17trampoline_kernelINS0_14default_configENS1_29reduce_by_key_config_selectorIjiN6thrust23THRUST_200600_302600_NS4plusIiEEEEZZNS1_33reduce_by_key_impl_wrapped_configILNS1_25lookback_scan_determinismE0ES3_S9_NS6_6detail15normal_iteratorINS6_10device_ptrIjEEEENSD_INSE_IiEEEENS6_16discard_iteratorINS6_11use_defaultEEESI_PmS8_NS6_8equal_toIjEEEE10hipError_tPvRmT2_T3_mT4_T5_T6_T7_T8_P12ihipStream_tbENKUlT_T0_E_clISt17integral_constantIbLb1EES16_EEDaS11_S12_EUlS11_E_NS1_11comp_targetILNS1_3genE0ELNS1_11target_archE4294967295ELNS1_3gpuE0ELNS1_3repE0EEENS1_30default_config_static_selectorELNS0_4arch9wavefront6targetE1EEEvT1_,comdat
.Lfunc_end1030:
	.size	_ZN7rocprim17ROCPRIM_400000_NS6detail17trampoline_kernelINS0_14default_configENS1_29reduce_by_key_config_selectorIjiN6thrust23THRUST_200600_302600_NS4plusIiEEEEZZNS1_33reduce_by_key_impl_wrapped_configILNS1_25lookback_scan_determinismE0ES3_S9_NS6_6detail15normal_iteratorINS6_10device_ptrIjEEEENSD_INSE_IiEEEENS6_16discard_iteratorINS6_11use_defaultEEESI_PmS8_NS6_8equal_toIjEEEE10hipError_tPvRmT2_T3_mT4_T5_T6_T7_T8_P12ihipStream_tbENKUlT_T0_E_clISt17integral_constantIbLb1EES16_EEDaS11_S12_EUlS11_E_NS1_11comp_targetILNS1_3genE0ELNS1_11target_archE4294967295ELNS1_3gpuE0ELNS1_3repE0EEENS1_30default_config_static_selectorELNS0_4arch9wavefront6targetE1EEEvT1_, .Lfunc_end1030-_ZN7rocprim17ROCPRIM_400000_NS6detail17trampoline_kernelINS0_14default_configENS1_29reduce_by_key_config_selectorIjiN6thrust23THRUST_200600_302600_NS4plusIiEEEEZZNS1_33reduce_by_key_impl_wrapped_configILNS1_25lookback_scan_determinismE0ES3_S9_NS6_6detail15normal_iteratorINS6_10device_ptrIjEEEENSD_INSE_IiEEEENS6_16discard_iteratorINS6_11use_defaultEEESI_PmS8_NS6_8equal_toIjEEEE10hipError_tPvRmT2_T3_mT4_T5_T6_T7_T8_P12ihipStream_tbENKUlT_T0_E_clISt17integral_constantIbLb1EES16_EEDaS11_S12_EUlS11_E_NS1_11comp_targetILNS1_3genE0ELNS1_11target_archE4294967295ELNS1_3gpuE0ELNS1_3repE0EEENS1_30default_config_static_selectorELNS0_4arch9wavefront6targetE1EEEvT1_
                                        ; -- End function
	.section	.AMDGPU.csdata,"",@progbits
; Kernel info:
; codeLenInByte = 0
; NumSgprs: 4
; NumVgprs: 0
; NumAgprs: 0
; TotalNumVgprs: 0
; ScratchSize: 0
; MemoryBound: 0
; FloatMode: 240
; IeeeMode: 1
; LDSByteSize: 0 bytes/workgroup (compile time only)
; SGPRBlocks: 0
; VGPRBlocks: 0
; NumSGPRsForWavesPerEU: 4
; NumVGPRsForWavesPerEU: 1
; AccumOffset: 4
; Occupancy: 8
; WaveLimiterHint : 0
; COMPUTE_PGM_RSRC2:SCRATCH_EN: 0
; COMPUTE_PGM_RSRC2:USER_SGPR: 6
; COMPUTE_PGM_RSRC2:TRAP_HANDLER: 0
; COMPUTE_PGM_RSRC2:TGID_X_EN: 1
; COMPUTE_PGM_RSRC2:TGID_Y_EN: 0
; COMPUTE_PGM_RSRC2:TGID_Z_EN: 0
; COMPUTE_PGM_RSRC2:TIDIG_COMP_CNT: 0
; COMPUTE_PGM_RSRC3_GFX90A:ACCUM_OFFSET: 0
; COMPUTE_PGM_RSRC3_GFX90A:TG_SPLIT: 0
	.section	.text._ZN7rocprim17ROCPRIM_400000_NS6detail17trampoline_kernelINS0_14default_configENS1_29reduce_by_key_config_selectorIjiN6thrust23THRUST_200600_302600_NS4plusIiEEEEZZNS1_33reduce_by_key_impl_wrapped_configILNS1_25lookback_scan_determinismE0ES3_S9_NS6_6detail15normal_iteratorINS6_10device_ptrIjEEEENSD_INSE_IiEEEENS6_16discard_iteratorINS6_11use_defaultEEESI_PmS8_NS6_8equal_toIjEEEE10hipError_tPvRmT2_T3_mT4_T5_T6_T7_T8_P12ihipStream_tbENKUlT_T0_E_clISt17integral_constantIbLb1EES16_EEDaS11_S12_EUlS11_E_NS1_11comp_targetILNS1_3genE5ELNS1_11target_archE942ELNS1_3gpuE9ELNS1_3repE0EEENS1_30default_config_static_selectorELNS0_4arch9wavefront6targetE1EEEvT1_,"axG",@progbits,_ZN7rocprim17ROCPRIM_400000_NS6detail17trampoline_kernelINS0_14default_configENS1_29reduce_by_key_config_selectorIjiN6thrust23THRUST_200600_302600_NS4plusIiEEEEZZNS1_33reduce_by_key_impl_wrapped_configILNS1_25lookback_scan_determinismE0ES3_S9_NS6_6detail15normal_iteratorINS6_10device_ptrIjEEEENSD_INSE_IiEEEENS6_16discard_iteratorINS6_11use_defaultEEESI_PmS8_NS6_8equal_toIjEEEE10hipError_tPvRmT2_T3_mT4_T5_T6_T7_T8_P12ihipStream_tbENKUlT_T0_E_clISt17integral_constantIbLb1EES16_EEDaS11_S12_EUlS11_E_NS1_11comp_targetILNS1_3genE5ELNS1_11target_archE942ELNS1_3gpuE9ELNS1_3repE0EEENS1_30default_config_static_selectorELNS0_4arch9wavefront6targetE1EEEvT1_,comdat
	.protected	_ZN7rocprim17ROCPRIM_400000_NS6detail17trampoline_kernelINS0_14default_configENS1_29reduce_by_key_config_selectorIjiN6thrust23THRUST_200600_302600_NS4plusIiEEEEZZNS1_33reduce_by_key_impl_wrapped_configILNS1_25lookback_scan_determinismE0ES3_S9_NS6_6detail15normal_iteratorINS6_10device_ptrIjEEEENSD_INSE_IiEEEENS6_16discard_iteratorINS6_11use_defaultEEESI_PmS8_NS6_8equal_toIjEEEE10hipError_tPvRmT2_T3_mT4_T5_T6_T7_T8_P12ihipStream_tbENKUlT_T0_E_clISt17integral_constantIbLb1EES16_EEDaS11_S12_EUlS11_E_NS1_11comp_targetILNS1_3genE5ELNS1_11target_archE942ELNS1_3gpuE9ELNS1_3repE0EEENS1_30default_config_static_selectorELNS0_4arch9wavefront6targetE1EEEvT1_ ; -- Begin function _ZN7rocprim17ROCPRIM_400000_NS6detail17trampoline_kernelINS0_14default_configENS1_29reduce_by_key_config_selectorIjiN6thrust23THRUST_200600_302600_NS4plusIiEEEEZZNS1_33reduce_by_key_impl_wrapped_configILNS1_25lookback_scan_determinismE0ES3_S9_NS6_6detail15normal_iteratorINS6_10device_ptrIjEEEENSD_INSE_IiEEEENS6_16discard_iteratorINS6_11use_defaultEEESI_PmS8_NS6_8equal_toIjEEEE10hipError_tPvRmT2_T3_mT4_T5_T6_T7_T8_P12ihipStream_tbENKUlT_T0_E_clISt17integral_constantIbLb1EES16_EEDaS11_S12_EUlS11_E_NS1_11comp_targetILNS1_3genE5ELNS1_11target_archE942ELNS1_3gpuE9ELNS1_3repE0EEENS1_30default_config_static_selectorELNS0_4arch9wavefront6targetE1EEEvT1_
	.globl	_ZN7rocprim17ROCPRIM_400000_NS6detail17trampoline_kernelINS0_14default_configENS1_29reduce_by_key_config_selectorIjiN6thrust23THRUST_200600_302600_NS4plusIiEEEEZZNS1_33reduce_by_key_impl_wrapped_configILNS1_25lookback_scan_determinismE0ES3_S9_NS6_6detail15normal_iteratorINS6_10device_ptrIjEEEENSD_INSE_IiEEEENS6_16discard_iteratorINS6_11use_defaultEEESI_PmS8_NS6_8equal_toIjEEEE10hipError_tPvRmT2_T3_mT4_T5_T6_T7_T8_P12ihipStream_tbENKUlT_T0_E_clISt17integral_constantIbLb1EES16_EEDaS11_S12_EUlS11_E_NS1_11comp_targetILNS1_3genE5ELNS1_11target_archE942ELNS1_3gpuE9ELNS1_3repE0EEENS1_30default_config_static_selectorELNS0_4arch9wavefront6targetE1EEEvT1_
	.p2align	8
	.type	_ZN7rocprim17ROCPRIM_400000_NS6detail17trampoline_kernelINS0_14default_configENS1_29reduce_by_key_config_selectorIjiN6thrust23THRUST_200600_302600_NS4plusIiEEEEZZNS1_33reduce_by_key_impl_wrapped_configILNS1_25lookback_scan_determinismE0ES3_S9_NS6_6detail15normal_iteratorINS6_10device_ptrIjEEEENSD_INSE_IiEEEENS6_16discard_iteratorINS6_11use_defaultEEESI_PmS8_NS6_8equal_toIjEEEE10hipError_tPvRmT2_T3_mT4_T5_T6_T7_T8_P12ihipStream_tbENKUlT_T0_E_clISt17integral_constantIbLb1EES16_EEDaS11_S12_EUlS11_E_NS1_11comp_targetILNS1_3genE5ELNS1_11target_archE942ELNS1_3gpuE9ELNS1_3repE0EEENS1_30default_config_static_selectorELNS0_4arch9wavefront6targetE1EEEvT1_,@function
_ZN7rocprim17ROCPRIM_400000_NS6detail17trampoline_kernelINS0_14default_configENS1_29reduce_by_key_config_selectorIjiN6thrust23THRUST_200600_302600_NS4plusIiEEEEZZNS1_33reduce_by_key_impl_wrapped_configILNS1_25lookback_scan_determinismE0ES3_S9_NS6_6detail15normal_iteratorINS6_10device_ptrIjEEEENSD_INSE_IiEEEENS6_16discard_iteratorINS6_11use_defaultEEESI_PmS8_NS6_8equal_toIjEEEE10hipError_tPvRmT2_T3_mT4_T5_T6_T7_T8_P12ihipStream_tbENKUlT_T0_E_clISt17integral_constantIbLb1EES16_EEDaS11_S12_EUlS11_E_NS1_11comp_targetILNS1_3genE5ELNS1_11target_archE942ELNS1_3gpuE9ELNS1_3repE0EEENS1_30default_config_static_selectorELNS0_4arch9wavefront6targetE1EEEvT1_: ; @_ZN7rocprim17ROCPRIM_400000_NS6detail17trampoline_kernelINS0_14default_configENS1_29reduce_by_key_config_selectorIjiN6thrust23THRUST_200600_302600_NS4plusIiEEEEZZNS1_33reduce_by_key_impl_wrapped_configILNS1_25lookback_scan_determinismE0ES3_S9_NS6_6detail15normal_iteratorINS6_10device_ptrIjEEEENSD_INSE_IiEEEENS6_16discard_iteratorINS6_11use_defaultEEESI_PmS8_NS6_8equal_toIjEEEE10hipError_tPvRmT2_T3_mT4_T5_T6_T7_T8_P12ihipStream_tbENKUlT_T0_E_clISt17integral_constantIbLb1EES16_EEDaS11_S12_EUlS11_E_NS1_11comp_targetILNS1_3genE5ELNS1_11target_archE942ELNS1_3gpuE9ELNS1_3repE0EEENS1_30default_config_static_selectorELNS0_4arch9wavefront6targetE1EEEvT1_
; %bb.0:
	.section	.rodata,"a",@progbits
	.p2align	6, 0x0
	.amdhsa_kernel _ZN7rocprim17ROCPRIM_400000_NS6detail17trampoline_kernelINS0_14default_configENS1_29reduce_by_key_config_selectorIjiN6thrust23THRUST_200600_302600_NS4plusIiEEEEZZNS1_33reduce_by_key_impl_wrapped_configILNS1_25lookback_scan_determinismE0ES3_S9_NS6_6detail15normal_iteratorINS6_10device_ptrIjEEEENSD_INSE_IiEEEENS6_16discard_iteratorINS6_11use_defaultEEESI_PmS8_NS6_8equal_toIjEEEE10hipError_tPvRmT2_T3_mT4_T5_T6_T7_T8_P12ihipStream_tbENKUlT_T0_E_clISt17integral_constantIbLb1EES16_EEDaS11_S12_EUlS11_E_NS1_11comp_targetILNS1_3genE5ELNS1_11target_archE942ELNS1_3gpuE9ELNS1_3repE0EEENS1_30default_config_static_selectorELNS0_4arch9wavefront6targetE1EEEvT1_
		.amdhsa_group_segment_fixed_size 0
		.amdhsa_private_segment_fixed_size 0
		.amdhsa_kernarg_size 128
		.amdhsa_user_sgpr_count 6
		.amdhsa_user_sgpr_private_segment_buffer 1
		.amdhsa_user_sgpr_dispatch_ptr 0
		.amdhsa_user_sgpr_queue_ptr 0
		.amdhsa_user_sgpr_kernarg_segment_ptr 1
		.amdhsa_user_sgpr_dispatch_id 0
		.amdhsa_user_sgpr_flat_scratch_init 0
		.amdhsa_user_sgpr_kernarg_preload_length 0
		.amdhsa_user_sgpr_kernarg_preload_offset 0
		.amdhsa_user_sgpr_private_segment_size 0
		.amdhsa_uses_dynamic_stack 0
		.amdhsa_system_sgpr_private_segment_wavefront_offset 0
		.amdhsa_system_sgpr_workgroup_id_x 1
		.amdhsa_system_sgpr_workgroup_id_y 0
		.amdhsa_system_sgpr_workgroup_id_z 0
		.amdhsa_system_sgpr_workgroup_info 0
		.amdhsa_system_vgpr_workitem_id 0
		.amdhsa_next_free_vgpr 1
		.amdhsa_next_free_sgpr 0
		.amdhsa_accum_offset 4
		.amdhsa_reserve_vcc 0
		.amdhsa_reserve_flat_scratch 0
		.amdhsa_float_round_mode_32 0
		.amdhsa_float_round_mode_16_64 0
		.amdhsa_float_denorm_mode_32 3
		.amdhsa_float_denorm_mode_16_64 3
		.amdhsa_dx10_clamp 1
		.amdhsa_ieee_mode 1
		.amdhsa_fp16_overflow 0
		.amdhsa_tg_split 0
		.amdhsa_exception_fp_ieee_invalid_op 0
		.amdhsa_exception_fp_denorm_src 0
		.amdhsa_exception_fp_ieee_div_zero 0
		.amdhsa_exception_fp_ieee_overflow 0
		.amdhsa_exception_fp_ieee_underflow 0
		.amdhsa_exception_fp_ieee_inexact 0
		.amdhsa_exception_int_div_zero 0
	.end_amdhsa_kernel
	.section	.text._ZN7rocprim17ROCPRIM_400000_NS6detail17trampoline_kernelINS0_14default_configENS1_29reduce_by_key_config_selectorIjiN6thrust23THRUST_200600_302600_NS4plusIiEEEEZZNS1_33reduce_by_key_impl_wrapped_configILNS1_25lookback_scan_determinismE0ES3_S9_NS6_6detail15normal_iteratorINS6_10device_ptrIjEEEENSD_INSE_IiEEEENS6_16discard_iteratorINS6_11use_defaultEEESI_PmS8_NS6_8equal_toIjEEEE10hipError_tPvRmT2_T3_mT4_T5_T6_T7_T8_P12ihipStream_tbENKUlT_T0_E_clISt17integral_constantIbLb1EES16_EEDaS11_S12_EUlS11_E_NS1_11comp_targetILNS1_3genE5ELNS1_11target_archE942ELNS1_3gpuE9ELNS1_3repE0EEENS1_30default_config_static_selectorELNS0_4arch9wavefront6targetE1EEEvT1_,"axG",@progbits,_ZN7rocprim17ROCPRIM_400000_NS6detail17trampoline_kernelINS0_14default_configENS1_29reduce_by_key_config_selectorIjiN6thrust23THRUST_200600_302600_NS4plusIiEEEEZZNS1_33reduce_by_key_impl_wrapped_configILNS1_25lookback_scan_determinismE0ES3_S9_NS6_6detail15normal_iteratorINS6_10device_ptrIjEEEENSD_INSE_IiEEEENS6_16discard_iteratorINS6_11use_defaultEEESI_PmS8_NS6_8equal_toIjEEEE10hipError_tPvRmT2_T3_mT4_T5_T6_T7_T8_P12ihipStream_tbENKUlT_T0_E_clISt17integral_constantIbLb1EES16_EEDaS11_S12_EUlS11_E_NS1_11comp_targetILNS1_3genE5ELNS1_11target_archE942ELNS1_3gpuE9ELNS1_3repE0EEENS1_30default_config_static_selectorELNS0_4arch9wavefront6targetE1EEEvT1_,comdat
.Lfunc_end1031:
	.size	_ZN7rocprim17ROCPRIM_400000_NS6detail17trampoline_kernelINS0_14default_configENS1_29reduce_by_key_config_selectorIjiN6thrust23THRUST_200600_302600_NS4plusIiEEEEZZNS1_33reduce_by_key_impl_wrapped_configILNS1_25lookback_scan_determinismE0ES3_S9_NS6_6detail15normal_iteratorINS6_10device_ptrIjEEEENSD_INSE_IiEEEENS6_16discard_iteratorINS6_11use_defaultEEESI_PmS8_NS6_8equal_toIjEEEE10hipError_tPvRmT2_T3_mT4_T5_T6_T7_T8_P12ihipStream_tbENKUlT_T0_E_clISt17integral_constantIbLb1EES16_EEDaS11_S12_EUlS11_E_NS1_11comp_targetILNS1_3genE5ELNS1_11target_archE942ELNS1_3gpuE9ELNS1_3repE0EEENS1_30default_config_static_selectorELNS0_4arch9wavefront6targetE1EEEvT1_, .Lfunc_end1031-_ZN7rocprim17ROCPRIM_400000_NS6detail17trampoline_kernelINS0_14default_configENS1_29reduce_by_key_config_selectorIjiN6thrust23THRUST_200600_302600_NS4plusIiEEEEZZNS1_33reduce_by_key_impl_wrapped_configILNS1_25lookback_scan_determinismE0ES3_S9_NS6_6detail15normal_iteratorINS6_10device_ptrIjEEEENSD_INSE_IiEEEENS6_16discard_iteratorINS6_11use_defaultEEESI_PmS8_NS6_8equal_toIjEEEE10hipError_tPvRmT2_T3_mT4_T5_T6_T7_T8_P12ihipStream_tbENKUlT_T0_E_clISt17integral_constantIbLb1EES16_EEDaS11_S12_EUlS11_E_NS1_11comp_targetILNS1_3genE5ELNS1_11target_archE942ELNS1_3gpuE9ELNS1_3repE0EEENS1_30default_config_static_selectorELNS0_4arch9wavefront6targetE1EEEvT1_
                                        ; -- End function
	.section	.AMDGPU.csdata,"",@progbits
; Kernel info:
; codeLenInByte = 0
; NumSgprs: 4
; NumVgprs: 0
; NumAgprs: 0
; TotalNumVgprs: 0
; ScratchSize: 0
; MemoryBound: 0
; FloatMode: 240
; IeeeMode: 1
; LDSByteSize: 0 bytes/workgroup (compile time only)
; SGPRBlocks: 0
; VGPRBlocks: 0
; NumSGPRsForWavesPerEU: 4
; NumVGPRsForWavesPerEU: 1
; AccumOffset: 4
; Occupancy: 8
; WaveLimiterHint : 0
; COMPUTE_PGM_RSRC2:SCRATCH_EN: 0
; COMPUTE_PGM_RSRC2:USER_SGPR: 6
; COMPUTE_PGM_RSRC2:TRAP_HANDLER: 0
; COMPUTE_PGM_RSRC2:TGID_X_EN: 1
; COMPUTE_PGM_RSRC2:TGID_Y_EN: 0
; COMPUTE_PGM_RSRC2:TGID_Z_EN: 0
; COMPUTE_PGM_RSRC2:TIDIG_COMP_CNT: 0
; COMPUTE_PGM_RSRC3_GFX90A:ACCUM_OFFSET: 0
; COMPUTE_PGM_RSRC3_GFX90A:TG_SPLIT: 0
	.section	.text._ZN7rocprim17ROCPRIM_400000_NS6detail17trampoline_kernelINS0_14default_configENS1_29reduce_by_key_config_selectorIjiN6thrust23THRUST_200600_302600_NS4plusIiEEEEZZNS1_33reduce_by_key_impl_wrapped_configILNS1_25lookback_scan_determinismE0ES3_S9_NS6_6detail15normal_iteratorINS6_10device_ptrIjEEEENSD_INSE_IiEEEENS6_16discard_iteratorINS6_11use_defaultEEESI_PmS8_NS6_8equal_toIjEEEE10hipError_tPvRmT2_T3_mT4_T5_T6_T7_T8_P12ihipStream_tbENKUlT_T0_E_clISt17integral_constantIbLb1EES16_EEDaS11_S12_EUlS11_E_NS1_11comp_targetILNS1_3genE4ELNS1_11target_archE910ELNS1_3gpuE8ELNS1_3repE0EEENS1_30default_config_static_selectorELNS0_4arch9wavefront6targetE1EEEvT1_,"axG",@progbits,_ZN7rocprim17ROCPRIM_400000_NS6detail17trampoline_kernelINS0_14default_configENS1_29reduce_by_key_config_selectorIjiN6thrust23THRUST_200600_302600_NS4plusIiEEEEZZNS1_33reduce_by_key_impl_wrapped_configILNS1_25lookback_scan_determinismE0ES3_S9_NS6_6detail15normal_iteratorINS6_10device_ptrIjEEEENSD_INSE_IiEEEENS6_16discard_iteratorINS6_11use_defaultEEESI_PmS8_NS6_8equal_toIjEEEE10hipError_tPvRmT2_T3_mT4_T5_T6_T7_T8_P12ihipStream_tbENKUlT_T0_E_clISt17integral_constantIbLb1EES16_EEDaS11_S12_EUlS11_E_NS1_11comp_targetILNS1_3genE4ELNS1_11target_archE910ELNS1_3gpuE8ELNS1_3repE0EEENS1_30default_config_static_selectorELNS0_4arch9wavefront6targetE1EEEvT1_,comdat
	.protected	_ZN7rocprim17ROCPRIM_400000_NS6detail17trampoline_kernelINS0_14default_configENS1_29reduce_by_key_config_selectorIjiN6thrust23THRUST_200600_302600_NS4plusIiEEEEZZNS1_33reduce_by_key_impl_wrapped_configILNS1_25lookback_scan_determinismE0ES3_S9_NS6_6detail15normal_iteratorINS6_10device_ptrIjEEEENSD_INSE_IiEEEENS6_16discard_iteratorINS6_11use_defaultEEESI_PmS8_NS6_8equal_toIjEEEE10hipError_tPvRmT2_T3_mT4_T5_T6_T7_T8_P12ihipStream_tbENKUlT_T0_E_clISt17integral_constantIbLb1EES16_EEDaS11_S12_EUlS11_E_NS1_11comp_targetILNS1_3genE4ELNS1_11target_archE910ELNS1_3gpuE8ELNS1_3repE0EEENS1_30default_config_static_selectorELNS0_4arch9wavefront6targetE1EEEvT1_ ; -- Begin function _ZN7rocprim17ROCPRIM_400000_NS6detail17trampoline_kernelINS0_14default_configENS1_29reduce_by_key_config_selectorIjiN6thrust23THRUST_200600_302600_NS4plusIiEEEEZZNS1_33reduce_by_key_impl_wrapped_configILNS1_25lookback_scan_determinismE0ES3_S9_NS6_6detail15normal_iteratorINS6_10device_ptrIjEEEENSD_INSE_IiEEEENS6_16discard_iteratorINS6_11use_defaultEEESI_PmS8_NS6_8equal_toIjEEEE10hipError_tPvRmT2_T3_mT4_T5_T6_T7_T8_P12ihipStream_tbENKUlT_T0_E_clISt17integral_constantIbLb1EES16_EEDaS11_S12_EUlS11_E_NS1_11comp_targetILNS1_3genE4ELNS1_11target_archE910ELNS1_3gpuE8ELNS1_3repE0EEENS1_30default_config_static_selectorELNS0_4arch9wavefront6targetE1EEEvT1_
	.globl	_ZN7rocprim17ROCPRIM_400000_NS6detail17trampoline_kernelINS0_14default_configENS1_29reduce_by_key_config_selectorIjiN6thrust23THRUST_200600_302600_NS4plusIiEEEEZZNS1_33reduce_by_key_impl_wrapped_configILNS1_25lookback_scan_determinismE0ES3_S9_NS6_6detail15normal_iteratorINS6_10device_ptrIjEEEENSD_INSE_IiEEEENS6_16discard_iteratorINS6_11use_defaultEEESI_PmS8_NS6_8equal_toIjEEEE10hipError_tPvRmT2_T3_mT4_T5_T6_T7_T8_P12ihipStream_tbENKUlT_T0_E_clISt17integral_constantIbLb1EES16_EEDaS11_S12_EUlS11_E_NS1_11comp_targetILNS1_3genE4ELNS1_11target_archE910ELNS1_3gpuE8ELNS1_3repE0EEENS1_30default_config_static_selectorELNS0_4arch9wavefront6targetE1EEEvT1_
	.p2align	8
	.type	_ZN7rocprim17ROCPRIM_400000_NS6detail17trampoline_kernelINS0_14default_configENS1_29reduce_by_key_config_selectorIjiN6thrust23THRUST_200600_302600_NS4plusIiEEEEZZNS1_33reduce_by_key_impl_wrapped_configILNS1_25lookback_scan_determinismE0ES3_S9_NS6_6detail15normal_iteratorINS6_10device_ptrIjEEEENSD_INSE_IiEEEENS6_16discard_iteratorINS6_11use_defaultEEESI_PmS8_NS6_8equal_toIjEEEE10hipError_tPvRmT2_T3_mT4_T5_T6_T7_T8_P12ihipStream_tbENKUlT_T0_E_clISt17integral_constantIbLb1EES16_EEDaS11_S12_EUlS11_E_NS1_11comp_targetILNS1_3genE4ELNS1_11target_archE910ELNS1_3gpuE8ELNS1_3repE0EEENS1_30default_config_static_selectorELNS0_4arch9wavefront6targetE1EEEvT1_,@function
_ZN7rocprim17ROCPRIM_400000_NS6detail17trampoline_kernelINS0_14default_configENS1_29reduce_by_key_config_selectorIjiN6thrust23THRUST_200600_302600_NS4plusIiEEEEZZNS1_33reduce_by_key_impl_wrapped_configILNS1_25lookback_scan_determinismE0ES3_S9_NS6_6detail15normal_iteratorINS6_10device_ptrIjEEEENSD_INSE_IiEEEENS6_16discard_iteratorINS6_11use_defaultEEESI_PmS8_NS6_8equal_toIjEEEE10hipError_tPvRmT2_T3_mT4_T5_T6_T7_T8_P12ihipStream_tbENKUlT_T0_E_clISt17integral_constantIbLb1EES16_EEDaS11_S12_EUlS11_E_NS1_11comp_targetILNS1_3genE4ELNS1_11target_archE910ELNS1_3gpuE8ELNS1_3repE0EEENS1_30default_config_static_selectorELNS0_4arch9wavefront6targetE1EEEvT1_: ; @_ZN7rocprim17ROCPRIM_400000_NS6detail17trampoline_kernelINS0_14default_configENS1_29reduce_by_key_config_selectorIjiN6thrust23THRUST_200600_302600_NS4plusIiEEEEZZNS1_33reduce_by_key_impl_wrapped_configILNS1_25lookback_scan_determinismE0ES3_S9_NS6_6detail15normal_iteratorINS6_10device_ptrIjEEEENSD_INSE_IiEEEENS6_16discard_iteratorINS6_11use_defaultEEESI_PmS8_NS6_8equal_toIjEEEE10hipError_tPvRmT2_T3_mT4_T5_T6_T7_T8_P12ihipStream_tbENKUlT_T0_E_clISt17integral_constantIbLb1EES16_EEDaS11_S12_EUlS11_E_NS1_11comp_targetILNS1_3genE4ELNS1_11target_archE910ELNS1_3gpuE8ELNS1_3repE0EEENS1_30default_config_static_selectorELNS0_4arch9wavefront6targetE1EEEvT1_
; %bb.0:
	s_load_dwordx4 s[8:11], s[4:5], 0x0
	s_load_dwordx2 s[6:7], s[4:5], 0x10
	s_load_dwordx2 s[52:53], s[4:5], 0x70
	s_load_dwordx4 s[48:51], s[4:5], 0x60
	s_load_dwordx8 s[36:43], s[4:5], 0x40
	v_cmp_ne_u32_e64 s[2:3], 0, v0
	v_cmp_eq_u32_e64 s[0:1], 0, v0
	s_and_saveexec_b64 s[12:13], s[0:1]
	s_cbranch_execz .LBB1032_4
; %bb.1:
	s_mov_b64 s[16:17], exec
	v_mbcnt_lo_u32_b32 v1, s16, 0
	v_mbcnt_hi_u32_b32 v1, s17, v1
	v_cmp_eq_u32_e32 vcc, 0, v1
                                        ; implicit-def: $vgpr2
	s_and_saveexec_b64 s[14:15], vcc
	s_cbranch_execz .LBB1032_3
; %bb.2:
	s_load_dwordx2 s[18:19], s[4:5], 0x78
	s_bcnt1_i32_b64 s16, s[16:17]
	v_mov_b32_e32 v2, 0
	v_mov_b32_e32 v3, s16
	s_waitcnt lgkmcnt(0)
	global_atomic_add v2, v2, v3, s[18:19] glc
.LBB1032_3:
	s_or_b64 exec, exec, s[14:15]
	s_waitcnt vmcnt(0)
	v_readfirstlane_b32 s14, v2
	v_add_u32_e32 v1, s14, v1
	v_mov_b32_e32 v2, 0
	ds_write_b32 v2, v1
.LBB1032_4:
	s_or_b64 exec, exec, s[12:13]
	s_load_dwordx4 s[44:47], s[4:5], 0x28
	s_waitcnt lgkmcnt(0)
	s_lshl_b64 s[4:5], s[10:11], 2
	v_mov_b32_e32 v3, 0
	s_add_u32 s8, s8, s4
	s_barrier
	ds_read_b32 v1, v3
	s_addc_u32 s9, s9, s5
	s_add_u32 s4, s6, s4
	s_addc_u32 s5, s7, s5
	s_mul_i32 s6, s40, s39
	s_mul_hi_u32 s7, s40, s38
	s_add_i32 s6, s7, s6
	s_mul_i32 s7, s41, s38
	s_add_i32 s6, s6, s7
	s_mul_i32 s7, s40, s38
	s_waitcnt lgkmcnt(0)
	v_readfirstlane_b32 s58, v1
	s_movk_i32 s10, 0xf00
	v_mul_lo_u32 v2, v1, s10
	s_add_u32 s54, s7, s58
	v_lshlrev_b64 v[2:3], 2, v[2:3]
	s_addc_u32 s55, s6, 0
	v_mov_b32_e32 v1, s9
	v_add_co_u32_e32 v38, vcc, s8, v2
	s_add_u32 s6, s42, -1
	v_addc_co_u32_e32 v39, vcc, v1, v3, vcc
	s_addc_u32 s7, s43, -1
	v_mov_b32_e32 v1, s5
	v_add_co_u32_e32 v22, vcc, s4, v2
	s_cmp_eq_u64 s[54:55], s[6:7]
	v_addc_co_u32_e32 v23, vcc, v1, v3, vcc
	s_cselect_b64 s[40:41], -1, 0
	s_cmp_lg_u64 s[54:55], s[6:7]
	s_mov_b64 s[4:5], -1
	s_cselect_b64 s[42:43], -1, 0
	s_mul_i32 s33, s6, 0xfffff100
	s_and_b64 vcc, exec, s[40:41]
	s_barrier
	s_cbranch_vccnz .LBB1032_6
; %bb.5:
	v_lshlrev_b32_e32 v26, 2, v0
	v_add_co_u32_e32 v2, vcc, v38, v26
	v_addc_co_u32_e32 v3, vcc, 0, v39, vcc
	v_add_co_u32_e32 v4, vcc, 0x1000, v2
	v_addc_co_u32_e32 v5, vcc, 0, v3, vcc
	flat_load_dword v1, v[2:3]
	flat_load_dword v8, v[2:3] offset:1024
	flat_load_dword v9, v[2:3] offset:2048
	;; [unrolled: 1-line block ×3, first 2 shown]
	flat_load_dword v11, v[4:5]
	flat_load_dword v12, v[4:5] offset:1024
	flat_load_dword v13, v[4:5] offset:2048
	;; [unrolled: 1-line block ×3, first 2 shown]
	v_add_co_u32_e32 v4, vcc, 0x2000, v2
	v_addc_co_u32_e32 v5, vcc, 0, v3, vcc
	v_add_co_u32_e32 v2, vcc, 0x3000, v2
	v_addc_co_u32_e32 v3, vcc, 0, v3, vcc
	flat_load_dword v15, v[4:5]
	flat_load_dword v16, v[4:5] offset:1024
	flat_load_dword v17, v[4:5] offset:2048
	flat_load_dword v18, v[4:5] offset:3072
	flat_load_dword v19, v[2:3]
	flat_load_dword v20, v[2:3] offset:1024
	flat_load_dword v21, v[2:3] offset:2048
	v_add_co_u32_e32 v2, vcc, v22, v26
	s_movk_i32 s4, 0x1000
	v_addc_co_u32_e32 v3, vcc, 0, v23, vcc
	v_add_co_u32_e32 v4, vcc, s4, v2
	s_movk_i32 s5, 0x2000
	v_addc_co_u32_e32 v5, vcc, 0, v3, vcc
	;; [unrolled: 3-line block ×3, first 2 shown]
	v_mad_u32_u24 v40, v0, 56, v26
	v_add_co_u32_e32 v24, vcc, s6, v2
	v_addc_co_u32_e32 v25, vcc, 0, v3, vcc
	s_waitcnt vmcnt(0) lgkmcnt(0)
	ds_write2st64_b32 v26, v1, v8 offset1:4
	ds_write2st64_b32 v26, v9, v10 offset0:8 offset1:12
	ds_write2st64_b32 v26, v11, v12 offset0:16 offset1:20
	;; [unrolled: 1-line block ×6, first 2 shown]
	ds_write_b32 v26, v21 offset:14336
	s_waitcnt lgkmcnt(0)
	s_barrier
	ds_read2_b32 v[20:21], v40 offset1:1
	ds_read2_b32 v[18:19], v40 offset0:2 offset1:3
	ds_read2_b32 v[16:17], v40 offset0:4 offset1:5
	;; [unrolled: 1-line block ×6, first 2 shown]
	ds_read_b32 v1, v40 offset:56
	s_waitcnt lgkmcnt(0)
	s_barrier
	flat_load_dword v27, v[2:3]
	flat_load_dword v28, v[2:3] offset:1024
	flat_load_dword v29, v[2:3] offset:2048
	flat_load_dword v30, v[2:3] offset:3072
	flat_load_dword v31, v[4:5]
	flat_load_dword v32, v[4:5] offset:1024
	flat_load_dword v33, v[4:5] offset:2048
	flat_load_dword v34, v[4:5] offset:3072
	;; [unrolled: 4-line block ×3, first 2 shown]
	flat_load_dword v44, v[24:25]
	flat_load_dword v45, v[24:25] offset:1024
	flat_load_dword v46, v[24:25] offset:2048
	v_mov_b32_e32 v36, v20
	v_mov_b32_e32 v37, v18
	;; [unrolled: 1-line block ×7, first 2 shown]
	s_waitcnt vmcnt(0) lgkmcnt(0)
	ds_write2st64_b32 v26, v27, v28 offset1:4
	ds_write2st64_b32 v26, v29, v30 offset0:8 offset1:12
	ds_write2st64_b32 v26, v31, v32 offset0:16 offset1:20
	;; [unrolled: 1-line block ×6, first 2 shown]
	ds_write_b32 v26, v46 offset:14336
	s_waitcnt lgkmcnt(0)
	s_barrier
	s_add_i32 s33, s33, s48
	s_cbranch_execz .LBB1032_7
	s_branch .LBB1032_54
.LBB1032_6:
                                        ; implicit-def: $vgpr1
                                        ; implicit-def: $vgpr8
                                        ; implicit-def: $vgpr10
                                        ; implicit-def: $vgpr12
                                        ; implicit-def: $vgpr14
                                        ; implicit-def: $vgpr16
                                        ; implicit-def: $vgpr18
                                        ; implicit-def: $vgpr20
                                        ; implicit-def: $vgpr40
                                        ; implicit-def: $vgpr2_vgpr3
                                        ; implicit-def: $vgpr4_vgpr5
                                        ; implicit-def: $vgpr36_vgpr37
                                        ; implicit-def: $vgpr6_vgpr7
	s_andn2_b64 vcc, exec, s[4:5]
	s_add_i32 s33, s33, s48
	s_cbranch_vccnz .LBB1032_54
.LBB1032_7:
	v_cmp_gt_u32_e32 vcc, s33, v0
                                        ; implicit-def: $vgpr1
	s_and_saveexec_b64 s[6:7], vcc
	s_cbranch_execz .LBB1032_9
; %bb.8:
	v_lshlrev_b32_e32 v1, 2, v0
	v_add_co_u32_e64 v2, s[4:5], v38, v1
	v_addc_co_u32_e64 v3, s[4:5], 0, v39, s[4:5]
	flat_load_dword v1, v[2:3]
.LBB1032_9:
	s_or_b64 exec, exec, s[6:7]
	v_or_b32_e32 v2, 0x100, v0
	v_cmp_gt_u32_e64 s[4:5], s33, v2
                                        ; implicit-def: $vgpr8
	s_and_saveexec_b64 s[8:9], s[4:5]
	s_cbranch_execz .LBB1032_11
; %bb.10:
	v_lshlrev_b32_e32 v2, 2, v0
	v_add_co_u32_e64 v2, s[6:7], v38, v2
	v_addc_co_u32_e64 v3, s[6:7], 0, v39, s[6:7]
	flat_load_dword v8, v[2:3] offset:1024
.LBB1032_11:
	s_or_b64 exec, exec, s[8:9]
	v_or_b32_e32 v2, 0x200, v0
	v_cmp_gt_u32_e64 s[6:7], s33, v2
                                        ; implicit-def: $vgpr9
	s_and_saveexec_b64 s[10:11], s[6:7]
	s_cbranch_execz .LBB1032_13
; %bb.12:
	v_lshlrev_b32_e32 v2, 2, v0
	v_add_co_u32_e64 v2, s[8:9], v38, v2
	v_addc_co_u32_e64 v3, s[8:9], 0, v39, s[8:9]
	flat_load_dword v9, v[2:3] offset:2048
.LBB1032_13:
	s_or_b64 exec, exec, s[10:11]
	v_or_b32_e32 v2, 0x300, v0
	v_cmp_gt_u32_e64 s[8:9], s33, v2
                                        ; implicit-def: $vgpr10
	s_and_saveexec_b64 s[12:13], s[8:9]
	s_cbranch_execz .LBB1032_15
; %bb.14:
	v_lshlrev_b32_e32 v2, 2, v0
	v_add_co_u32_e64 v2, s[10:11], v38, v2
	v_addc_co_u32_e64 v3, s[10:11], 0, v39, s[10:11]
	flat_load_dword v10, v[2:3] offset:3072
.LBB1032_15:
	s_or_b64 exec, exec, s[12:13]
	v_or_b32_e32 v2, 0x400, v0
	v_cmp_gt_u32_e64 s[10:11], s33, v2
                                        ; implicit-def: $vgpr11
	s_and_saveexec_b64 s[14:15], s[10:11]
	s_cbranch_execz .LBB1032_17
; %bb.16:
	v_lshlrev_b32_e32 v3, 2, v2
	v_add_co_u32_e64 v4, s[12:13], v38, v3
	v_addc_co_u32_e64 v5, s[12:13], 0, v39, s[12:13]
	flat_load_dword v11, v[4:5]
.LBB1032_17:
	s_or_b64 exec, exec, s[14:15]
	v_or_b32_e32 v3, 0x500, v0
	v_cmp_gt_u32_e64 s[12:13], s33, v3
                                        ; implicit-def: $vgpr12
	s_and_saveexec_b64 s[16:17], s[12:13]
	s_cbranch_execz .LBB1032_19
; %bb.18:
	v_lshlrev_b32_e32 v4, 2, v3
	v_add_co_u32_e64 v4, s[14:15], v38, v4
	v_addc_co_u32_e64 v5, s[14:15], 0, v39, s[14:15]
	flat_load_dword v12, v[4:5]
.LBB1032_19:
	s_or_b64 exec, exec, s[16:17]
	v_or_b32_e32 v4, 0x600, v0
	v_cmp_gt_u32_e64 s[14:15], s33, v4
                                        ; implicit-def: $vgpr13
	s_and_saveexec_b64 s[18:19], s[14:15]
	s_cbranch_execz .LBB1032_21
; %bb.20:
	v_lshlrev_b32_e32 v5, 2, v4
	v_add_co_u32_e64 v6, s[16:17], v38, v5
	v_addc_co_u32_e64 v7, s[16:17], 0, v39, s[16:17]
	flat_load_dword v13, v[6:7]
.LBB1032_21:
	s_or_b64 exec, exec, s[18:19]
	v_or_b32_e32 v5, 0x700, v0
	v_cmp_gt_u32_e64 s[16:17], s33, v5
                                        ; implicit-def: $vgpr14
	s_and_saveexec_b64 s[20:21], s[16:17]
	s_cbranch_execz .LBB1032_23
; %bb.22:
	v_lshlrev_b32_e32 v6, 2, v5
	v_add_co_u32_e64 v6, s[18:19], v38, v6
	v_addc_co_u32_e64 v7, s[18:19], 0, v39, s[18:19]
	flat_load_dword v14, v[6:7]
.LBB1032_23:
	s_or_b64 exec, exec, s[20:21]
	v_or_b32_e32 v6, 0x800, v0
	v_cmp_gt_u32_e64 s[18:19], s33, v6
                                        ; implicit-def: $vgpr15
	s_and_saveexec_b64 s[22:23], s[18:19]
	s_cbranch_execz .LBB1032_25
; %bb.24:
	v_lshlrev_b32_e32 v7, 2, v6
	v_add_co_u32_e64 v16, s[20:21], v38, v7
	v_addc_co_u32_e64 v17, s[20:21], 0, v39, s[20:21]
	flat_load_dword v15, v[16:17]
.LBB1032_25:
	s_or_b64 exec, exec, s[22:23]
	v_or_b32_e32 v24, 0x900, v0
	v_cmp_gt_u32_e64 s[20:21], s33, v24
                                        ; implicit-def: $vgpr16
	s_and_saveexec_b64 s[24:25], s[20:21]
	s_cbranch_execz .LBB1032_27
; %bb.26:
	v_lshlrev_b32_e32 v7, 2, v24
	v_add_co_u32_e64 v16, s[22:23], v38, v7
	v_addc_co_u32_e64 v17, s[22:23], 0, v39, s[22:23]
	flat_load_dword v16, v[16:17]
.LBB1032_27:
	s_or_b64 exec, exec, s[24:25]
	v_or_b32_e32 v25, 0xa00, v0
	v_cmp_gt_u32_e64 s[22:23], s33, v25
                                        ; implicit-def: $vgpr17
	s_and_saveexec_b64 s[26:27], s[22:23]
	s_cbranch_execz .LBB1032_29
; %bb.28:
	v_lshlrev_b32_e32 v7, 2, v25
	v_add_co_u32_e64 v18, s[24:25], v38, v7
	v_addc_co_u32_e64 v19, s[24:25], 0, v39, s[24:25]
	flat_load_dword v17, v[18:19]
.LBB1032_29:
	s_or_b64 exec, exec, s[26:27]
	v_or_b32_e32 v26, 0xb00, v0
	v_cmp_gt_u32_e64 s[24:25], s33, v26
                                        ; implicit-def: $vgpr18
	s_and_saveexec_b64 s[28:29], s[24:25]
	s_cbranch_execz .LBB1032_31
; %bb.30:
	v_lshlrev_b32_e32 v7, 2, v26
	v_add_co_u32_e64 v18, s[26:27], v38, v7
	v_addc_co_u32_e64 v19, s[26:27], 0, v39, s[26:27]
	flat_load_dword v18, v[18:19]
.LBB1032_31:
	s_or_b64 exec, exec, s[28:29]
	v_or_b32_e32 v27, 0xc00, v0
	v_cmp_gt_u32_e64 s[26:27], s33, v27
                                        ; implicit-def: $vgpr19
	s_and_saveexec_b64 s[30:31], s[26:27]
	s_cbranch_execz .LBB1032_33
; %bb.32:
	v_lshlrev_b32_e32 v7, 2, v27
	v_add_co_u32_e64 v20, s[28:29], v38, v7
	v_addc_co_u32_e64 v21, s[28:29], 0, v39, s[28:29]
	flat_load_dword v19, v[20:21]
.LBB1032_33:
	s_or_b64 exec, exec, s[30:31]
	v_or_b32_e32 v28, 0xd00, v0
	v_cmp_gt_u32_e64 s[28:29], s33, v28
                                        ; implicit-def: $vgpr20
	s_and_saveexec_b64 s[34:35], s[28:29]
	s_cbranch_execz .LBB1032_35
; %bb.34:
	v_lshlrev_b32_e32 v7, 2, v28
	v_add_co_u32_e64 v20, s[30:31], v38, v7
	v_addc_co_u32_e64 v21, s[30:31], 0, v39, s[30:31]
	flat_load_dword v20, v[20:21]
.LBB1032_35:
	s_or_b64 exec, exec, s[34:35]
	v_or_b32_e32 v29, 0xe00, v0
	v_cmp_gt_u32_e64 s[30:31], s33, v29
                                        ; implicit-def: $vgpr21
	s_and_saveexec_b64 s[56:57], s[30:31]
	s_cbranch_execz .LBB1032_37
; %bb.36:
	v_lshlrev_b32_e32 v7, 2, v29
	v_add_co_u32_e64 v30, s[34:35], v38, v7
	v_addc_co_u32_e64 v31, s[34:35], 0, v39, s[34:35]
	flat_load_dword v21, v[30:31]
.LBB1032_37:
	s_or_b64 exec, exec, s[56:57]
	v_lshlrev_b32_e32 v7, 2, v0
	v_mad_u32_u24 v40, v0, 56, v7
	s_waitcnt vmcnt(0) lgkmcnt(0)
	ds_write2st64_b32 v7, v1, v8 offset1:4
	ds_write2st64_b32 v7, v9, v10 offset0:8 offset1:12
	ds_write2st64_b32 v7, v11, v12 offset0:16 offset1:20
	;; [unrolled: 1-line block ×6, first 2 shown]
	ds_write_b32 v7, v21 offset:14336
	s_waitcnt lgkmcnt(0)
	s_barrier
	ds_read2_b32 v[20:21], v40 offset1:1
	ds_read2_b32 v[18:19], v40 offset0:2 offset1:3
	ds_read2_b32 v[16:17], v40 offset0:4 offset1:5
	;; [unrolled: 1-line block ×6, first 2 shown]
	ds_read_b32 v1, v40 offset:56
	s_waitcnt lgkmcnt(0)
	s_barrier
	s_waitcnt lgkmcnt(0)
                                        ; implicit-def: $vgpr30
	s_and_saveexec_b64 s[34:35], vcc
	s_cbranch_execnz .LBB1032_61
; %bb.38:
	s_or_b64 exec, exec, s[34:35]
                                        ; implicit-def: $vgpr31
	s_and_saveexec_b64 s[34:35], s[4:5]
	s_cbranch_execnz .LBB1032_62
.LBB1032_39:
	s_or_b64 exec, exec, s[34:35]
                                        ; implicit-def: $vgpr32
	s_and_saveexec_b64 s[4:5], s[6:7]
	s_cbranch_execnz .LBB1032_63
.LBB1032_40:
	s_or_b64 exec, exec, s[4:5]
                                        ; implicit-def: $vgpr33
	s_and_saveexec_b64 s[4:5], s[8:9]
	s_cbranch_execnz .LBB1032_64
.LBB1032_41:
	s_or_b64 exec, exec, s[4:5]
                                        ; implicit-def: $vgpr34
	s_and_saveexec_b64 s[4:5], s[10:11]
	s_cbranch_execnz .LBB1032_65
.LBB1032_42:
	s_or_b64 exec, exec, s[4:5]
                                        ; implicit-def: $vgpr2
	s_and_saveexec_b64 s[4:5], s[12:13]
	s_cbranch_execnz .LBB1032_66
.LBB1032_43:
	s_or_b64 exec, exec, s[4:5]
                                        ; implicit-def: $vgpr3
	s_and_saveexec_b64 s[4:5], s[14:15]
	s_cbranch_execnz .LBB1032_67
.LBB1032_44:
	s_or_b64 exec, exec, s[4:5]
                                        ; implicit-def: $vgpr4
	s_and_saveexec_b64 s[4:5], s[16:17]
	s_cbranch_execnz .LBB1032_68
.LBB1032_45:
	s_or_b64 exec, exec, s[4:5]
                                        ; implicit-def: $vgpr5
	s_and_saveexec_b64 s[4:5], s[18:19]
	s_cbranch_execnz .LBB1032_69
.LBB1032_46:
	s_or_b64 exec, exec, s[4:5]
                                        ; implicit-def: $vgpr6
	s_and_saveexec_b64 s[4:5], s[20:21]
	s_cbranch_execnz .LBB1032_70
.LBB1032_47:
	s_or_b64 exec, exec, s[4:5]
                                        ; implicit-def: $vgpr24
	s_and_saveexec_b64 s[4:5], s[22:23]
	s_cbranch_execnz .LBB1032_71
.LBB1032_48:
	s_or_b64 exec, exec, s[4:5]
                                        ; implicit-def: $vgpr25
	s_and_saveexec_b64 s[4:5], s[24:25]
	s_cbranch_execnz .LBB1032_72
.LBB1032_49:
	s_or_b64 exec, exec, s[4:5]
                                        ; implicit-def: $vgpr26
	s_and_saveexec_b64 s[4:5], s[26:27]
	s_cbranch_execnz .LBB1032_73
.LBB1032_50:
	s_or_b64 exec, exec, s[4:5]
                                        ; implicit-def: $vgpr27
	s_and_saveexec_b64 s[4:5], s[28:29]
	s_cbranch_execnz .LBB1032_74
.LBB1032_51:
	s_or_b64 exec, exec, s[4:5]
                                        ; implicit-def: $vgpr28
	s_and_saveexec_b64 s[4:5], s[30:31]
	s_cbranch_execz .LBB1032_53
.LBB1032_52:
	v_lshlrev_b32_e32 v28, 2, v29
	v_add_co_u32_e32 v22, vcc, v22, v28
	v_addc_co_u32_e32 v23, vcc, 0, v23, vcc
	flat_load_dword v28, v[22:23]
.LBB1032_53:
	s_or_b64 exec, exec, s[4:5]
	s_waitcnt vmcnt(0) lgkmcnt(0)
	ds_write2st64_b32 v7, v30, v31 offset1:4
	ds_write2st64_b32 v7, v32, v33 offset0:8 offset1:12
	ds_write2st64_b32 v7, v34, v2 offset0:16 offset1:20
	;; [unrolled: 1-line block ×6, first 2 shown]
	ds_write_b32 v7, v28 offset:14336
	v_mov_b32_e32 v36, v20
	v_mov_b32_e32 v37, v18
	;; [unrolled: 1-line block ×7, first 2 shown]
	s_waitcnt lgkmcnt(0)
	s_barrier
.LBB1032_54:
	ds_read2_b32 v[34:35], v40 offset1:1
	ds_read2_b32 v[32:33], v40 offset0:2 offset1:3
	ds_read2_b32 v[30:31], v40 offset0:4 offset1:5
	;; [unrolled: 1-line block ×6, first 2 shown]
	ds_read_b32 v80, v40 offset:56
	s_cmp_eq_u64 s[54:55], 0
	s_cselect_b64 s[34:35], -1, 0
	s_cmp_lg_u64 s[54:55], 0
	s_mov_b64 s[6:7], 0
	s_cselect_b64 s[8:9], -1, 0
	s_and_b64 vcc, exec, s[42:43]
	s_waitcnt lgkmcnt(0)
	s_barrier
	s_cbranch_vccz .LBB1032_60
; %bb.55:
	s_and_b64 vcc, exec, s[8:9]
	s_cbranch_vccz .LBB1032_75
; %bb.56:
	v_add_co_u32_e32 v40, vcc, -4, v38
	v_addc_co_u32_e32 v41, vcc, -1, v39, vcc
	flat_load_dword v7, v[40:41]
	v_lshlrev_b32_e32 v40, 2, v0
	ds_write_b32 v40, v1
	s_waitcnt lgkmcnt(0)
	s_barrier
	s_and_saveexec_b64 s[4:5], s[2:3]
	s_cbranch_execz .LBB1032_58
; %bb.57:
	s_waitcnt vmcnt(0)
	v_add_u32_e32 v7, -4, v40
	ds_read_b32 v7, v7
.LBB1032_58:
	s_or_b64 exec, exec, s[4:5]
	v_cmp_ne_u32_e32 vcc, v36, v21
	v_cndmask_b32_e64 v79, 0, 1, vcc
	v_cmp_ne_u32_e32 vcc, v37, v21
	v_cndmask_b32_e64 v78, 0, 1, vcc
	;; [unrolled: 2-line block ×14, first 2 shown]
	s_waitcnt vmcnt(0) lgkmcnt(0)
	v_cmp_ne_u32_e64 s[4:5], v7, v20
	s_mov_b64 s[6:7], -1
.LBB1032_59:
                                        ; implicit-def: $sgpr12
	s_branch .LBB1032_87
.LBB1032_60:
                                        ; implicit-def: $sgpr4_sgpr5
                                        ; implicit-def: $vgpr66
                                        ; implicit-def: $vgpr67
                                        ; implicit-def: $vgpr68
                                        ; implicit-def: $vgpr69
                                        ; implicit-def: $vgpr70
                                        ; implicit-def: $vgpr71
                                        ; implicit-def: $vgpr72
                                        ; implicit-def: $vgpr73
                                        ; implicit-def: $vgpr74
                                        ; implicit-def: $vgpr75
                                        ; implicit-def: $vgpr76
                                        ; implicit-def: $vgpr77
                                        ; implicit-def: $vgpr78
                                        ; implicit-def: $vgpr79
                                        ; implicit-def: $sgpr12
	s_cbranch_execnz .LBB1032_79
	s_branch .LBB1032_87
.LBB1032_61:
	v_add_co_u32_e32 v30, vcc, v22, v7
	v_addc_co_u32_e32 v31, vcc, 0, v23, vcc
	flat_load_dword v30, v[30:31]
	s_or_b64 exec, exec, s[34:35]
                                        ; implicit-def: $vgpr31
	s_and_saveexec_b64 s[34:35], s[4:5]
	s_cbranch_execz .LBB1032_39
.LBB1032_62:
	v_add_co_u32_e32 v32, vcc, v22, v7
	v_addc_co_u32_e32 v33, vcc, 0, v23, vcc
	flat_load_dword v31, v[32:33] offset:1024
	s_or_b64 exec, exec, s[34:35]
                                        ; implicit-def: $vgpr32
	s_and_saveexec_b64 s[4:5], s[6:7]
	s_cbranch_execz .LBB1032_40
.LBB1032_63:
	v_add_co_u32_e32 v32, vcc, v22, v7
	v_addc_co_u32_e32 v33, vcc, 0, v23, vcc
	flat_load_dword v32, v[32:33] offset:2048
	s_or_b64 exec, exec, s[4:5]
                                        ; implicit-def: $vgpr33
	s_and_saveexec_b64 s[4:5], s[8:9]
	s_cbranch_execz .LBB1032_41
.LBB1032_64:
	v_add_co_u32_e32 v34, vcc, v22, v7
	v_addc_co_u32_e32 v35, vcc, 0, v23, vcc
	flat_load_dword v33, v[34:35] offset:3072
	s_or_b64 exec, exec, s[4:5]
                                        ; implicit-def: $vgpr34
	s_and_saveexec_b64 s[4:5], s[10:11]
	s_cbranch_execz .LBB1032_42
.LBB1032_65:
	v_lshlrev_b32_e32 v2, 2, v2
	v_add_co_u32_e32 v34, vcc, v22, v2
	v_addc_co_u32_e32 v35, vcc, 0, v23, vcc
	flat_load_dword v34, v[34:35]
	s_or_b64 exec, exec, s[4:5]
                                        ; implicit-def: $vgpr2
	s_and_saveexec_b64 s[4:5], s[12:13]
	s_cbranch_execz .LBB1032_43
.LBB1032_66:
	v_lshlrev_b32_e32 v2, 2, v3
	v_add_co_u32_e32 v2, vcc, v22, v2
	v_addc_co_u32_e32 v3, vcc, 0, v23, vcc
	flat_load_dword v2, v[2:3]
	s_or_b64 exec, exec, s[4:5]
                                        ; implicit-def: $vgpr3
	s_and_saveexec_b64 s[4:5], s[14:15]
	s_cbranch_execz .LBB1032_44
.LBB1032_67:
	v_lshlrev_b32_e32 v3, 2, v4
	v_add_co_u32_e32 v36, vcc, v22, v3
	v_addc_co_u32_e32 v37, vcc, 0, v23, vcc
	flat_load_dword v3, v[36:37]
	s_or_b64 exec, exec, s[4:5]
                                        ; implicit-def: $vgpr4
	s_and_saveexec_b64 s[4:5], s[16:17]
	s_cbranch_execz .LBB1032_45
.LBB1032_68:
	v_lshlrev_b32_e32 v4, 2, v5
	v_add_co_u32_e32 v4, vcc, v22, v4
	v_addc_co_u32_e32 v5, vcc, 0, v23, vcc
	flat_load_dword v4, v[4:5]
	s_or_b64 exec, exec, s[4:5]
                                        ; implicit-def: $vgpr5
	s_and_saveexec_b64 s[4:5], s[18:19]
	s_cbranch_execz .LBB1032_46
.LBB1032_69:
	v_lshlrev_b32_e32 v5, 2, v6
	v_add_co_u32_e32 v36, vcc, v22, v5
	v_addc_co_u32_e32 v37, vcc, 0, v23, vcc
	flat_load_dword v5, v[36:37]
	s_or_b64 exec, exec, s[4:5]
                                        ; implicit-def: $vgpr6
	s_and_saveexec_b64 s[4:5], s[20:21]
	s_cbranch_execz .LBB1032_47
.LBB1032_70:
	v_lshlrev_b32_e32 v6, 2, v24
	v_add_co_u32_e32 v36, vcc, v22, v6
	v_addc_co_u32_e32 v37, vcc, 0, v23, vcc
	flat_load_dword v6, v[36:37]
	s_or_b64 exec, exec, s[4:5]
                                        ; implicit-def: $vgpr24
	s_and_saveexec_b64 s[4:5], s[22:23]
	s_cbranch_execz .LBB1032_48
.LBB1032_71:
	v_lshlrev_b32_e32 v24, 2, v25
	v_add_co_u32_e32 v24, vcc, v22, v24
	v_addc_co_u32_e32 v25, vcc, 0, v23, vcc
	flat_load_dword v24, v[24:25]
	s_or_b64 exec, exec, s[4:5]
                                        ; implicit-def: $vgpr25
	s_and_saveexec_b64 s[4:5], s[24:25]
	s_cbranch_execz .LBB1032_49
.LBB1032_72:
	v_lshlrev_b32_e32 v25, 2, v26
	v_add_co_u32_e32 v36, vcc, v22, v25
	v_addc_co_u32_e32 v37, vcc, 0, v23, vcc
	flat_load_dword v25, v[36:37]
	s_or_b64 exec, exec, s[4:5]
                                        ; implicit-def: $vgpr26
	s_and_saveexec_b64 s[4:5], s[26:27]
	s_cbranch_execz .LBB1032_50
.LBB1032_73:
	v_lshlrev_b32_e32 v26, 2, v27
	v_add_co_u32_e32 v26, vcc, v22, v26
	v_addc_co_u32_e32 v27, vcc, 0, v23, vcc
	flat_load_dword v26, v[26:27]
	s_or_b64 exec, exec, s[4:5]
                                        ; implicit-def: $vgpr27
	s_and_saveexec_b64 s[4:5], s[28:29]
	s_cbranch_execz .LBB1032_51
.LBB1032_74:
	v_lshlrev_b32_e32 v27, 2, v28
	v_add_co_u32_e32 v36, vcc, v22, v27
	v_addc_co_u32_e32 v37, vcc, 0, v23, vcc
	flat_load_dword v27, v[36:37]
	s_or_b64 exec, exec, s[4:5]
                                        ; implicit-def: $vgpr28
	s_and_saveexec_b64 s[4:5], s[30:31]
	s_cbranch_execnz .LBB1032_52
	s_branch .LBB1032_53
.LBB1032_75:
                                        ; implicit-def: $sgpr4_sgpr5
                                        ; implicit-def: $vgpr66
                                        ; implicit-def: $vgpr67
                                        ; implicit-def: $vgpr68
                                        ; implicit-def: $vgpr69
                                        ; implicit-def: $vgpr70
                                        ; implicit-def: $vgpr71
                                        ; implicit-def: $vgpr72
                                        ; implicit-def: $vgpr73
                                        ; implicit-def: $vgpr74
                                        ; implicit-def: $vgpr75
                                        ; implicit-def: $vgpr76
                                        ; implicit-def: $vgpr77
                                        ; implicit-def: $vgpr78
                                        ; implicit-def: $vgpr79
	s_cbranch_execz .LBB1032_59
; %bb.76:
	v_cmp_ne_u32_e32 vcc, v21, v36
	v_cndmask_b32_e64 v79, 0, 1, vcc
	v_cmp_ne_u32_e32 vcc, v21, v37
	v_cndmask_b32_e64 v78, 0, 1, vcc
	;; [unrolled: 2-line block ×13, first 2 shown]
	v_cmp_ne_u32_e32 vcc, v9, v1
	v_lshlrev_b32_e32 v7, 2, v0
	v_cndmask_b32_e64 v66, 0, 1, vcc
	ds_write_b32 v7, v1
	s_waitcnt lgkmcnt(0)
	s_barrier
	s_waitcnt lgkmcnt(0)
                                        ; implicit-def: $sgpr4_sgpr5
	s_and_saveexec_b64 s[10:11], s[2:3]
	s_xor_b64 s[10:11], exec, s[10:11]
	s_cbranch_execz .LBB1032_78
; %bb.77:
	v_add_u32_e32 v2, -4, v7
	ds_read_b32 v2, v2
	s_or_b64 s[6:7], s[6:7], exec
	s_waitcnt lgkmcnt(0)
	v_cmp_ne_u32_e32 vcc, v2, v20
	s_and_b64 s[4:5], vcc, exec
.LBB1032_78:
	s_or_b64 exec, exec, s[10:11]
	s_mov_b32 s12, 1
	s_branch .LBB1032_87
.LBB1032_79:
	s_mul_hi_u32 s5, s54, 0xfffff100
	s_mul_i32 s4, s55, 0xfffff100
	s_sub_i32 s5, s5, s54
	s_add_i32 s5, s5, s4
	s_mul_i32 s4, s54, 0xfffff100
	s_add_u32 s10, s4, s48
	s_addc_u32 s11, s5, s49
	s_and_b64 vcc, exec, s[8:9]
	s_cbranch_vccz .LBB1032_84
; %bb.80:
	v_add_co_u32_e32 v2, vcc, -4, v38
	v_addc_co_u32_e32 v3, vcc, -1, v39, vcc
	flat_load_dword v6, v[2:3]
	v_mad_u32_u24 v4, v0, 15, 14
	v_mov_b32_e32 v5, 0
	v_cmp_gt_u64_e32 vcc, s[10:11], v[4:5]
	v_cmp_ne_u32_e64 s[4:5], v9, v1
	v_mad_u32_u24 v4, v0, 15, 13
	s_and_b64 s[6:7], vcc, s[4:5]
	v_cmp_gt_u64_e32 vcc, s[10:11], v[4:5]
	v_cmp_ne_u32_e64 s[4:5], v8, v9
	v_mad_u32_u24 v4, v0, 15, 12
	s_and_b64 s[8:9], vcc, s[4:5]
	;; [unrolled: 4-line block ×13, first 2 shown]
	v_cmp_gt_u64_e32 vcc, s[10:11], v[4:5]
	v_cmp_ne_u32_e64 s[4:5], v20, v21
	v_lshlrev_b32_e32 v3, 2, v0
	v_mul_u32_u24_e32 v2, 15, v0
	s_and_b64 s[4:5], vcc, s[4:5]
	ds_write_b32 v3, v1
	s_waitcnt lgkmcnt(0)
	s_barrier
	s_and_saveexec_b64 s[48:49], s[2:3]
	s_cbranch_execz .LBB1032_82
; %bb.81:
	v_add_u32_e32 v3, -4, v3
	s_waitcnt vmcnt(0)
	ds_read_b32 v6, v3
.LBB1032_82:
	s_or_b64 exec, exec, s[48:49]
	v_mov_b32_e32 v3, v5
	v_cndmask_b32_e64 v79, 0, 1, s[4:5]
	v_cmp_gt_u64_e32 vcc, s[10:11], v[2:3]
	s_waitcnt vmcnt(0) lgkmcnt(0)
	v_cmp_ne_u32_e64 s[4:5], v6, v20
	v_cndmask_b32_e64 v66, 0, 1, s[6:7]
	v_cndmask_b32_e64 v67, 0, 1, s[8:9]
	;; [unrolled: 1-line block ×13, first 2 shown]
	s_and_b64 s[4:5], vcc, s[4:5]
	s_mov_b64 s[6:7], -1
.LBB1032_83:
                                        ; implicit-def: $sgpr12
	v_mov_b32_e32 v82, s12
	s_and_saveexec_b64 s[2:3], s[6:7]
	s_cbranch_execnz .LBB1032_88
	s_branch .LBB1032_89
.LBB1032_84:
                                        ; implicit-def: $sgpr4_sgpr5
                                        ; implicit-def: $vgpr66
                                        ; implicit-def: $vgpr67
                                        ; implicit-def: $vgpr68
                                        ; implicit-def: $vgpr69
                                        ; implicit-def: $vgpr70
                                        ; implicit-def: $vgpr71
                                        ; implicit-def: $vgpr72
                                        ; implicit-def: $vgpr73
                                        ; implicit-def: $vgpr74
                                        ; implicit-def: $vgpr75
                                        ; implicit-def: $vgpr76
                                        ; implicit-def: $vgpr77
                                        ; implicit-def: $vgpr78
                                        ; implicit-def: $vgpr79
	s_cbranch_execz .LBB1032_83
; %bb.85:
	v_mad_u32_u24 v2, v0, 15, 14
	v_mov_b32_e32 v3, 0
	v_cmp_gt_u64_e32 vcc, s[10:11], v[2:3]
	v_cmp_ne_u32_e64 s[4:5], v9, v1
	s_and_b64 s[4:5], vcc, s[4:5]
	v_mad_u32_u24 v2, v0, 15, 13
	v_cndmask_b32_e64 v66, 0, 1, s[4:5]
	v_cmp_gt_u64_e32 vcc, s[10:11], v[2:3]
	v_cmp_ne_u32_e64 s[4:5], v8, v9
	s_and_b64 s[4:5], vcc, s[4:5]
	v_mad_u32_u24 v2, v0, 15, 12
	v_cndmask_b32_e64 v67, 0, 1, s[4:5]
	;; [unrolled: 5-line block ×13, first 2 shown]
	v_cmp_gt_u64_e32 vcc, s[10:11], v[2:3]
	v_cmp_ne_u32_e64 s[4:5], v20, v21
	s_and_b64 s[4:5], vcc, s[4:5]
	v_lshlrev_b32_e32 v4, 2, v0
	s_mov_b32 s12, 1
	v_cndmask_b32_e64 v79, 0, 1, s[4:5]
	ds_write_b32 v4, v1
	s_waitcnt lgkmcnt(0)
	s_barrier
	s_waitcnt lgkmcnt(0)
                                        ; implicit-def: $sgpr4_sgpr5
	s_and_saveexec_b64 s[8:9], s[2:3]
	s_cbranch_execz .LBB1032_174
; %bb.86:
	v_add_u32_e32 v2, -4, v4
	ds_read_b32 v4, v2
	v_mul_u32_u24_e32 v2, 15, v0
	v_cmp_gt_u64_e32 vcc, s[10:11], v[2:3]
	s_or_b64 s[6:7], s[6:7], exec
	s_waitcnt lgkmcnt(0)
	v_cmp_ne_u32_e64 s[2:3], v4, v20
	s_and_b64 s[2:3], vcc, s[2:3]
	s_and_b64 s[4:5], s[2:3], exec
	s_or_b64 exec, exec, s[8:9]
.LBB1032_87:
	v_mov_b32_e32 v82, s12
	s_and_saveexec_b64 s[2:3], s[6:7]
.LBB1032_88:
	v_cndmask_b32_e64 v82, 0, 1, s[4:5]
.LBB1032_89:
	s_or_b64 exec, exec, s[2:3]
	s_cmp_eq_u64 s[38:39], 0
	v_add3_u32 v2, v79, v82, v78
	s_cselect_b64 s[38:39], -1, 0
	s_cmp_lg_u32 s58, 0
	v_cmp_eq_u32_e64 s[26:27], 0, v79
	v_cmp_eq_u32_e64 s[24:25], 0, v78
	;; [unrolled: 1-line block ×3, first 2 shown]
	v_add3_u32 v86, v2, v77, v76
	v_cmp_eq_u32_e64 s[20:21], 0, v76
	v_cmp_eq_u32_e64 s[18:19], 0, v75
	;; [unrolled: 1-line block ×10, first 2 shown]
	v_cmp_eq_u32_e32 vcc, 0, v66
	v_mbcnt_lo_u32_b32 v85, -1, 0
	v_lshrrev_b32_e32 v83, 6, v0
	v_or_b32_e32 v84, 63, v0
	s_cbranch_scc0 .LBB1032_120
; %bb.90:
	v_cndmask_b32_e64 v2, 0, v34, s[26:27]
	v_add_u32_e32 v2, v2, v35
	v_cndmask_b32_e64 v2, 0, v2, s[24:25]
	v_add_u32_e32 v2, v2, v32
	;; [unrolled: 2-line block ×11, first 2 shown]
	v_cndmask_b32_e64 v2, 0, v2, s[4:5]
	v_add3_u32 v3, v86, v75, v74
	v_add_u32_e32 v2, v2, v22
	v_add3_u32 v3, v3, v73, v72
	v_cndmask_b32_e64 v2, 0, v2, s[2:3]
	v_add3_u32 v3, v3, v71, v70
	v_add_u32_e32 v2, v2, v23
	v_add3_u32 v3, v3, v69, v68
	v_cndmask_b32_e32 v2, 0, v2, vcc
	v_add3_u32 v3, v3, v67, v66
	v_add_u32_e32 v2, v2, v80
	v_mbcnt_hi_u32_b32 v39, -1, v85
	v_and_b32_e32 v4, 15, v39
	v_mov_b32_dpp v6, v2 row_shr:1 row_mask:0xf bank_mask:0xf
	v_cmp_eq_u32_e32 vcc, 0, v3
	v_mov_b32_dpp v5, v3 row_shr:1 row_mask:0xf bank_mask:0xf
	v_cndmask_b32_e32 v6, 0, v6, vcc
	v_cmp_eq_u32_e32 vcc, 0, v4
	v_cndmask_b32_e64 v5, v5, 0, vcc
	v_add_u32_e32 v3, v5, v3
	v_cndmask_b32_e64 v5, v6, 0, vcc
	v_add_u32_e32 v2, v5, v2
	v_cmp_eq_u32_e32 vcc, 0, v3
	v_mov_b32_dpp v5, v3 row_shr:2 row_mask:0xf bank_mask:0xf
	v_cmp_lt_u32_e64 s[28:29], 1, v4
	v_mov_b32_dpp v6, v2 row_shr:2 row_mask:0xf bank_mask:0xf
	v_cndmask_b32_e64 v5, 0, v5, s[28:29]
	s_and_b64 vcc, s[28:29], vcc
	v_cndmask_b32_e32 v6, 0, v6, vcc
	v_add_u32_e32 v3, v3, v5
	v_add_u32_e32 v2, v6, v2
	v_cmp_eq_u32_e32 vcc, 0, v3
	v_mov_b32_dpp v5, v3 row_shr:4 row_mask:0xf bank_mask:0xf
	v_cmp_lt_u32_e64 s[28:29], 3, v4
	v_mov_b32_dpp v6, v2 row_shr:4 row_mask:0xf bank_mask:0xf
	v_cndmask_b32_e64 v5, 0, v5, s[28:29]
	s_and_b64 vcc, s[28:29], vcc
	v_cndmask_b32_e32 v6, 0, v6, vcc
	v_add_u32_e32 v3, v5, v3
	v_add_u32_e32 v2, v2, v6
	v_cmp_eq_u32_e32 vcc, 0, v3
	v_cmp_lt_u32_e64 s[28:29], 7, v4
	v_mov_b32_dpp v5, v3 row_shr:8 row_mask:0xf bank_mask:0xf
	v_mov_b32_dpp v6, v2 row_shr:8 row_mask:0xf bank_mask:0xf
	s_and_b64 vcc, s[28:29], vcc
	v_cndmask_b32_e64 v4, 0, v5, s[28:29]
	v_cndmask_b32_e32 v5, 0, v6, vcc
	v_add_u32_e32 v2, v5, v2
	v_add_u32_e32 v3, v4, v3
	v_bfe_i32 v6, v39, 4, 1
	v_mov_b32_dpp v5, v2 row_bcast:15 row_mask:0xf bank_mask:0xf
	v_mov_b32_dpp v4, v3 row_bcast:15 row_mask:0xf bank_mask:0xf
	v_cmp_eq_u32_e32 vcc, 0, v3
	v_cndmask_b32_e32 v5, 0, v5, vcc
	v_and_b32_e32 v4, v6, v4
	v_add_u32_e32 v3, v4, v3
	v_and_b32_e32 v4, v6, v5
	v_add_u32_e32 v4, v4, v2
	v_mov_b32_dpp v2, v3 row_bcast:31 row_mask:0xf bank_mask:0xf
	v_cmp_eq_u32_e32 vcc, 0, v3
	v_cmp_lt_u32_e64 s[28:29], 31, v39
	v_mov_b32_dpp v5, v4 row_bcast:31 row_mask:0xf bank_mask:0xf
	v_cndmask_b32_e64 v2, 0, v2, s[28:29]
	s_and_b64 vcc, s[28:29], vcc
	v_add_u32_e32 v2, v2, v3
	v_cndmask_b32_e32 v3, 0, v5, vcc
	v_add_u32_e32 v3, v3, v4
	v_cmp_eq_u32_e32 vcc, v84, v0
	v_lshlrev_b32_e32 v4, 3, v83
	s_and_saveexec_b64 s[28:29], vcc
	s_cbranch_execz .LBB1032_92
; %bb.91:
	ds_write_b64 v4, v[2:3] offset:2064
.LBB1032_92:
	s_or_b64 exec, exec, s[28:29]
	v_cmp_gt_u32_e32 vcc, 4, v0
	s_waitcnt lgkmcnt(0)
	s_barrier
	s_and_saveexec_b64 s[30:31], vcc
	s_cbranch_execz .LBB1032_94
; %bb.93:
	v_lshlrev_b32_e32 v5, 3, v0
	ds_read_b64 v[6:7], v5 offset:2064
	v_and_b32_e32 v36, 3, v39
	v_cmp_lt_u32_e64 s[28:29], 1, v36
	s_waitcnt lgkmcnt(0)
	v_mov_b32_dpp v38, v7 row_shr:1 row_mask:0xf bank_mask:0xf
	v_cmp_eq_u32_e32 vcc, 0, v6
	v_mov_b32_dpp v37, v6 row_shr:1 row_mask:0xf bank_mask:0xf
	v_cndmask_b32_e32 v38, 0, v38, vcc
	v_cmp_eq_u32_e32 vcc, 0, v36
	v_cndmask_b32_e64 v37, v37, 0, vcc
	v_add_u32_e32 v6, v37, v6
	v_cndmask_b32_e64 v37, v38, 0, vcc
	v_add_u32_e32 v7, v37, v7
	v_cmp_eq_u32_e32 vcc, 0, v6
	v_mov_b32_dpp v37, v6 row_shr:2 row_mask:0xf bank_mask:0xf
	v_mov_b32_dpp v38, v7 row_shr:2 row_mask:0xf bank_mask:0xf
	v_cndmask_b32_e64 v36, 0, v37, s[28:29]
	s_and_b64 vcc, s[28:29], vcc
	v_add_u32_e32 v6, v36, v6
	v_cndmask_b32_e32 v36, 0, v38, vcc
	v_add_u32_e32 v7, v36, v7
	ds_write_b64 v5, v[6:7] offset:2064
.LBB1032_94:
	s_or_b64 exec, exec, s[30:31]
	v_cmp_gt_u32_e32 vcc, 64, v0
	v_cmp_lt_u32_e64 s[28:29], 63, v0
	v_mov_b32_e32 v36, 0
	v_mov_b32_e32 v37, 0
	s_waitcnt lgkmcnt(0)
	s_barrier
	s_and_saveexec_b64 s[30:31], s[28:29]
	s_cbranch_execz .LBB1032_96
; %bb.95:
	ds_read_b64 v[36:37], v4 offset:2056
	v_cmp_eq_u32_e64 s[28:29], 0, v2
	s_waitcnt lgkmcnt(0)
	v_add_u32_e32 v4, v36, v2
	v_cndmask_b32_e64 v2, 0, v37, s[28:29]
	v_add_u32_e32 v3, v2, v3
	v_mov_b32_e32 v2, v4
.LBB1032_96:
	s_or_b64 exec, exec, s[30:31]
	v_add_u32_e32 v4, -1, v39
	v_and_b32_e32 v5, 64, v39
	v_cmp_lt_i32_e64 s[28:29], v4, v5
	v_cndmask_b32_e64 v4, v4, v39, s[28:29]
	v_lshlrev_b32_e32 v4, 2, v4
	ds_bpermute_b32 v44, v4, v2
	ds_bpermute_b32 v45, v4, v3
	v_cmp_eq_u32_e64 s[28:29], 0, v39
	s_and_saveexec_b64 s[42:43], vcc
	s_cbranch_execz .LBB1032_119
; %bb.97:
	v_mov_b32_e32 v7, 0
	ds_read_b64 v[2:3], v7 offset:2088
	s_waitcnt lgkmcnt(0)
	v_readfirstlane_b32 s54, v2
	v_readfirstlane_b32 s55, v3
	s_and_saveexec_b64 s[30:31], s[28:29]
	s_cbranch_execz .LBB1032_99
; %bb.98:
	s_add_i32 s48, s58, 64
	s_mov_b32 s49, 0
	s_lshl_b64 s[56:57], s[48:49], 4
	s_add_u32 s56, s36, s56
	s_addc_u32 s57, s37, s57
	s_and_b32 s61, s55, 0xff000000
	s_mov_b32 s60, s49
	s_and_b32 s63, s55, 0xff0000
	s_mov_b32 s62, s49
	s_or_b64 s[60:61], s[62:63], s[60:61]
	s_and_b32 s63, s55, 0xff00
	s_or_b64 s[60:61], s[60:61], s[62:63]
	s_and_b32 s63, s55, 0xff
	s_or_b64 s[48:49], s[60:61], s[62:63]
	v_mov_b32_e32 v4, s54
	v_mov_b32_e32 v5, s49
	;; [unrolled: 1-line block ×3, first 2 shown]
	v_pk_mov_b32 v[2:3], s[56:57], s[56:57] op_sel:[0,1]
	;;#ASMSTART
	global_store_dwordx4 v[2:3], v[4:7] off	
s_waitcnt vmcnt(0)
	;;#ASMEND
.LBB1032_99:
	s_or_b64 exec, exec, s[30:31]
	v_xad_u32 v38, v39, -1, s58
	v_add_u32_e32 v6, 64, v38
	v_lshlrev_b64 v[2:3], 4, v[6:7]
	v_mov_b32_e32 v4, s37
	v_add_co_u32_e32 v40, vcc, s36, v2
	v_addc_co_u32_e32 v41, vcc, v4, v3, vcc
	;;#ASMSTART
	global_load_dwordx4 v[2:5], v[40:41] off glc	
s_waitcnt vmcnt(0)
	;;#ASMEND
	v_and_b32_e32 v5, 0xff, v3
	v_and_b32_e32 v6, 0xff00, v3
	v_and_b32_e32 v42, 0xff0000, v3
	v_or3_b32 v5, 0, v5, v6
	v_or3_b32 v2, v2, 0, 0
	v_and_b32_e32 v3, 0xff000000, v3
	v_or3_b32 v3, v5, v42, v3
	v_or3_b32 v2, v2, 0, 0
	v_cmp_eq_u16_sdwa s[48:49], v4, v7 src0_sel:BYTE_0 src1_sel:DWORD
	s_and_saveexec_b64 s[30:31], s[48:49]
	s_cbranch_execz .LBB1032_105
; %bb.100:
	s_mov_b32 s56, 1
	s_mov_b64 s[48:49], 0
	v_mov_b32_e32 v6, 0
.LBB1032_101:                           ; =>This Loop Header: Depth=1
                                        ;     Child Loop BB1032_102 Depth 2
	s_max_u32 s57, s56, 1
.LBB1032_102:                           ;   Parent Loop BB1032_101 Depth=1
                                        ; =>  This Inner Loop Header: Depth=2
	s_add_i32 s57, s57, -1
	s_cmp_eq_u32 s57, 0
	s_sleep 1
	s_cbranch_scc0 .LBB1032_102
; %bb.103:                              ;   in Loop: Header=BB1032_101 Depth=1
	s_cmp_lt_u32 s56, 32
	s_cselect_b64 s[60:61], -1, 0
	s_cmp_lg_u64 s[60:61], 0
	s_addc_u32 s56, s56, 0
	;;#ASMSTART
	global_load_dwordx4 v[2:5], v[40:41] off glc	
s_waitcnt vmcnt(0)
	;;#ASMEND
	v_cmp_ne_u16_sdwa s[60:61], v4, v6 src0_sel:BYTE_0 src1_sel:DWORD
	s_or_b64 s[48:49], s[60:61], s[48:49]
	s_andn2_b64 exec, exec, s[48:49]
	s_cbranch_execnz .LBB1032_101
; %bb.104:
	s_or_b64 exec, exec, s[48:49]
.LBB1032_105:
	s_or_b64 exec, exec, s[30:31]
	v_mov_b32_e32 v46, 2
	v_cmp_eq_u16_sdwa s[30:31], v4, v46 src0_sel:BYTE_0 src1_sel:DWORD
	v_lshlrev_b64 v[40:41], v39, -1
	v_and_b32_e32 v5, s31, v41
	v_and_b32_e32 v47, 63, v39
	v_or_b32_e32 v5, 0x80000000, v5
	v_cmp_ne_u32_e32 vcc, 63, v47
	v_and_b32_e32 v6, s30, v40
	v_ffbl_b32_e32 v5, v5
	v_addc_co_u32_e32 v7, vcc, 0, v39, vcc
	v_add_u32_e32 v5, 32, v5
	v_ffbl_b32_e32 v6, v6
	v_lshlrev_b32_e32 v48, 2, v7
	v_min_u32_e32 v5, v6, v5
	ds_bpermute_b32 v6, v48, v3
	v_cmp_eq_u32_e32 vcc, 0, v2
	v_cmp_lt_u32_e64 s[30:31], v47, v5
	ds_bpermute_b32 v7, v48, v2
	s_and_b64 vcc, s[30:31], vcc
	s_waitcnt lgkmcnt(1)
	v_cndmask_b32_e32 v6, 0, v6, vcc
	v_cmp_gt_u32_e32 vcc, 62, v47
	v_add_u32_e32 v3, v6, v3
	v_cndmask_b32_e64 v6, 0, 1, vcc
	v_lshlrev_b32_e32 v6, 1, v6
	v_add_lshl_u32 v49, v6, v39, 2
	s_waitcnt lgkmcnt(0)
	v_cndmask_b32_e64 v7, 0, v7, s[30:31]
	ds_bpermute_b32 v6, v49, v3
	v_add_u32_e32 v2, v7, v2
	ds_bpermute_b32 v7, v49, v2
	v_add_u32_e32 v50, 2, v47
	v_cmp_eq_u32_e32 vcc, 0, v2
	s_waitcnt lgkmcnt(1)
	v_cndmask_b32_e32 v6, 0, v6, vcc
	v_cmp_gt_u32_e32 vcc, v50, v5
	v_cndmask_b32_e64 v6, v6, 0, vcc
	v_add_u32_e32 v3, v6, v3
	s_waitcnt lgkmcnt(0)
	v_cndmask_b32_e64 v6, v7, 0, vcc
	v_cmp_gt_u32_e32 vcc, 60, v47
	v_cndmask_b32_e64 v7, 0, 1, vcc
	v_lshlrev_b32_e32 v7, 2, v7
	v_add_lshl_u32 v51, v7, v39, 2
	ds_bpermute_b32 v7, v51, v3
	v_add_u32_e32 v2, v2, v6
	ds_bpermute_b32 v6, v51, v2
	v_add_u32_e32 v52, 4, v47
	v_cmp_eq_u32_e32 vcc, 0, v2
	s_waitcnt lgkmcnt(1)
	v_cndmask_b32_e32 v7, 0, v7, vcc
	v_cmp_gt_u32_e32 vcc, v52, v5
	v_cndmask_b32_e64 v7, v7, 0, vcc
	s_waitcnt lgkmcnt(0)
	v_cndmask_b32_e64 v6, v6, 0, vcc
	v_cmp_gt_u32_e32 vcc, 56, v47
	v_add_u32_e32 v3, v3, v7
	v_cndmask_b32_e64 v7, 0, 1, vcc
	v_lshlrev_b32_e32 v7, 3, v7
	v_add_lshl_u32 v53, v7, v39, 2
	ds_bpermute_b32 v7, v53, v3
	v_add_u32_e32 v2, v2, v6
	ds_bpermute_b32 v6, v53, v2
	v_add_u32_e32 v54, 8, v47
	v_cmp_eq_u32_e32 vcc, 0, v2
	s_waitcnt lgkmcnt(1)
	v_cndmask_b32_e32 v7, 0, v7, vcc
	v_cmp_gt_u32_e32 vcc, v54, v5
	v_cndmask_b32_e64 v7, v7, 0, vcc
	s_waitcnt lgkmcnt(0)
	v_cndmask_b32_e64 v6, v6, 0, vcc
	v_cmp_gt_u32_e32 vcc, 48, v47
	v_add_u32_e32 v3, v3, v7
	;; [unrolled: 16-line block ×3, first 2 shown]
	v_cndmask_b32_e64 v7, 0, 1, vcc
	v_lshlrev_b32_e32 v7, 5, v7
	v_add_lshl_u32 v57, v7, v39, 2
	ds_bpermute_b32 v7, v57, v3
	v_add_u32_e32 v2, v2, v6
	ds_bpermute_b32 v6, v57, v2
	v_add_u32_e32 v58, 32, v47
	v_cmp_eq_u32_e32 vcc, 0, v2
	s_waitcnt lgkmcnt(1)
	v_cndmask_b32_e32 v7, 0, v7, vcc
	v_cmp_gt_u32_e32 vcc, v58, v5
	v_cndmask_b32_e64 v5, v7, 0, vcc
	v_add_u32_e32 v3, v5, v3
	s_waitcnt lgkmcnt(0)
	v_cndmask_b32_e64 v5, v6, 0, vcc
	v_add_u32_e32 v2, v5, v2
	v_mov_b32_e32 v39, 0
	s_branch .LBB1032_107
.LBB1032_106:                           ;   in Loop: Header=BB1032_107 Depth=1
	s_or_b64 exec, exec, s[30:31]
	v_cmp_eq_u16_sdwa s[30:31], v4, v46 src0_sel:BYTE_0 src1_sel:DWORD
	v_and_b32_e32 v5, s31, v41
	v_or_b32_e32 v5, 0x80000000, v5
	v_and_b32_e32 v42, s30, v40
	v_ffbl_b32_e32 v5, v5
	v_add_u32_e32 v5, 32, v5
	v_ffbl_b32_e32 v42, v42
	v_min_u32_e32 v5, v42, v5
	ds_bpermute_b32 v42, v48, v3
	v_cmp_eq_u32_e32 vcc, 0, v2
	v_cmp_lt_u32_e64 s[30:31], v47, v5
	ds_bpermute_b32 v43, v48, v2
	s_and_b64 vcc, s[30:31], vcc
	s_waitcnt lgkmcnt(1)
	v_cndmask_b32_e32 v42, 0, v42, vcc
	v_add_u32_e32 v3, v42, v3
	ds_bpermute_b32 v42, v49, v3
	s_waitcnt lgkmcnt(1)
	v_cndmask_b32_e64 v43, 0, v43, s[30:31]
	v_add_u32_e32 v2, v43, v2
	v_cmp_eq_u32_e32 vcc, 0, v2
	ds_bpermute_b32 v43, v49, v2
	s_waitcnt lgkmcnt(1)
	v_cndmask_b32_e32 v42, 0, v42, vcc
	v_cmp_gt_u32_e32 vcc, v50, v5
	v_cndmask_b32_e64 v42, v42, 0, vcc
	v_add_u32_e32 v3, v42, v3
	ds_bpermute_b32 v42, v51, v3
	s_waitcnt lgkmcnt(1)
	v_cndmask_b32_e64 v43, v43, 0, vcc
	v_add_u32_e32 v2, v2, v43
	v_cmp_eq_u32_e32 vcc, 0, v2
	ds_bpermute_b32 v43, v51, v2
	s_waitcnt lgkmcnt(1)
	v_cndmask_b32_e32 v42, 0, v42, vcc
	v_cmp_gt_u32_e32 vcc, v52, v5
	v_cndmask_b32_e64 v42, v42, 0, vcc
	v_add_u32_e32 v3, v3, v42
	ds_bpermute_b32 v42, v53, v3
	s_waitcnt lgkmcnt(1)
	v_cndmask_b32_e64 v43, v43, 0, vcc
	v_add_u32_e32 v2, v2, v43
	ds_bpermute_b32 v43, v53, v2
	v_cmp_eq_u32_e32 vcc, 0, v2
	s_waitcnt lgkmcnt(1)
	v_cndmask_b32_e32 v42, 0, v42, vcc
	v_cmp_gt_u32_e32 vcc, v54, v5
	v_cndmask_b32_e64 v42, v42, 0, vcc
	v_add_u32_e32 v3, v3, v42
	ds_bpermute_b32 v42, v55, v3
	s_waitcnt lgkmcnt(1)
	v_cndmask_b32_e64 v43, v43, 0, vcc
	v_add_u32_e32 v2, v2, v43
	ds_bpermute_b32 v43, v55, v2
	v_cmp_eq_u32_e32 vcc, 0, v2
	;; [unrolled: 11-line block ×3, first 2 shown]
	s_waitcnt lgkmcnt(1)
	v_cndmask_b32_e32 v42, 0, v42, vcc
	v_cmp_gt_u32_e32 vcc, v58, v5
	v_cndmask_b32_e64 v5, v42, 0, vcc
	v_add_u32_e32 v3, v5, v3
	s_waitcnt lgkmcnt(0)
	v_cndmask_b32_e64 v5, v43, 0, vcc
	v_cmp_eq_u32_e32 vcc, 0, v6
	v_cndmask_b32_e32 v3, 0, v3, vcc
	v_subrev_u32_e32 v38, 64, v38
	v_add3_u32 v2, v2, v6, v5
	v_add_u32_e32 v3, v3, v7
.LBB1032_107:                           ; =>This Loop Header: Depth=1
                                        ;     Child Loop BB1032_110 Depth 2
                                        ;       Child Loop BB1032_111 Depth 3
	v_cmp_ne_u16_sdwa s[30:31], v4, v46 src0_sel:BYTE_0 src1_sel:DWORD
	v_mov_b32_e32 v7, v3
	v_cndmask_b32_e64 v3, 0, 1, s[30:31]
	;;#ASMSTART
	;;#ASMEND
	v_cmp_ne_u32_e32 vcc, 0, v3
	s_cmp_lg_u64 vcc, exec
	v_mov_b32_e32 v6, v2
	s_cbranch_scc1 .LBB1032_114
; %bb.108:                              ;   in Loop: Header=BB1032_107 Depth=1
	v_lshlrev_b64 v[2:3], 4, v[38:39]
	v_mov_b32_e32 v4, s37
	v_add_co_u32_e32 v42, vcc, s36, v2
	v_addc_co_u32_e32 v43, vcc, v4, v3, vcc
	;;#ASMSTART
	global_load_dwordx4 v[2:5], v[42:43] off glc	
s_waitcnt vmcnt(0)
	;;#ASMEND
	v_and_b32_e32 v5, 0xff, v3
	v_and_b32_e32 v59, 0xff00, v3
	;; [unrolled: 1-line block ×3, first 2 shown]
	v_or3_b32 v5, 0, v5, v59
	v_or3_b32 v2, v2, 0, 0
	v_and_b32_e32 v3, 0xff000000, v3
	v_or3_b32 v3, v5, v60, v3
	v_or3_b32 v2, v2, 0, 0
	v_cmp_eq_u16_sdwa s[48:49], v4, v39 src0_sel:BYTE_0 src1_sel:DWORD
	s_and_saveexec_b64 s[30:31], s[48:49]
	s_cbranch_execz .LBB1032_106
; %bb.109:                              ;   in Loop: Header=BB1032_107 Depth=1
	s_mov_b32 s56, 1
	s_mov_b64 s[48:49], 0
.LBB1032_110:                           ;   Parent Loop BB1032_107 Depth=1
                                        ; =>  This Loop Header: Depth=2
                                        ;       Child Loop BB1032_111 Depth 3
	s_max_u32 s57, s56, 1
.LBB1032_111:                           ;   Parent Loop BB1032_107 Depth=1
                                        ;     Parent Loop BB1032_110 Depth=2
                                        ; =>    This Inner Loop Header: Depth=3
	s_add_i32 s57, s57, -1
	s_cmp_eq_u32 s57, 0
	s_sleep 1
	s_cbranch_scc0 .LBB1032_111
; %bb.112:                              ;   in Loop: Header=BB1032_110 Depth=2
	s_cmp_lt_u32 s56, 32
	s_cselect_b64 s[60:61], -1, 0
	s_cmp_lg_u64 s[60:61], 0
	s_addc_u32 s56, s56, 0
	;;#ASMSTART
	global_load_dwordx4 v[2:5], v[42:43] off glc	
s_waitcnt vmcnt(0)
	;;#ASMEND
	v_cmp_ne_u16_sdwa s[60:61], v4, v39 src0_sel:BYTE_0 src1_sel:DWORD
	s_or_b64 s[48:49], s[60:61], s[48:49]
	s_andn2_b64 exec, exec, s[48:49]
	s_cbranch_execnz .LBB1032_110
; %bb.113:                              ;   in Loop: Header=BB1032_107 Depth=1
	s_or_b64 exec, exec, s[48:49]
	s_branch .LBB1032_106
.LBB1032_114:                           ;   in Loop: Header=BB1032_107 Depth=1
                                        ; implicit-def: $vgpr3
                                        ; implicit-def: $vgpr2
                                        ; implicit-def: $vgpr4
	s_cbranch_execz .LBB1032_107
; %bb.115:
	s_and_saveexec_b64 s[30:31], s[28:29]
	s_cbranch_execz .LBB1032_117
; %bb.116:
	s_cmp_eq_u32 s54, 0
	s_cselect_b64 vcc, -1, 0
	s_mov_b32 s49, 0
	v_cndmask_b32_e32 v2, 0, v7, vcc
	s_add_i32 s48, s58, 64
	v_add_u32_e32 v2, s55, v2
	s_lshl_b64 s[48:49], s[48:49], 4
	s_add_u32 s48, s36, s48
	v_and_b32_e32 v3, 0xff000000, v2
	v_and_b32_e32 v4, 0xff0000, v2
	s_addc_u32 s49, s37, s49
	v_or_b32_e32 v3, v4, v3
	v_and_b32_e32 v4, 0xff00, v2
	v_and_b32_e32 v2, 0xff, v2
	v_add_u32_e32 v38, s54, v6
	v_mov_b32_e32 v41, 0
	v_or3_b32 v39, v3, v4, v2
	v_mov_b32_e32 v40, 2
	v_pk_mov_b32 v[2:3], s[48:49], s[48:49] op_sel:[0,1]
	;;#ASMSTART
	global_store_dwordx4 v[2:3], v[38:41] off	
s_waitcnt vmcnt(0)
	;;#ASMEND
	v_mov_b32_e32 v4, s54
	v_mov_b32_e32 v5, s55
	ds_write_b128 v41, v[4:7] offset:2048
.LBB1032_117:
	s_or_b64 exec, exec, s[30:31]
	s_and_b64 exec, exec, s[0:1]
	s_cbranch_execz .LBB1032_119
; %bb.118:
	v_mov_b32_e32 v2, 0
	ds_write_b64 v2, v[6:7] offset:2088
.LBB1032_119:
	s_or_b64 exec, exec, s[42:43]
	v_mov_b32_e32 v4, 0
	s_waitcnt lgkmcnt(0)
	s_barrier
	ds_read_b64 v[2:3], v4 offset:2088
	v_cndmask_b32_e64 v6, v44, v36, s[28:29]
	v_cmp_eq_u32_e32 vcc, 0, v6
	v_cndmask_b32_e64 v5, v45, v37, s[28:29]
	s_waitcnt lgkmcnt(0)
	v_cndmask_b32_e32 v7, 0, v3, vcc
	v_add_u32_e32 v5, v7, v5
	v_cndmask_b32_e64 v65, v5, v3, s[0:1]
	v_cndmask_b32_e64 v3, v6, 0, s[0:1]
	v_cmp_eq_u32_e32 vcc, 0, v82
	v_add_u32_e32 v64, v2, v3
	v_cndmask_b32_e32 v2, 0, v65, vcc
	v_add_u32_e32 v63, v2, v34
	v_cndmask_b32_e64 v2, 0, v63, s[26:27]
	v_add_u32_e32 v61, v2, v35
	v_cndmask_b32_e64 v2, 0, v61, s[24:25]
	;; [unrolled: 2-line block ×8, first 2 shown]
	v_add_u32_e32 v62, v64, v82
	v_add_u32_e32 v47, v2, v26
	v_add_u32_e32 v60, v62, v79
	v_cndmask_b32_e64 v2, 0, v47, s[10:11]
	v_add_u32_e32 v58, v60, v78
	v_add_u32_e32 v45, v2, v27
	v_add_u32_e32 v56, v58, v77
	v_cndmask_b32_e64 v2, 0, v45, s[8:9]
	;; [unrolled: 4-line block ×3, first 2 shown]
	v_add_u32_e32 v50, v52, v74
	v_add_u32_e32 v41, v2, v25
	s_barrier
	ds_read_b128 v[2:5], v4 offset:2048
	v_add_u32_e32 v48, v50, v73
	v_add_u32_e32 v46, v48, v72
	;; [unrolled: 1-line block ×4, first 2 shown]
	v_cndmask_b32_e64 v6, 0, v41, s[4:5]
	v_add_u32_e32 v40, v42, v69
	v_add_u32_e32 v39, v6, v22
	s_waitcnt lgkmcnt(0)
	v_cmp_eq_u32_e32 vcc, 0, v2
	v_add_u32_e32 v38, v40, v68
	v_cndmask_b32_e64 v6, 0, v39, s[2:3]
	v_cndmask_b32_e32 v5, 0, v5, vcc
	v_add_u32_e32 v36, v38, v67
	v_add_u32_e32 v37, v6, v23
	;; [unrolled: 1-line block ×3, first 2 shown]
	s_branch .LBB1032_132
.LBB1032_120:
                                        ; implicit-def: $vgpr2
                                        ; implicit-def: $vgpr81
                                        ; implicit-def: $vgpr64_vgpr65
                                        ; implicit-def: $vgpr62_vgpr63
                                        ; implicit-def: $vgpr60_vgpr61
                                        ; implicit-def: $vgpr58_vgpr59
                                        ; implicit-def: $vgpr56_vgpr57
                                        ; implicit-def: $vgpr54_vgpr55
                                        ; implicit-def: $vgpr52_vgpr53
                                        ; implicit-def: $vgpr50_vgpr51
                                        ; implicit-def: $vgpr48_vgpr49
                                        ; implicit-def: $vgpr46_vgpr47
                                        ; implicit-def: $vgpr44_vgpr45
                                        ; implicit-def: $vgpr42_vgpr43
                                        ; implicit-def: $vgpr40_vgpr41
                                        ; implicit-def: $vgpr38_vgpr39
                                        ; implicit-def: $vgpr36_vgpr37
	s_cbranch_execz .LBB1032_132
; %bb.121:
	s_and_b64 s[2:3], s[38:39], exec
	s_cselect_b32 s3, 0, s53
	s_cselect_b32 s2, 0, s52
	s_cmp_eq_u64 s[2:3], 0
	v_mov_b32_e32 v6, v34
	s_cbranch_scc1 .LBB1032_123
; %bb.122:
	v_mov_b32_e32 v2, 0
	global_load_dword v6, v2, s[2:3]
.LBB1032_123:
	v_cmp_eq_u32_e64 s[2:3], 0, v79
	v_cndmask_b32_e64 v2, 0, v34, s[2:3]
	v_add_u32_e32 v2, v2, v35
	v_cmp_eq_u32_e64 s[4:5], 0, v78
	v_cndmask_b32_e64 v2, 0, v2, s[4:5]
	v_add_u32_e32 v2, v2, v32
	;; [unrolled: 3-line block ×11, first 2 shown]
	v_cmp_eq_u32_e64 s[24:25], 0, v68
	v_cndmask_b32_e64 v2, 0, v2, s[24:25]
	v_add3_u32 v3, v86, v75, v74
	v_add_u32_e32 v2, v2, v22
	v_cmp_eq_u32_e32 vcc, 0, v67
	v_add3_u32 v3, v3, v73, v72
	v_cndmask_b32_e32 v2, 0, v2, vcc
	v_add3_u32 v3, v3, v71, v70
	v_add_u32_e32 v2, v2, v23
	v_cmp_eq_u32_e64 s[26:27], 0, v66
	v_add3_u32 v3, v3, v69, v68
	v_cndmask_b32_e64 v2, 0, v2, s[26:27]
	v_add3_u32 v3, v3, v67, v66
	v_add_u32_e32 v2, v2, v80
	v_mbcnt_hi_u32_b32 v7, -1, v85
	v_and_b32_e32 v4, 15, v7
	v_mov_b32_dpp v36, v2 row_shr:1 row_mask:0xf bank_mask:0xf
	v_cmp_eq_u32_e64 s[26:27], 0, v3
	v_mov_b32_dpp v5, v3 row_shr:1 row_mask:0xf bank_mask:0xf
	v_cndmask_b32_e64 v36, 0, v36, s[26:27]
	v_cmp_eq_u32_e64 s[26:27], 0, v4
	v_cndmask_b32_e64 v5, v5, 0, s[26:27]
	v_add_u32_e32 v3, v5, v3
	v_cndmask_b32_e64 v5, v36, 0, s[26:27]
	v_add_u32_e32 v2, v5, v2
	v_cmp_eq_u32_e64 s[26:27], 0, v3
	v_mov_b32_dpp v5, v3 row_shr:2 row_mask:0xf bank_mask:0xf
	v_cmp_lt_u32_e64 s[28:29], 1, v4
	v_mov_b32_dpp v36, v2 row_shr:2 row_mask:0xf bank_mask:0xf
	v_cndmask_b32_e64 v5, 0, v5, s[28:29]
	s_and_b64 s[26:27], s[28:29], s[26:27]
	v_cndmask_b32_e64 v36, 0, v36, s[26:27]
	v_add_u32_e32 v3, v3, v5
	v_add_u32_e32 v2, v36, v2
	v_cmp_eq_u32_e64 s[26:27], 0, v3
	v_mov_b32_dpp v5, v3 row_shr:4 row_mask:0xf bank_mask:0xf
	v_cmp_lt_u32_e64 s[28:29], 3, v4
	v_mov_b32_dpp v36, v2 row_shr:4 row_mask:0xf bank_mask:0xf
	v_cndmask_b32_e64 v5, 0, v5, s[28:29]
	s_and_b64 s[26:27], s[28:29], s[26:27]
	v_cndmask_b32_e64 v36, 0, v36, s[26:27]
	v_add_u32_e32 v3, v5, v3
	v_add_u32_e32 v2, v2, v36
	v_cmp_eq_u32_e64 s[26:27], 0, v3
	v_cmp_lt_u32_e64 s[28:29], 7, v4
	v_mov_b32_dpp v5, v3 row_shr:8 row_mask:0xf bank_mask:0xf
	v_mov_b32_dpp v36, v2 row_shr:8 row_mask:0xf bank_mask:0xf
	s_and_b64 s[26:27], s[28:29], s[26:27]
	v_cndmask_b32_e64 v4, 0, v5, s[28:29]
	v_cndmask_b32_e64 v5, 0, v36, s[26:27]
	v_add_u32_e32 v2, v5, v2
	v_add_u32_e32 v3, v4, v3
	v_bfe_i32 v36, v7, 4, 1
	v_mov_b32_dpp v5, v2 row_bcast:15 row_mask:0xf bank_mask:0xf
	v_mov_b32_dpp v4, v3 row_bcast:15 row_mask:0xf bank_mask:0xf
	v_cmp_eq_u32_e64 s[26:27], 0, v3
	v_cndmask_b32_e64 v5, 0, v5, s[26:27]
	v_and_b32_e32 v4, v36, v4
	v_add_u32_e32 v3, v4, v3
	v_and_b32_e32 v4, v36, v5
	v_add_u32_e32 v4, v4, v2
	v_mov_b32_dpp v2, v3 row_bcast:31 row_mask:0xf bank_mask:0xf
	v_cmp_eq_u32_e64 s[26:27], 0, v3
	v_cmp_lt_u32_e64 s[28:29], 31, v7
	v_mov_b32_dpp v5, v4 row_bcast:31 row_mask:0xf bank_mask:0xf
	v_cndmask_b32_e64 v2, 0, v2, s[28:29]
	s_and_b64 s[26:27], s[28:29], s[26:27]
	v_add_u32_e32 v2, v2, v3
	v_cndmask_b32_e64 v3, 0, v5, s[26:27]
	v_add_u32_e32 v3, v3, v4
	v_cmp_eq_u32_e64 s[26:27], v84, v0
	s_and_saveexec_b64 s[28:29], s[26:27]
	s_cbranch_execz .LBB1032_125
; %bb.124:
	v_lshlrev_b32_e32 v4, 3, v83
	ds_write_b64 v4, v[2:3] offset:2064
.LBB1032_125:
	s_or_b64 exec, exec, s[28:29]
	v_cmp_gt_u32_e64 s[26:27], 4, v0
	s_waitcnt lgkmcnt(0)
	s_barrier
	s_and_saveexec_b64 s[30:31], s[26:27]
	s_cbranch_execz .LBB1032_127
; %bb.126:
	v_lshlrev_b32_e32 v36, 3, v0
	ds_read_b64 v[4:5], v36 offset:2064
	v_and_b32_e32 v37, 3, v7
	v_cmp_lt_u32_e64 s[28:29], 1, v37
	s_waitcnt lgkmcnt(0)
	v_mov_b32_dpp v39, v5 row_shr:1 row_mask:0xf bank_mask:0xf
	v_cmp_eq_u32_e64 s[26:27], 0, v4
	v_mov_b32_dpp v38, v4 row_shr:1 row_mask:0xf bank_mask:0xf
	v_cndmask_b32_e64 v39, 0, v39, s[26:27]
	v_cmp_eq_u32_e64 s[26:27], 0, v37
	v_cndmask_b32_e64 v38, v38, 0, s[26:27]
	v_add_u32_e32 v4, v38, v4
	v_cndmask_b32_e64 v38, v39, 0, s[26:27]
	v_add_u32_e32 v5, v38, v5
	v_cmp_eq_u32_e64 s[26:27], 0, v4
	v_mov_b32_dpp v38, v4 row_shr:2 row_mask:0xf bank_mask:0xf
	v_mov_b32_dpp v39, v5 row_shr:2 row_mask:0xf bank_mask:0xf
	v_cndmask_b32_e64 v37, 0, v38, s[28:29]
	s_and_b64 s[26:27], s[28:29], s[26:27]
	v_add_u32_e32 v4, v37, v4
	v_cndmask_b32_e64 v37, 0, v39, s[26:27]
	v_add_u32_e32 v5, v37, v5
	ds_write_b64 v36, v[4:5] offset:2064
.LBB1032_127:
	s_or_b64 exec, exec, s[30:31]
	v_cmp_lt_u32_e64 s[26:27], 63, v0
	v_mov_b32_e32 v36, 0
	v_mov_b32_e32 v4, 0
	s_waitcnt vmcnt(0)
	v_mov_b32_e32 v5, v6
	s_waitcnt lgkmcnt(0)
	s_barrier
	s_and_saveexec_b64 s[28:29], s[26:27]
	s_cbranch_execz .LBB1032_129
; %bb.128:
	v_lshlrev_b32_e32 v4, 3, v83
	ds_read_b64 v[4:5], v4 offset:2056
	s_waitcnt lgkmcnt(0)
	v_cmp_eq_u32_e64 s[26:27], 0, v4
	v_cndmask_b32_e64 v37, 0, v6, s[26:27]
	v_add_u32_e32 v5, v37, v5
.LBB1032_129:
	s_or_b64 exec, exec, s[28:29]
	v_cmp_eq_u32_e64 s[26:27], 0, v2
	v_add_u32_e32 v37, v4, v2
	v_cndmask_b32_e64 v2, 0, v5, s[26:27]
	v_add_u32_e32 v2, v2, v3
	v_add_u32_e32 v3, -1, v7
	v_and_b32_e32 v38, 64, v7
	v_cmp_lt_i32_e64 s[26:27], v3, v38
	v_cndmask_b32_e64 v3, v3, v7, s[26:27]
	v_lshlrev_b32_e32 v3, 2, v3
	ds_bpermute_b32 v2, v3, v2
	ds_bpermute_b32 v37, v3, v37
	v_cmp_eq_u32_e64 s[26:27], 0, v7
	s_waitcnt lgkmcnt(1)
	v_cndmask_b32_e64 v2, v2, v5, s[26:27]
	s_waitcnt lgkmcnt(0)
	v_cndmask_b32_e64 v3, v37, v4, s[26:27]
	v_cndmask_b32_e64 v65, v2, v6, s[0:1]
	v_cmp_eq_u32_e64 s[26:27], 0, v82
	v_cndmask_b32_e64 v2, 0, v65, s[26:27]
	v_add_u32_e32 v63, v2, v34
	v_cndmask_b32_e64 v2, 0, v63, s[2:3]
	v_add_u32_e32 v61, v2, v35
	;; [unrolled: 2-line block ×8, first 2 shown]
	v_cndmask_b32_e64 v64, v3, 0, s[0:1]
	v_cndmask_b32_e64 v2, 0, v49, s[16:17]
	v_add_u32_e32 v62, v64, v82
	v_add_u32_e32 v47, v2, v26
	v_add_u32_e32 v60, v62, v79
	v_cndmask_b32_e64 v2, 0, v47, s[18:19]
	v_add_u32_e32 v58, v60, v78
	v_add_u32_e32 v45, v2, v27
	v_add_u32_e32 v56, v58, v77
	v_cndmask_b32_e64 v2, 0, v45, s[20:21]
	v_add_u32_e32 v54, v56, v76
	v_add_u32_e32 v43, v2, v24
	v_add_u32_e32 v52, v54, v75
	v_cndmask_b32_e64 v2, 0, v43, s[22:23]
	v_add_u32_e32 v50, v52, v74
	v_add_u32_e32 v41, v2, v25
	ds_read_b64 v[2:3], v36 offset:2088
	v_add_u32_e32 v48, v50, v73
	v_add_u32_e32 v46, v48, v72
	v_add_u32_e32 v44, v46, v71
	v_cndmask_b32_e64 v4, 0, v41, s[24:25]
	v_add_u32_e32 v42, v44, v70
	v_add_u32_e32 v39, v4, v22
	;; [unrolled: 1-line block ×3, first 2 shown]
	v_cndmask_b32_e32 v4, 0, v39, vcc
	s_waitcnt lgkmcnt(0)
	v_cmp_eq_u32_e32 vcc, 0, v2
	v_add_u32_e32 v38, v40, v68
	v_add_u32_e32 v37, v4, v23
	v_cndmask_b32_e32 v4, 0, v6, vcc
	v_add_u32_e32 v36, v38, v67
	v_add_u32_e32 v81, v4, v3
	s_and_saveexec_b64 s[2:3], s[0:1]
	s_cbranch_execz .LBB1032_131
; %bb.130:
	s_add_u32 s4, s36, 0x400
	v_and_b32_e32 v3, 0xff000000, v81
	v_and_b32_e32 v4, 0xff0000, v81
	s_addc_u32 s5, s37, 0
	v_or_b32_e32 v3, v4, v3
	v_and_b32_e32 v4, 0xff00, v81
	v_and_b32_e32 v6, 0xff, v81
	v_mov_b32_e32 v5, 0
	v_or3_b32 v3, v3, v4, v6
	v_mov_b32_e32 v4, 2
	v_pk_mov_b32 v[6:7], s[4:5], s[4:5] op_sel:[0,1]
	;;#ASMSTART
	global_store_dwordx4 v[6:7], v[2:5] off	
s_waitcnt vmcnt(0)
	;;#ASMEND
.LBB1032_131:
	s_or_b64 exec, exec, s[2:3]
	v_mov_b32_e32 v4, 0
.LBB1032_132:
	s_and_b64 s[2:3], s[38:39], exec
	s_cselect_b32 s3, 0, s51
	s_cselect_b32 s2, 0, s50
	s_cmp_eq_u64 s[2:3], 0
	v_pk_mov_b32 v[6:7], 0, 0
	s_barrier
	s_cbranch_scc1 .LBB1032_134
; %bb.133:
	v_mov_b32_e32 v3, 0
	global_load_dwordx2 v[6:7], v3, s[2:3]
.LBB1032_134:
	s_movk_i32 s38, 0x100
	v_cmp_gt_u32_e32 vcc, s38, v2
	s_cbranch_vccnz .LBB1032_141
; %bb.135:
	v_cmp_eq_u32_e64 s[28:29], 0, v79
	v_cndmask_b32_e64 v33, 1, 2, s[28:29]
	v_cmp_eq_u32_e64 s[28:29], 0, v82
	v_cmp_eq_u32_e64 s[26:27], 0, v78
	v_cndmask_b32_e64 v34, 1, 2, s[28:29]
	v_cmp_eq_u32_e64 s[24:25], 0, v77
	v_cndmask_b32_e64 v32, 1, 2, s[26:27]
	v_and_b32_e32 v33, v33, v34
	v_cmp_eq_u32_e64 s[22:23], 0, v76
	v_cndmask_b32_e64 v31, 1, 2, s[24:25]
	v_and_b32_e32 v32, v33, v32
	v_cmp_eq_u32_e64 s[18:19], 0, v75
	v_cndmask_b32_e64 v30, 1, 2, s[22:23]
	v_and_b32_e32 v31, v32, v31
	v_cmp_eq_u32_e64 s[16:17], 0, v74
	v_cndmask_b32_e64 v29, 1, 2, s[18:19]
	v_and_b32_e32 v30, v31, v30
	v_cmp_eq_u32_e64 s[14:15], 0, v73
	v_cndmask_b32_e64 v28, 1, 2, s[16:17]
	v_and_b32_e32 v29, v30, v29
	v_cmp_eq_u32_e64 s[12:13], 0, v72
	v_cndmask_b32_e64 v27, 1, 2, s[14:15]
	v_and_b32_e32 v28, v29, v28
	v_cmp_eq_u32_e64 s[10:11], 0, v71
	v_cndmask_b32_e64 v26, 1, 2, s[12:13]
	v_and_b32_e32 v27, v28, v27
	v_cmp_eq_u32_e64 s[8:9], 0, v70
	v_cndmask_b32_e64 v25, 1, 2, s[10:11]
	v_and_b32_e32 v26, v27, v26
	v_cmp_eq_u32_e64 s[6:7], 0, v69
	v_cndmask_b32_e64 v24, 1, 2, s[8:9]
	v_and_b32_e32 v25, v26, v25
	v_cmp_eq_u32_e64 s[4:5], 0, v68
	v_cndmask_b32_e64 v23, 1, 2, s[6:7]
	v_and_b32_e32 v24, v25, v24
	v_cmp_eq_u32_e64 s[2:3], 0, v67
	v_cndmask_b32_e64 v22, 1, 2, s[4:5]
	v_and_b32_e32 v23, v24, v23
	v_cmp_eq_u32_e32 vcc, 0, v66
	v_cndmask_b32_e64 v5, 1, 2, s[2:3]
	v_and_b32_e32 v22, v23, v22
	v_cndmask_b32_e64 v3, 1, 2, vcc
	v_and_b32_e32 v5, v22, v5
	v_and_b32_e32 v3, v5, v3
	v_cmp_ne_u32_e64 s[20:21], 0, v82
	v_cmp_ne_u32_e32 vcc, 0, v67
	v_cmp_ne_u32_e64 s[2:3], 0, v68
	v_cmp_ne_u32_e64 s[4:5], 0, v69
	;; [unrolled: 1-line block ×12, first 2 shown]
	v_cmp_gt_i16_e64 s[28:29], 2, v3
	s_and_saveexec_b64 s[30:31], s[28:29]
	s_cbranch_execz .LBB1032_140
; %bb.136:
	v_cmp_ne_u16_e64 s[28:29], 1, v3
	s_mov_b64 s[36:37], 0
	s_and_saveexec_b64 s[42:43], s[28:29]
	s_xor_b64 s[28:29], exec, s[42:43]
	s_cbranch_execnz .LBB1032_175
; %bb.137:
	s_andn2_saveexec_b64 s[2:3], s[28:29]
	s_cbranch_execnz .LBB1032_191
.LBB1032_138:
	s_or_b64 exec, exec, s[2:3]
	s_and_b64 exec, exec, s[36:37]
	s_cbranch_execz .LBB1032_140
.LBB1032_139:
	v_sub_u32_e32 v3, v36, v4
	v_lshlrev_b32_e32 v3, 2, v3
	ds_write_b32 v3, v1
.LBB1032_140:
	s_or_b64 exec, exec, s[30:31]
	s_waitcnt lgkmcnt(0)
	s_barrier
.LBB1032_141:
	s_cmpk_lg_i32 s33, 0xf00
	s_cselect_b64 s[2:3], -1, 0
	s_and_b64 s[0:1], s[0:1], s[34:35]
	v_cndmask_b32_e64 v9, v82, 0, s[0:1]
	s_mul_hi_u32 s0, s33, 0x88888889
	s_lshr_b32 s0, s0, 3
	v_mad_i32_i24 v10, v0, -15, s33
	v_cmp_eq_u32_e32 vcc, s0, v0
	v_cmp_ne_u32_e64 s[0:1], 0, v10
	v_cndmask_b32_e64 v11, 1, v9, s[0:1]
	v_cmp_ne_u32_e64 s[0:1], 1, v10
	v_cndmask_b32_e64 v12, 1, v79, s[0:1]
	v_cmp_ne_u32_e64 s[0:1], 2, v10
	v_cndmask_b32_e64 v13, 1, v78, s[0:1]
	v_cmp_ne_u32_e64 s[0:1], 3, v10
	v_cndmask_b32_e64 v14, 1, v77, s[0:1]
	v_cmp_ne_u32_e64 s[0:1], 4, v10
	v_cndmask_b32_e64 v15, 1, v76, s[0:1]
	v_cmp_ne_u32_e64 s[0:1], 5, v10
	v_cndmask_b32_e64 v16, 1, v75, s[0:1]
	v_cmp_ne_u32_e64 s[0:1], 6, v10
	v_cndmask_b32_e64 v17, 1, v74, s[0:1]
	v_cmp_ne_u32_e64 s[0:1], 7, v10
	v_cndmask_b32_e64 v18, 1, v73, s[0:1]
	v_cmp_ne_u32_e64 s[0:1], 8, v10
	v_cndmask_b32_e64 v19, 1, v72, s[0:1]
	v_cmp_ne_u32_e64 s[0:1], 9, v10
	v_cndmask_b32_e64 v20, 1, v71, s[0:1]
	v_cmp_ne_u32_e64 s[0:1], 10, v10
	v_cndmask_b32_e64 v21, 1, v70, s[0:1]
	v_cmp_ne_u32_e64 s[0:1], 11, v10
	v_cndmask_b32_e64 v22, 1, v69, s[0:1]
	v_cmp_ne_u32_e64 s[0:1], 12, v10
	v_cndmask_b32_e64 v23, 1, v68, s[0:1]
	v_cmp_ne_u32_e64 s[0:1], 13, v10
	v_cndmask_b32_e64 v24, 1, v67, s[0:1]
	v_cmp_ne_u32_e64 s[0:1], 14, v10
	v_cndmask_b32_e64 v10, 1, v66, s[0:1]
	s_and_b64 vcc, vcc, s[40:41]
	v_cndmask_b32_e32 v25, v66, v10, vcc
	v_cndmask_b32_e32 v29, v9, v11, vcc
	s_waitcnt vmcnt(0)
	v_lshlrev_b64 v[10:11], 2, v[6:7]
	v_mov_b32_e32 v5, 0
	v_cndmask_b32_e32 v24, v67, v24, vcc
	v_cndmask_b32_e32 v23, v68, v23, vcc
	;; [unrolled: 1-line block ×13, first 2 shown]
	v_mov_b32_e32 v9, s45
	v_add_co_u32_e32 v12, vcc, s44, v10
	v_addc_co_u32_e32 v9, vcc, v9, v11, vcc
	v_lshlrev_b64 v[10:11], 2, v[4:5]
	v_cndmask_b32_e64 v1, 0, 1, s[34:35]
	v_add_co_u32_e32 v5, vcc, v12, v10
	v_addc_co_u32_e32 v12, vcc, v9, v11, vcc
	v_lshlrev_b32_e32 v9, 2, v1
	v_add_co_u32_e32 v9, vcc, v9, v5
	v_addc_co_u32_e32 v10, vcc, 0, v12, vcc
	v_add_co_u32_e32 v13, vcc, -4, v9
	v_addc_co_u32_e32 v14, vcc, -1, v10, vcc
	v_cmp_eq_u32_e32 vcc, 0, v29
	v_cndmask_b32_e64 v10, 1, 2, vcc
	v_cmp_eq_u32_e32 vcc, 0, v28
	v_cndmask_b32_e64 v11, 1, 2, vcc
	v_cmp_eq_u32_e32 vcc, 0, v27
	v_and_b32_e32 v10, v11, v10
	v_cndmask_b32_e64 v11, 1, 2, vcc
	v_cmp_eq_u32_e32 vcc, 0, v26
	v_and_b32_e32 v10, v10, v11
	;; [unrolled: 3-line block ×10, first 2 shown]
	v_cndmask_b32_e64 v11, 1, 2, vcc
	v_cmp_eq_u32_e32 vcc, 0, v23
	s_and_b64 s[2:3], s[2:3], s[40:41]
	v_and_b32_e32 v10, v10, v11
	v_cndmask_b32_e64 v11, 1, 2, vcc
	v_cmp_eq_u32_e32 vcc, 0, v24
	v_sub_u32_e32 v3, v2, v1
	v_cndmask_b32_e64 v8, 0, 1, s[2:3]
	v_and_b32_e32 v10, v10, v11
	v_cndmask_b32_e64 v11, 1, 2, vcc
	v_cmp_eq_u32_e32 vcc, 0, v25
	v_add_u32_e32 v3, v3, v8
	v_and_b32_e32 v10, v10, v11
	v_cndmask_b32_e64 v11, 1, 2, vcc
	v_and_b32_e32 v10, v10, v11
	v_cmp_gt_u32_e32 vcc, s38, v3
	v_add_u32_e32 v9, v4, v1
	v_cmp_ne_u32_e64 s[28:29], 0, v29
	v_cmp_ne_u32_e64 s[26:27], 0, v28
	;; [unrolled: 1-line block ×15, first 2 shown]
	s_mov_b64 s[34:35], -1
	v_cmp_gt_i16_e64 s[30:31], 2, v10
	s_barrier
	s_cbranch_vccz .LBB1032_148
; %bb.142:
	s_and_saveexec_b64 s[34:35], s[30:31]
	s_cbranch_execz .LBB1032_147
; %bb.143:
	v_cmp_ne_u16_e32 vcc, 1, v10
	s_mov_b64 s[36:37], 0
	s_and_saveexec_b64 s[30:31], vcc
	s_xor_b64 s[30:31], exec, s[30:31]
	s_cbranch_execnz .LBB1032_192
; %bb.144:
	s_andn2_saveexec_b64 s[30:31], s[30:31]
	s_cbranch_execnz .LBB1032_208
.LBB1032_145:
	s_or_b64 exec, exec, s[30:31]
	s_and_b64 exec, exec, s[36:37]
	s_cbranch_execz .LBB1032_147
.LBB1032_146:
	v_sub_u32_e32 v16, v36, v9
	v_mov_b32_e32 v17, 0
	v_lshlrev_b64 v[16:17], 2, v[16:17]
	v_add_co_u32_e32 v16, vcc, v13, v16
	v_addc_co_u32_e32 v17, vcc, v14, v17, vcc
	global_store_dword v[16:17], v37, off
.LBB1032_147:
	s_or_b64 exec, exec, s[34:35]
	s_mov_b64 s[34:35], 0
.LBB1032_148:
	s_and_b64 vcc, exec, s[34:35]
	s_cbranch_vccz .LBB1032_170
; %bb.149:
	v_cmp_gt_i16_e32 vcc, 2, v10
	s_and_saveexec_b64 s[30:31], vcc
	s_cbranch_execz .LBB1032_154
; %bb.150:
	v_cmp_ne_u16_e32 vcc, 1, v10
	s_mov_b64 s[36:37], 0
	s_and_saveexec_b64 s[34:35], vcc
	s_xor_b64 s[34:35], exec, s[34:35]
	s_cbranch_execnz .LBB1032_209
; %bb.151:
	s_andn2_saveexec_b64 s[0:1], s[34:35]
	s_cbranch_execnz .LBB1032_225
.LBB1032_152:
	s_or_b64 exec, exec, s[0:1]
	s_and_b64 exec, exec, s[36:37]
	s_cbranch_execz .LBB1032_154
.LBB1032_153:
	v_sub_u32_e32 v9, v36, v9
	v_lshlrev_b32_e32 v9, 2, v9
	ds_write_b32 v9, v37
.LBB1032_154:
	s_or_b64 exec, exec, s[30:31]
	v_cmp_lt_u32_e32 vcc, v0, v3
	s_waitcnt lgkmcnt(0)
	s_barrier
	s_and_saveexec_b64 s[2:3], vcc
	s_cbranch_execz .LBB1032_169
; %bb.155:
	v_add_u32_e32 v10, v2, v8
	v_xad_u32 v8, v0, -1, v10
	v_sub_u32_e32 v9, v8, v1
	s_movk_i32 s0, 0x1900
	v_cmp_gt_u32_e64 s[4:5], s0, v9
	s_movk_i32 s0, 0x18ff
	v_cmp_lt_u32_e32 vcc, s0, v9
	v_mov_b32_e32 v8, v0
	s_and_saveexec_b64 s[6:7], vcc
	s_cbranch_execz .LBB1032_166
; %bb.156:
	v_sub_u32_e32 v8, v0, v10
	v_add_u32_e32 v1, v8, v1
	v_or_b32_e32 v1, 0xff, v1
	v_cmp_ge_u32_e32 vcc, v1, v0
	s_mov_b64 s[0:1], -1
	v_mov_b32_e32 v8, v0
	s_and_saveexec_b64 s[8:9], vcc
	s_cbranch_execz .LBB1032_165
; %bb.157:
	v_lshrrev_b32_e32 v15, 8, v9
	v_add_u32_e32 v8, -1, v15
	v_or_b32_e32 v1, 0x100, v0
	v_lshrrev_b32_e32 v9, 1, v8
	v_add_u32_e32 v17, 1, v9
	v_cmp_lt_u32_e32 vcc, 13, v8
	v_mov_b32_e32 v20, 0
	v_lshlrev_b32_e32 v16, 2, v0
	v_pk_mov_b32 v[8:9], v[0:1], v[0:1] op_sel:[0,1]
	s_and_saveexec_b64 s[10:11], vcc
	s_cbranch_execz .LBB1032_161
; %bb.158:
	v_and_b32_e32 v18, -8, v17
	s_mov_b32 s14, 0
	s_mov_b64 s[12:13], 0
	v_mov_b32_e32 v11, 0
	v_mov_b32_e32 v19, v16
	v_pk_mov_b32 v[8:9], v[0:1], v[0:1] op_sel:[0,1]
.LBB1032_159:                           ; =>This Inner Loop Header: Depth=1
	v_mov_b32_e32 v10, v8
	v_add_u32_e32 v18, -8, v18
	v_lshlrev_b64 v[50:51], 2, v[10:11]
	v_mov_b32_e32 v10, v9
	ds_read2st64_b32 v[22:23], v19 offset1:4
	s_add_i32 s14, s14, 16
	v_cmp_eq_u32_e32 vcc, 0, v18
	v_lshlrev_b64 v[54:55], 2, v[10:11]
	v_add_u32_e32 v10, 0x200, v8
	s_or_b64 s[12:13], vcc, s[12:13]
	v_add_co_u32_e32 v54, vcc, v13, v54
	v_add_u32_e32 v20, 0x200, v9
	v_mov_b32_e32 v21, v11
	ds_read2st64_b32 v[24:25], v19 offset0:8 offset1:12
	ds_read2st64_b32 v[28:29], v19 offset0:16 offset1:20
	v_add_co_u32_e64 v50, s[0:1], v13, v50
	v_addc_co_u32_e32 v55, vcc, v14, v55, vcc
	v_lshlrev_b64 v[56:57], 2, v[10:11]
	v_lshlrev_b64 v[52:53], 2, v[20:21]
	v_addc_co_u32_e64 v51, s[0:1], v14, v51, s[0:1]
	v_add_u32_e32 v10, 0x400, v8
	v_add_co_u32_e32 v56, vcc, v13, v56
	v_add_u32_e32 v26, 0x400, v9
	v_mov_b32_e32 v27, v11
	ds_read2st64_b32 v[32:33], v19 offset0:24 offset1:28
	v_add_co_u32_e64 v52, s[0:1], v13, v52
	v_addc_co_u32_e32 v57, vcc, v14, v57, vcc
	v_lshlrev_b64 v[58:59], 2, v[10:11]
	ds_read2st64_b32 v[36:37], v19 offset0:32 offset1:36
	ds_read2st64_b32 v[40:41], v19 offset0:40 offset1:44
	ds_read2st64_b32 v[44:45], v19 offset0:48 offset1:52
	ds_read2st64_b32 v[48:49], v19 offset0:56 offset1:60
	v_lshlrev_b64 v[26:27], 2, v[26:27]
	v_addc_co_u32_e64 v53, s[0:1], v14, v53, s[0:1]
	v_add_u32_e32 v10, 0x600, v8
	s_waitcnt lgkmcnt(7)
	global_store_dword v[50:51], v22, off
	global_store_dword v[54:55], v23, off
	s_waitcnt lgkmcnt(6)
	global_store_dword v[56:57], v24, off
	global_store_dword v[52:53], v25, off
	v_add_co_u32_e32 v22, vcc, v13, v58
	v_add_u32_e32 v30, 0x600, v9
	v_mov_b32_e32 v31, v11
	v_add_co_u32_e64 v26, s[0:1], v13, v26
	v_addc_co_u32_e32 v23, vcc, v14, v59, vcc
	v_lshlrev_b64 v[24:25], 2, v[10:11]
	v_lshlrev_b64 v[30:31], 2, v[30:31]
	v_addc_co_u32_e64 v27, s[0:1], v14, v27, s[0:1]
	v_add_u32_e32 v10, 0x800, v8
	s_waitcnt lgkmcnt(5)
	global_store_dword v[22:23], v28, off
	global_store_dword v[26:27], v29, off
	v_add_co_u32_e32 v22, vcc, v13, v24
	v_add_u32_e32 v34, 0x800, v9
	v_mov_b32_e32 v35, v11
	v_add_co_u32_e64 v30, s[0:1], v13, v30
	v_addc_co_u32_e32 v23, vcc, v14, v25, vcc
	v_lshlrev_b64 v[24:25], 2, v[10:11]
	v_lshlrev_b64 v[34:35], 2, v[34:35]
	v_addc_co_u32_e64 v31, s[0:1], v14, v31, s[0:1]
	v_add_u32_e32 v10, 0xa00, v8
	;; [unrolled: 12-line block ×4, first 2 shown]
	s_waitcnt lgkmcnt(2)
	global_store_dword v[22:23], v40, off
	global_store_dword v[38:39], v41, off
	v_add_co_u32_e32 v22, vcc, v13, v24
	v_add_u32_e32 v46, 0xe00, v9
	v_mov_b32_e32 v47, v11
	v_add_co_u32_e64 v42, s[0:1], v13, v42
	v_addc_co_u32_e32 v23, vcc, v14, v25, vcc
	v_lshlrev_b64 v[24:25], 2, v[10:11]
	v_lshlrev_b64 v[46:47], 2, v[46:47]
	v_addc_co_u32_e64 v43, s[0:1], v14, v43, s[0:1]
	s_waitcnt lgkmcnt(1)
	global_store_dword v[22:23], v44, off
	global_store_dword v[42:43], v45, off
	v_add_co_u32_e32 v22, vcc, v13, v24
	v_add_u32_e32 v19, 0x4000, v19
	v_add_u32_e32 v9, 0x1000, v9
	v_mov_b32_e32 v20, s14
	v_add_co_u32_e64 v46, s[0:1], v13, v46
	v_add_u32_e32 v8, 0x1000, v8
	v_addc_co_u32_e32 v23, vcc, v14, v25, vcc
	v_addc_co_u32_e64 v47, s[0:1], v14, v47, s[0:1]
	s_waitcnt lgkmcnt(0)
	global_store_dword v[22:23], v48, off
	global_store_dword v[46:47], v49, off
	s_andn2_b64 exec, exec, s[12:13]
	s_cbranch_execnz .LBB1032_159
; %bb.160:
	s_or_b64 exec, exec, s[12:13]
.LBB1032_161:
	s_or_b64 exec, exec, s[10:11]
	v_and_b32_e32 v1, 7, v17
	v_cmp_ne_u32_e32 vcc, 0, v1
	s_and_saveexec_b64 s[10:11], vcc
	s_cbranch_execz .LBB1032_164
; %bb.162:
	v_lshl_or_b32 v16, v20, 10, v16
	s_mov_b64 s[12:13], 0
	v_mov_b32_e32 v11, 0
.LBB1032_163:                           ; =>This Inner Loop Header: Depth=1
	ds_read2st64_b32 v[18:19], v16 offset1:4
	v_mov_b32_e32 v10, v8
	v_add_u32_e32 v1, -1, v1
	v_lshlrev_b64 v[20:21], 2, v[10:11]
	v_mov_b32_e32 v10, v9
	v_cmp_eq_u32_e32 vcc, 0, v1
	v_add_co_u32_e64 v20, s[0:1], v13, v20
	v_lshlrev_b64 v[22:23], 2, v[10:11]
	v_add_u32_e32 v8, 0x200, v8
	v_add_u32_e32 v16, 0x800, v16
	;; [unrolled: 1-line block ×3, first 2 shown]
	v_addc_co_u32_e64 v21, s[0:1], v14, v21, s[0:1]
	s_or_b64 s[12:13], vcc, s[12:13]
	v_add_co_u32_e32 v22, vcc, v13, v22
	v_addc_co_u32_e32 v23, vcc, v14, v23, vcc
	s_waitcnt lgkmcnt(0)
	global_store_dword v[20:21], v18, off
	global_store_dword v[22:23], v19, off
	s_andn2_b64 exec, exec, s[12:13]
	s_cbranch_execnz .LBB1032_163
.LBB1032_164:
	s_or_b64 exec, exec, s[10:11]
	v_add_u32_e32 v1, 1, v15
	v_and_b32_e32 v9, 0x1fffffe, v1
	v_cmp_ne_u32_e32 vcc, v1, v9
	v_lshl_or_b32 v8, v9, 8, v0
	s_orn2_b64 s[0:1], vcc, exec
.LBB1032_165:
	s_or_b64 exec, exec, s[8:9]
	s_andn2_b64 s[4:5], s[4:5], exec
	s_and_b64 s[0:1], s[0:1], exec
	s_or_b64 s[4:5], s[4:5], s[0:1]
.LBB1032_166:
	s_or_b64 exec, exec, s[6:7]
	s_and_b64 exec, exec, s[4:5]
	s_cbranch_execz .LBB1032_169
; %bb.167:
	v_lshlrev_b32_e32 v1, 2, v8
	s_mov_b64 s[0:1], 0
	v_mov_b32_e32 v9, 0
.LBB1032_168:                           ; =>This Inner Loop Header: Depth=1
	v_lshlrev_b64 v[10:11], 2, v[8:9]
	ds_read_b32 v15, v1
	v_add_co_u32_e32 v10, vcc, v13, v10
	v_add_u32_e32 v8, 0x100, v8
	v_addc_co_u32_e32 v11, vcc, v14, v11, vcc
	v_cmp_ge_u32_e32 vcc, v8, v3
	v_add_u32_e32 v1, 0x400, v1
	s_or_b64 s[0:1], vcc, s[0:1]
	s_waitcnt lgkmcnt(0)
	global_store_dword v[10:11], v15, off
	s_andn2_b64 exec, exec, s[0:1]
	s_cbranch_execnz .LBB1032_168
.LBB1032_169:
	s_or_b64 exec, exec, s[2:3]
.LBB1032_170:
	s_movk_i32 s0, 0xff
	v_cmp_eq_u32_e32 vcc, s0, v0
	s_and_b64 s[0:1], vcc, s[40:41]
	s_and_saveexec_b64 s[2:3], s[0:1]
	s_cbranch_execz .LBB1032_173
; %bb.171:
	v_add_co_u32_e32 v0, vcc, v2, v4
	v_addc_co_u32_e64 v1, s[0:1], 0, 0, vcc
	v_add_co_u32_e32 v0, vcc, v0, v6
	v_mov_b32_e32 v3, 0
	v_addc_co_u32_e32 v1, vcc, v1, v7, vcc
	s_cmpk_lg_i32 s33, 0xf00
	global_store_dwordx2 v3, v[0:1], s[46:47]
	s_cbranch_scc1 .LBB1032_173
; %bb.172:
	v_lshlrev_b64 v[0:1], 2, v[2:3]
	v_add_co_u32_e32 v0, vcc, v5, v0
	v_addc_co_u32_e32 v1, vcc, v12, v1, vcc
	global_store_dword v[0:1], v81, off offset:-4
.LBB1032_173:
	s_endpgm
.LBB1032_174:
	s_or_b64 exec, exec, s[8:9]
	v_mov_b32_e32 v82, s12
	s_and_saveexec_b64 s[2:3], s[6:7]
	s_cbranch_execnz .LBB1032_88
	s_branch .LBB1032_89
.LBB1032_175:
	s_and_saveexec_b64 s[36:37], s[20:21]
	s_cbranch_execnz .LBB1032_226
; %bb.176:
	s_or_b64 exec, exec, s[36:37]
	s_and_saveexec_b64 s[20:21], s[26:27]
	s_cbranch_execnz .LBB1032_227
.LBB1032_177:
	s_or_b64 exec, exec, s[20:21]
	s_and_saveexec_b64 s[20:21], s[24:25]
	s_cbranch_execnz .LBB1032_228
.LBB1032_178:
	s_or_b64 exec, exec, s[20:21]
	s_and_saveexec_b64 s[20:21], s[22:23]
	s_cbranch_execnz .LBB1032_229
.LBB1032_179:
	s_or_b64 exec, exec, s[20:21]
	s_and_saveexec_b64 s[20:21], s[18:19]
	s_cbranch_execnz .LBB1032_230
.LBB1032_180:
	s_or_b64 exec, exec, s[20:21]
	s_and_saveexec_b64 s[18:19], s[16:17]
	s_cbranch_execnz .LBB1032_231
.LBB1032_181:
	s_or_b64 exec, exec, s[18:19]
	s_and_saveexec_b64 s[16:17], s[14:15]
	s_cbranch_execnz .LBB1032_232
.LBB1032_182:
	s_or_b64 exec, exec, s[16:17]
	s_and_saveexec_b64 s[14:15], s[12:13]
	s_cbranch_execnz .LBB1032_233
.LBB1032_183:
	s_or_b64 exec, exec, s[14:15]
	s_and_saveexec_b64 s[12:13], s[10:11]
	s_cbranch_execnz .LBB1032_234
.LBB1032_184:
	s_or_b64 exec, exec, s[12:13]
	s_and_saveexec_b64 s[10:11], s[8:9]
	s_cbranch_execnz .LBB1032_235
.LBB1032_185:
	s_or_b64 exec, exec, s[10:11]
	s_and_saveexec_b64 s[8:9], s[6:7]
	s_cbranch_execnz .LBB1032_236
.LBB1032_186:
	s_or_b64 exec, exec, s[8:9]
	s_and_saveexec_b64 s[6:7], s[4:5]
	s_cbranch_execnz .LBB1032_237
.LBB1032_187:
	s_or_b64 exec, exec, s[6:7]
	s_and_saveexec_b64 s[4:5], s[2:3]
	s_cbranch_execnz .LBB1032_238
.LBB1032_188:
	s_or_b64 exec, exec, s[4:5]
	v_cmp_ne_u32_e64 s[2:3], 0, v66
	s_and_saveexec_b64 s[4:5], vcc
	s_cbranch_execz .LBB1032_190
.LBB1032_189:
	v_sub_u32_e32 v3, v38, v4
	v_lshlrev_b32_e32 v3, 2, v3
	ds_write_b32 v3, v9
.LBB1032_190:
	s_or_b64 exec, exec, s[4:5]
	s_and_b64 s[36:37], s[2:3], exec
                                        ; implicit-def: $vgpr8
                                        ; implicit-def: $vgpr10
                                        ; implicit-def: $vgpr12
                                        ; implicit-def: $vgpr14
                                        ; implicit-def: $vgpr16
                                        ; implicit-def: $vgpr18
                                        ; implicit-def: $vgpr20
	s_andn2_saveexec_b64 s[2:3], s[28:29]
	s_cbranch_execz .LBB1032_138
.LBB1032_191:
	v_sub_u32_e32 v3, v64, v4
	v_lshlrev_b32_e32 v3, 2, v3
	ds_write_b32 v3, v20
	v_sub_u32_e32 v3, v62, v4
	v_lshlrev_b32_e32 v3, 2, v3
	ds_write_b32 v3, v21
	;; [unrolled: 3-line block ×13, first 2 shown]
	v_sub_u32_e32 v3, v38, v4
	v_lshlrev_b32_e32 v3, 2, v3
	s_or_b64 s[36:37], s[36:37], exec
	ds_write_b32 v3, v9
	s_or_b64 exec, exec, s[2:3]
	s_and_b64 exec, exec, s[36:37]
	s_cbranch_execnz .LBB1032_139
	s_branch .LBB1032_140
.LBB1032_192:
	s_and_saveexec_b64 s[36:37], s[28:29]
	s_cbranch_execnz .LBB1032_239
; %bb.193:
	s_or_b64 exec, exec, s[36:37]
	s_and_saveexec_b64 s[36:37], s[26:27]
	s_cbranch_execnz .LBB1032_240
.LBB1032_194:
	s_or_b64 exec, exec, s[36:37]
	s_and_saveexec_b64 s[36:37], s[24:25]
	s_cbranch_execnz .LBB1032_241
.LBB1032_195:
	s_or_b64 exec, exec, s[36:37]
	s_and_saveexec_b64 s[36:37], s[22:23]
	s_cbranch_execnz .LBB1032_242
.LBB1032_196:
	s_or_b64 exec, exec, s[36:37]
	s_and_saveexec_b64 s[36:37], s[20:21]
	s_cbranch_execnz .LBB1032_243
.LBB1032_197:
	s_or_b64 exec, exec, s[36:37]
	s_and_saveexec_b64 s[36:37], s[18:19]
	s_cbranch_execnz .LBB1032_244
.LBB1032_198:
	s_or_b64 exec, exec, s[36:37]
	s_and_saveexec_b64 s[36:37], s[16:17]
	s_cbranch_execnz .LBB1032_245
.LBB1032_199:
	s_or_b64 exec, exec, s[36:37]
	s_and_saveexec_b64 s[36:37], s[14:15]
	s_cbranch_execnz .LBB1032_246
.LBB1032_200:
	s_or_b64 exec, exec, s[36:37]
	s_and_saveexec_b64 s[36:37], s[12:13]
	s_cbranch_execnz .LBB1032_247
.LBB1032_201:
	s_or_b64 exec, exec, s[36:37]
	s_and_saveexec_b64 s[36:37], s[10:11]
	s_cbranch_execnz .LBB1032_248
.LBB1032_202:
	s_or_b64 exec, exec, s[36:37]
	s_and_saveexec_b64 s[36:37], s[8:9]
	s_cbranch_execnz .LBB1032_249
.LBB1032_203:
	s_or_b64 exec, exec, s[36:37]
	s_and_saveexec_b64 s[36:37], s[6:7]
	s_cbranch_execnz .LBB1032_250
.LBB1032_204:
	s_or_b64 exec, exec, s[36:37]
	s_and_saveexec_b64 s[36:37], s[4:5]
	s_cbranch_execnz .LBB1032_251
.LBB1032_205:
	s_or_b64 exec, exec, s[36:37]
	s_and_saveexec_b64 s[36:37], s[2:3]
	s_cbranch_execz .LBB1032_207
.LBB1032_206:
	v_sub_u32_e32 v16, v38, v9
	v_mov_b32_e32 v17, 0
	v_lshlrev_b64 v[16:17], 2, v[16:17]
	v_add_co_u32_e32 v16, vcc, v13, v16
	v_addc_co_u32_e32 v17, vcc, v14, v17, vcc
	global_store_dword v[16:17], v39, off
.LBB1032_207:
	s_or_b64 exec, exec, s[36:37]
	s_and_b64 s[36:37], s[0:1], exec
	s_andn2_saveexec_b64 s[30:31], s[30:31]
	s_cbranch_execz .LBB1032_145
.LBB1032_208:
	v_sub_u32_e32 v16, v64, v9
	v_mov_b32_e32 v17, 0
	v_lshlrev_b64 v[18:19], 2, v[16:17]
	v_add_co_u32_e32 v18, vcc, v13, v18
	v_addc_co_u32_e32 v19, vcc, v14, v19, vcc
	v_sub_u32_e32 v16, v62, v9
	global_store_dword v[18:19], v65, off
	v_lshlrev_b64 v[18:19], 2, v[16:17]
	v_add_co_u32_e32 v18, vcc, v13, v18
	v_addc_co_u32_e32 v19, vcc, v14, v19, vcc
	v_sub_u32_e32 v16, v60, v9
	global_store_dword v[18:19], v63, off
	;; [unrolled: 5-line block ×12, first 2 shown]
	v_lshlrev_b64 v[18:19], 2, v[16:17]
	v_add_co_u32_e32 v18, vcc, v13, v18
	v_sub_u32_e32 v16, v38, v9
	v_addc_co_u32_e32 v19, vcc, v14, v19, vcc
	v_lshlrev_b64 v[16:17], 2, v[16:17]
	v_add_co_u32_e32 v16, vcc, v13, v16
	v_addc_co_u32_e32 v17, vcc, v14, v17, vcc
	s_or_b64 s[36:37], s[36:37], exec
	global_store_dword v[18:19], v41, off
	global_store_dword v[16:17], v39, off
	s_or_b64 exec, exec, s[30:31]
	s_and_b64 exec, exec, s[36:37]
	s_cbranch_execnz .LBB1032_146
	s_branch .LBB1032_147
.LBB1032_209:
	s_and_saveexec_b64 s[36:37], s[28:29]
	s_cbranch_execnz .LBB1032_252
; %bb.210:
	s_or_b64 exec, exec, s[36:37]
	s_and_saveexec_b64 s[28:29], s[26:27]
	s_cbranch_execnz .LBB1032_253
.LBB1032_211:
	s_or_b64 exec, exec, s[28:29]
	s_and_saveexec_b64 s[26:27], s[24:25]
	s_cbranch_execnz .LBB1032_254
.LBB1032_212:
	s_or_b64 exec, exec, s[26:27]
	s_and_saveexec_b64 s[24:25], s[22:23]
	s_cbranch_execnz .LBB1032_255
.LBB1032_213:
	s_or_b64 exec, exec, s[24:25]
	s_and_saveexec_b64 s[22:23], s[20:21]
	s_cbranch_execnz .LBB1032_256
.LBB1032_214:
	s_or_b64 exec, exec, s[22:23]
	s_and_saveexec_b64 s[20:21], s[18:19]
	s_cbranch_execnz .LBB1032_257
.LBB1032_215:
	s_or_b64 exec, exec, s[20:21]
	s_and_saveexec_b64 s[18:19], s[16:17]
	s_cbranch_execnz .LBB1032_258
.LBB1032_216:
	s_or_b64 exec, exec, s[18:19]
	s_and_saveexec_b64 s[16:17], s[14:15]
	s_cbranch_execnz .LBB1032_259
.LBB1032_217:
	s_or_b64 exec, exec, s[16:17]
	s_and_saveexec_b64 s[14:15], s[12:13]
	s_cbranch_execnz .LBB1032_260
.LBB1032_218:
	s_or_b64 exec, exec, s[14:15]
	s_and_saveexec_b64 s[12:13], s[10:11]
	s_cbranch_execnz .LBB1032_261
.LBB1032_219:
	s_or_b64 exec, exec, s[12:13]
	s_and_saveexec_b64 s[10:11], s[8:9]
	s_cbranch_execnz .LBB1032_262
.LBB1032_220:
	s_or_b64 exec, exec, s[10:11]
	s_and_saveexec_b64 s[8:9], s[6:7]
	s_cbranch_execnz .LBB1032_263
.LBB1032_221:
	s_or_b64 exec, exec, s[8:9]
	s_and_saveexec_b64 s[6:7], s[4:5]
	s_cbranch_execnz .LBB1032_264
.LBB1032_222:
	s_or_b64 exec, exec, s[6:7]
	s_and_saveexec_b64 s[4:5], s[2:3]
	s_cbranch_execz .LBB1032_224
.LBB1032_223:
	v_sub_u32_e32 v10, v38, v9
	v_lshlrev_b32_e32 v10, 2, v10
	ds_write_b32 v10, v39
.LBB1032_224:
	s_or_b64 exec, exec, s[4:5]
	s_and_b64 s[36:37], s[0:1], exec
                                        ; implicit-def: $vgpr64_vgpr65
                                        ; implicit-def: $vgpr62_vgpr63
                                        ; implicit-def: $vgpr60_vgpr61
                                        ; implicit-def: $vgpr58_vgpr59
                                        ; implicit-def: $vgpr56_vgpr57
                                        ; implicit-def: $vgpr54_vgpr55
                                        ; implicit-def: $vgpr52_vgpr53
                                        ; implicit-def: $vgpr50_vgpr51
                                        ; implicit-def: $vgpr48_vgpr49
                                        ; implicit-def: $vgpr46_vgpr47
                                        ; implicit-def: $vgpr44_vgpr45
                                        ; implicit-def: $vgpr42_vgpr43
                                        ; implicit-def: $vgpr40_vgpr41
                                        ; implicit-def: $vgpr38_vgpr39
	s_andn2_saveexec_b64 s[0:1], s[34:35]
	s_cbranch_execz .LBB1032_152
.LBB1032_225:
	v_sub_u32_e32 v10, v64, v9
	v_lshlrev_b32_e32 v10, 2, v10
	ds_write_b32 v10, v65
	v_sub_u32_e32 v10, v62, v9
	v_lshlrev_b32_e32 v10, 2, v10
	ds_write_b32 v10, v63
	;; [unrolled: 3-line block ×13, first 2 shown]
	v_sub_u32_e32 v10, v38, v9
	v_lshlrev_b32_e32 v10, 2, v10
	s_or_b64 s[36:37], s[36:37], exec
	ds_write_b32 v10, v39
	s_or_b64 exec, exec, s[0:1]
	s_and_b64 exec, exec, s[36:37]
	s_cbranch_execnz .LBB1032_153
	s_branch .LBB1032_154
.LBB1032_226:
	v_sub_u32_e32 v3, v64, v4
	v_lshlrev_b32_e32 v3, 2, v3
	ds_write_b32 v3, v20
	s_or_b64 exec, exec, s[36:37]
	s_and_saveexec_b64 s[20:21], s[26:27]
	s_cbranch_execz .LBB1032_177
.LBB1032_227:
	v_sub_u32_e32 v3, v62, v4
	v_lshlrev_b32_e32 v3, 2, v3
	ds_write_b32 v3, v21
	s_or_b64 exec, exec, s[20:21]
	s_and_saveexec_b64 s[20:21], s[24:25]
	s_cbranch_execz .LBB1032_178
.LBB1032_228:
	v_sub_u32_e32 v3, v60, v4
	v_lshlrev_b32_e32 v3, 2, v3
	ds_write_b32 v3, v18
	s_or_b64 exec, exec, s[20:21]
	s_and_saveexec_b64 s[20:21], s[22:23]
	s_cbranch_execz .LBB1032_179
.LBB1032_229:
	v_sub_u32_e32 v3, v58, v4
	v_lshlrev_b32_e32 v3, 2, v3
	ds_write_b32 v3, v19
	s_or_b64 exec, exec, s[20:21]
	s_and_saveexec_b64 s[20:21], s[18:19]
	s_cbranch_execz .LBB1032_180
.LBB1032_230:
	v_sub_u32_e32 v3, v56, v4
	v_lshlrev_b32_e32 v3, 2, v3
	ds_write_b32 v3, v16
	s_or_b64 exec, exec, s[20:21]
	s_and_saveexec_b64 s[18:19], s[16:17]
	s_cbranch_execz .LBB1032_181
.LBB1032_231:
	v_sub_u32_e32 v3, v54, v4
	v_lshlrev_b32_e32 v3, 2, v3
	ds_write_b32 v3, v17
	s_or_b64 exec, exec, s[18:19]
	s_and_saveexec_b64 s[16:17], s[14:15]
	s_cbranch_execz .LBB1032_182
.LBB1032_232:
	v_sub_u32_e32 v3, v52, v4
	v_lshlrev_b32_e32 v3, 2, v3
	ds_write_b32 v3, v14
	s_or_b64 exec, exec, s[16:17]
	s_and_saveexec_b64 s[14:15], s[12:13]
	s_cbranch_execz .LBB1032_183
.LBB1032_233:
	v_sub_u32_e32 v3, v50, v4
	v_lshlrev_b32_e32 v3, 2, v3
	ds_write_b32 v3, v15
	s_or_b64 exec, exec, s[14:15]
	s_and_saveexec_b64 s[12:13], s[10:11]
	s_cbranch_execz .LBB1032_184
.LBB1032_234:
	v_sub_u32_e32 v3, v48, v4
	v_lshlrev_b32_e32 v3, 2, v3
	ds_write_b32 v3, v12
	s_or_b64 exec, exec, s[12:13]
	s_and_saveexec_b64 s[10:11], s[8:9]
	s_cbranch_execz .LBB1032_185
.LBB1032_235:
	v_sub_u32_e32 v3, v46, v4
	v_lshlrev_b32_e32 v3, 2, v3
	ds_write_b32 v3, v13
	s_or_b64 exec, exec, s[10:11]
	s_and_saveexec_b64 s[8:9], s[6:7]
	s_cbranch_execz .LBB1032_186
.LBB1032_236:
	v_sub_u32_e32 v3, v44, v4
	v_lshlrev_b32_e32 v3, 2, v3
	ds_write_b32 v3, v10
	s_or_b64 exec, exec, s[8:9]
	s_and_saveexec_b64 s[6:7], s[4:5]
	s_cbranch_execz .LBB1032_187
.LBB1032_237:
	v_sub_u32_e32 v3, v42, v4
	v_lshlrev_b32_e32 v3, 2, v3
	ds_write_b32 v3, v11
	s_or_b64 exec, exec, s[6:7]
	s_and_saveexec_b64 s[4:5], s[2:3]
	s_cbranch_execz .LBB1032_188
.LBB1032_238:
	v_sub_u32_e32 v3, v40, v4
	v_lshlrev_b32_e32 v3, 2, v3
	ds_write_b32 v3, v8
	s_or_b64 exec, exec, s[4:5]
	v_cmp_ne_u32_e64 s[2:3], 0, v66
	s_and_saveexec_b64 s[4:5], vcc
	s_cbranch_execnz .LBB1032_189
	s_branch .LBB1032_190
.LBB1032_239:
	v_sub_u32_e32 v16, v64, v9
	v_mov_b32_e32 v17, 0
	v_lshlrev_b64 v[16:17], 2, v[16:17]
	v_add_co_u32_e32 v16, vcc, v13, v16
	v_addc_co_u32_e32 v17, vcc, v14, v17, vcc
	global_store_dword v[16:17], v65, off
	s_or_b64 exec, exec, s[36:37]
	s_and_saveexec_b64 s[36:37], s[26:27]
	s_cbranch_execz .LBB1032_194
.LBB1032_240:
	v_sub_u32_e32 v16, v62, v9
	v_mov_b32_e32 v17, 0
	v_lshlrev_b64 v[16:17], 2, v[16:17]
	v_add_co_u32_e32 v16, vcc, v13, v16
	v_addc_co_u32_e32 v17, vcc, v14, v17, vcc
	global_store_dword v[16:17], v63, off
	s_or_b64 exec, exec, s[36:37]
	s_and_saveexec_b64 s[36:37], s[24:25]
	s_cbranch_execz .LBB1032_195
.LBB1032_241:
	v_sub_u32_e32 v16, v60, v9
	v_mov_b32_e32 v17, 0
	v_lshlrev_b64 v[16:17], 2, v[16:17]
	v_add_co_u32_e32 v16, vcc, v13, v16
	v_addc_co_u32_e32 v17, vcc, v14, v17, vcc
	global_store_dword v[16:17], v61, off
	s_or_b64 exec, exec, s[36:37]
	s_and_saveexec_b64 s[36:37], s[22:23]
	s_cbranch_execz .LBB1032_196
.LBB1032_242:
	v_sub_u32_e32 v16, v58, v9
	v_mov_b32_e32 v17, 0
	v_lshlrev_b64 v[16:17], 2, v[16:17]
	v_add_co_u32_e32 v16, vcc, v13, v16
	v_addc_co_u32_e32 v17, vcc, v14, v17, vcc
	global_store_dword v[16:17], v59, off
	s_or_b64 exec, exec, s[36:37]
	s_and_saveexec_b64 s[36:37], s[20:21]
	s_cbranch_execz .LBB1032_197
.LBB1032_243:
	v_sub_u32_e32 v16, v56, v9
	v_mov_b32_e32 v17, 0
	v_lshlrev_b64 v[16:17], 2, v[16:17]
	v_add_co_u32_e32 v16, vcc, v13, v16
	v_addc_co_u32_e32 v17, vcc, v14, v17, vcc
	global_store_dword v[16:17], v57, off
	s_or_b64 exec, exec, s[36:37]
	s_and_saveexec_b64 s[36:37], s[18:19]
	s_cbranch_execz .LBB1032_198
.LBB1032_244:
	v_sub_u32_e32 v16, v54, v9
	v_mov_b32_e32 v17, 0
	v_lshlrev_b64 v[16:17], 2, v[16:17]
	v_add_co_u32_e32 v16, vcc, v13, v16
	v_addc_co_u32_e32 v17, vcc, v14, v17, vcc
	global_store_dword v[16:17], v55, off
	s_or_b64 exec, exec, s[36:37]
	s_and_saveexec_b64 s[36:37], s[16:17]
	s_cbranch_execz .LBB1032_199
.LBB1032_245:
	v_sub_u32_e32 v16, v52, v9
	v_mov_b32_e32 v17, 0
	v_lshlrev_b64 v[16:17], 2, v[16:17]
	v_add_co_u32_e32 v16, vcc, v13, v16
	v_addc_co_u32_e32 v17, vcc, v14, v17, vcc
	global_store_dword v[16:17], v53, off
	s_or_b64 exec, exec, s[36:37]
	s_and_saveexec_b64 s[36:37], s[14:15]
	s_cbranch_execz .LBB1032_200
.LBB1032_246:
	v_sub_u32_e32 v16, v50, v9
	v_mov_b32_e32 v17, 0
	v_lshlrev_b64 v[16:17], 2, v[16:17]
	v_add_co_u32_e32 v16, vcc, v13, v16
	v_addc_co_u32_e32 v17, vcc, v14, v17, vcc
	global_store_dword v[16:17], v51, off
	s_or_b64 exec, exec, s[36:37]
	s_and_saveexec_b64 s[36:37], s[12:13]
	s_cbranch_execz .LBB1032_201
.LBB1032_247:
	v_sub_u32_e32 v16, v48, v9
	v_mov_b32_e32 v17, 0
	v_lshlrev_b64 v[16:17], 2, v[16:17]
	v_add_co_u32_e32 v16, vcc, v13, v16
	v_addc_co_u32_e32 v17, vcc, v14, v17, vcc
	global_store_dword v[16:17], v49, off
	s_or_b64 exec, exec, s[36:37]
	s_and_saveexec_b64 s[36:37], s[10:11]
	s_cbranch_execz .LBB1032_202
.LBB1032_248:
	v_sub_u32_e32 v16, v46, v9
	v_mov_b32_e32 v17, 0
	v_lshlrev_b64 v[16:17], 2, v[16:17]
	v_add_co_u32_e32 v16, vcc, v13, v16
	v_addc_co_u32_e32 v17, vcc, v14, v17, vcc
	global_store_dword v[16:17], v47, off
	s_or_b64 exec, exec, s[36:37]
	s_and_saveexec_b64 s[36:37], s[8:9]
	s_cbranch_execz .LBB1032_203
.LBB1032_249:
	v_sub_u32_e32 v16, v44, v9
	v_mov_b32_e32 v17, 0
	v_lshlrev_b64 v[16:17], 2, v[16:17]
	v_add_co_u32_e32 v16, vcc, v13, v16
	v_addc_co_u32_e32 v17, vcc, v14, v17, vcc
	global_store_dword v[16:17], v45, off
	s_or_b64 exec, exec, s[36:37]
	s_and_saveexec_b64 s[36:37], s[6:7]
	s_cbranch_execz .LBB1032_204
.LBB1032_250:
	v_sub_u32_e32 v16, v42, v9
	v_mov_b32_e32 v17, 0
	v_lshlrev_b64 v[16:17], 2, v[16:17]
	v_add_co_u32_e32 v16, vcc, v13, v16
	v_addc_co_u32_e32 v17, vcc, v14, v17, vcc
	global_store_dword v[16:17], v43, off
	s_or_b64 exec, exec, s[36:37]
	s_and_saveexec_b64 s[36:37], s[4:5]
	s_cbranch_execz .LBB1032_205
.LBB1032_251:
	v_sub_u32_e32 v16, v40, v9
	v_mov_b32_e32 v17, 0
	v_lshlrev_b64 v[16:17], 2, v[16:17]
	v_add_co_u32_e32 v16, vcc, v13, v16
	v_addc_co_u32_e32 v17, vcc, v14, v17, vcc
	global_store_dword v[16:17], v41, off
	s_or_b64 exec, exec, s[36:37]
	s_and_saveexec_b64 s[36:37], s[2:3]
	s_cbranch_execnz .LBB1032_206
	s_branch .LBB1032_207
.LBB1032_252:
	v_sub_u32_e32 v10, v64, v9
	v_lshlrev_b32_e32 v10, 2, v10
	ds_write_b32 v10, v65
	s_or_b64 exec, exec, s[36:37]
	s_and_saveexec_b64 s[28:29], s[26:27]
	s_cbranch_execz .LBB1032_211
.LBB1032_253:
	v_sub_u32_e32 v10, v62, v9
	v_lshlrev_b32_e32 v10, 2, v10
	ds_write_b32 v10, v63
	s_or_b64 exec, exec, s[28:29]
	s_and_saveexec_b64 s[26:27], s[24:25]
	s_cbranch_execz .LBB1032_212
.LBB1032_254:
	v_sub_u32_e32 v10, v60, v9
	v_lshlrev_b32_e32 v10, 2, v10
	ds_write_b32 v10, v61
	s_or_b64 exec, exec, s[26:27]
	s_and_saveexec_b64 s[24:25], s[22:23]
	s_cbranch_execz .LBB1032_213
.LBB1032_255:
	v_sub_u32_e32 v10, v58, v9
	v_lshlrev_b32_e32 v10, 2, v10
	ds_write_b32 v10, v59
	s_or_b64 exec, exec, s[24:25]
	s_and_saveexec_b64 s[22:23], s[20:21]
	s_cbranch_execz .LBB1032_214
.LBB1032_256:
	v_sub_u32_e32 v10, v56, v9
	v_lshlrev_b32_e32 v10, 2, v10
	ds_write_b32 v10, v57
	s_or_b64 exec, exec, s[22:23]
	s_and_saveexec_b64 s[20:21], s[18:19]
	s_cbranch_execz .LBB1032_215
.LBB1032_257:
	v_sub_u32_e32 v10, v54, v9
	v_lshlrev_b32_e32 v10, 2, v10
	ds_write_b32 v10, v55
	s_or_b64 exec, exec, s[20:21]
	s_and_saveexec_b64 s[18:19], s[16:17]
	s_cbranch_execz .LBB1032_216
.LBB1032_258:
	v_sub_u32_e32 v10, v52, v9
	v_lshlrev_b32_e32 v10, 2, v10
	ds_write_b32 v10, v53
	s_or_b64 exec, exec, s[18:19]
	s_and_saveexec_b64 s[16:17], s[14:15]
	s_cbranch_execz .LBB1032_217
.LBB1032_259:
	v_sub_u32_e32 v10, v50, v9
	v_lshlrev_b32_e32 v10, 2, v10
	ds_write_b32 v10, v51
	s_or_b64 exec, exec, s[16:17]
	s_and_saveexec_b64 s[14:15], s[12:13]
	s_cbranch_execz .LBB1032_218
.LBB1032_260:
	v_sub_u32_e32 v10, v48, v9
	v_lshlrev_b32_e32 v10, 2, v10
	ds_write_b32 v10, v49
	s_or_b64 exec, exec, s[14:15]
	s_and_saveexec_b64 s[12:13], s[10:11]
	s_cbranch_execz .LBB1032_219
.LBB1032_261:
	v_sub_u32_e32 v10, v46, v9
	v_lshlrev_b32_e32 v10, 2, v10
	ds_write_b32 v10, v47
	s_or_b64 exec, exec, s[12:13]
	s_and_saveexec_b64 s[10:11], s[8:9]
	s_cbranch_execz .LBB1032_220
.LBB1032_262:
	v_sub_u32_e32 v10, v44, v9
	v_lshlrev_b32_e32 v10, 2, v10
	ds_write_b32 v10, v45
	s_or_b64 exec, exec, s[10:11]
	s_and_saveexec_b64 s[8:9], s[6:7]
	s_cbranch_execz .LBB1032_221
.LBB1032_263:
	v_sub_u32_e32 v10, v42, v9
	v_lshlrev_b32_e32 v10, 2, v10
	ds_write_b32 v10, v43
	s_or_b64 exec, exec, s[8:9]
	s_and_saveexec_b64 s[6:7], s[4:5]
	s_cbranch_execz .LBB1032_222
.LBB1032_264:
	v_sub_u32_e32 v10, v40, v9
	v_lshlrev_b32_e32 v10, 2, v10
	ds_write_b32 v10, v41
	s_or_b64 exec, exec, s[6:7]
	s_and_saveexec_b64 s[4:5], s[2:3]
	s_cbranch_execnz .LBB1032_223
	s_branch .LBB1032_224
	.section	.rodata,"a",@progbits
	.p2align	6, 0x0
	.amdhsa_kernel _ZN7rocprim17ROCPRIM_400000_NS6detail17trampoline_kernelINS0_14default_configENS1_29reduce_by_key_config_selectorIjiN6thrust23THRUST_200600_302600_NS4plusIiEEEEZZNS1_33reduce_by_key_impl_wrapped_configILNS1_25lookback_scan_determinismE0ES3_S9_NS6_6detail15normal_iteratorINS6_10device_ptrIjEEEENSD_INSE_IiEEEENS6_16discard_iteratorINS6_11use_defaultEEESI_PmS8_NS6_8equal_toIjEEEE10hipError_tPvRmT2_T3_mT4_T5_T6_T7_T8_P12ihipStream_tbENKUlT_T0_E_clISt17integral_constantIbLb1EES16_EEDaS11_S12_EUlS11_E_NS1_11comp_targetILNS1_3genE4ELNS1_11target_archE910ELNS1_3gpuE8ELNS1_3repE0EEENS1_30default_config_static_selectorELNS0_4arch9wavefront6targetE1EEEvT1_
		.amdhsa_group_segment_fixed_size 15360
		.amdhsa_private_segment_fixed_size 0
		.amdhsa_kernarg_size 128
		.amdhsa_user_sgpr_count 6
		.amdhsa_user_sgpr_private_segment_buffer 1
		.amdhsa_user_sgpr_dispatch_ptr 0
		.amdhsa_user_sgpr_queue_ptr 0
		.amdhsa_user_sgpr_kernarg_segment_ptr 1
		.amdhsa_user_sgpr_dispatch_id 0
		.amdhsa_user_sgpr_flat_scratch_init 0
		.amdhsa_user_sgpr_kernarg_preload_length 0
		.amdhsa_user_sgpr_kernarg_preload_offset 0
		.amdhsa_user_sgpr_private_segment_size 0
		.amdhsa_uses_dynamic_stack 0
		.amdhsa_system_sgpr_private_segment_wavefront_offset 0
		.amdhsa_system_sgpr_workgroup_id_x 1
		.amdhsa_system_sgpr_workgroup_id_y 0
		.amdhsa_system_sgpr_workgroup_id_z 0
		.amdhsa_system_sgpr_workgroup_info 0
		.amdhsa_system_vgpr_workitem_id 0
		.amdhsa_next_free_vgpr 87
		.amdhsa_next_free_sgpr 64
		.amdhsa_accum_offset 88
		.amdhsa_reserve_vcc 1
		.amdhsa_reserve_flat_scratch 0
		.amdhsa_float_round_mode_32 0
		.amdhsa_float_round_mode_16_64 0
		.amdhsa_float_denorm_mode_32 3
		.amdhsa_float_denorm_mode_16_64 3
		.amdhsa_dx10_clamp 1
		.amdhsa_ieee_mode 1
		.amdhsa_fp16_overflow 0
		.amdhsa_tg_split 0
		.amdhsa_exception_fp_ieee_invalid_op 0
		.amdhsa_exception_fp_denorm_src 0
		.amdhsa_exception_fp_ieee_div_zero 0
		.amdhsa_exception_fp_ieee_overflow 0
		.amdhsa_exception_fp_ieee_underflow 0
		.amdhsa_exception_fp_ieee_inexact 0
		.amdhsa_exception_int_div_zero 0
	.end_amdhsa_kernel
	.section	.text._ZN7rocprim17ROCPRIM_400000_NS6detail17trampoline_kernelINS0_14default_configENS1_29reduce_by_key_config_selectorIjiN6thrust23THRUST_200600_302600_NS4plusIiEEEEZZNS1_33reduce_by_key_impl_wrapped_configILNS1_25lookback_scan_determinismE0ES3_S9_NS6_6detail15normal_iteratorINS6_10device_ptrIjEEEENSD_INSE_IiEEEENS6_16discard_iteratorINS6_11use_defaultEEESI_PmS8_NS6_8equal_toIjEEEE10hipError_tPvRmT2_T3_mT4_T5_T6_T7_T8_P12ihipStream_tbENKUlT_T0_E_clISt17integral_constantIbLb1EES16_EEDaS11_S12_EUlS11_E_NS1_11comp_targetILNS1_3genE4ELNS1_11target_archE910ELNS1_3gpuE8ELNS1_3repE0EEENS1_30default_config_static_selectorELNS0_4arch9wavefront6targetE1EEEvT1_,"axG",@progbits,_ZN7rocprim17ROCPRIM_400000_NS6detail17trampoline_kernelINS0_14default_configENS1_29reduce_by_key_config_selectorIjiN6thrust23THRUST_200600_302600_NS4plusIiEEEEZZNS1_33reduce_by_key_impl_wrapped_configILNS1_25lookback_scan_determinismE0ES3_S9_NS6_6detail15normal_iteratorINS6_10device_ptrIjEEEENSD_INSE_IiEEEENS6_16discard_iteratorINS6_11use_defaultEEESI_PmS8_NS6_8equal_toIjEEEE10hipError_tPvRmT2_T3_mT4_T5_T6_T7_T8_P12ihipStream_tbENKUlT_T0_E_clISt17integral_constantIbLb1EES16_EEDaS11_S12_EUlS11_E_NS1_11comp_targetILNS1_3genE4ELNS1_11target_archE910ELNS1_3gpuE8ELNS1_3repE0EEENS1_30default_config_static_selectorELNS0_4arch9wavefront6targetE1EEEvT1_,comdat
.Lfunc_end1032:
	.size	_ZN7rocprim17ROCPRIM_400000_NS6detail17trampoline_kernelINS0_14default_configENS1_29reduce_by_key_config_selectorIjiN6thrust23THRUST_200600_302600_NS4plusIiEEEEZZNS1_33reduce_by_key_impl_wrapped_configILNS1_25lookback_scan_determinismE0ES3_S9_NS6_6detail15normal_iteratorINS6_10device_ptrIjEEEENSD_INSE_IiEEEENS6_16discard_iteratorINS6_11use_defaultEEESI_PmS8_NS6_8equal_toIjEEEE10hipError_tPvRmT2_T3_mT4_T5_T6_T7_T8_P12ihipStream_tbENKUlT_T0_E_clISt17integral_constantIbLb1EES16_EEDaS11_S12_EUlS11_E_NS1_11comp_targetILNS1_3genE4ELNS1_11target_archE910ELNS1_3gpuE8ELNS1_3repE0EEENS1_30default_config_static_selectorELNS0_4arch9wavefront6targetE1EEEvT1_, .Lfunc_end1032-_ZN7rocprim17ROCPRIM_400000_NS6detail17trampoline_kernelINS0_14default_configENS1_29reduce_by_key_config_selectorIjiN6thrust23THRUST_200600_302600_NS4plusIiEEEEZZNS1_33reduce_by_key_impl_wrapped_configILNS1_25lookback_scan_determinismE0ES3_S9_NS6_6detail15normal_iteratorINS6_10device_ptrIjEEEENSD_INSE_IiEEEENS6_16discard_iteratorINS6_11use_defaultEEESI_PmS8_NS6_8equal_toIjEEEE10hipError_tPvRmT2_T3_mT4_T5_T6_T7_T8_P12ihipStream_tbENKUlT_T0_E_clISt17integral_constantIbLb1EES16_EEDaS11_S12_EUlS11_E_NS1_11comp_targetILNS1_3genE4ELNS1_11target_archE910ELNS1_3gpuE8ELNS1_3repE0EEENS1_30default_config_static_selectorELNS0_4arch9wavefront6targetE1EEEvT1_
                                        ; -- End function
	.section	.AMDGPU.csdata,"",@progbits
; Kernel info:
; codeLenInByte = 14784
; NumSgprs: 68
; NumVgprs: 87
; NumAgprs: 0
; TotalNumVgprs: 87
; ScratchSize: 0
; MemoryBound: 0
; FloatMode: 240
; IeeeMode: 1
; LDSByteSize: 15360 bytes/workgroup (compile time only)
; SGPRBlocks: 8
; VGPRBlocks: 10
; NumSGPRsForWavesPerEU: 68
; NumVGPRsForWavesPerEU: 87
; AccumOffset: 88
; Occupancy: 4
; WaveLimiterHint : 1
; COMPUTE_PGM_RSRC2:SCRATCH_EN: 0
; COMPUTE_PGM_RSRC2:USER_SGPR: 6
; COMPUTE_PGM_RSRC2:TRAP_HANDLER: 0
; COMPUTE_PGM_RSRC2:TGID_X_EN: 1
; COMPUTE_PGM_RSRC2:TGID_Y_EN: 0
; COMPUTE_PGM_RSRC2:TGID_Z_EN: 0
; COMPUTE_PGM_RSRC2:TIDIG_COMP_CNT: 0
; COMPUTE_PGM_RSRC3_GFX90A:ACCUM_OFFSET: 21
; COMPUTE_PGM_RSRC3_GFX90A:TG_SPLIT: 0
	.section	.text._ZN7rocprim17ROCPRIM_400000_NS6detail17trampoline_kernelINS0_14default_configENS1_29reduce_by_key_config_selectorIjiN6thrust23THRUST_200600_302600_NS4plusIiEEEEZZNS1_33reduce_by_key_impl_wrapped_configILNS1_25lookback_scan_determinismE0ES3_S9_NS6_6detail15normal_iteratorINS6_10device_ptrIjEEEENSD_INSE_IiEEEENS6_16discard_iteratorINS6_11use_defaultEEESI_PmS8_NS6_8equal_toIjEEEE10hipError_tPvRmT2_T3_mT4_T5_T6_T7_T8_P12ihipStream_tbENKUlT_T0_E_clISt17integral_constantIbLb1EES16_EEDaS11_S12_EUlS11_E_NS1_11comp_targetILNS1_3genE3ELNS1_11target_archE908ELNS1_3gpuE7ELNS1_3repE0EEENS1_30default_config_static_selectorELNS0_4arch9wavefront6targetE1EEEvT1_,"axG",@progbits,_ZN7rocprim17ROCPRIM_400000_NS6detail17trampoline_kernelINS0_14default_configENS1_29reduce_by_key_config_selectorIjiN6thrust23THRUST_200600_302600_NS4plusIiEEEEZZNS1_33reduce_by_key_impl_wrapped_configILNS1_25lookback_scan_determinismE0ES3_S9_NS6_6detail15normal_iteratorINS6_10device_ptrIjEEEENSD_INSE_IiEEEENS6_16discard_iteratorINS6_11use_defaultEEESI_PmS8_NS6_8equal_toIjEEEE10hipError_tPvRmT2_T3_mT4_T5_T6_T7_T8_P12ihipStream_tbENKUlT_T0_E_clISt17integral_constantIbLb1EES16_EEDaS11_S12_EUlS11_E_NS1_11comp_targetILNS1_3genE3ELNS1_11target_archE908ELNS1_3gpuE7ELNS1_3repE0EEENS1_30default_config_static_selectorELNS0_4arch9wavefront6targetE1EEEvT1_,comdat
	.protected	_ZN7rocprim17ROCPRIM_400000_NS6detail17trampoline_kernelINS0_14default_configENS1_29reduce_by_key_config_selectorIjiN6thrust23THRUST_200600_302600_NS4plusIiEEEEZZNS1_33reduce_by_key_impl_wrapped_configILNS1_25lookback_scan_determinismE0ES3_S9_NS6_6detail15normal_iteratorINS6_10device_ptrIjEEEENSD_INSE_IiEEEENS6_16discard_iteratorINS6_11use_defaultEEESI_PmS8_NS6_8equal_toIjEEEE10hipError_tPvRmT2_T3_mT4_T5_T6_T7_T8_P12ihipStream_tbENKUlT_T0_E_clISt17integral_constantIbLb1EES16_EEDaS11_S12_EUlS11_E_NS1_11comp_targetILNS1_3genE3ELNS1_11target_archE908ELNS1_3gpuE7ELNS1_3repE0EEENS1_30default_config_static_selectorELNS0_4arch9wavefront6targetE1EEEvT1_ ; -- Begin function _ZN7rocprim17ROCPRIM_400000_NS6detail17trampoline_kernelINS0_14default_configENS1_29reduce_by_key_config_selectorIjiN6thrust23THRUST_200600_302600_NS4plusIiEEEEZZNS1_33reduce_by_key_impl_wrapped_configILNS1_25lookback_scan_determinismE0ES3_S9_NS6_6detail15normal_iteratorINS6_10device_ptrIjEEEENSD_INSE_IiEEEENS6_16discard_iteratorINS6_11use_defaultEEESI_PmS8_NS6_8equal_toIjEEEE10hipError_tPvRmT2_T3_mT4_T5_T6_T7_T8_P12ihipStream_tbENKUlT_T0_E_clISt17integral_constantIbLb1EES16_EEDaS11_S12_EUlS11_E_NS1_11comp_targetILNS1_3genE3ELNS1_11target_archE908ELNS1_3gpuE7ELNS1_3repE0EEENS1_30default_config_static_selectorELNS0_4arch9wavefront6targetE1EEEvT1_
	.globl	_ZN7rocprim17ROCPRIM_400000_NS6detail17trampoline_kernelINS0_14default_configENS1_29reduce_by_key_config_selectorIjiN6thrust23THRUST_200600_302600_NS4plusIiEEEEZZNS1_33reduce_by_key_impl_wrapped_configILNS1_25lookback_scan_determinismE0ES3_S9_NS6_6detail15normal_iteratorINS6_10device_ptrIjEEEENSD_INSE_IiEEEENS6_16discard_iteratorINS6_11use_defaultEEESI_PmS8_NS6_8equal_toIjEEEE10hipError_tPvRmT2_T3_mT4_T5_T6_T7_T8_P12ihipStream_tbENKUlT_T0_E_clISt17integral_constantIbLb1EES16_EEDaS11_S12_EUlS11_E_NS1_11comp_targetILNS1_3genE3ELNS1_11target_archE908ELNS1_3gpuE7ELNS1_3repE0EEENS1_30default_config_static_selectorELNS0_4arch9wavefront6targetE1EEEvT1_
	.p2align	8
	.type	_ZN7rocprim17ROCPRIM_400000_NS6detail17trampoline_kernelINS0_14default_configENS1_29reduce_by_key_config_selectorIjiN6thrust23THRUST_200600_302600_NS4plusIiEEEEZZNS1_33reduce_by_key_impl_wrapped_configILNS1_25lookback_scan_determinismE0ES3_S9_NS6_6detail15normal_iteratorINS6_10device_ptrIjEEEENSD_INSE_IiEEEENS6_16discard_iteratorINS6_11use_defaultEEESI_PmS8_NS6_8equal_toIjEEEE10hipError_tPvRmT2_T3_mT4_T5_T6_T7_T8_P12ihipStream_tbENKUlT_T0_E_clISt17integral_constantIbLb1EES16_EEDaS11_S12_EUlS11_E_NS1_11comp_targetILNS1_3genE3ELNS1_11target_archE908ELNS1_3gpuE7ELNS1_3repE0EEENS1_30default_config_static_selectorELNS0_4arch9wavefront6targetE1EEEvT1_,@function
_ZN7rocprim17ROCPRIM_400000_NS6detail17trampoline_kernelINS0_14default_configENS1_29reduce_by_key_config_selectorIjiN6thrust23THRUST_200600_302600_NS4plusIiEEEEZZNS1_33reduce_by_key_impl_wrapped_configILNS1_25lookback_scan_determinismE0ES3_S9_NS6_6detail15normal_iteratorINS6_10device_ptrIjEEEENSD_INSE_IiEEEENS6_16discard_iteratorINS6_11use_defaultEEESI_PmS8_NS6_8equal_toIjEEEE10hipError_tPvRmT2_T3_mT4_T5_T6_T7_T8_P12ihipStream_tbENKUlT_T0_E_clISt17integral_constantIbLb1EES16_EEDaS11_S12_EUlS11_E_NS1_11comp_targetILNS1_3genE3ELNS1_11target_archE908ELNS1_3gpuE7ELNS1_3repE0EEENS1_30default_config_static_selectorELNS0_4arch9wavefront6targetE1EEEvT1_: ; @_ZN7rocprim17ROCPRIM_400000_NS6detail17trampoline_kernelINS0_14default_configENS1_29reduce_by_key_config_selectorIjiN6thrust23THRUST_200600_302600_NS4plusIiEEEEZZNS1_33reduce_by_key_impl_wrapped_configILNS1_25lookback_scan_determinismE0ES3_S9_NS6_6detail15normal_iteratorINS6_10device_ptrIjEEEENSD_INSE_IiEEEENS6_16discard_iteratorINS6_11use_defaultEEESI_PmS8_NS6_8equal_toIjEEEE10hipError_tPvRmT2_T3_mT4_T5_T6_T7_T8_P12ihipStream_tbENKUlT_T0_E_clISt17integral_constantIbLb1EES16_EEDaS11_S12_EUlS11_E_NS1_11comp_targetILNS1_3genE3ELNS1_11target_archE908ELNS1_3gpuE7ELNS1_3repE0EEENS1_30default_config_static_selectorELNS0_4arch9wavefront6targetE1EEEvT1_
; %bb.0:
	.section	.rodata,"a",@progbits
	.p2align	6, 0x0
	.amdhsa_kernel _ZN7rocprim17ROCPRIM_400000_NS6detail17trampoline_kernelINS0_14default_configENS1_29reduce_by_key_config_selectorIjiN6thrust23THRUST_200600_302600_NS4plusIiEEEEZZNS1_33reduce_by_key_impl_wrapped_configILNS1_25lookback_scan_determinismE0ES3_S9_NS6_6detail15normal_iteratorINS6_10device_ptrIjEEEENSD_INSE_IiEEEENS6_16discard_iteratorINS6_11use_defaultEEESI_PmS8_NS6_8equal_toIjEEEE10hipError_tPvRmT2_T3_mT4_T5_T6_T7_T8_P12ihipStream_tbENKUlT_T0_E_clISt17integral_constantIbLb1EES16_EEDaS11_S12_EUlS11_E_NS1_11comp_targetILNS1_3genE3ELNS1_11target_archE908ELNS1_3gpuE7ELNS1_3repE0EEENS1_30default_config_static_selectorELNS0_4arch9wavefront6targetE1EEEvT1_
		.amdhsa_group_segment_fixed_size 0
		.amdhsa_private_segment_fixed_size 0
		.amdhsa_kernarg_size 128
		.amdhsa_user_sgpr_count 6
		.amdhsa_user_sgpr_private_segment_buffer 1
		.amdhsa_user_sgpr_dispatch_ptr 0
		.amdhsa_user_sgpr_queue_ptr 0
		.amdhsa_user_sgpr_kernarg_segment_ptr 1
		.amdhsa_user_sgpr_dispatch_id 0
		.amdhsa_user_sgpr_flat_scratch_init 0
		.amdhsa_user_sgpr_kernarg_preload_length 0
		.amdhsa_user_sgpr_kernarg_preload_offset 0
		.amdhsa_user_sgpr_private_segment_size 0
		.amdhsa_uses_dynamic_stack 0
		.amdhsa_system_sgpr_private_segment_wavefront_offset 0
		.amdhsa_system_sgpr_workgroup_id_x 1
		.amdhsa_system_sgpr_workgroup_id_y 0
		.amdhsa_system_sgpr_workgroup_id_z 0
		.amdhsa_system_sgpr_workgroup_info 0
		.amdhsa_system_vgpr_workitem_id 0
		.amdhsa_next_free_vgpr 1
		.amdhsa_next_free_sgpr 0
		.amdhsa_accum_offset 4
		.amdhsa_reserve_vcc 0
		.amdhsa_reserve_flat_scratch 0
		.amdhsa_float_round_mode_32 0
		.amdhsa_float_round_mode_16_64 0
		.amdhsa_float_denorm_mode_32 3
		.amdhsa_float_denorm_mode_16_64 3
		.amdhsa_dx10_clamp 1
		.amdhsa_ieee_mode 1
		.amdhsa_fp16_overflow 0
		.amdhsa_tg_split 0
		.amdhsa_exception_fp_ieee_invalid_op 0
		.amdhsa_exception_fp_denorm_src 0
		.amdhsa_exception_fp_ieee_div_zero 0
		.amdhsa_exception_fp_ieee_overflow 0
		.amdhsa_exception_fp_ieee_underflow 0
		.amdhsa_exception_fp_ieee_inexact 0
		.amdhsa_exception_int_div_zero 0
	.end_amdhsa_kernel
	.section	.text._ZN7rocprim17ROCPRIM_400000_NS6detail17trampoline_kernelINS0_14default_configENS1_29reduce_by_key_config_selectorIjiN6thrust23THRUST_200600_302600_NS4plusIiEEEEZZNS1_33reduce_by_key_impl_wrapped_configILNS1_25lookback_scan_determinismE0ES3_S9_NS6_6detail15normal_iteratorINS6_10device_ptrIjEEEENSD_INSE_IiEEEENS6_16discard_iteratorINS6_11use_defaultEEESI_PmS8_NS6_8equal_toIjEEEE10hipError_tPvRmT2_T3_mT4_T5_T6_T7_T8_P12ihipStream_tbENKUlT_T0_E_clISt17integral_constantIbLb1EES16_EEDaS11_S12_EUlS11_E_NS1_11comp_targetILNS1_3genE3ELNS1_11target_archE908ELNS1_3gpuE7ELNS1_3repE0EEENS1_30default_config_static_selectorELNS0_4arch9wavefront6targetE1EEEvT1_,"axG",@progbits,_ZN7rocprim17ROCPRIM_400000_NS6detail17trampoline_kernelINS0_14default_configENS1_29reduce_by_key_config_selectorIjiN6thrust23THRUST_200600_302600_NS4plusIiEEEEZZNS1_33reduce_by_key_impl_wrapped_configILNS1_25lookback_scan_determinismE0ES3_S9_NS6_6detail15normal_iteratorINS6_10device_ptrIjEEEENSD_INSE_IiEEEENS6_16discard_iteratorINS6_11use_defaultEEESI_PmS8_NS6_8equal_toIjEEEE10hipError_tPvRmT2_T3_mT4_T5_T6_T7_T8_P12ihipStream_tbENKUlT_T0_E_clISt17integral_constantIbLb1EES16_EEDaS11_S12_EUlS11_E_NS1_11comp_targetILNS1_3genE3ELNS1_11target_archE908ELNS1_3gpuE7ELNS1_3repE0EEENS1_30default_config_static_selectorELNS0_4arch9wavefront6targetE1EEEvT1_,comdat
.Lfunc_end1033:
	.size	_ZN7rocprim17ROCPRIM_400000_NS6detail17trampoline_kernelINS0_14default_configENS1_29reduce_by_key_config_selectorIjiN6thrust23THRUST_200600_302600_NS4plusIiEEEEZZNS1_33reduce_by_key_impl_wrapped_configILNS1_25lookback_scan_determinismE0ES3_S9_NS6_6detail15normal_iteratorINS6_10device_ptrIjEEEENSD_INSE_IiEEEENS6_16discard_iteratorINS6_11use_defaultEEESI_PmS8_NS6_8equal_toIjEEEE10hipError_tPvRmT2_T3_mT4_T5_T6_T7_T8_P12ihipStream_tbENKUlT_T0_E_clISt17integral_constantIbLb1EES16_EEDaS11_S12_EUlS11_E_NS1_11comp_targetILNS1_3genE3ELNS1_11target_archE908ELNS1_3gpuE7ELNS1_3repE0EEENS1_30default_config_static_selectorELNS0_4arch9wavefront6targetE1EEEvT1_, .Lfunc_end1033-_ZN7rocprim17ROCPRIM_400000_NS6detail17trampoline_kernelINS0_14default_configENS1_29reduce_by_key_config_selectorIjiN6thrust23THRUST_200600_302600_NS4plusIiEEEEZZNS1_33reduce_by_key_impl_wrapped_configILNS1_25lookback_scan_determinismE0ES3_S9_NS6_6detail15normal_iteratorINS6_10device_ptrIjEEEENSD_INSE_IiEEEENS6_16discard_iteratorINS6_11use_defaultEEESI_PmS8_NS6_8equal_toIjEEEE10hipError_tPvRmT2_T3_mT4_T5_T6_T7_T8_P12ihipStream_tbENKUlT_T0_E_clISt17integral_constantIbLb1EES16_EEDaS11_S12_EUlS11_E_NS1_11comp_targetILNS1_3genE3ELNS1_11target_archE908ELNS1_3gpuE7ELNS1_3repE0EEENS1_30default_config_static_selectorELNS0_4arch9wavefront6targetE1EEEvT1_
                                        ; -- End function
	.section	.AMDGPU.csdata,"",@progbits
; Kernel info:
; codeLenInByte = 0
; NumSgprs: 4
; NumVgprs: 0
; NumAgprs: 0
; TotalNumVgprs: 0
; ScratchSize: 0
; MemoryBound: 0
; FloatMode: 240
; IeeeMode: 1
; LDSByteSize: 0 bytes/workgroup (compile time only)
; SGPRBlocks: 0
; VGPRBlocks: 0
; NumSGPRsForWavesPerEU: 4
; NumVGPRsForWavesPerEU: 1
; AccumOffset: 4
; Occupancy: 8
; WaveLimiterHint : 0
; COMPUTE_PGM_RSRC2:SCRATCH_EN: 0
; COMPUTE_PGM_RSRC2:USER_SGPR: 6
; COMPUTE_PGM_RSRC2:TRAP_HANDLER: 0
; COMPUTE_PGM_RSRC2:TGID_X_EN: 1
; COMPUTE_PGM_RSRC2:TGID_Y_EN: 0
; COMPUTE_PGM_RSRC2:TGID_Z_EN: 0
; COMPUTE_PGM_RSRC2:TIDIG_COMP_CNT: 0
; COMPUTE_PGM_RSRC3_GFX90A:ACCUM_OFFSET: 0
; COMPUTE_PGM_RSRC3_GFX90A:TG_SPLIT: 0
	.section	.text._ZN7rocprim17ROCPRIM_400000_NS6detail17trampoline_kernelINS0_14default_configENS1_29reduce_by_key_config_selectorIjiN6thrust23THRUST_200600_302600_NS4plusIiEEEEZZNS1_33reduce_by_key_impl_wrapped_configILNS1_25lookback_scan_determinismE0ES3_S9_NS6_6detail15normal_iteratorINS6_10device_ptrIjEEEENSD_INSE_IiEEEENS6_16discard_iteratorINS6_11use_defaultEEESI_PmS8_NS6_8equal_toIjEEEE10hipError_tPvRmT2_T3_mT4_T5_T6_T7_T8_P12ihipStream_tbENKUlT_T0_E_clISt17integral_constantIbLb1EES16_EEDaS11_S12_EUlS11_E_NS1_11comp_targetILNS1_3genE2ELNS1_11target_archE906ELNS1_3gpuE6ELNS1_3repE0EEENS1_30default_config_static_selectorELNS0_4arch9wavefront6targetE1EEEvT1_,"axG",@progbits,_ZN7rocprim17ROCPRIM_400000_NS6detail17trampoline_kernelINS0_14default_configENS1_29reduce_by_key_config_selectorIjiN6thrust23THRUST_200600_302600_NS4plusIiEEEEZZNS1_33reduce_by_key_impl_wrapped_configILNS1_25lookback_scan_determinismE0ES3_S9_NS6_6detail15normal_iteratorINS6_10device_ptrIjEEEENSD_INSE_IiEEEENS6_16discard_iteratorINS6_11use_defaultEEESI_PmS8_NS6_8equal_toIjEEEE10hipError_tPvRmT2_T3_mT4_T5_T6_T7_T8_P12ihipStream_tbENKUlT_T0_E_clISt17integral_constantIbLb1EES16_EEDaS11_S12_EUlS11_E_NS1_11comp_targetILNS1_3genE2ELNS1_11target_archE906ELNS1_3gpuE6ELNS1_3repE0EEENS1_30default_config_static_selectorELNS0_4arch9wavefront6targetE1EEEvT1_,comdat
	.protected	_ZN7rocprim17ROCPRIM_400000_NS6detail17trampoline_kernelINS0_14default_configENS1_29reduce_by_key_config_selectorIjiN6thrust23THRUST_200600_302600_NS4plusIiEEEEZZNS1_33reduce_by_key_impl_wrapped_configILNS1_25lookback_scan_determinismE0ES3_S9_NS6_6detail15normal_iteratorINS6_10device_ptrIjEEEENSD_INSE_IiEEEENS6_16discard_iteratorINS6_11use_defaultEEESI_PmS8_NS6_8equal_toIjEEEE10hipError_tPvRmT2_T3_mT4_T5_T6_T7_T8_P12ihipStream_tbENKUlT_T0_E_clISt17integral_constantIbLb1EES16_EEDaS11_S12_EUlS11_E_NS1_11comp_targetILNS1_3genE2ELNS1_11target_archE906ELNS1_3gpuE6ELNS1_3repE0EEENS1_30default_config_static_selectorELNS0_4arch9wavefront6targetE1EEEvT1_ ; -- Begin function _ZN7rocprim17ROCPRIM_400000_NS6detail17trampoline_kernelINS0_14default_configENS1_29reduce_by_key_config_selectorIjiN6thrust23THRUST_200600_302600_NS4plusIiEEEEZZNS1_33reduce_by_key_impl_wrapped_configILNS1_25lookback_scan_determinismE0ES3_S9_NS6_6detail15normal_iteratorINS6_10device_ptrIjEEEENSD_INSE_IiEEEENS6_16discard_iteratorINS6_11use_defaultEEESI_PmS8_NS6_8equal_toIjEEEE10hipError_tPvRmT2_T3_mT4_T5_T6_T7_T8_P12ihipStream_tbENKUlT_T0_E_clISt17integral_constantIbLb1EES16_EEDaS11_S12_EUlS11_E_NS1_11comp_targetILNS1_3genE2ELNS1_11target_archE906ELNS1_3gpuE6ELNS1_3repE0EEENS1_30default_config_static_selectorELNS0_4arch9wavefront6targetE1EEEvT1_
	.globl	_ZN7rocprim17ROCPRIM_400000_NS6detail17trampoline_kernelINS0_14default_configENS1_29reduce_by_key_config_selectorIjiN6thrust23THRUST_200600_302600_NS4plusIiEEEEZZNS1_33reduce_by_key_impl_wrapped_configILNS1_25lookback_scan_determinismE0ES3_S9_NS6_6detail15normal_iteratorINS6_10device_ptrIjEEEENSD_INSE_IiEEEENS6_16discard_iteratorINS6_11use_defaultEEESI_PmS8_NS6_8equal_toIjEEEE10hipError_tPvRmT2_T3_mT4_T5_T6_T7_T8_P12ihipStream_tbENKUlT_T0_E_clISt17integral_constantIbLb1EES16_EEDaS11_S12_EUlS11_E_NS1_11comp_targetILNS1_3genE2ELNS1_11target_archE906ELNS1_3gpuE6ELNS1_3repE0EEENS1_30default_config_static_selectorELNS0_4arch9wavefront6targetE1EEEvT1_
	.p2align	8
	.type	_ZN7rocprim17ROCPRIM_400000_NS6detail17trampoline_kernelINS0_14default_configENS1_29reduce_by_key_config_selectorIjiN6thrust23THRUST_200600_302600_NS4plusIiEEEEZZNS1_33reduce_by_key_impl_wrapped_configILNS1_25lookback_scan_determinismE0ES3_S9_NS6_6detail15normal_iteratorINS6_10device_ptrIjEEEENSD_INSE_IiEEEENS6_16discard_iteratorINS6_11use_defaultEEESI_PmS8_NS6_8equal_toIjEEEE10hipError_tPvRmT2_T3_mT4_T5_T6_T7_T8_P12ihipStream_tbENKUlT_T0_E_clISt17integral_constantIbLb1EES16_EEDaS11_S12_EUlS11_E_NS1_11comp_targetILNS1_3genE2ELNS1_11target_archE906ELNS1_3gpuE6ELNS1_3repE0EEENS1_30default_config_static_selectorELNS0_4arch9wavefront6targetE1EEEvT1_,@function
_ZN7rocprim17ROCPRIM_400000_NS6detail17trampoline_kernelINS0_14default_configENS1_29reduce_by_key_config_selectorIjiN6thrust23THRUST_200600_302600_NS4plusIiEEEEZZNS1_33reduce_by_key_impl_wrapped_configILNS1_25lookback_scan_determinismE0ES3_S9_NS6_6detail15normal_iteratorINS6_10device_ptrIjEEEENSD_INSE_IiEEEENS6_16discard_iteratorINS6_11use_defaultEEESI_PmS8_NS6_8equal_toIjEEEE10hipError_tPvRmT2_T3_mT4_T5_T6_T7_T8_P12ihipStream_tbENKUlT_T0_E_clISt17integral_constantIbLb1EES16_EEDaS11_S12_EUlS11_E_NS1_11comp_targetILNS1_3genE2ELNS1_11target_archE906ELNS1_3gpuE6ELNS1_3repE0EEENS1_30default_config_static_selectorELNS0_4arch9wavefront6targetE1EEEvT1_: ; @_ZN7rocprim17ROCPRIM_400000_NS6detail17trampoline_kernelINS0_14default_configENS1_29reduce_by_key_config_selectorIjiN6thrust23THRUST_200600_302600_NS4plusIiEEEEZZNS1_33reduce_by_key_impl_wrapped_configILNS1_25lookback_scan_determinismE0ES3_S9_NS6_6detail15normal_iteratorINS6_10device_ptrIjEEEENSD_INSE_IiEEEENS6_16discard_iteratorINS6_11use_defaultEEESI_PmS8_NS6_8equal_toIjEEEE10hipError_tPvRmT2_T3_mT4_T5_T6_T7_T8_P12ihipStream_tbENKUlT_T0_E_clISt17integral_constantIbLb1EES16_EEDaS11_S12_EUlS11_E_NS1_11comp_targetILNS1_3genE2ELNS1_11target_archE906ELNS1_3gpuE6ELNS1_3repE0EEENS1_30default_config_static_selectorELNS0_4arch9wavefront6targetE1EEEvT1_
; %bb.0:
	.section	.rodata,"a",@progbits
	.p2align	6, 0x0
	.amdhsa_kernel _ZN7rocprim17ROCPRIM_400000_NS6detail17trampoline_kernelINS0_14default_configENS1_29reduce_by_key_config_selectorIjiN6thrust23THRUST_200600_302600_NS4plusIiEEEEZZNS1_33reduce_by_key_impl_wrapped_configILNS1_25lookback_scan_determinismE0ES3_S9_NS6_6detail15normal_iteratorINS6_10device_ptrIjEEEENSD_INSE_IiEEEENS6_16discard_iteratorINS6_11use_defaultEEESI_PmS8_NS6_8equal_toIjEEEE10hipError_tPvRmT2_T3_mT4_T5_T6_T7_T8_P12ihipStream_tbENKUlT_T0_E_clISt17integral_constantIbLb1EES16_EEDaS11_S12_EUlS11_E_NS1_11comp_targetILNS1_3genE2ELNS1_11target_archE906ELNS1_3gpuE6ELNS1_3repE0EEENS1_30default_config_static_selectorELNS0_4arch9wavefront6targetE1EEEvT1_
		.amdhsa_group_segment_fixed_size 0
		.amdhsa_private_segment_fixed_size 0
		.amdhsa_kernarg_size 128
		.amdhsa_user_sgpr_count 6
		.amdhsa_user_sgpr_private_segment_buffer 1
		.amdhsa_user_sgpr_dispatch_ptr 0
		.amdhsa_user_sgpr_queue_ptr 0
		.amdhsa_user_sgpr_kernarg_segment_ptr 1
		.amdhsa_user_sgpr_dispatch_id 0
		.amdhsa_user_sgpr_flat_scratch_init 0
		.amdhsa_user_sgpr_kernarg_preload_length 0
		.amdhsa_user_sgpr_kernarg_preload_offset 0
		.amdhsa_user_sgpr_private_segment_size 0
		.amdhsa_uses_dynamic_stack 0
		.amdhsa_system_sgpr_private_segment_wavefront_offset 0
		.amdhsa_system_sgpr_workgroup_id_x 1
		.amdhsa_system_sgpr_workgroup_id_y 0
		.amdhsa_system_sgpr_workgroup_id_z 0
		.amdhsa_system_sgpr_workgroup_info 0
		.amdhsa_system_vgpr_workitem_id 0
		.amdhsa_next_free_vgpr 1
		.amdhsa_next_free_sgpr 0
		.amdhsa_accum_offset 4
		.amdhsa_reserve_vcc 0
		.amdhsa_reserve_flat_scratch 0
		.amdhsa_float_round_mode_32 0
		.amdhsa_float_round_mode_16_64 0
		.amdhsa_float_denorm_mode_32 3
		.amdhsa_float_denorm_mode_16_64 3
		.amdhsa_dx10_clamp 1
		.amdhsa_ieee_mode 1
		.amdhsa_fp16_overflow 0
		.amdhsa_tg_split 0
		.amdhsa_exception_fp_ieee_invalid_op 0
		.amdhsa_exception_fp_denorm_src 0
		.amdhsa_exception_fp_ieee_div_zero 0
		.amdhsa_exception_fp_ieee_overflow 0
		.amdhsa_exception_fp_ieee_underflow 0
		.amdhsa_exception_fp_ieee_inexact 0
		.amdhsa_exception_int_div_zero 0
	.end_amdhsa_kernel
	.section	.text._ZN7rocprim17ROCPRIM_400000_NS6detail17trampoline_kernelINS0_14default_configENS1_29reduce_by_key_config_selectorIjiN6thrust23THRUST_200600_302600_NS4plusIiEEEEZZNS1_33reduce_by_key_impl_wrapped_configILNS1_25lookback_scan_determinismE0ES3_S9_NS6_6detail15normal_iteratorINS6_10device_ptrIjEEEENSD_INSE_IiEEEENS6_16discard_iteratorINS6_11use_defaultEEESI_PmS8_NS6_8equal_toIjEEEE10hipError_tPvRmT2_T3_mT4_T5_T6_T7_T8_P12ihipStream_tbENKUlT_T0_E_clISt17integral_constantIbLb1EES16_EEDaS11_S12_EUlS11_E_NS1_11comp_targetILNS1_3genE2ELNS1_11target_archE906ELNS1_3gpuE6ELNS1_3repE0EEENS1_30default_config_static_selectorELNS0_4arch9wavefront6targetE1EEEvT1_,"axG",@progbits,_ZN7rocprim17ROCPRIM_400000_NS6detail17trampoline_kernelINS0_14default_configENS1_29reduce_by_key_config_selectorIjiN6thrust23THRUST_200600_302600_NS4plusIiEEEEZZNS1_33reduce_by_key_impl_wrapped_configILNS1_25lookback_scan_determinismE0ES3_S9_NS6_6detail15normal_iteratorINS6_10device_ptrIjEEEENSD_INSE_IiEEEENS6_16discard_iteratorINS6_11use_defaultEEESI_PmS8_NS6_8equal_toIjEEEE10hipError_tPvRmT2_T3_mT4_T5_T6_T7_T8_P12ihipStream_tbENKUlT_T0_E_clISt17integral_constantIbLb1EES16_EEDaS11_S12_EUlS11_E_NS1_11comp_targetILNS1_3genE2ELNS1_11target_archE906ELNS1_3gpuE6ELNS1_3repE0EEENS1_30default_config_static_selectorELNS0_4arch9wavefront6targetE1EEEvT1_,comdat
.Lfunc_end1034:
	.size	_ZN7rocprim17ROCPRIM_400000_NS6detail17trampoline_kernelINS0_14default_configENS1_29reduce_by_key_config_selectorIjiN6thrust23THRUST_200600_302600_NS4plusIiEEEEZZNS1_33reduce_by_key_impl_wrapped_configILNS1_25lookback_scan_determinismE0ES3_S9_NS6_6detail15normal_iteratorINS6_10device_ptrIjEEEENSD_INSE_IiEEEENS6_16discard_iteratorINS6_11use_defaultEEESI_PmS8_NS6_8equal_toIjEEEE10hipError_tPvRmT2_T3_mT4_T5_T6_T7_T8_P12ihipStream_tbENKUlT_T0_E_clISt17integral_constantIbLb1EES16_EEDaS11_S12_EUlS11_E_NS1_11comp_targetILNS1_3genE2ELNS1_11target_archE906ELNS1_3gpuE6ELNS1_3repE0EEENS1_30default_config_static_selectorELNS0_4arch9wavefront6targetE1EEEvT1_, .Lfunc_end1034-_ZN7rocprim17ROCPRIM_400000_NS6detail17trampoline_kernelINS0_14default_configENS1_29reduce_by_key_config_selectorIjiN6thrust23THRUST_200600_302600_NS4plusIiEEEEZZNS1_33reduce_by_key_impl_wrapped_configILNS1_25lookback_scan_determinismE0ES3_S9_NS6_6detail15normal_iteratorINS6_10device_ptrIjEEEENSD_INSE_IiEEEENS6_16discard_iteratorINS6_11use_defaultEEESI_PmS8_NS6_8equal_toIjEEEE10hipError_tPvRmT2_T3_mT4_T5_T6_T7_T8_P12ihipStream_tbENKUlT_T0_E_clISt17integral_constantIbLb1EES16_EEDaS11_S12_EUlS11_E_NS1_11comp_targetILNS1_3genE2ELNS1_11target_archE906ELNS1_3gpuE6ELNS1_3repE0EEENS1_30default_config_static_selectorELNS0_4arch9wavefront6targetE1EEEvT1_
                                        ; -- End function
	.section	.AMDGPU.csdata,"",@progbits
; Kernel info:
; codeLenInByte = 0
; NumSgprs: 4
; NumVgprs: 0
; NumAgprs: 0
; TotalNumVgprs: 0
; ScratchSize: 0
; MemoryBound: 0
; FloatMode: 240
; IeeeMode: 1
; LDSByteSize: 0 bytes/workgroup (compile time only)
; SGPRBlocks: 0
; VGPRBlocks: 0
; NumSGPRsForWavesPerEU: 4
; NumVGPRsForWavesPerEU: 1
; AccumOffset: 4
; Occupancy: 8
; WaveLimiterHint : 0
; COMPUTE_PGM_RSRC2:SCRATCH_EN: 0
; COMPUTE_PGM_RSRC2:USER_SGPR: 6
; COMPUTE_PGM_RSRC2:TRAP_HANDLER: 0
; COMPUTE_PGM_RSRC2:TGID_X_EN: 1
; COMPUTE_PGM_RSRC2:TGID_Y_EN: 0
; COMPUTE_PGM_RSRC2:TGID_Z_EN: 0
; COMPUTE_PGM_RSRC2:TIDIG_COMP_CNT: 0
; COMPUTE_PGM_RSRC3_GFX90A:ACCUM_OFFSET: 0
; COMPUTE_PGM_RSRC3_GFX90A:TG_SPLIT: 0
	.section	.text._ZN7rocprim17ROCPRIM_400000_NS6detail17trampoline_kernelINS0_14default_configENS1_29reduce_by_key_config_selectorIjiN6thrust23THRUST_200600_302600_NS4plusIiEEEEZZNS1_33reduce_by_key_impl_wrapped_configILNS1_25lookback_scan_determinismE0ES3_S9_NS6_6detail15normal_iteratorINS6_10device_ptrIjEEEENSD_INSE_IiEEEENS6_16discard_iteratorINS6_11use_defaultEEESI_PmS8_NS6_8equal_toIjEEEE10hipError_tPvRmT2_T3_mT4_T5_T6_T7_T8_P12ihipStream_tbENKUlT_T0_E_clISt17integral_constantIbLb1EES16_EEDaS11_S12_EUlS11_E_NS1_11comp_targetILNS1_3genE10ELNS1_11target_archE1201ELNS1_3gpuE5ELNS1_3repE0EEENS1_30default_config_static_selectorELNS0_4arch9wavefront6targetE1EEEvT1_,"axG",@progbits,_ZN7rocprim17ROCPRIM_400000_NS6detail17trampoline_kernelINS0_14default_configENS1_29reduce_by_key_config_selectorIjiN6thrust23THRUST_200600_302600_NS4plusIiEEEEZZNS1_33reduce_by_key_impl_wrapped_configILNS1_25lookback_scan_determinismE0ES3_S9_NS6_6detail15normal_iteratorINS6_10device_ptrIjEEEENSD_INSE_IiEEEENS6_16discard_iteratorINS6_11use_defaultEEESI_PmS8_NS6_8equal_toIjEEEE10hipError_tPvRmT2_T3_mT4_T5_T6_T7_T8_P12ihipStream_tbENKUlT_T0_E_clISt17integral_constantIbLb1EES16_EEDaS11_S12_EUlS11_E_NS1_11comp_targetILNS1_3genE10ELNS1_11target_archE1201ELNS1_3gpuE5ELNS1_3repE0EEENS1_30default_config_static_selectorELNS0_4arch9wavefront6targetE1EEEvT1_,comdat
	.protected	_ZN7rocprim17ROCPRIM_400000_NS6detail17trampoline_kernelINS0_14default_configENS1_29reduce_by_key_config_selectorIjiN6thrust23THRUST_200600_302600_NS4plusIiEEEEZZNS1_33reduce_by_key_impl_wrapped_configILNS1_25lookback_scan_determinismE0ES3_S9_NS6_6detail15normal_iteratorINS6_10device_ptrIjEEEENSD_INSE_IiEEEENS6_16discard_iteratorINS6_11use_defaultEEESI_PmS8_NS6_8equal_toIjEEEE10hipError_tPvRmT2_T3_mT4_T5_T6_T7_T8_P12ihipStream_tbENKUlT_T0_E_clISt17integral_constantIbLb1EES16_EEDaS11_S12_EUlS11_E_NS1_11comp_targetILNS1_3genE10ELNS1_11target_archE1201ELNS1_3gpuE5ELNS1_3repE0EEENS1_30default_config_static_selectorELNS0_4arch9wavefront6targetE1EEEvT1_ ; -- Begin function _ZN7rocprim17ROCPRIM_400000_NS6detail17trampoline_kernelINS0_14default_configENS1_29reduce_by_key_config_selectorIjiN6thrust23THRUST_200600_302600_NS4plusIiEEEEZZNS1_33reduce_by_key_impl_wrapped_configILNS1_25lookback_scan_determinismE0ES3_S9_NS6_6detail15normal_iteratorINS6_10device_ptrIjEEEENSD_INSE_IiEEEENS6_16discard_iteratorINS6_11use_defaultEEESI_PmS8_NS6_8equal_toIjEEEE10hipError_tPvRmT2_T3_mT4_T5_T6_T7_T8_P12ihipStream_tbENKUlT_T0_E_clISt17integral_constantIbLb1EES16_EEDaS11_S12_EUlS11_E_NS1_11comp_targetILNS1_3genE10ELNS1_11target_archE1201ELNS1_3gpuE5ELNS1_3repE0EEENS1_30default_config_static_selectorELNS0_4arch9wavefront6targetE1EEEvT1_
	.globl	_ZN7rocprim17ROCPRIM_400000_NS6detail17trampoline_kernelINS0_14default_configENS1_29reduce_by_key_config_selectorIjiN6thrust23THRUST_200600_302600_NS4plusIiEEEEZZNS1_33reduce_by_key_impl_wrapped_configILNS1_25lookback_scan_determinismE0ES3_S9_NS6_6detail15normal_iteratorINS6_10device_ptrIjEEEENSD_INSE_IiEEEENS6_16discard_iteratorINS6_11use_defaultEEESI_PmS8_NS6_8equal_toIjEEEE10hipError_tPvRmT2_T3_mT4_T5_T6_T7_T8_P12ihipStream_tbENKUlT_T0_E_clISt17integral_constantIbLb1EES16_EEDaS11_S12_EUlS11_E_NS1_11comp_targetILNS1_3genE10ELNS1_11target_archE1201ELNS1_3gpuE5ELNS1_3repE0EEENS1_30default_config_static_selectorELNS0_4arch9wavefront6targetE1EEEvT1_
	.p2align	8
	.type	_ZN7rocprim17ROCPRIM_400000_NS6detail17trampoline_kernelINS0_14default_configENS1_29reduce_by_key_config_selectorIjiN6thrust23THRUST_200600_302600_NS4plusIiEEEEZZNS1_33reduce_by_key_impl_wrapped_configILNS1_25lookback_scan_determinismE0ES3_S9_NS6_6detail15normal_iteratorINS6_10device_ptrIjEEEENSD_INSE_IiEEEENS6_16discard_iteratorINS6_11use_defaultEEESI_PmS8_NS6_8equal_toIjEEEE10hipError_tPvRmT2_T3_mT4_T5_T6_T7_T8_P12ihipStream_tbENKUlT_T0_E_clISt17integral_constantIbLb1EES16_EEDaS11_S12_EUlS11_E_NS1_11comp_targetILNS1_3genE10ELNS1_11target_archE1201ELNS1_3gpuE5ELNS1_3repE0EEENS1_30default_config_static_selectorELNS0_4arch9wavefront6targetE1EEEvT1_,@function
_ZN7rocprim17ROCPRIM_400000_NS6detail17trampoline_kernelINS0_14default_configENS1_29reduce_by_key_config_selectorIjiN6thrust23THRUST_200600_302600_NS4plusIiEEEEZZNS1_33reduce_by_key_impl_wrapped_configILNS1_25lookback_scan_determinismE0ES3_S9_NS6_6detail15normal_iteratorINS6_10device_ptrIjEEEENSD_INSE_IiEEEENS6_16discard_iteratorINS6_11use_defaultEEESI_PmS8_NS6_8equal_toIjEEEE10hipError_tPvRmT2_T3_mT4_T5_T6_T7_T8_P12ihipStream_tbENKUlT_T0_E_clISt17integral_constantIbLb1EES16_EEDaS11_S12_EUlS11_E_NS1_11comp_targetILNS1_3genE10ELNS1_11target_archE1201ELNS1_3gpuE5ELNS1_3repE0EEENS1_30default_config_static_selectorELNS0_4arch9wavefront6targetE1EEEvT1_: ; @_ZN7rocprim17ROCPRIM_400000_NS6detail17trampoline_kernelINS0_14default_configENS1_29reduce_by_key_config_selectorIjiN6thrust23THRUST_200600_302600_NS4plusIiEEEEZZNS1_33reduce_by_key_impl_wrapped_configILNS1_25lookback_scan_determinismE0ES3_S9_NS6_6detail15normal_iteratorINS6_10device_ptrIjEEEENSD_INSE_IiEEEENS6_16discard_iteratorINS6_11use_defaultEEESI_PmS8_NS6_8equal_toIjEEEE10hipError_tPvRmT2_T3_mT4_T5_T6_T7_T8_P12ihipStream_tbENKUlT_T0_E_clISt17integral_constantIbLb1EES16_EEDaS11_S12_EUlS11_E_NS1_11comp_targetILNS1_3genE10ELNS1_11target_archE1201ELNS1_3gpuE5ELNS1_3repE0EEENS1_30default_config_static_selectorELNS0_4arch9wavefront6targetE1EEEvT1_
; %bb.0:
	.section	.rodata,"a",@progbits
	.p2align	6, 0x0
	.amdhsa_kernel _ZN7rocprim17ROCPRIM_400000_NS6detail17trampoline_kernelINS0_14default_configENS1_29reduce_by_key_config_selectorIjiN6thrust23THRUST_200600_302600_NS4plusIiEEEEZZNS1_33reduce_by_key_impl_wrapped_configILNS1_25lookback_scan_determinismE0ES3_S9_NS6_6detail15normal_iteratorINS6_10device_ptrIjEEEENSD_INSE_IiEEEENS6_16discard_iteratorINS6_11use_defaultEEESI_PmS8_NS6_8equal_toIjEEEE10hipError_tPvRmT2_T3_mT4_T5_T6_T7_T8_P12ihipStream_tbENKUlT_T0_E_clISt17integral_constantIbLb1EES16_EEDaS11_S12_EUlS11_E_NS1_11comp_targetILNS1_3genE10ELNS1_11target_archE1201ELNS1_3gpuE5ELNS1_3repE0EEENS1_30default_config_static_selectorELNS0_4arch9wavefront6targetE1EEEvT1_
		.amdhsa_group_segment_fixed_size 0
		.amdhsa_private_segment_fixed_size 0
		.amdhsa_kernarg_size 128
		.amdhsa_user_sgpr_count 6
		.amdhsa_user_sgpr_private_segment_buffer 1
		.amdhsa_user_sgpr_dispatch_ptr 0
		.amdhsa_user_sgpr_queue_ptr 0
		.amdhsa_user_sgpr_kernarg_segment_ptr 1
		.amdhsa_user_sgpr_dispatch_id 0
		.amdhsa_user_sgpr_flat_scratch_init 0
		.amdhsa_user_sgpr_kernarg_preload_length 0
		.amdhsa_user_sgpr_kernarg_preload_offset 0
		.amdhsa_user_sgpr_private_segment_size 0
		.amdhsa_uses_dynamic_stack 0
		.amdhsa_system_sgpr_private_segment_wavefront_offset 0
		.amdhsa_system_sgpr_workgroup_id_x 1
		.amdhsa_system_sgpr_workgroup_id_y 0
		.amdhsa_system_sgpr_workgroup_id_z 0
		.amdhsa_system_sgpr_workgroup_info 0
		.amdhsa_system_vgpr_workitem_id 0
		.amdhsa_next_free_vgpr 1
		.amdhsa_next_free_sgpr 0
		.amdhsa_accum_offset 4
		.amdhsa_reserve_vcc 0
		.amdhsa_reserve_flat_scratch 0
		.amdhsa_float_round_mode_32 0
		.amdhsa_float_round_mode_16_64 0
		.amdhsa_float_denorm_mode_32 3
		.amdhsa_float_denorm_mode_16_64 3
		.amdhsa_dx10_clamp 1
		.amdhsa_ieee_mode 1
		.amdhsa_fp16_overflow 0
		.amdhsa_tg_split 0
		.amdhsa_exception_fp_ieee_invalid_op 0
		.amdhsa_exception_fp_denorm_src 0
		.amdhsa_exception_fp_ieee_div_zero 0
		.amdhsa_exception_fp_ieee_overflow 0
		.amdhsa_exception_fp_ieee_underflow 0
		.amdhsa_exception_fp_ieee_inexact 0
		.amdhsa_exception_int_div_zero 0
	.end_amdhsa_kernel
	.section	.text._ZN7rocprim17ROCPRIM_400000_NS6detail17trampoline_kernelINS0_14default_configENS1_29reduce_by_key_config_selectorIjiN6thrust23THRUST_200600_302600_NS4plusIiEEEEZZNS1_33reduce_by_key_impl_wrapped_configILNS1_25lookback_scan_determinismE0ES3_S9_NS6_6detail15normal_iteratorINS6_10device_ptrIjEEEENSD_INSE_IiEEEENS6_16discard_iteratorINS6_11use_defaultEEESI_PmS8_NS6_8equal_toIjEEEE10hipError_tPvRmT2_T3_mT4_T5_T6_T7_T8_P12ihipStream_tbENKUlT_T0_E_clISt17integral_constantIbLb1EES16_EEDaS11_S12_EUlS11_E_NS1_11comp_targetILNS1_3genE10ELNS1_11target_archE1201ELNS1_3gpuE5ELNS1_3repE0EEENS1_30default_config_static_selectorELNS0_4arch9wavefront6targetE1EEEvT1_,"axG",@progbits,_ZN7rocprim17ROCPRIM_400000_NS6detail17trampoline_kernelINS0_14default_configENS1_29reduce_by_key_config_selectorIjiN6thrust23THRUST_200600_302600_NS4plusIiEEEEZZNS1_33reduce_by_key_impl_wrapped_configILNS1_25lookback_scan_determinismE0ES3_S9_NS6_6detail15normal_iteratorINS6_10device_ptrIjEEEENSD_INSE_IiEEEENS6_16discard_iteratorINS6_11use_defaultEEESI_PmS8_NS6_8equal_toIjEEEE10hipError_tPvRmT2_T3_mT4_T5_T6_T7_T8_P12ihipStream_tbENKUlT_T0_E_clISt17integral_constantIbLb1EES16_EEDaS11_S12_EUlS11_E_NS1_11comp_targetILNS1_3genE10ELNS1_11target_archE1201ELNS1_3gpuE5ELNS1_3repE0EEENS1_30default_config_static_selectorELNS0_4arch9wavefront6targetE1EEEvT1_,comdat
.Lfunc_end1035:
	.size	_ZN7rocprim17ROCPRIM_400000_NS6detail17trampoline_kernelINS0_14default_configENS1_29reduce_by_key_config_selectorIjiN6thrust23THRUST_200600_302600_NS4plusIiEEEEZZNS1_33reduce_by_key_impl_wrapped_configILNS1_25lookback_scan_determinismE0ES3_S9_NS6_6detail15normal_iteratorINS6_10device_ptrIjEEEENSD_INSE_IiEEEENS6_16discard_iteratorINS6_11use_defaultEEESI_PmS8_NS6_8equal_toIjEEEE10hipError_tPvRmT2_T3_mT4_T5_T6_T7_T8_P12ihipStream_tbENKUlT_T0_E_clISt17integral_constantIbLb1EES16_EEDaS11_S12_EUlS11_E_NS1_11comp_targetILNS1_3genE10ELNS1_11target_archE1201ELNS1_3gpuE5ELNS1_3repE0EEENS1_30default_config_static_selectorELNS0_4arch9wavefront6targetE1EEEvT1_, .Lfunc_end1035-_ZN7rocprim17ROCPRIM_400000_NS6detail17trampoline_kernelINS0_14default_configENS1_29reduce_by_key_config_selectorIjiN6thrust23THRUST_200600_302600_NS4plusIiEEEEZZNS1_33reduce_by_key_impl_wrapped_configILNS1_25lookback_scan_determinismE0ES3_S9_NS6_6detail15normal_iteratorINS6_10device_ptrIjEEEENSD_INSE_IiEEEENS6_16discard_iteratorINS6_11use_defaultEEESI_PmS8_NS6_8equal_toIjEEEE10hipError_tPvRmT2_T3_mT4_T5_T6_T7_T8_P12ihipStream_tbENKUlT_T0_E_clISt17integral_constantIbLb1EES16_EEDaS11_S12_EUlS11_E_NS1_11comp_targetILNS1_3genE10ELNS1_11target_archE1201ELNS1_3gpuE5ELNS1_3repE0EEENS1_30default_config_static_selectorELNS0_4arch9wavefront6targetE1EEEvT1_
                                        ; -- End function
	.section	.AMDGPU.csdata,"",@progbits
; Kernel info:
; codeLenInByte = 0
; NumSgprs: 4
; NumVgprs: 0
; NumAgprs: 0
; TotalNumVgprs: 0
; ScratchSize: 0
; MemoryBound: 0
; FloatMode: 240
; IeeeMode: 1
; LDSByteSize: 0 bytes/workgroup (compile time only)
; SGPRBlocks: 0
; VGPRBlocks: 0
; NumSGPRsForWavesPerEU: 4
; NumVGPRsForWavesPerEU: 1
; AccumOffset: 4
; Occupancy: 8
; WaveLimiterHint : 0
; COMPUTE_PGM_RSRC2:SCRATCH_EN: 0
; COMPUTE_PGM_RSRC2:USER_SGPR: 6
; COMPUTE_PGM_RSRC2:TRAP_HANDLER: 0
; COMPUTE_PGM_RSRC2:TGID_X_EN: 1
; COMPUTE_PGM_RSRC2:TGID_Y_EN: 0
; COMPUTE_PGM_RSRC2:TGID_Z_EN: 0
; COMPUTE_PGM_RSRC2:TIDIG_COMP_CNT: 0
; COMPUTE_PGM_RSRC3_GFX90A:ACCUM_OFFSET: 0
; COMPUTE_PGM_RSRC3_GFX90A:TG_SPLIT: 0
	.section	.text._ZN7rocprim17ROCPRIM_400000_NS6detail17trampoline_kernelINS0_14default_configENS1_29reduce_by_key_config_selectorIjiN6thrust23THRUST_200600_302600_NS4plusIiEEEEZZNS1_33reduce_by_key_impl_wrapped_configILNS1_25lookback_scan_determinismE0ES3_S9_NS6_6detail15normal_iteratorINS6_10device_ptrIjEEEENSD_INSE_IiEEEENS6_16discard_iteratorINS6_11use_defaultEEESI_PmS8_NS6_8equal_toIjEEEE10hipError_tPvRmT2_T3_mT4_T5_T6_T7_T8_P12ihipStream_tbENKUlT_T0_E_clISt17integral_constantIbLb1EES16_EEDaS11_S12_EUlS11_E_NS1_11comp_targetILNS1_3genE10ELNS1_11target_archE1200ELNS1_3gpuE4ELNS1_3repE0EEENS1_30default_config_static_selectorELNS0_4arch9wavefront6targetE1EEEvT1_,"axG",@progbits,_ZN7rocprim17ROCPRIM_400000_NS6detail17trampoline_kernelINS0_14default_configENS1_29reduce_by_key_config_selectorIjiN6thrust23THRUST_200600_302600_NS4plusIiEEEEZZNS1_33reduce_by_key_impl_wrapped_configILNS1_25lookback_scan_determinismE0ES3_S9_NS6_6detail15normal_iteratorINS6_10device_ptrIjEEEENSD_INSE_IiEEEENS6_16discard_iteratorINS6_11use_defaultEEESI_PmS8_NS6_8equal_toIjEEEE10hipError_tPvRmT2_T3_mT4_T5_T6_T7_T8_P12ihipStream_tbENKUlT_T0_E_clISt17integral_constantIbLb1EES16_EEDaS11_S12_EUlS11_E_NS1_11comp_targetILNS1_3genE10ELNS1_11target_archE1200ELNS1_3gpuE4ELNS1_3repE0EEENS1_30default_config_static_selectorELNS0_4arch9wavefront6targetE1EEEvT1_,comdat
	.protected	_ZN7rocprim17ROCPRIM_400000_NS6detail17trampoline_kernelINS0_14default_configENS1_29reduce_by_key_config_selectorIjiN6thrust23THRUST_200600_302600_NS4plusIiEEEEZZNS1_33reduce_by_key_impl_wrapped_configILNS1_25lookback_scan_determinismE0ES3_S9_NS6_6detail15normal_iteratorINS6_10device_ptrIjEEEENSD_INSE_IiEEEENS6_16discard_iteratorINS6_11use_defaultEEESI_PmS8_NS6_8equal_toIjEEEE10hipError_tPvRmT2_T3_mT4_T5_T6_T7_T8_P12ihipStream_tbENKUlT_T0_E_clISt17integral_constantIbLb1EES16_EEDaS11_S12_EUlS11_E_NS1_11comp_targetILNS1_3genE10ELNS1_11target_archE1200ELNS1_3gpuE4ELNS1_3repE0EEENS1_30default_config_static_selectorELNS0_4arch9wavefront6targetE1EEEvT1_ ; -- Begin function _ZN7rocprim17ROCPRIM_400000_NS6detail17trampoline_kernelINS0_14default_configENS1_29reduce_by_key_config_selectorIjiN6thrust23THRUST_200600_302600_NS4plusIiEEEEZZNS1_33reduce_by_key_impl_wrapped_configILNS1_25lookback_scan_determinismE0ES3_S9_NS6_6detail15normal_iteratorINS6_10device_ptrIjEEEENSD_INSE_IiEEEENS6_16discard_iteratorINS6_11use_defaultEEESI_PmS8_NS6_8equal_toIjEEEE10hipError_tPvRmT2_T3_mT4_T5_T6_T7_T8_P12ihipStream_tbENKUlT_T0_E_clISt17integral_constantIbLb1EES16_EEDaS11_S12_EUlS11_E_NS1_11comp_targetILNS1_3genE10ELNS1_11target_archE1200ELNS1_3gpuE4ELNS1_3repE0EEENS1_30default_config_static_selectorELNS0_4arch9wavefront6targetE1EEEvT1_
	.globl	_ZN7rocprim17ROCPRIM_400000_NS6detail17trampoline_kernelINS0_14default_configENS1_29reduce_by_key_config_selectorIjiN6thrust23THRUST_200600_302600_NS4plusIiEEEEZZNS1_33reduce_by_key_impl_wrapped_configILNS1_25lookback_scan_determinismE0ES3_S9_NS6_6detail15normal_iteratorINS6_10device_ptrIjEEEENSD_INSE_IiEEEENS6_16discard_iteratorINS6_11use_defaultEEESI_PmS8_NS6_8equal_toIjEEEE10hipError_tPvRmT2_T3_mT4_T5_T6_T7_T8_P12ihipStream_tbENKUlT_T0_E_clISt17integral_constantIbLb1EES16_EEDaS11_S12_EUlS11_E_NS1_11comp_targetILNS1_3genE10ELNS1_11target_archE1200ELNS1_3gpuE4ELNS1_3repE0EEENS1_30default_config_static_selectorELNS0_4arch9wavefront6targetE1EEEvT1_
	.p2align	8
	.type	_ZN7rocprim17ROCPRIM_400000_NS6detail17trampoline_kernelINS0_14default_configENS1_29reduce_by_key_config_selectorIjiN6thrust23THRUST_200600_302600_NS4plusIiEEEEZZNS1_33reduce_by_key_impl_wrapped_configILNS1_25lookback_scan_determinismE0ES3_S9_NS6_6detail15normal_iteratorINS6_10device_ptrIjEEEENSD_INSE_IiEEEENS6_16discard_iteratorINS6_11use_defaultEEESI_PmS8_NS6_8equal_toIjEEEE10hipError_tPvRmT2_T3_mT4_T5_T6_T7_T8_P12ihipStream_tbENKUlT_T0_E_clISt17integral_constantIbLb1EES16_EEDaS11_S12_EUlS11_E_NS1_11comp_targetILNS1_3genE10ELNS1_11target_archE1200ELNS1_3gpuE4ELNS1_3repE0EEENS1_30default_config_static_selectorELNS0_4arch9wavefront6targetE1EEEvT1_,@function
_ZN7rocprim17ROCPRIM_400000_NS6detail17trampoline_kernelINS0_14default_configENS1_29reduce_by_key_config_selectorIjiN6thrust23THRUST_200600_302600_NS4plusIiEEEEZZNS1_33reduce_by_key_impl_wrapped_configILNS1_25lookback_scan_determinismE0ES3_S9_NS6_6detail15normal_iteratorINS6_10device_ptrIjEEEENSD_INSE_IiEEEENS6_16discard_iteratorINS6_11use_defaultEEESI_PmS8_NS6_8equal_toIjEEEE10hipError_tPvRmT2_T3_mT4_T5_T6_T7_T8_P12ihipStream_tbENKUlT_T0_E_clISt17integral_constantIbLb1EES16_EEDaS11_S12_EUlS11_E_NS1_11comp_targetILNS1_3genE10ELNS1_11target_archE1200ELNS1_3gpuE4ELNS1_3repE0EEENS1_30default_config_static_selectorELNS0_4arch9wavefront6targetE1EEEvT1_: ; @_ZN7rocprim17ROCPRIM_400000_NS6detail17trampoline_kernelINS0_14default_configENS1_29reduce_by_key_config_selectorIjiN6thrust23THRUST_200600_302600_NS4plusIiEEEEZZNS1_33reduce_by_key_impl_wrapped_configILNS1_25lookback_scan_determinismE0ES3_S9_NS6_6detail15normal_iteratorINS6_10device_ptrIjEEEENSD_INSE_IiEEEENS6_16discard_iteratorINS6_11use_defaultEEESI_PmS8_NS6_8equal_toIjEEEE10hipError_tPvRmT2_T3_mT4_T5_T6_T7_T8_P12ihipStream_tbENKUlT_T0_E_clISt17integral_constantIbLb1EES16_EEDaS11_S12_EUlS11_E_NS1_11comp_targetILNS1_3genE10ELNS1_11target_archE1200ELNS1_3gpuE4ELNS1_3repE0EEENS1_30default_config_static_selectorELNS0_4arch9wavefront6targetE1EEEvT1_
; %bb.0:
	.section	.rodata,"a",@progbits
	.p2align	6, 0x0
	.amdhsa_kernel _ZN7rocprim17ROCPRIM_400000_NS6detail17trampoline_kernelINS0_14default_configENS1_29reduce_by_key_config_selectorIjiN6thrust23THRUST_200600_302600_NS4plusIiEEEEZZNS1_33reduce_by_key_impl_wrapped_configILNS1_25lookback_scan_determinismE0ES3_S9_NS6_6detail15normal_iteratorINS6_10device_ptrIjEEEENSD_INSE_IiEEEENS6_16discard_iteratorINS6_11use_defaultEEESI_PmS8_NS6_8equal_toIjEEEE10hipError_tPvRmT2_T3_mT4_T5_T6_T7_T8_P12ihipStream_tbENKUlT_T0_E_clISt17integral_constantIbLb1EES16_EEDaS11_S12_EUlS11_E_NS1_11comp_targetILNS1_3genE10ELNS1_11target_archE1200ELNS1_3gpuE4ELNS1_3repE0EEENS1_30default_config_static_selectorELNS0_4arch9wavefront6targetE1EEEvT1_
		.amdhsa_group_segment_fixed_size 0
		.amdhsa_private_segment_fixed_size 0
		.amdhsa_kernarg_size 128
		.amdhsa_user_sgpr_count 6
		.amdhsa_user_sgpr_private_segment_buffer 1
		.amdhsa_user_sgpr_dispatch_ptr 0
		.amdhsa_user_sgpr_queue_ptr 0
		.amdhsa_user_sgpr_kernarg_segment_ptr 1
		.amdhsa_user_sgpr_dispatch_id 0
		.amdhsa_user_sgpr_flat_scratch_init 0
		.amdhsa_user_sgpr_kernarg_preload_length 0
		.amdhsa_user_sgpr_kernarg_preload_offset 0
		.amdhsa_user_sgpr_private_segment_size 0
		.amdhsa_uses_dynamic_stack 0
		.amdhsa_system_sgpr_private_segment_wavefront_offset 0
		.amdhsa_system_sgpr_workgroup_id_x 1
		.amdhsa_system_sgpr_workgroup_id_y 0
		.amdhsa_system_sgpr_workgroup_id_z 0
		.amdhsa_system_sgpr_workgroup_info 0
		.amdhsa_system_vgpr_workitem_id 0
		.amdhsa_next_free_vgpr 1
		.amdhsa_next_free_sgpr 0
		.amdhsa_accum_offset 4
		.amdhsa_reserve_vcc 0
		.amdhsa_reserve_flat_scratch 0
		.amdhsa_float_round_mode_32 0
		.amdhsa_float_round_mode_16_64 0
		.amdhsa_float_denorm_mode_32 3
		.amdhsa_float_denorm_mode_16_64 3
		.amdhsa_dx10_clamp 1
		.amdhsa_ieee_mode 1
		.amdhsa_fp16_overflow 0
		.amdhsa_tg_split 0
		.amdhsa_exception_fp_ieee_invalid_op 0
		.amdhsa_exception_fp_denorm_src 0
		.amdhsa_exception_fp_ieee_div_zero 0
		.amdhsa_exception_fp_ieee_overflow 0
		.amdhsa_exception_fp_ieee_underflow 0
		.amdhsa_exception_fp_ieee_inexact 0
		.amdhsa_exception_int_div_zero 0
	.end_amdhsa_kernel
	.section	.text._ZN7rocprim17ROCPRIM_400000_NS6detail17trampoline_kernelINS0_14default_configENS1_29reduce_by_key_config_selectorIjiN6thrust23THRUST_200600_302600_NS4plusIiEEEEZZNS1_33reduce_by_key_impl_wrapped_configILNS1_25lookback_scan_determinismE0ES3_S9_NS6_6detail15normal_iteratorINS6_10device_ptrIjEEEENSD_INSE_IiEEEENS6_16discard_iteratorINS6_11use_defaultEEESI_PmS8_NS6_8equal_toIjEEEE10hipError_tPvRmT2_T3_mT4_T5_T6_T7_T8_P12ihipStream_tbENKUlT_T0_E_clISt17integral_constantIbLb1EES16_EEDaS11_S12_EUlS11_E_NS1_11comp_targetILNS1_3genE10ELNS1_11target_archE1200ELNS1_3gpuE4ELNS1_3repE0EEENS1_30default_config_static_selectorELNS0_4arch9wavefront6targetE1EEEvT1_,"axG",@progbits,_ZN7rocprim17ROCPRIM_400000_NS6detail17trampoline_kernelINS0_14default_configENS1_29reduce_by_key_config_selectorIjiN6thrust23THRUST_200600_302600_NS4plusIiEEEEZZNS1_33reduce_by_key_impl_wrapped_configILNS1_25lookback_scan_determinismE0ES3_S9_NS6_6detail15normal_iteratorINS6_10device_ptrIjEEEENSD_INSE_IiEEEENS6_16discard_iteratorINS6_11use_defaultEEESI_PmS8_NS6_8equal_toIjEEEE10hipError_tPvRmT2_T3_mT4_T5_T6_T7_T8_P12ihipStream_tbENKUlT_T0_E_clISt17integral_constantIbLb1EES16_EEDaS11_S12_EUlS11_E_NS1_11comp_targetILNS1_3genE10ELNS1_11target_archE1200ELNS1_3gpuE4ELNS1_3repE0EEENS1_30default_config_static_selectorELNS0_4arch9wavefront6targetE1EEEvT1_,comdat
.Lfunc_end1036:
	.size	_ZN7rocprim17ROCPRIM_400000_NS6detail17trampoline_kernelINS0_14default_configENS1_29reduce_by_key_config_selectorIjiN6thrust23THRUST_200600_302600_NS4plusIiEEEEZZNS1_33reduce_by_key_impl_wrapped_configILNS1_25lookback_scan_determinismE0ES3_S9_NS6_6detail15normal_iteratorINS6_10device_ptrIjEEEENSD_INSE_IiEEEENS6_16discard_iteratorINS6_11use_defaultEEESI_PmS8_NS6_8equal_toIjEEEE10hipError_tPvRmT2_T3_mT4_T5_T6_T7_T8_P12ihipStream_tbENKUlT_T0_E_clISt17integral_constantIbLb1EES16_EEDaS11_S12_EUlS11_E_NS1_11comp_targetILNS1_3genE10ELNS1_11target_archE1200ELNS1_3gpuE4ELNS1_3repE0EEENS1_30default_config_static_selectorELNS0_4arch9wavefront6targetE1EEEvT1_, .Lfunc_end1036-_ZN7rocprim17ROCPRIM_400000_NS6detail17trampoline_kernelINS0_14default_configENS1_29reduce_by_key_config_selectorIjiN6thrust23THRUST_200600_302600_NS4plusIiEEEEZZNS1_33reduce_by_key_impl_wrapped_configILNS1_25lookback_scan_determinismE0ES3_S9_NS6_6detail15normal_iteratorINS6_10device_ptrIjEEEENSD_INSE_IiEEEENS6_16discard_iteratorINS6_11use_defaultEEESI_PmS8_NS6_8equal_toIjEEEE10hipError_tPvRmT2_T3_mT4_T5_T6_T7_T8_P12ihipStream_tbENKUlT_T0_E_clISt17integral_constantIbLb1EES16_EEDaS11_S12_EUlS11_E_NS1_11comp_targetILNS1_3genE10ELNS1_11target_archE1200ELNS1_3gpuE4ELNS1_3repE0EEENS1_30default_config_static_selectorELNS0_4arch9wavefront6targetE1EEEvT1_
                                        ; -- End function
	.section	.AMDGPU.csdata,"",@progbits
; Kernel info:
; codeLenInByte = 0
; NumSgprs: 4
; NumVgprs: 0
; NumAgprs: 0
; TotalNumVgprs: 0
; ScratchSize: 0
; MemoryBound: 0
; FloatMode: 240
; IeeeMode: 1
; LDSByteSize: 0 bytes/workgroup (compile time only)
; SGPRBlocks: 0
; VGPRBlocks: 0
; NumSGPRsForWavesPerEU: 4
; NumVGPRsForWavesPerEU: 1
; AccumOffset: 4
; Occupancy: 8
; WaveLimiterHint : 0
; COMPUTE_PGM_RSRC2:SCRATCH_EN: 0
; COMPUTE_PGM_RSRC2:USER_SGPR: 6
; COMPUTE_PGM_RSRC2:TRAP_HANDLER: 0
; COMPUTE_PGM_RSRC2:TGID_X_EN: 1
; COMPUTE_PGM_RSRC2:TGID_Y_EN: 0
; COMPUTE_PGM_RSRC2:TGID_Z_EN: 0
; COMPUTE_PGM_RSRC2:TIDIG_COMP_CNT: 0
; COMPUTE_PGM_RSRC3_GFX90A:ACCUM_OFFSET: 0
; COMPUTE_PGM_RSRC3_GFX90A:TG_SPLIT: 0
	.section	.text._ZN7rocprim17ROCPRIM_400000_NS6detail17trampoline_kernelINS0_14default_configENS1_29reduce_by_key_config_selectorIjiN6thrust23THRUST_200600_302600_NS4plusIiEEEEZZNS1_33reduce_by_key_impl_wrapped_configILNS1_25lookback_scan_determinismE0ES3_S9_NS6_6detail15normal_iteratorINS6_10device_ptrIjEEEENSD_INSE_IiEEEENS6_16discard_iteratorINS6_11use_defaultEEESI_PmS8_NS6_8equal_toIjEEEE10hipError_tPvRmT2_T3_mT4_T5_T6_T7_T8_P12ihipStream_tbENKUlT_T0_E_clISt17integral_constantIbLb1EES16_EEDaS11_S12_EUlS11_E_NS1_11comp_targetILNS1_3genE9ELNS1_11target_archE1100ELNS1_3gpuE3ELNS1_3repE0EEENS1_30default_config_static_selectorELNS0_4arch9wavefront6targetE1EEEvT1_,"axG",@progbits,_ZN7rocprim17ROCPRIM_400000_NS6detail17trampoline_kernelINS0_14default_configENS1_29reduce_by_key_config_selectorIjiN6thrust23THRUST_200600_302600_NS4plusIiEEEEZZNS1_33reduce_by_key_impl_wrapped_configILNS1_25lookback_scan_determinismE0ES3_S9_NS6_6detail15normal_iteratorINS6_10device_ptrIjEEEENSD_INSE_IiEEEENS6_16discard_iteratorINS6_11use_defaultEEESI_PmS8_NS6_8equal_toIjEEEE10hipError_tPvRmT2_T3_mT4_T5_T6_T7_T8_P12ihipStream_tbENKUlT_T0_E_clISt17integral_constantIbLb1EES16_EEDaS11_S12_EUlS11_E_NS1_11comp_targetILNS1_3genE9ELNS1_11target_archE1100ELNS1_3gpuE3ELNS1_3repE0EEENS1_30default_config_static_selectorELNS0_4arch9wavefront6targetE1EEEvT1_,comdat
	.protected	_ZN7rocprim17ROCPRIM_400000_NS6detail17trampoline_kernelINS0_14default_configENS1_29reduce_by_key_config_selectorIjiN6thrust23THRUST_200600_302600_NS4plusIiEEEEZZNS1_33reduce_by_key_impl_wrapped_configILNS1_25lookback_scan_determinismE0ES3_S9_NS6_6detail15normal_iteratorINS6_10device_ptrIjEEEENSD_INSE_IiEEEENS6_16discard_iteratorINS6_11use_defaultEEESI_PmS8_NS6_8equal_toIjEEEE10hipError_tPvRmT2_T3_mT4_T5_T6_T7_T8_P12ihipStream_tbENKUlT_T0_E_clISt17integral_constantIbLb1EES16_EEDaS11_S12_EUlS11_E_NS1_11comp_targetILNS1_3genE9ELNS1_11target_archE1100ELNS1_3gpuE3ELNS1_3repE0EEENS1_30default_config_static_selectorELNS0_4arch9wavefront6targetE1EEEvT1_ ; -- Begin function _ZN7rocprim17ROCPRIM_400000_NS6detail17trampoline_kernelINS0_14default_configENS1_29reduce_by_key_config_selectorIjiN6thrust23THRUST_200600_302600_NS4plusIiEEEEZZNS1_33reduce_by_key_impl_wrapped_configILNS1_25lookback_scan_determinismE0ES3_S9_NS6_6detail15normal_iteratorINS6_10device_ptrIjEEEENSD_INSE_IiEEEENS6_16discard_iteratorINS6_11use_defaultEEESI_PmS8_NS6_8equal_toIjEEEE10hipError_tPvRmT2_T3_mT4_T5_T6_T7_T8_P12ihipStream_tbENKUlT_T0_E_clISt17integral_constantIbLb1EES16_EEDaS11_S12_EUlS11_E_NS1_11comp_targetILNS1_3genE9ELNS1_11target_archE1100ELNS1_3gpuE3ELNS1_3repE0EEENS1_30default_config_static_selectorELNS0_4arch9wavefront6targetE1EEEvT1_
	.globl	_ZN7rocprim17ROCPRIM_400000_NS6detail17trampoline_kernelINS0_14default_configENS1_29reduce_by_key_config_selectorIjiN6thrust23THRUST_200600_302600_NS4plusIiEEEEZZNS1_33reduce_by_key_impl_wrapped_configILNS1_25lookback_scan_determinismE0ES3_S9_NS6_6detail15normal_iteratorINS6_10device_ptrIjEEEENSD_INSE_IiEEEENS6_16discard_iteratorINS6_11use_defaultEEESI_PmS8_NS6_8equal_toIjEEEE10hipError_tPvRmT2_T3_mT4_T5_T6_T7_T8_P12ihipStream_tbENKUlT_T0_E_clISt17integral_constantIbLb1EES16_EEDaS11_S12_EUlS11_E_NS1_11comp_targetILNS1_3genE9ELNS1_11target_archE1100ELNS1_3gpuE3ELNS1_3repE0EEENS1_30default_config_static_selectorELNS0_4arch9wavefront6targetE1EEEvT1_
	.p2align	8
	.type	_ZN7rocprim17ROCPRIM_400000_NS6detail17trampoline_kernelINS0_14default_configENS1_29reduce_by_key_config_selectorIjiN6thrust23THRUST_200600_302600_NS4plusIiEEEEZZNS1_33reduce_by_key_impl_wrapped_configILNS1_25lookback_scan_determinismE0ES3_S9_NS6_6detail15normal_iteratorINS6_10device_ptrIjEEEENSD_INSE_IiEEEENS6_16discard_iteratorINS6_11use_defaultEEESI_PmS8_NS6_8equal_toIjEEEE10hipError_tPvRmT2_T3_mT4_T5_T6_T7_T8_P12ihipStream_tbENKUlT_T0_E_clISt17integral_constantIbLb1EES16_EEDaS11_S12_EUlS11_E_NS1_11comp_targetILNS1_3genE9ELNS1_11target_archE1100ELNS1_3gpuE3ELNS1_3repE0EEENS1_30default_config_static_selectorELNS0_4arch9wavefront6targetE1EEEvT1_,@function
_ZN7rocprim17ROCPRIM_400000_NS6detail17trampoline_kernelINS0_14default_configENS1_29reduce_by_key_config_selectorIjiN6thrust23THRUST_200600_302600_NS4plusIiEEEEZZNS1_33reduce_by_key_impl_wrapped_configILNS1_25lookback_scan_determinismE0ES3_S9_NS6_6detail15normal_iteratorINS6_10device_ptrIjEEEENSD_INSE_IiEEEENS6_16discard_iteratorINS6_11use_defaultEEESI_PmS8_NS6_8equal_toIjEEEE10hipError_tPvRmT2_T3_mT4_T5_T6_T7_T8_P12ihipStream_tbENKUlT_T0_E_clISt17integral_constantIbLb1EES16_EEDaS11_S12_EUlS11_E_NS1_11comp_targetILNS1_3genE9ELNS1_11target_archE1100ELNS1_3gpuE3ELNS1_3repE0EEENS1_30default_config_static_selectorELNS0_4arch9wavefront6targetE1EEEvT1_: ; @_ZN7rocprim17ROCPRIM_400000_NS6detail17trampoline_kernelINS0_14default_configENS1_29reduce_by_key_config_selectorIjiN6thrust23THRUST_200600_302600_NS4plusIiEEEEZZNS1_33reduce_by_key_impl_wrapped_configILNS1_25lookback_scan_determinismE0ES3_S9_NS6_6detail15normal_iteratorINS6_10device_ptrIjEEEENSD_INSE_IiEEEENS6_16discard_iteratorINS6_11use_defaultEEESI_PmS8_NS6_8equal_toIjEEEE10hipError_tPvRmT2_T3_mT4_T5_T6_T7_T8_P12ihipStream_tbENKUlT_T0_E_clISt17integral_constantIbLb1EES16_EEDaS11_S12_EUlS11_E_NS1_11comp_targetILNS1_3genE9ELNS1_11target_archE1100ELNS1_3gpuE3ELNS1_3repE0EEENS1_30default_config_static_selectorELNS0_4arch9wavefront6targetE1EEEvT1_
; %bb.0:
	.section	.rodata,"a",@progbits
	.p2align	6, 0x0
	.amdhsa_kernel _ZN7rocprim17ROCPRIM_400000_NS6detail17trampoline_kernelINS0_14default_configENS1_29reduce_by_key_config_selectorIjiN6thrust23THRUST_200600_302600_NS4plusIiEEEEZZNS1_33reduce_by_key_impl_wrapped_configILNS1_25lookback_scan_determinismE0ES3_S9_NS6_6detail15normal_iteratorINS6_10device_ptrIjEEEENSD_INSE_IiEEEENS6_16discard_iteratorINS6_11use_defaultEEESI_PmS8_NS6_8equal_toIjEEEE10hipError_tPvRmT2_T3_mT4_T5_T6_T7_T8_P12ihipStream_tbENKUlT_T0_E_clISt17integral_constantIbLb1EES16_EEDaS11_S12_EUlS11_E_NS1_11comp_targetILNS1_3genE9ELNS1_11target_archE1100ELNS1_3gpuE3ELNS1_3repE0EEENS1_30default_config_static_selectorELNS0_4arch9wavefront6targetE1EEEvT1_
		.amdhsa_group_segment_fixed_size 0
		.amdhsa_private_segment_fixed_size 0
		.amdhsa_kernarg_size 128
		.amdhsa_user_sgpr_count 6
		.amdhsa_user_sgpr_private_segment_buffer 1
		.amdhsa_user_sgpr_dispatch_ptr 0
		.amdhsa_user_sgpr_queue_ptr 0
		.amdhsa_user_sgpr_kernarg_segment_ptr 1
		.amdhsa_user_sgpr_dispatch_id 0
		.amdhsa_user_sgpr_flat_scratch_init 0
		.amdhsa_user_sgpr_kernarg_preload_length 0
		.amdhsa_user_sgpr_kernarg_preload_offset 0
		.amdhsa_user_sgpr_private_segment_size 0
		.amdhsa_uses_dynamic_stack 0
		.amdhsa_system_sgpr_private_segment_wavefront_offset 0
		.amdhsa_system_sgpr_workgroup_id_x 1
		.amdhsa_system_sgpr_workgroup_id_y 0
		.amdhsa_system_sgpr_workgroup_id_z 0
		.amdhsa_system_sgpr_workgroup_info 0
		.amdhsa_system_vgpr_workitem_id 0
		.amdhsa_next_free_vgpr 1
		.amdhsa_next_free_sgpr 0
		.amdhsa_accum_offset 4
		.amdhsa_reserve_vcc 0
		.amdhsa_reserve_flat_scratch 0
		.amdhsa_float_round_mode_32 0
		.amdhsa_float_round_mode_16_64 0
		.amdhsa_float_denorm_mode_32 3
		.amdhsa_float_denorm_mode_16_64 3
		.amdhsa_dx10_clamp 1
		.amdhsa_ieee_mode 1
		.amdhsa_fp16_overflow 0
		.amdhsa_tg_split 0
		.amdhsa_exception_fp_ieee_invalid_op 0
		.amdhsa_exception_fp_denorm_src 0
		.amdhsa_exception_fp_ieee_div_zero 0
		.amdhsa_exception_fp_ieee_overflow 0
		.amdhsa_exception_fp_ieee_underflow 0
		.amdhsa_exception_fp_ieee_inexact 0
		.amdhsa_exception_int_div_zero 0
	.end_amdhsa_kernel
	.section	.text._ZN7rocprim17ROCPRIM_400000_NS6detail17trampoline_kernelINS0_14default_configENS1_29reduce_by_key_config_selectorIjiN6thrust23THRUST_200600_302600_NS4plusIiEEEEZZNS1_33reduce_by_key_impl_wrapped_configILNS1_25lookback_scan_determinismE0ES3_S9_NS6_6detail15normal_iteratorINS6_10device_ptrIjEEEENSD_INSE_IiEEEENS6_16discard_iteratorINS6_11use_defaultEEESI_PmS8_NS6_8equal_toIjEEEE10hipError_tPvRmT2_T3_mT4_T5_T6_T7_T8_P12ihipStream_tbENKUlT_T0_E_clISt17integral_constantIbLb1EES16_EEDaS11_S12_EUlS11_E_NS1_11comp_targetILNS1_3genE9ELNS1_11target_archE1100ELNS1_3gpuE3ELNS1_3repE0EEENS1_30default_config_static_selectorELNS0_4arch9wavefront6targetE1EEEvT1_,"axG",@progbits,_ZN7rocprim17ROCPRIM_400000_NS6detail17trampoline_kernelINS0_14default_configENS1_29reduce_by_key_config_selectorIjiN6thrust23THRUST_200600_302600_NS4plusIiEEEEZZNS1_33reduce_by_key_impl_wrapped_configILNS1_25lookback_scan_determinismE0ES3_S9_NS6_6detail15normal_iteratorINS6_10device_ptrIjEEEENSD_INSE_IiEEEENS6_16discard_iteratorINS6_11use_defaultEEESI_PmS8_NS6_8equal_toIjEEEE10hipError_tPvRmT2_T3_mT4_T5_T6_T7_T8_P12ihipStream_tbENKUlT_T0_E_clISt17integral_constantIbLb1EES16_EEDaS11_S12_EUlS11_E_NS1_11comp_targetILNS1_3genE9ELNS1_11target_archE1100ELNS1_3gpuE3ELNS1_3repE0EEENS1_30default_config_static_selectorELNS0_4arch9wavefront6targetE1EEEvT1_,comdat
.Lfunc_end1037:
	.size	_ZN7rocprim17ROCPRIM_400000_NS6detail17trampoline_kernelINS0_14default_configENS1_29reduce_by_key_config_selectorIjiN6thrust23THRUST_200600_302600_NS4plusIiEEEEZZNS1_33reduce_by_key_impl_wrapped_configILNS1_25lookback_scan_determinismE0ES3_S9_NS6_6detail15normal_iteratorINS6_10device_ptrIjEEEENSD_INSE_IiEEEENS6_16discard_iteratorINS6_11use_defaultEEESI_PmS8_NS6_8equal_toIjEEEE10hipError_tPvRmT2_T3_mT4_T5_T6_T7_T8_P12ihipStream_tbENKUlT_T0_E_clISt17integral_constantIbLb1EES16_EEDaS11_S12_EUlS11_E_NS1_11comp_targetILNS1_3genE9ELNS1_11target_archE1100ELNS1_3gpuE3ELNS1_3repE0EEENS1_30default_config_static_selectorELNS0_4arch9wavefront6targetE1EEEvT1_, .Lfunc_end1037-_ZN7rocprim17ROCPRIM_400000_NS6detail17trampoline_kernelINS0_14default_configENS1_29reduce_by_key_config_selectorIjiN6thrust23THRUST_200600_302600_NS4plusIiEEEEZZNS1_33reduce_by_key_impl_wrapped_configILNS1_25lookback_scan_determinismE0ES3_S9_NS6_6detail15normal_iteratorINS6_10device_ptrIjEEEENSD_INSE_IiEEEENS6_16discard_iteratorINS6_11use_defaultEEESI_PmS8_NS6_8equal_toIjEEEE10hipError_tPvRmT2_T3_mT4_T5_T6_T7_T8_P12ihipStream_tbENKUlT_T0_E_clISt17integral_constantIbLb1EES16_EEDaS11_S12_EUlS11_E_NS1_11comp_targetILNS1_3genE9ELNS1_11target_archE1100ELNS1_3gpuE3ELNS1_3repE0EEENS1_30default_config_static_selectorELNS0_4arch9wavefront6targetE1EEEvT1_
                                        ; -- End function
	.section	.AMDGPU.csdata,"",@progbits
; Kernel info:
; codeLenInByte = 0
; NumSgprs: 4
; NumVgprs: 0
; NumAgprs: 0
; TotalNumVgprs: 0
; ScratchSize: 0
; MemoryBound: 0
; FloatMode: 240
; IeeeMode: 1
; LDSByteSize: 0 bytes/workgroup (compile time only)
; SGPRBlocks: 0
; VGPRBlocks: 0
; NumSGPRsForWavesPerEU: 4
; NumVGPRsForWavesPerEU: 1
; AccumOffset: 4
; Occupancy: 8
; WaveLimiterHint : 0
; COMPUTE_PGM_RSRC2:SCRATCH_EN: 0
; COMPUTE_PGM_RSRC2:USER_SGPR: 6
; COMPUTE_PGM_RSRC2:TRAP_HANDLER: 0
; COMPUTE_PGM_RSRC2:TGID_X_EN: 1
; COMPUTE_PGM_RSRC2:TGID_Y_EN: 0
; COMPUTE_PGM_RSRC2:TGID_Z_EN: 0
; COMPUTE_PGM_RSRC2:TIDIG_COMP_CNT: 0
; COMPUTE_PGM_RSRC3_GFX90A:ACCUM_OFFSET: 0
; COMPUTE_PGM_RSRC3_GFX90A:TG_SPLIT: 0
	.section	.text._ZN7rocprim17ROCPRIM_400000_NS6detail17trampoline_kernelINS0_14default_configENS1_29reduce_by_key_config_selectorIjiN6thrust23THRUST_200600_302600_NS4plusIiEEEEZZNS1_33reduce_by_key_impl_wrapped_configILNS1_25lookback_scan_determinismE0ES3_S9_NS6_6detail15normal_iteratorINS6_10device_ptrIjEEEENSD_INSE_IiEEEENS6_16discard_iteratorINS6_11use_defaultEEESI_PmS8_NS6_8equal_toIjEEEE10hipError_tPvRmT2_T3_mT4_T5_T6_T7_T8_P12ihipStream_tbENKUlT_T0_E_clISt17integral_constantIbLb1EES16_EEDaS11_S12_EUlS11_E_NS1_11comp_targetILNS1_3genE8ELNS1_11target_archE1030ELNS1_3gpuE2ELNS1_3repE0EEENS1_30default_config_static_selectorELNS0_4arch9wavefront6targetE1EEEvT1_,"axG",@progbits,_ZN7rocprim17ROCPRIM_400000_NS6detail17trampoline_kernelINS0_14default_configENS1_29reduce_by_key_config_selectorIjiN6thrust23THRUST_200600_302600_NS4plusIiEEEEZZNS1_33reduce_by_key_impl_wrapped_configILNS1_25lookback_scan_determinismE0ES3_S9_NS6_6detail15normal_iteratorINS6_10device_ptrIjEEEENSD_INSE_IiEEEENS6_16discard_iteratorINS6_11use_defaultEEESI_PmS8_NS6_8equal_toIjEEEE10hipError_tPvRmT2_T3_mT4_T5_T6_T7_T8_P12ihipStream_tbENKUlT_T0_E_clISt17integral_constantIbLb1EES16_EEDaS11_S12_EUlS11_E_NS1_11comp_targetILNS1_3genE8ELNS1_11target_archE1030ELNS1_3gpuE2ELNS1_3repE0EEENS1_30default_config_static_selectorELNS0_4arch9wavefront6targetE1EEEvT1_,comdat
	.protected	_ZN7rocprim17ROCPRIM_400000_NS6detail17trampoline_kernelINS0_14default_configENS1_29reduce_by_key_config_selectorIjiN6thrust23THRUST_200600_302600_NS4plusIiEEEEZZNS1_33reduce_by_key_impl_wrapped_configILNS1_25lookback_scan_determinismE0ES3_S9_NS6_6detail15normal_iteratorINS6_10device_ptrIjEEEENSD_INSE_IiEEEENS6_16discard_iteratorINS6_11use_defaultEEESI_PmS8_NS6_8equal_toIjEEEE10hipError_tPvRmT2_T3_mT4_T5_T6_T7_T8_P12ihipStream_tbENKUlT_T0_E_clISt17integral_constantIbLb1EES16_EEDaS11_S12_EUlS11_E_NS1_11comp_targetILNS1_3genE8ELNS1_11target_archE1030ELNS1_3gpuE2ELNS1_3repE0EEENS1_30default_config_static_selectorELNS0_4arch9wavefront6targetE1EEEvT1_ ; -- Begin function _ZN7rocprim17ROCPRIM_400000_NS6detail17trampoline_kernelINS0_14default_configENS1_29reduce_by_key_config_selectorIjiN6thrust23THRUST_200600_302600_NS4plusIiEEEEZZNS1_33reduce_by_key_impl_wrapped_configILNS1_25lookback_scan_determinismE0ES3_S9_NS6_6detail15normal_iteratorINS6_10device_ptrIjEEEENSD_INSE_IiEEEENS6_16discard_iteratorINS6_11use_defaultEEESI_PmS8_NS6_8equal_toIjEEEE10hipError_tPvRmT2_T3_mT4_T5_T6_T7_T8_P12ihipStream_tbENKUlT_T0_E_clISt17integral_constantIbLb1EES16_EEDaS11_S12_EUlS11_E_NS1_11comp_targetILNS1_3genE8ELNS1_11target_archE1030ELNS1_3gpuE2ELNS1_3repE0EEENS1_30default_config_static_selectorELNS0_4arch9wavefront6targetE1EEEvT1_
	.globl	_ZN7rocprim17ROCPRIM_400000_NS6detail17trampoline_kernelINS0_14default_configENS1_29reduce_by_key_config_selectorIjiN6thrust23THRUST_200600_302600_NS4plusIiEEEEZZNS1_33reduce_by_key_impl_wrapped_configILNS1_25lookback_scan_determinismE0ES3_S9_NS6_6detail15normal_iteratorINS6_10device_ptrIjEEEENSD_INSE_IiEEEENS6_16discard_iteratorINS6_11use_defaultEEESI_PmS8_NS6_8equal_toIjEEEE10hipError_tPvRmT2_T3_mT4_T5_T6_T7_T8_P12ihipStream_tbENKUlT_T0_E_clISt17integral_constantIbLb1EES16_EEDaS11_S12_EUlS11_E_NS1_11comp_targetILNS1_3genE8ELNS1_11target_archE1030ELNS1_3gpuE2ELNS1_3repE0EEENS1_30default_config_static_selectorELNS0_4arch9wavefront6targetE1EEEvT1_
	.p2align	8
	.type	_ZN7rocprim17ROCPRIM_400000_NS6detail17trampoline_kernelINS0_14default_configENS1_29reduce_by_key_config_selectorIjiN6thrust23THRUST_200600_302600_NS4plusIiEEEEZZNS1_33reduce_by_key_impl_wrapped_configILNS1_25lookback_scan_determinismE0ES3_S9_NS6_6detail15normal_iteratorINS6_10device_ptrIjEEEENSD_INSE_IiEEEENS6_16discard_iteratorINS6_11use_defaultEEESI_PmS8_NS6_8equal_toIjEEEE10hipError_tPvRmT2_T3_mT4_T5_T6_T7_T8_P12ihipStream_tbENKUlT_T0_E_clISt17integral_constantIbLb1EES16_EEDaS11_S12_EUlS11_E_NS1_11comp_targetILNS1_3genE8ELNS1_11target_archE1030ELNS1_3gpuE2ELNS1_3repE0EEENS1_30default_config_static_selectorELNS0_4arch9wavefront6targetE1EEEvT1_,@function
_ZN7rocprim17ROCPRIM_400000_NS6detail17trampoline_kernelINS0_14default_configENS1_29reduce_by_key_config_selectorIjiN6thrust23THRUST_200600_302600_NS4plusIiEEEEZZNS1_33reduce_by_key_impl_wrapped_configILNS1_25lookback_scan_determinismE0ES3_S9_NS6_6detail15normal_iteratorINS6_10device_ptrIjEEEENSD_INSE_IiEEEENS6_16discard_iteratorINS6_11use_defaultEEESI_PmS8_NS6_8equal_toIjEEEE10hipError_tPvRmT2_T3_mT4_T5_T6_T7_T8_P12ihipStream_tbENKUlT_T0_E_clISt17integral_constantIbLb1EES16_EEDaS11_S12_EUlS11_E_NS1_11comp_targetILNS1_3genE8ELNS1_11target_archE1030ELNS1_3gpuE2ELNS1_3repE0EEENS1_30default_config_static_selectorELNS0_4arch9wavefront6targetE1EEEvT1_: ; @_ZN7rocprim17ROCPRIM_400000_NS6detail17trampoline_kernelINS0_14default_configENS1_29reduce_by_key_config_selectorIjiN6thrust23THRUST_200600_302600_NS4plusIiEEEEZZNS1_33reduce_by_key_impl_wrapped_configILNS1_25lookback_scan_determinismE0ES3_S9_NS6_6detail15normal_iteratorINS6_10device_ptrIjEEEENSD_INSE_IiEEEENS6_16discard_iteratorINS6_11use_defaultEEESI_PmS8_NS6_8equal_toIjEEEE10hipError_tPvRmT2_T3_mT4_T5_T6_T7_T8_P12ihipStream_tbENKUlT_T0_E_clISt17integral_constantIbLb1EES16_EEDaS11_S12_EUlS11_E_NS1_11comp_targetILNS1_3genE8ELNS1_11target_archE1030ELNS1_3gpuE2ELNS1_3repE0EEENS1_30default_config_static_selectorELNS0_4arch9wavefront6targetE1EEEvT1_
; %bb.0:
	.section	.rodata,"a",@progbits
	.p2align	6, 0x0
	.amdhsa_kernel _ZN7rocprim17ROCPRIM_400000_NS6detail17trampoline_kernelINS0_14default_configENS1_29reduce_by_key_config_selectorIjiN6thrust23THRUST_200600_302600_NS4plusIiEEEEZZNS1_33reduce_by_key_impl_wrapped_configILNS1_25lookback_scan_determinismE0ES3_S9_NS6_6detail15normal_iteratorINS6_10device_ptrIjEEEENSD_INSE_IiEEEENS6_16discard_iteratorINS6_11use_defaultEEESI_PmS8_NS6_8equal_toIjEEEE10hipError_tPvRmT2_T3_mT4_T5_T6_T7_T8_P12ihipStream_tbENKUlT_T0_E_clISt17integral_constantIbLb1EES16_EEDaS11_S12_EUlS11_E_NS1_11comp_targetILNS1_3genE8ELNS1_11target_archE1030ELNS1_3gpuE2ELNS1_3repE0EEENS1_30default_config_static_selectorELNS0_4arch9wavefront6targetE1EEEvT1_
		.amdhsa_group_segment_fixed_size 0
		.amdhsa_private_segment_fixed_size 0
		.amdhsa_kernarg_size 128
		.amdhsa_user_sgpr_count 6
		.amdhsa_user_sgpr_private_segment_buffer 1
		.amdhsa_user_sgpr_dispatch_ptr 0
		.amdhsa_user_sgpr_queue_ptr 0
		.amdhsa_user_sgpr_kernarg_segment_ptr 1
		.amdhsa_user_sgpr_dispatch_id 0
		.amdhsa_user_sgpr_flat_scratch_init 0
		.amdhsa_user_sgpr_kernarg_preload_length 0
		.amdhsa_user_sgpr_kernarg_preload_offset 0
		.amdhsa_user_sgpr_private_segment_size 0
		.amdhsa_uses_dynamic_stack 0
		.amdhsa_system_sgpr_private_segment_wavefront_offset 0
		.amdhsa_system_sgpr_workgroup_id_x 1
		.amdhsa_system_sgpr_workgroup_id_y 0
		.amdhsa_system_sgpr_workgroup_id_z 0
		.amdhsa_system_sgpr_workgroup_info 0
		.amdhsa_system_vgpr_workitem_id 0
		.amdhsa_next_free_vgpr 1
		.amdhsa_next_free_sgpr 0
		.amdhsa_accum_offset 4
		.amdhsa_reserve_vcc 0
		.amdhsa_reserve_flat_scratch 0
		.amdhsa_float_round_mode_32 0
		.amdhsa_float_round_mode_16_64 0
		.amdhsa_float_denorm_mode_32 3
		.amdhsa_float_denorm_mode_16_64 3
		.amdhsa_dx10_clamp 1
		.amdhsa_ieee_mode 1
		.amdhsa_fp16_overflow 0
		.amdhsa_tg_split 0
		.amdhsa_exception_fp_ieee_invalid_op 0
		.amdhsa_exception_fp_denorm_src 0
		.amdhsa_exception_fp_ieee_div_zero 0
		.amdhsa_exception_fp_ieee_overflow 0
		.amdhsa_exception_fp_ieee_underflow 0
		.amdhsa_exception_fp_ieee_inexact 0
		.amdhsa_exception_int_div_zero 0
	.end_amdhsa_kernel
	.section	.text._ZN7rocprim17ROCPRIM_400000_NS6detail17trampoline_kernelINS0_14default_configENS1_29reduce_by_key_config_selectorIjiN6thrust23THRUST_200600_302600_NS4plusIiEEEEZZNS1_33reduce_by_key_impl_wrapped_configILNS1_25lookback_scan_determinismE0ES3_S9_NS6_6detail15normal_iteratorINS6_10device_ptrIjEEEENSD_INSE_IiEEEENS6_16discard_iteratorINS6_11use_defaultEEESI_PmS8_NS6_8equal_toIjEEEE10hipError_tPvRmT2_T3_mT4_T5_T6_T7_T8_P12ihipStream_tbENKUlT_T0_E_clISt17integral_constantIbLb1EES16_EEDaS11_S12_EUlS11_E_NS1_11comp_targetILNS1_3genE8ELNS1_11target_archE1030ELNS1_3gpuE2ELNS1_3repE0EEENS1_30default_config_static_selectorELNS0_4arch9wavefront6targetE1EEEvT1_,"axG",@progbits,_ZN7rocprim17ROCPRIM_400000_NS6detail17trampoline_kernelINS0_14default_configENS1_29reduce_by_key_config_selectorIjiN6thrust23THRUST_200600_302600_NS4plusIiEEEEZZNS1_33reduce_by_key_impl_wrapped_configILNS1_25lookback_scan_determinismE0ES3_S9_NS6_6detail15normal_iteratorINS6_10device_ptrIjEEEENSD_INSE_IiEEEENS6_16discard_iteratorINS6_11use_defaultEEESI_PmS8_NS6_8equal_toIjEEEE10hipError_tPvRmT2_T3_mT4_T5_T6_T7_T8_P12ihipStream_tbENKUlT_T0_E_clISt17integral_constantIbLb1EES16_EEDaS11_S12_EUlS11_E_NS1_11comp_targetILNS1_3genE8ELNS1_11target_archE1030ELNS1_3gpuE2ELNS1_3repE0EEENS1_30default_config_static_selectorELNS0_4arch9wavefront6targetE1EEEvT1_,comdat
.Lfunc_end1038:
	.size	_ZN7rocprim17ROCPRIM_400000_NS6detail17trampoline_kernelINS0_14default_configENS1_29reduce_by_key_config_selectorIjiN6thrust23THRUST_200600_302600_NS4plusIiEEEEZZNS1_33reduce_by_key_impl_wrapped_configILNS1_25lookback_scan_determinismE0ES3_S9_NS6_6detail15normal_iteratorINS6_10device_ptrIjEEEENSD_INSE_IiEEEENS6_16discard_iteratorINS6_11use_defaultEEESI_PmS8_NS6_8equal_toIjEEEE10hipError_tPvRmT2_T3_mT4_T5_T6_T7_T8_P12ihipStream_tbENKUlT_T0_E_clISt17integral_constantIbLb1EES16_EEDaS11_S12_EUlS11_E_NS1_11comp_targetILNS1_3genE8ELNS1_11target_archE1030ELNS1_3gpuE2ELNS1_3repE0EEENS1_30default_config_static_selectorELNS0_4arch9wavefront6targetE1EEEvT1_, .Lfunc_end1038-_ZN7rocprim17ROCPRIM_400000_NS6detail17trampoline_kernelINS0_14default_configENS1_29reduce_by_key_config_selectorIjiN6thrust23THRUST_200600_302600_NS4plusIiEEEEZZNS1_33reduce_by_key_impl_wrapped_configILNS1_25lookback_scan_determinismE0ES3_S9_NS6_6detail15normal_iteratorINS6_10device_ptrIjEEEENSD_INSE_IiEEEENS6_16discard_iteratorINS6_11use_defaultEEESI_PmS8_NS6_8equal_toIjEEEE10hipError_tPvRmT2_T3_mT4_T5_T6_T7_T8_P12ihipStream_tbENKUlT_T0_E_clISt17integral_constantIbLb1EES16_EEDaS11_S12_EUlS11_E_NS1_11comp_targetILNS1_3genE8ELNS1_11target_archE1030ELNS1_3gpuE2ELNS1_3repE0EEENS1_30default_config_static_selectorELNS0_4arch9wavefront6targetE1EEEvT1_
                                        ; -- End function
	.section	.AMDGPU.csdata,"",@progbits
; Kernel info:
; codeLenInByte = 0
; NumSgprs: 4
; NumVgprs: 0
; NumAgprs: 0
; TotalNumVgprs: 0
; ScratchSize: 0
; MemoryBound: 0
; FloatMode: 240
; IeeeMode: 1
; LDSByteSize: 0 bytes/workgroup (compile time only)
; SGPRBlocks: 0
; VGPRBlocks: 0
; NumSGPRsForWavesPerEU: 4
; NumVGPRsForWavesPerEU: 1
; AccumOffset: 4
; Occupancy: 8
; WaveLimiterHint : 0
; COMPUTE_PGM_RSRC2:SCRATCH_EN: 0
; COMPUTE_PGM_RSRC2:USER_SGPR: 6
; COMPUTE_PGM_RSRC2:TRAP_HANDLER: 0
; COMPUTE_PGM_RSRC2:TGID_X_EN: 1
; COMPUTE_PGM_RSRC2:TGID_Y_EN: 0
; COMPUTE_PGM_RSRC2:TGID_Z_EN: 0
; COMPUTE_PGM_RSRC2:TIDIG_COMP_CNT: 0
; COMPUTE_PGM_RSRC3_GFX90A:ACCUM_OFFSET: 0
; COMPUTE_PGM_RSRC3_GFX90A:TG_SPLIT: 0
	.section	.text._ZN7rocprim17ROCPRIM_400000_NS6detail17trampoline_kernelINS0_14default_configENS1_29reduce_by_key_config_selectorIjiN6thrust23THRUST_200600_302600_NS4plusIiEEEEZZNS1_33reduce_by_key_impl_wrapped_configILNS1_25lookback_scan_determinismE0ES3_S9_NS6_6detail15normal_iteratorINS6_10device_ptrIjEEEENSD_INSE_IiEEEENS6_16discard_iteratorINS6_11use_defaultEEESI_PmS8_NS6_8equal_toIjEEEE10hipError_tPvRmT2_T3_mT4_T5_T6_T7_T8_P12ihipStream_tbENKUlT_T0_E_clISt17integral_constantIbLb1EES15_IbLb0EEEEDaS11_S12_EUlS11_E_NS1_11comp_targetILNS1_3genE0ELNS1_11target_archE4294967295ELNS1_3gpuE0ELNS1_3repE0EEENS1_30default_config_static_selectorELNS0_4arch9wavefront6targetE1EEEvT1_,"axG",@progbits,_ZN7rocprim17ROCPRIM_400000_NS6detail17trampoline_kernelINS0_14default_configENS1_29reduce_by_key_config_selectorIjiN6thrust23THRUST_200600_302600_NS4plusIiEEEEZZNS1_33reduce_by_key_impl_wrapped_configILNS1_25lookback_scan_determinismE0ES3_S9_NS6_6detail15normal_iteratorINS6_10device_ptrIjEEEENSD_INSE_IiEEEENS6_16discard_iteratorINS6_11use_defaultEEESI_PmS8_NS6_8equal_toIjEEEE10hipError_tPvRmT2_T3_mT4_T5_T6_T7_T8_P12ihipStream_tbENKUlT_T0_E_clISt17integral_constantIbLb1EES15_IbLb0EEEEDaS11_S12_EUlS11_E_NS1_11comp_targetILNS1_3genE0ELNS1_11target_archE4294967295ELNS1_3gpuE0ELNS1_3repE0EEENS1_30default_config_static_selectorELNS0_4arch9wavefront6targetE1EEEvT1_,comdat
	.protected	_ZN7rocprim17ROCPRIM_400000_NS6detail17trampoline_kernelINS0_14default_configENS1_29reduce_by_key_config_selectorIjiN6thrust23THRUST_200600_302600_NS4plusIiEEEEZZNS1_33reduce_by_key_impl_wrapped_configILNS1_25lookback_scan_determinismE0ES3_S9_NS6_6detail15normal_iteratorINS6_10device_ptrIjEEEENSD_INSE_IiEEEENS6_16discard_iteratorINS6_11use_defaultEEESI_PmS8_NS6_8equal_toIjEEEE10hipError_tPvRmT2_T3_mT4_T5_T6_T7_T8_P12ihipStream_tbENKUlT_T0_E_clISt17integral_constantIbLb1EES15_IbLb0EEEEDaS11_S12_EUlS11_E_NS1_11comp_targetILNS1_3genE0ELNS1_11target_archE4294967295ELNS1_3gpuE0ELNS1_3repE0EEENS1_30default_config_static_selectorELNS0_4arch9wavefront6targetE1EEEvT1_ ; -- Begin function _ZN7rocprim17ROCPRIM_400000_NS6detail17trampoline_kernelINS0_14default_configENS1_29reduce_by_key_config_selectorIjiN6thrust23THRUST_200600_302600_NS4plusIiEEEEZZNS1_33reduce_by_key_impl_wrapped_configILNS1_25lookback_scan_determinismE0ES3_S9_NS6_6detail15normal_iteratorINS6_10device_ptrIjEEEENSD_INSE_IiEEEENS6_16discard_iteratorINS6_11use_defaultEEESI_PmS8_NS6_8equal_toIjEEEE10hipError_tPvRmT2_T3_mT4_T5_T6_T7_T8_P12ihipStream_tbENKUlT_T0_E_clISt17integral_constantIbLb1EES15_IbLb0EEEEDaS11_S12_EUlS11_E_NS1_11comp_targetILNS1_3genE0ELNS1_11target_archE4294967295ELNS1_3gpuE0ELNS1_3repE0EEENS1_30default_config_static_selectorELNS0_4arch9wavefront6targetE1EEEvT1_
	.globl	_ZN7rocprim17ROCPRIM_400000_NS6detail17trampoline_kernelINS0_14default_configENS1_29reduce_by_key_config_selectorIjiN6thrust23THRUST_200600_302600_NS4plusIiEEEEZZNS1_33reduce_by_key_impl_wrapped_configILNS1_25lookback_scan_determinismE0ES3_S9_NS6_6detail15normal_iteratorINS6_10device_ptrIjEEEENSD_INSE_IiEEEENS6_16discard_iteratorINS6_11use_defaultEEESI_PmS8_NS6_8equal_toIjEEEE10hipError_tPvRmT2_T3_mT4_T5_T6_T7_T8_P12ihipStream_tbENKUlT_T0_E_clISt17integral_constantIbLb1EES15_IbLb0EEEEDaS11_S12_EUlS11_E_NS1_11comp_targetILNS1_3genE0ELNS1_11target_archE4294967295ELNS1_3gpuE0ELNS1_3repE0EEENS1_30default_config_static_selectorELNS0_4arch9wavefront6targetE1EEEvT1_
	.p2align	8
	.type	_ZN7rocprim17ROCPRIM_400000_NS6detail17trampoline_kernelINS0_14default_configENS1_29reduce_by_key_config_selectorIjiN6thrust23THRUST_200600_302600_NS4plusIiEEEEZZNS1_33reduce_by_key_impl_wrapped_configILNS1_25lookback_scan_determinismE0ES3_S9_NS6_6detail15normal_iteratorINS6_10device_ptrIjEEEENSD_INSE_IiEEEENS6_16discard_iteratorINS6_11use_defaultEEESI_PmS8_NS6_8equal_toIjEEEE10hipError_tPvRmT2_T3_mT4_T5_T6_T7_T8_P12ihipStream_tbENKUlT_T0_E_clISt17integral_constantIbLb1EES15_IbLb0EEEEDaS11_S12_EUlS11_E_NS1_11comp_targetILNS1_3genE0ELNS1_11target_archE4294967295ELNS1_3gpuE0ELNS1_3repE0EEENS1_30default_config_static_selectorELNS0_4arch9wavefront6targetE1EEEvT1_,@function
_ZN7rocprim17ROCPRIM_400000_NS6detail17trampoline_kernelINS0_14default_configENS1_29reduce_by_key_config_selectorIjiN6thrust23THRUST_200600_302600_NS4plusIiEEEEZZNS1_33reduce_by_key_impl_wrapped_configILNS1_25lookback_scan_determinismE0ES3_S9_NS6_6detail15normal_iteratorINS6_10device_ptrIjEEEENSD_INSE_IiEEEENS6_16discard_iteratorINS6_11use_defaultEEESI_PmS8_NS6_8equal_toIjEEEE10hipError_tPvRmT2_T3_mT4_T5_T6_T7_T8_P12ihipStream_tbENKUlT_T0_E_clISt17integral_constantIbLb1EES15_IbLb0EEEEDaS11_S12_EUlS11_E_NS1_11comp_targetILNS1_3genE0ELNS1_11target_archE4294967295ELNS1_3gpuE0ELNS1_3repE0EEENS1_30default_config_static_selectorELNS0_4arch9wavefront6targetE1EEEvT1_: ; @_ZN7rocprim17ROCPRIM_400000_NS6detail17trampoline_kernelINS0_14default_configENS1_29reduce_by_key_config_selectorIjiN6thrust23THRUST_200600_302600_NS4plusIiEEEEZZNS1_33reduce_by_key_impl_wrapped_configILNS1_25lookback_scan_determinismE0ES3_S9_NS6_6detail15normal_iteratorINS6_10device_ptrIjEEEENSD_INSE_IiEEEENS6_16discard_iteratorINS6_11use_defaultEEESI_PmS8_NS6_8equal_toIjEEEE10hipError_tPvRmT2_T3_mT4_T5_T6_T7_T8_P12ihipStream_tbENKUlT_T0_E_clISt17integral_constantIbLb1EES15_IbLb0EEEEDaS11_S12_EUlS11_E_NS1_11comp_targetILNS1_3genE0ELNS1_11target_archE4294967295ELNS1_3gpuE0ELNS1_3repE0EEENS1_30default_config_static_selectorELNS0_4arch9wavefront6targetE1EEEvT1_
; %bb.0:
	.section	.rodata,"a",@progbits
	.p2align	6, 0x0
	.amdhsa_kernel _ZN7rocprim17ROCPRIM_400000_NS6detail17trampoline_kernelINS0_14default_configENS1_29reduce_by_key_config_selectorIjiN6thrust23THRUST_200600_302600_NS4plusIiEEEEZZNS1_33reduce_by_key_impl_wrapped_configILNS1_25lookback_scan_determinismE0ES3_S9_NS6_6detail15normal_iteratorINS6_10device_ptrIjEEEENSD_INSE_IiEEEENS6_16discard_iteratorINS6_11use_defaultEEESI_PmS8_NS6_8equal_toIjEEEE10hipError_tPvRmT2_T3_mT4_T5_T6_T7_T8_P12ihipStream_tbENKUlT_T0_E_clISt17integral_constantIbLb1EES15_IbLb0EEEEDaS11_S12_EUlS11_E_NS1_11comp_targetILNS1_3genE0ELNS1_11target_archE4294967295ELNS1_3gpuE0ELNS1_3repE0EEENS1_30default_config_static_selectorELNS0_4arch9wavefront6targetE1EEEvT1_
		.amdhsa_group_segment_fixed_size 0
		.amdhsa_private_segment_fixed_size 0
		.amdhsa_kernarg_size 128
		.amdhsa_user_sgpr_count 6
		.amdhsa_user_sgpr_private_segment_buffer 1
		.amdhsa_user_sgpr_dispatch_ptr 0
		.amdhsa_user_sgpr_queue_ptr 0
		.amdhsa_user_sgpr_kernarg_segment_ptr 1
		.amdhsa_user_sgpr_dispatch_id 0
		.amdhsa_user_sgpr_flat_scratch_init 0
		.amdhsa_user_sgpr_kernarg_preload_length 0
		.amdhsa_user_sgpr_kernarg_preload_offset 0
		.amdhsa_user_sgpr_private_segment_size 0
		.amdhsa_uses_dynamic_stack 0
		.amdhsa_system_sgpr_private_segment_wavefront_offset 0
		.amdhsa_system_sgpr_workgroup_id_x 1
		.amdhsa_system_sgpr_workgroup_id_y 0
		.amdhsa_system_sgpr_workgroup_id_z 0
		.amdhsa_system_sgpr_workgroup_info 0
		.amdhsa_system_vgpr_workitem_id 0
		.amdhsa_next_free_vgpr 1
		.amdhsa_next_free_sgpr 0
		.amdhsa_accum_offset 4
		.amdhsa_reserve_vcc 0
		.amdhsa_reserve_flat_scratch 0
		.amdhsa_float_round_mode_32 0
		.amdhsa_float_round_mode_16_64 0
		.amdhsa_float_denorm_mode_32 3
		.amdhsa_float_denorm_mode_16_64 3
		.amdhsa_dx10_clamp 1
		.amdhsa_ieee_mode 1
		.amdhsa_fp16_overflow 0
		.amdhsa_tg_split 0
		.amdhsa_exception_fp_ieee_invalid_op 0
		.amdhsa_exception_fp_denorm_src 0
		.amdhsa_exception_fp_ieee_div_zero 0
		.amdhsa_exception_fp_ieee_overflow 0
		.amdhsa_exception_fp_ieee_underflow 0
		.amdhsa_exception_fp_ieee_inexact 0
		.amdhsa_exception_int_div_zero 0
	.end_amdhsa_kernel
	.section	.text._ZN7rocprim17ROCPRIM_400000_NS6detail17trampoline_kernelINS0_14default_configENS1_29reduce_by_key_config_selectorIjiN6thrust23THRUST_200600_302600_NS4plusIiEEEEZZNS1_33reduce_by_key_impl_wrapped_configILNS1_25lookback_scan_determinismE0ES3_S9_NS6_6detail15normal_iteratorINS6_10device_ptrIjEEEENSD_INSE_IiEEEENS6_16discard_iteratorINS6_11use_defaultEEESI_PmS8_NS6_8equal_toIjEEEE10hipError_tPvRmT2_T3_mT4_T5_T6_T7_T8_P12ihipStream_tbENKUlT_T0_E_clISt17integral_constantIbLb1EES15_IbLb0EEEEDaS11_S12_EUlS11_E_NS1_11comp_targetILNS1_3genE0ELNS1_11target_archE4294967295ELNS1_3gpuE0ELNS1_3repE0EEENS1_30default_config_static_selectorELNS0_4arch9wavefront6targetE1EEEvT1_,"axG",@progbits,_ZN7rocprim17ROCPRIM_400000_NS6detail17trampoline_kernelINS0_14default_configENS1_29reduce_by_key_config_selectorIjiN6thrust23THRUST_200600_302600_NS4plusIiEEEEZZNS1_33reduce_by_key_impl_wrapped_configILNS1_25lookback_scan_determinismE0ES3_S9_NS6_6detail15normal_iteratorINS6_10device_ptrIjEEEENSD_INSE_IiEEEENS6_16discard_iteratorINS6_11use_defaultEEESI_PmS8_NS6_8equal_toIjEEEE10hipError_tPvRmT2_T3_mT4_T5_T6_T7_T8_P12ihipStream_tbENKUlT_T0_E_clISt17integral_constantIbLb1EES15_IbLb0EEEEDaS11_S12_EUlS11_E_NS1_11comp_targetILNS1_3genE0ELNS1_11target_archE4294967295ELNS1_3gpuE0ELNS1_3repE0EEENS1_30default_config_static_selectorELNS0_4arch9wavefront6targetE1EEEvT1_,comdat
.Lfunc_end1039:
	.size	_ZN7rocprim17ROCPRIM_400000_NS6detail17trampoline_kernelINS0_14default_configENS1_29reduce_by_key_config_selectorIjiN6thrust23THRUST_200600_302600_NS4plusIiEEEEZZNS1_33reduce_by_key_impl_wrapped_configILNS1_25lookback_scan_determinismE0ES3_S9_NS6_6detail15normal_iteratorINS6_10device_ptrIjEEEENSD_INSE_IiEEEENS6_16discard_iteratorINS6_11use_defaultEEESI_PmS8_NS6_8equal_toIjEEEE10hipError_tPvRmT2_T3_mT4_T5_T6_T7_T8_P12ihipStream_tbENKUlT_T0_E_clISt17integral_constantIbLb1EES15_IbLb0EEEEDaS11_S12_EUlS11_E_NS1_11comp_targetILNS1_3genE0ELNS1_11target_archE4294967295ELNS1_3gpuE0ELNS1_3repE0EEENS1_30default_config_static_selectorELNS0_4arch9wavefront6targetE1EEEvT1_, .Lfunc_end1039-_ZN7rocprim17ROCPRIM_400000_NS6detail17trampoline_kernelINS0_14default_configENS1_29reduce_by_key_config_selectorIjiN6thrust23THRUST_200600_302600_NS4plusIiEEEEZZNS1_33reduce_by_key_impl_wrapped_configILNS1_25lookback_scan_determinismE0ES3_S9_NS6_6detail15normal_iteratorINS6_10device_ptrIjEEEENSD_INSE_IiEEEENS6_16discard_iteratorINS6_11use_defaultEEESI_PmS8_NS6_8equal_toIjEEEE10hipError_tPvRmT2_T3_mT4_T5_T6_T7_T8_P12ihipStream_tbENKUlT_T0_E_clISt17integral_constantIbLb1EES15_IbLb0EEEEDaS11_S12_EUlS11_E_NS1_11comp_targetILNS1_3genE0ELNS1_11target_archE4294967295ELNS1_3gpuE0ELNS1_3repE0EEENS1_30default_config_static_selectorELNS0_4arch9wavefront6targetE1EEEvT1_
                                        ; -- End function
	.section	.AMDGPU.csdata,"",@progbits
; Kernel info:
; codeLenInByte = 0
; NumSgprs: 4
; NumVgprs: 0
; NumAgprs: 0
; TotalNumVgprs: 0
; ScratchSize: 0
; MemoryBound: 0
; FloatMode: 240
; IeeeMode: 1
; LDSByteSize: 0 bytes/workgroup (compile time only)
; SGPRBlocks: 0
; VGPRBlocks: 0
; NumSGPRsForWavesPerEU: 4
; NumVGPRsForWavesPerEU: 1
; AccumOffset: 4
; Occupancy: 8
; WaveLimiterHint : 0
; COMPUTE_PGM_RSRC2:SCRATCH_EN: 0
; COMPUTE_PGM_RSRC2:USER_SGPR: 6
; COMPUTE_PGM_RSRC2:TRAP_HANDLER: 0
; COMPUTE_PGM_RSRC2:TGID_X_EN: 1
; COMPUTE_PGM_RSRC2:TGID_Y_EN: 0
; COMPUTE_PGM_RSRC2:TGID_Z_EN: 0
; COMPUTE_PGM_RSRC2:TIDIG_COMP_CNT: 0
; COMPUTE_PGM_RSRC3_GFX90A:ACCUM_OFFSET: 0
; COMPUTE_PGM_RSRC3_GFX90A:TG_SPLIT: 0
	.section	.text._ZN7rocprim17ROCPRIM_400000_NS6detail17trampoline_kernelINS0_14default_configENS1_29reduce_by_key_config_selectorIjiN6thrust23THRUST_200600_302600_NS4plusIiEEEEZZNS1_33reduce_by_key_impl_wrapped_configILNS1_25lookback_scan_determinismE0ES3_S9_NS6_6detail15normal_iteratorINS6_10device_ptrIjEEEENSD_INSE_IiEEEENS6_16discard_iteratorINS6_11use_defaultEEESI_PmS8_NS6_8equal_toIjEEEE10hipError_tPvRmT2_T3_mT4_T5_T6_T7_T8_P12ihipStream_tbENKUlT_T0_E_clISt17integral_constantIbLb1EES15_IbLb0EEEEDaS11_S12_EUlS11_E_NS1_11comp_targetILNS1_3genE5ELNS1_11target_archE942ELNS1_3gpuE9ELNS1_3repE0EEENS1_30default_config_static_selectorELNS0_4arch9wavefront6targetE1EEEvT1_,"axG",@progbits,_ZN7rocprim17ROCPRIM_400000_NS6detail17trampoline_kernelINS0_14default_configENS1_29reduce_by_key_config_selectorIjiN6thrust23THRUST_200600_302600_NS4plusIiEEEEZZNS1_33reduce_by_key_impl_wrapped_configILNS1_25lookback_scan_determinismE0ES3_S9_NS6_6detail15normal_iteratorINS6_10device_ptrIjEEEENSD_INSE_IiEEEENS6_16discard_iteratorINS6_11use_defaultEEESI_PmS8_NS6_8equal_toIjEEEE10hipError_tPvRmT2_T3_mT4_T5_T6_T7_T8_P12ihipStream_tbENKUlT_T0_E_clISt17integral_constantIbLb1EES15_IbLb0EEEEDaS11_S12_EUlS11_E_NS1_11comp_targetILNS1_3genE5ELNS1_11target_archE942ELNS1_3gpuE9ELNS1_3repE0EEENS1_30default_config_static_selectorELNS0_4arch9wavefront6targetE1EEEvT1_,comdat
	.protected	_ZN7rocprim17ROCPRIM_400000_NS6detail17trampoline_kernelINS0_14default_configENS1_29reduce_by_key_config_selectorIjiN6thrust23THRUST_200600_302600_NS4plusIiEEEEZZNS1_33reduce_by_key_impl_wrapped_configILNS1_25lookback_scan_determinismE0ES3_S9_NS6_6detail15normal_iteratorINS6_10device_ptrIjEEEENSD_INSE_IiEEEENS6_16discard_iteratorINS6_11use_defaultEEESI_PmS8_NS6_8equal_toIjEEEE10hipError_tPvRmT2_T3_mT4_T5_T6_T7_T8_P12ihipStream_tbENKUlT_T0_E_clISt17integral_constantIbLb1EES15_IbLb0EEEEDaS11_S12_EUlS11_E_NS1_11comp_targetILNS1_3genE5ELNS1_11target_archE942ELNS1_3gpuE9ELNS1_3repE0EEENS1_30default_config_static_selectorELNS0_4arch9wavefront6targetE1EEEvT1_ ; -- Begin function _ZN7rocprim17ROCPRIM_400000_NS6detail17trampoline_kernelINS0_14default_configENS1_29reduce_by_key_config_selectorIjiN6thrust23THRUST_200600_302600_NS4plusIiEEEEZZNS1_33reduce_by_key_impl_wrapped_configILNS1_25lookback_scan_determinismE0ES3_S9_NS6_6detail15normal_iteratorINS6_10device_ptrIjEEEENSD_INSE_IiEEEENS6_16discard_iteratorINS6_11use_defaultEEESI_PmS8_NS6_8equal_toIjEEEE10hipError_tPvRmT2_T3_mT4_T5_T6_T7_T8_P12ihipStream_tbENKUlT_T0_E_clISt17integral_constantIbLb1EES15_IbLb0EEEEDaS11_S12_EUlS11_E_NS1_11comp_targetILNS1_3genE5ELNS1_11target_archE942ELNS1_3gpuE9ELNS1_3repE0EEENS1_30default_config_static_selectorELNS0_4arch9wavefront6targetE1EEEvT1_
	.globl	_ZN7rocprim17ROCPRIM_400000_NS6detail17trampoline_kernelINS0_14default_configENS1_29reduce_by_key_config_selectorIjiN6thrust23THRUST_200600_302600_NS4plusIiEEEEZZNS1_33reduce_by_key_impl_wrapped_configILNS1_25lookback_scan_determinismE0ES3_S9_NS6_6detail15normal_iteratorINS6_10device_ptrIjEEEENSD_INSE_IiEEEENS6_16discard_iteratorINS6_11use_defaultEEESI_PmS8_NS6_8equal_toIjEEEE10hipError_tPvRmT2_T3_mT4_T5_T6_T7_T8_P12ihipStream_tbENKUlT_T0_E_clISt17integral_constantIbLb1EES15_IbLb0EEEEDaS11_S12_EUlS11_E_NS1_11comp_targetILNS1_3genE5ELNS1_11target_archE942ELNS1_3gpuE9ELNS1_3repE0EEENS1_30default_config_static_selectorELNS0_4arch9wavefront6targetE1EEEvT1_
	.p2align	8
	.type	_ZN7rocprim17ROCPRIM_400000_NS6detail17trampoline_kernelINS0_14default_configENS1_29reduce_by_key_config_selectorIjiN6thrust23THRUST_200600_302600_NS4plusIiEEEEZZNS1_33reduce_by_key_impl_wrapped_configILNS1_25lookback_scan_determinismE0ES3_S9_NS6_6detail15normal_iteratorINS6_10device_ptrIjEEEENSD_INSE_IiEEEENS6_16discard_iteratorINS6_11use_defaultEEESI_PmS8_NS6_8equal_toIjEEEE10hipError_tPvRmT2_T3_mT4_T5_T6_T7_T8_P12ihipStream_tbENKUlT_T0_E_clISt17integral_constantIbLb1EES15_IbLb0EEEEDaS11_S12_EUlS11_E_NS1_11comp_targetILNS1_3genE5ELNS1_11target_archE942ELNS1_3gpuE9ELNS1_3repE0EEENS1_30default_config_static_selectorELNS0_4arch9wavefront6targetE1EEEvT1_,@function
_ZN7rocprim17ROCPRIM_400000_NS6detail17trampoline_kernelINS0_14default_configENS1_29reduce_by_key_config_selectorIjiN6thrust23THRUST_200600_302600_NS4plusIiEEEEZZNS1_33reduce_by_key_impl_wrapped_configILNS1_25lookback_scan_determinismE0ES3_S9_NS6_6detail15normal_iteratorINS6_10device_ptrIjEEEENSD_INSE_IiEEEENS6_16discard_iteratorINS6_11use_defaultEEESI_PmS8_NS6_8equal_toIjEEEE10hipError_tPvRmT2_T3_mT4_T5_T6_T7_T8_P12ihipStream_tbENKUlT_T0_E_clISt17integral_constantIbLb1EES15_IbLb0EEEEDaS11_S12_EUlS11_E_NS1_11comp_targetILNS1_3genE5ELNS1_11target_archE942ELNS1_3gpuE9ELNS1_3repE0EEENS1_30default_config_static_selectorELNS0_4arch9wavefront6targetE1EEEvT1_: ; @_ZN7rocprim17ROCPRIM_400000_NS6detail17trampoline_kernelINS0_14default_configENS1_29reduce_by_key_config_selectorIjiN6thrust23THRUST_200600_302600_NS4plusIiEEEEZZNS1_33reduce_by_key_impl_wrapped_configILNS1_25lookback_scan_determinismE0ES3_S9_NS6_6detail15normal_iteratorINS6_10device_ptrIjEEEENSD_INSE_IiEEEENS6_16discard_iteratorINS6_11use_defaultEEESI_PmS8_NS6_8equal_toIjEEEE10hipError_tPvRmT2_T3_mT4_T5_T6_T7_T8_P12ihipStream_tbENKUlT_T0_E_clISt17integral_constantIbLb1EES15_IbLb0EEEEDaS11_S12_EUlS11_E_NS1_11comp_targetILNS1_3genE5ELNS1_11target_archE942ELNS1_3gpuE9ELNS1_3repE0EEENS1_30default_config_static_selectorELNS0_4arch9wavefront6targetE1EEEvT1_
; %bb.0:
	.section	.rodata,"a",@progbits
	.p2align	6, 0x0
	.amdhsa_kernel _ZN7rocprim17ROCPRIM_400000_NS6detail17trampoline_kernelINS0_14default_configENS1_29reduce_by_key_config_selectorIjiN6thrust23THRUST_200600_302600_NS4plusIiEEEEZZNS1_33reduce_by_key_impl_wrapped_configILNS1_25lookback_scan_determinismE0ES3_S9_NS6_6detail15normal_iteratorINS6_10device_ptrIjEEEENSD_INSE_IiEEEENS6_16discard_iteratorINS6_11use_defaultEEESI_PmS8_NS6_8equal_toIjEEEE10hipError_tPvRmT2_T3_mT4_T5_T6_T7_T8_P12ihipStream_tbENKUlT_T0_E_clISt17integral_constantIbLb1EES15_IbLb0EEEEDaS11_S12_EUlS11_E_NS1_11comp_targetILNS1_3genE5ELNS1_11target_archE942ELNS1_3gpuE9ELNS1_3repE0EEENS1_30default_config_static_selectorELNS0_4arch9wavefront6targetE1EEEvT1_
		.amdhsa_group_segment_fixed_size 0
		.amdhsa_private_segment_fixed_size 0
		.amdhsa_kernarg_size 128
		.amdhsa_user_sgpr_count 6
		.amdhsa_user_sgpr_private_segment_buffer 1
		.amdhsa_user_sgpr_dispatch_ptr 0
		.amdhsa_user_sgpr_queue_ptr 0
		.amdhsa_user_sgpr_kernarg_segment_ptr 1
		.amdhsa_user_sgpr_dispatch_id 0
		.amdhsa_user_sgpr_flat_scratch_init 0
		.amdhsa_user_sgpr_kernarg_preload_length 0
		.amdhsa_user_sgpr_kernarg_preload_offset 0
		.amdhsa_user_sgpr_private_segment_size 0
		.amdhsa_uses_dynamic_stack 0
		.amdhsa_system_sgpr_private_segment_wavefront_offset 0
		.amdhsa_system_sgpr_workgroup_id_x 1
		.amdhsa_system_sgpr_workgroup_id_y 0
		.amdhsa_system_sgpr_workgroup_id_z 0
		.amdhsa_system_sgpr_workgroup_info 0
		.amdhsa_system_vgpr_workitem_id 0
		.amdhsa_next_free_vgpr 1
		.amdhsa_next_free_sgpr 0
		.amdhsa_accum_offset 4
		.amdhsa_reserve_vcc 0
		.amdhsa_reserve_flat_scratch 0
		.amdhsa_float_round_mode_32 0
		.amdhsa_float_round_mode_16_64 0
		.amdhsa_float_denorm_mode_32 3
		.amdhsa_float_denorm_mode_16_64 3
		.amdhsa_dx10_clamp 1
		.amdhsa_ieee_mode 1
		.amdhsa_fp16_overflow 0
		.amdhsa_tg_split 0
		.amdhsa_exception_fp_ieee_invalid_op 0
		.amdhsa_exception_fp_denorm_src 0
		.amdhsa_exception_fp_ieee_div_zero 0
		.amdhsa_exception_fp_ieee_overflow 0
		.amdhsa_exception_fp_ieee_underflow 0
		.amdhsa_exception_fp_ieee_inexact 0
		.amdhsa_exception_int_div_zero 0
	.end_amdhsa_kernel
	.section	.text._ZN7rocprim17ROCPRIM_400000_NS6detail17trampoline_kernelINS0_14default_configENS1_29reduce_by_key_config_selectorIjiN6thrust23THRUST_200600_302600_NS4plusIiEEEEZZNS1_33reduce_by_key_impl_wrapped_configILNS1_25lookback_scan_determinismE0ES3_S9_NS6_6detail15normal_iteratorINS6_10device_ptrIjEEEENSD_INSE_IiEEEENS6_16discard_iteratorINS6_11use_defaultEEESI_PmS8_NS6_8equal_toIjEEEE10hipError_tPvRmT2_T3_mT4_T5_T6_T7_T8_P12ihipStream_tbENKUlT_T0_E_clISt17integral_constantIbLb1EES15_IbLb0EEEEDaS11_S12_EUlS11_E_NS1_11comp_targetILNS1_3genE5ELNS1_11target_archE942ELNS1_3gpuE9ELNS1_3repE0EEENS1_30default_config_static_selectorELNS0_4arch9wavefront6targetE1EEEvT1_,"axG",@progbits,_ZN7rocprim17ROCPRIM_400000_NS6detail17trampoline_kernelINS0_14default_configENS1_29reduce_by_key_config_selectorIjiN6thrust23THRUST_200600_302600_NS4plusIiEEEEZZNS1_33reduce_by_key_impl_wrapped_configILNS1_25lookback_scan_determinismE0ES3_S9_NS6_6detail15normal_iteratorINS6_10device_ptrIjEEEENSD_INSE_IiEEEENS6_16discard_iteratorINS6_11use_defaultEEESI_PmS8_NS6_8equal_toIjEEEE10hipError_tPvRmT2_T3_mT4_T5_T6_T7_T8_P12ihipStream_tbENKUlT_T0_E_clISt17integral_constantIbLb1EES15_IbLb0EEEEDaS11_S12_EUlS11_E_NS1_11comp_targetILNS1_3genE5ELNS1_11target_archE942ELNS1_3gpuE9ELNS1_3repE0EEENS1_30default_config_static_selectorELNS0_4arch9wavefront6targetE1EEEvT1_,comdat
.Lfunc_end1040:
	.size	_ZN7rocprim17ROCPRIM_400000_NS6detail17trampoline_kernelINS0_14default_configENS1_29reduce_by_key_config_selectorIjiN6thrust23THRUST_200600_302600_NS4plusIiEEEEZZNS1_33reduce_by_key_impl_wrapped_configILNS1_25lookback_scan_determinismE0ES3_S9_NS6_6detail15normal_iteratorINS6_10device_ptrIjEEEENSD_INSE_IiEEEENS6_16discard_iteratorINS6_11use_defaultEEESI_PmS8_NS6_8equal_toIjEEEE10hipError_tPvRmT2_T3_mT4_T5_T6_T7_T8_P12ihipStream_tbENKUlT_T0_E_clISt17integral_constantIbLb1EES15_IbLb0EEEEDaS11_S12_EUlS11_E_NS1_11comp_targetILNS1_3genE5ELNS1_11target_archE942ELNS1_3gpuE9ELNS1_3repE0EEENS1_30default_config_static_selectorELNS0_4arch9wavefront6targetE1EEEvT1_, .Lfunc_end1040-_ZN7rocprim17ROCPRIM_400000_NS6detail17trampoline_kernelINS0_14default_configENS1_29reduce_by_key_config_selectorIjiN6thrust23THRUST_200600_302600_NS4plusIiEEEEZZNS1_33reduce_by_key_impl_wrapped_configILNS1_25lookback_scan_determinismE0ES3_S9_NS6_6detail15normal_iteratorINS6_10device_ptrIjEEEENSD_INSE_IiEEEENS6_16discard_iteratorINS6_11use_defaultEEESI_PmS8_NS6_8equal_toIjEEEE10hipError_tPvRmT2_T3_mT4_T5_T6_T7_T8_P12ihipStream_tbENKUlT_T0_E_clISt17integral_constantIbLb1EES15_IbLb0EEEEDaS11_S12_EUlS11_E_NS1_11comp_targetILNS1_3genE5ELNS1_11target_archE942ELNS1_3gpuE9ELNS1_3repE0EEENS1_30default_config_static_selectorELNS0_4arch9wavefront6targetE1EEEvT1_
                                        ; -- End function
	.section	.AMDGPU.csdata,"",@progbits
; Kernel info:
; codeLenInByte = 0
; NumSgprs: 4
; NumVgprs: 0
; NumAgprs: 0
; TotalNumVgprs: 0
; ScratchSize: 0
; MemoryBound: 0
; FloatMode: 240
; IeeeMode: 1
; LDSByteSize: 0 bytes/workgroup (compile time only)
; SGPRBlocks: 0
; VGPRBlocks: 0
; NumSGPRsForWavesPerEU: 4
; NumVGPRsForWavesPerEU: 1
; AccumOffset: 4
; Occupancy: 8
; WaveLimiterHint : 0
; COMPUTE_PGM_RSRC2:SCRATCH_EN: 0
; COMPUTE_PGM_RSRC2:USER_SGPR: 6
; COMPUTE_PGM_RSRC2:TRAP_HANDLER: 0
; COMPUTE_PGM_RSRC2:TGID_X_EN: 1
; COMPUTE_PGM_RSRC2:TGID_Y_EN: 0
; COMPUTE_PGM_RSRC2:TGID_Z_EN: 0
; COMPUTE_PGM_RSRC2:TIDIG_COMP_CNT: 0
; COMPUTE_PGM_RSRC3_GFX90A:ACCUM_OFFSET: 0
; COMPUTE_PGM_RSRC3_GFX90A:TG_SPLIT: 0
	.section	.text._ZN7rocprim17ROCPRIM_400000_NS6detail17trampoline_kernelINS0_14default_configENS1_29reduce_by_key_config_selectorIjiN6thrust23THRUST_200600_302600_NS4plusIiEEEEZZNS1_33reduce_by_key_impl_wrapped_configILNS1_25lookback_scan_determinismE0ES3_S9_NS6_6detail15normal_iteratorINS6_10device_ptrIjEEEENSD_INSE_IiEEEENS6_16discard_iteratorINS6_11use_defaultEEESI_PmS8_NS6_8equal_toIjEEEE10hipError_tPvRmT2_T3_mT4_T5_T6_T7_T8_P12ihipStream_tbENKUlT_T0_E_clISt17integral_constantIbLb1EES15_IbLb0EEEEDaS11_S12_EUlS11_E_NS1_11comp_targetILNS1_3genE4ELNS1_11target_archE910ELNS1_3gpuE8ELNS1_3repE0EEENS1_30default_config_static_selectorELNS0_4arch9wavefront6targetE1EEEvT1_,"axG",@progbits,_ZN7rocprim17ROCPRIM_400000_NS6detail17trampoline_kernelINS0_14default_configENS1_29reduce_by_key_config_selectorIjiN6thrust23THRUST_200600_302600_NS4plusIiEEEEZZNS1_33reduce_by_key_impl_wrapped_configILNS1_25lookback_scan_determinismE0ES3_S9_NS6_6detail15normal_iteratorINS6_10device_ptrIjEEEENSD_INSE_IiEEEENS6_16discard_iteratorINS6_11use_defaultEEESI_PmS8_NS6_8equal_toIjEEEE10hipError_tPvRmT2_T3_mT4_T5_T6_T7_T8_P12ihipStream_tbENKUlT_T0_E_clISt17integral_constantIbLb1EES15_IbLb0EEEEDaS11_S12_EUlS11_E_NS1_11comp_targetILNS1_3genE4ELNS1_11target_archE910ELNS1_3gpuE8ELNS1_3repE0EEENS1_30default_config_static_selectorELNS0_4arch9wavefront6targetE1EEEvT1_,comdat
	.protected	_ZN7rocprim17ROCPRIM_400000_NS6detail17trampoline_kernelINS0_14default_configENS1_29reduce_by_key_config_selectorIjiN6thrust23THRUST_200600_302600_NS4plusIiEEEEZZNS1_33reduce_by_key_impl_wrapped_configILNS1_25lookback_scan_determinismE0ES3_S9_NS6_6detail15normal_iteratorINS6_10device_ptrIjEEEENSD_INSE_IiEEEENS6_16discard_iteratorINS6_11use_defaultEEESI_PmS8_NS6_8equal_toIjEEEE10hipError_tPvRmT2_T3_mT4_T5_T6_T7_T8_P12ihipStream_tbENKUlT_T0_E_clISt17integral_constantIbLb1EES15_IbLb0EEEEDaS11_S12_EUlS11_E_NS1_11comp_targetILNS1_3genE4ELNS1_11target_archE910ELNS1_3gpuE8ELNS1_3repE0EEENS1_30default_config_static_selectorELNS0_4arch9wavefront6targetE1EEEvT1_ ; -- Begin function _ZN7rocprim17ROCPRIM_400000_NS6detail17trampoline_kernelINS0_14default_configENS1_29reduce_by_key_config_selectorIjiN6thrust23THRUST_200600_302600_NS4plusIiEEEEZZNS1_33reduce_by_key_impl_wrapped_configILNS1_25lookback_scan_determinismE0ES3_S9_NS6_6detail15normal_iteratorINS6_10device_ptrIjEEEENSD_INSE_IiEEEENS6_16discard_iteratorINS6_11use_defaultEEESI_PmS8_NS6_8equal_toIjEEEE10hipError_tPvRmT2_T3_mT4_T5_T6_T7_T8_P12ihipStream_tbENKUlT_T0_E_clISt17integral_constantIbLb1EES15_IbLb0EEEEDaS11_S12_EUlS11_E_NS1_11comp_targetILNS1_3genE4ELNS1_11target_archE910ELNS1_3gpuE8ELNS1_3repE0EEENS1_30default_config_static_selectorELNS0_4arch9wavefront6targetE1EEEvT1_
	.globl	_ZN7rocprim17ROCPRIM_400000_NS6detail17trampoline_kernelINS0_14default_configENS1_29reduce_by_key_config_selectorIjiN6thrust23THRUST_200600_302600_NS4plusIiEEEEZZNS1_33reduce_by_key_impl_wrapped_configILNS1_25lookback_scan_determinismE0ES3_S9_NS6_6detail15normal_iteratorINS6_10device_ptrIjEEEENSD_INSE_IiEEEENS6_16discard_iteratorINS6_11use_defaultEEESI_PmS8_NS6_8equal_toIjEEEE10hipError_tPvRmT2_T3_mT4_T5_T6_T7_T8_P12ihipStream_tbENKUlT_T0_E_clISt17integral_constantIbLb1EES15_IbLb0EEEEDaS11_S12_EUlS11_E_NS1_11comp_targetILNS1_3genE4ELNS1_11target_archE910ELNS1_3gpuE8ELNS1_3repE0EEENS1_30default_config_static_selectorELNS0_4arch9wavefront6targetE1EEEvT1_
	.p2align	8
	.type	_ZN7rocprim17ROCPRIM_400000_NS6detail17trampoline_kernelINS0_14default_configENS1_29reduce_by_key_config_selectorIjiN6thrust23THRUST_200600_302600_NS4plusIiEEEEZZNS1_33reduce_by_key_impl_wrapped_configILNS1_25lookback_scan_determinismE0ES3_S9_NS6_6detail15normal_iteratorINS6_10device_ptrIjEEEENSD_INSE_IiEEEENS6_16discard_iteratorINS6_11use_defaultEEESI_PmS8_NS6_8equal_toIjEEEE10hipError_tPvRmT2_T3_mT4_T5_T6_T7_T8_P12ihipStream_tbENKUlT_T0_E_clISt17integral_constantIbLb1EES15_IbLb0EEEEDaS11_S12_EUlS11_E_NS1_11comp_targetILNS1_3genE4ELNS1_11target_archE910ELNS1_3gpuE8ELNS1_3repE0EEENS1_30default_config_static_selectorELNS0_4arch9wavefront6targetE1EEEvT1_,@function
_ZN7rocprim17ROCPRIM_400000_NS6detail17trampoline_kernelINS0_14default_configENS1_29reduce_by_key_config_selectorIjiN6thrust23THRUST_200600_302600_NS4plusIiEEEEZZNS1_33reduce_by_key_impl_wrapped_configILNS1_25lookback_scan_determinismE0ES3_S9_NS6_6detail15normal_iteratorINS6_10device_ptrIjEEEENSD_INSE_IiEEEENS6_16discard_iteratorINS6_11use_defaultEEESI_PmS8_NS6_8equal_toIjEEEE10hipError_tPvRmT2_T3_mT4_T5_T6_T7_T8_P12ihipStream_tbENKUlT_T0_E_clISt17integral_constantIbLb1EES15_IbLb0EEEEDaS11_S12_EUlS11_E_NS1_11comp_targetILNS1_3genE4ELNS1_11target_archE910ELNS1_3gpuE8ELNS1_3repE0EEENS1_30default_config_static_selectorELNS0_4arch9wavefront6targetE1EEEvT1_: ; @_ZN7rocprim17ROCPRIM_400000_NS6detail17trampoline_kernelINS0_14default_configENS1_29reduce_by_key_config_selectorIjiN6thrust23THRUST_200600_302600_NS4plusIiEEEEZZNS1_33reduce_by_key_impl_wrapped_configILNS1_25lookback_scan_determinismE0ES3_S9_NS6_6detail15normal_iteratorINS6_10device_ptrIjEEEENSD_INSE_IiEEEENS6_16discard_iteratorINS6_11use_defaultEEESI_PmS8_NS6_8equal_toIjEEEE10hipError_tPvRmT2_T3_mT4_T5_T6_T7_T8_P12ihipStream_tbENKUlT_T0_E_clISt17integral_constantIbLb1EES15_IbLb0EEEEDaS11_S12_EUlS11_E_NS1_11comp_targetILNS1_3genE4ELNS1_11target_archE910ELNS1_3gpuE8ELNS1_3repE0EEENS1_30default_config_static_selectorELNS0_4arch9wavefront6targetE1EEEvT1_
; %bb.0:
	s_load_dwordx4 s[0:3], s[4:5], 0x0
	s_load_dwordx2 s[8:9], s[4:5], 0x10
	s_load_dwordx2 s[50:51], s[4:5], 0x70
	s_load_dwordx4 s[44:47], s[4:5], 0x60
	s_load_dwordx8 s[36:43], s[4:5], 0x40
	s_waitcnt lgkmcnt(0)
	s_lshl_b64 s[2:3], s[2:3], 2
	s_add_u32 s7, s0, s2
	s_addc_u32 s10, s1, s3
	s_add_u32 s2, s8, s2
	s_mul_i32 s0, s40, s39
	s_mul_hi_u32 s1, s40, s38
	s_addc_u32 s3, s9, s3
	s_add_i32 s0, s1, s0
	s_mul_i32 s1, s41, s38
	s_add_i32 s8, s0, s1
	s_mul_i32 s0, s6, 0xf00
	s_mov_b32 s1, 0
	s_lshl_b64 s[0:1], s[0:1], 2
	s_add_u32 s7, s7, s0
	s_addc_u32 s56, s10, s1
	s_add_u32 s57, s2, s0
	s_mul_i32 s9, s40, s38
	s_addc_u32 s58, s3, s1
	s_add_u32 s52, s9, s6
	s_addc_u32 s53, s8, 0
	s_add_u32 s2, s42, -1
	s_addc_u32 s3, s43, -1
	s_cmp_eq_u64 s[52:53], s[2:3]
	s_cselect_b64 s[48:49], -1, 0
	s_cmp_lg_u64 s[52:53], s[2:3]
	s_mov_b64 s[0:1], -1
	s_cselect_b64 s[54:55], -1, 0
	s_mul_i32 s33, s2, 0xfffff100
	s_and_b64 vcc, exec, s[48:49]
	s_cbranch_vccnz .LBB1041_2
; %bb.1:
	v_lshlrev_b32_e32 v24, 2, v0
	v_mov_b32_e32 v1, s56
	v_add_co_u32_e32 v2, vcc, s7, v24
	v_addc_co_u32_e32 v3, vcc, 0, v1, vcc
	v_add_co_u32_e32 v4, vcc, 0x1000, v2
	v_addc_co_u32_e32 v5, vcc, 0, v3, vcc
	flat_load_dword v1, v[2:3]
	flat_load_dword v8, v[2:3] offset:1024
	flat_load_dword v9, v[2:3] offset:2048
	;; [unrolled: 1-line block ×3, first 2 shown]
	flat_load_dword v11, v[4:5]
	flat_load_dword v12, v[4:5] offset:1024
	flat_load_dword v13, v[4:5] offset:2048
	;; [unrolled: 1-line block ×3, first 2 shown]
	v_add_co_u32_e32 v4, vcc, 0x2000, v2
	v_addc_co_u32_e32 v5, vcc, 0, v3, vcc
	v_add_co_u32_e32 v2, vcc, 0x3000, v2
	v_addc_co_u32_e32 v3, vcc, 0, v3, vcc
	flat_load_dword v15, v[4:5]
	flat_load_dword v16, v[4:5] offset:1024
	flat_load_dword v17, v[4:5] offset:2048
	flat_load_dword v18, v[4:5] offset:3072
	flat_load_dword v19, v[2:3]
	flat_load_dword v20, v[2:3] offset:1024
	flat_load_dword v21, v[2:3] offset:2048
	v_mov_b32_e32 v3, s58
	v_add_co_u32_e32 v2, vcc, s57, v24
	s_movk_i32 s0, 0x1000
	v_addc_co_u32_e32 v3, vcc, 0, v3, vcc
	v_add_co_u32_e32 v4, vcc, s0, v2
	s_movk_i32 s1, 0x2000
	v_addc_co_u32_e32 v5, vcc, 0, v3, vcc
	;; [unrolled: 3-line block ×3, first 2 shown]
	v_mad_u32_u24 v38, v0, 56, v24
	v_add_co_u32_e32 v22, vcc, s2, v2
	v_addc_co_u32_e32 v23, vcc, 0, v3, vcc
	s_waitcnt vmcnt(0) lgkmcnt(0)
	ds_write2st64_b32 v24, v1, v8 offset1:4
	ds_write2st64_b32 v24, v9, v10 offset0:8 offset1:12
	ds_write2st64_b32 v24, v11, v12 offset0:16 offset1:20
	;; [unrolled: 1-line block ×6, first 2 shown]
	ds_write_b32 v24, v21 offset:14336
	s_waitcnt lgkmcnt(0)
	s_barrier
	ds_read2_b32 v[20:21], v38 offset1:1
	ds_read2_b32 v[18:19], v38 offset0:2 offset1:3
	ds_read2_b32 v[16:17], v38 offset0:4 offset1:5
	;; [unrolled: 1-line block ×6, first 2 shown]
	ds_read_b32 v1, v38 offset:56
	s_waitcnt lgkmcnt(0)
	s_barrier
	flat_load_dword v25, v[2:3]
	flat_load_dword v26, v[2:3] offset:1024
	flat_load_dword v27, v[2:3] offset:2048
	flat_load_dword v28, v[2:3] offset:3072
	flat_load_dword v29, v[4:5]
	flat_load_dword v30, v[4:5] offset:1024
	flat_load_dword v31, v[4:5] offset:2048
	flat_load_dword v32, v[4:5] offset:3072
	;; [unrolled: 4-line block ×3, first 2 shown]
	flat_load_dword v40, v[22:23]
	flat_load_dword v41, v[22:23] offset:1024
	flat_load_dword v42, v[22:23] offset:2048
	v_mov_b32_e32 v36, v20
	v_mov_b32_e32 v37, v18
	v_mov_b32_e32 v4, v16
	v_mov_b32_e32 v5, v14
	v_mov_b32_e32 v2, v12
	v_mov_b32_e32 v3, v10
	v_mov_b32_e32 v6, v8
	s_waitcnt vmcnt(0) lgkmcnt(0)
	ds_write2st64_b32 v24, v25, v26 offset1:4
	ds_write2st64_b32 v24, v27, v28 offset0:8 offset1:12
	ds_write2st64_b32 v24, v29, v30 offset0:16 offset1:20
	;; [unrolled: 1-line block ×6, first 2 shown]
	ds_write_b32 v24, v42 offset:14336
	s_waitcnt lgkmcnt(0)
	s_barrier
	s_add_i32 s33, s33, s44
	s_cbranch_execz .LBB1041_3
	s_branch .LBB1041_50
.LBB1041_2:
                                        ; implicit-def: $vgpr1
                                        ; implicit-def: $vgpr8
                                        ; implicit-def: $vgpr10
                                        ; implicit-def: $vgpr12
                                        ; implicit-def: $vgpr14
                                        ; implicit-def: $vgpr16
                                        ; implicit-def: $vgpr18
                                        ; implicit-def: $vgpr20
                                        ; implicit-def: $vgpr38
                                        ; implicit-def: $vgpr2_vgpr3
                                        ; implicit-def: $vgpr4_vgpr5
                                        ; implicit-def: $vgpr36_vgpr37
                                        ; implicit-def: $vgpr6_vgpr7
	s_andn2_b64 vcc, exec, s[0:1]
	s_add_i32 s33, s33, s44
	s_cbranch_vccnz .LBB1041_50
.LBB1041_3:
	v_cmp_gt_u32_e32 vcc, s33, v0
                                        ; implicit-def: $vgpr1
	s_and_saveexec_b64 s[2:3], vcc
	s_cbranch_execz .LBB1041_5
; %bb.4:
	v_lshlrev_b32_e32 v1, 2, v0
	v_mov_b32_e32 v3, s56
	v_add_co_u32_e64 v2, s[0:1], s7, v1
	v_addc_co_u32_e64 v3, s[0:1], 0, v3, s[0:1]
	flat_load_dword v1, v[2:3]
.LBB1041_5:
	s_or_b64 exec, exec, s[2:3]
	v_or_b32_e32 v2, 0x100, v0
	v_cmp_gt_u32_e64 s[0:1], s33, v2
                                        ; implicit-def: $vgpr8
	s_and_saveexec_b64 s[8:9], s[0:1]
	s_cbranch_execz .LBB1041_7
; %bb.6:
	v_lshlrev_b32_e32 v2, 2, v0
	v_mov_b32_e32 v3, s56
	v_add_co_u32_e64 v2, s[2:3], s7, v2
	v_addc_co_u32_e64 v3, s[2:3], 0, v3, s[2:3]
	flat_load_dword v8, v[2:3] offset:1024
.LBB1041_7:
	s_or_b64 exec, exec, s[8:9]
	v_or_b32_e32 v2, 0x200, v0
	v_cmp_gt_u32_e64 s[2:3], s33, v2
                                        ; implicit-def: $vgpr9
	s_and_saveexec_b64 s[10:11], s[2:3]
	s_cbranch_execz .LBB1041_9
; %bb.8:
	v_lshlrev_b32_e32 v2, 2, v0
	v_mov_b32_e32 v3, s56
	v_add_co_u32_e64 v2, s[8:9], s7, v2
	v_addc_co_u32_e64 v3, s[8:9], 0, v3, s[8:9]
	flat_load_dword v9, v[2:3] offset:2048
.LBB1041_9:
	s_or_b64 exec, exec, s[10:11]
	v_or_b32_e32 v2, 0x300, v0
	v_cmp_gt_u32_e64 s[30:31], s33, v2
                                        ; implicit-def: $vgpr10
	s_and_saveexec_b64 s[10:11], s[30:31]
	s_cbranch_execz .LBB1041_11
; %bb.10:
	v_lshlrev_b32_e32 v2, 2, v0
	v_mov_b32_e32 v3, s56
	v_add_co_u32_e64 v2, s[8:9], s7, v2
	v_addc_co_u32_e64 v3, s[8:9], 0, v3, s[8:9]
	flat_load_dword v10, v[2:3] offset:3072
.LBB1041_11:
	s_or_b64 exec, exec, s[10:11]
	v_or_b32_e32 v2, 0x400, v0
	v_cmp_gt_u32_e64 s[8:9], s33, v2
                                        ; implicit-def: $vgpr11
	s_and_saveexec_b64 s[12:13], s[8:9]
	s_cbranch_execz .LBB1041_13
; %bb.12:
	v_lshlrev_b32_e32 v3, 2, v2
	v_mov_b32_e32 v5, s56
	v_add_co_u32_e64 v4, s[10:11], s7, v3
	v_addc_co_u32_e64 v5, s[10:11], 0, v5, s[10:11]
	flat_load_dword v11, v[4:5]
.LBB1041_13:
	s_or_b64 exec, exec, s[12:13]
	v_or_b32_e32 v3, 0x500, v0
	v_cmp_gt_u32_e64 s[10:11], s33, v3
                                        ; implicit-def: $vgpr12
	s_and_saveexec_b64 s[14:15], s[10:11]
	s_cbranch_execz .LBB1041_15
; %bb.14:
	v_lshlrev_b32_e32 v4, 2, v3
	v_mov_b32_e32 v5, s56
	v_add_co_u32_e64 v4, s[12:13], s7, v4
	v_addc_co_u32_e64 v5, s[12:13], 0, v5, s[12:13]
	flat_load_dword v12, v[4:5]
.LBB1041_15:
	s_or_b64 exec, exec, s[14:15]
	v_or_b32_e32 v4, 0x600, v0
	v_cmp_gt_u32_e64 s[12:13], s33, v4
                                        ; implicit-def: $vgpr13
	s_and_saveexec_b64 s[16:17], s[12:13]
	s_cbranch_execz .LBB1041_17
; %bb.16:
	v_lshlrev_b32_e32 v5, 2, v4
	v_mov_b32_e32 v7, s56
	v_add_co_u32_e64 v6, s[14:15], s7, v5
	v_addc_co_u32_e64 v7, s[14:15], 0, v7, s[14:15]
	flat_load_dword v13, v[6:7]
.LBB1041_17:
	s_or_b64 exec, exec, s[16:17]
	v_or_b32_e32 v5, 0x700, v0
	v_cmp_gt_u32_e64 s[14:15], s33, v5
                                        ; implicit-def: $vgpr14
	s_and_saveexec_b64 s[18:19], s[14:15]
	s_cbranch_execz .LBB1041_19
; %bb.18:
	v_lshlrev_b32_e32 v6, 2, v5
	v_mov_b32_e32 v7, s56
	v_add_co_u32_e64 v6, s[16:17], s7, v6
	v_addc_co_u32_e64 v7, s[16:17], 0, v7, s[16:17]
	flat_load_dword v14, v[6:7]
.LBB1041_19:
	s_or_b64 exec, exec, s[18:19]
	v_or_b32_e32 v6, 0x800, v0
	v_cmp_gt_u32_e64 s[16:17], s33, v6
                                        ; implicit-def: $vgpr15
	s_and_saveexec_b64 s[20:21], s[16:17]
	s_cbranch_execz .LBB1041_21
; %bb.20:
	v_lshlrev_b32_e32 v7, 2, v6
	v_mov_b32_e32 v15, s56
	v_add_co_u32_e64 v16, s[18:19], s7, v7
	v_addc_co_u32_e64 v17, s[18:19], 0, v15, s[18:19]
	flat_load_dword v15, v[16:17]
.LBB1041_21:
	s_or_b64 exec, exec, s[20:21]
	v_or_b32_e32 v22, 0x900, v0
	v_cmp_gt_u32_e64 s[18:19], s33, v22
                                        ; implicit-def: $vgpr16
	s_and_saveexec_b64 s[22:23], s[18:19]
	s_cbranch_execz .LBB1041_23
; %bb.22:
	v_lshlrev_b32_e32 v7, 2, v22
	v_mov_b32_e32 v17, s56
	v_add_co_u32_e64 v16, s[20:21], s7, v7
	v_addc_co_u32_e64 v17, s[20:21], 0, v17, s[20:21]
	flat_load_dword v16, v[16:17]
.LBB1041_23:
	s_or_b64 exec, exec, s[22:23]
	v_or_b32_e32 v23, 0xa00, v0
	v_cmp_gt_u32_e64 s[20:21], s33, v23
                                        ; implicit-def: $vgpr17
	s_and_saveexec_b64 s[24:25], s[20:21]
	s_cbranch_execz .LBB1041_25
; %bb.24:
	v_lshlrev_b32_e32 v7, 2, v23
	v_mov_b32_e32 v17, s56
	v_add_co_u32_e64 v18, s[22:23], s7, v7
	v_addc_co_u32_e64 v19, s[22:23], 0, v17, s[22:23]
	flat_load_dword v17, v[18:19]
.LBB1041_25:
	s_or_b64 exec, exec, s[24:25]
	v_or_b32_e32 v24, 0xb00, v0
	v_cmp_gt_u32_e64 s[22:23], s33, v24
                                        ; implicit-def: $vgpr18
	s_and_saveexec_b64 s[26:27], s[22:23]
	s_cbranch_execz .LBB1041_27
; %bb.26:
	v_lshlrev_b32_e32 v7, 2, v24
	v_mov_b32_e32 v19, s56
	v_add_co_u32_e64 v18, s[24:25], s7, v7
	v_addc_co_u32_e64 v19, s[24:25], 0, v19, s[24:25]
	flat_load_dword v18, v[18:19]
.LBB1041_27:
	s_or_b64 exec, exec, s[26:27]
	v_or_b32_e32 v25, 0xc00, v0
	v_cmp_gt_u32_e64 s[24:25], s33, v25
                                        ; implicit-def: $vgpr19
	s_and_saveexec_b64 s[28:29], s[24:25]
	s_cbranch_execz .LBB1041_29
; %bb.28:
	v_lshlrev_b32_e32 v7, 2, v25
	v_mov_b32_e32 v19, s56
	v_add_co_u32_e64 v20, s[26:27], s7, v7
	v_addc_co_u32_e64 v21, s[26:27], 0, v19, s[26:27]
	flat_load_dword v19, v[20:21]
.LBB1041_29:
	s_or_b64 exec, exec, s[28:29]
	v_or_b32_e32 v26, 0xd00, v0
	v_cmp_gt_u32_e64 s[26:27], s33, v26
                                        ; implicit-def: $vgpr20
	s_and_saveexec_b64 s[34:35], s[26:27]
	s_cbranch_execz .LBB1041_31
; %bb.30:
	v_lshlrev_b32_e32 v7, 2, v26
	v_mov_b32_e32 v21, s56
	v_add_co_u32_e64 v20, s[28:29], s7, v7
	v_addc_co_u32_e64 v21, s[28:29], 0, v21, s[28:29]
	flat_load_dword v20, v[20:21]
.LBB1041_31:
	s_or_b64 exec, exec, s[34:35]
	v_or_b32_e32 v27, 0xe00, v0
	v_cmp_gt_u32_e64 s[28:29], s33, v27
                                        ; implicit-def: $vgpr21
	s_and_saveexec_b64 s[40:41], s[28:29]
	s_cbranch_execz .LBB1041_33
; %bb.32:
	v_lshlrev_b32_e32 v7, 2, v27
	v_mov_b32_e32 v21, s56
	v_add_co_u32_e64 v28, s[34:35], s7, v7
	v_addc_co_u32_e64 v29, s[34:35], 0, v21, s[34:35]
	flat_load_dword v21, v[28:29]
.LBB1041_33:
	s_or_b64 exec, exec, s[40:41]
	v_lshlrev_b32_e32 v7, 2, v0
	v_mad_u32_u24 v38, v0, 56, v7
	s_waitcnt vmcnt(0) lgkmcnt(0)
	ds_write2st64_b32 v7, v1, v8 offset1:4
	ds_write2st64_b32 v7, v9, v10 offset0:8 offset1:12
	ds_write2st64_b32 v7, v11, v12 offset0:16 offset1:20
	;; [unrolled: 1-line block ×6, first 2 shown]
	ds_write_b32 v7, v21 offset:14336
	s_waitcnt lgkmcnt(0)
	s_barrier
	ds_read2_b32 v[20:21], v38 offset1:1
	ds_read2_b32 v[18:19], v38 offset0:2 offset1:3
	ds_read2_b32 v[16:17], v38 offset0:4 offset1:5
	;; [unrolled: 1-line block ×6, first 2 shown]
	ds_read_b32 v1, v38 offset:56
	s_waitcnt lgkmcnt(0)
	s_barrier
	s_waitcnt lgkmcnt(0)
                                        ; implicit-def: $vgpr28
	s_and_saveexec_b64 s[34:35], vcc
	s_cbranch_execnz .LBB1041_57
; %bb.34:
	s_or_b64 exec, exec, s[34:35]
                                        ; implicit-def: $vgpr29
	s_and_saveexec_b64 s[34:35], s[0:1]
	s_cbranch_execnz .LBB1041_58
.LBB1041_35:
	s_or_b64 exec, exec, s[34:35]
                                        ; implicit-def: $vgpr30
	s_and_saveexec_b64 s[0:1], s[2:3]
	s_cbranch_execnz .LBB1041_59
.LBB1041_36:
	s_or_b64 exec, exec, s[0:1]
                                        ; implicit-def: $vgpr31
	s_and_saveexec_b64 s[0:1], s[30:31]
	s_cbranch_execnz .LBB1041_60
.LBB1041_37:
	s_or_b64 exec, exec, s[0:1]
                                        ; implicit-def: $vgpr32
	s_and_saveexec_b64 s[0:1], s[8:9]
	s_cbranch_execnz .LBB1041_61
.LBB1041_38:
	s_or_b64 exec, exec, s[0:1]
                                        ; implicit-def: $vgpr2
	s_and_saveexec_b64 s[0:1], s[10:11]
	s_cbranch_execnz .LBB1041_62
.LBB1041_39:
	s_or_b64 exec, exec, s[0:1]
                                        ; implicit-def: $vgpr3
	s_and_saveexec_b64 s[0:1], s[12:13]
	s_cbranch_execnz .LBB1041_63
.LBB1041_40:
	s_or_b64 exec, exec, s[0:1]
                                        ; implicit-def: $vgpr4
	s_and_saveexec_b64 s[0:1], s[14:15]
	s_cbranch_execnz .LBB1041_64
.LBB1041_41:
	s_or_b64 exec, exec, s[0:1]
                                        ; implicit-def: $vgpr5
	s_and_saveexec_b64 s[0:1], s[16:17]
	s_cbranch_execnz .LBB1041_65
.LBB1041_42:
	s_or_b64 exec, exec, s[0:1]
                                        ; implicit-def: $vgpr6
	s_and_saveexec_b64 s[0:1], s[18:19]
	s_cbranch_execnz .LBB1041_66
.LBB1041_43:
	s_or_b64 exec, exec, s[0:1]
                                        ; implicit-def: $vgpr22
	s_and_saveexec_b64 s[0:1], s[20:21]
	s_cbranch_execnz .LBB1041_67
.LBB1041_44:
	s_or_b64 exec, exec, s[0:1]
                                        ; implicit-def: $vgpr23
	s_and_saveexec_b64 s[0:1], s[22:23]
	s_cbranch_execnz .LBB1041_68
.LBB1041_45:
	s_or_b64 exec, exec, s[0:1]
                                        ; implicit-def: $vgpr24
	s_and_saveexec_b64 s[0:1], s[24:25]
	s_cbranch_execnz .LBB1041_69
.LBB1041_46:
	s_or_b64 exec, exec, s[0:1]
                                        ; implicit-def: $vgpr25
	s_and_saveexec_b64 s[0:1], s[26:27]
	s_cbranch_execnz .LBB1041_70
.LBB1041_47:
	s_or_b64 exec, exec, s[0:1]
                                        ; implicit-def: $vgpr26
	s_and_saveexec_b64 s[0:1], s[28:29]
	s_cbranch_execz .LBB1041_49
.LBB1041_48:
	v_lshlrev_b32_e32 v26, 2, v27
	v_mov_b32_e32 v27, s58
	v_add_co_u32_e32 v26, vcc, s57, v26
	v_addc_co_u32_e32 v27, vcc, 0, v27, vcc
	flat_load_dword v26, v[26:27]
.LBB1041_49:
	s_or_b64 exec, exec, s[0:1]
	s_waitcnt vmcnt(0) lgkmcnt(0)
	ds_write2st64_b32 v7, v28, v29 offset1:4
	ds_write2st64_b32 v7, v30, v31 offset0:8 offset1:12
	ds_write2st64_b32 v7, v32, v2 offset0:16 offset1:20
	;; [unrolled: 1-line block ×6, first 2 shown]
	ds_write_b32 v7, v26 offset:14336
	v_mov_b32_e32 v36, v20
	v_mov_b32_e32 v37, v18
	;; [unrolled: 1-line block ×7, first 2 shown]
	s_waitcnt lgkmcnt(0)
	s_barrier
.LBB1041_50:
	ds_read2_b32 v[34:35], v38 offset1:1
	ds_read2_b32 v[32:33], v38 offset0:2 offset1:3
	ds_read2_b32 v[30:31], v38 offset0:4 offset1:5
	;; [unrolled: 1-line block ×6, first 2 shown]
	ds_read_b32 v80, v38 offset:56
	s_load_dwordx4 s[40:43], s[4:5], 0x28
	s_cmp_eq_u64 s[52:53], 0
	s_cselect_b64 s[34:35], -1, 0
	s_cmp_lg_u64 s[52:53], 0
	s_mov_b64 s[2:3], 0
	s_cselect_b64 s[4:5], -1, 0
	s_and_b64 vcc, exec, s[54:55]
	s_waitcnt lgkmcnt(0)
	s_barrier
	s_cbranch_vccz .LBB1041_56
; %bb.51:
	s_and_b64 vcc, exec, s[4:5]
	s_cbranch_vccz .LBB1041_71
; %bb.52:
	v_mov_b32_e32 v7, s56
	v_add_co_u32_e64 v38, vcc, -4, s7
	v_addc_co_u32_e32 v39, vcc, -1, v7, vcc
	flat_load_dword v7, v[38:39]
	v_lshlrev_b32_e32 v38, 2, v0
	v_cmp_ne_u32_e32 vcc, 0, v0
	ds_write_b32 v38, v1
	s_waitcnt lgkmcnt(0)
	s_barrier
	s_and_saveexec_b64 s[0:1], vcc
	s_cbranch_execz .LBB1041_54
; %bb.53:
	s_waitcnt vmcnt(0)
	v_add_u32_e32 v7, -4, v38
	ds_read_b32 v7, v7
.LBB1041_54:
	s_or_b64 exec, exec, s[0:1]
	v_cmp_ne_u32_e32 vcc, v36, v21
	v_cndmask_b32_e64 v79, 0, 1, vcc
	v_cmp_ne_u32_e32 vcc, v37, v21
	v_cndmask_b32_e64 v78, 0, 1, vcc
	;; [unrolled: 2-line block ×14, first 2 shown]
	s_waitcnt vmcnt(0) lgkmcnt(0)
	v_cmp_ne_u32_e64 s[0:1], v7, v20
	s_mov_b64 s[2:3], -1
.LBB1041_55:
                                        ; implicit-def: $sgpr10
	s_branch .LBB1041_83
.LBB1041_56:
                                        ; implicit-def: $sgpr0_sgpr1
                                        ; implicit-def: $vgpr66
                                        ; implicit-def: $vgpr67
                                        ; implicit-def: $vgpr68
                                        ; implicit-def: $vgpr69
                                        ; implicit-def: $vgpr70
                                        ; implicit-def: $vgpr71
                                        ; implicit-def: $vgpr72
                                        ; implicit-def: $vgpr73
                                        ; implicit-def: $vgpr74
                                        ; implicit-def: $vgpr75
                                        ; implicit-def: $vgpr76
                                        ; implicit-def: $vgpr77
                                        ; implicit-def: $vgpr78
                                        ; implicit-def: $vgpr79
                                        ; implicit-def: $sgpr10
	s_cbranch_execnz .LBB1041_75
	s_branch .LBB1041_83
.LBB1041_57:
	v_mov_b32_e32 v29, s58
	v_add_co_u32_e32 v28, vcc, s57, v7
	v_addc_co_u32_e32 v29, vcc, 0, v29, vcc
	flat_load_dword v28, v[28:29]
	s_or_b64 exec, exec, s[34:35]
                                        ; implicit-def: $vgpr29
	s_and_saveexec_b64 s[34:35], s[0:1]
	s_cbranch_execz .LBB1041_35
.LBB1041_58:
	v_mov_b32_e32 v29, s58
	v_add_co_u32_e32 v30, vcc, s57, v7
	v_addc_co_u32_e32 v31, vcc, 0, v29, vcc
	flat_load_dword v29, v[30:31] offset:1024
	s_or_b64 exec, exec, s[34:35]
                                        ; implicit-def: $vgpr30
	s_and_saveexec_b64 s[0:1], s[2:3]
	s_cbranch_execz .LBB1041_36
.LBB1041_59:
	v_mov_b32_e32 v31, s58
	v_add_co_u32_e32 v30, vcc, s57, v7
	v_addc_co_u32_e32 v31, vcc, 0, v31, vcc
	flat_load_dword v30, v[30:31] offset:2048
	s_or_b64 exec, exec, s[0:1]
                                        ; implicit-def: $vgpr31
	s_and_saveexec_b64 s[0:1], s[30:31]
	s_cbranch_execz .LBB1041_37
.LBB1041_60:
	v_mov_b32_e32 v31, s58
	v_add_co_u32_e32 v32, vcc, s57, v7
	v_addc_co_u32_e32 v33, vcc, 0, v31, vcc
	flat_load_dword v31, v[32:33] offset:3072
	s_or_b64 exec, exec, s[0:1]
                                        ; implicit-def: $vgpr32
	s_and_saveexec_b64 s[0:1], s[8:9]
	s_cbranch_execz .LBB1041_38
.LBB1041_61:
	v_lshlrev_b32_e32 v2, 2, v2
	v_mov_b32_e32 v33, s58
	v_add_co_u32_e32 v32, vcc, s57, v2
	v_addc_co_u32_e32 v33, vcc, 0, v33, vcc
	flat_load_dword v32, v[32:33]
	s_or_b64 exec, exec, s[0:1]
                                        ; implicit-def: $vgpr2
	s_and_saveexec_b64 s[0:1], s[10:11]
	s_cbranch_execz .LBB1041_39
.LBB1041_62:
	v_lshlrev_b32_e32 v2, 2, v3
	v_mov_b32_e32 v3, s58
	v_add_co_u32_e32 v2, vcc, s57, v2
	v_addc_co_u32_e32 v3, vcc, 0, v3, vcc
	flat_load_dword v2, v[2:3]
	s_or_b64 exec, exec, s[0:1]
                                        ; implicit-def: $vgpr3
	s_and_saveexec_b64 s[0:1], s[12:13]
	s_cbranch_execz .LBB1041_40
.LBB1041_63:
	v_lshlrev_b32_e32 v3, 2, v4
	v_mov_b32_e32 v4, s58
	v_add_co_u32_e32 v34, vcc, s57, v3
	v_addc_co_u32_e32 v35, vcc, 0, v4, vcc
	flat_load_dword v3, v[34:35]
	s_or_b64 exec, exec, s[0:1]
                                        ; implicit-def: $vgpr4
	s_and_saveexec_b64 s[0:1], s[14:15]
	s_cbranch_execz .LBB1041_41
.LBB1041_64:
	v_lshlrev_b32_e32 v4, 2, v5
	v_mov_b32_e32 v5, s58
	v_add_co_u32_e32 v4, vcc, s57, v4
	v_addc_co_u32_e32 v5, vcc, 0, v5, vcc
	flat_load_dword v4, v[4:5]
	s_or_b64 exec, exec, s[0:1]
                                        ; implicit-def: $vgpr5
	s_and_saveexec_b64 s[0:1], s[16:17]
	s_cbranch_execz .LBB1041_42
.LBB1041_65:
	v_lshlrev_b32_e32 v5, 2, v6
	v_mov_b32_e32 v6, s58
	v_add_co_u32_e32 v34, vcc, s57, v5
	v_addc_co_u32_e32 v35, vcc, 0, v6, vcc
	flat_load_dword v5, v[34:35]
	s_or_b64 exec, exec, s[0:1]
                                        ; implicit-def: $vgpr6
	s_and_saveexec_b64 s[0:1], s[18:19]
	s_cbranch_execz .LBB1041_43
.LBB1041_66:
	v_lshlrev_b32_e32 v6, 2, v22
	v_mov_b32_e32 v22, s58
	v_add_co_u32_e32 v34, vcc, s57, v6
	v_addc_co_u32_e32 v35, vcc, 0, v22, vcc
	flat_load_dword v6, v[34:35]
	s_or_b64 exec, exec, s[0:1]
                                        ; implicit-def: $vgpr22
	s_and_saveexec_b64 s[0:1], s[20:21]
	s_cbranch_execz .LBB1041_44
.LBB1041_67:
	v_lshlrev_b32_e32 v22, 2, v23
	v_mov_b32_e32 v23, s58
	v_add_co_u32_e32 v22, vcc, s57, v22
	v_addc_co_u32_e32 v23, vcc, 0, v23, vcc
	flat_load_dword v22, v[22:23]
	s_or_b64 exec, exec, s[0:1]
                                        ; implicit-def: $vgpr23
	s_and_saveexec_b64 s[0:1], s[22:23]
	s_cbranch_execz .LBB1041_45
.LBB1041_68:
	v_lshlrev_b32_e32 v23, 2, v24
	v_mov_b32_e32 v24, s58
	v_add_co_u32_e32 v34, vcc, s57, v23
	v_addc_co_u32_e32 v35, vcc, 0, v24, vcc
	flat_load_dword v23, v[34:35]
	s_or_b64 exec, exec, s[0:1]
                                        ; implicit-def: $vgpr24
	s_and_saveexec_b64 s[0:1], s[24:25]
	s_cbranch_execz .LBB1041_46
.LBB1041_69:
	v_lshlrev_b32_e32 v24, 2, v25
	v_mov_b32_e32 v25, s58
	v_add_co_u32_e32 v24, vcc, s57, v24
	v_addc_co_u32_e32 v25, vcc, 0, v25, vcc
	flat_load_dword v24, v[24:25]
	s_or_b64 exec, exec, s[0:1]
                                        ; implicit-def: $vgpr25
	s_and_saveexec_b64 s[0:1], s[26:27]
	s_cbranch_execz .LBB1041_47
.LBB1041_70:
	v_lshlrev_b32_e32 v25, 2, v26
	v_mov_b32_e32 v26, s58
	v_add_co_u32_e32 v34, vcc, s57, v25
	v_addc_co_u32_e32 v35, vcc, 0, v26, vcc
	flat_load_dword v25, v[34:35]
	s_or_b64 exec, exec, s[0:1]
                                        ; implicit-def: $vgpr26
	s_and_saveexec_b64 s[0:1], s[28:29]
	s_cbranch_execnz .LBB1041_48
	s_branch .LBB1041_49
.LBB1041_71:
                                        ; implicit-def: $sgpr0_sgpr1
                                        ; implicit-def: $vgpr66
                                        ; implicit-def: $vgpr67
                                        ; implicit-def: $vgpr68
                                        ; implicit-def: $vgpr69
                                        ; implicit-def: $vgpr70
                                        ; implicit-def: $vgpr71
                                        ; implicit-def: $vgpr72
                                        ; implicit-def: $vgpr73
                                        ; implicit-def: $vgpr74
                                        ; implicit-def: $vgpr75
                                        ; implicit-def: $vgpr76
                                        ; implicit-def: $vgpr77
                                        ; implicit-def: $vgpr78
                                        ; implicit-def: $vgpr79
	s_cbranch_execz .LBB1041_55
; %bb.72:
	v_cmp_ne_u32_e32 vcc, v21, v36
	v_cndmask_b32_e64 v79, 0, 1, vcc
	v_cmp_ne_u32_e32 vcc, v21, v37
	v_cndmask_b32_e64 v78, 0, 1, vcc
	;; [unrolled: 2-line block ×13, first 2 shown]
	v_cmp_ne_u32_e32 vcc, v9, v1
	v_lshlrev_b32_e32 v7, 2, v0
	v_cndmask_b32_e64 v66, 0, 1, vcc
	v_cmp_ne_u32_e32 vcc, 0, v0
	ds_write_b32 v7, v1
	s_waitcnt lgkmcnt(0)
	s_barrier
	s_waitcnt lgkmcnt(0)
                                        ; implicit-def: $sgpr0_sgpr1
	s_and_saveexec_b64 s[8:9], vcc
	s_xor_b64 s[8:9], exec, s[8:9]
	s_cbranch_execz .LBB1041_74
; %bb.73:
	v_add_u32_e32 v2, -4, v7
	ds_read_b32 v2, v2
	s_or_b64 s[2:3], s[2:3], exec
	s_waitcnt lgkmcnt(0)
	v_cmp_ne_u32_e32 vcc, v2, v20
	s_and_b64 s[0:1], vcc, exec
.LBB1041_74:
	s_or_b64 exec, exec, s[8:9]
	s_mov_b32 s10, 1
	s_branch .LBB1041_83
.LBB1041_75:
	s_mul_hi_u32 s1, s52, 0xfffff100
	s_mul_i32 s0, s53, 0xfffff100
	s_sub_i32 s1, s1, s52
	s_add_i32 s1, s1, s0
	s_mul_i32 s0, s52, 0xfffff100
	s_add_u32 s8, s0, s44
	s_addc_u32 s9, s1, s45
	s_and_b64 vcc, exec, s[4:5]
	s_cbranch_vccz .LBB1041_80
; %bb.76:
	v_mov_b32_e32 v3, s56
	v_add_co_u32_e64 v2, vcc, -4, s7
	v_addc_co_u32_e32 v3, vcc, -1, v3, vcc
	flat_load_dword v6, v[2:3]
	v_mad_u32_u24 v4, v0, 15, 14
	v_mov_b32_e32 v5, 0
	v_cmp_gt_u64_e32 vcc, s[8:9], v[4:5]
	v_cmp_ne_u32_e64 s[0:1], v9, v1
	v_mad_u32_u24 v4, v0, 15, 13
	s_and_b64 s[2:3], vcc, s[0:1]
	v_cmp_gt_u64_e32 vcc, s[8:9], v[4:5]
	v_cmp_ne_u32_e64 s[0:1], v8, v9
	v_mad_u32_u24 v4, v0, 15, 12
	s_and_b64 s[4:5], vcc, s[0:1]
	;; [unrolled: 4-line block ×13, first 2 shown]
	v_cmp_gt_u64_e32 vcc, s[8:9], v[4:5]
	v_cmp_ne_u32_e64 s[0:1], v20, v21
	v_lshlrev_b32_e32 v3, 2, v0
	v_mul_u32_u24_e32 v2, 15, v0
	s_and_b64 s[0:1], vcc, s[0:1]
	v_cmp_ne_u32_e32 vcc, 0, v0
	ds_write_b32 v3, v1
	s_waitcnt lgkmcnt(0)
	s_barrier
	s_and_saveexec_b64 s[44:45], vcc
	s_cbranch_execz .LBB1041_78
; %bb.77:
	v_add_u32_e32 v3, -4, v3
	s_waitcnt vmcnt(0)
	ds_read_b32 v6, v3
.LBB1041_78:
	s_or_b64 exec, exec, s[44:45]
	v_mov_b32_e32 v3, v5
	v_cndmask_b32_e64 v79, 0, 1, s[0:1]
	v_cmp_gt_u64_e32 vcc, s[8:9], v[2:3]
	s_waitcnt vmcnt(0) lgkmcnt(0)
	v_cmp_ne_u32_e64 s[0:1], v6, v20
	v_cndmask_b32_e64 v66, 0, 1, s[2:3]
	v_cndmask_b32_e64 v67, 0, 1, s[4:5]
	;; [unrolled: 1-line block ×13, first 2 shown]
	s_and_b64 s[0:1], vcc, s[0:1]
	s_mov_b64 s[2:3], -1
.LBB1041_79:
                                        ; implicit-def: $sgpr10
	v_mov_b32_e32 v82, s10
	s_and_saveexec_b64 s[4:5], s[2:3]
	s_cbranch_execnz .LBB1041_84
	s_branch .LBB1041_85
.LBB1041_80:
                                        ; implicit-def: $sgpr0_sgpr1
                                        ; implicit-def: $vgpr66
                                        ; implicit-def: $vgpr67
                                        ; implicit-def: $vgpr68
                                        ; implicit-def: $vgpr69
                                        ; implicit-def: $vgpr70
                                        ; implicit-def: $vgpr71
                                        ; implicit-def: $vgpr72
                                        ; implicit-def: $vgpr73
                                        ; implicit-def: $vgpr74
                                        ; implicit-def: $vgpr75
                                        ; implicit-def: $vgpr76
                                        ; implicit-def: $vgpr77
                                        ; implicit-def: $vgpr78
                                        ; implicit-def: $vgpr79
	s_cbranch_execz .LBB1041_79
; %bb.81:
	v_mad_u32_u24 v2, v0, 15, 14
	v_mov_b32_e32 v3, 0
	v_cmp_gt_u64_e32 vcc, s[8:9], v[2:3]
	v_cmp_ne_u32_e64 s[0:1], v9, v1
	s_and_b64 s[0:1], vcc, s[0:1]
	v_mad_u32_u24 v2, v0, 15, 13
	v_cndmask_b32_e64 v66, 0, 1, s[0:1]
	v_cmp_gt_u64_e32 vcc, s[8:9], v[2:3]
	v_cmp_ne_u32_e64 s[0:1], v8, v9
	s_and_b64 s[0:1], vcc, s[0:1]
	v_mad_u32_u24 v2, v0, 15, 12
	v_cndmask_b32_e64 v67, 0, 1, s[0:1]
	;; [unrolled: 5-line block ×13, first 2 shown]
	v_cmp_gt_u64_e32 vcc, s[8:9], v[2:3]
	v_cmp_ne_u32_e64 s[0:1], v20, v21
	s_and_b64 s[0:1], vcc, s[0:1]
	v_lshlrev_b32_e32 v4, 2, v0
	s_mov_b32 s10, 1
	v_cndmask_b32_e64 v79, 0, 1, s[0:1]
	v_cmp_ne_u32_e32 vcc, 0, v0
	ds_write_b32 v4, v1
	s_waitcnt lgkmcnt(0)
	s_barrier
	s_waitcnt lgkmcnt(0)
                                        ; implicit-def: $sgpr0_sgpr1
	s_and_saveexec_b64 s[4:5], vcc
	s_cbranch_execz .LBB1041_170
; %bb.82:
	v_add_u32_e32 v2, -4, v4
	ds_read_b32 v4, v2
	v_mul_u32_u24_e32 v2, 15, v0
	v_cmp_gt_u64_e32 vcc, s[8:9], v[2:3]
	s_or_b64 s[2:3], s[2:3], exec
	s_waitcnt lgkmcnt(0)
	v_cmp_ne_u32_e64 s[0:1], v4, v20
	s_and_b64 s[0:1], vcc, s[0:1]
	s_and_b64 s[0:1], s[0:1], exec
	s_or_b64 exec, exec, s[4:5]
.LBB1041_83:
	v_mov_b32_e32 v82, s10
	s_and_saveexec_b64 s[4:5], s[2:3]
.LBB1041_84:
	v_cndmask_b32_e64 v82, 0, 1, s[0:1]
.LBB1041_85:
	s_or_b64 exec, exec, s[4:5]
	s_cmp_eq_u64 s[38:39], 0
	v_add3_u32 v2, v79, v82, v78
	s_cselect_b64 s[38:39], -1, 0
	s_cmp_lg_u32 s6, 0
	v_cmp_eq_u32_e64 s[24:25], 0, v79
	v_cmp_eq_u32_e64 s[22:23], 0, v78
	;; [unrolled: 1-line block ×3, first 2 shown]
	v_add3_u32 v86, v2, v77, v76
	v_cmp_eq_u32_e64 s[18:19], 0, v76
	v_cmp_eq_u32_e64 s[16:17], 0, v75
	;; [unrolled: 1-line block ×10, first 2 shown]
	v_cmp_eq_u32_e32 vcc, 0, v66
	v_mbcnt_lo_u32_b32 v85, -1, 0
	v_lshrrev_b32_e32 v83, 6, v0
	v_or_b32_e32 v84, 63, v0
	s_cbranch_scc0 .LBB1041_116
; %bb.86:
	v_cndmask_b32_e64 v2, 0, v34, s[24:25]
	v_add_u32_e32 v2, v2, v35
	v_cndmask_b32_e64 v2, 0, v2, s[22:23]
	v_add_u32_e32 v2, v2, v32
	;; [unrolled: 2-line block ×11, first 2 shown]
	v_cndmask_b32_e64 v2, 0, v2, s[2:3]
	v_add3_u32 v3, v86, v75, v74
	v_add_u32_e32 v2, v2, v22
	v_add3_u32 v3, v3, v73, v72
	v_cndmask_b32_e64 v2, 0, v2, s[0:1]
	v_add3_u32 v3, v3, v71, v70
	v_add_u32_e32 v2, v2, v23
	v_add3_u32 v3, v3, v69, v68
	v_cndmask_b32_e32 v2, 0, v2, vcc
	v_add3_u32 v3, v3, v67, v66
	v_add_u32_e32 v2, v2, v80
	v_mbcnt_hi_u32_b32 v39, -1, v85
	v_and_b32_e32 v4, 15, v39
	v_mov_b32_dpp v6, v2 row_shr:1 row_mask:0xf bank_mask:0xf
	v_cmp_eq_u32_e32 vcc, 0, v3
	v_mov_b32_dpp v5, v3 row_shr:1 row_mask:0xf bank_mask:0xf
	v_cndmask_b32_e32 v6, 0, v6, vcc
	v_cmp_eq_u32_e32 vcc, 0, v4
	v_cndmask_b32_e64 v5, v5, 0, vcc
	v_add_u32_e32 v3, v5, v3
	v_cndmask_b32_e64 v5, v6, 0, vcc
	v_add_u32_e32 v2, v5, v2
	v_cmp_eq_u32_e32 vcc, 0, v3
	v_mov_b32_dpp v5, v3 row_shr:2 row_mask:0xf bank_mask:0xf
	v_cmp_lt_u32_e64 s[26:27], 1, v4
	v_mov_b32_dpp v6, v2 row_shr:2 row_mask:0xf bank_mask:0xf
	v_cndmask_b32_e64 v5, 0, v5, s[26:27]
	s_and_b64 vcc, s[26:27], vcc
	v_cndmask_b32_e32 v6, 0, v6, vcc
	v_add_u32_e32 v3, v3, v5
	v_add_u32_e32 v2, v6, v2
	v_cmp_eq_u32_e32 vcc, 0, v3
	v_mov_b32_dpp v5, v3 row_shr:4 row_mask:0xf bank_mask:0xf
	v_cmp_lt_u32_e64 s[26:27], 3, v4
	v_mov_b32_dpp v6, v2 row_shr:4 row_mask:0xf bank_mask:0xf
	v_cndmask_b32_e64 v5, 0, v5, s[26:27]
	s_and_b64 vcc, s[26:27], vcc
	v_cndmask_b32_e32 v6, 0, v6, vcc
	v_add_u32_e32 v3, v5, v3
	v_add_u32_e32 v2, v2, v6
	v_cmp_eq_u32_e32 vcc, 0, v3
	v_cmp_lt_u32_e64 s[26:27], 7, v4
	v_mov_b32_dpp v5, v3 row_shr:8 row_mask:0xf bank_mask:0xf
	v_mov_b32_dpp v6, v2 row_shr:8 row_mask:0xf bank_mask:0xf
	s_and_b64 vcc, s[26:27], vcc
	v_cndmask_b32_e64 v4, 0, v5, s[26:27]
	v_cndmask_b32_e32 v5, 0, v6, vcc
	v_add_u32_e32 v2, v5, v2
	v_add_u32_e32 v3, v4, v3
	v_bfe_i32 v6, v39, 4, 1
	v_mov_b32_dpp v5, v2 row_bcast:15 row_mask:0xf bank_mask:0xf
	v_mov_b32_dpp v4, v3 row_bcast:15 row_mask:0xf bank_mask:0xf
	v_cmp_eq_u32_e32 vcc, 0, v3
	v_cndmask_b32_e32 v5, 0, v5, vcc
	v_and_b32_e32 v4, v6, v4
	v_add_u32_e32 v3, v4, v3
	v_and_b32_e32 v4, v6, v5
	v_add_u32_e32 v4, v4, v2
	v_mov_b32_dpp v2, v3 row_bcast:31 row_mask:0xf bank_mask:0xf
	v_cmp_eq_u32_e32 vcc, 0, v3
	v_cmp_lt_u32_e64 s[26:27], 31, v39
	v_mov_b32_dpp v5, v4 row_bcast:31 row_mask:0xf bank_mask:0xf
	v_cndmask_b32_e64 v2, 0, v2, s[26:27]
	s_and_b64 vcc, s[26:27], vcc
	v_add_u32_e32 v2, v2, v3
	v_cndmask_b32_e32 v3, 0, v5, vcc
	v_add_u32_e32 v3, v3, v4
	v_cmp_eq_u32_e32 vcc, v84, v0
	v_lshlrev_b32_e32 v4, 3, v83
	s_and_saveexec_b64 s[26:27], vcc
	s_cbranch_execz .LBB1041_88
; %bb.87:
	ds_write_b64 v4, v[2:3] offset:2064
.LBB1041_88:
	s_or_b64 exec, exec, s[26:27]
	v_cmp_gt_u32_e32 vcc, 4, v0
	s_waitcnt lgkmcnt(0)
	s_barrier
	s_and_saveexec_b64 s[30:31], vcc
	s_cbranch_execz .LBB1041_90
; %bb.89:
	v_lshlrev_b32_e32 v5, 3, v0
	ds_read_b64 v[6:7], v5 offset:2064
	v_and_b32_e32 v36, 3, v39
	v_cmp_lt_u32_e64 s[26:27], 1, v36
	s_waitcnt lgkmcnt(0)
	v_mov_b32_dpp v38, v7 row_shr:1 row_mask:0xf bank_mask:0xf
	v_cmp_eq_u32_e32 vcc, 0, v6
	v_mov_b32_dpp v37, v6 row_shr:1 row_mask:0xf bank_mask:0xf
	v_cndmask_b32_e32 v38, 0, v38, vcc
	v_cmp_eq_u32_e32 vcc, 0, v36
	v_cndmask_b32_e64 v37, v37, 0, vcc
	v_add_u32_e32 v6, v37, v6
	v_cndmask_b32_e64 v37, v38, 0, vcc
	v_add_u32_e32 v7, v37, v7
	v_cmp_eq_u32_e32 vcc, 0, v6
	v_mov_b32_dpp v37, v6 row_shr:2 row_mask:0xf bank_mask:0xf
	v_mov_b32_dpp v38, v7 row_shr:2 row_mask:0xf bank_mask:0xf
	v_cndmask_b32_e64 v36, 0, v37, s[26:27]
	s_and_b64 vcc, s[26:27], vcc
	v_add_u32_e32 v6, v36, v6
	v_cndmask_b32_e32 v36, 0, v38, vcc
	v_add_u32_e32 v7, v36, v7
	ds_write_b64 v5, v[6:7] offset:2064
.LBB1041_90:
	s_or_b64 exec, exec, s[30:31]
	v_cmp_gt_u32_e32 vcc, 64, v0
	v_cmp_lt_u32_e64 s[26:27], 63, v0
	v_mov_b32_e32 v36, 0
	v_mov_b32_e32 v37, 0
	s_waitcnt lgkmcnt(0)
	s_barrier
	s_and_saveexec_b64 s[30:31], s[26:27]
	s_cbranch_execz .LBB1041_92
; %bb.91:
	ds_read_b64 v[36:37], v4 offset:2056
	v_cmp_eq_u32_e64 s[26:27], 0, v2
	s_waitcnt lgkmcnt(0)
	v_add_u32_e32 v4, v36, v2
	v_cndmask_b32_e64 v2, 0, v37, s[26:27]
	v_add_u32_e32 v3, v2, v3
	v_mov_b32_e32 v2, v4
.LBB1041_92:
	s_or_b64 exec, exec, s[30:31]
	v_add_u32_e32 v4, -1, v39
	v_and_b32_e32 v5, 64, v39
	v_cmp_lt_i32_e64 s[26:27], v4, v5
	v_cndmask_b32_e64 v4, v4, v39, s[26:27]
	v_lshlrev_b32_e32 v4, 2, v4
	ds_bpermute_b32 v44, v4, v2
	ds_bpermute_b32 v45, v4, v3
	v_cmp_eq_u32_e64 s[26:27], 0, v39
	s_and_saveexec_b64 s[44:45], vcc
	s_cbranch_execz .LBB1041_115
; %bb.93:
	v_mov_b32_e32 v7, 0
	ds_read_b64 v[2:3], v7 offset:2088
	s_waitcnt lgkmcnt(0)
	v_readfirstlane_b32 s7, v2
	v_readfirstlane_b32 s54, v3
	s_and_saveexec_b64 s[30:31], s[26:27]
	s_cbranch_execz .LBB1041_95
; %bb.94:
	s_add_i32 s52, s6, 64
	s_mov_b32 s53, 0
	s_lshl_b64 s[56:57], s[52:53], 4
	s_add_u32 s56, s36, s56
	s_addc_u32 s57, s37, s57
	s_and_b32 s59, s54, 0xff000000
	s_mov_b32 s58, s53
	s_and_b32 s61, s54, 0xff0000
	s_mov_b32 s60, s53
	s_or_b64 s[58:59], s[60:61], s[58:59]
	s_and_b32 s61, s54, 0xff00
	s_or_b64 s[58:59], s[58:59], s[60:61]
	s_and_b32 s61, s54, 0xff
	s_or_b64 s[52:53], s[58:59], s[60:61]
	v_mov_b32_e32 v4, s7
	v_mov_b32_e32 v5, s53
	;; [unrolled: 1-line block ×3, first 2 shown]
	v_pk_mov_b32 v[2:3], s[56:57], s[56:57] op_sel:[0,1]
	;;#ASMSTART
	global_store_dwordx4 v[2:3], v[4:7] off	
s_waitcnt vmcnt(0)
	;;#ASMEND
.LBB1041_95:
	s_or_b64 exec, exec, s[30:31]
	v_xad_u32 v38, v39, -1, s6
	v_add_u32_e32 v6, 64, v38
	v_lshlrev_b64 v[2:3], 4, v[6:7]
	v_mov_b32_e32 v4, s37
	v_add_co_u32_e32 v40, vcc, s36, v2
	v_addc_co_u32_e32 v41, vcc, v4, v3, vcc
	;;#ASMSTART
	global_load_dwordx4 v[2:5], v[40:41] off glc	
s_waitcnt vmcnt(0)
	;;#ASMEND
	v_and_b32_e32 v5, 0xff, v3
	v_and_b32_e32 v6, 0xff00, v3
	;; [unrolled: 1-line block ×3, first 2 shown]
	v_or3_b32 v5, 0, v5, v6
	v_or3_b32 v2, v2, 0, 0
	v_and_b32_e32 v3, 0xff000000, v3
	v_or3_b32 v3, v5, v42, v3
	v_or3_b32 v2, v2, 0, 0
	v_cmp_eq_u16_sdwa s[52:53], v4, v7 src0_sel:BYTE_0 src1_sel:DWORD
	s_and_saveexec_b64 s[30:31], s[52:53]
	s_cbranch_execz .LBB1041_101
; %bb.96:
	s_mov_b32 s55, 1
	s_mov_b64 s[52:53], 0
	v_mov_b32_e32 v6, 0
.LBB1041_97:                            ; =>This Loop Header: Depth=1
                                        ;     Child Loop BB1041_98 Depth 2
	s_max_u32 s56, s55, 1
.LBB1041_98:                            ;   Parent Loop BB1041_97 Depth=1
                                        ; =>  This Inner Loop Header: Depth=2
	s_add_i32 s56, s56, -1
	s_cmp_eq_u32 s56, 0
	s_sleep 1
	s_cbranch_scc0 .LBB1041_98
; %bb.99:                               ;   in Loop: Header=BB1041_97 Depth=1
	s_cmp_lt_u32 s55, 32
	s_cselect_b64 s[56:57], -1, 0
	s_cmp_lg_u64 s[56:57], 0
	s_addc_u32 s55, s55, 0
	;;#ASMSTART
	global_load_dwordx4 v[2:5], v[40:41] off glc	
s_waitcnt vmcnt(0)
	;;#ASMEND
	v_cmp_ne_u16_sdwa s[56:57], v4, v6 src0_sel:BYTE_0 src1_sel:DWORD
	s_or_b64 s[52:53], s[56:57], s[52:53]
	s_andn2_b64 exec, exec, s[52:53]
	s_cbranch_execnz .LBB1041_97
; %bb.100:
	s_or_b64 exec, exec, s[52:53]
.LBB1041_101:
	s_or_b64 exec, exec, s[30:31]
	v_mov_b32_e32 v46, 2
	v_cmp_eq_u16_sdwa s[30:31], v4, v46 src0_sel:BYTE_0 src1_sel:DWORD
	v_lshlrev_b64 v[40:41], v39, -1
	v_and_b32_e32 v5, s31, v41
	v_and_b32_e32 v47, 63, v39
	v_or_b32_e32 v5, 0x80000000, v5
	v_cmp_ne_u32_e32 vcc, 63, v47
	v_and_b32_e32 v6, s30, v40
	v_ffbl_b32_e32 v5, v5
	v_addc_co_u32_e32 v7, vcc, 0, v39, vcc
	v_add_u32_e32 v5, 32, v5
	v_ffbl_b32_e32 v6, v6
	v_lshlrev_b32_e32 v48, 2, v7
	v_min_u32_e32 v5, v6, v5
	ds_bpermute_b32 v6, v48, v3
	v_cmp_eq_u32_e32 vcc, 0, v2
	v_cmp_lt_u32_e64 s[30:31], v47, v5
	ds_bpermute_b32 v7, v48, v2
	s_and_b64 vcc, s[30:31], vcc
	s_waitcnt lgkmcnt(1)
	v_cndmask_b32_e32 v6, 0, v6, vcc
	v_cmp_gt_u32_e32 vcc, 62, v47
	v_add_u32_e32 v3, v6, v3
	v_cndmask_b32_e64 v6, 0, 1, vcc
	v_lshlrev_b32_e32 v6, 1, v6
	v_add_lshl_u32 v49, v6, v39, 2
	s_waitcnt lgkmcnt(0)
	v_cndmask_b32_e64 v7, 0, v7, s[30:31]
	ds_bpermute_b32 v6, v49, v3
	v_add_u32_e32 v2, v7, v2
	ds_bpermute_b32 v7, v49, v2
	v_add_u32_e32 v50, 2, v47
	v_cmp_eq_u32_e32 vcc, 0, v2
	s_waitcnt lgkmcnt(1)
	v_cndmask_b32_e32 v6, 0, v6, vcc
	v_cmp_gt_u32_e32 vcc, v50, v5
	v_cndmask_b32_e64 v6, v6, 0, vcc
	v_add_u32_e32 v3, v6, v3
	s_waitcnt lgkmcnt(0)
	v_cndmask_b32_e64 v6, v7, 0, vcc
	v_cmp_gt_u32_e32 vcc, 60, v47
	v_cndmask_b32_e64 v7, 0, 1, vcc
	v_lshlrev_b32_e32 v7, 2, v7
	v_add_lshl_u32 v51, v7, v39, 2
	ds_bpermute_b32 v7, v51, v3
	v_add_u32_e32 v2, v2, v6
	ds_bpermute_b32 v6, v51, v2
	v_add_u32_e32 v52, 4, v47
	v_cmp_eq_u32_e32 vcc, 0, v2
	s_waitcnt lgkmcnt(1)
	v_cndmask_b32_e32 v7, 0, v7, vcc
	v_cmp_gt_u32_e32 vcc, v52, v5
	v_cndmask_b32_e64 v7, v7, 0, vcc
	s_waitcnt lgkmcnt(0)
	v_cndmask_b32_e64 v6, v6, 0, vcc
	v_cmp_gt_u32_e32 vcc, 56, v47
	v_add_u32_e32 v3, v3, v7
	v_cndmask_b32_e64 v7, 0, 1, vcc
	v_lshlrev_b32_e32 v7, 3, v7
	v_add_lshl_u32 v53, v7, v39, 2
	ds_bpermute_b32 v7, v53, v3
	v_add_u32_e32 v2, v2, v6
	ds_bpermute_b32 v6, v53, v2
	v_add_u32_e32 v54, 8, v47
	v_cmp_eq_u32_e32 vcc, 0, v2
	s_waitcnt lgkmcnt(1)
	v_cndmask_b32_e32 v7, 0, v7, vcc
	v_cmp_gt_u32_e32 vcc, v54, v5
	v_cndmask_b32_e64 v7, v7, 0, vcc
	s_waitcnt lgkmcnt(0)
	v_cndmask_b32_e64 v6, v6, 0, vcc
	v_cmp_gt_u32_e32 vcc, 48, v47
	v_add_u32_e32 v3, v3, v7
	;; [unrolled: 16-line block ×3, first 2 shown]
	v_cndmask_b32_e64 v7, 0, 1, vcc
	v_lshlrev_b32_e32 v7, 5, v7
	v_add_lshl_u32 v57, v7, v39, 2
	ds_bpermute_b32 v7, v57, v3
	v_add_u32_e32 v2, v2, v6
	ds_bpermute_b32 v6, v57, v2
	v_add_u32_e32 v58, 32, v47
	v_cmp_eq_u32_e32 vcc, 0, v2
	s_waitcnt lgkmcnt(1)
	v_cndmask_b32_e32 v7, 0, v7, vcc
	v_cmp_gt_u32_e32 vcc, v58, v5
	v_cndmask_b32_e64 v5, v7, 0, vcc
	v_add_u32_e32 v3, v5, v3
	s_waitcnt lgkmcnt(0)
	v_cndmask_b32_e64 v5, v6, 0, vcc
	v_add_u32_e32 v2, v5, v2
	v_mov_b32_e32 v39, 0
	s_branch .LBB1041_103
.LBB1041_102:                           ;   in Loop: Header=BB1041_103 Depth=1
	s_or_b64 exec, exec, s[30:31]
	v_cmp_eq_u16_sdwa s[30:31], v4, v46 src0_sel:BYTE_0 src1_sel:DWORD
	v_and_b32_e32 v5, s31, v41
	v_or_b32_e32 v5, 0x80000000, v5
	v_and_b32_e32 v42, s30, v40
	v_ffbl_b32_e32 v5, v5
	v_add_u32_e32 v5, 32, v5
	v_ffbl_b32_e32 v42, v42
	v_min_u32_e32 v5, v42, v5
	ds_bpermute_b32 v42, v48, v3
	v_cmp_eq_u32_e32 vcc, 0, v2
	v_cmp_lt_u32_e64 s[30:31], v47, v5
	ds_bpermute_b32 v43, v48, v2
	s_and_b64 vcc, s[30:31], vcc
	s_waitcnt lgkmcnt(1)
	v_cndmask_b32_e32 v42, 0, v42, vcc
	v_add_u32_e32 v3, v42, v3
	ds_bpermute_b32 v42, v49, v3
	s_waitcnt lgkmcnt(1)
	v_cndmask_b32_e64 v43, 0, v43, s[30:31]
	v_add_u32_e32 v2, v43, v2
	v_cmp_eq_u32_e32 vcc, 0, v2
	ds_bpermute_b32 v43, v49, v2
	s_waitcnt lgkmcnt(1)
	v_cndmask_b32_e32 v42, 0, v42, vcc
	v_cmp_gt_u32_e32 vcc, v50, v5
	v_cndmask_b32_e64 v42, v42, 0, vcc
	v_add_u32_e32 v3, v42, v3
	ds_bpermute_b32 v42, v51, v3
	s_waitcnt lgkmcnt(1)
	v_cndmask_b32_e64 v43, v43, 0, vcc
	v_add_u32_e32 v2, v2, v43
	v_cmp_eq_u32_e32 vcc, 0, v2
	ds_bpermute_b32 v43, v51, v2
	s_waitcnt lgkmcnt(1)
	v_cndmask_b32_e32 v42, 0, v42, vcc
	v_cmp_gt_u32_e32 vcc, v52, v5
	v_cndmask_b32_e64 v42, v42, 0, vcc
	v_add_u32_e32 v3, v3, v42
	ds_bpermute_b32 v42, v53, v3
	s_waitcnt lgkmcnt(1)
	v_cndmask_b32_e64 v43, v43, 0, vcc
	v_add_u32_e32 v2, v2, v43
	ds_bpermute_b32 v43, v53, v2
	v_cmp_eq_u32_e32 vcc, 0, v2
	s_waitcnt lgkmcnt(1)
	v_cndmask_b32_e32 v42, 0, v42, vcc
	v_cmp_gt_u32_e32 vcc, v54, v5
	v_cndmask_b32_e64 v42, v42, 0, vcc
	v_add_u32_e32 v3, v3, v42
	ds_bpermute_b32 v42, v55, v3
	s_waitcnt lgkmcnt(1)
	v_cndmask_b32_e64 v43, v43, 0, vcc
	v_add_u32_e32 v2, v2, v43
	ds_bpermute_b32 v43, v55, v2
	v_cmp_eq_u32_e32 vcc, 0, v2
	;; [unrolled: 11-line block ×3, first 2 shown]
	s_waitcnt lgkmcnt(1)
	v_cndmask_b32_e32 v42, 0, v42, vcc
	v_cmp_gt_u32_e32 vcc, v58, v5
	v_cndmask_b32_e64 v5, v42, 0, vcc
	v_add_u32_e32 v3, v5, v3
	s_waitcnt lgkmcnt(0)
	v_cndmask_b32_e64 v5, v43, 0, vcc
	v_cmp_eq_u32_e32 vcc, 0, v6
	v_cndmask_b32_e32 v3, 0, v3, vcc
	v_subrev_u32_e32 v38, 64, v38
	v_add3_u32 v2, v2, v6, v5
	v_add_u32_e32 v3, v3, v7
.LBB1041_103:                           ; =>This Loop Header: Depth=1
                                        ;     Child Loop BB1041_106 Depth 2
                                        ;       Child Loop BB1041_107 Depth 3
	v_cmp_ne_u16_sdwa s[30:31], v4, v46 src0_sel:BYTE_0 src1_sel:DWORD
	v_mov_b32_e32 v7, v3
	v_cndmask_b32_e64 v3, 0, 1, s[30:31]
	;;#ASMSTART
	;;#ASMEND
	v_cmp_ne_u32_e32 vcc, 0, v3
	s_cmp_lg_u64 vcc, exec
	v_mov_b32_e32 v6, v2
	s_cbranch_scc1 .LBB1041_110
; %bb.104:                              ;   in Loop: Header=BB1041_103 Depth=1
	v_lshlrev_b64 v[2:3], 4, v[38:39]
	v_mov_b32_e32 v4, s37
	v_add_co_u32_e32 v42, vcc, s36, v2
	v_addc_co_u32_e32 v43, vcc, v4, v3, vcc
	;;#ASMSTART
	global_load_dwordx4 v[2:5], v[42:43] off glc	
s_waitcnt vmcnt(0)
	;;#ASMEND
	v_and_b32_e32 v5, 0xff, v3
	v_and_b32_e32 v59, 0xff00, v3
	;; [unrolled: 1-line block ×3, first 2 shown]
	v_or3_b32 v5, 0, v5, v59
	v_or3_b32 v2, v2, 0, 0
	v_and_b32_e32 v3, 0xff000000, v3
	v_or3_b32 v3, v5, v60, v3
	v_or3_b32 v2, v2, 0, 0
	v_cmp_eq_u16_sdwa s[52:53], v4, v39 src0_sel:BYTE_0 src1_sel:DWORD
	s_and_saveexec_b64 s[30:31], s[52:53]
	s_cbranch_execz .LBB1041_102
; %bb.105:                              ;   in Loop: Header=BB1041_103 Depth=1
	s_mov_b32 s55, 1
	s_mov_b64 s[52:53], 0
.LBB1041_106:                           ;   Parent Loop BB1041_103 Depth=1
                                        ; =>  This Loop Header: Depth=2
                                        ;       Child Loop BB1041_107 Depth 3
	s_max_u32 s56, s55, 1
.LBB1041_107:                           ;   Parent Loop BB1041_103 Depth=1
                                        ;     Parent Loop BB1041_106 Depth=2
                                        ; =>    This Inner Loop Header: Depth=3
	s_add_i32 s56, s56, -1
	s_cmp_eq_u32 s56, 0
	s_sleep 1
	s_cbranch_scc0 .LBB1041_107
; %bb.108:                              ;   in Loop: Header=BB1041_106 Depth=2
	s_cmp_lt_u32 s55, 32
	s_cselect_b64 s[56:57], -1, 0
	s_cmp_lg_u64 s[56:57], 0
	s_addc_u32 s55, s55, 0
	;;#ASMSTART
	global_load_dwordx4 v[2:5], v[42:43] off glc	
s_waitcnt vmcnt(0)
	;;#ASMEND
	v_cmp_ne_u16_sdwa s[56:57], v4, v39 src0_sel:BYTE_0 src1_sel:DWORD
	s_or_b64 s[52:53], s[56:57], s[52:53]
	s_andn2_b64 exec, exec, s[52:53]
	s_cbranch_execnz .LBB1041_106
; %bb.109:                              ;   in Loop: Header=BB1041_103 Depth=1
	s_or_b64 exec, exec, s[52:53]
	s_branch .LBB1041_102
.LBB1041_110:                           ;   in Loop: Header=BB1041_103 Depth=1
                                        ; implicit-def: $vgpr3
                                        ; implicit-def: $vgpr2
                                        ; implicit-def: $vgpr4
	s_cbranch_execz .LBB1041_103
; %bb.111:
	s_and_saveexec_b64 s[30:31], s[26:27]
	s_cbranch_execz .LBB1041_113
; %bb.112:
	s_cmp_eq_u32 s7, 0
	s_cselect_b64 vcc, -1, 0
	s_mov_b32 s53, 0
	v_cndmask_b32_e32 v2, 0, v7, vcc
	s_add_i32 s52, s6, 64
	v_add_u32_e32 v2, s54, v2
	s_lshl_b64 s[52:53], s[52:53], 4
	s_add_u32 s52, s36, s52
	v_and_b32_e32 v3, 0xff000000, v2
	v_and_b32_e32 v4, 0xff0000, v2
	s_addc_u32 s53, s37, s53
	v_or_b32_e32 v3, v4, v3
	v_and_b32_e32 v4, 0xff00, v2
	v_and_b32_e32 v2, 0xff, v2
	v_add_u32_e32 v38, s7, v6
	v_mov_b32_e32 v41, 0
	v_or3_b32 v39, v3, v4, v2
	v_mov_b32_e32 v40, 2
	v_pk_mov_b32 v[2:3], s[52:53], s[52:53] op_sel:[0,1]
	;;#ASMSTART
	global_store_dwordx4 v[2:3], v[38:41] off	
s_waitcnt vmcnt(0)
	;;#ASMEND
	v_mov_b32_e32 v4, s7
	v_mov_b32_e32 v5, s54
	ds_write_b128 v41, v[4:7] offset:2048
.LBB1041_113:
	s_or_b64 exec, exec, s[30:31]
	v_cmp_eq_u32_e32 vcc, 0, v0
	s_and_b64 exec, exec, vcc
	s_cbranch_execz .LBB1041_115
; %bb.114:
	v_mov_b32_e32 v2, 0
	ds_write_b64 v2, v[6:7] offset:2088
.LBB1041_115:
	s_or_b64 exec, exec, s[44:45]
	v_mov_b32_e32 v4, 0
	s_waitcnt lgkmcnt(0)
	s_barrier
	ds_read_b64 v[2:3], v4 offset:2088
	v_cndmask_b32_e64 v6, v44, v36, s[26:27]
	v_cmp_eq_u32_e32 vcc, 0, v6
	v_cndmask_b32_e64 v5, v45, v37, s[26:27]
	s_waitcnt lgkmcnt(0)
	v_cndmask_b32_e32 v7, 0, v3, vcc
	v_add_u32_e32 v5, v7, v5
	v_cmp_eq_u32_e32 vcc, 0, v0
	v_cndmask_b32_e32 v65, v5, v3, vcc
	v_cndmask_b32_e64 v3, v6, 0, vcc
	v_cmp_eq_u32_e32 vcc, 0, v82
	v_add_u32_e32 v64, v2, v3
	v_cndmask_b32_e32 v2, 0, v65, vcc
	v_add_u32_e32 v63, v2, v34
	v_cndmask_b32_e64 v2, 0, v63, s[24:25]
	v_add_u32_e32 v61, v2, v35
	v_cndmask_b32_e64 v2, 0, v61, s[22:23]
	;; [unrolled: 2-line block ×8, first 2 shown]
	v_add_u32_e32 v62, v64, v82
	v_add_u32_e32 v47, v2, v26
	v_add_u32_e32 v60, v62, v79
	v_cndmask_b32_e64 v2, 0, v47, s[8:9]
	v_add_u32_e32 v58, v60, v78
	v_add_u32_e32 v45, v2, v27
	v_add_u32_e32 v56, v58, v77
	v_cndmask_b32_e64 v2, 0, v45, s[28:29]
	;; [unrolled: 4-line block ×3, first 2 shown]
	v_add_u32_e32 v50, v52, v74
	v_add_u32_e32 v41, v2, v25
	s_barrier
	ds_read_b128 v[2:5], v4 offset:2048
	v_add_u32_e32 v48, v50, v73
	v_add_u32_e32 v46, v48, v72
	;; [unrolled: 1-line block ×4, first 2 shown]
	v_cndmask_b32_e64 v6, 0, v41, s[2:3]
	v_add_u32_e32 v40, v42, v69
	v_add_u32_e32 v39, v6, v22
	s_waitcnt lgkmcnt(0)
	v_cmp_eq_u32_e32 vcc, 0, v2
	v_add_u32_e32 v38, v40, v68
	v_cndmask_b32_e64 v6, 0, v39, s[0:1]
	v_cndmask_b32_e32 v5, 0, v5, vcc
	v_add_u32_e32 v36, v38, v67
	v_add_u32_e32 v37, v6, v23
	;; [unrolled: 1-line block ×3, first 2 shown]
	s_branch .LBB1041_128
.LBB1041_116:
                                        ; implicit-def: $vgpr2
                                        ; implicit-def: $vgpr81
                                        ; implicit-def: $vgpr64_vgpr65
                                        ; implicit-def: $vgpr62_vgpr63
                                        ; implicit-def: $vgpr60_vgpr61
                                        ; implicit-def: $vgpr58_vgpr59
                                        ; implicit-def: $vgpr56_vgpr57
                                        ; implicit-def: $vgpr54_vgpr55
                                        ; implicit-def: $vgpr52_vgpr53
                                        ; implicit-def: $vgpr50_vgpr51
                                        ; implicit-def: $vgpr48_vgpr49
                                        ; implicit-def: $vgpr46_vgpr47
                                        ; implicit-def: $vgpr44_vgpr45
                                        ; implicit-def: $vgpr42_vgpr43
                                        ; implicit-def: $vgpr40_vgpr41
                                        ; implicit-def: $vgpr38_vgpr39
                                        ; implicit-def: $vgpr36_vgpr37
	s_cbranch_execz .LBB1041_128
; %bb.117:
	s_and_b64 s[0:1], s[38:39], exec
	s_cselect_b32 s1, 0, s51
	s_cselect_b32 s0, 0, s50
	s_cmp_eq_u64 s[0:1], 0
	v_mov_b32_e32 v6, v34
	s_cbranch_scc1 .LBB1041_119
; %bb.118:
	v_mov_b32_e32 v2, 0
	global_load_dword v6, v2, s[0:1]
.LBB1041_119:
	v_cmp_eq_u32_e64 s[0:1], 0, v79
	v_cndmask_b32_e64 v2, 0, v34, s[0:1]
	v_add_u32_e32 v2, v2, v35
	v_cmp_eq_u32_e64 s[2:3], 0, v78
	v_cndmask_b32_e64 v2, 0, v2, s[2:3]
	v_add_u32_e32 v2, v2, v32
	;; [unrolled: 3-line block ×11, first 2 shown]
	v_cmp_eq_u32_e64 s[22:23], 0, v68
	v_cndmask_b32_e64 v2, 0, v2, s[22:23]
	v_add3_u32 v3, v86, v75, v74
	v_add_u32_e32 v2, v2, v22
	v_cmp_eq_u32_e32 vcc, 0, v67
	v_add3_u32 v3, v3, v73, v72
	v_cndmask_b32_e32 v2, 0, v2, vcc
	v_add3_u32 v3, v3, v71, v70
	v_add_u32_e32 v2, v2, v23
	v_cmp_eq_u32_e64 s[24:25], 0, v66
	v_add3_u32 v3, v3, v69, v68
	v_cndmask_b32_e64 v2, 0, v2, s[24:25]
	v_add3_u32 v3, v3, v67, v66
	v_add_u32_e32 v2, v2, v80
	v_mbcnt_hi_u32_b32 v7, -1, v85
	v_and_b32_e32 v4, 15, v7
	v_mov_b32_dpp v36, v2 row_shr:1 row_mask:0xf bank_mask:0xf
	v_cmp_eq_u32_e64 s[24:25], 0, v3
	v_mov_b32_dpp v5, v3 row_shr:1 row_mask:0xf bank_mask:0xf
	v_cndmask_b32_e64 v36, 0, v36, s[24:25]
	v_cmp_eq_u32_e64 s[24:25], 0, v4
	v_cndmask_b32_e64 v5, v5, 0, s[24:25]
	v_add_u32_e32 v3, v5, v3
	v_cndmask_b32_e64 v5, v36, 0, s[24:25]
	v_add_u32_e32 v2, v5, v2
	v_cmp_eq_u32_e64 s[24:25], 0, v3
	v_mov_b32_dpp v5, v3 row_shr:2 row_mask:0xf bank_mask:0xf
	v_cmp_lt_u32_e64 s[26:27], 1, v4
	v_mov_b32_dpp v36, v2 row_shr:2 row_mask:0xf bank_mask:0xf
	v_cndmask_b32_e64 v5, 0, v5, s[26:27]
	s_and_b64 s[24:25], s[26:27], s[24:25]
	v_cndmask_b32_e64 v36, 0, v36, s[24:25]
	v_add_u32_e32 v3, v3, v5
	v_add_u32_e32 v2, v36, v2
	v_cmp_eq_u32_e64 s[24:25], 0, v3
	v_mov_b32_dpp v5, v3 row_shr:4 row_mask:0xf bank_mask:0xf
	v_cmp_lt_u32_e64 s[26:27], 3, v4
	v_mov_b32_dpp v36, v2 row_shr:4 row_mask:0xf bank_mask:0xf
	v_cndmask_b32_e64 v5, 0, v5, s[26:27]
	s_and_b64 s[24:25], s[26:27], s[24:25]
	v_cndmask_b32_e64 v36, 0, v36, s[24:25]
	v_add_u32_e32 v3, v5, v3
	v_add_u32_e32 v2, v2, v36
	v_cmp_eq_u32_e64 s[24:25], 0, v3
	v_cmp_lt_u32_e64 s[26:27], 7, v4
	v_mov_b32_dpp v5, v3 row_shr:8 row_mask:0xf bank_mask:0xf
	v_mov_b32_dpp v36, v2 row_shr:8 row_mask:0xf bank_mask:0xf
	s_and_b64 s[24:25], s[26:27], s[24:25]
	v_cndmask_b32_e64 v4, 0, v5, s[26:27]
	v_cndmask_b32_e64 v5, 0, v36, s[24:25]
	v_add_u32_e32 v2, v5, v2
	v_add_u32_e32 v3, v4, v3
	v_bfe_i32 v36, v7, 4, 1
	v_mov_b32_dpp v5, v2 row_bcast:15 row_mask:0xf bank_mask:0xf
	v_mov_b32_dpp v4, v3 row_bcast:15 row_mask:0xf bank_mask:0xf
	v_cmp_eq_u32_e64 s[24:25], 0, v3
	v_cndmask_b32_e64 v5, 0, v5, s[24:25]
	v_and_b32_e32 v4, v36, v4
	v_add_u32_e32 v3, v4, v3
	v_and_b32_e32 v4, v36, v5
	v_add_u32_e32 v4, v4, v2
	v_mov_b32_dpp v2, v3 row_bcast:31 row_mask:0xf bank_mask:0xf
	v_cmp_eq_u32_e64 s[24:25], 0, v3
	v_cmp_lt_u32_e64 s[26:27], 31, v7
	v_mov_b32_dpp v5, v4 row_bcast:31 row_mask:0xf bank_mask:0xf
	v_cndmask_b32_e64 v2, 0, v2, s[26:27]
	s_and_b64 s[24:25], s[26:27], s[24:25]
	v_add_u32_e32 v2, v2, v3
	v_cndmask_b32_e64 v3, 0, v5, s[24:25]
	v_add_u32_e32 v3, v3, v4
	v_cmp_eq_u32_e64 s[24:25], v84, v0
	s_and_saveexec_b64 s[26:27], s[24:25]
	s_cbranch_execz .LBB1041_121
; %bb.120:
	v_lshlrev_b32_e32 v4, 3, v83
	ds_write_b64 v4, v[2:3] offset:2064
.LBB1041_121:
	s_or_b64 exec, exec, s[26:27]
	v_cmp_gt_u32_e64 s[24:25], 4, v0
	s_waitcnt lgkmcnt(0)
	s_barrier
	s_and_saveexec_b64 s[28:29], s[24:25]
	s_cbranch_execz .LBB1041_123
; %bb.122:
	v_lshlrev_b32_e32 v36, 3, v0
	ds_read_b64 v[4:5], v36 offset:2064
	v_and_b32_e32 v37, 3, v7
	v_cmp_lt_u32_e64 s[26:27], 1, v37
	s_waitcnt lgkmcnt(0)
	v_mov_b32_dpp v39, v5 row_shr:1 row_mask:0xf bank_mask:0xf
	v_cmp_eq_u32_e64 s[24:25], 0, v4
	v_mov_b32_dpp v38, v4 row_shr:1 row_mask:0xf bank_mask:0xf
	v_cndmask_b32_e64 v39, 0, v39, s[24:25]
	v_cmp_eq_u32_e64 s[24:25], 0, v37
	v_cndmask_b32_e64 v38, v38, 0, s[24:25]
	v_add_u32_e32 v4, v38, v4
	v_cndmask_b32_e64 v38, v39, 0, s[24:25]
	v_add_u32_e32 v5, v38, v5
	v_cmp_eq_u32_e64 s[24:25], 0, v4
	v_mov_b32_dpp v38, v4 row_shr:2 row_mask:0xf bank_mask:0xf
	v_mov_b32_dpp v39, v5 row_shr:2 row_mask:0xf bank_mask:0xf
	v_cndmask_b32_e64 v37, 0, v38, s[26:27]
	s_and_b64 s[24:25], s[26:27], s[24:25]
	v_add_u32_e32 v4, v37, v4
	v_cndmask_b32_e64 v37, 0, v39, s[24:25]
	v_add_u32_e32 v5, v37, v5
	ds_write_b64 v36, v[4:5] offset:2064
.LBB1041_123:
	s_or_b64 exec, exec, s[28:29]
	v_cmp_lt_u32_e64 s[24:25], 63, v0
	v_mov_b32_e32 v36, 0
	v_mov_b32_e32 v4, 0
	s_waitcnt vmcnt(0)
	v_mov_b32_e32 v5, v6
	s_waitcnt lgkmcnt(0)
	s_barrier
	s_and_saveexec_b64 s[26:27], s[24:25]
	s_cbranch_execz .LBB1041_125
; %bb.124:
	v_lshlrev_b32_e32 v4, 3, v83
	ds_read_b64 v[4:5], v4 offset:2056
	s_waitcnt lgkmcnt(0)
	v_cmp_eq_u32_e64 s[24:25], 0, v4
	v_cndmask_b32_e64 v37, 0, v6, s[24:25]
	v_add_u32_e32 v5, v37, v5
.LBB1041_125:
	s_or_b64 exec, exec, s[26:27]
	v_cmp_eq_u32_e64 s[24:25], 0, v2
	v_add_u32_e32 v37, v4, v2
	v_cndmask_b32_e64 v2, 0, v5, s[24:25]
	v_add_u32_e32 v2, v2, v3
	v_add_u32_e32 v3, -1, v7
	v_and_b32_e32 v38, 64, v7
	v_cmp_lt_i32_e64 s[24:25], v3, v38
	v_cndmask_b32_e64 v3, v3, v7, s[24:25]
	v_lshlrev_b32_e32 v3, 2, v3
	ds_bpermute_b32 v37, v3, v37
	ds_bpermute_b32 v2, v3, v2
	v_cmp_eq_u32_e64 s[24:25], 0, v7
	v_cmp_eq_u32_e64 s[26:27], 0, v82
	s_waitcnt lgkmcnt(1)
	v_cndmask_b32_e64 v3, v37, v4, s[24:25]
	s_waitcnt lgkmcnt(0)
	v_cndmask_b32_e64 v2, v2, v5, s[24:25]
	v_cmp_eq_u32_e64 s[24:25], 0, v0
	v_cndmask_b32_e64 v65, v2, v6, s[24:25]
	v_cndmask_b32_e64 v2, 0, v65, s[26:27]
	v_add_u32_e32 v63, v2, v34
	v_cndmask_b32_e64 v2, 0, v63, s[0:1]
	v_add_u32_e32 v61, v2, v35
	;; [unrolled: 2-line block ×8, first 2 shown]
	v_cndmask_b32_e64 v64, v3, 0, s[24:25]
	v_cndmask_b32_e64 v2, 0, v49, s[14:15]
	v_add_u32_e32 v62, v64, v82
	v_add_u32_e32 v47, v2, v26
	v_add_u32_e32 v60, v62, v79
	v_cndmask_b32_e64 v2, 0, v47, s[16:17]
	v_add_u32_e32 v58, v60, v78
	v_add_u32_e32 v45, v2, v27
	v_add_u32_e32 v56, v58, v77
	;; [unrolled: 4-line block ×3, first 2 shown]
	v_cndmask_b32_e64 v2, 0, v43, s[20:21]
	v_add_u32_e32 v50, v52, v74
	v_add_u32_e32 v41, v2, v25
	ds_read_b64 v[2:3], v36 offset:2088
	v_add_u32_e32 v48, v50, v73
	v_add_u32_e32 v46, v48, v72
	;; [unrolled: 1-line block ×3, first 2 shown]
	v_cndmask_b32_e64 v4, 0, v41, s[22:23]
	v_add_u32_e32 v42, v44, v70
	v_add_u32_e32 v39, v4, v22
	;; [unrolled: 1-line block ×3, first 2 shown]
	v_cndmask_b32_e32 v4, 0, v39, vcc
	s_waitcnt lgkmcnt(0)
	v_cmp_eq_u32_e32 vcc, 0, v2
	v_add_u32_e32 v38, v40, v68
	v_add_u32_e32 v37, v4, v23
	v_cndmask_b32_e32 v4, 0, v6, vcc
	v_add_u32_e32 v36, v38, v67
	v_add_u32_e32 v81, v4, v3
	s_and_saveexec_b64 s[0:1], s[24:25]
	s_cbranch_execz .LBB1041_127
; %bb.126:
	s_add_u32 s2, s36, 0x400
	v_and_b32_e32 v3, 0xff000000, v81
	v_and_b32_e32 v4, 0xff0000, v81
	s_addc_u32 s3, s37, 0
	v_or_b32_e32 v3, v4, v3
	v_and_b32_e32 v4, 0xff00, v81
	v_and_b32_e32 v6, 0xff, v81
	v_mov_b32_e32 v5, 0
	v_or3_b32 v3, v3, v4, v6
	v_mov_b32_e32 v4, 2
	v_pk_mov_b32 v[6:7], s[2:3], s[2:3] op_sel:[0,1]
	;;#ASMSTART
	global_store_dwordx4 v[6:7], v[2:5] off	
s_waitcnt vmcnt(0)
	;;#ASMEND
.LBB1041_127:
	s_or_b64 exec, exec, s[0:1]
	v_mov_b32_e32 v4, 0
.LBB1041_128:
	s_and_b64 s[0:1], s[38:39], exec
	s_cselect_b32 s1, 0, s47
	s_cselect_b32 s0, 0, s46
	s_cmp_eq_u64 s[0:1], 0
	v_pk_mov_b32 v[6:7], 0, 0
	s_barrier
	s_cbranch_scc1 .LBB1041_130
; %bb.129:
	v_mov_b32_e32 v3, 0
	global_load_dwordx2 v[6:7], v3, s[0:1]
.LBB1041_130:
	s_movk_i32 s36, 0x100
	v_cmp_gt_u32_e32 vcc, s36, v2
	s_cbranch_vccnz .LBB1041_137
; %bb.131:
	v_cmp_eq_u32_e64 s[26:27], 0, v79
	v_cndmask_b32_e64 v33, 1, 2, s[26:27]
	v_cmp_eq_u32_e64 s[26:27], 0, v82
	v_cmp_eq_u32_e64 s[24:25], 0, v78
	v_cndmask_b32_e64 v34, 1, 2, s[26:27]
	v_cmp_eq_u32_e64 s[22:23], 0, v77
	v_cndmask_b32_e64 v32, 1, 2, s[24:25]
	v_and_b32_e32 v33, v33, v34
	v_cmp_eq_u32_e64 s[20:21], 0, v76
	v_cndmask_b32_e64 v31, 1, 2, s[22:23]
	v_and_b32_e32 v32, v33, v32
	;; [unrolled: 3-line block ×11, first 2 shown]
	v_cmp_eq_u32_e32 vcc, 0, v66
	v_cndmask_b32_e64 v5, 1, 2, s[0:1]
	v_and_b32_e32 v22, v23, v22
	v_cndmask_b32_e64 v3, 1, 2, vcc
	v_and_b32_e32 v5, v22, v5
	v_and_b32_e32 v3, v5, v3
	v_cmp_ne_u32_e64 s[18:19], 0, v82
	v_cmp_ne_u32_e32 vcc, 0, v67
	v_cmp_ne_u32_e64 s[0:1], 0, v68
	v_cmp_ne_u32_e64 s[2:3], 0, v69
	;; [unrolled: 1-line block ×12, first 2 shown]
	v_cmp_gt_i16_e64 s[26:27], 2, v3
	s_and_saveexec_b64 s[28:29], s[26:27]
	s_cbranch_execz .LBB1041_136
; %bb.132:
	v_cmp_ne_u16_e64 s[26:27], 1, v3
	s_mov_b64 s[30:31], 0
	s_and_saveexec_b64 s[38:39], s[26:27]
	s_xor_b64 s[26:27], exec, s[38:39]
	s_cbranch_execnz .LBB1041_171
; %bb.133:
	s_andn2_saveexec_b64 s[0:1], s[26:27]
	s_cbranch_execnz .LBB1041_187
.LBB1041_134:
	s_or_b64 exec, exec, s[0:1]
	s_and_b64 exec, exec, s[30:31]
	s_cbranch_execz .LBB1041_136
.LBB1041_135:
	v_sub_u32_e32 v3, v36, v4
	v_lshlrev_b32_e32 v3, 2, v3
	ds_write_b32 v3, v1
.LBB1041_136:
	s_or_b64 exec, exec, s[28:29]
	s_waitcnt lgkmcnt(0)
	s_barrier
.LBB1041_137:
	s_cmpk_lg_i32 s33, 0xf00
	s_cselect_b64 s[0:1], -1, 0
	s_and_b64 s[0:1], s[48:49], s[0:1]
	v_cmp_eq_u32_e32 vcc, 0, v0
	v_cndmask_b32_e64 v8, 0, 1, s[0:1]
	s_and_b64 s[0:1], vcc, s[34:35]
	v_cndmask_b32_e64 v9, v82, 0, s[0:1]
	s_mul_hi_u32 s0, s33, 0x88888889
	s_lshr_b32 s0, s0, 3
	v_mad_i32_i24 v10, v0, -15, s33
	v_cmp_eq_u32_e32 vcc, s0, v0
	v_cmp_ne_u32_e64 s[0:1], 0, v10
	v_cndmask_b32_e64 v11, 1, v9, s[0:1]
	v_cmp_ne_u32_e64 s[0:1], 1, v10
	v_cndmask_b32_e64 v12, 1, v79, s[0:1]
	;; [unrolled: 2-line block ×15, first 2 shown]
	s_and_b64 vcc, s[48:49], vcc
	v_cndmask_b32_e32 v25, v66, v10, vcc
	v_cndmask_b32_e32 v29, v9, v11, vcc
	s_waitcnt vmcnt(0)
	v_lshlrev_b64 v[10:11], 2, v[6:7]
	v_mov_b32_e32 v5, 0
	v_cndmask_b32_e32 v24, v67, v24, vcc
	v_cndmask_b32_e32 v23, v68, v23, vcc
	;; [unrolled: 1-line block ×13, first 2 shown]
	v_mov_b32_e32 v9, s41
	v_add_co_u32_e32 v12, vcc, s40, v10
	v_addc_co_u32_e32 v9, vcc, v9, v11, vcc
	v_lshlrev_b64 v[10:11], 2, v[4:5]
	v_cndmask_b32_e64 v1, 0, 1, s[34:35]
	v_add_co_u32_e32 v5, vcc, v12, v10
	v_addc_co_u32_e32 v12, vcc, v9, v11, vcc
	v_lshlrev_b32_e32 v9, 2, v1
	v_add_co_u32_e32 v9, vcc, v9, v5
	v_addc_co_u32_e32 v10, vcc, 0, v12, vcc
	v_add_co_u32_e32 v13, vcc, -4, v9
	v_addc_co_u32_e32 v14, vcc, -1, v10, vcc
	v_cmp_eq_u32_e32 vcc, 0, v29
	v_cndmask_b32_e64 v10, 1, 2, vcc
	v_cmp_eq_u32_e32 vcc, 0, v28
	v_cndmask_b32_e64 v11, 1, 2, vcc
	v_cmp_eq_u32_e32 vcc, 0, v27
	v_and_b32_e32 v10, v11, v10
	v_cndmask_b32_e64 v11, 1, 2, vcc
	v_cmp_eq_u32_e32 vcc, 0, v26
	v_and_b32_e32 v10, v10, v11
	;; [unrolled: 3-line block ×11, first 2 shown]
	v_cndmask_b32_e64 v11, 1, 2, vcc
	v_cmp_eq_u32_e32 vcc, 0, v24
	v_sub_u32_e32 v3, v2, v1
	v_and_b32_e32 v10, v10, v11
	v_cndmask_b32_e64 v11, 1, 2, vcc
	v_cmp_eq_u32_e32 vcc, 0, v25
	v_add_u32_e32 v3, v3, v8
	v_and_b32_e32 v10, v10, v11
	v_cndmask_b32_e64 v11, 1, 2, vcc
	v_and_b32_e32 v10, v10, v11
	v_cmp_gt_u32_e32 vcc, s36, v3
	v_add_u32_e32 v9, v4, v1
	v_cmp_ne_u32_e64 s[28:29], 0, v29
	v_cmp_ne_u32_e64 s[26:27], 0, v28
	;; [unrolled: 1-line block ×15, first 2 shown]
	s_mov_b64 s[34:35], -1
	v_cmp_gt_i16_e64 s[30:31], 2, v10
	s_barrier
	s_cbranch_vccz .LBB1041_144
; %bb.138:
	s_and_saveexec_b64 s[34:35], s[30:31]
	s_cbranch_execz .LBB1041_143
; %bb.139:
	v_cmp_ne_u16_e32 vcc, 1, v10
	s_mov_b64 s[36:37], 0
	s_and_saveexec_b64 s[30:31], vcc
	s_xor_b64 s[30:31], exec, s[30:31]
	s_cbranch_execnz .LBB1041_188
; %bb.140:
	s_andn2_saveexec_b64 s[30:31], s[30:31]
	s_cbranch_execnz .LBB1041_204
.LBB1041_141:
	s_or_b64 exec, exec, s[30:31]
	s_and_b64 exec, exec, s[36:37]
	s_cbranch_execz .LBB1041_143
.LBB1041_142:
	v_sub_u32_e32 v16, v36, v9
	v_mov_b32_e32 v17, 0
	v_lshlrev_b64 v[16:17], 2, v[16:17]
	v_add_co_u32_e32 v16, vcc, v13, v16
	v_addc_co_u32_e32 v17, vcc, v14, v17, vcc
	global_store_dword v[16:17], v37, off
.LBB1041_143:
	s_or_b64 exec, exec, s[34:35]
	s_mov_b64 s[34:35], 0
.LBB1041_144:
	s_and_b64 vcc, exec, s[34:35]
	s_cbranch_vccz .LBB1041_166
; %bb.145:
	v_cmp_gt_i16_e32 vcc, 2, v10
	s_and_saveexec_b64 s[30:31], vcc
	s_cbranch_execz .LBB1041_150
; %bb.146:
	v_cmp_ne_u16_e32 vcc, 1, v10
	s_mov_b64 s[36:37], 0
	s_and_saveexec_b64 s[34:35], vcc
	s_xor_b64 s[34:35], exec, s[34:35]
	s_cbranch_execnz .LBB1041_205
; %bb.147:
	s_andn2_saveexec_b64 s[0:1], s[34:35]
	s_cbranch_execnz .LBB1041_221
.LBB1041_148:
	s_or_b64 exec, exec, s[0:1]
	s_and_b64 exec, exec, s[36:37]
	s_cbranch_execz .LBB1041_150
.LBB1041_149:
	v_sub_u32_e32 v9, v36, v9
	v_lshlrev_b32_e32 v9, 2, v9
	ds_write_b32 v9, v37
.LBB1041_150:
	s_or_b64 exec, exec, s[30:31]
	v_cmp_lt_u32_e32 vcc, v0, v3
	s_waitcnt lgkmcnt(0)
	s_barrier
	s_and_saveexec_b64 s[2:3], vcc
	s_cbranch_execz .LBB1041_165
; %bb.151:
	v_add_u32_e32 v10, v2, v8
	v_xad_u32 v8, v0, -1, v10
	v_sub_u32_e32 v9, v8, v1
	s_movk_i32 s0, 0x1900
	v_cmp_gt_u32_e64 s[4:5], s0, v9
	s_movk_i32 s0, 0x18ff
	v_cmp_lt_u32_e32 vcc, s0, v9
	v_mov_b32_e32 v8, v0
	s_and_saveexec_b64 s[6:7], vcc
	s_cbranch_execz .LBB1041_162
; %bb.152:
	v_sub_u32_e32 v8, v0, v10
	v_add_u32_e32 v1, v8, v1
	v_or_b32_e32 v1, 0xff, v1
	v_cmp_ge_u32_e32 vcc, v1, v0
	s_mov_b64 s[0:1], -1
	v_mov_b32_e32 v8, v0
	s_and_saveexec_b64 s[8:9], vcc
	s_cbranch_execz .LBB1041_161
; %bb.153:
	v_lshrrev_b32_e32 v15, 8, v9
	v_add_u32_e32 v8, -1, v15
	v_or_b32_e32 v1, 0x100, v0
	v_lshrrev_b32_e32 v9, 1, v8
	v_add_u32_e32 v17, 1, v9
	v_cmp_lt_u32_e32 vcc, 13, v8
	v_mov_b32_e32 v20, 0
	v_lshlrev_b32_e32 v16, 2, v0
	v_pk_mov_b32 v[8:9], v[0:1], v[0:1] op_sel:[0,1]
	s_and_saveexec_b64 s[10:11], vcc
	s_cbranch_execz .LBB1041_157
; %bb.154:
	v_and_b32_e32 v18, -8, v17
	s_mov_b32 s14, 0
	s_mov_b64 s[12:13], 0
	v_mov_b32_e32 v11, 0
	v_mov_b32_e32 v19, v16
	v_pk_mov_b32 v[8:9], v[0:1], v[0:1] op_sel:[0,1]
.LBB1041_155:                           ; =>This Inner Loop Header: Depth=1
	v_mov_b32_e32 v10, v8
	v_add_u32_e32 v18, -8, v18
	v_lshlrev_b64 v[50:51], 2, v[10:11]
	v_mov_b32_e32 v10, v9
	ds_read2st64_b32 v[22:23], v19 offset1:4
	s_add_i32 s14, s14, 16
	v_cmp_eq_u32_e32 vcc, 0, v18
	v_lshlrev_b64 v[54:55], 2, v[10:11]
	v_add_u32_e32 v10, 0x200, v8
	s_or_b64 s[12:13], vcc, s[12:13]
	v_add_co_u32_e32 v54, vcc, v13, v54
	v_add_u32_e32 v20, 0x200, v9
	v_mov_b32_e32 v21, v11
	ds_read2st64_b32 v[24:25], v19 offset0:8 offset1:12
	ds_read2st64_b32 v[28:29], v19 offset0:16 offset1:20
	v_add_co_u32_e64 v50, s[0:1], v13, v50
	v_addc_co_u32_e32 v55, vcc, v14, v55, vcc
	v_lshlrev_b64 v[56:57], 2, v[10:11]
	v_lshlrev_b64 v[52:53], 2, v[20:21]
	v_addc_co_u32_e64 v51, s[0:1], v14, v51, s[0:1]
	v_add_u32_e32 v10, 0x400, v8
	v_add_co_u32_e32 v56, vcc, v13, v56
	v_add_u32_e32 v26, 0x400, v9
	v_mov_b32_e32 v27, v11
	ds_read2st64_b32 v[32:33], v19 offset0:24 offset1:28
	v_add_co_u32_e64 v52, s[0:1], v13, v52
	v_addc_co_u32_e32 v57, vcc, v14, v57, vcc
	v_lshlrev_b64 v[58:59], 2, v[10:11]
	ds_read2st64_b32 v[36:37], v19 offset0:32 offset1:36
	ds_read2st64_b32 v[40:41], v19 offset0:40 offset1:44
	ds_read2st64_b32 v[44:45], v19 offset0:48 offset1:52
	ds_read2st64_b32 v[48:49], v19 offset0:56 offset1:60
	v_lshlrev_b64 v[26:27], 2, v[26:27]
	v_addc_co_u32_e64 v53, s[0:1], v14, v53, s[0:1]
	v_add_u32_e32 v10, 0x600, v8
	s_waitcnt lgkmcnt(7)
	global_store_dword v[50:51], v22, off
	global_store_dword v[54:55], v23, off
	s_waitcnt lgkmcnt(6)
	global_store_dword v[56:57], v24, off
	global_store_dword v[52:53], v25, off
	v_add_co_u32_e32 v22, vcc, v13, v58
	v_add_u32_e32 v30, 0x600, v9
	v_mov_b32_e32 v31, v11
	v_add_co_u32_e64 v26, s[0:1], v13, v26
	v_addc_co_u32_e32 v23, vcc, v14, v59, vcc
	v_lshlrev_b64 v[24:25], 2, v[10:11]
	v_lshlrev_b64 v[30:31], 2, v[30:31]
	v_addc_co_u32_e64 v27, s[0:1], v14, v27, s[0:1]
	v_add_u32_e32 v10, 0x800, v8
	s_waitcnt lgkmcnt(5)
	global_store_dword v[22:23], v28, off
	global_store_dword v[26:27], v29, off
	v_add_co_u32_e32 v22, vcc, v13, v24
	v_add_u32_e32 v34, 0x800, v9
	v_mov_b32_e32 v35, v11
	v_add_co_u32_e64 v30, s[0:1], v13, v30
	v_addc_co_u32_e32 v23, vcc, v14, v25, vcc
	v_lshlrev_b64 v[24:25], 2, v[10:11]
	v_lshlrev_b64 v[34:35], 2, v[34:35]
	v_addc_co_u32_e64 v31, s[0:1], v14, v31, s[0:1]
	v_add_u32_e32 v10, 0xa00, v8
	;; [unrolled: 12-line block ×4, first 2 shown]
	s_waitcnt lgkmcnt(2)
	global_store_dword v[22:23], v40, off
	global_store_dword v[38:39], v41, off
	v_add_co_u32_e32 v22, vcc, v13, v24
	v_add_u32_e32 v46, 0xe00, v9
	v_mov_b32_e32 v47, v11
	v_add_co_u32_e64 v42, s[0:1], v13, v42
	v_addc_co_u32_e32 v23, vcc, v14, v25, vcc
	v_lshlrev_b64 v[24:25], 2, v[10:11]
	v_lshlrev_b64 v[46:47], 2, v[46:47]
	v_addc_co_u32_e64 v43, s[0:1], v14, v43, s[0:1]
	s_waitcnt lgkmcnt(1)
	global_store_dword v[22:23], v44, off
	global_store_dword v[42:43], v45, off
	v_add_co_u32_e32 v22, vcc, v13, v24
	v_add_u32_e32 v19, 0x4000, v19
	v_add_u32_e32 v9, 0x1000, v9
	v_mov_b32_e32 v20, s14
	v_add_co_u32_e64 v46, s[0:1], v13, v46
	v_add_u32_e32 v8, 0x1000, v8
	v_addc_co_u32_e32 v23, vcc, v14, v25, vcc
	v_addc_co_u32_e64 v47, s[0:1], v14, v47, s[0:1]
	s_waitcnt lgkmcnt(0)
	global_store_dword v[22:23], v48, off
	global_store_dword v[46:47], v49, off
	s_andn2_b64 exec, exec, s[12:13]
	s_cbranch_execnz .LBB1041_155
; %bb.156:
	s_or_b64 exec, exec, s[12:13]
.LBB1041_157:
	s_or_b64 exec, exec, s[10:11]
	v_and_b32_e32 v1, 7, v17
	v_cmp_ne_u32_e32 vcc, 0, v1
	s_and_saveexec_b64 s[10:11], vcc
	s_cbranch_execz .LBB1041_160
; %bb.158:
	v_lshl_or_b32 v16, v20, 10, v16
	s_mov_b64 s[12:13], 0
	v_mov_b32_e32 v11, 0
.LBB1041_159:                           ; =>This Inner Loop Header: Depth=1
	ds_read2st64_b32 v[18:19], v16 offset1:4
	v_mov_b32_e32 v10, v8
	v_add_u32_e32 v1, -1, v1
	v_lshlrev_b64 v[20:21], 2, v[10:11]
	v_mov_b32_e32 v10, v9
	v_cmp_eq_u32_e32 vcc, 0, v1
	v_add_co_u32_e64 v20, s[0:1], v13, v20
	v_lshlrev_b64 v[22:23], 2, v[10:11]
	v_add_u32_e32 v8, 0x200, v8
	v_add_u32_e32 v16, 0x800, v16
	;; [unrolled: 1-line block ×3, first 2 shown]
	v_addc_co_u32_e64 v21, s[0:1], v14, v21, s[0:1]
	s_or_b64 s[12:13], vcc, s[12:13]
	v_add_co_u32_e32 v22, vcc, v13, v22
	v_addc_co_u32_e32 v23, vcc, v14, v23, vcc
	s_waitcnt lgkmcnt(0)
	global_store_dword v[20:21], v18, off
	global_store_dword v[22:23], v19, off
	s_andn2_b64 exec, exec, s[12:13]
	s_cbranch_execnz .LBB1041_159
.LBB1041_160:
	s_or_b64 exec, exec, s[10:11]
	v_add_u32_e32 v1, 1, v15
	v_and_b32_e32 v9, 0x1fffffe, v1
	v_cmp_ne_u32_e32 vcc, v1, v9
	v_lshl_or_b32 v8, v9, 8, v0
	s_orn2_b64 s[0:1], vcc, exec
.LBB1041_161:
	s_or_b64 exec, exec, s[8:9]
	s_andn2_b64 s[4:5], s[4:5], exec
	s_and_b64 s[0:1], s[0:1], exec
	s_or_b64 s[4:5], s[4:5], s[0:1]
.LBB1041_162:
	s_or_b64 exec, exec, s[6:7]
	s_and_b64 exec, exec, s[4:5]
	s_cbranch_execz .LBB1041_165
; %bb.163:
	v_lshlrev_b32_e32 v1, 2, v8
	s_mov_b64 s[0:1], 0
	v_mov_b32_e32 v9, 0
.LBB1041_164:                           ; =>This Inner Loop Header: Depth=1
	v_lshlrev_b64 v[10:11], 2, v[8:9]
	ds_read_b32 v15, v1
	v_add_co_u32_e32 v10, vcc, v13, v10
	v_add_u32_e32 v8, 0x100, v8
	v_addc_co_u32_e32 v11, vcc, v14, v11, vcc
	v_cmp_ge_u32_e32 vcc, v8, v3
	v_add_u32_e32 v1, 0x400, v1
	s_or_b64 s[0:1], vcc, s[0:1]
	s_waitcnt lgkmcnt(0)
	global_store_dword v[10:11], v15, off
	s_andn2_b64 exec, exec, s[0:1]
	s_cbranch_execnz .LBB1041_164
.LBB1041_165:
	s_or_b64 exec, exec, s[2:3]
.LBB1041_166:
	s_movk_i32 s0, 0xff
	v_cmp_eq_u32_e32 vcc, s0, v0
	s_and_b64 s[0:1], vcc, s[48:49]
	s_and_saveexec_b64 s[2:3], s[0:1]
	s_cbranch_execz .LBB1041_169
; %bb.167:
	v_add_co_u32_e32 v0, vcc, v2, v4
	v_addc_co_u32_e64 v1, s[0:1], 0, 0, vcc
	v_add_co_u32_e32 v0, vcc, v0, v6
	v_mov_b32_e32 v3, 0
	v_addc_co_u32_e32 v1, vcc, v1, v7, vcc
	s_cmpk_lg_i32 s33, 0xf00
	global_store_dwordx2 v3, v[0:1], s[42:43]
	s_cbranch_scc1 .LBB1041_169
; %bb.168:
	v_lshlrev_b64 v[0:1], 2, v[2:3]
	v_add_co_u32_e32 v0, vcc, v5, v0
	v_addc_co_u32_e32 v1, vcc, v12, v1, vcc
	global_store_dword v[0:1], v81, off offset:-4
.LBB1041_169:
	s_endpgm
.LBB1041_170:
	s_or_b64 exec, exec, s[4:5]
	v_mov_b32_e32 v82, s10
	s_and_saveexec_b64 s[4:5], s[2:3]
	s_cbranch_execnz .LBB1041_84
	s_branch .LBB1041_85
.LBB1041_171:
	s_and_saveexec_b64 s[30:31], s[18:19]
	s_cbranch_execnz .LBB1041_222
; %bb.172:
	s_or_b64 exec, exec, s[30:31]
	s_and_saveexec_b64 s[18:19], s[24:25]
	s_cbranch_execnz .LBB1041_223
.LBB1041_173:
	s_or_b64 exec, exec, s[18:19]
	s_and_saveexec_b64 s[18:19], s[22:23]
	s_cbranch_execnz .LBB1041_224
.LBB1041_174:
	s_or_b64 exec, exec, s[18:19]
	s_and_saveexec_b64 s[18:19], s[20:21]
	s_cbranch_execnz .LBB1041_225
.LBB1041_175:
	s_or_b64 exec, exec, s[18:19]
	s_and_saveexec_b64 s[18:19], s[16:17]
	s_cbranch_execnz .LBB1041_226
.LBB1041_176:
	s_or_b64 exec, exec, s[18:19]
	s_and_saveexec_b64 s[16:17], s[14:15]
	s_cbranch_execnz .LBB1041_227
.LBB1041_177:
	s_or_b64 exec, exec, s[16:17]
	s_and_saveexec_b64 s[14:15], s[12:13]
	s_cbranch_execnz .LBB1041_228
.LBB1041_178:
	s_or_b64 exec, exec, s[14:15]
	s_and_saveexec_b64 s[12:13], s[10:11]
	s_cbranch_execnz .LBB1041_229
.LBB1041_179:
	s_or_b64 exec, exec, s[12:13]
	s_and_saveexec_b64 s[10:11], s[8:9]
	s_cbranch_execnz .LBB1041_230
.LBB1041_180:
	s_or_b64 exec, exec, s[10:11]
	s_and_saveexec_b64 s[8:9], s[6:7]
	s_cbranch_execnz .LBB1041_231
.LBB1041_181:
	s_or_b64 exec, exec, s[8:9]
	s_and_saveexec_b64 s[6:7], s[4:5]
	s_cbranch_execnz .LBB1041_232
.LBB1041_182:
	s_or_b64 exec, exec, s[6:7]
	s_and_saveexec_b64 s[4:5], s[2:3]
	s_cbranch_execnz .LBB1041_233
.LBB1041_183:
	s_or_b64 exec, exec, s[4:5]
	s_and_saveexec_b64 s[2:3], s[0:1]
	s_cbranch_execnz .LBB1041_234
.LBB1041_184:
	s_or_b64 exec, exec, s[2:3]
	v_cmp_ne_u32_e64 s[0:1], 0, v66
	s_and_saveexec_b64 s[2:3], vcc
	s_cbranch_execz .LBB1041_186
.LBB1041_185:
	v_sub_u32_e32 v3, v38, v4
	v_lshlrev_b32_e32 v3, 2, v3
	ds_write_b32 v3, v9
.LBB1041_186:
	s_or_b64 exec, exec, s[2:3]
	s_and_b64 s[30:31], s[0:1], exec
                                        ; implicit-def: $vgpr8
                                        ; implicit-def: $vgpr10
                                        ; implicit-def: $vgpr12
                                        ; implicit-def: $vgpr14
                                        ; implicit-def: $vgpr16
                                        ; implicit-def: $vgpr18
                                        ; implicit-def: $vgpr20
	s_andn2_saveexec_b64 s[0:1], s[26:27]
	s_cbranch_execz .LBB1041_134
.LBB1041_187:
	v_sub_u32_e32 v3, v64, v4
	v_lshlrev_b32_e32 v3, 2, v3
	ds_write_b32 v3, v20
	v_sub_u32_e32 v3, v62, v4
	v_lshlrev_b32_e32 v3, 2, v3
	ds_write_b32 v3, v21
	;; [unrolled: 3-line block ×13, first 2 shown]
	v_sub_u32_e32 v3, v38, v4
	v_lshlrev_b32_e32 v3, 2, v3
	s_or_b64 s[30:31], s[30:31], exec
	ds_write_b32 v3, v9
	s_or_b64 exec, exec, s[0:1]
	s_and_b64 exec, exec, s[30:31]
	s_cbranch_execnz .LBB1041_135
	s_branch .LBB1041_136
.LBB1041_188:
	s_and_saveexec_b64 s[36:37], s[28:29]
	s_cbranch_execnz .LBB1041_235
; %bb.189:
	s_or_b64 exec, exec, s[36:37]
	s_and_saveexec_b64 s[36:37], s[26:27]
	s_cbranch_execnz .LBB1041_236
.LBB1041_190:
	s_or_b64 exec, exec, s[36:37]
	s_and_saveexec_b64 s[36:37], s[24:25]
	s_cbranch_execnz .LBB1041_237
.LBB1041_191:
	s_or_b64 exec, exec, s[36:37]
	s_and_saveexec_b64 s[36:37], s[22:23]
	s_cbranch_execnz .LBB1041_238
.LBB1041_192:
	s_or_b64 exec, exec, s[36:37]
	s_and_saveexec_b64 s[36:37], s[20:21]
	s_cbranch_execnz .LBB1041_239
.LBB1041_193:
	s_or_b64 exec, exec, s[36:37]
	s_and_saveexec_b64 s[36:37], s[18:19]
	s_cbranch_execnz .LBB1041_240
.LBB1041_194:
	s_or_b64 exec, exec, s[36:37]
	s_and_saveexec_b64 s[36:37], s[16:17]
	s_cbranch_execnz .LBB1041_241
.LBB1041_195:
	s_or_b64 exec, exec, s[36:37]
	s_and_saveexec_b64 s[36:37], s[14:15]
	s_cbranch_execnz .LBB1041_242
.LBB1041_196:
	s_or_b64 exec, exec, s[36:37]
	s_and_saveexec_b64 s[36:37], s[12:13]
	s_cbranch_execnz .LBB1041_243
.LBB1041_197:
	s_or_b64 exec, exec, s[36:37]
	s_and_saveexec_b64 s[36:37], s[10:11]
	s_cbranch_execnz .LBB1041_244
.LBB1041_198:
	s_or_b64 exec, exec, s[36:37]
	s_and_saveexec_b64 s[36:37], s[8:9]
	s_cbranch_execnz .LBB1041_245
.LBB1041_199:
	s_or_b64 exec, exec, s[36:37]
	s_and_saveexec_b64 s[36:37], s[6:7]
	s_cbranch_execnz .LBB1041_246
.LBB1041_200:
	s_or_b64 exec, exec, s[36:37]
	s_and_saveexec_b64 s[36:37], s[4:5]
	s_cbranch_execnz .LBB1041_247
.LBB1041_201:
	s_or_b64 exec, exec, s[36:37]
	s_and_saveexec_b64 s[36:37], s[2:3]
	s_cbranch_execz .LBB1041_203
.LBB1041_202:
	v_sub_u32_e32 v16, v38, v9
	v_mov_b32_e32 v17, 0
	v_lshlrev_b64 v[16:17], 2, v[16:17]
	v_add_co_u32_e32 v16, vcc, v13, v16
	v_addc_co_u32_e32 v17, vcc, v14, v17, vcc
	global_store_dword v[16:17], v39, off
.LBB1041_203:
	s_or_b64 exec, exec, s[36:37]
	s_and_b64 s[36:37], s[0:1], exec
	s_andn2_saveexec_b64 s[30:31], s[30:31]
	s_cbranch_execz .LBB1041_141
.LBB1041_204:
	v_sub_u32_e32 v16, v64, v9
	v_mov_b32_e32 v17, 0
	v_lshlrev_b64 v[18:19], 2, v[16:17]
	v_add_co_u32_e32 v18, vcc, v13, v18
	v_addc_co_u32_e32 v19, vcc, v14, v19, vcc
	v_sub_u32_e32 v16, v62, v9
	global_store_dword v[18:19], v65, off
	v_lshlrev_b64 v[18:19], 2, v[16:17]
	v_add_co_u32_e32 v18, vcc, v13, v18
	v_addc_co_u32_e32 v19, vcc, v14, v19, vcc
	v_sub_u32_e32 v16, v60, v9
	global_store_dword v[18:19], v63, off
	;; [unrolled: 5-line block ×12, first 2 shown]
	v_lshlrev_b64 v[18:19], 2, v[16:17]
	v_add_co_u32_e32 v18, vcc, v13, v18
	v_sub_u32_e32 v16, v38, v9
	v_addc_co_u32_e32 v19, vcc, v14, v19, vcc
	v_lshlrev_b64 v[16:17], 2, v[16:17]
	v_add_co_u32_e32 v16, vcc, v13, v16
	v_addc_co_u32_e32 v17, vcc, v14, v17, vcc
	s_or_b64 s[36:37], s[36:37], exec
	global_store_dword v[18:19], v41, off
	global_store_dword v[16:17], v39, off
	s_or_b64 exec, exec, s[30:31]
	s_and_b64 exec, exec, s[36:37]
	s_cbranch_execnz .LBB1041_142
	s_branch .LBB1041_143
.LBB1041_205:
	s_and_saveexec_b64 s[36:37], s[28:29]
	s_cbranch_execnz .LBB1041_248
; %bb.206:
	s_or_b64 exec, exec, s[36:37]
	s_and_saveexec_b64 s[28:29], s[26:27]
	s_cbranch_execnz .LBB1041_249
.LBB1041_207:
	s_or_b64 exec, exec, s[28:29]
	s_and_saveexec_b64 s[26:27], s[24:25]
	s_cbranch_execnz .LBB1041_250
.LBB1041_208:
	s_or_b64 exec, exec, s[26:27]
	s_and_saveexec_b64 s[24:25], s[22:23]
	s_cbranch_execnz .LBB1041_251
.LBB1041_209:
	s_or_b64 exec, exec, s[24:25]
	s_and_saveexec_b64 s[22:23], s[20:21]
	s_cbranch_execnz .LBB1041_252
.LBB1041_210:
	s_or_b64 exec, exec, s[22:23]
	s_and_saveexec_b64 s[20:21], s[18:19]
	s_cbranch_execnz .LBB1041_253
.LBB1041_211:
	s_or_b64 exec, exec, s[20:21]
	s_and_saveexec_b64 s[18:19], s[16:17]
	s_cbranch_execnz .LBB1041_254
.LBB1041_212:
	s_or_b64 exec, exec, s[18:19]
	s_and_saveexec_b64 s[16:17], s[14:15]
	s_cbranch_execnz .LBB1041_255
.LBB1041_213:
	s_or_b64 exec, exec, s[16:17]
	s_and_saveexec_b64 s[14:15], s[12:13]
	s_cbranch_execnz .LBB1041_256
.LBB1041_214:
	s_or_b64 exec, exec, s[14:15]
	s_and_saveexec_b64 s[12:13], s[10:11]
	s_cbranch_execnz .LBB1041_257
.LBB1041_215:
	s_or_b64 exec, exec, s[12:13]
	s_and_saveexec_b64 s[10:11], s[8:9]
	s_cbranch_execnz .LBB1041_258
.LBB1041_216:
	s_or_b64 exec, exec, s[10:11]
	s_and_saveexec_b64 s[8:9], s[6:7]
	s_cbranch_execnz .LBB1041_259
.LBB1041_217:
	s_or_b64 exec, exec, s[8:9]
	s_and_saveexec_b64 s[6:7], s[4:5]
	s_cbranch_execnz .LBB1041_260
.LBB1041_218:
	s_or_b64 exec, exec, s[6:7]
	s_and_saveexec_b64 s[4:5], s[2:3]
	s_cbranch_execz .LBB1041_220
.LBB1041_219:
	v_sub_u32_e32 v10, v38, v9
	v_lshlrev_b32_e32 v10, 2, v10
	ds_write_b32 v10, v39
.LBB1041_220:
	s_or_b64 exec, exec, s[4:5]
	s_and_b64 s[36:37], s[0:1], exec
                                        ; implicit-def: $vgpr64_vgpr65
                                        ; implicit-def: $vgpr62_vgpr63
                                        ; implicit-def: $vgpr60_vgpr61
                                        ; implicit-def: $vgpr58_vgpr59
                                        ; implicit-def: $vgpr56_vgpr57
                                        ; implicit-def: $vgpr54_vgpr55
                                        ; implicit-def: $vgpr52_vgpr53
                                        ; implicit-def: $vgpr50_vgpr51
                                        ; implicit-def: $vgpr48_vgpr49
                                        ; implicit-def: $vgpr46_vgpr47
                                        ; implicit-def: $vgpr44_vgpr45
                                        ; implicit-def: $vgpr42_vgpr43
                                        ; implicit-def: $vgpr40_vgpr41
                                        ; implicit-def: $vgpr38_vgpr39
	s_andn2_saveexec_b64 s[0:1], s[34:35]
	s_cbranch_execz .LBB1041_148
.LBB1041_221:
	v_sub_u32_e32 v10, v64, v9
	v_lshlrev_b32_e32 v10, 2, v10
	ds_write_b32 v10, v65
	v_sub_u32_e32 v10, v62, v9
	v_lshlrev_b32_e32 v10, 2, v10
	ds_write_b32 v10, v63
	;; [unrolled: 3-line block ×13, first 2 shown]
	v_sub_u32_e32 v10, v38, v9
	v_lshlrev_b32_e32 v10, 2, v10
	s_or_b64 s[36:37], s[36:37], exec
	ds_write_b32 v10, v39
	s_or_b64 exec, exec, s[0:1]
	s_and_b64 exec, exec, s[36:37]
	s_cbranch_execnz .LBB1041_149
	s_branch .LBB1041_150
.LBB1041_222:
	v_sub_u32_e32 v3, v64, v4
	v_lshlrev_b32_e32 v3, 2, v3
	ds_write_b32 v3, v20
	s_or_b64 exec, exec, s[30:31]
	s_and_saveexec_b64 s[18:19], s[24:25]
	s_cbranch_execz .LBB1041_173
.LBB1041_223:
	v_sub_u32_e32 v3, v62, v4
	v_lshlrev_b32_e32 v3, 2, v3
	ds_write_b32 v3, v21
	s_or_b64 exec, exec, s[18:19]
	s_and_saveexec_b64 s[18:19], s[22:23]
	s_cbranch_execz .LBB1041_174
.LBB1041_224:
	v_sub_u32_e32 v3, v60, v4
	v_lshlrev_b32_e32 v3, 2, v3
	ds_write_b32 v3, v18
	s_or_b64 exec, exec, s[18:19]
	s_and_saveexec_b64 s[18:19], s[20:21]
	s_cbranch_execz .LBB1041_175
.LBB1041_225:
	v_sub_u32_e32 v3, v58, v4
	v_lshlrev_b32_e32 v3, 2, v3
	ds_write_b32 v3, v19
	s_or_b64 exec, exec, s[18:19]
	s_and_saveexec_b64 s[18:19], s[16:17]
	s_cbranch_execz .LBB1041_176
.LBB1041_226:
	v_sub_u32_e32 v3, v56, v4
	v_lshlrev_b32_e32 v3, 2, v3
	ds_write_b32 v3, v16
	s_or_b64 exec, exec, s[18:19]
	s_and_saveexec_b64 s[16:17], s[14:15]
	s_cbranch_execz .LBB1041_177
.LBB1041_227:
	v_sub_u32_e32 v3, v54, v4
	v_lshlrev_b32_e32 v3, 2, v3
	ds_write_b32 v3, v17
	s_or_b64 exec, exec, s[16:17]
	s_and_saveexec_b64 s[14:15], s[12:13]
	s_cbranch_execz .LBB1041_178
.LBB1041_228:
	v_sub_u32_e32 v3, v52, v4
	v_lshlrev_b32_e32 v3, 2, v3
	ds_write_b32 v3, v14
	s_or_b64 exec, exec, s[14:15]
	s_and_saveexec_b64 s[12:13], s[10:11]
	s_cbranch_execz .LBB1041_179
.LBB1041_229:
	v_sub_u32_e32 v3, v50, v4
	v_lshlrev_b32_e32 v3, 2, v3
	ds_write_b32 v3, v15
	s_or_b64 exec, exec, s[12:13]
	s_and_saveexec_b64 s[10:11], s[8:9]
	s_cbranch_execz .LBB1041_180
.LBB1041_230:
	v_sub_u32_e32 v3, v48, v4
	v_lshlrev_b32_e32 v3, 2, v3
	ds_write_b32 v3, v12
	s_or_b64 exec, exec, s[10:11]
	s_and_saveexec_b64 s[8:9], s[6:7]
	s_cbranch_execz .LBB1041_181
.LBB1041_231:
	v_sub_u32_e32 v3, v46, v4
	v_lshlrev_b32_e32 v3, 2, v3
	ds_write_b32 v3, v13
	s_or_b64 exec, exec, s[8:9]
	s_and_saveexec_b64 s[6:7], s[4:5]
	s_cbranch_execz .LBB1041_182
.LBB1041_232:
	v_sub_u32_e32 v3, v44, v4
	v_lshlrev_b32_e32 v3, 2, v3
	ds_write_b32 v3, v10
	s_or_b64 exec, exec, s[6:7]
	s_and_saveexec_b64 s[4:5], s[2:3]
	s_cbranch_execz .LBB1041_183
.LBB1041_233:
	v_sub_u32_e32 v3, v42, v4
	v_lshlrev_b32_e32 v3, 2, v3
	ds_write_b32 v3, v11
	s_or_b64 exec, exec, s[4:5]
	s_and_saveexec_b64 s[2:3], s[0:1]
	s_cbranch_execz .LBB1041_184
.LBB1041_234:
	v_sub_u32_e32 v3, v40, v4
	v_lshlrev_b32_e32 v3, 2, v3
	ds_write_b32 v3, v8
	s_or_b64 exec, exec, s[2:3]
	v_cmp_ne_u32_e64 s[0:1], 0, v66
	s_and_saveexec_b64 s[2:3], vcc
	s_cbranch_execnz .LBB1041_185
	s_branch .LBB1041_186
.LBB1041_235:
	v_sub_u32_e32 v16, v64, v9
	v_mov_b32_e32 v17, 0
	v_lshlrev_b64 v[16:17], 2, v[16:17]
	v_add_co_u32_e32 v16, vcc, v13, v16
	v_addc_co_u32_e32 v17, vcc, v14, v17, vcc
	global_store_dword v[16:17], v65, off
	s_or_b64 exec, exec, s[36:37]
	s_and_saveexec_b64 s[36:37], s[26:27]
	s_cbranch_execz .LBB1041_190
.LBB1041_236:
	v_sub_u32_e32 v16, v62, v9
	v_mov_b32_e32 v17, 0
	v_lshlrev_b64 v[16:17], 2, v[16:17]
	v_add_co_u32_e32 v16, vcc, v13, v16
	v_addc_co_u32_e32 v17, vcc, v14, v17, vcc
	global_store_dword v[16:17], v63, off
	s_or_b64 exec, exec, s[36:37]
	s_and_saveexec_b64 s[36:37], s[24:25]
	s_cbranch_execz .LBB1041_191
.LBB1041_237:
	v_sub_u32_e32 v16, v60, v9
	v_mov_b32_e32 v17, 0
	v_lshlrev_b64 v[16:17], 2, v[16:17]
	v_add_co_u32_e32 v16, vcc, v13, v16
	v_addc_co_u32_e32 v17, vcc, v14, v17, vcc
	global_store_dword v[16:17], v61, off
	s_or_b64 exec, exec, s[36:37]
	s_and_saveexec_b64 s[36:37], s[22:23]
	s_cbranch_execz .LBB1041_192
.LBB1041_238:
	v_sub_u32_e32 v16, v58, v9
	v_mov_b32_e32 v17, 0
	v_lshlrev_b64 v[16:17], 2, v[16:17]
	v_add_co_u32_e32 v16, vcc, v13, v16
	v_addc_co_u32_e32 v17, vcc, v14, v17, vcc
	global_store_dword v[16:17], v59, off
	s_or_b64 exec, exec, s[36:37]
	s_and_saveexec_b64 s[36:37], s[20:21]
	s_cbranch_execz .LBB1041_193
.LBB1041_239:
	v_sub_u32_e32 v16, v56, v9
	v_mov_b32_e32 v17, 0
	v_lshlrev_b64 v[16:17], 2, v[16:17]
	v_add_co_u32_e32 v16, vcc, v13, v16
	v_addc_co_u32_e32 v17, vcc, v14, v17, vcc
	global_store_dword v[16:17], v57, off
	s_or_b64 exec, exec, s[36:37]
	s_and_saveexec_b64 s[36:37], s[18:19]
	s_cbranch_execz .LBB1041_194
.LBB1041_240:
	v_sub_u32_e32 v16, v54, v9
	v_mov_b32_e32 v17, 0
	v_lshlrev_b64 v[16:17], 2, v[16:17]
	v_add_co_u32_e32 v16, vcc, v13, v16
	v_addc_co_u32_e32 v17, vcc, v14, v17, vcc
	global_store_dword v[16:17], v55, off
	s_or_b64 exec, exec, s[36:37]
	s_and_saveexec_b64 s[36:37], s[16:17]
	s_cbranch_execz .LBB1041_195
.LBB1041_241:
	v_sub_u32_e32 v16, v52, v9
	v_mov_b32_e32 v17, 0
	v_lshlrev_b64 v[16:17], 2, v[16:17]
	v_add_co_u32_e32 v16, vcc, v13, v16
	v_addc_co_u32_e32 v17, vcc, v14, v17, vcc
	global_store_dword v[16:17], v53, off
	s_or_b64 exec, exec, s[36:37]
	s_and_saveexec_b64 s[36:37], s[14:15]
	s_cbranch_execz .LBB1041_196
.LBB1041_242:
	v_sub_u32_e32 v16, v50, v9
	v_mov_b32_e32 v17, 0
	v_lshlrev_b64 v[16:17], 2, v[16:17]
	v_add_co_u32_e32 v16, vcc, v13, v16
	v_addc_co_u32_e32 v17, vcc, v14, v17, vcc
	global_store_dword v[16:17], v51, off
	s_or_b64 exec, exec, s[36:37]
	s_and_saveexec_b64 s[36:37], s[12:13]
	s_cbranch_execz .LBB1041_197
.LBB1041_243:
	v_sub_u32_e32 v16, v48, v9
	v_mov_b32_e32 v17, 0
	v_lshlrev_b64 v[16:17], 2, v[16:17]
	v_add_co_u32_e32 v16, vcc, v13, v16
	v_addc_co_u32_e32 v17, vcc, v14, v17, vcc
	global_store_dword v[16:17], v49, off
	s_or_b64 exec, exec, s[36:37]
	s_and_saveexec_b64 s[36:37], s[10:11]
	s_cbranch_execz .LBB1041_198
.LBB1041_244:
	v_sub_u32_e32 v16, v46, v9
	v_mov_b32_e32 v17, 0
	v_lshlrev_b64 v[16:17], 2, v[16:17]
	v_add_co_u32_e32 v16, vcc, v13, v16
	v_addc_co_u32_e32 v17, vcc, v14, v17, vcc
	global_store_dword v[16:17], v47, off
	s_or_b64 exec, exec, s[36:37]
	s_and_saveexec_b64 s[36:37], s[8:9]
	s_cbranch_execz .LBB1041_199
.LBB1041_245:
	v_sub_u32_e32 v16, v44, v9
	v_mov_b32_e32 v17, 0
	v_lshlrev_b64 v[16:17], 2, v[16:17]
	v_add_co_u32_e32 v16, vcc, v13, v16
	v_addc_co_u32_e32 v17, vcc, v14, v17, vcc
	global_store_dword v[16:17], v45, off
	s_or_b64 exec, exec, s[36:37]
	s_and_saveexec_b64 s[36:37], s[6:7]
	s_cbranch_execz .LBB1041_200
.LBB1041_246:
	v_sub_u32_e32 v16, v42, v9
	v_mov_b32_e32 v17, 0
	v_lshlrev_b64 v[16:17], 2, v[16:17]
	v_add_co_u32_e32 v16, vcc, v13, v16
	v_addc_co_u32_e32 v17, vcc, v14, v17, vcc
	global_store_dword v[16:17], v43, off
	s_or_b64 exec, exec, s[36:37]
	s_and_saveexec_b64 s[36:37], s[4:5]
	s_cbranch_execz .LBB1041_201
.LBB1041_247:
	v_sub_u32_e32 v16, v40, v9
	v_mov_b32_e32 v17, 0
	v_lshlrev_b64 v[16:17], 2, v[16:17]
	v_add_co_u32_e32 v16, vcc, v13, v16
	v_addc_co_u32_e32 v17, vcc, v14, v17, vcc
	global_store_dword v[16:17], v41, off
	s_or_b64 exec, exec, s[36:37]
	s_and_saveexec_b64 s[36:37], s[2:3]
	s_cbranch_execnz .LBB1041_202
	s_branch .LBB1041_203
.LBB1041_248:
	v_sub_u32_e32 v10, v64, v9
	v_lshlrev_b32_e32 v10, 2, v10
	ds_write_b32 v10, v65
	s_or_b64 exec, exec, s[36:37]
	s_and_saveexec_b64 s[28:29], s[26:27]
	s_cbranch_execz .LBB1041_207
.LBB1041_249:
	v_sub_u32_e32 v10, v62, v9
	v_lshlrev_b32_e32 v10, 2, v10
	ds_write_b32 v10, v63
	s_or_b64 exec, exec, s[28:29]
	s_and_saveexec_b64 s[26:27], s[24:25]
	s_cbranch_execz .LBB1041_208
.LBB1041_250:
	v_sub_u32_e32 v10, v60, v9
	v_lshlrev_b32_e32 v10, 2, v10
	ds_write_b32 v10, v61
	s_or_b64 exec, exec, s[26:27]
	s_and_saveexec_b64 s[24:25], s[22:23]
	s_cbranch_execz .LBB1041_209
.LBB1041_251:
	v_sub_u32_e32 v10, v58, v9
	v_lshlrev_b32_e32 v10, 2, v10
	ds_write_b32 v10, v59
	s_or_b64 exec, exec, s[24:25]
	s_and_saveexec_b64 s[22:23], s[20:21]
	s_cbranch_execz .LBB1041_210
.LBB1041_252:
	v_sub_u32_e32 v10, v56, v9
	v_lshlrev_b32_e32 v10, 2, v10
	ds_write_b32 v10, v57
	s_or_b64 exec, exec, s[22:23]
	s_and_saveexec_b64 s[20:21], s[18:19]
	s_cbranch_execz .LBB1041_211
.LBB1041_253:
	v_sub_u32_e32 v10, v54, v9
	v_lshlrev_b32_e32 v10, 2, v10
	ds_write_b32 v10, v55
	s_or_b64 exec, exec, s[20:21]
	s_and_saveexec_b64 s[18:19], s[16:17]
	s_cbranch_execz .LBB1041_212
.LBB1041_254:
	v_sub_u32_e32 v10, v52, v9
	v_lshlrev_b32_e32 v10, 2, v10
	ds_write_b32 v10, v53
	s_or_b64 exec, exec, s[18:19]
	s_and_saveexec_b64 s[16:17], s[14:15]
	s_cbranch_execz .LBB1041_213
.LBB1041_255:
	v_sub_u32_e32 v10, v50, v9
	v_lshlrev_b32_e32 v10, 2, v10
	ds_write_b32 v10, v51
	s_or_b64 exec, exec, s[16:17]
	s_and_saveexec_b64 s[14:15], s[12:13]
	s_cbranch_execz .LBB1041_214
.LBB1041_256:
	v_sub_u32_e32 v10, v48, v9
	v_lshlrev_b32_e32 v10, 2, v10
	ds_write_b32 v10, v49
	s_or_b64 exec, exec, s[14:15]
	s_and_saveexec_b64 s[12:13], s[10:11]
	s_cbranch_execz .LBB1041_215
.LBB1041_257:
	v_sub_u32_e32 v10, v46, v9
	v_lshlrev_b32_e32 v10, 2, v10
	ds_write_b32 v10, v47
	s_or_b64 exec, exec, s[12:13]
	s_and_saveexec_b64 s[10:11], s[8:9]
	s_cbranch_execz .LBB1041_216
.LBB1041_258:
	v_sub_u32_e32 v10, v44, v9
	v_lshlrev_b32_e32 v10, 2, v10
	ds_write_b32 v10, v45
	s_or_b64 exec, exec, s[10:11]
	s_and_saveexec_b64 s[8:9], s[6:7]
	s_cbranch_execz .LBB1041_217
.LBB1041_259:
	v_sub_u32_e32 v10, v42, v9
	v_lshlrev_b32_e32 v10, 2, v10
	ds_write_b32 v10, v43
	s_or_b64 exec, exec, s[8:9]
	s_and_saveexec_b64 s[6:7], s[4:5]
	s_cbranch_execz .LBB1041_218
.LBB1041_260:
	v_sub_u32_e32 v10, v40, v9
	v_lshlrev_b32_e32 v10, 2, v10
	ds_write_b32 v10, v41
	s_or_b64 exec, exec, s[6:7]
	s_and_saveexec_b64 s[4:5], s[2:3]
	s_cbranch_execnz .LBB1041_219
	s_branch .LBB1041_220
	.section	.rodata,"a",@progbits
	.p2align	6, 0x0
	.amdhsa_kernel _ZN7rocprim17ROCPRIM_400000_NS6detail17trampoline_kernelINS0_14default_configENS1_29reduce_by_key_config_selectorIjiN6thrust23THRUST_200600_302600_NS4plusIiEEEEZZNS1_33reduce_by_key_impl_wrapped_configILNS1_25lookback_scan_determinismE0ES3_S9_NS6_6detail15normal_iteratorINS6_10device_ptrIjEEEENSD_INSE_IiEEEENS6_16discard_iteratorINS6_11use_defaultEEESI_PmS8_NS6_8equal_toIjEEEE10hipError_tPvRmT2_T3_mT4_T5_T6_T7_T8_P12ihipStream_tbENKUlT_T0_E_clISt17integral_constantIbLb1EES15_IbLb0EEEEDaS11_S12_EUlS11_E_NS1_11comp_targetILNS1_3genE4ELNS1_11target_archE910ELNS1_3gpuE8ELNS1_3repE0EEENS1_30default_config_static_selectorELNS0_4arch9wavefront6targetE1EEEvT1_
		.amdhsa_group_segment_fixed_size 15360
		.amdhsa_private_segment_fixed_size 0
		.amdhsa_kernarg_size 128
		.amdhsa_user_sgpr_count 6
		.amdhsa_user_sgpr_private_segment_buffer 1
		.amdhsa_user_sgpr_dispatch_ptr 0
		.amdhsa_user_sgpr_queue_ptr 0
		.amdhsa_user_sgpr_kernarg_segment_ptr 1
		.amdhsa_user_sgpr_dispatch_id 0
		.amdhsa_user_sgpr_flat_scratch_init 0
		.amdhsa_user_sgpr_kernarg_preload_length 0
		.amdhsa_user_sgpr_kernarg_preload_offset 0
		.amdhsa_user_sgpr_private_segment_size 0
		.amdhsa_uses_dynamic_stack 0
		.amdhsa_system_sgpr_private_segment_wavefront_offset 0
		.amdhsa_system_sgpr_workgroup_id_x 1
		.amdhsa_system_sgpr_workgroup_id_y 0
		.amdhsa_system_sgpr_workgroup_id_z 0
		.amdhsa_system_sgpr_workgroup_info 0
		.amdhsa_system_vgpr_workitem_id 0
		.amdhsa_next_free_vgpr 87
		.amdhsa_next_free_sgpr 62
		.amdhsa_accum_offset 88
		.amdhsa_reserve_vcc 1
		.amdhsa_reserve_flat_scratch 0
		.amdhsa_float_round_mode_32 0
		.amdhsa_float_round_mode_16_64 0
		.amdhsa_float_denorm_mode_32 3
		.amdhsa_float_denorm_mode_16_64 3
		.amdhsa_dx10_clamp 1
		.amdhsa_ieee_mode 1
		.amdhsa_fp16_overflow 0
		.amdhsa_tg_split 0
		.amdhsa_exception_fp_ieee_invalid_op 0
		.amdhsa_exception_fp_denorm_src 0
		.amdhsa_exception_fp_ieee_div_zero 0
		.amdhsa_exception_fp_ieee_overflow 0
		.amdhsa_exception_fp_ieee_underflow 0
		.amdhsa_exception_fp_ieee_inexact 0
		.amdhsa_exception_int_div_zero 0
	.end_amdhsa_kernel
	.section	.text._ZN7rocprim17ROCPRIM_400000_NS6detail17trampoline_kernelINS0_14default_configENS1_29reduce_by_key_config_selectorIjiN6thrust23THRUST_200600_302600_NS4plusIiEEEEZZNS1_33reduce_by_key_impl_wrapped_configILNS1_25lookback_scan_determinismE0ES3_S9_NS6_6detail15normal_iteratorINS6_10device_ptrIjEEEENSD_INSE_IiEEEENS6_16discard_iteratorINS6_11use_defaultEEESI_PmS8_NS6_8equal_toIjEEEE10hipError_tPvRmT2_T3_mT4_T5_T6_T7_T8_P12ihipStream_tbENKUlT_T0_E_clISt17integral_constantIbLb1EES15_IbLb0EEEEDaS11_S12_EUlS11_E_NS1_11comp_targetILNS1_3genE4ELNS1_11target_archE910ELNS1_3gpuE8ELNS1_3repE0EEENS1_30default_config_static_selectorELNS0_4arch9wavefront6targetE1EEEvT1_,"axG",@progbits,_ZN7rocprim17ROCPRIM_400000_NS6detail17trampoline_kernelINS0_14default_configENS1_29reduce_by_key_config_selectorIjiN6thrust23THRUST_200600_302600_NS4plusIiEEEEZZNS1_33reduce_by_key_impl_wrapped_configILNS1_25lookback_scan_determinismE0ES3_S9_NS6_6detail15normal_iteratorINS6_10device_ptrIjEEEENSD_INSE_IiEEEENS6_16discard_iteratorINS6_11use_defaultEEESI_PmS8_NS6_8equal_toIjEEEE10hipError_tPvRmT2_T3_mT4_T5_T6_T7_T8_P12ihipStream_tbENKUlT_T0_E_clISt17integral_constantIbLb1EES15_IbLb0EEEEDaS11_S12_EUlS11_E_NS1_11comp_targetILNS1_3genE4ELNS1_11target_archE910ELNS1_3gpuE8ELNS1_3repE0EEENS1_30default_config_static_selectorELNS0_4arch9wavefront6targetE1EEEvT1_,comdat
.Lfunc_end1041:
	.size	_ZN7rocprim17ROCPRIM_400000_NS6detail17trampoline_kernelINS0_14default_configENS1_29reduce_by_key_config_selectorIjiN6thrust23THRUST_200600_302600_NS4plusIiEEEEZZNS1_33reduce_by_key_impl_wrapped_configILNS1_25lookback_scan_determinismE0ES3_S9_NS6_6detail15normal_iteratorINS6_10device_ptrIjEEEENSD_INSE_IiEEEENS6_16discard_iteratorINS6_11use_defaultEEESI_PmS8_NS6_8equal_toIjEEEE10hipError_tPvRmT2_T3_mT4_T5_T6_T7_T8_P12ihipStream_tbENKUlT_T0_E_clISt17integral_constantIbLb1EES15_IbLb0EEEEDaS11_S12_EUlS11_E_NS1_11comp_targetILNS1_3genE4ELNS1_11target_archE910ELNS1_3gpuE8ELNS1_3repE0EEENS1_30default_config_static_selectorELNS0_4arch9wavefront6targetE1EEEvT1_, .Lfunc_end1041-_ZN7rocprim17ROCPRIM_400000_NS6detail17trampoline_kernelINS0_14default_configENS1_29reduce_by_key_config_selectorIjiN6thrust23THRUST_200600_302600_NS4plusIiEEEEZZNS1_33reduce_by_key_impl_wrapped_configILNS1_25lookback_scan_determinismE0ES3_S9_NS6_6detail15normal_iteratorINS6_10device_ptrIjEEEENSD_INSE_IiEEEENS6_16discard_iteratorINS6_11use_defaultEEESI_PmS8_NS6_8equal_toIjEEEE10hipError_tPvRmT2_T3_mT4_T5_T6_T7_T8_P12ihipStream_tbENKUlT_T0_E_clISt17integral_constantIbLb1EES15_IbLb0EEEEDaS11_S12_EUlS11_E_NS1_11comp_targetILNS1_3genE4ELNS1_11target_archE910ELNS1_3gpuE8ELNS1_3repE0EEENS1_30default_config_static_selectorELNS0_4arch9wavefront6targetE1EEEvT1_
                                        ; -- End function
	.section	.AMDGPU.csdata,"",@progbits
; Kernel info:
; codeLenInByte = 14800
; NumSgprs: 66
; NumVgprs: 87
; NumAgprs: 0
; TotalNumVgprs: 87
; ScratchSize: 0
; MemoryBound: 0
; FloatMode: 240
; IeeeMode: 1
; LDSByteSize: 15360 bytes/workgroup (compile time only)
; SGPRBlocks: 8
; VGPRBlocks: 10
; NumSGPRsForWavesPerEU: 66
; NumVGPRsForWavesPerEU: 87
; AccumOffset: 88
; Occupancy: 4
; WaveLimiterHint : 1
; COMPUTE_PGM_RSRC2:SCRATCH_EN: 0
; COMPUTE_PGM_RSRC2:USER_SGPR: 6
; COMPUTE_PGM_RSRC2:TRAP_HANDLER: 0
; COMPUTE_PGM_RSRC2:TGID_X_EN: 1
; COMPUTE_PGM_RSRC2:TGID_Y_EN: 0
; COMPUTE_PGM_RSRC2:TGID_Z_EN: 0
; COMPUTE_PGM_RSRC2:TIDIG_COMP_CNT: 0
; COMPUTE_PGM_RSRC3_GFX90A:ACCUM_OFFSET: 21
; COMPUTE_PGM_RSRC3_GFX90A:TG_SPLIT: 0
	.section	.text._ZN7rocprim17ROCPRIM_400000_NS6detail17trampoline_kernelINS0_14default_configENS1_29reduce_by_key_config_selectorIjiN6thrust23THRUST_200600_302600_NS4plusIiEEEEZZNS1_33reduce_by_key_impl_wrapped_configILNS1_25lookback_scan_determinismE0ES3_S9_NS6_6detail15normal_iteratorINS6_10device_ptrIjEEEENSD_INSE_IiEEEENS6_16discard_iteratorINS6_11use_defaultEEESI_PmS8_NS6_8equal_toIjEEEE10hipError_tPvRmT2_T3_mT4_T5_T6_T7_T8_P12ihipStream_tbENKUlT_T0_E_clISt17integral_constantIbLb1EES15_IbLb0EEEEDaS11_S12_EUlS11_E_NS1_11comp_targetILNS1_3genE3ELNS1_11target_archE908ELNS1_3gpuE7ELNS1_3repE0EEENS1_30default_config_static_selectorELNS0_4arch9wavefront6targetE1EEEvT1_,"axG",@progbits,_ZN7rocprim17ROCPRIM_400000_NS6detail17trampoline_kernelINS0_14default_configENS1_29reduce_by_key_config_selectorIjiN6thrust23THRUST_200600_302600_NS4plusIiEEEEZZNS1_33reduce_by_key_impl_wrapped_configILNS1_25lookback_scan_determinismE0ES3_S9_NS6_6detail15normal_iteratorINS6_10device_ptrIjEEEENSD_INSE_IiEEEENS6_16discard_iteratorINS6_11use_defaultEEESI_PmS8_NS6_8equal_toIjEEEE10hipError_tPvRmT2_T3_mT4_T5_T6_T7_T8_P12ihipStream_tbENKUlT_T0_E_clISt17integral_constantIbLb1EES15_IbLb0EEEEDaS11_S12_EUlS11_E_NS1_11comp_targetILNS1_3genE3ELNS1_11target_archE908ELNS1_3gpuE7ELNS1_3repE0EEENS1_30default_config_static_selectorELNS0_4arch9wavefront6targetE1EEEvT1_,comdat
	.protected	_ZN7rocprim17ROCPRIM_400000_NS6detail17trampoline_kernelINS0_14default_configENS1_29reduce_by_key_config_selectorIjiN6thrust23THRUST_200600_302600_NS4plusIiEEEEZZNS1_33reduce_by_key_impl_wrapped_configILNS1_25lookback_scan_determinismE0ES3_S9_NS6_6detail15normal_iteratorINS6_10device_ptrIjEEEENSD_INSE_IiEEEENS6_16discard_iteratorINS6_11use_defaultEEESI_PmS8_NS6_8equal_toIjEEEE10hipError_tPvRmT2_T3_mT4_T5_T6_T7_T8_P12ihipStream_tbENKUlT_T0_E_clISt17integral_constantIbLb1EES15_IbLb0EEEEDaS11_S12_EUlS11_E_NS1_11comp_targetILNS1_3genE3ELNS1_11target_archE908ELNS1_3gpuE7ELNS1_3repE0EEENS1_30default_config_static_selectorELNS0_4arch9wavefront6targetE1EEEvT1_ ; -- Begin function _ZN7rocprim17ROCPRIM_400000_NS6detail17trampoline_kernelINS0_14default_configENS1_29reduce_by_key_config_selectorIjiN6thrust23THRUST_200600_302600_NS4plusIiEEEEZZNS1_33reduce_by_key_impl_wrapped_configILNS1_25lookback_scan_determinismE0ES3_S9_NS6_6detail15normal_iteratorINS6_10device_ptrIjEEEENSD_INSE_IiEEEENS6_16discard_iteratorINS6_11use_defaultEEESI_PmS8_NS6_8equal_toIjEEEE10hipError_tPvRmT2_T3_mT4_T5_T6_T7_T8_P12ihipStream_tbENKUlT_T0_E_clISt17integral_constantIbLb1EES15_IbLb0EEEEDaS11_S12_EUlS11_E_NS1_11comp_targetILNS1_3genE3ELNS1_11target_archE908ELNS1_3gpuE7ELNS1_3repE0EEENS1_30default_config_static_selectorELNS0_4arch9wavefront6targetE1EEEvT1_
	.globl	_ZN7rocprim17ROCPRIM_400000_NS6detail17trampoline_kernelINS0_14default_configENS1_29reduce_by_key_config_selectorIjiN6thrust23THRUST_200600_302600_NS4plusIiEEEEZZNS1_33reduce_by_key_impl_wrapped_configILNS1_25lookback_scan_determinismE0ES3_S9_NS6_6detail15normal_iteratorINS6_10device_ptrIjEEEENSD_INSE_IiEEEENS6_16discard_iteratorINS6_11use_defaultEEESI_PmS8_NS6_8equal_toIjEEEE10hipError_tPvRmT2_T3_mT4_T5_T6_T7_T8_P12ihipStream_tbENKUlT_T0_E_clISt17integral_constantIbLb1EES15_IbLb0EEEEDaS11_S12_EUlS11_E_NS1_11comp_targetILNS1_3genE3ELNS1_11target_archE908ELNS1_3gpuE7ELNS1_3repE0EEENS1_30default_config_static_selectorELNS0_4arch9wavefront6targetE1EEEvT1_
	.p2align	8
	.type	_ZN7rocprim17ROCPRIM_400000_NS6detail17trampoline_kernelINS0_14default_configENS1_29reduce_by_key_config_selectorIjiN6thrust23THRUST_200600_302600_NS4plusIiEEEEZZNS1_33reduce_by_key_impl_wrapped_configILNS1_25lookback_scan_determinismE0ES3_S9_NS6_6detail15normal_iteratorINS6_10device_ptrIjEEEENSD_INSE_IiEEEENS6_16discard_iteratorINS6_11use_defaultEEESI_PmS8_NS6_8equal_toIjEEEE10hipError_tPvRmT2_T3_mT4_T5_T6_T7_T8_P12ihipStream_tbENKUlT_T0_E_clISt17integral_constantIbLb1EES15_IbLb0EEEEDaS11_S12_EUlS11_E_NS1_11comp_targetILNS1_3genE3ELNS1_11target_archE908ELNS1_3gpuE7ELNS1_3repE0EEENS1_30default_config_static_selectorELNS0_4arch9wavefront6targetE1EEEvT1_,@function
_ZN7rocprim17ROCPRIM_400000_NS6detail17trampoline_kernelINS0_14default_configENS1_29reduce_by_key_config_selectorIjiN6thrust23THRUST_200600_302600_NS4plusIiEEEEZZNS1_33reduce_by_key_impl_wrapped_configILNS1_25lookback_scan_determinismE0ES3_S9_NS6_6detail15normal_iteratorINS6_10device_ptrIjEEEENSD_INSE_IiEEEENS6_16discard_iteratorINS6_11use_defaultEEESI_PmS8_NS6_8equal_toIjEEEE10hipError_tPvRmT2_T3_mT4_T5_T6_T7_T8_P12ihipStream_tbENKUlT_T0_E_clISt17integral_constantIbLb1EES15_IbLb0EEEEDaS11_S12_EUlS11_E_NS1_11comp_targetILNS1_3genE3ELNS1_11target_archE908ELNS1_3gpuE7ELNS1_3repE0EEENS1_30default_config_static_selectorELNS0_4arch9wavefront6targetE1EEEvT1_: ; @_ZN7rocprim17ROCPRIM_400000_NS6detail17trampoline_kernelINS0_14default_configENS1_29reduce_by_key_config_selectorIjiN6thrust23THRUST_200600_302600_NS4plusIiEEEEZZNS1_33reduce_by_key_impl_wrapped_configILNS1_25lookback_scan_determinismE0ES3_S9_NS6_6detail15normal_iteratorINS6_10device_ptrIjEEEENSD_INSE_IiEEEENS6_16discard_iteratorINS6_11use_defaultEEESI_PmS8_NS6_8equal_toIjEEEE10hipError_tPvRmT2_T3_mT4_T5_T6_T7_T8_P12ihipStream_tbENKUlT_T0_E_clISt17integral_constantIbLb1EES15_IbLb0EEEEDaS11_S12_EUlS11_E_NS1_11comp_targetILNS1_3genE3ELNS1_11target_archE908ELNS1_3gpuE7ELNS1_3repE0EEENS1_30default_config_static_selectorELNS0_4arch9wavefront6targetE1EEEvT1_
; %bb.0:
	.section	.rodata,"a",@progbits
	.p2align	6, 0x0
	.amdhsa_kernel _ZN7rocprim17ROCPRIM_400000_NS6detail17trampoline_kernelINS0_14default_configENS1_29reduce_by_key_config_selectorIjiN6thrust23THRUST_200600_302600_NS4plusIiEEEEZZNS1_33reduce_by_key_impl_wrapped_configILNS1_25lookback_scan_determinismE0ES3_S9_NS6_6detail15normal_iteratorINS6_10device_ptrIjEEEENSD_INSE_IiEEEENS6_16discard_iteratorINS6_11use_defaultEEESI_PmS8_NS6_8equal_toIjEEEE10hipError_tPvRmT2_T3_mT4_T5_T6_T7_T8_P12ihipStream_tbENKUlT_T0_E_clISt17integral_constantIbLb1EES15_IbLb0EEEEDaS11_S12_EUlS11_E_NS1_11comp_targetILNS1_3genE3ELNS1_11target_archE908ELNS1_3gpuE7ELNS1_3repE0EEENS1_30default_config_static_selectorELNS0_4arch9wavefront6targetE1EEEvT1_
		.amdhsa_group_segment_fixed_size 0
		.amdhsa_private_segment_fixed_size 0
		.amdhsa_kernarg_size 128
		.amdhsa_user_sgpr_count 6
		.amdhsa_user_sgpr_private_segment_buffer 1
		.amdhsa_user_sgpr_dispatch_ptr 0
		.amdhsa_user_sgpr_queue_ptr 0
		.amdhsa_user_sgpr_kernarg_segment_ptr 1
		.amdhsa_user_sgpr_dispatch_id 0
		.amdhsa_user_sgpr_flat_scratch_init 0
		.amdhsa_user_sgpr_kernarg_preload_length 0
		.amdhsa_user_sgpr_kernarg_preload_offset 0
		.amdhsa_user_sgpr_private_segment_size 0
		.amdhsa_uses_dynamic_stack 0
		.amdhsa_system_sgpr_private_segment_wavefront_offset 0
		.amdhsa_system_sgpr_workgroup_id_x 1
		.amdhsa_system_sgpr_workgroup_id_y 0
		.amdhsa_system_sgpr_workgroup_id_z 0
		.amdhsa_system_sgpr_workgroup_info 0
		.amdhsa_system_vgpr_workitem_id 0
		.amdhsa_next_free_vgpr 1
		.amdhsa_next_free_sgpr 0
		.amdhsa_accum_offset 4
		.amdhsa_reserve_vcc 0
		.amdhsa_reserve_flat_scratch 0
		.amdhsa_float_round_mode_32 0
		.amdhsa_float_round_mode_16_64 0
		.amdhsa_float_denorm_mode_32 3
		.amdhsa_float_denorm_mode_16_64 3
		.amdhsa_dx10_clamp 1
		.amdhsa_ieee_mode 1
		.amdhsa_fp16_overflow 0
		.amdhsa_tg_split 0
		.amdhsa_exception_fp_ieee_invalid_op 0
		.amdhsa_exception_fp_denorm_src 0
		.amdhsa_exception_fp_ieee_div_zero 0
		.amdhsa_exception_fp_ieee_overflow 0
		.amdhsa_exception_fp_ieee_underflow 0
		.amdhsa_exception_fp_ieee_inexact 0
		.amdhsa_exception_int_div_zero 0
	.end_amdhsa_kernel
	.section	.text._ZN7rocprim17ROCPRIM_400000_NS6detail17trampoline_kernelINS0_14default_configENS1_29reduce_by_key_config_selectorIjiN6thrust23THRUST_200600_302600_NS4plusIiEEEEZZNS1_33reduce_by_key_impl_wrapped_configILNS1_25lookback_scan_determinismE0ES3_S9_NS6_6detail15normal_iteratorINS6_10device_ptrIjEEEENSD_INSE_IiEEEENS6_16discard_iteratorINS6_11use_defaultEEESI_PmS8_NS6_8equal_toIjEEEE10hipError_tPvRmT2_T3_mT4_T5_T6_T7_T8_P12ihipStream_tbENKUlT_T0_E_clISt17integral_constantIbLb1EES15_IbLb0EEEEDaS11_S12_EUlS11_E_NS1_11comp_targetILNS1_3genE3ELNS1_11target_archE908ELNS1_3gpuE7ELNS1_3repE0EEENS1_30default_config_static_selectorELNS0_4arch9wavefront6targetE1EEEvT1_,"axG",@progbits,_ZN7rocprim17ROCPRIM_400000_NS6detail17trampoline_kernelINS0_14default_configENS1_29reduce_by_key_config_selectorIjiN6thrust23THRUST_200600_302600_NS4plusIiEEEEZZNS1_33reduce_by_key_impl_wrapped_configILNS1_25lookback_scan_determinismE0ES3_S9_NS6_6detail15normal_iteratorINS6_10device_ptrIjEEEENSD_INSE_IiEEEENS6_16discard_iteratorINS6_11use_defaultEEESI_PmS8_NS6_8equal_toIjEEEE10hipError_tPvRmT2_T3_mT4_T5_T6_T7_T8_P12ihipStream_tbENKUlT_T0_E_clISt17integral_constantIbLb1EES15_IbLb0EEEEDaS11_S12_EUlS11_E_NS1_11comp_targetILNS1_3genE3ELNS1_11target_archE908ELNS1_3gpuE7ELNS1_3repE0EEENS1_30default_config_static_selectorELNS0_4arch9wavefront6targetE1EEEvT1_,comdat
.Lfunc_end1042:
	.size	_ZN7rocprim17ROCPRIM_400000_NS6detail17trampoline_kernelINS0_14default_configENS1_29reduce_by_key_config_selectorIjiN6thrust23THRUST_200600_302600_NS4plusIiEEEEZZNS1_33reduce_by_key_impl_wrapped_configILNS1_25lookback_scan_determinismE0ES3_S9_NS6_6detail15normal_iteratorINS6_10device_ptrIjEEEENSD_INSE_IiEEEENS6_16discard_iteratorINS6_11use_defaultEEESI_PmS8_NS6_8equal_toIjEEEE10hipError_tPvRmT2_T3_mT4_T5_T6_T7_T8_P12ihipStream_tbENKUlT_T0_E_clISt17integral_constantIbLb1EES15_IbLb0EEEEDaS11_S12_EUlS11_E_NS1_11comp_targetILNS1_3genE3ELNS1_11target_archE908ELNS1_3gpuE7ELNS1_3repE0EEENS1_30default_config_static_selectorELNS0_4arch9wavefront6targetE1EEEvT1_, .Lfunc_end1042-_ZN7rocprim17ROCPRIM_400000_NS6detail17trampoline_kernelINS0_14default_configENS1_29reduce_by_key_config_selectorIjiN6thrust23THRUST_200600_302600_NS4plusIiEEEEZZNS1_33reduce_by_key_impl_wrapped_configILNS1_25lookback_scan_determinismE0ES3_S9_NS6_6detail15normal_iteratorINS6_10device_ptrIjEEEENSD_INSE_IiEEEENS6_16discard_iteratorINS6_11use_defaultEEESI_PmS8_NS6_8equal_toIjEEEE10hipError_tPvRmT2_T3_mT4_T5_T6_T7_T8_P12ihipStream_tbENKUlT_T0_E_clISt17integral_constantIbLb1EES15_IbLb0EEEEDaS11_S12_EUlS11_E_NS1_11comp_targetILNS1_3genE3ELNS1_11target_archE908ELNS1_3gpuE7ELNS1_3repE0EEENS1_30default_config_static_selectorELNS0_4arch9wavefront6targetE1EEEvT1_
                                        ; -- End function
	.section	.AMDGPU.csdata,"",@progbits
; Kernel info:
; codeLenInByte = 0
; NumSgprs: 4
; NumVgprs: 0
; NumAgprs: 0
; TotalNumVgprs: 0
; ScratchSize: 0
; MemoryBound: 0
; FloatMode: 240
; IeeeMode: 1
; LDSByteSize: 0 bytes/workgroup (compile time only)
; SGPRBlocks: 0
; VGPRBlocks: 0
; NumSGPRsForWavesPerEU: 4
; NumVGPRsForWavesPerEU: 1
; AccumOffset: 4
; Occupancy: 8
; WaveLimiterHint : 0
; COMPUTE_PGM_RSRC2:SCRATCH_EN: 0
; COMPUTE_PGM_RSRC2:USER_SGPR: 6
; COMPUTE_PGM_RSRC2:TRAP_HANDLER: 0
; COMPUTE_PGM_RSRC2:TGID_X_EN: 1
; COMPUTE_PGM_RSRC2:TGID_Y_EN: 0
; COMPUTE_PGM_RSRC2:TGID_Z_EN: 0
; COMPUTE_PGM_RSRC2:TIDIG_COMP_CNT: 0
; COMPUTE_PGM_RSRC3_GFX90A:ACCUM_OFFSET: 0
; COMPUTE_PGM_RSRC3_GFX90A:TG_SPLIT: 0
	.section	.text._ZN7rocprim17ROCPRIM_400000_NS6detail17trampoline_kernelINS0_14default_configENS1_29reduce_by_key_config_selectorIjiN6thrust23THRUST_200600_302600_NS4plusIiEEEEZZNS1_33reduce_by_key_impl_wrapped_configILNS1_25lookback_scan_determinismE0ES3_S9_NS6_6detail15normal_iteratorINS6_10device_ptrIjEEEENSD_INSE_IiEEEENS6_16discard_iteratorINS6_11use_defaultEEESI_PmS8_NS6_8equal_toIjEEEE10hipError_tPvRmT2_T3_mT4_T5_T6_T7_T8_P12ihipStream_tbENKUlT_T0_E_clISt17integral_constantIbLb1EES15_IbLb0EEEEDaS11_S12_EUlS11_E_NS1_11comp_targetILNS1_3genE2ELNS1_11target_archE906ELNS1_3gpuE6ELNS1_3repE0EEENS1_30default_config_static_selectorELNS0_4arch9wavefront6targetE1EEEvT1_,"axG",@progbits,_ZN7rocprim17ROCPRIM_400000_NS6detail17trampoline_kernelINS0_14default_configENS1_29reduce_by_key_config_selectorIjiN6thrust23THRUST_200600_302600_NS4plusIiEEEEZZNS1_33reduce_by_key_impl_wrapped_configILNS1_25lookback_scan_determinismE0ES3_S9_NS6_6detail15normal_iteratorINS6_10device_ptrIjEEEENSD_INSE_IiEEEENS6_16discard_iteratorINS6_11use_defaultEEESI_PmS8_NS6_8equal_toIjEEEE10hipError_tPvRmT2_T3_mT4_T5_T6_T7_T8_P12ihipStream_tbENKUlT_T0_E_clISt17integral_constantIbLb1EES15_IbLb0EEEEDaS11_S12_EUlS11_E_NS1_11comp_targetILNS1_3genE2ELNS1_11target_archE906ELNS1_3gpuE6ELNS1_3repE0EEENS1_30default_config_static_selectorELNS0_4arch9wavefront6targetE1EEEvT1_,comdat
	.protected	_ZN7rocprim17ROCPRIM_400000_NS6detail17trampoline_kernelINS0_14default_configENS1_29reduce_by_key_config_selectorIjiN6thrust23THRUST_200600_302600_NS4plusIiEEEEZZNS1_33reduce_by_key_impl_wrapped_configILNS1_25lookback_scan_determinismE0ES3_S9_NS6_6detail15normal_iteratorINS6_10device_ptrIjEEEENSD_INSE_IiEEEENS6_16discard_iteratorINS6_11use_defaultEEESI_PmS8_NS6_8equal_toIjEEEE10hipError_tPvRmT2_T3_mT4_T5_T6_T7_T8_P12ihipStream_tbENKUlT_T0_E_clISt17integral_constantIbLb1EES15_IbLb0EEEEDaS11_S12_EUlS11_E_NS1_11comp_targetILNS1_3genE2ELNS1_11target_archE906ELNS1_3gpuE6ELNS1_3repE0EEENS1_30default_config_static_selectorELNS0_4arch9wavefront6targetE1EEEvT1_ ; -- Begin function _ZN7rocprim17ROCPRIM_400000_NS6detail17trampoline_kernelINS0_14default_configENS1_29reduce_by_key_config_selectorIjiN6thrust23THRUST_200600_302600_NS4plusIiEEEEZZNS1_33reduce_by_key_impl_wrapped_configILNS1_25lookback_scan_determinismE0ES3_S9_NS6_6detail15normal_iteratorINS6_10device_ptrIjEEEENSD_INSE_IiEEEENS6_16discard_iteratorINS6_11use_defaultEEESI_PmS8_NS6_8equal_toIjEEEE10hipError_tPvRmT2_T3_mT4_T5_T6_T7_T8_P12ihipStream_tbENKUlT_T0_E_clISt17integral_constantIbLb1EES15_IbLb0EEEEDaS11_S12_EUlS11_E_NS1_11comp_targetILNS1_3genE2ELNS1_11target_archE906ELNS1_3gpuE6ELNS1_3repE0EEENS1_30default_config_static_selectorELNS0_4arch9wavefront6targetE1EEEvT1_
	.globl	_ZN7rocprim17ROCPRIM_400000_NS6detail17trampoline_kernelINS0_14default_configENS1_29reduce_by_key_config_selectorIjiN6thrust23THRUST_200600_302600_NS4plusIiEEEEZZNS1_33reduce_by_key_impl_wrapped_configILNS1_25lookback_scan_determinismE0ES3_S9_NS6_6detail15normal_iteratorINS6_10device_ptrIjEEEENSD_INSE_IiEEEENS6_16discard_iteratorINS6_11use_defaultEEESI_PmS8_NS6_8equal_toIjEEEE10hipError_tPvRmT2_T3_mT4_T5_T6_T7_T8_P12ihipStream_tbENKUlT_T0_E_clISt17integral_constantIbLb1EES15_IbLb0EEEEDaS11_S12_EUlS11_E_NS1_11comp_targetILNS1_3genE2ELNS1_11target_archE906ELNS1_3gpuE6ELNS1_3repE0EEENS1_30default_config_static_selectorELNS0_4arch9wavefront6targetE1EEEvT1_
	.p2align	8
	.type	_ZN7rocprim17ROCPRIM_400000_NS6detail17trampoline_kernelINS0_14default_configENS1_29reduce_by_key_config_selectorIjiN6thrust23THRUST_200600_302600_NS4plusIiEEEEZZNS1_33reduce_by_key_impl_wrapped_configILNS1_25lookback_scan_determinismE0ES3_S9_NS6_6detail15normal_iteratorINS6_10device_ptrIjEEEENSD_INSE_IiEEEENS6_16discard_iteratorINS6_11use_defaultEEESI_PmS8_NS6_8equal_toIjEEEE10hipError_tPvRmT2_T3_mT4_T5_T6_T7_T8_P12ihipStream_tbENKUlT_T0_E_clISt17integral_constantIbLb1EES15_IbLb0EEEEDaS11_S12_EUlS11_E_NS1_11comp_targetILNS1_3genE2ELNS1_11target_archE906ELNS1_3gpuE6ELNS1_3repE0EEENS1_30default_config_static_selectorELNS0_4arch9wavefront6targetE1EEEvT1_,@function
_ZN7rocprim17ROCPRIM_400000_NS6detail17trampoline_kernelINS0_14default_configENS1_29reduce_by_key_config_selectorIjiN6thrust23THRUST_200600_302600_NS4plusIiEEEEZZNS1_33reduce_by_key_impl_wrapped_configILNS1_25lookback_scan_determinismE0ES3_S9_NS6_6detail15normal_iteratorINS6_10device_ptrIjEEEENSD_INSE_IiEEEENS6_16discard_iteratorINS6_11use_defaultEEESI_PmS8_NS6_8equal_toIjEEEE10hipError_tPvRmT2_T3_mT4_T5_T6_T7_T8_P12ihipStream_tbENKUlT_T0_E_clISt17integral_constantIbLb1EES15_IbLb0EEEEDaS11_S12_EUlS11_E_NS1_11comp_targetILNS1_3genE2ELNS1_11target_archE906ELNS1_3gpuE6ELNS1_3repE0EEENS1_30default_config_static_selectorELNS0_4arch9wavefront6targetE1EEEvT1_: ; @_ZN7rocprim17ROCPRIM_400000_NS6detail17trampoline_kernelINS0_14default_configENS1_29reduce_by_key_config_selectorIjiN6thrust23THRUST_200600_302600_NS4plusIiEEEEZZNS1_33reduce_by_key_impl_wrapped_configILNS1_25lookback_scan_determinismE0ES3_S9_NS6_6detail15normal_iteratorINS6_10device_ptrIjEEEENSD_INSE_IiEEEENS6_16discard_iteratorINS6_11use_defaultEEESI_PmS8_NS6_8equal_toIjEEEE10hipError_tPvRmT2_T3_mT4_T5_T6_T7_T8_P12ihipStream_tbENKUlT_T0_E_clISt17integral_constantIbLb1EES15_IbLb0EEEEDaS11_S12_EUlS11_E_NS1_11comp_targetILNS1_3genE2ELNS1_11target_archE906ELNS1_3gpuE6ELNS1_3repE0EEENS1_30default_config_static_selectorELNS0_4arch9wavefront6targetE1EEEvT1_
; %bb.0:
	.section	.rodata,"a",@progbits
	.p2align	6, 0x0
	.amdhsa_kernel _ZN7rocprim17ROCPRIM_400000_NS6detail17trampoline_kernelINS0_14default_configENS1_29reduce_by_key_config_selectorIjiN6thrust23THRUST_200600_302600_NS4plusIiEEEEZZNS1_33reduce_by_key_impl_wrapped_configILNS1_25lookback_scan_determinismE0ES3_S9_NS6_6detail15normal_iteratorINS6_10device_ptrIjEEEENSD_INSE_IiEEEENS6_16discard_iteratorINS6_11use_defaultEEESI_PmS8_NS6_8equal_toIjEEEE10hipError_tPvRmT2_T3_mT4_T5_T6_T7_T8_P12ihipStream_tbENKUlT_T0_E_clISt17integral_constantIbLb1EES15_IbLb0EEEEDaS11_S12_EUlS11_E_NS1_11comp_targetILNS1_3genE2ELNS1_11target_archE906ELNS1_3gpuE6ELNS1_3repE0EEENS1_30default_config_static_selectorELNS0_4arch9wavefront6targetE1EEEvT1_
		.amdhsa_group_segment_fixed_size 0
		.amdhsa_private_segment_fixed_size 0
		.amdhsa_kernarg_size 128
		.amdhsa_user_sgpr_count 6
		.amdhsa_user_sgpr_private_segment_buffer 1
		.amdhsa_user_sgpr_dispatch_ptr 0
		.amdhsa_user_sgpr_queue_ptr 0
		.amdhsa_user_sgpr_kernarg_segment_ptr 1
		.amdhsa_user_sgpr_dispatch_id 0
		.amdhsa_user_sgpr_flat_scratch_init 0
		.amdhsa_user_sgpr_kernarg_preload_length 0
		.amdhsa_user_sgpr_kernarg_preload_offset 0
		.amdhsa_user_sgpr_private_segment_size 0
		.amdhsa_uses_dynamic_stack 0
		.amdhsa_system_sgpr_private_segment_wavefront_offset 0
		.amdhsa_system_sgpr_workgroup_id_x 1
		.amdhsa_system_sgpr_workgroup_id_y 0
		.amdhsa_system_sgpr_workgroup_id_z 0
		.amdhsa_system_sgpr_workgroup_info 0
		.amdhsa_system_vgpr_workitem_id 0
		.amdhsa_next_free_vgpr 1
		.amdhsa_next_free_sgpr 0
		.amdhsa_accum_offset 4
		.amdhsa_reserve_vcc 0
		.amdhsa_reserve_flat_scratch 0
		.amdhsa_float_round_mode_32 0
		.amdhsa_float_round_mode_16_64 0
		.amdhsa_float_denorm_mode_32 3
		.amdhsa_float_denorm_mode_16_64 3
		.amdhsa_dx10_clamp 1
		.amdhsa_ieee_mode 1
		.amdhsa_fp16_overflow 0
		.amdhsa_tg_split 0
		.amdhsa_exception_fp_ieee_invalid_op 0
		.amdhsa_exception_fp_denorm_src 0
		.amdhsa_exception_fp_ieee_div_zero 0
		.amdhsa_exception_fp_ieee_overflow 0
		.amdhsa_exception_fp_ieee_underflow 0
		.amdhsa_exception_fp_ieee_inexact 0
		.amdhsa_exception_int_div_zero 0
	.end_amdhsa_kernel
	.section	.text._ZN7rocprim17ROCPRIM_400000_NS6detail17trampoline_kernelINS0_14default_configENS1_29reduce_by_key_config_selectorIjiN6thrust23THRUST_200600_302600_NS4plusIiEEEEZZNS1_33reduce_by_key_impl_wrapped_configILNS1_25lookback_scan_determinismE0ES3_S9_NS6_6detail15normal_iteratorINS6_10device_ptrIjEEEENSD_INSE_IiEEEENS6_16discard_iteratorINS6_11use_defaultEEESI_PmS8_NS6_8equal_toIjEEEE10hipError_tPvRmT2_T3_mT4_T5_T6_T7_T8_P12ihipStream_tbENKUlT_T0_E_clISt17integral_constantIbLb1EES15_IbLb0EEEEDaS11_S12_EUlS11_E_NS1_11comp_targetILNS1_3genE2ELNS1_11target_archE906ELNS1_3gpuE6ELNS1_3repE0EEENS1_30default_config_static_selectorELNS0_4arch9wavefront6targetE1EEEvT1_,"axG",@progbits,_ZN7rocprim17ROCPRIM_400000_NS6detail17trampoline_kernelINS0_14default_configENS1_29reduce_by_key_config_selectorIjiN6thrust23THRUST_200600_302600_NS4plusIiEEEEZZNS1_33reduce_by_key_impl_wrapped_configILNS1_25lookback_scan_determinismE0ES3_S9_NS6_6detail15normal_iteratorINS6_10device_ptrIjEEEENSD_INSE_IiEEEENS6_16discard_iteratorINS6_11use_defaultEEESI_PmS8_NS6_8equal_toIjEEEE10hipError_tPvRmT2_T3_mT4_T5_T6_T7_T8_P12ihipStream_tbENKUlT_T0_E_clISt17integral_constantIbLb1EES15_IbLb0EEEEDaS11_S12_EUlS11_E_NS1_11comp_targetILNS1_3genE2ELNS1_11target_archE906ELNS1_3gpuE6ELNS1_3repE0EEENS1_30default_config_static_selectorELNS0_4arch9wavefront6targetE1EEEvT1_,comdat
.Lfunc_end1043:
	.size	_ZN7rocprim17ROCPRIM_400000_NS6detail17trampoline_kernelINS0_14default_configENS1_29reduce_by_key_config_selectorIjiN6thrust23THRUST_200600_302600_NS4plusIiEEEEZZNS1_33reduce_by_key_impl_wrapped_configILNS1_25lookback_scan_determinismE0ES3_S9_NS6_6detail15normal_iteratorINS6_10device_ptrIjEEEENSD_INSE_IiEEEENS6_16discard_iteratorINS6_11use_defaultEEESI_PmS8_NS6_8equal_toIjEEEE10hipError_tPvRmT2_T3_mT4_T5_T6_T7_T8_P12ihipStream_tbENKUlT_T0_E_clISt17integral_constantIbLb1EES15_IbLb0EEEEDaS11_S12_EUlS11_E_NS1_11comp_targetILNS1_3genE2ELNS1_11target_archE906ELNS1_3gpuE6ELNS1_3repE0EEENS1_30default_config_static_selectorELNS0_4arch9wavefront6targetE1EEEvT1_, .Lfunc_end1043-_ZN7rocprim17ROCPRIM_400000_NS6detail17trampoline_kernelINS0_14default_configENS1_29reduce_by_key_config_selectorIjiN6thrust23THRUST_200600_302600_NS4plusIiEEEEZZNS1_33reduce_by_key_impl_wrapped_configILNS1_25lookback_scan_determinismE0ES3_S9_NS6_6detail15normal_iteratorINS6_10device_ptrIjEEEENSD_INSE_IiEEEENS6_16discard_iteratorINS6_11use_defaultEEESI_PmS8_NS6_8equal_toIjEEEE10hipError_tPvRmT2_T3_mT4_T5_T6_T7_T8_P12ihipStream_tbENKUlT_T0_E_clISt17integral_constantIbLb1EES15_IbLb0EEEEDaS11_S12_EUlS11_E_NS1_11comp_targetILNS1_3genE2ELNS1_11target_archE906ELNS1_3gpuE6ELNS1_3repE0EEENS1_30default_config_static_selectorELNS0_4arch9wavefront6targetE1EEEvT1_
                                        ; -- End function
	.section	.AMDGPU.csdata,"",@progbits
; Kernel info:
; codeLenInByte = 0
; NumSgprs: 4
; NumVgprs: 0
; NumAgprs: 0
; TotalNumVgprs: 0
; ScratchSize: 0
; MemoryBound: 0
; FloatMode: 240
; IeeeMode: 1
; LDSByteSize: 0 bytes/workgroup (compile time only)
; SGPRBlocks: 0
; VGPRBlocks: 0
; NumSGPRsForWavesPerEU: 4
; NumVGPRsForWavesPerEU: 1
; AccumOffset: 4
; Occupancy: 8
; WaveLimiterHint : 0
; COMPUTE_PGM_RSRC2:SCRATCH_EN: 0
; COMPUTE_PGM_RSRC2:USER_SGPR: 6
; COMPUTE_PGM_RSRC2:TRAP_HANDLER: 0
; COMPUTE_PGM_RSRC2:TGID_X_EN: 1
; COMPUTE_PGM_RSRC2:TGID_Y_EN: 0
; COMPUTE_PGM_RSRC2:TGID_Z_EN: 0
; COMPUTE_PGM_RSRC2:TIDIG_COMP_CNT: 0
; COMPUTE_PGM_RSRC3_GFX90A:ACCUM_OFFSET: 0
; COMPUTE_PGM_RSRC3_GFX90A:TG_SPLIT: 0
	.section	.text._ZN7rocprim17ROCPRIM_400000_NS6detail17trampoline_kernelINS0_14default_configENS1_29reduce_by_key_config_selectorIjiN6thrust23THRUST_200600_302600_NS4plusIiEEEEZZNS1_33reduce_by_key_impl_wrapped_configILNS1_25lookback_scan_determinismE0ES3_S9_NS6_6detail15normal_iteratorINS6_10device_ptrIjEEEENSD_INSE_IiEEEENS6_16discard_iteratorINS6_11use_defaultEEESI_PmS8_NS6_8equal_toIjEEEE10hipError_tPvRmT2_T3_mT4_T5_T6_T7_T8_P12ihipStream_tbENKUlT_T0_E_clISt17integral_constantIbLb1EES15_IbLb0EEEEDaS11_S12_EUlS11_E_NS1_11comp_targetILNS1_3genE10ELNS1_11target_archE1201ELNS1_3gpuE5ELNS1_3repE0EEENS1_30default_config_static_selectorELNS0_4arch9wavefront6targetE1EEEvT1_,"axG",@progbits,_ZN7rocprim17ROCPRIM_400000_NS6detail17trampoline_kernelINS0_14default_configENS1_29reduce_by_key_config_selectorIjiN6thrust23THRUST_200600_302600_NS4plusIiEEEEZZNS1_33reduce_by_key_impl_wrapped_configILNS1_25lookback_scan_determinismE0ES3_S9_NS6_6detail15normal_iteratorINS6_10device_ptrIjEEEENSD_INSE_IiEEEENS6_16discard_iteratorINS6_11use_defaultEEESI_PmS8_NS6_8equal_toIjEEEE10hipError_tPvRmT2_T3_mT4_T5_T6_T7_T8_P12ihipStream_tbENKUlT_T0_E_clISt17integral_constantIbLb1EES15_IbLb0EEEEDaS11_S12_EUlS11_E_NS1_11comp_targetILNS1_3genE10ELNS1_11target_archE1201ELNS1_3gpuE5ELNS1_3repE0EEENS1_30default_config_static_selectorELNS0_4arch9wavefront6targetE1EEEvT1_,comdat
	.protected	_ZN7rocprim17ROCPRIM_400000_NS6detail17trampoline_kernelINS0_14default_configENS1_29reduce_by_key_config_selectorIjiN6thrust23THRUST_200600_302600_NS4plusIiEEEEZZNS1_33reduce_by_key_impl_wrapped_configILNS1_25lookback_scan_determinismE0ES3_S9_NS6_6detail15normal_iteratorINS6_10device_ptrIjEEEENSD_INSE_IiEEEENS6_16discard_iteratorINS6_11use_defaultEEESI_PmS8_NS6_8equal_toIjEEEE10hipError_tPvRmT2_T3_mT4_T5_T6_T7_T8_P12ihipStream_tbENKUlT_T0_E_clISt17integral_constantIbLb1EES15_IbLb0EEEEDaS11_S12_EUlS11_E_NS1_11comp_targetILNS1_3genE10ELNS1_11target_archE1201ELNS1_3gpuE5ELNS1_3repE0EEENS1_30default_config_static_selectorELNS0_4arch9wavefront6targetE1EEEvT1_ ; -- Begin function _ZN7rocprim17ROCPRIM_400000_NS6detail17trampoline_kernelINS0_14default_configENS1_29reduce_by_key_config_selectorIjiN6thrust23THRUST_200600_302600_NS4plusIiEEEEZZNS1_33reduce_by_key_impl_wrapped_configILNS1_25lookback_scan_determinismE0ES3_S9_NS6_6detail15normal_iteratorINS6_10device_ptrIjEEEENSD_INSE_IiEEEENS6_16discard_iteratorINS6_11use_defaultEEESI_PmS8_NS6_8equal_toIjEEEE10hipError_tPvRmT2_T3_mT4_T5_T6_T7_T8_P12ihipStream_tbENKUlT_T0_E_clISt17integral_constantIbLb1EES15_IbLb0EEEEDaS11_S12_EUlS11_E_NS1_11comp_targetILNS1_3genE10ELNS1_11target_archE1201ELNS1_3gpuE5ELNS1_3repE0EEENS1_30default_config_static_selectorELNS0_4arch9wavefront6targetE1EEEvT1_
	.globl	_ZN7rocprim17ROCPRIM_400000_NS6detail17trampoline_kernelINS0_14default_configENS1_29reduce_by_key_config_selectorIjiN6thrust23THRUST_200600_302600_NS4plusIiEEEEZZNS1_33reduce_by_key_impl_wrapped_configILNS1_25lookback_scan_determinismE0ES3_S9_NS6_6detail15normal_iteratorINS6_10device_ptrIjEEEENSD_INSE_IiEEEENS6_16discard_iteratorINS6_11use_defaultEEESI_PmS8_NS6_8equal_toIjEEEE10hipError_tPvRmT2_T3_mT4_T5_T6_T7_T8_P12ihipStream_tbENKUlT_T0_E_clISt17integral_constantIbLb1EES15_IbLb0EEEEDaS11_S12_EUlS11_E_NS1_11comp_targetILNS1_3genE10ELNS1_11target_archE1201ELNS1_3gpuE5ELNS1_3repE0EEENS1_30default_config_static_selectorELNS0_4arch9wavefront6targetE1EEEvT1_
	.p2align	8
	.type	_ZN7rocprim17ROCPRIM_400000_NS6detail17trampoline_kernelINS0_14default_configENS1_29reduce_by_key_config_selectorIjiN6thrust23THRUST_200600_302600_NS4plusIiEEEEZZNS1_33reduce_by_key_impl_wrapped_configILNS1_25lookback_scan_determinismE0ES3_S9_NS6_6detail15normal_iteratorINS6_10device_ptrIjEEEENSD_INSE_IiEEEENS6_16discard_iteratorINS6_11use_defaultEEESI_PmS8_NS6_8equal_toIjEEEE10hipError_tPvRmT2_T3_mT4_T5_T6_T7_T8_P12ihipStream_tbENKUlT_T0_E_clISt17integral_constantIbLb1EES15_IbLb0EEEEDaS11_S12_EUlS11_E_NS1_11comp_targetILNS1_3genE10ELNS1_11target_archE1201ELNS1_3gpuE5ELNS1_3repE0EEENS1_30default_config_static_selectorELNS0_4arch9wavefront6targetE1EEEvT1_,@function
_ZN7rocprim17ROCPRIM_400000_NS6detail17trampoline_kernelINS0_14default_configENS1_29reduce_by_key_config_selectorIjiN6thrust23THRUST_200600_302600_NS4plusIiEEEEZZNS1_33reduce_by_key_impl_wrapped_configILNS1_25lookback_scan_determinismE0ES3_S9_NS6_6detail15normal_iteratorINS6_10device_ptrIjEEEENSD_INSE_IiEEEENS6_16discard_iteratorINS6_11use_defaultEEESI_PmS8_NS6_8equal_toIjEEEE10hipError_tPvRmT2_T3_mT4_T5_T6_T7_T8_P12ihipStream_tbENKUlT_T0_E_clISt17integral_constantIbLb1EES15_IbLb0EEEEDaS11_S12_EUlS11_E_NS1_11comp_targetILNS1_3genE10ELNS1_11target_archE1201ELNS1_3gpuE5ELNS1_3repE0EEENS1_30default_config_static_selectorELNS0_4arch9wavefront6targetE1EEEvT1_: ; @_ZN7rocprim17ROCPRIM_400000_NS6detail17trampoline_kernelINS0_14default_configENS1_29reduce_by_key_config_selectorIjiN6thrust23THRUST_200600_302600_NS4plusIiEEEEZZNS1_33reduce_by_key_impl_wrapped_configILNS1_25lookback_scan_determinismE0ES3_S9_NS6_6detail15normal_iteratorINS6_10device_ptrIjEEEENSD_INSE_IiEEEENS6_16discard_iteratorINS6_11use_defaultEEESI_PmS8_NS6_8equal_toIjEEEE10hipError_tPvRmT2_T3_mT4_T5_T6_T7_T8_P12ihipStream_tbENKUlT_T0_E_clISt17integral_constantIbLb1EES15_IbLb0EEEEDaS11_S12_EUlS11_E_NS1_11comp_targetILNS1_3genE10ELNS1_11target_archE1201ELNS1_3gpuE5ELNS1_3repE0EEENS1_30default_config_static_selectorELNS0_4arch9wavefront6targetE1EEEvT1_
; %bb.0:
	.section	.rodata,"a",@progbits
	.p2align	6, 0x0
	.amdhsa_kernel _ZN7rocprim17ROCPRIM_400000_NS6detail17trampoline_kernelINS0_14default_configENS1_29reduce_by_key_config_selectorIjiN6thrust23THRUST_200600_302600_NS4plusIiEEEEZZNS1_33reduce_by_key_impl_wrapped_configILNS1_25lookback_scan_determinismE0ES3_S9_NS6_6detail15normal_iteratorINS6_10device_ptrIjEEEENSD_INSE_IiEEEENS6_16discard_iteratorINS6_11use_defaultEEESI_PmS8_NS6_8equal_toIjEEEE10hipError_tPvRmT2_T3_mT4_T5_T6_T7_T8_P12ihipStream_tbENKUlT_T0_E_clISt17integral_constantIbLb1EES15_IbLb0EEEEDaS11_S12_EUlS11_E_NS1_11comp_targetILNS1_3genE10ELNS1_11target_archE1201ELNS1_3gpuE5ELNS1_3repE0EEENS1_30default_config_static_selectorELNS0_4arch9wavefront6targetE1EEEvT1_
		.amdhsa_group_segment_fixed_size 0
		.amdhsa_private_segment_fixed_size 0
		.amdhsa_kernarg_size 128
		.amdhsa_user_sgpr_count 6
		.amdhsa_user_sgpr_private_segment_buffer 1
		.amdhsa_user_sgpr_dispatch_ptr 0
		.amdhsa_user_sgpr_queue_ptr 0
		.amdhsa_user_sgpr_kernarg_segment_ptr 1
		.amdhsa_user_sgpr_dispatch_id 0
		.amdhsa_user_sgpr_flat_scratch_init 0
		.amdhsa_user_sgpr_kernarg_preload_length 0
		.amdhsa_user_sgpr_kernarg_preload_offset 0
		.amdhsa_user_sgpr_private_segment_size 0
		.amdhsa_uses_dynamic_stack 0
		.amdhsa_system_sgpr_private_segment_wavefront_offset 0
		.amdhsa_system_sgpr_workgroup_id_x 1
		.amdhsa_system_sgpr_workgroup_id_y 0
		.amdhsa_system_sgpr_workgroup_id_z 0
		.amdhsa_system_sgpr_workgroup_info 0
		.amdhsa_system_vgpr_workitem_id 0
		.amdhsa_next_free_vgpr 1
		.amdhsa_next_free_sgpr 0
		.amdhsa_accum_offset 4
		.amdhsa_reserve_vcc 0
		.amdhsa_reserve_flat_scratch 0
		.amdhsa_float_round_mode_32 0
		.amdhsa_float_round_mode_16_64 0
		.amdhsa_float_denorm_mode_32 3
		.amdhsa_float_denorm_mode_16_64 3
		.amdhsa_dx10_clamp 1
		.amdhsa_ieee_mode 1
		.amdhsa_fp16_overflow 0
		.amdhsa_tg_split 0
		.amdhsa_exception_fp_ieee_invalid_op 0
		.amdhsa_exception_fp_denorm_src 0
		.amdhsa_exception_fp_ieee_div_zero 0
		.amdhsa_exception_fp_ieee_overflow 0
		.amdhsa_exception_fp_ieee_underflow 0
		.amdhsa_exception_fp_ieee_inexact 0
		.amdhsa_exception_int_div_zero 0
	.end_amdhsa_kernel
	.section	.text._ZN7rocprim17ROCPRIM_400000_NS6detail17trampoline_kernelINS0_14default_configENS1_29reduce_by_key_config_selectorIjiN6thrust23THRUST_200600_302600_NS4plusIiEEEEZZNS1_33reduce_by_key_impl_wrapped_configILNS1_25lookback_scan_determinismE0ES3_S9_NS6_6detail15normal_iteratorINS6_10device_ptrIjEEEENSD_INSE_IiEEEENS6_16discard_iteratorINS6_11use_defaultEEESI_PmS8_NS6_8equal_toIjEEEE10hipError_tPvRmT2_T3_mT4_T5_T6_T7_T8_P12ihipStream_tbENKUlT_T0_E_clISt17integral_constantIbLb1EES15_IbLb0EEEEDaS11_S12_EUlS11_E_NS1_11comp_targetILNS1_3genE10ELNS1_11target_archE1201ELNS1_3gpuE5ELNS1_3repE0EEENS1_30default_config_static_selectorELNS0_4arch9wavefront6targetE1EEEvT1_,"axG",@progbits,_ZN7rocprim17ROCPRIM_400000_NS6detail17trampoline_kernelINS0_14default_configENS1_29reduce_by_key_config_selectorIjiN6thrust23THRUST_200600_302600_NS4plusIiEEEEZZNS1_33reduce_by_key_impl_wrapped_configILNS1_25lookback_scan_determinismE0ES3_S9_NS6_6detail15normal_iteratorINS6_10device_ptrIjEEEENSD_INSE_IiEEEENS6_16discard_iteratorINS6_11use_defaultEEESI_PmS8_NS6_8equal_toIjEEEE10hipError_tPvRmT2_T3_mT4_T5_T6_T7_T8_P12ihipStream_tbENKUlT_T0_E_clISt17integral_constantIbLb1EES15_IbLb0EEEEDaS11_S12_EUlS11_E_NS1_11comp_targetILNS1_3genE10ELNS1_11target_archE1201ELNS1_3gpuE5ELNS1_3repE0EEENS1_30default_config_static_selectorELNS0_4arch9wavefront6targetE1EEEvT1_,comdat
.Lfunc_end1044:
	.size	_ZN7rocprim17ROCPRIM_400000_NS6detail17trampoline_kernelINS0_14default_configENS1_29reduce_by_key_config_selectorIjiN6thrust23THRUST_200600_302600_NS4plusIiEEEEZZNS1_33reduce_by_key_impl_wrapped_configILNS1_25lookback_scan_determinismE0ES3_S9_NS6_6detail15normal_iteratorINS6_10device_ptrIjEEEENSD_INSE_IiEEEENS6_16discard_iteratorINS6_11use_defaultEEESI_PmS8_NS6_8equal_toIjEEEE10hipError_tPvRmT2_T3_mT4_T5_T6_T7_T8_P12ihipStream_tbENKUlT_T0_E_clISt17integral_constantIbLb1EES15_IbLb0EEEEDaS11_S12_EUlS11_E_NS1_11comp_targetILNS1_3genE10ELNS1_11target_archE1201ELNS1_3gpuE5ELNS1_3repE0EEENS1_30default_config_static_selectorELNS0_4arch9wavefront6targetE1EEEvT1_, .Lfunc_end1044-_ZN7rocprim17ROCPRIM_400000_NS6detail17trampoline_kernelINS0_14default_configENS1_29reduce_by_key_config_selectorIjiN6thrust23THRUST_200600_302600_NS4plusIiEEEEZZNS1_33reduce_by_key_impl_wrapped_configILNS1_25lookback_scan_determinismE0ES3_S9_NS6_6detail15normal_iteratorINS6_10device_ptrIjEEEENSD_INSE_IiEEEENS6_16discard_iteratorINS6_11use_defaultEEESI_PmS8_NS6_8equal_toIjEEEE10hipError_tPvRmT2_T3_mT4_T5_T6_T7_T8_P12ihipStream_tbENKUlT_T0_E_clISt17integral_constantIbLb1EES15_IbLb0EEEEDaS11_S12_EUlS11_E_NS1_11comp_targetILNS1_3genE10ELNS1_11target_archE1201ELNS1_3gpuE5ELNS1_3repE0EEENS1_30default_config_static_selectorELNS0_4arch9wavefront6targetE1EEEvT1_
                                        ; -- End function
	.section	.AMDGPU.csdata,"",@progbits
; Kernel info:
; codeLenInByte = 0
; NumSgprs: 4
; NumVgprs: 0
; NumAgprs: 0
; TotalNumVgprs: 0
; ScratchSize: 0
; MemoryBound: 0
; FloatMode: 240
; IeeeMode: 1
; LDSByteSize: 0 bytes/workgroup (compile time only)
; SGPRBlocks: 0
; VGPRBlocks: 0
; NumSGPRsForWavesPerEU: 4
; NumVGPRsForWavesPerEU: 1
; AccumOffset: 4
; Occupancy: 8
; WaveLimiterHint : 0
; COMPUTE_PGM_RSRC2:SCRATCH_EN: 0
; COMPUTE_PGM_RSRC2:USER_SGPR: 6
; COMPUTE_PGM_RSRC2:TRAP_HANDLER: 0
; COMPUTE_PGM_RSRC2:TGID_X_EN: 1
; COMPUTE_PGM_RSRC2:TGID_Y_EN: 0
; COMPUTE_PGM_RSRC2:TGID_Z_EN: 0
; COMPUTE_PGM_RSRC2:TIDIG_COMP_CNT: 0
; COMPUTE_PGM_RSRC3_GFX90A:ACCUM_OFFSET: 0
; COMPUTE_PGM_RSRC3_GFX90A:TG_SPLIT: 0
	.section	.text._ZN7rocprim17ROCPRIM_400000_NS6detail17trampoline_kernelINS0_14default_configENS1_29reduce_by_key_config_selectorIjiN6thrust23THRUST_200600_302600_NS4plusIiEEEEZZNS1_33reduce_by_key_impl_wrapped_configILNS1_25lookback_scan_determinismE0ES3_S9_NS6_6detail15normal_iteratorINS6_10device_ptrIjEEEENSD_INSE_IiEEEENS6_16discard_iteratorINS6_11use_defaultEEESI_PmS8_NS6_8equal_toIjEEEE10hipError_tPvRmT2_T3_mT4_T5_T6_T7_T8_P12ihipStream_tbENKUlT_T0_E_clISt17integral_constantIbLb1EES15_IbLb0EEEEDaS11_S12_EUlS11_E_NS1_11comp_targetILNS1_3genE10ELNS1_11target_archE1200ELNS1_3gpuE4ELNS1_3repE0EEENS1_30default_config_static_selectorELNS0_4arch9wavefront6targetE1EEEvT1_,"axG",@progbits,_ZN7rocprim17ROCPRIM_400000_NS6detail17trampoline_kernelINS0_14default_configENS1_29reduce_by_key_config_selectorIjiN6thrust23THRUST_200600_302600_NS4plusIiEEEEZZNS1_33reduce_by_key_impl_wrapped_configILNS1_25lookback_scan_determinismE0ES3_S9_NS6_6detail15normal_iteratorINS6_10device_ptrIjEEEENSD_INSE_IiEEEENS6_16discard_iteratorINS6_11use_defaultEEESI_PmS8_NS6_8equal_toIjEEEE10hipError_tPvRmT2_T3_mT4_T5_T6_T7_T8_P12ihipStream_tbENKUlT_T0_E_clISt17integral_constantIbLb1EES15_IbLb0EEEEDaS11_S12_EUlS11_E_NS1_11comp_targetILNS1_3genE10ELNS1_11target_archE1200ELNS1_3gpuE4ELNS1_3repE0EEENS1_30default_config_static_selectorELNS0_4arch9wavefront6targetE1EEEvT1_,comdat
	.protected	_ZN7rocprim17ROCPRIM_400000_NS6detail17trampoline_kernelINS0_14default_configENS1_29reduce_by_key_config_selectorIjiN6thrust23THRUST_200600_302600_NS4plusIiEEEEZZNS1_33reduce_by_key_impl_wrapped_configILNS1_25lookback_scan_determinismE0ES3_S9_NS6_6detail15normal_iteratorINS6_10device_ptrIjEEEENSD_INSE_IiEEEENS6_16discard_iteratorINS6_11use_defaultEEESI_PmS8_NS6_8equal_toIjEEEE10hipError_tPvRmT2_T3_mT4_T5_T6_T7_T8_P12ihipStream_tbENKUlT_T0_E_clISt17integral_constantIbLb1EES15_IbLb0EEEEDaS11_S12_EUlS11_E_NS1_11comp_targetILNS1_3genE10ELNS1_11target_archE1200ELNS1_3gpuE4ELNS1_3repE0EEENS1_30default_config_static_selectorELNS0_4arch9wavefront6targetE1EEEvT1_ ; -- Begin function _ZN7rocprim17ROCPRIM_400000_NS6detail17trampoline_kernelINS0_14default_configENS1_29reduce_by_key_config_selectorIjiN6thrust23THRUST_200600_302600_NS4plusIiEEEEZZNS1_33reduce_by_key_impl_wrapped_configILNS1_25lookback_scan_determinismE0ES3_S9_NS6_6detail15normal_iteratorINS6_10device_ptrIjEEEENSD_INSE_IiEEEENS6_16discard_iteratorINS6_11use_defaultEEESI_PmS8_NS6_8equal_toIjEEEE10hipError_tPvRmT2_T3_mT4_T5_T6_T7_T8_P12ihipStream_tbENKUlT_T0_E_clISt17integral_constantIbLb1EES15_IbLb0EEEEDaS11_S12_EUlS11_E_NS1_11comp_targetILNS1_3genE10ELNS1_11target_archE1200ELNS1_3gpuE4ELNS1_3repE0EEENS1_30default_config_static_selectorELNS0_4arch9wavefront6targetE1EEEvT1_
	.globl	_ZN7rocprim17ROCPRIM_400000_NS6detail17trampoline_kernelINS0_14default_configENS1_29reduce_by_key_config_selectorIjiN6thrust23THRUST_200600_302600_NS4plusIiEEEEZZNS1_33reduce_by_key_impl_wrapped_configILNS1_25lookback_scan_determinismE0ES3_S9_NS6_6detail15normal_iteratorINS6_10device_ptrIjEEEENSD_INSE_IiEEEENS6_16discard_iteratorINS6_11use_defaultEEESI_PmS8_NS6_8equal_toIjEEEE10hipError_tPvRmT2_T3_mT4_T5_T6_T7_T8_P12ihipStream_tbENKUlT_T0_E_clISt17integral_constantIbLb1EES15_IbLb0EEEEDaS11_S12_EUlS11_E_NS1_11comp_targetILNS1_3genE10ELNS1_11target_archE1200ELNS1_3gpuE4ELNS1_3repE0EEENS1_30default_config_static_selectorELNS0_4arch9wavefront6targetE1EEEvT1_
	.p2align	8
	.type	_ZN7rocprim17ROCPRIM_400000_NS6detail17trampoline_kernelINS0_14default_configENS1_29reduce_by_key_config_selectorIjiN6thrust23THRUST_200600_302600_NS4plusIiEEEEZZNS1_33reduce_by_key_impl_wrapped_configILNS1_25lookback_scan_determinismE0ES3_S9_NS6_6detail15normal_iteratorINS6_10device_ptrIjEEEENSD_INSE_IiEEEENS6_16discard_iteratorINS6_11use_defaultEEESI_PmS8_NS6_8equal_toIjEEEE10hipError_tPvRmT2_T3_mT4_T5_T6_T7_T8_P12ihipStream_tbENKUlT_T0_E_clISt17integral_constantIbLb1EES15_IbLb0EEEEDaS11_S12_EUlS11_E_NS1_11comp_targetILNS1_3genE10ELNS1_11target_archE1200ELNS1_3gpuE4ELNS1_3repE0EEENS1_30default_config_static_selectorELNS0_4arch9wavefront6targetE1EEEvT1_,@function
_ZN7rocprim17ROCPRIM_400000_NS6detail17trampoline_kernelINS0_14default_configENS1_29reduce_by_key_config_selectorIjiN6thrust23THRUST_200600_302600_NS4plusIiEEEEZZNS1_33reduce_by_key_impl_wrapped_configILNS1_25lookback_scan_determinismE0ES3_S9_NS6_6detail15normal_iteratorINS6_10device_ptrIjEEEENSD_INSE_IiEEEENS6_16discard_iteratorINS6_11use_defaultEEESI_PmS8_NS6_8equal_toIjEEEE10hipError_tPvRmT2_T3_mT4_T5_T6_T7_T8_P12ihipStream_tbENKUlT_T0_E_clISt17integral_constantIbLb1EES15_IbLb0EEEEDaS11_S12_EUlS11_E_NS1_11comp_targetILNS1_3genE10ELNS1_11target_archE1200ELNS1_3gpuE4ELNS1_3repE0EEENS1_30default_config_static_selectorELNS0_4arch9wavefront6targetE1EEEvT1_: ; @_ZN7rocprim17ROCPRIM_400000_NS6detail17trampoline_kernelINS0_14default_configENS1_29reduce_by_key_config_selectorIjiN6thrust23THRUST_200600_302600_NS4plusIiEEEEZZNS1_33reduce_by_key_impl_wrapped_configILNS1_25lookback_scan_determinismE0ES3_S9_NS6_6detail15normal_iteratorINS6_10device_ptrIjEEEENSD_INSE_IiEEEENS6_16discard_iteratorINS6_11use_defaultEEESI_PmS8_NS6_8equal_toIjEEEE10hipError_tPvRmT2_T3_mT4_T5_T6_T7_T8_P12ihipStream_tbENKUlT_T0_E_clISt17integral_constantIbLb1EES15_IbLb0EEEEDaS11_S12_EUlS11_E_NS1_11comp_targetILNS1_3genE10ELNS1_11target_archE1200ELNS1_3gpuE4ELNS1_3repE0EEENS1_30default_config_static_selectorELNS0_4arch9wavefront6targetE1EEEvT1_
; %bb.0:
	.section	.rodata,"a",@progbits
	.p2align	6, 0x0
	.amdhsa_kernel _ZN7rocprim17ROCPRIM_400000_NS6detail17trampoline_kernelINS0_14default_configENS1_29reduce_by_key_config_selectorIjiN6thrust23THRUST_200600_302600_NS4plusIiEEEEZZNS1_33reduce_by_key_impl_wrapped_configILNS1_25lookback_scan_determinismE0ES3_S9_NS6_6detail15normal_iteratorINS6_10device_ptrIjEEEENSD_INSE_IiEEEENS6_16discard_iteratorINS6_11use_defaultEEESI_PmS8_NS6_8equal_toIjEEEE10hipError_tPvRmT2_T3_mT4_T5_T6_T7_T8_P12ihipStream_tbENKUlT_T0_E_clISt17integral_constantIbLb1EES15_IbLb0EEEEDaS11_S12_EUlS11_E_NS1_11comp_targetILNS1_3genE10ELNS1_11target_archE1200ELNS1_3gpuE4ELNS1_3repE0EEENS1_30default_config_static_selectorELNS0_4arch9wavefront6targetE1EEEvT1_
		.amdhsa_group_segment_fixed_size 0
		.amdhsa_private_segment_fixed_size 0
		.amdhsa_kernarg_size 128
		.amdhsa_user_sgpr_count 6
		.amdhsa_user_sgpr_private_segment_buffer 1
		.amdhsa_user_sgpr_dispatch_ptr 0
		.amdhsa_user_sgpr_queue_ptr 0
		.amdhsa_user_sgpr_kernarg_segment_ptr 1
		.amdhsa_user_sgpr_dispatch_id 0
		.amdhsa_user_sgpr_flat_scratch_init 0
		.amdhsa_user_sgpr_kernarg_preload_length 0
		.amdhsa_user_sgpr_kernarg_preload_offset 0
		.amdhsa_user_sgpr_private_segment_size 0
		.amdhsa_uses_dynamic_stack 0
		.amdhsa_system_sgpr_private_segment_wavefront_offset 0
		.amdhsa_system_sgpr_workgroup_id_x 1
		.amdhsa_system_sgpr_workgroup_id_y 0
		.amdhsa_system_sgpr_workgroup_id_z 0
		.amdhsa_system_sgpr_workgroup_info 0
		.amdhsa_system_vgpr_workitem_id 0
		.amdhsa_next_free_vgpr 1
		.amdhsa_next_free_sgpr 0
		.amdhsa_accum_offset 4
		.amdhsa_reserve_vcc 0
		.amdhsa_reserve_flat_scratch 0
		.amdhsa_float_round_mode_32 0
		.amdhsa_float_round_mode_16_64 0
		.amdhsa_float_denorm_mode_32 3
		.amdhsa_float_denorm_mode_16_64 3
		.amdhsa_dx10_clamp 1
		.amdhsa_ieee_mode 1
		.amdhsa_fp16_overflow 0
		.amdhsa_tg_split 0
		.amdhsa_exception_fp_ieee_invalid_op 0
		.amdhsa_exception_fp_denorm_src 0
		.amdhsa_exception_fp_ieee_div_zero 0
		.amdhsa_exception_fp_ieee_overflow 0
		.amdhsa_exception_fp_ieee_underflow 0
		.amdhsa_exception_fp_ieee_inexact 0
		.amdhsa_exception_int_div_zero 0
	.end_amdhsa_kernel
	.section	.text._ZN7rocprim17ROCPRIM_400000_NS6detail17trampoline_kernelINS0_14default_configENS1_29reduce_by_key_config_selectorIjiN6thrust23THRUST_200600_302600_NS4plusIiEEEEZZNS1_33reduce_by_key_impl_wrapped_configILNS1_25lookback_scan_determinismE0ES3_S9_NS6_6detail15normal_iteratorINS6_10device_ptrIjEEEENSD_INSE_IiEEEENS6_16discard_iteratorINS6_11use_defaultEEESI_PmS8_NS6_8equal_toIjEEEE10hipError_tPvRmT2_T3_mT4_T5_T6_T7_T8_P12ihipStream_tbENKUlT_T0_E_clISt17integral_constantIbLb1EES15_IbLb0EEEEDaS11_S12_EUlS11_E_NS1_11comp_targetILNS1_3genE10ELNS1_11target_archE1200ELNS1_3gpuE4ELNS1_3repE0EEENS1_30default_config_static_selectorELNS0_4arch9wavefront6targetE1EEEvT1_,"axG",@progbits,_ZN7rocprim17ROCPRIM_400000_NS6detail17trampoline_kernelINS0_14default_configENS1_29reduce_by_key_config_selectorIjiN6thrust23THRUST_200600_302600_NS4plusIiEEEEZZNS1_33reduce_by_key_impl_wrapped_configILNS1_25lookback_scan_determinismE0ES3_S9_NS6_6detail15normal_iteratorINS6_10device_ptrIjEEEENSD_INSE_IiEEEENS6_16discard_iteratorINS6_11use_defaultEEESI_PmS8_NS6_8equal_toIjEEEE10hipError_tPvRmT2_T3_mT4_T5_T6_T7_T8_P12ihipStream_tbENKUlT_T0_E_clISt17integral_constantIbLb1EES15_IbLb0EEEEDaS11_S12_EUlS11_E_NS1_11comp_targetILNS1_3genE10ELNS1_11target_archE1200ELNS1_3gpuE4ELNS1_3repE0EEENS1_30default_config_static_selectorELNS0_4arch9wavefront6targetE1EEEvT1_,comdat
.Lfunc_end1045:
	.size	_ZN7rocprim17ROCPRIM_400000_NS6detail17trampoline_kernelINS0_14default_configENS1_29reduce_by_key_config_selectorIjiN6thrust23THRUST_200600_302600_NS4plusIiEEEEZZNS1_33reduce_by_key_impl_wrapped_configILNS1_25lookback_scan_determinismE0ES3_S9_NS6_6detail15normal_iteratorINS6_10device_ptrIjEEEENSD_INSE_IiEEEENS6_16discard_iteratorINS6_11use_defaultEEESI_PmS8_NS6_8equal_toIjEEEE10hipError_tPvRmT2_T3_mT4_T5_T6_T7_T8_P12ihipStream_tbENKUlT_T0_E_clISt17integral_constantIbLb1EES15_IbLb0EEEEDaS11_S12_EUlS11_E_NS1_11comp_targetILNS1_3genE10ELNS1_11target_archE1200ELNS1_3gpuE4ELNS1_3repE0EEENS1_30default_config_static_selectorELNS0_4arch9wavefront6targetE1EEEvT1_, .Lfunc_end1045-_ZN7rocprim17ROCPRIM_400000_NS6detail17trampoline_kernelINS0_14default_configENS1_29reduce_by_key_config_selectorIjiN6thrust23THRUST_200600_302600_NS4plusIiEEEEZZNS1_33reduce_by_key_impl_wrapped_configILNS1_25lookback_scan_determinismE0ES3_S9_NS6_6detail15normal_iteratorINS6_10device_ptrIjEEEENSD_INSE_IiEEEENS6_16discard_iteratorINS6_11use_defaultEEESI_PmS8_NS6_8equal_toIjEEEE10hipError_tPvRmT2_T3_mT4_T5_T6_T7_T8_P12ihipStream_tbENKUlT_T0_E_clISt17integral_constantIbLb1EES15_IbLb0EEEEDaS11_S12_EUlS11_E_NS1_11comp_targetILNS1_3genE10ELNS1_11target_archE1200ELNS1_3gpuE4ELNS1_3repE0EEENS1_30default_config_static_selectorELNS0_4arch9wavefront6targetE1EEEvT1_
                                        ; -- End function
	.section	.AMDGPU.csdata,"",@progbits
; Kernel info:
; codeLenInByte = 0
; NumSgprs: 4
; NumVgprs: 0
; NumAgprs: 0
; TotalNumVgprs: 0
; ScratchSize: 0
; MemoryBound: 0
; FloatMode: 240
; IeeeMode: 1
; LDSByteSize: 0 bytes/workgroup (compile time only)
; SGPRBlocks: 0
; VGPRBlocks: 0
; NumSGPRsForWavesPerEU: 4
; NumVGPRsForWavesPerEU: 1
; AccumOffset: 4
; Occupancy: 8
; WaveLimiterHint : 0
; COMPUTE_PGM_RSRC2:SCRATCH_EN: 0
; COMPUTE_PGM_RSRC2:USER_SGPR: 6
; COMPUTE_PGM_RSRC2:TRAP_HANDLER: 0
; COMPUTE_PGM_RSRC2:TGID_X_EN: 1
; COMPUTE_PGM_RSRC2:TGID_Y_EN: 0
; COMPUTE_PGM_RSRC2:TGID_Z_EN: 0
; COMPUTE_PGM_RSRC2:TIDIG_COMP_CNT: 0
; COMPUTE_PGM_RSRC3_GFX90A:ACCUM_OFFSET: 0
; COMPUTE_PGM_RSRC3_GFX90A:TG_SPLIT: 0
	.section	.text._ZN7rocprim17ROCPRIM_400000_NS6detail17trampoline_kernelINS0_14default_configENS1_29reduce_by_key_config_selectorIjiN6thrust23THRUST_200600_302600_NS4plusIiEEEEZZNS1_33reduce_by_key_impl_wrapped_configILNS1_25lookback_scan_determinismE0ES3_S9_NS6_6detail15normal_iteratorINS6_10device_ptrIjEEEENSD_INSE_IiEEEENS6_16discard_iteratorINS6_11use_defaultEEESI_PmS8_NS6_8equal_toIjEEEE10hipError_tPvRmT2_T3_mT4_T5_T6_T7_T8_P12ihipStream_tbENKUlT_T0_E_clISt17integral_constantIbLb1EES15_IbLb0EEEEDaS11_S12_EUlS11_E_NS1_11comp_targetILNS1_3genE9ELNS1_11target_archE1100ELNS1_3gpuE3ELNS1_3repE0EEENS1_30default_config_static_selectorELNS0_4arch9wavefront6targetE1EEEvT1_,"axG",@progbits,_ZN7rocprim17ROCPRIM_400000_NS6detail17trampoline_kernelINS0_14default_configENS1_29reduce_by_key_config_selectorIjiN6thrust23THRUST_200600_302600_NS4plusIiEEEEZZNS1_33reduce_by_key_impl_wrapped_configILNS1_25lookback_scan_determinismE0ES3_S9_NS6_6detail15normal_iteratorINS6_10device_ptrIjEEEENSD_INSE_IiEEEENS6_16discard_iteratorINS6_11use_defaultEEESI_PmS8_NS6_8equal_toIjEEEE10hipError_tPvRmT2_T3_mT4_T5_T6_T7_T8_P12ihipStream_tbENKUlT_T0_E_clISt17integral_constantIbLb1EES15_IbLb0EEEEDaS11_S12_EUlS11_E_NS1_11comp_targetILNS1_3genE9ELNS1_11target_archE1100ELNS1_3gpuE3ELNS1_3repE0EEENS1_30default_config_static_selectorELNS0_4arch9wavefront6targetE1EEEvT1_,comdat
	.protected	_ZN7rocprim17ROCPRIM_400000_NS6detail17trampoline_kernelINS0_14default_configENS1_29reduce_by_key_config_selectorIjiN6thrust23THRUST_200600_302600_NS4plusIiEEEEZZNS1_33reduce_by_key_impl_wrapped_configILNS1_25lookback_scan_determinismE0ES3_S9_NS6_6detail15normal_iteratorINS6_10device_ptrIjEEEENSD_INSE_IiEEEENS6_16discard_iteratorINS6_11use_defaultEEESI_PmS8_NS6_8equal_toIjEEEE10hipError_tPvRmT2_T3_mT4_T5_T6_T7_T8_P12ihipStream_tbENKUlT_T0_E_clISt17integral_constantIbLb1EES15_IbLb0EEEEDaS11_S12_EUlS11_E_NS1_11comp_targetILNS1_3genE9ELNS1_11target_archE1100ELNS1_3gpuE3ELNS1_3repE0EEENS1_30default_config_static_selectorELNS0_4arch9wavefront6targetE1EEEvT1_ ; -- Begin function _ZN7rocprim17ROCPRIM_400000_NS6detail17trampoline_kernelINS0_14default_configENS1_29reduce_by_key_config_selectorIjiN6thrust23THRUST_200600_302600_NS4plusIiEEEEZZNS1_33reduce_by_key_impl_wrapped_configILNS1_25lookback_scan_determinismE0ES3_S9_NS6_6detail15normal_iteratorINS6_10device_ptrIjEEEENSD_INSE_IiEEEENS6_16discard_iteratorINS6_11use_defaultEEESI_PmS8_NS6_8equal_toIjEEEE10hipError_tPvRmT2_T3_mT4_T5_T6_T7_T8_P12ihipStream_tbENKUlT_T0_E_clISt17integral_constantIbLb1EES15_IbLb0EEEEDaS11_S12_EUlS11_E_NS1_11comp_targetILNS1_3genE9ELNS1_11target_archE1100ELNS1_3gpuE3ELNS1_3repE0EEENS1_30default_config_static_selectorELNS0_4arch9wavefront6targetE1EEEvT1_
	.globl	_ZN7rocprim17ROCPRIM_400000_NS6detail17trampoline_kernelINS0_14default_configENS1_29reduce_by_key_config_selectorIjiN6thrust23THRUST_200600_302600_NS4plusIiEEEEZZNS1_33reduce_by_key_impl_wrapped_configILNS1_25lookback_scan_determinismE0ES3_S9_NS6_6detail15normal_iteratorINS6_10device_ptrIjEEEENSD_INSE_IiEEEENS6_16discard_iteratorINS6_11use_defaultEEESI_PmS8_NS6_8equal_toIjEEEE10hipError_tPvRmT2_T3_mT4_T5_T6_T7_T8_P12ihipStream_tbENKUlT_T0_E_clISt17integral_constantIbLb1EES15_IbLb0EEEEDaS11_S12_EUlS11_E_NS1_11comp_targetILNS1_3genE9ELNS1_11target_archE1100ELNS1_3gpuE3ELNS1_3repE0EEENS1_30default_config_static_selectorELNS0_4arch9wavefront6targetE1EEEvT1_
	.p2align	8
	.type	_ZN7rocprim17ROCPRIM_400000_NS6detail17trampoline_kernelINS0_14default_configENS1_29reduce_by_key_config_selectorIjiN6thrust23THRUST_200600_302600_NS4plusIiEEEEZZNS1_33reduce_by_key_impl_wrapped_configILNS1_25lookback_scan_determinismE0ES3_S9_NS6_6detail15normal_iteratorINS6_10device_ptrIjEEEENSD_INSE_IiEEEENS6_16discard_iteratorINS6_11use_defaultEEESI_PmS8_NS6_8equal_toIjEEEE10hipError_tPvRmT2_T3_mT4_T5_T6_T7_T8_P12ihipStream_tbENKUlT_T0_E_clISt17integral_constantIbLb1EES15_IbLb0EEEEDaS11_S12_EUlS11_E_NS1_11comp_targetILNS1_3genE9ELNS1_11target_archE1100ELNS1_3gpuE3ELNS1_3repE0EEENS1_30default_config_static_selectorELNS0_4arch9wavefront6targetE1EEEvT1_,@function
_ZN7rocprim17ROCPRIM_400000_NS6detail17trampoline_kernelINS0_14default_configENS1_29reduce_by_key_config_selectorIjiN6thrust23THRUST_200600_302600_NS4plusIiEEEEZZNS1_33reduce_by_key_impl_wrapped_configILNS1_25lookback_scan_determinismE0ES3_S9_NS6_6detail15normal_iteratorINS6_10device_ptrIjEEEENSD_INSE_IiEEEENS6_16discard_iteratorINS6_11use_defaultEEESI_PmS8_NS6_8equal_toIjEEEE10hipError_tPvRmT2_T3_mT4_T5_T6_T7_T8_P12ihipStream_tbENKUlT_T0_E_clISt17integral_constantIbLb1EES15_IbLb0EEEEDaS11_S12_EUlS11_E_NS1_11comp_targetILNS1_3genE9ELNS1_11target_archE1100ELNS1_3gpuE3ELNS1_3repE0EEENS1_30default_config_static_selectorELNS0_4arch9wavefront6targetE1EEEvT1_: ; @_ZN7rocprim17ROCPRIM_400000_NS6detail17trampoline_kernelINS0_14default_configENS1_29reduce_by_key_config_selectorIjiN6thrust23THRUST_200600_302600_NS4plusIiEEEEZZNS1_33reduce_by_key_impl_wrapped_configILNS1_25lookback_scan_determinismE0ES3_S9_NS6_6detail15normal_iteratorINS6_10device_ptrIjEEEENSD_INSE_IiEEEENS6_16discard_iteratorINS6_11use_defaultEEESI_PmS8_NS6_8equal_toIjEEEE10hipError_tPvRmT2_T3_mT4_T5_T6_T7_T8_P12ihipStream_tbENKUlT_T0_E_clISt17integral_constantIbLb1EES15_IbLb0EEEEDaS11_S12_EUlS11_E_NS1_11comp_targetILNS1_3genE9ELNS1_11target_archE1100ELNS1_3gpuE3ELNS1_3repE0EEENS1_30default_config_static_selectorELNS0_4arch9wavefront6targetE1EEEvT1_
; %bb.0:
	.section	.rodata,"a",@progbits
	.p2align	6, 0x0
	.amdhsa_kernel _ZN7rocprim17ROCPRIM_400000_NS6detail17trampoline_kernelINS0_14default_configENS1_29reduce_by_key_config_selectorIjiN6thrust23THRUST_200600_302600_NS4plusIiEEEEZZNS1_33reduce_by_key_impl_wrapped_configILNS1_25lookback_scan_determinismE0ES3_S9_NS6_6detail15normal_iteratorINS6_10device_ptrIjEEEENSD_INSE_IiEEEENS6_16discard_iteratorINS6_11use_defaultEEESI_PmS8_NS6_8equal_toIjEEEE10hipError_tPvRmT2_T3_mT4_T5_T6_T7_T8_P12ihipStream_tbENKUlT_T0_E_clISt17integral_constantIbLb1EES15_IbLb0EEEEDaS11_S12_EUlS11_E_NS1_11comp_targetILNS1_3genE9ELNS1_11target_archE1100ELNS1_3gpuE3ELNS1_3repE0EEENS1_30default_config_static_selectorELNS0_4arch9wavefront6targetE1EEEvT1_
		.amdhsa_group_segment_fixed_size 0
		.amdhsa_private_segment_fixed_size 0
		.amdhsa_kernarg_size 128
		.amdhsa_user_sgpr_count 6
		.amdhsa_user_sgpr_private_segment_buffer 1
		.amdhsa_user_sgpr_dispatch_ptr 0
		.amdhsa_user_sgpr_queue_ptr 0
		.amdhsa_user_sgpr_kernarg_segment_ptr 1
		.amdhsa_user_sgpr_dispatch_id 0
		.amdhsa_user_sgpr_flat_scratch_init 0
		.amdhsa_user_sgpr_kernarg_preload_length 0
		.amdhsa_user_sgpr_kernarg_preload_offset 0
		.amdhsa_user_sgpr_private_segment_size 0
		.amdhsa_uses_dynamic_stack 0
		.amdhsa_system_sgpr_private_segment_wavefront_offset 0
		.amdhsa_system_sgpr_workgroup_id_x 1
		.amdhsa_system_sgpr_workgroup_id_y 0
		.amdhsa_system_sgpr_workgroup_id_z 0
		.amdhsa_system_sgpr_workgroup_info 0
		.amdhsa_system_vgpr_workitem_id 0
		.amdhsa_next_free_vgpr 1
		.amdhsa_next_free_sgpr 0
		.amdhsa_accum_offset 4
		.amdhsa_reserve_vcc 0
		.amdhsa_reserve_flat_scratch 0
		.amdhsa_float_round_mode_32 0
		.amdhsa_float_round_mode_16_64 0
		.amdhsa_float_denorm_mode_32 3
		.amdhsa_float_denorm_mode_16_64 3
		.amdhsa_dx10_clamp 1
		.amdhsa_ieee_mode 1
		.amdhsa_fp16_overflow 0
		.amdhsa_tg_split 0
		.amdhsa_exception_fp_ieee_invalid_op 0
		.amdhsa_exception_fp_denorm_src 0
		.amdhsa_exception_fp_ieee_div_zero 0
		.amdhsa_exception_fp_ieee_overflow 0
		.amdhsa_exception_fp_ieee_underflow 0
		.amdhsa_exception_fp_ieee_inexact 0
		.amdhsa_exception_int_div_zero 0
	.end_amdhsa_kernel
	.section	.text._ZN7rocprim17ROCPRIM_400000_NS6detail17trampoline_kernelINS0_14default_configENS1_29reduce_by_key_config_selectorIjiN6thrust23THRUST_200600_302600_NS4plusIiEEEEZZNS1_33reduce_by_key_impl_wrapped_configILNS1_25lookback_scan_determinismE0ES3_S9_NS6_6detail15normal_iteratorINS6_10device_ptrIjEEEENSD_INSE_IiEEEENS6_16discard_iteratorINS6_11use_defaultEEESI_PmS8_NS6_8equal_toIjEEEE10hipError_tPvRmT2_T3_mT4_T5_T6_T7_T8_P12ihipStream_tbENKUlT_T0_E_clISt17integral_constantIbLb1EES15_IbLb0EEEEDaS11_S12_EUlS11_E_NS1_11comp_targetILNS1_3genE9ELNS1_11target_archE1100ELNS1_3gpuE3ELNS1_3repE0EEENS1_30default_config_static_selectorELNS0_4arch9wavefront6targetE1EEEvT1_,"axG",@progbits,_ZN7rocprim17ROCPRIM_400000_NS6detail17trampoline_kernelINS0_14default_configENS1_29reduce_by_key_config_selectorIjiN6thrust23THRUST_200600_302600_NS4plusIiEEEEZZNS1_33reduce_by_key_impl_wrapped_configILNS1_25lookback_scan_determinismE0ES3_S9_NS6_6detail15normal_iteratorINS6_10device_ptrIjEEEENSD_INSE_IiEEEENS6_16discard_iteratorINS6_11use_defaultEEESI_PmS8_NS6_8equal_toIjEEEE10hipError_tPvRmT2_T3_mT4_T5_T6_T7_T8_P12ihipStream_tbENKUlT_T0_E_clISt17integral_constantIbLb1EES15_IbLb0EEEEDaS11_S12_EUlS11_E_NS1_11comp_targetILNS1_3genE9ELNS1_11target_archE1100ELNS1_3gpuE3ELNS1_3repE0EEENS1_30default_config_static_selectorELNS0_4arch9wavefront6targetE1EEEvT1_,comdat
.Lfunc_end1046:
	.size	_ZN7rocprim17ROCPRIM_400000_NS6detail17trampoline_kernelINS0_14default_configENS1_29reduce_by_key_config_selectorIjiN6thrust23THRUST_200600_302600_NS4plusIiEEEEZZNS1_33reduce_by_key_impl_wrapped_configILNS1_25lookback_scan_determinismE0ES3_S9_NS6_6detail15normal_iteratorINS6_10device_ptrIjEEEENSD_INSE_IiEEEENS6_16discard_iteratorINS6_11use_defaultEEESI_PmS8_NS6_8equal_toIjEEEE10hipError_tPvRmT2_T3_mT4_T5_T6_T7_T8_P12ihipStream_tbENKUlT_T0_E_clISt17integral_constantIbLb1EES15_IbLb0EEEEDaS11_S12_EUlS11_E_NS1_11comp_targetILNS1_3genE9ELNS1_11target_archE1100ELNS1_3gpuE3ELNS1_3repE0EEENS1_30default_config_static_selectorELNS0_4arch9wavefront6targetE1EEEvT1_, .Lfunc_end1046-_ZN7rocprim17ROCPRIM_400000_NS6detail17trampoline_kernelINS0_14default_configENS1_29reduce_by_key_config_selectorIjiN6thrust23THRUST_200600_302600_NS4plusIiEEEEZZNS1_33reduce_by_key_impl_wrapped_configILNS1_25lookback_scan_determinismE0ES3_S9_NS6_6detail15normal_iteratorINS6_10device_ptrIjEEEENSD_INSE_IiEEEENS6_16discard_iteratorINS6_11use_defaultEEESI_PmS8_NS6_8equal_toIjEEEE10hipError_tPvRmT2_T3_mT4_T5_T6_T7_T8_P12ihipStream_tbENKUlT_T0_E_clISt17integral_constantIbLb1EES15_IbLb0EEEEDaS11_S12_EUlS11_E_NS1_11comp_targetILNS1_3genE9ELNS1_11target_archE1100ELNS1_3gpuE3ELNS1_3repE0EEENS1_30default_config_static_selectorELNS0_4arch9wavefront6targetE1EEEvT1_
                                        ; -- End function
	.section	.AMDGPU.csdata,"",@progbits
; Kernel info:
; codeLenInByte = 0
; NumSgprs: 4
; NumVgprs: 0
; NumAgprs: 0
; TotalNumVgprs: 0
; ScratchSize: 0
; MemoryBound: 0
; FloatMode: 240
; IeeeMode: 1
; LDSByteSize: 0 bytes/workgroup (compile time only)
; SGPRBlocks: 0
; VGPRBlocks: 0
; NumSGPRsForWavesPerEU: 4
; NumVGPRsForWavesPerEU: 1
; AccumOffset: 4
; Occupancy: 8
; WaveLimiterHint : 0
; COMPUTE_PGM_RSRC2:SCRATCH_EN: 0
; COMPUTE_PGM_RSRC2:USER_SGPR: 6
; COMPUTE_PGM_RSRC2:TRAP_HANDLER: 0
; COMPUTE_PGM_RSRC2:TGID_X_EN: 1
; COMPUTE_PGM_RSRC2:TGID_Y_EN: 0
; COMPUTE_PGM_RSRC2:TGID_Z_EN: 0
; COMPUTE_PGM_RSRC2:TIDIG_COMP_CNT: 0
; COMPUTE_PGM_RSRC3_GFX90A:ACCUM_OFFSET: 0
; COMPUTE_PGM_RSRC3_GFX90A:TG_SPLIT: 0
	.section	.text._ZN7rocprim17ROCPRIM_400000_NS6detail17trampoline_kernelINS0_14default_configENS1_29reduce_by_key_config_selectorIjiN6thrust23THRUST_200600_302600_NS4plusIiEEEEZZNS1_33reduce_by_key_impl_wrapped_configILNS1_25lookback_scan_determinismE0ES3_S9_NS6_6detail15normal_iteratorINS6_10device_ptrIjEEEENSD_INSE_IiEEEENS6_16discard_iteratorINS6_11use_defaultEEESI_PmS8_NS6_8equal_toIjEEEE10hipError_tPvRmT2_T3_mT4_T5_T6_T7_T8_P12ihipStream_tbENKUlT_T0_E_clISt17integral_constantIbLb1EES15_IbLb0EEEEDaS11_S12_EUlS11_E_NS1_11comp_targetILNS1_3genE8ELNS1_11target_archE1030ELNS1_3gpuE2ELNS1_3repE0EEENS1_30default_config_static_selectorELNS0_4arch9wavefront6targetE1EEEvT1_,"axG",@progbits,_ZN7rocprim17ROCPRIM_400000_NS6detail17trampoline_kernelINS0_14default_configENS1_29reduce_by_key_config_selectorIjiN6thrust23THRUST_200600_302600_NS4plusIiEEEEZZNS1_33reduce_by_key_impl_wrapped_configILNS1_25lookback_scan_determinismE0ES3_S9_NS6_6detail15normal_iteratorINS6_10device_ptrIjEEEENSD_INSE_IiEEEENS6_16discard_iteratorINS6_11use_defaultEEESI_PmS8_NS6_8equal_toIjEEEE10hipError_tPvRmT2_T3_mT4_T5_T6_T7_T8_P12ihipStream_tbENKUlT_T0_E_clISt17integral_constantIbLb1EES15_IbLb0EEEEDaS11_S12_EUlS11_E_NS1_11comp_targetILNS1_3genE8ELNS1_11target_archE1030ELNS1_3gpuE2ELNS1_3repE0EEENS1_30default_config_static_selectorELNS0_4arch9wavefront6targetE1EEEvT1_,comdat
	.protected	_ZN7rocprim17ROCPRIM_400000_NS6detail17trampoline_kernelINS0_14default_configENS1_29reduce_by_key_config_selectorIjiN6thrust23THRUST_200600_302600_NS4plusIiEEEEZZNS1_33reduce_by_key_impl_wrapped_configILNS1_25lookback_scan_determinismE0ES3_S9_NS6_6detail15normal_iteratorINS6_10device_ptrIjEEEENSD_INSE_IiEEEENS6_16discard_iteratorINS6_11use_defaultEEESI_PmS8_NS6_8equal_toIjEEEE10hipError_tPvRmT2_T3_mT4_T5_T6_T7_T8_P12ihipStream_tbENKUlT_T0_E_clISt17integral_constantIbLb1EES15_IbLb0EEEEDaS11_S12_EUlS11_E_NS1_11comp_targetILNS1_3genE8ELNS1_11target_archE1030ELNS1_3gpuE2ELNS1_3repE0EEENS1_30default_config_static_selectorELNS0_4arch9wavefront6targetE1EEEvT1_ ; -- Begin function _ZN7rocprim17ROCPRIM_400000_NS6detail17trampoline_kernelINS0_14default_configENS1_29reduce_by_key_config_selectorIjiN6thrust23THRUST_200600_302600_NS4plusIiEEEEZZNS1_33reduce_by_key_impl_wrapped_configILNS1_25lookback_scan_determinismE0ES3_S9_NS6_6detail15normal_iteratorINS6_10device_ptrIjEEEENSD_INSE_IiEEEENS6_16discard_iteratorINS6_11use_defaultEEESI_PmS8_NS6_8equal_toIjEEEE10hipError_tPvRmT2_T3_mT4_T5_T6_T7_T8_P12ihipStream_tbENKUlT_T0_E_clISt17integral_constantIbLb1EES15_IbLb0EEEEDaS11_S12_EUlS11_E_NS1_11comp_targetILNS1_3genE8ELNS1_11target_archE1030ELNS1_3gpuE2ELNS1_3repE0EEENS1_30default_config_static_selectorELNS0_4arch9wavefront6targetE1EEEvT1_
	.globl	_ZN7rocprim17ROCPRIM_400000_NS6detail17trampoline_kernelINS0_14default_configENS1_29reduce_by_key_config_selectorIjiN6thrust23THRUST_200600_302600_NS4plusIiEEEEZZNS1_33reduce_by_key_impl_wrapped_configILNS1_25lookback_scan_determinismE0ES3_S9_NS6_6detail15normal_iteratorINS6_10device_ptrIjEEEENSD_INSE_IiEEEENS6_16discard_iteratorINS6_11use_defaultEEESI_PmS8_NS6_8equal_toIjEEEE10hipError_tPvRmT2_T3_mT4_T5_T6_T7_T8_P12ihipStream_tbENKUlT_T0_E_clISt17integral_constantIbLb1EES15_IbLb0EEEEDaS11_S12_EUlS11_E_NS1_11comp_targetILNS1_3genE8ELNS1_11target_archE1030ELNS1_3gpuE2ELNS1_3repE0EEENS1_30default_config_static_selectorELNS0_4arch9wavefront6targetE1EEEvT1_
	.p2align	8
	.type	_ZN7rocprim17ROCPRIM_400000_NS6detail17trampoline_kernelINS0_14default_configENS1_29reduce_by_key_config_selectorIjiN6thrust23THRUST_200600_302600_NS4plusIiEEEEZZNS1_33reduce_by_key_impl_wrapped_configILNS1_25lookback_scan_determinismE0ES3_S9_NS6_6detail15normal_iteratorINS6_10device_ptrIjEEEENSD_INSE_IiEEEENS6_16discard_iteratorINS6_11use_defaultEEESI_PmS8_NS6_8equal_toIjEEEE10hipError_tPvRmT2_T3_mT4_T5_T6_T7_T8_P12ihipStream_tbENKUlT_T0_E_clISt17integral_constantIbLb1EES15_IbLb0EEEEDaS11_S12_EUlS11_E_NS1_11comp_targetILNS1_3genE8ELNS1_11target_archE1030ELNS1_3gpuE2ELNS1_3repE0EEENS1_30default_config_static_selectorELNS0_4arch9wavefront6targetE1EEEvT1_,@function
_ZN7rocprim17ROCPRIM_400000_NS6detail17trampoline_kernelINS0_14default_configENS1_29reduce_by_key_config_selectorIjiN6thrust23THRUST_200600_302600_NS4plusIiEEEEZZNS1_33reduce_by_key_impl_wrapped_configILNS1_25lookback_scan_determinismE0ES3_S9_NS6_6detail15normal_iteratorINS6_10device_ptrIjEEEENSD_INSE_IiEEEENS6_16discard_iteratorINS6_11use_defaultEEESI_PmS8_NS6_8equal_toIjEEEE10hipError_tPvRmT2_T3_mT4_T5_T6_T7_T8_P12ihipStream_tbENKUlT_T0_E_clISt17integral_constantIbLb1EES15_IbLb0EEEEDaS11_S12_EUlS11_E_NS1_11comp_targetILNS1_3genE8ELNS1_11target_archE1030ELNS1_3gpuE2ELNS1_3repE0EEENS1_30default_config_static_selectorELNS0_4arch9wavefront6targetE1EEEvT1_: ; @_ZN7rocprim17ROCPRIM_400000_NS6detail17trampoline_kernelINS0_14default_configENS1_29reduce_by_key_config_selectorIjiN6thrust23THRUST_200600_302600_NS4plusIiEEEEZZNS1_33reduce_by_key_impl_wrapped_configILNS1_25lookback_scan_determinismE0ES3_S9_NS6_6detail15normal_iteratorINS6_10device_ptrIjEEEENSD_INSE_IiEEEENS6_16discard_iteratorINS6_11use_defaultEEESI_PmS8_NS6_8equal_toIjEEEE10hipError_tPvRmT2_T3_mT4_T5_T6_T7_T8_P12ihipStream_tbENKUlT_T0_E_clISt17integral_constantIbLb1EES15_IbLb0EEEEDaS11_S12_EUlS11_E_NS1_11comp_targetILNS1_3genE8ELNS1_11target_archE1030ELNS1_3gpuE2ELNS1_3repE0EEENS1_30default_config_static_selectorELNS0_4arch9wavefront6targetE1EEEvT1_
; %bb.0:
	.section	.rodata,"a",@progbits
	.p2align	6, 0x0
	.amdhsa_kernel _ZN7rocprim17ROCPRIM_400000_NS6detail17trampoline_kernelINS0_14default_configENS1_29reduce_by_key_config_selectorIjiN6thrust23THRUST_200600_302600_NS4plusIiEEEEZZNS1_33reduce_by_key_impl_wrapped_configILNS1_25lookback_scan_determinismE0ES3_S9_NS6_6detail15normal_iteratorINS6_10device_ptrIjEEEENSD_INSE_IiEEEENS6_16discard_iteratorINS6_11use_defaultEEESI_PmS8_NS6_8equal_toIjEEEE10hipError_tPvRmT2_T3_mT4_T5_T6_T7_T8_P12ihipStream_tbENKUlT_T0_E_clISt17integral_constantIbLb1EES15_IbLb0EEEEDaS11_S12_EUlS11_E_NS1_11comp_targetILNS1_3genE8ELNS1_11target_archE1030ELNS1_3gpuE2ELNS1_3repE0EEENS1_30default_config_static_selectorELNS0_4arch9wavefront6targetE1EEEvT1_
		.amdhsa_group_segment_fixed_size 0
		.amdhsa_private_segment_fixed_size 0
		.amdhsa_kernarg_size 128
		.amdhsa_user_sgpr_count 6
		.amdhsa_user_sgpr_private_segment_buffer 1
		.amdhsa_user_sgpr_dispatch_ptr 0
		.amdhsa_user_sgpr_queue_ptr 0
		.amdhsa_user_sgpr_kernarg_segment_ptr 1
		.amdhsa_user_sgpr_dispatch_id 0
		.amdhsa_user_sgpr_flat_scratch_init 0
		.amdhsa_user_sgpr_kernarg_preload_length 0
		.amdhsa_user_sgpr_kernarg_preload_offset 0
		.amdhsa_user_sgpr_private_segment_size 0
		.amdhsa_uses_dynamic_stack 0
		.amdhsa_system_sgpr_private_segment_wavefront_offset 0
		.amdhsa_system_sgpr_workgroup_id_x 1
		.amdhsa_system_sgpr_workgroup_id_y 0
		.amdhsa_system_sgpr_workgroup_id_z 0
		.amdhsa_system_sgpr_workgroup_info 0
		.amdhsa_system_vgpr_workitem_id 0
		.amdhsa_next_free_vgpr 1
		.amdhsa_next_free_sgpr 0
		.amdhsa_accum_offset 4
		.amdhsa_reserve_vcc 0
		.amdhsa_reserve_flat_scratch 0
		.amdhsa_float_round_mode_32 0
		.amdhsa_float_round_mode_16_64 0
		.amdhsa_float_denorm_mode_32 3
		.amdhsa_float_denorm_mode_16_64 3
		.amdhsa_dx10_clamp 1
		.amdhsa_ieee_mode 1
		.amdhsa_fp16_overflow 0
		.amdhsa_tg_split 0
		.amdhsa_exception_fp_ieee_invalid_op 0
		.amdhsa_exception_fp_denorm_src 0
		.amdhsa_exception_fp_ieee_div_zero 0
		.amdhsa_exception_fp_ieee_overflow 0
		.amdhsa_exception_fp_ieee_underflow 0
		.amdhsa_exception_fp_ieee_inexact 0
		.amdhsa_exception_int_div_zero 0
	.end_amdhsa_kernel
	.section	.text._ZN7rocprim17ROCPRIM_400000_NS6detail17trampoline_kernelINS0_14default_configENS1_29reduce_by_key_config_selectorIjiN6thrust23THRUST_200600_302600_NS4plusIiEEEEZZNS1_33reduce_by_key_impl_wrapped_configILNS1_25lookback_scan_determinismE0ES3_S9_NS6_6detail15normal_iteratorINS6_10device_ptrIjEEEENSD_INSE_IiEEEENS6_16discard_iteratorINS6_11use_defaultEEESI_PmS8_NS6_8equal_toIjEEEE10hipError_tPvRmT2_T3_mT4_T5_T6_T7_T8_P12ihipStream_tbENKUlT_T0_E_clISt17integral_constantIbLb1EES15_IbLb0EEEEDaS11_S12_EUlS11_E_NS1_11comp_targetILNS1_3genE8ELNS1_11target_archE1030ELNS1_3gpuE2ELNS1_3repE0EEENS1_30default_config_static_selectorELNS0_4arch9wavefront6targetE1EEEvT1_,"axG",@progbits,_ZN7rocprim17ROCPRIM_400000_NS6detail17trampoline_kernelINS0_14default_configENS1_29reduce_by_key_config_selectorIjiN6thrust23THRUST_200600_302600_NS4plusIiEEEEZZNS1_33reduce_by_key_impl_wrapped_configILNS1_25lookback_scan_determinismE0ES3_S9_NS6_6detail15normal_iteratorINS6_10device_ptrIjEEEENSD_INSE_IiEEEENS6_16discard_iteratorINS6_11use_defaultEEESI_PmS8_NS6_8equal_toIjEEEE10hipError_tPvRmT2_T3_mT4_T5_T6_T7_T8_P12ihipStream_tbENKUlT_T0_E_clISt17integral_constantIbLb1EES15_IbLb0EEEEDaS11_S12_EUlS11_E_NS1_11comp_targetILNS1_3genE8ELNS1_11target_archE1030ELNS1_3gpuE2ELNS1_3repE0EEENS1_30default_config_static_selectorELNS0_4arch9wavefront6targetE1EEEvT1_,comdat
.Lfunc_end1047:
	.size	_ZN7rocprim17ROCPRIM_400000_NS6detail17trampoline_kernelINS0_14default_configENS1_29reduce_by_key_config_selectorIjiN6thrust23THRUST_200600_302600_NS4plusIiEEEEZZNS1_33reduce_by_key_impl_wrapped_configILNS1_25lookback_scan_determinismE0ES3_S9_NS6_6detail15normal_iteratorINS6_10device_ptrIjEEEENSD_INSE_IiEEEENS6_16discard_iteratorINS6_11use_defaultEEESI_PmS8_NS6_8equal_toIjEEEE10hipError_tPvRmT2_T3_mT4_T5_T6_T7_T8_P12ihipStream_tbENKUlT_T0_E_clISt17integral_constantIbLb1EES15_IbLb0EEEEDaS11_S12_EUlS11_E_NS1_11comp_targetILNS1_3genE8ELNS1_11target_archE1030ELNS1_3gpuE2ELNS1_3repE0EEENS1_30default_config_static_selectorELNS0_4arch9wavefront6targetE1EEEvT1_, .Lfunc_end1047-_ZN7rocprim17ROCPRIM_400000_NS6detail17trampoline_kernelINS0_14default_configENS1_29reduce_by_key_config_selectorIjiN6thrust23THRUST_200600_302600_NS4plusIiEEEEZZNS1_33reduce_by_key_impl_wrapped_configILNS1_25lookback_scan_determinismE0ES3_S9_NS6_6detail15normal_iteratorINS6_10device_ptrIjEEEENSD_INSE_IiEEEENS6_16discard_iteratorINS6_11use_defaultEEESI_PmS8_NS6_8equal_toIjEEEE10hipError_tPvRmT2_T3_mT4_T5_T6_T7_T8_P12ihipStream_tbENKUlT_T0_E_clISt17integral_constantIbLb1EES15_IbLb0EEEEDaS11_S12_EUlS11_E_NS1_11comp_targetILNS1_3genE8ELNS1_11target_archE1030ELNS1_3gpuE2ELNS1_3repE0EEENS1_30default_config_static_selectorELNS0_4arch9wavefront6targetE1EEEvT1_
                                        ; -- End function
	.section	.AMDGPU.csdata,"",@progbits
; Kernel info:
; codeLenInByte = 0
; NumSgprs: 4
; NumVgprs: 0
; NumAgprs: 0
; TotalNumVgprs: 0
; ScratchSize: 0
; MemoryBound: 0
; FloatMode: 240
; IeeeMode: 1
; LDSByteSize: 0 bytes/workgroup (compile time only)
; SGPRBlocks: 0
; VGPRBlocks: 0
; NumSGPRsForWavesPerEU: 4
; NumVGPRsForWavesPerEU: 1
; AccumOffset: 4
; Occupancy: 8
; WaveLimiterHint : 0
; COMPUTE_PGM_RSRC2:SCRATCH_EN: 0
; COMPUTE_PGM_RSRC2:USER_SGPR: 6
; COMPUTE_PGM_RSRC2:TRAP_HANDLER: 0
; COMPUTE_PGM_RSRC2:TGID_X_EN: 1
; COMPUTE_PGM_RSRC2:TGID_Y_EN: 0
; COMPUTE_PGM_RSRC2:TGID_Z_EN: 0
; COMPUTE_PGM_RSRC2:TIDIG_COMP_CNT: 0
; COMPUTE_PGM_RSRC3_GFX90A:ACCUM_OFFSET: 0
; COMPUTE_PGM_RSRC3_GFX90A:TG_SPLIT: 0
	.section	.text._ZN7rocprim17ROCPRIM_400000_NS6detail17trampoline_kernelINS0_14default_configENS1_29reduce_by_key_config_selectorIjiN6thrust23THRUST_200600_302600_NS4plusIiEEEEZZNS1_33reduce_by_key_impl_wrapped_configILNS1_25lookback_scan_determinismE0ES3_S9_NS6_6detail15normal_iteratorINS6_10device_ptrIjEEEENSD_INSE_IiEEEENS6_16discard_iteratorINS6_11use_defaultEEESI_PmS8_NS6_8equal_toIjEEEE10hipError_tPvRmT2_T3_mT4_T5_T6_T7_T8_P12ihipStream_tbENKUlT_T0_E_clISt17integral_constantIbLb0EES15_IbLb1EEEEDaS11_S12_EUlS11_E_NS1_11comp_targetILNS1_3genE0ELNS1_11target_archE4294967295ELNS1_3gpuE0ELNS1_3repE0EEENS1_30default_config_static_selectorELNS0_4arch9wavefront6targetE1EEEvT1_,"axG",@progbits,_ZN7rocprim17ROCPRIM_400000_NS6detail17trampoline_kernelINS0_14default_configENS1_29reduce_by_key_config_selectorIjiN6thrust23THRUST_200600_302600_NS4plusIiEEEEZZNS1_33reduce_by_key_impl_wrapped_configILNS1_25lookback_scan_determinismE0ES3_S9_NS6_6detail15normal_iteratorINS6_10device_ptrIjEEEENSD_INSE_IiEEEENS6_16discard_iteratorINS6_11use_defaultEEESI_PmS8_NS6_8equal_toIjEEEE10hipError_tPvRmT2_T3_mT4_T5_T6_T7_T8_P12ihipStream_tbENKUlT_T0_E_clISt17integral_constantIbLb0EES15_IbLb1EEEEDaS11_S12_EUlS11_E_NS1_11comp_targetILNS1_3genE0ELNS1_11target_archE4294967295ELNS1_3gpuE0ELNS1_3repE0EEENS1_30default_config_static_selectorELNS0_4arch9wavefront6targetE1EEEvT1_,comdat
	.protected	_ZN7rocprim17ROCPRIM_400000_NS6detail17trampoline_kernelINS0_14default_configENS1_29reduce_by_key_config_selectorIjiN6thrust23THRUST_200600_302600_NS4plusIiEEEEZZNS1_33reduce_by_key_impl_wrapped_configILNS1_25lookback_scan_determinismE0ES3_S9_NS6_6detail15normal_iteratorINS6_10device_ptrIjEEEENSD_INSE_IiEEEENS6_16discard_iteratorINS6_11use_defaultEEESI_PmS8_NS6_8equal_toIjEEEE10hipError_tPvRmT2_T3_mT4_T5_T6_T7_T8_P12ihipStream_tbENKUlT_T0_E_clISt17integral_constantIbLb0EES15_IbLb1EEEEDaS11_S12_EUlS11_E_NS1_11comp_targetILNS1_3genE0ELNS1_11target_archE4294967295ELNS1_3gpuE0ELNS1_3repE0EEENS1_30default_config_static_selectorELNS0_4arch9wavefront6targetE1EEEvT1_ ; -- Begin function _ZN7rocprim17ROCPRIM_400000_NS6detail17trampoline_kernelINS0_14default_configENS1_29reduce_by_key_config_selectorIjiN6thrust23THRUST_200600_302600_NS4plusIiEEEEZZNS1_33reduce_by_key_impl_wrapped_configILNS1_25lookback_scan_determinismE0ES3_S9_NS6_6detail15normal_iteratorINS6_10device_ptrIjEEEENSD_INSE_IiEEEENS6_16discard_iteratorINS6_11use_defaultEEESI_PmS8_NS6_8equal_toIjEEEE10hipError_tPvRmT2_T3_mT4_T5_T6_T7_T8_P12ihipStream_tbENKUlT_T0_E_clISt17integral_constantIbLb0EES15_IbLb1EEEEDaS11_S12_EUlS11_E_NS1_11comp_targetILNS1_3genE0ELNS1_11target_archE4294967295ELNS1_3gpuE0ELNS1_3repE0EEENS1_30default_config_static_selectorELNS0_4arch9wavefront6targetE1EEEvT1_
	.globl	_ZN7rocprim17ROCPRIM_400000_NS6detail17trampoline_kernelINS0_14default_configENS1_29reduce_by_key_config_selectorIjiN6thrust23THRUST_200600_302600_NS4plusIiEEEEZZNS1_33reduce_by_key_impl_wrapped_configILNS1_25lookback_scan_determinismE0ES3_S9_NS6_6detail15normal_iteratorINS6_10device_ptrIjEEEENSD_INSE_IiEEEENS6_16discard_iteratorINS6_11use_defaultEEESI_PmS8_NS6_8equal_toIjEEEE10hipError_tPvRmT2_T3_mT4_T5_T6_T7_T8_P12ihipStream_tbENKUlT_T0_E_clISt17integral_constantIbLb0EES15_IbLb1EEEEDaS11_S12_EUlS11_E_NS1_11comp_targetILNS1_3genE0ELNS1_11target_archE4294967295ELNS1_3gpuE0ELNS1_3repE0EEENS1_30default_config_static_selectorELNS0_4arch9wavefront6targetE1EEEvT1_
	.p2align	8
	.type	_ZN7rocprim17ROCPRIM_400000_NS6detail17trampoline_kernelINS0_14default_configENS1_29reduce_by_key_config_selectorIjiN6thrust23THRUST_200600_302600_NS4plusIiEEEEZZNS1_33reduce_by_key_impl_wrapped_configILNS1_25lookback_scan_determinismE0ES3_S9_NS6_6detail15normal_iteratorINS6_10device_ptrIjEEEENSD_INSE_IiEEEENS6_16discard_iteratorINS6_11use_defaultEEESI_PmS8_NS6_8equal_toIjEEEE10hipError_tPvRmT2_T3_mT4_T5_T6_T7_T8_P12ihipStream_tbENKUlT_T0_E_clISt17integral_constantIbLb0EES15_IbLb1EEEEDaS11_S12_EUlS11_E_NS1_11comp_targetILNS1_3genE0ELNS1_11target_archE4294967295ELNS1_3gpuE0ELNS1_3repE0EEENS1_30default_config_static_selectorELNS0_4arch9wavefront6targetE1EEEvT1_,@function
_ZN7rocprim17ROCPRIM_400000_NS6detail17trampoline_kernelINS0_14default_configENS1_29reduce_by_key_config_selectorIjiN6thrust23THRUST_200600_302600_NS4plusIiEEEEZZNS1_33reduce_by_key_impl_wrapped_configILNS1_25lookback_scan_determinismE0ES3_S9_NS6_6detail15normal_iteratorINS6_10device_ptrIjEEEENSD_INSE_IiEEEENS6_16discard_iteratorINS6_11use_defaultEEESI_PmS8_NS6_8equal_toIjEEEE10hipError_tPvRmT2_T3_mT4_T5_T6_T7_T8_P12ihipStream_tbENKUlT_T0_E_clISt17integral_constantIbLb0EES15_IbLb1EEEEDaS11_S12_EUlS11_E_NS1_11comp_targetILNS1_3genE0ELNS1_11target_archE4294967295ELNS1_3gpuE0ELNS1_3repE0EEENS1_30default_config_static_selectorELNS0_4arch9wavefront6targetE1EEEvT1_: ; @_ZN7rocprim17ROCPRIM_400000_NS6detail17trampoline_kernelINS0_14default_configENS1_29reduce_by_key_config_selectorIjiN6thrust23THRUST_200600_302600_NS4plusIiEEEEZZNS1_33reduce_by_key_impl_wrapped_configILNS1_25lookback_scan_determinismE0ES3_S9_NS6_6detail15normal_iteratorINS6_10device_ptrIjEEEENSD_INSE_IiEEEENS6_16discard_iteratorINS6_11use_defaultEEESI_PmS8_NS6_8equal_toIjEEEE10hipError_tPvRmT2_T3_mT4_T5_T6_T7_T8_P12ihipStream_tbENKUlT_T0_E_clISt17integral_constantIbLb0EES15_IbLb1EEEEDaS11_S12_EUlS11_E_NS1_11comp_targetILNS1_3genE0ELNS1_11target_archE4294967295ELNS1_3gpuE0ELNS1_3repE0EEENS1_30default_config_static_selectorELNS0_4arch9wavefront6targetE1EEEvT1_
; %bb.0:
	.section	.rodata,"a",@progbits
	.p2align	6, 0x0
	.amdhsa_kernel _ZN7rocprim17ROCPRIM_400000_NS6detail17trampoline_kernelINS0_14default_configENS1_29reduce_by_key_config_selectorIjiN6thrust23THRUST_200600_302600_NS4plusIiEEEEZZNS1_33reduce_by_key_impl_wrapped_configILNS1_25lookback_scan_determinismE0ES3_S9_NS6_6detail15normal_iteratorINS6_10device_ptrIjEEEENSD_INSE_IiEEEENS6_16discard_iteratorINS6_11use_defaultEEESI_PmS8_NS6_8equal_toIjEEEE10hipError_tPvRmT2_T3_mT4_T5_T6_T7_T8_P12ihipStream_tbENKUlT_T0_E_clISt17integral_constantIbLb0EES15_IbLb1EEEEDaS11_S12_EUlS11_E_NS1_11comp_targetILNS1_3genE0ELNS1_11target_archE4294967295ELNS1_3gpuE0ELNS1_3repE0EEENS1_30default_config_static_selectorELNS0_4arch9wavefront6targetE1EEEvT1_
		.amdhsa_group_segment_fixed_size 0
		.amdhsa_private_segment_fixed_size 0
		.amdhsa_kernarg_size 128
		.amdhsa_user_sgpr_count 6
		.amdhsa_user_sgpr_private_segment_buffer 1
		.amdhsa_user_sgpr_dispatch_ptr 0
		.amdhsa_user_sgpr_queue_ptr 0
		.amdhsa_user_sgpr_kernarg_segment_ptr 1
		.amdhsa_user_sgpr_dispatch_id 0
		.amdhsa_user_sgpr_flat_scratch_init 0
		.amdhsa_user_sgpr_kernarg_preload_length 0
		.amdhsa_user_sgpr_kernarg_preload_offset 0
		.amdhsa_user_sgpr_private_segment_size 0
		.amdhsa_uses_dynamic_stack 0
		.amdhsa_system_sgpr_private_segment_wavefront_offset 0
		.amdhsa_system_sgpr_workgroup_id_x 1
		.amdhsa_system_sgpr_workgroup_id_y 0
		.amdhsa_system_sgpr_workgroup_id_z 0
		.amdhsa_system_sgpr_workgroup_info 0
		.amdhsa_system_vgpr_workitem_id 0
		.amdhsa_next_free_vgpr 1
		.amdhsa_next_free_sgpr 0
		.amdhsa_accum_offset 4
		.amdhsa_reserve_vcc 0
		.amdhsa_reserve_flat_scratch 0
		.amdhsa_float_round_mode_32 0
		.amdhsa_float_round_mode_16_64 0
		.amdhsa_float_denorm_mode_32 3
		.amdhsa_float_denorm_mode_16_64 3
		.amdhsa_dx10_clamp 1
		.amdhsa_ieee_mode 1
		.amdhsa_fp16_overflow 0
		.amdhsa_tg_split 0
		.amdhsa_exception_fp_ieee_invalid_op 0
		.amdhsa_exception_fp_denorm_src 0
		.amdhsa_exception_fp_ieee_div_zero 0
		.amdhsa_exception_fp_ieee_overflow 0
		.amdhsa_exception_fp_ieee_underflow 0
		.amdhsa_exception_fp_ieee_inexact 0
		.amdhsa_exception_int_div_zero 0
	.end_amdhsa_kernel
	.section	.text._ZN7rocprim17ROCPRIM_400000_NS6detail17trampoline_kernelINS0_14default_configENS1_29reduce_by_key_config_selectorIjiN6thrust23THRUST_200600_302600_NS4plusIiEEEEZZNS1_33reduce_by_key_impl_wrapped_configILNS1_25lookback_scan_determinismE0ES3_S9_NS6_6detail15normal_iteratorINS6_10device_ptrIjEEEENSD_INSE_IiEEEENS6_16discard_iteratorINS6_11use_defaultEEESI_PmS8_NS6_8equal_toIjEEEE10hipError_tPvRmT2_T3_mT4_T5_T6_T7_T8_P12ihipStream_tbENKUlT_T0_E_clISt17integral_constantIbLb0EES15_IbLb1EEEEDaS11_S12_EUlS11_E_NS1_11comp_targetILNS1_3genE0ELNS1_11target_archE4294967295ELNS1_3gpuE0ELNS1_3repE0EEENS1_30default_config_static_selectorELNS0_4arch9wavefront6targetE1EEEvT1_,"axG",@progbits,_ZN7rocprim17ROCPRIM_400000_NS6detail17trampoline_kernelINS0_14default_configENS1_29reduce_by_key_config_selectorIjiN6thrust23THRUST_200600_302600_NS4plusIiEEEEZZNS1_33reduce_by_key_impl_wrapped_configILNS1_25lookback_scan_determinismE0ES3_S9_NS6_6detail15normal_iteratorINS6_10device_ptrIjEEEENSD_INSE_IiEEEENS6_16discard_iteratorINS6_11use_defaultEEESI_PmS8_NS6_8equal_toIjEEEE10hipError_tPvRmT2_T3_mT4_T5_T6_T7_T8_P12ihipStream_tbENKUlT_T0_E_clISt17integral_constantIbLb0EES15_IbLb1EEEEDaS11_S12_EUlS11_E_NS1_11comp_targetILNS1_3genE0ELNS1_11target_archE4294967295ELNS1_3gpuE0ELNS1_3repE0EEENS1_30default_config_static_selectorELNS0_4arch9wavefront6targetE1EEEvT1_,comdat
.Lfunc_end1048:
	.size	_ZN7rocprim17ROCPRIM_400000_NS6detail17trampoline_kernelINS0_14default_configENS1_29reduce_by_key_config_selectorIjiN6thrust23THRUST_200600_302600_NS4plusIiEEEEZZNS1_33reduce_by_key_impl_wrapped_configILNS1_25lookback_scan_determinismE0ES3_S9_NS6_6detail15normal_iteratorINS6_10device_ptrIjEEEENSD_INSE_IiEEEENS6_16discard_iteratorINS6_11use_defaultEEESI_PmS8_NS6_8equal_toIjEEEE10hipError_tPvRmT2_T3_mT4_T5_T6_T7_T8_P12ihipStream_tbENKUlT_T0_E_clISt17integral_constantIbLb0EES15_IbLb1EEEEDaS11_S12_EUlS11_E_NS1_11comp_targetILNS1_3genE0ELNS1_11target_archE4294967295ELNS1_3gpuE0ELNS1_3repE0EEENS1_30default_config_static_selectorELNS0_4arch9wavefront6targetE1EEEvT1_, .Lfunc_end1048-_ZN7rocprim17ROCPRIM_400000_NS6detail17trampoline_kernelINS0_14default_configENS1_29reduce_by_key_config_selectorIjiN6thrust23THRUST_200600_302600_NS4plusIiEEEEZZNS1_33reduce_by_key_impl_wrapped_configILNS1_25lookback_scan_determinismE0ES3_S9_NS6_6detail15normal_iteratorINS6_10device_ptrIjEEEENSD_INSE_IiEEEENS6_16discard_iteratorINS6_11use_defaultEEESI_PmS8_NS6_8equal_toIjEEEE10hipError_tPvRmT2_T3_mT4_T5_T6_T7_T8_P12ihipStream_tbENKUlT_T0_E_clISt17integral_constantIbLb0EES15_IbLb1EEEEDaS11_S12_EUlS11_E_NS1_11comp_targetILNS1_3genE0ELNS1_11target_archE4294967295ELNS1_3gpuE0ELNS1_3repE0EEENS1_30default_config_static_selectorELNS0_4arch9wavefront6targetE1EEEvT1_
                                        ; -- End function
	.section	.AMDGPU.csdata,"",@progbits
; Kernel info:
; codeLenInByte = 0
; NumSgprs: 4
; NumVgprs: 0
; NumAgprs: 0
; TotalNumVgprs: 0
; ScratchSize: 0
; MemoryBound: 0
; FloatMode: 240
; IeeeMode: 1
; LDSByteSize: 0 bytes/workgroup (compile time only)
; SGPRBlocks: 0
; VGPRBlocks: 0
; NumSGPRsForWavesPerEU: 4
; NumVGPRsForWavesPerEU: 1
; AccumOffset: 4
; Occupancy: 8
; WaveLimiterHint : 0
; COMPUTE_PGM_RSRC2:SCRATCH_EN: 0
; COMPUTE_PGM_RSRC2:USER_SGPR: 6
; COMPUTE_PGM_RSRC2:TRAP_HANDLER: 0
; COMPUTE_PGM_RSRC2:TGID_X_EN: 1
; COMPUTE_PGM_RSRC2:TGID_Y_EN: 0
; COMPUTE_PGM_RSRC2:TGID_Z_EN: 0
; COMPUTE_PGM_RSRC2:TIDIG_COMP_CNT: 0
; COMPUTE_PGM_RSRC3_GFX90A:ACCUM_OFFSET: 0
; COMPUTE_PGM_RSRC3_GFX90A:TG_SPLIT: 0
	.section	.text._ZN7rocprim17ROCPRIM_400000_NS6detail17trampoline_kernelINS0_14default_configENS1_29reduce_by_key_config_selectorIjiN6thrust23THRUST_200600_302600_NS4plusIiEEEEZZNS1_33reduce_by_key_impl_wrapped_configILNS1_25lookback_scan_determinismE0ES3_S9_NS6_6detail15normal_iteratorINS6_10device_ptrIjEEEENSD_INSE_IiEEEENS6_16discard_iteratorINS6_11use_defaultEEESI_PmS8_NS6_8equal_toIjEEEE10hipError_tPvRmT2_T3_mT4_T5_T6_T7_T8_P12ihipStream_tbENKUlT_T0_E_clISt17integral_constantIbLb0EES15_IbLb1EEEEDaS11_S12_EUlS11_E_NS1_11comp_targetILNS1_3genE5ELNS1_11target_archE942ELNS1_3gpuE9ELNS1_3repE0EEENS1_30default_config_static_selectorELNS0_4arch9wavefront6targetE1EEEvT1_,"axG",@progbits,_ZN7rocprim17ROCPRIM_400000_NS6detail17trampoline_kernelINS0_14default_configENS1_29reduce_by_key_config_selectorIjiN6thrust23THRUST_200600_302600_NS4plusIiEEEEZZNS1_33reduce_by_key_impl_wrapped_configILNS1_25lookback_scan_determinismE0ES3_S9_NS6_6detail15normal_iteratorINS6_10device_ptrIjEEEENSD_INSE_IiEEEENS6_16discard_iteratorINS6_11use_defaultEEESI_PmS8_NS6_8equal_toIjEEEE10hipError_tPvRmT2_T3_mT4_T5_T6_T7_T8_P12ihipStream_tbENKUlT_T0_E_clISt17integral_constantIbLb0EES15_IbLb1EEEEDaS11_S12_EUlS11_E_NS1_11comp_targetILNS1_3genE5ELNS1_11target_archE942ELNS1_3gpuE9ELNS1_3repE0EEENS1_30default_config_static_selectorELNS0_4arch9wavefront6targetE1EEEvT1_,comdat
	.protected	_ZN7rocprim17ROCPRIM_400000_NS6detail17trampoline_kernelINS0_14default_configENS1_29reduce_by_key_config_selectorIjiN6thrust23THRUST_200600_302600_NS4plusIiEEEEZZNS1_33reduce_by_key_impl_wrapped_configILNS1_25lookback_scan_determinismE0ES3_S9_NS6_6detail15normal_iteratorINS6_10device_ptrIjEEEENSD_INSE_IiEEEENS6_16discard_iteratorINS6_11use_defaultEEESI_PmS8_NS6_8equal_toIjEEEE10hipError_tPvRmT2_T3_mT4_T5_T6_T7_T8_P12ihipStream_tbENKUlT_T0_E_clISt17integral_constantIbLb0EES15_IbLb1EEEEDaS11_S12_EUlS11_E_NS1_11comp_targetILNS1_3genE5ELNS1_11target_archE942ELNS1_3gpuE9ELNS1_3repE0EEENS1_30default_config_static_selectorELNS0_4arch9wavefront6targetE1EEEvT1_ ; -- Begin function _ZN7rocprim17ROCPRIM_400000_NS6detail17trampoline_kernelINS0_14default_configENS1_29reduce_by_key_config_selectorIjiN6thrust23THRUST_200600_302600_NS4plusIiEEEEZZNS1_33reduce_by_key_impl_wrapped_configILNS1_25lookback_scan_determinismE0ES3_S9_NS6_6detail15normal_iteratorINS6_10device_ptrIjEEEENSD_INSE_IiEEEENS6_16discard_iteratorINS6_11use_defaultEEESI_PmS8_NS6_8equal_toIjEEEE10hipError_tPvRmT2_T3_mT4_T5_T6_T7_T8_P12ihipStream_tbENKUlT_T0_E_clISt17integral_constantIbLb0EES15_IbLb1EEEEDaS11_S12_EUlS11_E_NS1_11comp_targetILNS1_3genE5ELNS1_11target_archE942ELNS1_3gpuE9ELNS1_3repE0EEENS1_30default_config_static_selectorELNS0_4arch9wavefront6targetE1EEEvT1_
	.globl	_ZN7rocprim17ROCPRIM_400000_NS6detail17trampoline_kernelINS0_14default_configENS1_29reduce_by_key_config_selectorIjiN6thrust23THRUST_200600_302600_NS4plusIiEEEEZZNS1_33reduce_by_key_impl_wrapped_configILNS1_25lookback_scan_determinismE0ES3_S9_NS6_6detail15normal_iteratorINS6_10device_ptrIjEEEENSD_INSE_IiEEEENS6_16discard_iteratorINS6_11use_defaultEEESI_PmS8_NS6_8equal_toIjEEEE10hipError_tPvRmT2_T3_mT4_T5_T6_T7_T8_P12ihipStream_tbENKUlT_T0_E_clISt17integral_constantIbLb0EES15_IbLb1EEEEDaS11_S12_EUlS11_E_NS1_11comp_targetILNS1_3genE5ELNS1_11target_archE942ELNS1_3gpuE9ELNS1_3repE0EEENS1_30default_config_static_selectorELNS0_4arch9wavefront6targetE1EEEvT1_
	.p2align	8
	.type	_ZN7rocprim17ROCPRIM_400000_NS6detail17trampoline_kernelINS0_14default_configENS1_29reduce_by_key_config_selectorIjiN6thrust23THRUST_200600_302600_NS4plusIiEEEEZZNS1_33reduce_by_key_impl_wrapped_configILNS1_25lookback_scan_determinismE0ES3_S9_NS6_6detail15normal_iteratorINS6_10device_ptrIjEEEENSD_INSE_IiEEEENS6_16discard_iteratorINS6_11use_defaultEEESI_PmS8_NS6_8equal_toIjEEEE10hipError_tPvRmT2_T3_mT4_T5_T6_T7_T8_P12ihipStream_tbENKUlT_T0_E_clISt17integral_constantIbLb0EES15_IbLb1EEEEDaS11_S12_EUlS11_E_NS1_11comp_targetILNS1_3genE5ELNS1_11target_archE942ELNS1_3gpuE9ELNS1_3repE0EEENS1_30default_config_static_selectorELNS0_4arch9wavefront6targetE1EEEvT1_,@function
_ZN7rocprim17ROCPRIM_400000_NS6detail17trampoline_kernelINS0_14default_configENS1_29reduce_by_key_config_selectorIjiN6thrust23THRUST_200600_302600_NS4plusIiEEEEZZNS1_33reduce_by_key_impl_wrapped_configILNS1_25lookback_scan_determinismE0ES3_S9_NS6_6detail15normal_iteratorINS6_10device_ptrIjEEEENSD_INSE_IiEEEENS6_16discard_iteratorINS6_11use_defaultEEESI_PmS8_NS6_8equal_toIjEEEE10hipError_tPvRmT2_T3_mT4_T5_T6_T7_T8_P12ihipStream_tbENKUlT_T0_E_clISt17integral_constantIbLb0EES15_IbLb1EEEEDaS11_S12_EUlS11_E_NS1_11comp_targetILNS1_3genE5ELNS1_11target_archE942ELNS1_3gpuE9ELNS1_3repE0EEENS1_30default_config_static_selectorELNS0_4arch9wavefront6targetE1EEEvT1_: ; @_ZN7rocprim17ROCPRIM_400000_NS6detail17trampoline_kernelINS0_14default_configENS1_29reduce_by_key_config_selectorIjiN6thrust23THRUST_200600_302600_NS4plusIiEEEEZZNS1_33reduce_by_key_impl_wrapped_configILNS1_25lookback_scan_determinismE0ES3_S9_NS6_6detail15normal_iteratorINS6_10device_ptrIjEEEENSD_INSE_IiEEEENS6_16discard_iteratorINS6_11use_defaultEEESI_PmS8_NS6_8equal_toIjEEEE10hipError_tPvRmT2_T3_mT4_T5_T6_T7_T8_P12ihipStream_tbENKUlT_T0_E_clISt17integral_constantIbLb0EES15_IbLb1EEEEDaS11_S12_EUlS11_E_NS1_11comp_targetILNS1_3genE5ELNS1_11target_archE942ELNS1_3gpuE9ELNS1_3repE0EEENS1_30default_config_static_selectorELNS0_4arch9wavefront6targetE1EEEvT1_
; %bb.0:
	.section	.rodata,"a",@progbits
	.p2align	6, 0x0
	.amdhsa_kernel _ZN7rocprim17ROCPRIM_400000_NS6detail17trampoline_kernelINS0_14default_configENS1_29reduce_by_key_config_selectorIjiN6thrust23THRUST_200600_302600_NS4plusIiEEEEZZNS1_33reduce_by_key_impl_wrapped_configILNS1_25lookback_scan_determinismE0ES3_S9_NS6_6detail15normal_iteratorINS6_10device_ptrIjEEEENSD_INSE_IiEEEENS6_16discard_iteratorINS6_11use_defaultEEESI_PmS8_NS6_8equal_toIjEEEE10hipError_tPvRmT2_T3_mT4_T5_T6_T7_T8_P12ihipStream_tbENKUlT_T0_E_clISt17integral_constantIbLb0EES15_IbLb1EEEEDaS11_S12_EUlS11_E_NS1_11comp_targetILNS1_3genE5ELNS1_11target_archE942ELNS1_3gpuE9ELNS1_3repE0EEENS1_30default_config_static_selectorELNS0_4arch9wavefront6targetE1EEEvT1_
		.amdhsa_group_segment_fixed_size 0
		.amdhsa_private_segment_fixed_size 0
		.amdhsa_kernarg_size 128
		.amdhsa_user_sgpr_count 6
		.amdhsa_user_sgpr_private_segment_buffer 1
		.amdhsa_user_sgpr_dispatch_ptr 0
		.amdhsa_user_sgpr_queue_ptr 0
		.amdhsa_user_sgpr_kernarg_segment_ptr 1
		.amdhsa_user_sgpr_dispatch_id 0
		.amdhsa_user_sgpr_flat_scratch_init 0
		.amdhsa_user_sgpr_kernarg_preload_length 0
		.amdhsa_user_sgpr_kernarg_preload_offset 0
		.amdhsa_user_sgpr_private_segment_size 0
		.amdhsa_uses_dynamic_stack 0
		.amdhsa_system_sgpr_private_segment_wavefront_offset 0
		.amdhsa_system_sgpr_workgroup_id_x 1
		.amdhsa_system_sgpr_workgroup_id_y 0
		.amdhsa_system_sgpr_workgroup_id_z 0
		.amdhsa_system_sgpr_workgroup_info 0
		.amdhsa_system_vgpr_workitem_id 0
		.amdhsa_next_free_vgpr 1
		.amdhsa_next_free_sgpr 0
		.amdhsa_accum_offset 4
		.amdhsa_reserve_vcc 0
		.amdhsa_reserve_flat_scratch 0
		.amdhsa_float_round_mode_32 0
		.amdhsa_float_round_mode_16_64 0
		.amdhsa_float_denorm_mode_32 3
		.amdhsa_float_denorm_mode_16_64 3
		.amdhsa_dx10_clamp 1
		.amdhsa_ieee_mode 1
		.amdhsa_fp16_overflow 0
		.amdhsa_tg_split 0
		.amdhsa_exception_fp_ieee_invalid_op 0
		.amdhsa_exception_fp_denorm_src 0
		.amdhsa_exception_fp_ieee_div_zero 0
		.amdhsa_exception_fp_ieee_overflow 0
		.amdhsa_exception_fp_ieee_underflow 0
		.amdhsa_exception_fp_ieee_inexact 0
		.amdhsa_exception_int_div_zero 0
	.end_amdhsa_kernel
	.section	.text._ZN7rocprim17ROCPRIM_400000_NS6detail17trampoline_kernelINS0_14default_configENS1_29reduce_by_key_config_selectorIjiN6thrust23THRUST_200600_302600_NS4plusIiEEEEZZNS1_33reduce_by_key_impl_wrapped_configILNS1_25lookback_scan_determinismE0ES3_S9_NS6_6detail15normal_iteratorINS6_10device_ptrIjEEEENSD_INSE_IiEEEENS6_16discard_iteratorINS6_11use_defaultEEESI_PmS8_NS6_8equal_toIjEEEE10hipError_tPvRmT2_T3_mT4_T5_T6_T7_T8_P12ihipStream_tbENKUlT_T0_E_clISt17integral_constantIbLb0EES15_IbLb1EEEEDaS11_S12_EUlS11_E_NS1_11comp_targetILNS1_3genE5ELNS1_11target_archE942ELNS1_3gpuE9ELNS1_3repE0EEENS1_30default_config_static_selectorELNS0_4arch9wavefront6targetE1EEEvT1_,"axG",@progbits,_ZN7rocprim17ROCPRIM_400000_NS6detail17trampoline_kernelINS0_14default_configENS1_29reduce_by_key_config_selectorIjiN6thrust23THRUST_200600_302600_NS4plusIiEEEEZZNS1_33reduce_by_key_impl_wrapped_configILNS1_25lookback_scan_determinismE0ES3_S9_NS6_6detail15normal_iteratorINS6_10device_ptrIjEEEENSD_INSE_IiEEEENS6_16discard_iteratorINS6_11use_defaultEEESI_PmS8_NS6_8equal_toIjEEEE10hipError_tPvRmT2_T3_mT4_T5_T6_T7_T8_P12ihipStream_tbENKUlT_T0_E_clISt17integral_constantIbLb0EES15_IbLb1EEEEDaS11_S12_EUlS11_E_NS1_11comp_targetILNS1_3genE5ELNS1_11target_archE942ELNS1_3gpuE9ELNS1_3repE0EEENS1_30default_config_static_selectorELNS0_4arch9wavefront6targetE1EEEvT1_,comdat
.Lfunc_end1049:
	.size	_ZN7rocprim17ROCPRIM_400000_NS6detail17trampoline_kernelINS0_14default_configENS1_29reduce_by_key_config_selectorIjiN6thrust23THRUST_200600_302600_NS4plusIiEEEEZZNS1_33reduce_by_key_impl_wrapped_configILNS1_25lookback_scan_determinismE0ES3_S9_NS6_6detail15normal_iteratorINS6_10device_ptrIjEEEENSD_INSE_IiEEEENS6_16discard_iteratorINS6_11use_defaultEEESI_PmS8_NS6_8equal_toIjEEEE10hipError_tPvRmT2_T3_mT4_T5_T6_T7_T8_P12ihipStream_tbENKUlT_T0_E_clISt17integral_constantIbLb0EES15_IbLb1EEEEDaS11_S12_EUlS11_E_NS1_11comp_targetILNS1_3genE5ELNS1_11target_archE942ELNS1_3gpuE9ELNS1_3repE0EEENS1_30default_config_static_selectorELNS0_4arch9wavefront6targetE1EEEvT1_, .Lfunc_end1049-_ZN7rocprim17ROCPRIM_400000_NS6detail17trampoline_kernelINS0_14default_configENS1_29reduce_by_key_config_selectorIjiN6thrust23THRUST_200600_302600_NS4plusIiEEEEZZNS1_33reduce_by_key_impl_wrapped_configILNS1_25lookback_scan_determinismE0ES3_S9_NS6_6detail15normal_iteratorINS6_10device_ptrIjEEEENSD_INSE_IiEEEENS6_16discard_iteratorINS6_11use_defaultEEESI_PmS8_NS6_8equal_toIjEEEE10hipError_tPvRmT2_T3_mT4_T5_T6_T7_T8_P12ihipStream_tbENKUlT_T0_E_clISt17integral_constantIbLb0EES15_IbLb1EEEEDaS11_S12_EUlS11_E_NS1_11comp_targetILNS1_3genE5ELNS1_11target_archE942ELNS1_3gpuE9ELNS1_3repE0EEENS1_30default_config_static_selectorELNS0_4arch9wavefront6targetE1EEEvT1_
                                        ; -- End function
	.section	.AMDGPU.csdata,"",@progbits
; Kernel info:
; codeLenInByte = 0
; NumSgprs: 4
; NumVgprs: 0
; NumAgprs: 0
; TotalNumVgprs: 0
; ScratchSize: 0
; MemoryBound: 0
; FloatMode: 240
; IeeeMode: 1
; LDSByteSize: 0 bytes/workgroup (compile time only)
; SGPRBlocks: 0
; VGPRBlocks: 0
; NumSGPRsForWavesPerEU: 4
; NumVGPRsForWavesPerEU: 1
; AccumOffset: 4
; Occupancy: 8
; WaveLimiterHint : 0
; COMPUTE_PGM_RSRC2:SCRATCH_EN: 0
; COMPUTE_PGM_RSRC2:USER_SGPR: 6
; COMPUTE_PGM_RSRC2:TRAP_HANDLER: 0
; COMPUTE_PGM_RSRC2:TGID_X_EN: 1
; COMPUTE_PGM_RSRC2:TGID_Y_EN: 0
; COMPUTE_PGM_RSRC2:TGID_Z_EN: 0
; COMPUTE_PGM_RSRC2:TIDIG_COMP_CNT: 0
; COMPUTE_PGM_RSRC3_GFX90A:ACCUM_OFFSET: 0
; COMPUTE_PGM_RSRC3_GFX90A:TG_SPLIT: 0
	.section	.text._ZN7rocprim17ROCPRIM_400000_NS6detail17trampoline_kernelINS0_14default_configENS1_29reduce_by_key_config_selectorIjiN6thrust23THRUST_200600_302600_NS4plusIiEEEEZZNS1_33reduce_by_key_impl_wrapped_configILNS1_25lookback_scan_determinismE0ES3_S9_NS6_6detail15normal_iteratorINS6_10device_ptrIjEEEENSD_INSE_IiEEEENS6_16discard_iteratorINS6_11use_defaultEEESI_PmS8_NS6_8equal_toIjEEEE10hipError_tPvRmT2_T3_mT4_T5_T6_T7_T8_P12ihipStream_tbENKUlT_T0_E_clISt17integral_constantIbLb0EES15_IbLb1EEEEDaS11_S12_EUlS11_E_NS1_11comp_targetILNS1_3genE4ELNS1_11target_archE910ELNS1_3gpuE8ELNS1_3repE0EEENS1_30default_config_static_selectorELNS0_4arch9wavefront6targetE1EEEvT1_,"axG",@progbits,_ZN7rocprim17ROCPRIM_400000_NS6detail17trampoline_kernelINS0_14default_configENS1_29reduce_by_key_config_selectorIjiN6thrust23THRUST_200600_302600_NS4plusIiEEEEZZNS1_33reduce_by_key_impl_wrapped_configILNS1_25lookback_scan_determinismE0ES3_S9_NS6_6detail15normal_iteratorINS6_10device_ptrIjEEEENSD_INSE_IiEEEENS6_16discard_iteratorINS6_11use_defaultEEESI_PmS8_NS6_8equal_toIjEEEE10hipError_tPvRmT2_T3_mT4_T5_T6_T7_T8_P12ihipStream_tbENKUlT_T0_E_clISt17integral_constantIbLb0EES15_IbLb1EEEEDaS11_S12_EUlS11_E_NS1_11comp_targetILNS1_3genE4ELNS1_11target_archE910ELNS1_3gpuE8ELNS1_3repE0EEENS1_30default_config_static_selectorELNS0_4arch9wavefront6targetE1EEEvT1_,comdat
	.protected	_ZN7rocprim17ROCPRIM_400000_NS6detail17trampoline_kernelINS0_14default_configENS1_29reduce_by_key_config_selectorIjiN6thrust23THRUST_200600_302600_NS4plusIiEEEEZZNS1_33reduce_by_key_impl_wrapped_configILNS1_25lookback_scan_determinismE0ES3_S9_NS6_6detail15normal_iteratorINS6_10device_ptrIjEEEENSD_INSE_IiEEEENS6_16discard_iteratorINS6_11use_defaultEEESI_PmS8_NS6_8equal_toIjEEEE10hipError_tPvRmT2_T3_mT4_T5_T6_T7_T8_P12ihipStream_tbENKUlT_T0_E_clISt17integral_constantIbLb0EES15_IbLb1EEEEDaS11_S12_EUlS11_E_NS1_11comp_targetILNS1_3genE4ELNS1_11target_archE910ELNS1_3gpuE8ELNS1_3repE0EEENS1_30default_config_static_selectorELNS0_4arch9wavefront6targetE1EEEvT1_ ; -- Begin function _ZN7rocprim17ROCPRIM_400000_NS6detail17trampoline_kernelINS0_14default_configENS1_29reduce_by_key_config_selectorIjiN6thrust23THRUST_200600_302600_NS4plusIiEEEEZZNS1_33reduce_by_key_impl_wrapped_configILNS1_25lookback_scan_determinismE0ES3_S9_NS6_6detail15normal_iteratorINS6_10device_ptrIjEEEENSD_INSE_IiEEEENS6_16discard_iteratorINS6_11use_defaultEEESI_PmS8_NS6_8equal_toIjEEEE10hipError_tPvRmT2_T3_mT4_T5_T6_T7_T8_P12ihipStream_tbENKUlT_T0_E_clISt17integral_constantIbLb0EES15_IbLb1EEEEDaS11_S12_EUlS11_E_NS1_11comp_targetILNS1_3genE4ELNS1_11target_archE910ELNS1_3gpuE8ELNS1_3repE0EEENS1_30default_config_static_selectorELNS0_4arch9wavefront6targetE1EEEvT1_
	.globl	_ZN7rocprim17ROCPRIM_400000_NS6detail17trampoline_kernelINS0_14default_configENS1_29reduce_by_key_config_selectorIjiN6thrust23THRUST_200600_302600_NS4plusIiEEEEZZNS1_33reduce_by_key_impl_wrapped_configILNS1_25lookback_scan_determinismE0ES3_S9_NS6_6detail15normal_iteratorINS6_10device_ptrIjEEEENSD_INSE_IiEEEENS6_16discard_iteratorINS6_11use_defaultEEESI_PmS8_NS6_8equal_toIjEEEE10hipError_tPvRmT2_T3_mT4_T5_T6_T7_T8_P12ihipStream_tbENKUlT_T0_E_clISt17integral_constantIbLb0EES15_IbLb1EEEEDaS11_S12_EUlS11_E_NS1_11comp_targetILNS1_3genE4ELNS1_11target_archE910ELNS1_3gpuE8ELNS1_3repE0EEENS1_30default_config_static_selectorELNS0_4arch9wavefront6targetE1EEEvT1_
	.p2align	8
	.type	_ZN7rocprim17ROCPRIM_400000_NS6detail17trampoline_kernelINS0_14default_configENS1_29reduce_by_key_config_selectorIjiN6thrust23THRUST_200600_302600_NS4plusIiEEEEZZNS1_33reduce_by_key_impl_wrapped_configILNS1_25lookback_scan_determinismE0ES3_S9_NS6_6detail15normal_iteratorINS6_10device_ptrIjEEEENSD_INSE_IiEEEENS6_16discard_iteratorINS6_11use_defaultEEESI_PmS8_NS6_8equal_toIjEEEE10hipError_tPvRmT2_T3_mT4_T5_T6_T7_T8_P12ihipStream_tbENKUlT_T0_E_clISt17integral_constantIbLb0EES15_IbLb1EEEEDaS11_S12_EUlS11_E_NS1_11comp_targetILNS1_3genE4ELNS1_11target_archE910ELNS1_3gpuE8ELNS1_3repE0EEENS1_30default_config_static_selectorELNS0_4arch9wavefront6targetE1EEEvT1_,@function
_ZN7rocprim17ROCPRIM_400000_NS6detail17trampoline_kernelINS0_14default_configENS1_29reduce_by_key_config_selectorIjiN6thrust23THRUST_200600_302600_NS4plusIiEEEEZZNS1_33reduce_by_key_impl_wrapped_configILNS1_25lookback_scan_determinismE0ES3_S9_NS6_6detail15normal_iteratorINS6_10device_ptrIjEEEENSD_INSE_IiEEEENS6_16discard_iteratorINS6_11use_defaultEEESI_PmS8_NS6_8equal_toIjEEEE10hipError_tPvRmT2_T3_mT4_T5_T6_T7_T8_P12ihipStream_tbENKUlT_T0_E_clISt17integral_constantIbLb0EES15_IbLb1EEEEDaS11_S12_EUlS11_E_NS1_11comp_targetILNS1_3genE4ELNS1_11target_archE910ELNS1_3gpuE8ELNS1_3repE0EEENS1_30default_config_static_selectorELNS0_4arch9wavefront6targetE1EEEvT1_: ; @_ZN7rocprim17ROCPRIM_400000_NS6detail17trampoline_kernelINS0_14default_configENS1_29reduce_by_key_config_selectorIjiN6thrust23THRUST_200600_302600_NS4plusIiEEEEZZNS1_33reduce_by_key_impl_wrapped_configILNS1_25lookback_scan_determinismE0ES3_S9_NS6_6detail15normal_iteratorINS6_10device_ptrIjEEEENSD_INSE_IiEEEENS6_16discard_iteratorINS6_11use_defaultEEESI_PmS8_NS6_8equal_toIjEEEE10hipError_tPvRmT2_T3_mT4_T5_T6_T7_T8_P12ihipStream_tbENKUlT_T0_E_clISt17integral_constantIbLb0EES15_IbLb1EEEEDaS11_S12_EUlS11_E_NS1_11comp_targetILNS1_3genE4ELNS1_11target_archE910ELNS1_3gpuE8ELNS1_3repE0EEENS1_30default_config_static_selectorELNS0_4arch9wavefront6targetE1EEEvT1_
; %bb.0:
	s_load_dwordx4 s[8:11], s[4:5], 0x0
	s_load_dwordx2 s[6:7], s[4:5], 0x10
	s_load_dwordx2 s[52:53], s[4:5], 0x70
	s_load_dwordx4 s[48:51], s[4:5], 0x60
	s_load_dwordx8 s[36:43], s[4:5], 0x40
	v_cmp_ne_u32_e64 s[2:3], 0, v0
	v_cmp_eq_u32_e64 s[0:1], 0, v0
	s_and_saveexec_b64 s[12:13], s[0:1]
	s_cbranch_execz .LBB1050_4
; %bb.1:
	s_mov_b64 s[16:17], exec
	v_mbcnt_lo_u32_b32 v1, s16, 0
	v_mbcnt_hi_u32_b32 v1, s17, v1
	v_cmp_eq_u32_e32 vcc, 0, v1
                                        ; implicit-def: $vgpr2
	s_and_saveexec_b64 s[14:15], vcc
	s_cbranch_execz .LBB1050_3
; %bb.2:
	s_load_dwordx2 s[18:19], s[4:5], 0x78
	s_bcnt1_i32_b64 s16, s[16:17]
	v_mov_b32_e32 v2, 0
	v_mov_b32_e32 v3, s16
	s_waitcnt lgkmcnt(0)
	global_atomic_add v2, v2, v3, s[18:19] glc
.LBB1050_3:
	s_or_b64 exec, exec, s[14:15]
	s_waitcnt vmcnt(0)
	v_readfirstlane_b32 s14, v2
	v_add_u32_e32 v1, s14, v1
	v_mov_b32_e32 v2, 0
	ds_write_b32 v2, v1
.LBB1050_4:
	s_or_b64 exec, exec, s[12:13]
	s_load_dwordx4 s[44:47], s[4:5], 0x28
	s_waitcnt lgkmcnt(0)
	s_lshl_b64 s[4:5], s[10:11], 2
	v_mov_b32_e32 v3, 0
	s_add_u32 s8, s8, s4
	s_barrier
	ds_read_b32 v1, v3
	s_addc_u32 s9, s9, s5
	s_add_u32 s4, s6, s4
	s_addc_u32 s5, s7, s5
	s_mul_i32 s6, s40, s39
	s_mul_hi_u32 s7, s40, s38
	s_add_i32 s6, s7, s6
	s_mul_i32 s7, s41, s38
	s_add_i32 s6, s6, s7
	s_mul_i32 s7, s40, s38
	s_waitcnt lgkmcnt(0)
	v_readfirstlane_b32 s58, v1
	s_movk_i32 s10, 0xf00
	v_mul_lo_u32 v2, v1, s10
	s_add_u32 s54, s7, s58
	v_lshlrev_b64 v[2:3], 2, v[2:3]
	s_addc_u32 s55, s6, 0
	v_mov_b32_e32 v1, s9
	v_add_co_u32_e32 v39, vcc, s8, v2
	s_add_u32 s6, s42, -1
	v_addc_co_u32_e32 v41, vcc, v1, v3, vcc
	s_addc_u32 s7, s43, -1
	v_mov_b32_e32 v1, s5
	v_add_co_u32_e32 v22, vcc, s4, v2
	s_cmp_eq_u64 s[54:55], s[6:7]
	v_addc_co_u32_e32 v23, vcc, v1, v3, vcc
	s_cselect_b64 s[40:41], -1, 0
	s_cmp_lg_u64 s[54:55], s[6:7]
	s_mov_b64 s[4:5], -1
	s_cselect_b64 s[56:57], -1, 0
	s_mul_i32 s33, s6, 0xfffff100
	s_and_b64 vcc, exec, s[40:41]
	s_barrier
	s_cbranch_vccnz .LBB1050_6
; %bb.5:
	v_lshlrev_b32_e32 v26, 2, v0
	v_add_co_u32_e32 v2, vcc, v39, v26
	v_addc_co_u32_e32 v3, vcc, 0, v41, vcc
	v_add_co_u32_e32 v4, vcc, 0x1000, v2
	v_addc_co_u32_e32 v5, vcc, 0, v3, vcc
	flat_load_dword v1, v[2:3]
	flat_load_dword v8, v[2:3] offset:1024
	flat_load_dword v9, v[2:3] offset:2048
	;; [unrolled: 1-line block ×3, first 2 shown]
	flat_load_dword v11, v[4:5]
	flat_load_dword v12, v[4:5] offset:1024
	flat_load_dword v13, v[4:5] offset:2048
	;; [unrolled: 1-line block ×3, first 2 shown]
	v_add_co_u32_e32 v4, vcc, 0x2000, v2
	v_addc_co_u32_e32 v5, vcc, 0, v3, vcc
	v_add_co_u32_e32 v2, vcc, 0x3000, v2
	v_addc_co_u32_e32 v3, vcc, 0, v3, vcc
	flat_load_dword v15, v[4:5]
	flat_load_dword v16, v[4:5] offset:1024
	flat_load_dword v17, v[4:5] offset:2048
	;; [unrolled: 1-line block ×3, first 2 shown]
	flat_load_dword v19, v[2:3]
	flat_load_dword v20, v[2:3] offset:1024
	flat_load_dword v21, v[2:3] offset:2048
	v_add_co_u32_e32 v2, vcc, v22, v26
	s_movk_i32 s4, 0x1000
	v_addc_co_u32_e32 v3, vcc, 0, v23, vcc
	v_add_co_u32_e32 v4, vcc, s4, v2
	s_movk_i32 s5, 0x2000
	v_addc_co_u32_e32 v5, vcc, 0, v3, vcc
	;; [unrolled: 3-line block ×3, first 2 shown]
	v_mad_u32_u24 v38, v0, 56, v26
	v_add_co_u32_e32 v24, vcc, s6, v2
	v_addc_co_u32_e32 v25, vcc, 0, v3, vcc
	s_waitcnt vmcnt(0) lgkmcnt(0)
	ds_write2st64_b32 v26, v1, v8 offset1:4
	ds_write2st64_b32 v26, v9, v10 offset0:8 offset1:12
	ds_write2st64_b32 v26, v11, v12 offset0:16 offset1:20
	;; [unrolled: 1-line block ×6, first 2 shown]
	ds_write_b32 v26, v21 offset:14336
	s_waitcnt lgkmcnt(0)
	s_barrier
	ds_read2_b32 v[20:21], v38 offset1:1
	ds_read2_b32 v[18:19], v38 offset0:2 offset1:3
	ds_read2_b32 v[16:17], v38 offset0:4 offset1:5
	;; [unrolled: 1-line block ×6, first 2 shown]
	ds_read_b32 v1, v38 offset:56
	s_waitcnt lgkmcnt(0)
	s_barrier
	flat_load_dword v27, v[2:3]
	flat_load_dword v28, v[2:3] offset:1024
	flat_load_dword v29, v[2:3] offset:2048
	flat_load_dword v30, v[2:3] offset:3072
	flat_load_dword v31, v[4:5]
	flat_load_dword v32, v[4:5] offset:1024
	flat_load_dword v33, v[4:5] offset:2048
	flat_load_dword v34, v[4:5] offset:3072
	;; [unrolled: 4-line block ×3, first 2 shown]
	flat_load_dword v44, v[24:25]
	flat_load_dword v45, v[24:25] offset:1024
	flat_load_dword v46, v[24:25] offset:2048
	v_mov_b32_e32 v36, v20
	v_mov_b32_e32 v37, v18
	;; [unrolled: 1-line block ×7, first 2 shown]
	s_waitcnt vmcnt(0) lgkmcnt(0)
	ds_write2st64_b32 v26, v27, v28 offset1:4
	ds_write2st64_b32 v26, v29, v30 offset0:8 offset1:12
	ds_write2st64_b32 v26, v31, v32 offset0:16 offset1:20
	ds_write2st64_b32 v26, v33, v34 offset0:24 offset1:28
	ds_write2st64_b32 v26, v35, v40 offset0:32 offset1:36
	ds_write2st64_b32 v26, v42, v43 offset0:40 offset1:44
	ds_write2st64_b32 v26, v44, v45 offset0:48 offset1:52
	ds_write_b32 v26, v46 offset:14336
	s_waitcnt lgkmcnt(0)
	s_barrier
	s_add_i32 s33, s33, s48
	s_cbranch_execz .LBB1050_7
	s_branch .LBB1050_54
.LBB1050_6:
                                        ; implicit-def: $vgpr1
                                        ; implicit-def: $vgpr8
                                        ; implicit-def: $vgpr10
                                        ; implicit-def: $vgpr12
                                        ; implicit-def: $vgpr14
                                        ; implicit-def: $vgpr16
                                        ; implicit-def: $vgpr18
                                        ; implicit-def: $vgpr20
                                        ; implicit-def: $vgpr38
                                        ; implicit-def: $vgpr2_vgpr3
                                        ; implicit-def: $vgpr4_vgpr5
                                        ; implicit-def: $vgpr36_vgpr37
                                        ; implicit-def: $vgpr6_vgpr7
	s_andn2_b64 vcc, exec, s[4:5]
	s_add_i32 s33, s33, s48
	s_cbranch_vccnz .LBB1050_54
.LBB1050_7:
	v_cmp_gt_u32_e32 vcc, s33, v0
                                        ; implicit-def: $vgpr1
	s_and_saveexec_b64 s[6:7], vcc
	s_cbranch_execz .LBB1050_9
; %bb.8:
	v_lshlrev_b32_e32 v1, 2, v0
	v_add_co_u32_e64 v2, s[4:5], v39, v1
	v_addc_co_u32_e64 v3, s[4:5], 0, v41, s[4:5]
	flat_load_dword v1, v[2:3]
.LBB1050_9:
	s_or_b64 exec, exec, s[6:7]
	v_or_b32_e32 v2, 0x100, v0
	v_cmp_gt_u32_e64 s[4:5], s33, v2
                                        ; implicit-def: $vgpr8
	s_and_saveexec_b64 s[8:9], s[4:5]
	s_cbranch_execz .LBB1050_11
; %bb.10:
	v_lshlrev_b32_e32 v2, 2, v0
	v_add_co_u32_e64 v2, s[6:7], v39, v2
	v_addc_co_u32_e64 v3, s[6:7], 0, v41, s[6:7]
	flat_load_dword v8, v[2:3] offset:1024
.LBB1050_11:
	s_or_b64 exec, exec, s[8:9]
	v_or_b32_e32 v2, 0x200, v0
	v_cmp_gt_u32_e64 s[6:7], s33, v2
                                        ; implicit-def: $vgpr9
	s_and_saveexec_b64 s[10:11], s[6:7]
	s_cbranch_execz .LBB1050_13
; %bb.12:
	v_lshlrev_b32_e32 v2, 2, v0
	v_add_co_u32_e64 v2, s[8:9], v39, v2
	v_addc_co_u32_e64 v3, s[8:9], 0, v41, s[8:9]
	flat_load_dword v9, v[2:3] offset:2048
.LBB1050_13:
	s_or_b64 exec, exec, s[10:11]
	v_or_b32_e32 v2, 0x300, v0
	v_cmp_gt_u32_e64 s[8:9], s33, v2
                                        ; implicit-def: $vgpr10
	s_and_saveexec_b64 s[12:13], s[8:9]
	s_cbranch_execz .LBB1050_15
; %bb.14:
	v_lshlrev_b32_e32 v2, 2, v0
	v_add_co_u32_e64 v2, s[10:11], v39, v2
	v_addc_co_u32_e64 v3, s[10:11], 0, v41, s[10:11]
	flat_load_dword v10, v[2:3] offset:3072
.LBB1050_15:
	s_or_b64 exec, exec, s[12:13]
	v_or_b32_e32 v2, 0x400, v0
	v_cmp_gt_u32_e64 s[10:11], s33, v2
	v_lshlrev_b32_e32 v2, 2, v2
                                        ; implicit-def: $vgpr11
	s_and_saveexec_b64 s[14:15], s[10:11]
	s_cbranch_execz .LBB1050_17
; %bb.16:
	v_add_co_u32_e64 v4, s[12:13], v39, v2
	v_addc_co_u32_e64 v5, s[12:13], 0, v41, s[12:13]
	flat_load_dword v11, v[4:5]
.LBB1050_17:
	s_or_b64 exec, exec, s[14:15]
	v_or_b32_e32 v3, 0x500, v0
	v_cmp_gt_u32_e64 s[12:13], s33, v3
	v_lshlrev_b32_e32 v3, 2, v3
                                        ; implicit-def: $vgpr12
	s_and_saveexec_b64 s[16:17], s[12:13]
	s_cbranch_execz .LBB1050_19
; %bb.18:
	v_add_co_u32_e64 v4, s[14:15], v39, v3
	v_addc_co_u32_e64 v5, s[14:15], 0, v41, s[14:15]
	flat_load_dword v12, v[4:5]
.LBB1050_19:
	s_or_b64 exec, exec, s[16:17]
	v_or_b32_e32 v4, 0x600, v0
	v_cmp_gt_u32_e64 s[14:15], s33, v4
	v_lshlrev_b32_e32 v4, 2, v4
                                        ; implicit-def: $vgpr13
	s_and_saveexec_b64 s[18:19], s[14:15]
	s_cbranch_execz .LBB1050_21
; %bb.20:
	v_add_co_u32_e64 v6, s[16:17], v39, v4
	v_addc_co_u32_e64 v7, s[16:17], 0, v41, s[16:17]
	flat_load_dword v13, v[6:7]
.LBB1050_21:
	s_or_b64 exec, exec, s[18:19]
	v_or_b32_e32 v5, 0x700, v0
	v_cmp_gt_u32_e64 s[16:17], s33, v5
	v_lshlrev_b32_e32 v5, 2, v5
                                        ; implicit-def: $vgpr14
	s_and_saveexec_b64 s[20:21], s[16:17]
	s_cbranch_execz .LBB1050_23
; %bb.22:
	v_add_co_u32_e64 v6, s[18:19], v39, v5
	v_addc_co_u32_e64 v7, s[18:19], 0, v41, s[18:19]
	flat_load_dword v14, v[6:7]
.LBB1050_23:
	s_or_b64 exec, exec, s[20:21]
	v_or_b32_e32 v6, 0x800, v0
	v_cmp_gt_u32_e64 s[18:19], s33, v6
	v_lshlrev_b32_e32 v6, 2, v6
                                        ; implicit-def: $vgpr15
	s_and_saveexec_b64 s[22:23], s[18:19]
	s_cbranch_execz .LBB1050_25
; %bb.24:
	v_add_co_u32_e64 v16, s[20:21], v39, v6
	v_addc_co_u32_e64 v17, s[20:21], 0, v41, s[20:21]
	flat_load_dword v15, v[16:17]
.LBB1050_25:
	s_or_b64 exec, exec, s[22:23]
	v_or_b32_e32 v7, 0x900, v0
	v_cmp_gt_u32_e64 s[20:21], s33, v7
	v_lshlrev_b32_e32 v7, 2, v7
                                        ; implicit-def: $vgpr16
	s_and_saveexec_b64 s[24:25], s[20:21]
	s_cbranch_execz .LBB1050_27
; %bb.26:
	v_add_co_u32_e64 v16, s[22:23], v39, v7
	v_addc_co_u32_e64 v17, s[22:23], 0, v41, s[22:23]
	flat_load_dword v16, v[16:17]
.LBB1050_27:
	s_or_b64 exec, exec, s[24:25]
	v_or_b32_e32 v17, 0xa00, v0
	v_cmp_gt_u32_e64 s[22:23], s33, v17
	v_lshlrev_b32_e32 v25, 2, v17
                                        ; implicit-def: $vgpr17
	s_and_saveexec_b64 s[26:27], s[22:23]
	s_cbranch_execz .LBB1050_29
; %bb.28:
	v_add_co_u32_e64 v18, s[24:25], v39, v25
	v_addc_co_u32_e64 v19, s[24:25], 0, v41, s[24:25]
	flat_load_dword v17, v[18:19]
.LBB1050_29:
	s_or_b64 exec, exec, s[26:27]
	v_or_b32_e32 v18, 0xb00, v0
	v_cmp_gt_u32_e64 s[24:25], s33, v18
	v_lshlrev_b32_e32 v26, 2, v18
                                        ; implicit-def: $vgpr18
	s_and_saveexec_b64 s[28:29], s[24:25]
	s_cbranch_execz .LBB1050_31
; %bb.30:
	v_add_co_u32_e64 v18, s[26:27], v39, v26
	v_addc_co_u32_e64 v19, s[26:27], 0, v41, s[26:27]
	flat_load_dword v18, v[18:19]
.LBB1050_31:
	s_or_b64 exec, exec, s[28:29]
	v_or_b32_e32 v19, 0xc00, v0
	v_cmp_gt_u32_e64 s[26:27], s33, v19
	v_lshlrev_b32_e32 v27, 2, v19
                                        ; implicit-def: $vgpr19
	s_and_saveexec_b64 s[30:31], s[26:27]
	s_cbranch_execz .LBB1050_33
; %bb.32:
	v_add_co_u32_e64 v20, s[28:29], v39, v27
	v_addc_co_u32_e64 v21, s[28:29], 0, v41, s[28:29]
	flat_load_dword v19, v[20:21]
.LBB1050_33:
	s_or_b64 exec, exec, s[30:31]
	v_or_b32_e32 v20, 0xd00, v0
	v_cmp_gt_u32_e64 s[28:29], s33, v20
	v_lshlrev_b32_e32 v28, 2, v20
                                        ; implicit-def: $vgpr20
	s_and_saveexec_b64 s[34:35], s[28:29]
	s_cbranch_execz .LBB1050_35
; %bb.34:
	v_add_co_u32_e64 v20, s[30:31], v39, v28
	v_addc_co_u32_e64 v21, s[30:31], 0, v41, s[30:31]
	flat_load_dword v20, v[20:21]
.LBB1050_35:
	s_or_b64 exec, exec, s[34:35]
	v_or_b32_e32 v21, 0xe00, v0
	v_cmp_gt_u32_e64 s[30:31], s33, v21
	v_lshlrev_b32_e32 v29, 2, v21
                                        ; implicit-def: $vgpr21
	s_and_saveexec_b64 s[42:43], s[30:31]
	s_cbranch_execz .LBB1050_37
; %bb.36:
	v_add_co_u32_e64 v30, s[34:35], v39, v29
	v_addc_co_u32_e64 v31, s[34:35], 0, v41, s[34:35]
	flat_load_dword v21, v[30:31]
.LBB1050_37:
	s_or_b64 exec, exec, s[42:43]
	v_lshlrev_b32_e32 v24, 2, v0
	v_mad_u32_u24 v38, v0, 56, v24
	s_waitcnt vmcnt(0) lgkmcnt(0)
	ds_write2st64_b32 v24, v1, v8 offset1:4
	ds_write2st64_b32 v24, v9, v10 offset0:8 offset1:12
	ds_write2st64_b32 v24, v11, v12 offset0:16 offset1:20
	;; [unrolled: 1-line block ×6, first 2 shown]
	ds_write_b32 v24, v21 offset:14336
	s_waitcnt lgkmcnt(0)
	s_barrier
	ds_read2_b32 v[20:21], v38 offset1:1
	ds_read2_b32 v[18:19], v38 offset0:2 offset1:3
	ds_read2_b32 v[16:17], v38 offset0:4 offset1:5
	;; [unrolled: 1-line block ×6, first 2 shown]
	ds_read_b32 v1, v38 offset:56
	s_waitcnt lgkmcnt(0)
	s_barrier
	s_waitcnt lgkmcnt(0)
                                        ; implicit-def: $vgpr30
	s_and_saveexec_b64 s[34:35], vcc
	s_cbranch_execnz .LBB1050_61
; %bb.38:
	s_or_b64 exec, exec, s[34:35]
                                        ; implicit-def: $vgpr31
	s_and_saveexec_b64 s[34:35], s[4:5]
	s_cbranch_execnz .LBB1050_62
.LBB1050_39:
	s_or_b64 exec, exec, s[34:35]
                                        ; implicit-def: $vgpr32
	s_and_saveexec_b64 s[4:5], s[6:7]
	s_cbranch_execnz .LBB1050_63
.LBB1050_40:
	s_or_b64 exec, exec, s[4:5]
                                        ; implicit-def: $vgpr33
	s_and_saveexec_b64 s[4:5], s[8:9]
	s_cbranch_execnz .LBB1050_64
.LBB1050_41:
	s_or_b64 exec, exec, s[4:5]
                                        ; implicit-def: $vgpr34
	s_and_saveexec_b64 s[4:5], s[10:11]
	s_cbranch_execnz .LBB1050_65
.LBB1050_42:
	s_or_b64 exec, exec, s[4:5]
                                        ; implicit-def: $vgpr2
	s_and_saveexec_b64 s[4:5], s[12:13]
	s_cbranch_execnz .LBB1050_66
.LBB1050_43:
	s_or_b64 exec, exec, s[4:5]
                                        ; implicit-def: $vgpr3
	s_and_saveexec_b64 s[4:5], s[14:15]
	s_cbranch_execnz .LBB1050_67
.LBB1050_44:
	s_or_b64 exec, exec, s[4:5]
                                        ; implicit-def: $vgpr4
	s_and_saveexec_b64 s[4:5], s[16:17]
	s_cbranch_execnz .LBB1050_68
.LBB1050_45:
	s_or_b64 exec, exec, s[4:5]
                                        ; implicit-def: $vgpr5
	s_and_saveexec_b64 s[4:5], s[18:19]
	s_cbranch_execnz .LBB1050_69
.LBB1050_46:
	s_or_b64 exec, exec, s[4:5]
                                        ; implicit-def: $vgpr6
	s_and_saveexec_b64 s[4:5], s[20:21]
	s_cbranch_execnz .LBB1050_70
.LBB1050_47:
	s_or_b64 exec, exec, s[4:5]
                                        ; implicit-def: $vgpr7
	s_and_saveexec_b64 s[4:5], s[22:23]
	s_cbranch_execnz .LBB1050_71
.LBB1050_48:
	s_or_b64 exec, exec, s[4:5]
                                        ; implicit-def: $vgpr25
	s_and_saveexec_b64 s[4:5], s[24:25]
	s_cbranch_execnz .LBB1050_72
.LBB1050_49:
	s_or_b64 exec, exec, s[4:5]
                                        ; implicit-def: $vgpr26
	s_and_saveexec_b64 s[4:5], s[26:27]
	s_cbranch_execnz .LBB1050_73
.LBB1050_50:
	s_or_b64 exec, exec, s[4:5]
                                        ; implicit-def: $vgpr27
	s_and_saveexec_b64 s[4:5], s[28:29]
	s_cbranch_execnz .LBB1050_74
.LBB1050_51:
	s_or_b64 exec, exec, s[4:5]
                                        ; implicit-def: $vgpr28
	s_and_saveexec_b64 s[4:5], s[30:31]
	s_cbranch_execz .LBB1050_53
.LBB1050_52:
	v_add_co_u32_e32 v22, vcc, v22, v29
	v_addc_co_u32_e32 v23, vcc, 0, v23, vcc
	flat_load_dword v28, v[22:23]
.LBB1050_53:
	s_or_b64 exec, exec, s[4:5]
	s_waitcnt vmcnt(0) lgkmcnt(0)
	ds_write2st64_b32 v24, v30, v31 offset1:4
	ds_write2st64_b32 v24, v32, v33 offset0:8 offset1:12
	ds_write2st64_b32 v24, v34, v2 offset0:16 offset1:20
	;; [unrolled: 1-line block ×6, first 2 shown]
	ds_write_b32 v24, v28 offset:14336
	v_mov_b32_e32 v36, v20
	v_mov_b32_e32 v37, v18
	;; [unrolled: 1-line block ×7, first 2 shown]
	s_waitcnt lgkmcnt(0)
	s_barrier
.LBB1050_54:
	ds_read2_b32 v[34:35], v38 offset1:1
	ds_read2_b32 v[32:33], v38 offset0:2 offset1:3
	ds_read2_b32 v[30:31], v38 offset0:4 offset1:5
	;; [unrolled: 1-line block ×6, first 2 shown]
	ds_read_b32 v80, v38 offset:56
	s_cmp_eq_u64 s[54:55], 0
	s_cselect_b64 s[34:35], -1, 0
	s_cmp_lg_u64 s[54:55], 0
	s_mov_b64 s[42:43], 0
	s_cselect_b64 s[6:7], -1, 0
	s_and_b64 vcc, exec, s[56:57]
	s_waitcnt lgkmcnt(0)
	s_barrier
	s_cbranch_vccz .LBB1050_60
; %bb.55:
	s_and_b64 vcc, exec, s[6:7]
	s_cbranch_vccz .LBB1050_75
; %bb.56:
	v_add_co_u32_e32 v42, vcc, -4, v39
	v_addc_co_u32_e32 v43, vcc, -1, v41, vcc
	flat_load_dword v7, v[42:43]
	v_lshlrev_b32_e32 v38, 2, v0
	ds_write_b32 v38, v1
	s_waitcnt lgkmcnt(0)
	s_barrier
	s_and_saveexec_b64 s[4:5], s[2:3]
	s_cbranch_execz .LBB1050_58
; %bb.57:
	s_waitcnt vmcnt(0)
	v_add_u32_e32 v7, -4, v38
	ds_read_b32 v7, v7
.LBB1050_58:
	s_or_b64 exec, exec, s[4:5]
	v_cmp_ne_u32_e32 vcc, v36, v21
	v_cndmask_b32_e64 v79, 0, 1, vcc
	v_cmp_ne_u32_e32 vcc, v37, v21
	v_cndmask_b32_e64 v78, 0, 1, vcc
	v_cmp_ne_u32_e32 vcc, v37, v19
	v_cndmask_b32_e64 v77, 0, 1, vcc
	v_cmp_ne_u32_e32 vcc, v4, v19
	v_cndmask_b32_e64 v76, 0, 1, vcc
	v_cmp_ne_u32_e32 vcc, v4, v17
	v_cndmask_b32_e64 v75, 0, 1, vcc
	v_cmp_ne_u32_e32 vcc, v5, v17
	v_cndmask_b32_e64 v74, 0, 1, vcc
	v_cmp_ne_u32_e32 vcc, v5, v15
	v_cndmask_b32_e64 v73, 0, 1, vcc
	v_cmp_ne_u32_e32 vcc, v2, v15
	v_cndmask_b32_e64 v72, 0, 1, vcc
	v_cmp_ne_u32_e32 vcc, v2, v13
	v_cndmask_b32_e64 v71, 0, 1, vcc
	v_cmp_ne_u32_e32 vcc, v3, v13
	v_cndmask_b32_e64 v70, 0, 1, vcc
	v_cmp_ne_u32_e32 vcc, v3, v11
	v_cndmask_b32_e64 v69, 0, 1, vcc
	v_cmp_ne_u32_e32 vcc, v6, v11
	v_cndmask_b32_e64 v68, 0, 1, vcc
	v_cmp_ne_u32_e32 vcc, v6, v9
	v_cndmask_b32_e64 v67, 0, 1, vcc
	v_cmp_ne_u32_e32 vcc, v1, v9
	v_cndmask_b32_e64 v66, 0, 1, vcc
	s_waitcnt vmcnt(0) lgkmcnt(0)
	v_cmp_ne_u32_e64 s[4:5], v7, v20
	s_mov_b64 s[42:43], -1
.LBB1050_59:
                                        ; implicit-def: $sgpr10
	s_branch .LBB1050_87
.LBB1050_60:
                                        ; implicit-def: $sgpr4_sgpr5
                                        ; implicit-def: $vgpr66
                                        ; implicit-def: $vgpr67
                                        ; implicit-def: $vgpr68
                                        ; implicit-def: $vgpr69
                                        ; implicit-def: $vgpr70
                                        ; implicit-def: $vgpr71
                                        ; implicit-def: $vgpr72
                                        ; implicit-def: $vgpr73
                                        ; implicit-def: $vgpr74
                                        ; implicit-def: $vgpr75
                                        ; implicit-def: $vgpr76
                                        ; implicit-def: $vgpr77
                                        ; implicit-def: $vgpr78
                                        ; implicit-def: $vgpr79
                                        ; implicit-def: $sgpr10
	s_cbranch_execnz .LBB1050_79
	s_branch .LBB1050_87
.LBB1050_61:
	v_add_co_u32_e32 v30, vcc, v22, v24
	v_addc_co_u32_e32 v31, vcc, 0, v23, vcc
	flat_load_dword v30, v[30:31]
	s_or_b64 exec, exec, s[34:35]
                                        ; implicit-def: $vgpr31
	s_and_saveexec_b64 s[34:35], s[4:5]
	s_cbranch_execz .LBB1050_39
.LBB1050_62:
	v_add_co_u32_e32 v32, vcc, v22, v24
	v_addc_co_u32_e32 v33, vcc, 0, v23, vcc
	flat_load_dword v31, v[32:33] offset:1024
	s_or_b64 exec, exec, s[34:35]
                                        ; implicit-def: $vgpr32
	s_and_saveexec_b64 s[4:5], s[6:7]
	s_cbranch_execz .LBB1050_40
.LBB1050_63:
	v_add_co_u32_e32 v32, vcc, v22, v24
	v_addc_co_u32_e32 v33, vcc, 0, v23, vcc
	flat_load_dword v32, v[32:33] offset:2048
	s_or_b64 exec, exec, s[4:5]
                                        ; implicit-def: $vgpr33
	s_and_saveexec_b64 s[4:5], s[8:9]
	s_cbranch_execz .LBB1050_41
.LBB1050_64:
	v_add_co_u32_e32 v34, vcc, v22, v24
	v_addc_co_u32_e32 v35, vcc, 0, v23, vcc
	flat_load_dword v33, v[34:35] offset:3072
	s_or_b64 exec, exec, s[4:5]
                                        ; implicit-def: $vgpr34
	s_and_saveexec_b64 s[4:5], s[10:11]
	s_cbranch_execz .LBB1050_42
.LBB1050_65:
	v_add_co_u32_e32 v34, vcc, v22, v2
	v_addc_co_u32_e32 v35, vcc, 0, v23, vcc
	flat_load_dword v34, v[34:35]
	s_or_b64 exec, exec, s[4:5]
                                        ; implicit-def: $vgpr2
	s_and_saveexec_b64 s[4:5], s[12:13]
	s_cbranch_execz .LBB1050_43
.LBB1050_66:
	v_add_co_u32_e32 v2, vcc, v22, v3
	v_addc_co_u32_e32 v3, vcc, 0, v23, vcc
	flat_load_dword v2, v[2:3]
	s_or_b64 exec, exec, s[4:5]
                                        ; implicit-def: $vgpr3
	s_and_saveexec_b64 s[4:5], s[14:15]
	s_cbranch_execz .LBB1050_44
.LBB1050_67:
	v_add_co_u32_e32 v36, vcc, v22, v4
	v_addc_co_u32_e32 v37, vcc, 0, v23, vcc
	flat_load_dword v3, v[36:37]
	s_or_b64 exec, exec, s[4:5]
                                        ; implicit-def: $vgpr4
	s_and_saveexec_b64 s[4:5], s[16:17]
	s_cbranch_execz .LBB1050_45
.LBB1050_68:
	v_add_co_u32_e32 v4, vcc, v22, v5
	v_addc_co_u32_e32 v5, vcc, 0, v23, vcc
	flat_load_dword v4, v[4:5]
	s_or_b64 exec, exec, s[4:5]
                                        ; implicit-def: $vgpr5
	s_and_saveexec_b64 s[4:5], s[18:19]
	s_cbranch_execz .LBB1050_46
.LBB1050_69:
	v_add_co_u32_e32 v36, vcc, v22, v6
	v_addc_co_u32_e32 v37, vcc, 0, v23, vcc
	flat_load_dword v5, v[36:37]
	s_or_b64 exec, exec, s[4:5]
                                        ; implicit-def: $vgpr6
	s_and_saveexec_b64 s[4:5], s[20:21]
	s_cbranch_execz .LBB1050_47
.LBB1050_70:
	v_add_co_u32_e32 v6, vcc, v22, v7
	v_addc_co_u32_e32 v7, vcc, 0, v23, vcc
	flat_load_dword v6, v[6:7]
	s_or_b64 exec, exec, s[4:5]
                                        ; implicit-def: $vgpr7
	s_and_saveexec_b64 s[4:5], s[22:23]
	s_cbranch_execz .LBB1050_48
.LBB1050_71:
	v_add_co_u32_e32 v36, vcc, v22, v25
	v_addc_co_u32_e32 v37, vcc, 0, v23, vcc
	flat_load_dword v7, v[36:37]
	s_or_b64 exec, exec, s[4:5]
                                        ; implicit-def: $vgpr25
	s_and_saveexec_b64 s[4:5], s[24:25]
	s_cbranch_execz .LBB1050_49
.LBB1050_72:
	v_add_co_u32_e32 v36, vcc, v22, v26
	v_addc_co_u32_e32 v37, vcc, 0, v23, vcc
	flat_load_dword v25, v[36:37]
	s_or_b64 exec, exec, s[4:5]
                                        ; implicit-def: $vgpr26
	s_and_saveexec_b64 s[4:5], s[26:27]
	s_cbranch_execz .LBB1050_50
.LBB1050_73:
	v_add_co_u32_e32 v26, vcc, v22, v27
	v_addc_co_u32_e32 v27, vcc, 0, v23, vcc
	flat_load_dword v26, v[26:27]
	s_or_b64 exec, exec, s[4:5]
                                        ; implicit-def: $vgpr27
	s_and_saveexec_b64 s[4:5], s[28:29]
	s_cbranch_execz .LBB1050_51
.LBB1050_74:
	v_add_co_u32_e32 v36, vcc, v22, v28
	v_addc_co_u32_e32 v37, vcc, 0, v23, vcc
	flat_load_dword v27, v[36:37]
	s_or_b64 exec, exec, s[4:5]
                                        ; implicit-def: $vgpr28
	s_and_saveexec_b64 s[4:5], s[30:31]
	s_cbranch_execnz .LBB1050_52
	s_branch .LBB1050_53
.LBB1050_75:
                                        ; implicit-def: $sgpr4_sgpr5
                                        ; implicit-def: $vgpr66
                                        ; implicit-def: $vgpr67
                                        ; implicit-def: $vgpr68
                                        ; implicit-def: $vgpr69
                                        ; implicit-def: $vgpr70
                                        ; implicit-def: $vgpr71
                                        ; implicit-def: $vgpr72
                                        ; implicit-def: $vgpr73
                                        ; implicit-def: $vgpr74
                                        ; implicit-def: $vgpr75
                                        ; implicit-def: $vgpr76
                                        ; implicit-def: $vgpr77
                                        ; implicit-def: $vgpr78
                                        ; implicit-def: $vgpr79
	s_cbranch_execz .LBB1050_59
; %bb.76:
	v_cmp_ne_u32_e32 vcc, v21, v36
	v_cndmask_b32_e64 v79, 0, 1, vcc
	v_cmp_ne_u32_e32 vcc, v21, v37
	v_cndmask_b32_e64 v78, 0, 1, vcc
	;; [unrolled: 2-line block ×13, first 2 shown]
	v_cmp_ne_u32_e32 vcc, v9, v1
	v_lshlrev_b32_e32 v7, 2, v0
	v_cndmask_b32_e64 v66, 0, 1, vcc
	ds_write_b32 v7, v1
	s_waitcnt lgkmcnt(0)
	s_barrier
	s_waitcnt lgkmcnt(0)
                                        ; implicit-def: $sgpr4_sgpr5
	s_and_saveexec_b64 s[8:9], s[2:3]
	s_xor_b64 s[8:9], exec, s[8:9]
	s_cbranch_execz .LBB1050_78
; %bb.77:
	v_add_u32_e32 v2, -4, v7
	ds_read_b32 v2, v2
	s_or_b64 s[42:43], s[42:43], exec
	s_waitcnt lgkmcnt(0)
	v_cmp_ne_u32_e32 vcc, v2, v20
	s_and_b64 s[4:5], vcc, exec
.LBB1050_78:
	s_or_b64 exec, exec, s[8:9]
	s_mov_b32 s10, 1
	s_branch .LBB1050_87
.LBB1050_79:
	s_mul_hi_u32 s5, s54, 0xfffff100
	s_mul_i32 s4, s55, 0xfffff100
	s_sub_i32 s5, s5, s54
	s_add_i32 s5, s5, s4
	s_mul_i32 s4, s54, 0xfffff100
	s_add_u32 s48, s4, s48
	s_addc_u32 s49, s5, s49
	s_and_b64 vcc, exec, s[6:7]
	v_cmp_ne_u32_e64 s[30:31], v9, v1
	v_cmp_ne_u32_e64 s[28:29], v8, v9
	;; [unrolled: 1-line block ×14, first 2 shown]
	v_mad_u32_u24 v2, v0, 15, 14
	v_mad_u32_u24 v56, v0, 15, 13
	;; [unrolled: 1-line block ×14, first 2 shown]
	s_cbranch_vccz .LBB1050_84
; %bb.80:
	v_add_co_u32_e32 v58, vcc, -4, v39
	v_addc_co_u32_e32 v59, vcc, -1, v41, vcc
	flat_load_dword v60, v[58:59]
	v_mov_b32_e32 v3, 0
	v_cmp_gt_u64_e32 vcc, s[48:49], v[2:3]
	v_mov_b32_e32 v57, v3
	s_and_b64 s[30:31], vcc, s[30:31]
	v_cmp_gt_u64_e32 vcc, s[48:49], v[56:57]
	v_mov_b32_e32 v55, v3
	s_and_b64 s[28:29], vcc, s[28:29]
	;; [unrolled: 3-line block ×13, first 2 shown]
	v_cmp_gt_u64_e32 vcc, s[48:49], v[4:5]
	v_lshlrev_b32_e32 v59, 2, v0
	v_mul_u32_u24_e32 v58, 15, v0
	s_and_b64 s[4:5], vcc, s[4:5]
	ds_write_b32 v59, v1
	s_waitcnt lgkmcnt(0)
	s_barrier
	s_and_saveexec_b64 s[42:43], s[2:3]
	s_cbranch_execz .LBB1050_82
; %bb.81:
	v_add_u32_e32 v5, -4, v59
	s_waitcnt vmcnt(0)
	ds_read_b32 v60, v5
.LBB1050_82:
	s_or_b64 exec, exec, s[42:43]
	v_mov_b32_e32 v59, v3
	v_cndmask_b32_e64 v79, 0, 1, s[4:5]
	v_cmp_gt_u64_e32 vcc, s[48:49], v[58:59]
	s_waitcnt vmcnt(0) lgkmcnt(0)
	v_cmp_ne_u32_e64 s[4:5], v60, v20
	v_cndmask_b32_e64 v66, 0, 1, s[30:31]
	v_cndmask_b32_e64 v67, 0, 1, s[28:29]
	;; [unrolled: 1-line block ×13, first 2 shown]
	s_and_b64 s[4:5], vcc, s[4:5]
	s_mov_b64 s[42:43], -1
.LBB1050_83:
                                        ; implicit-def: $sgpr10
	v_mov_b32_e32 v82, s10
	s_and_saveexec_b64 s[2:3], s[42:43]
	s_cbranch_execnz .LBB1050_88
	s_branch .LBB1050_89
.LBB1050_84:
                                        ; implicit-def: $sgpr4_sgpr5
                                        ; implicit-def: $vgpr66
                                        ; implicit-def: $vgpr67
                                        ; implicit-def: $vgpr68
                                        ; implicit-def: $vgpr69
                                        ; implicit-def: $vgpr70
                                        ; implicit-def: $vgpr71
                                        ; implicit-def: $vgpr72
                                        ; implicit-def: $vgpr73
                                        ; implicit-def: $vgpr74
                                        ; implicit-def: $vgpr75
                                        ; implicit-def: $vgpr76
                                        ; implicit-def: $vgpr77
                                        ; implicit-def: $vgpr78
                                        ; implicit-def: $vgpr79
	s_cbranch_execz .LBB1050_83
; %bb.85:
	v_mov_b32_e32 v3, 0
	v_cmp_gt_u64_e32 vcc, s[48:49], v[2:3]
	v_cmp_ne_u32_e64 s[4:5], v9, v1
	s_and_b64 s[4:5], vcc, s[4:5]
	v_mov_b32_e32 v57, v3
	v_cndmask_b32_e64 v66, 0, 1, s[4:5]
	v_cmp_gt_u64_e32 vcc, s[48:49], v[56:57]
	v_cmp_ne_u32_e64 s[4:5], v8, v9
	s_and_b64 s[4:5], vcc, s[4:5]
	v_mov_b32_e32 v55, v3
	v_cndmask_b32_e64 v67, 0, 1, s[4:5]
	;; [unrolled: 5-line block ×13, first 2 shown]
	v_cmp_gt_u64_e32 vcc, s[48:49], v[4:5]
	v_cmp_ne_u32_e64 s[4:5], v20, v21
	s_and_b64 s[4:5], vcc, s[4:5]
	v_lshlrev_b32_e32 v58, 2, v0
	s_mov_b32 s10, 1
	v_cndmask_b32_e64 v79, 0, 1, s[4:5]
	ds_write_b32 v58, v1
	s_waitcnt lgkmcnt(0)
	s_barrier
	s_waitcnt lgkmcnt(0)
                                        ; implicit-def: $sgpr4_sgpr5
	s_and_saveexec_b64 s[6:7], s[2:3]
	s_cbranch_execz .LBB1050_170
; %bb.86:
	v_add_u32_e32 v2, -4, v58
	ds_read_b32 v4, v2
	v_mul_u32_u24_e32 v2, 15, v0
	v_cmp_gt_u64_e32 vcc, s[48:49], v[2:3]
	s_or_b64 s[42:43], s[42:43], exec
	s_waitcnt lgkmcnt(0)
	v_cmp_ne_u32_e64 s[2:3], v4, v20
	s_and_b64 s[2:3], vcc, s[2:3]
	s_and_b64 s[4:5], s[2:3], exec
	s_or_b64 exec, exec, s[6:7]
.LBB1050_87:
	v_mov_b32_e32 v82, s10
	s_and_saveexec_b64 s[2:3], s[42:43]
.LBB1050_88:
	v_cndmask_b32_e64 v82, 0, 1, s[4:5]
.LBB1050_89:
	s_or_b64 exec, exec, s[2:3]
	s_cmp_eq_u64 s[38:39], 0
	v_add3_u32 v2, v79, v82, v78
	s_cselect_b64 s[38:39], -1, 0
	s_cmp_lg_u32 s58, 0
	v_cmp_eq_u32_e64 s[26:27], 0, v79
	v_cmp_eq_u32_e64 s[24:25], 0, v78
	;; [unrolled: 1-line block ×3, first 2 shown]
	v_add3_u32 v86, v2, v77, v76
	v_cmp_eq_u32_e64 s[20:21], 0, v76
	v_cmp_eq_u32_e64 s[18:19], 0, v75
	;; [unrolled: 1-line block ×10, first 2 shown]
	v_cmp_eq_u32_e32 vcc, 0, v66
	v_mbcnt_lo_u32_b32 v85, -1, 0
	v_lshrrev_b32_e32 v83, 6, v0
	v_or_b32_e32 v84, 63, v0
	s_cbranch_scc0 .LBB1050_116
; %bb.90:
	v_cndmask_b32_e64 v2, 0, v34, s[26:27]
	v_add_u32_e32 v2, v2, v35
	v_cndmask_b32_e64 v2, 0, v2, s[24:25]
	v_add_u32_e32 v2, v2, v32
	;; [unrolled: 2-line block ×11, first 2 shown]
	v_cndmask_b32_e64 v2, 0, v2, s[4:5]
	v_add3_u32 v3, v86, v75, v74
	v_add_u32_e32 v2, v2, v22
	v_add3_u32 v3, v3, v73, v72
	v_cndmask_b32_e64 v2, 0, v2, s[2:3]
	v_add3_u32 v3, v3, v71, v70
	v_add_u32_e32 v2, v2, v23
	v_add3_u32 v3, v3, v69, v68
	v_cndmask_b32_e32 v2, 0, v2, vcc
	v_add3_u32 v3, v3, v67, v66
	v_add_u32_e32 v2, v2, v80
	v_mbcnt_hi_u32_b32 v39, -1, v85
	v_and_b32_e32 v4, 15, v39
	v_mov_b32_dpp v6, v2 row_shr:1 row_mask:0xf bank_mask:0xf
	v_cmp_eq_u32_e32 vcc, 0, v3
	v_mov_b32_dpp v5, v3 row_shr:1 row_mask:0xf bank_mask:0xf
	v_cndmask_b32_e32 v6, 0, v6, vcc
	v_cmp_eq_u32_e32 vcc, 0, v4
	v_cndmask_b32_e64 v5, v5, 0, vcc
	v_add_u32_e32 v3, v5, v3
	v_cndmask_b32_e64 v5, v6, 0, vcc
	v_add_u32_e32 v2, v5, v2
	v_cmp_eq_u32_e32 vcc, 0, v3
	v_mov_b32_dpp v5, v3 row_shr:2 row_mask:0xf bank_mask:0xf
	v_cmp_lt_u32_e64 s[28:29], 1, v4
	v_mov_b32_dpp v6, v2 row_shr:2 row_mask:0xf bank_mask:0xf
	v_cndmask_b32_e64 v5, 0, v5, s[28:29]
	s_and_b64 vcc, s[28:29], vcc
	v_cndmask_b32_e32 v6, 0, v6, vcc
	v_add_u32_e32 v3, v3, v5
	v_add_u32_e32 v2, v6, v2
	v_cmp_eq_u32_e32 vcc, 0, v3
	v_mov_b32_dpp v5, v3 row_shr:4 row_mask:0xf bank_mask:0xf
	v_cmp_lt_u32_e64 s[28:29], 3, v4
	v_mov_b32_dpp v6, v2 row_shr:4 row_mask:0xf bank_mask:0xf
	v_cndmask_b32_e64 v5, 0, v5, s[28:29]
	s_and_b64 vcc, s[28:29], vcc
	v_cndmask_b32_e32 v6, 0, v6, vcc
	v_add_u32_e32 v3, v5, v3
	v_add_u32_e32 v2, v2, v6
	v_cmp_eq_u32_e32 vcc, 0, v3
	v_cmp_lt_u32_e64 s[28:29], 7, v4
	v_mov_b32_dpp v5, v3 row_shr:8 row_mask:0xf bank_mask:0xf
	v_mov_b32_dpp v6, v2 row_shr:8 row_mask:0xf bank_mask:0xf
	s_and_b64 vcc, s[28:29], vcc
	v_cndmask_b32_e64 v4, 0, v5, s[28:29]
	v_cndmask_b32_e32 v5, 0, v6, vcc
	v_add_u32_e32 v2, v5, v2
	v_add_u32_e32 v3, v4, v3
	v_bfe_i32 v6, v39, 4, 1
	v_mov_b32_dpp v5, v2 row_bcast:15 row_mask:0xf bank_mask:0xf
	v_mov_b32_dpp v4, v3 row_bcast:15 row_mask:0xf bank_mask:0xf
	v_cmp_eq_u32_e32 vcc, 0, v3
	v_cndmask_b32_e32 v5, 0, v5, vcc
	v_and_b32_e32 v4, v6, v4
	v_add_u32_e32 v3, v4, v3
	v_and_b32_e32 v4, v6, v5
	v_add_u32_e32 v4, v4, v2
	v_mov_b32_dpp v2, v3 row_bcast:31 row_mask:0xf bank_mask:0xf
	v_cmp_eq_u32_e32 vcc, 0, v3
	v_cmp_lt_u32_e64 s[28:29], 31, v39
	v_mov_b32_dpp v5, v4 row_bcast:31 row_mask:0xf bank_mask:0xf
	v_cndmask_b32_e64 v2, 0, v2, s[28:29]
	s_and_b64 vcc, s[28:29], vcc
	v_add_u32_e32 v2, v2, v3
	v_cndmask_b32_e32 v3, 0, v5, vcc
	v_add_u32_e32 v3, v3, v4
	v_cmp_eq_u32_e32 vcc, v84, v0
	v_lshlrev_b32_e32 v4, 3, v83
	s_and_saveexec_b64 s[28:29], vcc
	s_cbranch_execz .LBB1050_92
; %bb.91:
	ds_write_b64 v4, v[2:3] offset:2064
.LBB1050_92:
	s_or_b64 exec, exec, s[28:29]
	v_cmp_gt_u32_e32 vcc, 4, v0
	s_waitcnt lgkmcnt(0)
	s_barrier
	s_and_saveexec_b64 s[30:31], vcc
	s_cbranch_execz .LBB1050_94
; %bb.93:
	v_lshlrev_b32_e32 v5, 3, v0
	ds_read_b64 v[6:7], v5 offset:2064
	v_and_b32_e32 v36, 3, v39
	v_cmp_lt_u32_e64 s[28:29], 1, v36
	s_waitcnt lgkmcnt(0)
	v_mov_b32_dpp v38, v7 row_shr:1 row_mask:0xf bank_mask:0xf
	v_cmp_eq_u32_e32 vcc, 0, v6
	v_mov_b32_dpp v37, v6 row_shr:1 row_mask:0xf bank_mask:0xf
	v_cndmask_b32_e32 v38, 0, v38, vcc
	v_cmp_eq_u32_e32 vcc, 0, v36
	v_cndmask_b32_e64 v37, v37, 0, vcc
	v_add_u32_e32 v6, v37, v6
	v_cndmask_b32_e64 v37, v38, 0, vcc
	v_add_u32_e32 v7, v37, v7
	v_cmp_eq_u32_e32 vcc, 0, v6
	v_mov_b32_dpp v37, v6 row_shr:2 row_mask:0xf bank_mask:0xf
	v_mov_b32_dpp v38, v7 row_shr:2 row_mask:0xf bank_mask:0xf
	v_cndmask_b32_e64 v36, 0, v37, s[28:29]
	s_and_b64 vcc, s[28:29], vcc
	v_add_u32_e32 v6, v36, v6
	v_cndmask_b32_e32 v36, 0, v38, vcc
	v_add_u32_e32 v7, v36, v7
	ds_write_b64 v5, v[6:7] offset:2064
.LBB1050_94:
	s_or_b64 exec, exec, s[30:31]
	v_cmp_gt_u32_e32 vcc, 64, v0
	v_cmp_lt_u32_e64 s[28:29], 63, v0
	v_mov_b32_e32 v36, 0
	v_mov_b32_e32 v37, 0
	s_waitcnt lgkmcnt(0)
	s_barrier
	s_and_saveexec_b64 s[30:31], s[28:29]
	s_cbranch_execz .LBB1050_96
; %bb.95:
	ds_read_b64 v[36:37], v4 offset:2056
	v_cmp_eq_u32_e64 s[28:29], 0, v2
	s_waitcnt lgkmcnt(0)
	v_add_u32_e32 v4, v36, v2
	v_cndmask_b32_e64 v2, 0, v37, s[28:29]
	v_add_u32_e32 v3, v2, v3
	v_mov_b32_e32 v2, v4
.LBB1050_96:
	s_or_b64 exec, exec, s[30:31]
	v_add_u32_e32 v4, -1, v39
	v_and_b32_e32 v5, 64, v39
	v_cmp_lt_i32_e64 s[28:29], v4, v5
	v_cndmask_b32_e64 v4, v4, v39, s[28:29]
	v_lshlrev_b32_e32 v4, 2, v4
	ds_bpermute_b32 v44, v4, v2
	ds_bpermute_b32 v45, v4, v3
	v_cmp_eq_u32_e64 s[28:29], 0, v39
	s_and_saveexec_b64 s[42:43], vcc
	s_cbranch_execz .LBB1050_115
; %bb.97:
	v_mov_b32_e32 v7, 0
	ds_read_b64 v[2:3], v7 offset:2088
	s_waitcnt lgkmcnt(0)
	v_readfirstlane_b32 s54, v2
	v_readfirstlane_b32 s55, v3
	s_and_saveexec_b64 s[30:31], s[28:29]
	s_cbranch_execz .LBB1050_99
; %bb.98:
	s_add_i32 s48, s58, 64
	s_mov_b32 s49, 0
	s_lshl_b64 s[56:57], s[48:49], 4
	s_add_u32 s56, s36, s56
	s_addc_u32 s57, s37, s57
	s_and_b32 s61, s55, 0xff000000
	s_mov_b32 s60, s49
	s_and_b32 s63, s55, 0xff0000
	s_mov_b32 s62, s49
	s_or_b64 s[60:61], s[62:63], s[60:61]
	s_and_b32 s63, s55, 0xff00
	s_or_b64 s[60:61], s[60:61], s[62:63]
	s_and_b32 s63, s55, 0xff
	s_or_b64 s[48:49], s[60:61], s[62:63]
	v_mov_b32_e32 v4, s54
	v_mov_b32_e32 v5, s49
	;; [unrolled: 1-line block ×3, first 2 shown]
	v_pk_mov_b32 v[2:3], s[56:57], s[56:57] op_sel:[0,1]
	;;#ASMSTART
	global_store_dwordx4 v[2:3], v[4:7] off	
s_waitcnt vmcnt(0)
	;;#ASMEND
.LBB1050_99:
	s_or_b64 exec, exec, s[30:31]
	v_xad_u32 v38, v39, -1, s58
	v_add_u32_e32 v6, 64, v38
	v_lshlrev_b64 v[2:3], 4, v[6:7]
	v_mov_b32_e32 v4, s37
	v_add_co_u32_e32 v40, vcc, s36, v2
	v_addc_co_u32_e32 v41, vcc, v4, v3, vcc
	;;#ASMSTART
	global_load_dwordx4 v[2:5], v[40:41] off glc	
s_waitcnt vmcnt(0)
	;;#ASMEND
	v_and_b32_e32 v5, 0xff, v3
	v_and_b32_e32 v6, 0xff00, v3
	;; [unrolled: 1-line block ×3, first 2 shown]
	v_or3_b32 v5, 0, v5, v6
	v_or3_b32 v2, v2, 0, 0
	v_and_b32_e32 v3, 0xff000000, v3
	v_or3_b32 v3, v5, v42, v3
	v_or3_b32 v2, v2, 0, 0
	v_cmp_eq_u16_sdwa s[48:49], v4, v7 src0_sel:BYTE_0 src1_sel:DWORD
	s_and_saveexec_b64 s[30:31], s[48:49]
	s_cbranch_execz .LBB1050_103
; %bb.100:
	s_mov_b64 s[48:49], 0
	v_mov_b32_e32 v6, 0
.LBB1050_101:                           ; =>This Inner Loop Header: Depth=1
	;;#ASMSTART
	global_load_dwordx4 v[2:5], v[40:41] off glc	
s_waitcnt vmcnt(0)
	;;#ASMEND
	v_cmp_ne_u16_sdwa s[56:57], v4, v6 src0_sel:BYTE_0 src1_sel:DWORD
	s_or_b64 s[48:49], s[56:57], s[48:49]
	s_andn2_b64 exec, exec, s[48:49]
	s_cbranch_execnz .LBB1050_101
; %bb.102:
	s_or_b64 exec, exec, s[48:49]
.LBB1050_103:
	s_or_b64 exec, exec, s[30:31]
	v_mov_b32_e32 v46, 2
	v_cmp_eq_u16_sdwa s[30:31], v4, v46 src0_sel:BYTE_0 src1_sel:DWORD
	v_lshlrev_b64 v[40:41], v39, -1
	v_and_b32_e32 v5, s31, v41
	v_and_b32_e32 v47, 63, v39
	v_or_b32_e32 v5, 0x80000000, v5
	v_cmp_ne_u32_e32 vcc, 63, v47
	v_and_b32_e32 v6, s30, v40
	v_ffbl_b32_e32 v5, v5
	v_addc_co_u32_e32 v7, vcc, 0, v39, vcc
	v_add_u32_e32 v5, 32, v5
	v_ffbl_b32_e32 v6, v6
	v_lshlrev_b32_e32 v48, 2, v7
	v_min_u32_e32 v5, v6, v5
	ds_bpermute_b32 v6, v48, v3
	v_cmp_eq_u32_e32 vcc, 0, v2
	v_cmp_lt_u32_e64 s[30:31], v47, v5
	ds_bpermute_b32 v7, v48, v2
	s_and_b64 vcc, s[30:31], vcc
	s_waitcnt lgkmcnt(1)
	v_cndmask_b32_e32 v6, 0, v6, vcc
	v_cmp_gt_u32_e32 vcc, 62, v47
	v_add_u32_e32 v3, v6, v3
	v_cndmask_b32_e64 v6, 0, 1, vcc
	v_lshlrev_b32_e32 v6, 1, v6
	v_add_lshl_u32 v49, v6, v39, 2
	s_waitcnt lgkmcnt(0)
	v_cndmask_b32_e64 v7, 0, v7, s[30:31]
	ds_bpermute_b32 v6, v49, v3
	v_add_u32_e32 v2, v7, v2
	ds_bpermute_b32 v7, v49, v2
	v_add_u32_e32 v50, 2, v47
	v_cmp_eq_u32_e32 vcc, 0, v2
	s_waitcnt lgkmcnt(1)
	v_cndmask_b32_e32 v6, 0, v6, vcc
	v_cmp_gt_u32_e32 vcc, v50, v5
	v_cndmask_b32_e64 v6, v6, 0, vcc
	v_add_u32_e32 v3, v6, v3
	s_waitcnt lgkmcnt(0)
	v_cndmask_b32_e64 v6, v7, 0, vcc
	v_cmp_gt_u32_e32 vcc, 60, v47
	v_cndmask_b32_e64 v7, 0, 1, vcc
	v_lshlrev_b32_e32 v7, 2, v7
	v_add_lshl_u32 v51, v7, v39, 2
	ds_bpermute_b32 v7, v51, v3
	v_add_u32_e32 v2, v2, v6
	ds_bpermute_b32 v6, v51, v2
	v_add_u32_e32 v52, 4, v47
	v_cmp_eq_u32_e32 vcc, 0, v2
	s_waitcnt lgkmcnt(1)
	v_cndmask_b32_e32 v7, 0, v7, vcc
	v_cmp_gt_u32_e32 vcc, v52, v5
	v_cndmask_b32_e64 v7, v7, 0, vcc
	s_waitcnt lgkmcnt(0)
	v_cndmask_b32_e64 v6, v6, 0, vcc
	v_cmp_gt_u32_e32 vcc, 56, v47
	v_add_u32_e32 v3, v3, v7
	v_cndmask_b32_e64 v7, 0, 1, vcc
	v_lshlrev_b32_e32 v7, 3, v7
	v_add_lshl_u32 v53, v7, v39, 2
	ds_bpermute_b32 v7, v53, v3
	v_add_u32_e32 v2, v2, v6
	ds_bpermute_b32 v6, v53, v2
	v_add_u32_e32 v54, 8, v47
	v_cmp_eq_u32_e32 vcc, 0, v2
	s_waitcnt lgkmcnt(1)
	v_cndmask_b32_e32 v7, 0, v7, vcc
	v_cmp_gt_u32_e32 vcc, v54, v5
	v_cndmask_b32_e64 v7, v7, 0, vcc
	s_waitcnt lgkmcnt(0)
	v_cndmask_b32_e64 v6, v6, 0, vcc
	v_cmp_gt_u32_e32 vcc, 48, v47
	v_add_u32_e32 v3, v3, v7
	;; [unrolled: 16-line block ×3, first 2 shown]
	v_cndmask_b32_e64 v7, 0, 1, vcc
	v_lshlrev_b32_e32 v7, 5, v7
	v_add_lshl_u32 v57, v7, v39, 2
	ds_bpermute_b32 v7, v57, v3
	v_add_u32_e32 v2, v2, v6
	ds_bpermute_b32 v6, v57, v2
	v_add_u32_e32 v58, 32, v47
	v_cmp_eq_u32_e32 vcc, 0, v2
	s_waitcnt lgkmcnt(1)
	v_cndmask_b32_e32 v7, 0, v7, vcc
	v_cmp_gt_u32_e32 vcc, v58, v5
	v_cndmask_b32_e64 v5, v7, 0, vcc
	v_add_u32_e32 v3, v5, v3
	s_waitcnt lgkmcnt(0)
	v_cndmask_b32_e64 v5, v6, 0, vcc
	v_add_u32_e32 v2, v5, v2
	v_mov_b32_e32 v39, 0
	s_branch .LBB1050_105
.LBB1050_104:                           ;   in Loop: Header=BB1050_105 Depth=1
	s_or_b64 exec, exec, s[30:31]
	v_cmp_eq_u16_sdwa s[30:31], v4, v46 src0_sel:BYTE_0 src1_sel:DWORD
	v_and_b32_e32 v5, s31, v41
	v_or_b32_e32 v5, 0x80000000, v5
	v_and_b32_e32 v42, s30, v40
	v_ffbl_b32_e32 v5, v5
	v_add_u32_e32 v5, 32, v5
	v_ffbl_b32_e32 v42, v42
	v_min_u32_e32 v5, v42, v5
	ds_bpermute_b32 v42, v48, v3
	v_cmp_eq_u32_e32 vcc, 0, v2
	v_cmp_lt_u32_e64 s[30:31], v47, v5
	ds_bpermute_b32 v43, v48, v2
	s_and_b64 vcc, s[30:31], vcc
	s_waitcnt lgkmcnt(1)
	v_cndmask_b32_e32 v42, 0, v42, vcc
	v_add_u32_e32 v3, v42, v3
	ds_bpermute_b32 v42, v49, v3
	s_waitcnt lgkmcnt(1)
	v_cndmask_b32_e64 v43, 0, v43, s[30:31]
	v_add_u32_e32 v2, v43, v2
	v_cmp_eq_u32_e32 vcc, 0, v2
	ds_bpermute_b32 v43, v49, v2
	s_waitcnt lgkmcnt(1)
	v_cndmask_b32_e32 v42, 0, v42, vcc
	v_cmp_gt_u32_e32 vcc, v50, v5
	v_cndmask_b32_e64 v42, v42, 0, vcc
	v_add_u32_e32 v3, v42, v3
	ds_bpermute_b32 v42, v51, v3
	s_waitcnt lgkmcnt(1)
	v_cndmask_b32_e64 v43, v43, 0, vcc
	v_add_u32_e32 v2, v2, v43
	v_cmp_eq_u32_e32 vcc, 0, v2
	ds_bpermute_b32 v43, v51, v2
	s_waitcnt lgkmcnt(1)
	v_cndmask_b32_e32 v42, 0, v42, vcc
	v_cmp_gt_u32_e32 vcc, v52, v5
	v_cndmask_b32_e64 v42, v42, 0, vcc
	v_add_u32_e32 v3, v3, v42
	ds_bpermute_b32 v42, v53, v3
	s_waitcnt lgkmcnt(1)
	v_cndmask_b32_e64 v43, v43, 0, vcc
	v_add_u32_e32 v2, v2, v43
	ds_bpermute_b32 v43, v53, v2
	v_cmp_eq_u32_e32 vcc, 0, v2
	s_waitcnt lgkmcnt(1)
	v_cndmask_b32_e32 v42, 0, v42, vcc
	v_cmp_gt_u32_e32 vcc, v54, v5
	v_cndmask_b32_e64 v42, v42, 0, vcc
	v_add_u32_e32 v3, v3, v42
	ds_bpermute_b32 v42, v55, v3
	s_waitcnt lgkmcnt(1)
	v_cndmask_b32_e64 v43, v43, 0, vcc
	v_add_u32_e32 v2, v2, v43
	ds_bpermute_b32 v43, v55, v2
	v_cmp_eq_u32_e32 vcc, 0, v2
	;; [unrolled: 11-line block ×3, first 2 shown]
	s_waitcnt lgkmcnt(1)
	v_cndmask_b32_e32 v42, 0, v42, vcc
	v_cmp_gt_u32_e32 vcc, v58, v5
	v_cndmask_b32_e64 v5, v42, 0, vcc
	v_add_u32_e32 v3, v5, v3
	s_waitcnt lgkmcnt(0)
	v_cndmask_b32_e64 v5, v43, 0, vcc
	v_cmp_eq_u32_e32 vcc, 0, v6
	v_cndmask_b32_e32 v3, 0, v3, vcc
	v_subrev_u32_e32 v38, 64, v38
	v_add3_u32 v2, v2, v6, v5
	v_add_u32_e32 v3, v3, v7
.LBB1050_105:                           ; =>This Loop Header: Depth=1
                                        ;     Child Loop BB1050_108 Depth 2
	v_cmp_ne_u16_sdwa s[30:31], v4, v46 src0_sel:BYTE_0 src1_sel:DWORD
	v_mov_b32_e32 v7, v3
	v_cndmask_b32_e64 v3, 0, 1, s[30:31]
	;;#ASMSTART
	;;#ASMEND
	v_cmp_ne_u32_e32 vcc, 0, v3
	s_cmp_lg_u64 vcc, exec
	v_mov_b32_e32 v6, v2
	s_cbranch_scc1 .LBB1050_110
; %bb.106:                              ;   in Loop: Header=BB1050_105 Depth=1
	v_lshlrev_b64 v[2:3], 4, v[38:39]
	v_mov_b32_e32 v4, s37
	v_add_co_u32_e32 v42, vcc, s36, v2
	v_addc_co_u32_e32 v43, vcc, v4, v3, vcc
	;;#ASMSTART
	global_load_dwordx4 v[2:5], v[42:43] off glc	
s_waitcnt vmcnt(0)
	;;#ASMEND
	v_and_b32_e32 v5, 0xff, v3
	v_and_b32_e32 v59, 0xff00, v3
	;; [unrolled: 1-line block ×3, first 2 shown]
	v_or3_b32 v5, 0, v5, v59
	v_or3_b32 v2, v2, 0, 0
	v_and_b32_e32 v3, 0xff000000, v3
	v_or3_b32 v3, v5, v60, v3
	v_or3_b32 v2, v2, 0, 0
	v_cmp_eq_u16_sdwa s[48:49], v4, v39 src0_sel:BYTE_0 src1_sel:DWORD
	s_and_saveexec_b64 s[30:31], s[48:49]
	s_cbranch_execz .LBB1050_104
; %bb.107:                              ;   in Loop: Header=BB1050_105 Depth=1
	s_mov_b64 s[48:49], 0
.LBB1050_108:                           ;   Parent Loop BB1050_105 Depth=1
                                        ; =>  This Inner Loop Header: Depth=2
	;;#ASMSTART
	global_load_dwordx4 v[2:5], v[42:43] off glc	
s_waitcnt vmcnt(0)
	;;#ASMEND
	v_cmp_ne_u16_sdwa s[56:57], v4, v39 src0_sel:BYTE_0 src1_sel:DWORD
	s_or_b64 s[48:49], s[56:57], s[48:49]
	s_andn2_b64 exec, exec, s[48:49]
	s_cbranch_execnz .LBB1050_108
; %bb.109:                              ;   in Loop: Header=BB1050_105 Depth=1
	s_or_b64 exec, exec, s[48:49]
	s_branch .LBB1050_104
.LBB1050_110:                           ;   in Loop: Header=BB1050_105 Depth=1
                                        ; implicit-def: $vgpr3
                                        ; implicit-def: $vgpr2
                                        ; implicit-def: $vgpr4
	s_cbranch_execz .LBB1050_105
; %bb.111:
	s_and_saveexec_b64 s[30:31], s[28:29]
	s_cbranch_execz .LBB1050_113
; %bb.112:
	s_cmp_eq_u32 s54, 0
	s_cselect_b64 vcc, -1, 0
	s_mov_b32 s49, 0
	v_cndmask_b32_e32 v2, 0, v7, vcc
	s_add_i32 s48, s58, 64
	v_add_u32_e32 v2, s55, v2
	s_lshl_b64 s[48:49], s[48:49], 4
	s_add_u32 s48, s36, s48
	v_and_b32_e32 v3, 0xff000000, v2
	v_and_b32_e32 v4, 0xff0000, v2
	s_addc_u32 s49, s37, s49
	v_or_b32_e32 v3, v4, v3
	v_and_b32_e32 v4, 0xff00, v2
	v_and_b32_e32 v2, 0xff, v2
	v_add_u32_e32 v38, s54, v6
	v_mov_b32_e32 v41, 0
	v_or3_b32 v39, v3, v4, v2
	v_mov_b32_e32 v40, 2
	v_pk_mov_b32 v[2:3], s[48:49], s[48:49] op_sel:[0,1]
	;;#ASMSTART
	global_store_dwordx4 v[2:3], v[38:41] off	
s_waitcnt vmcnt(0)
	;;#ASMEND
	v_mov_b32_e32 v4, s54
	v_mov_b32_e32 v5, s55
	ds_write_b128 v41, v[4:7] offset:2048
.LBB1050_113:
	s_or_b64 exec, exec, s[30:31]
	s_and_b64 exec, exec, s[0:1]
	s_cbranch_execz .LBB1050_115
; %bb.114:
	v_mov_b32_e32 v2, 0
	ds_write_b64 v2, v[6:7] offset:2088
.LBB1050_115:
	s_or_b64 exec, exec, s[42:43]
	v_mov_b32_e32 v4, 0
	s_waitcnt lgkmcnt(0)
	s_barrier
	ds_read_b64 v[2:3], v4 offset:2088
	v_cndmask_b32_e64 v6, v44, v36, s[28:29]
	v_cmp_eq_u32_e32 vcc, 0, v6
	v_cndmask_b32_e64 v5, v45, v37, s[28:29]
	s_waitcnt lgkmcnt(0)
	v_cndmask_b32_e32 v7, 0, v3, vcc
	v_add_u32_e32 v5, v7, v5
	v_cndmask_b32_e64 v65, v5, v3, s[0:1]
	v_cndmask_b32_e64 v3, v6, 0, s[0:1]
	v_cmp_eq_u32_e32 vcc, 0, v82
	v_add_u32_e32 v64, v2, v3
	v_cndmask_b32_e32 v2, 0, v65, vcc
	v_add_u32_e32 v63, v2, v34
	v_cndmask_b32_e64 v2, 0, v63, s[26:27]
	v_add_u32_e32 v61, v2, v35
	v_cndmask_b32_e64 v2, 0, v61, s[24:25]
	;; [unrolled: 2-line block ×8, first 2 shown]
	v_add_u32_e32 v62, v64, v82
	v_add_u32_e32 v47, v2, v26
	v_add_u32_e32 v60, v62, v79
	v_cndmask_b32_e64 v2, 0, v47, s[10:11]
	v_add_u32_e32 v58, v60, v78
	v_add_u32_e32 v45, v2, v27
	v_add_u32_e32 v56, v58, v77
	v_cndmask_b32_e64 v2, 0, v45, s[8:9]
	;; [unrolled: 4-line block ×3, first 2 shown]
	v_add_u32_e32 v50, v52, v74
	v_add_u32_e32 v41, v2, v25
	s_barrier
	ds_read_b128 v[2:5], v4 offset:2048
	v_add_u32_e32 v48, v50, v73
	v_add_u32_e32 v46, v48, v72
	;; [unrolled: 1-line block ×4, first 2 shown]
	v_cndmask_b32_e64 v6, 0, v41, s[4:5]
	v_add_u32_e32 v40, v42, v69
	v_add_u32_e32 v39, v6, v22
	s_waitcnt lgkmcnt(0)
	v_cmp_eq_u32_e32 vcc, 0, v2
	v_add_u32_e32 v38, v40, v68
	v_cndmask_b32_e64 v6, 0, v39, s[2:3]
	v_cndmask_b32_e32 v5, 0, v5, vcc
	v_add_u32_e32 v36, v38, v67
	v_add_u32_e32 v37, v6, v23
	;; [unrolled: 1-line block ×3, first 2 shown]
	s_branch .LBB1050_128
.LBB1050_116:
                                        ; implicit-def: $vgpr2
                                        ; implicit-def: $vgpr81
                                        ; implicit-def: $vgpr64_vgpr65
                                        ; implicit-def: $vgpr62_vgpr63
                                        ; implicit-def: $vgpr60_vgpr61
                                        ; implicit-def: $vgpr58_vgpr59
                                        ; implicit-def: $vgpr56_vgpr57
                                        ; implicit-def: $vgpr54_vgpr55
                                        ; implicit-def: $vgpr52_vgpr53
                                        ; implicit-def: $vgpr50_vgpr51
                                        ; implicit-def: $vgpr48_vgpr49
                                        ; implicit-def: $vgpr46_vgpr47
                                        ; implicit-def: $vgpr44_vgpr45
                                        ; implicit-def: $vgpr42_vgpr43
                                        ; implicit-def: $vgpr40_vgpr41
                                        ; implicit-def: $vgpr38_vgpr39
                                        ; implicit-def: $vgpr36_vgpr37
	s_cbranch_execz .LBB1050_128
; %bb.117:
	s_and_b64 s[2:3], s[38:39], exec
	s_cselect_b32 s3, 0, s53
	s_cselect_b32 s2, 0, s52
	s_cmp_eq_u64 s[2:3], 0
	v_mov_b32_e32 v6, v34
	s_cbranch_scc1 .LBB1050_119
; %bb.118:
	v_mov_b32_e32 v2, 0
	global_load_dword v6, v2, s[2:3]
.LBB1050_119:
	v_cmp_eq_u32_e64 s[2:3], 0, v79
	v_cndmask_b32_e64 v2, 0, v34, s[2:3]
	v_add_u32_e32 v2, v2, v35
	v_cmp_eq_u32_e64 s[4:5], 0, v78
	v_cndmask_b32_e64 v2, 0, v2, s[4:5]
	v_add_u32_e32 v2, v2, v32
	;; [unrolled: 3-line block ×11, first 2 shown]
	v_cmp_eq_u32_e64 s[24:25], 0, v68
	v_cndmask_b32_e64 v2, 0, v2, s[24:25]
	v_add3_u32 v3, v86, v75, v74
	v_add_u32_e32 v2, v2, v22
	v_cmp_eq_u32_e32 vcc, 0, v67
	v_add3_u32 v3, v3, v73, v72
	v_cndmask_b32_e32 v2, 0, v2, vcc
	v_add3_u32 v3, v3, v71, v70
	v_add_u32_e32 v2, v2, v23
	v_cmp_eq_u32_e64 s[26:27], 0, v66
	v_add3_u32 v3, v3, v69, v68
	v_cndmask_b32_e64 v2, 0, v2, s[26:27]
	v_add3_u32 v3, v3, v67, v66
	v_add_u32_e32 v2, v2, v80
	v_mbcnt_hi_u32_b32 v7, -1, v85
	v_and_b32_e32 v4, 15, v7
	v_mov_b32_dpp v36, v2 row_shr:1 row_mask:0xf bank_mask:0xf
	v_cmp_eq_u32_e64 s[26:27], 0, v3
	v_mov_b32_dpp v5, v3 row_shr:1 row_mask:0xf bank_mask:0xf
	v_cndmask_b32_e64 v36, 0, v36, s[26:27]
	v_cmp_eq_u32_e64 s[26:27], 0, v4
	v_cndmask_b32_e64 v5, v5, 0, s[26:27]
	v_add_u32_e32 v3, v5, v3
	v_cndmask_b32_e64 v5, v36, 0, s[26:27]
	v_add_u32_e32 v2, v5, v2
	v_cmp_eq_u32_e64 s[26:27], 0, v3
	v_mov_b32_dpp v5, v3 row_shr:2 row_mask:0xf bank_mask:0xf
	v_cmp_lt_u32_e64 s[28:29], 1, v4
	v_mov_b32_dpp v36, v2 row_shr:2 row_mask:0xf bank_mask:0xf
	v_cndmask_b32_e64 v5, 0, v5, s[28:29]
	s_and_b64 s[26:27], s[28:29], s[26:27]
	v_cndmask_b32_e64 v36, 0, v36, s[26:27]
	v_add_u32_e32 v3, v3, v5
	v_add_u32_e32 v2, v36, v2
	v_cmp_eq_u32_e64 s[26:27], 0, v3
	v_mov_b32_dpp v5, v3 row_shr:4 row_mask:0xf bank_mask:0xf
	v_cmp_lt_u32_e64 s[28:29], 3, v4
	v_mov_b32_dpp v36, v2 row_shr:4 row_mask:0xf bank_mask:0xf
	v_cndmask_b32_e64 v5, 0, v5, s[28:29]
	s_and_b64 s[26:27], s[28:29], s[26:27]
	v_cndmask_b32_e64 v36, 0, v36, s[26:27]
	v_add_u32_e32 v3, v5, v3
	v_add_u32_e32 v2, v2, v36
	v_cmp_eq_u32_e64 s[26:27], 0, v3
	v_cmp_lt_u32_e64 s[28:29], 7, v4
	v_mov_b32_dpp v5, v3 row_shr:8 row_mask:0xf bank_mask:0xf
	v_mov_b32_dpp v36, v2 row_shr:8 row_mask:0xf bank_mask:0xf
	s_and_b64 s[26:27], s[28:29], s[26:27]
	v_cndmask_b32_e64 v4, 0, v5, s[28:29]
	v_cndmask_b32_e64 v5, 0, v36, s[26:27]
	v_add_u32_e32 v2, v5, v2
	v_add_u32_e32 v3, v4, v3
	v_bfe_i32 v36, v7, 4, 1
	v_mov_b32_dpp v5, v2 row_bcast:15 row_mask:0xf bank_mask:0xf
	v_mov_b32_dpp v4, v3 row_bcast:15 row_mask:0xf bank_mask:0xf
	v_cmp_eq_u32_e64 s[26:27], 0, v3
	v_cndmask_b32_e64 v5, 0, v5, s[26:27]
	v_and_b32_e32 v4, v36, v4
	v_add_u32_e32 v3, v4, v3
	v_and_b32_e32 v4, v36, v5
	v_add_u32_e32 v4, v4, v2
	v_mov_b32_dpp v2, v3 row_bcast:31 row_mask:0xf bank_mask:0xf
	v_cmp_eq_u32_e64 s[26:27], 0, v3
	v_cmp_lt_u32_e64 s[28:29], 31, v7
	v_mov_b32_dpp v5, v4 row_bcast:31 row_mask:0xf bank_mask:0xf
	v_cndmask_b32_e64 v2, 0, v2, s[28:29]
	s_and_b64 s[26:27], s[28:29], s[26:27]
	v_add_u32_e32 v2, v2, v3
	v_cndmask_b32_e64 v3, 0, v5, s[26:27]
	v_add_u32_e32 v3, v3, v4
	v_cmp_eq_u32_e64 s[26:27], v84, v0
	v_lshlrev_b32_e32 v5, 3, v83
	s_and_saveexec_b64 s[28:29], s[26:27]
	s_cbranch_execz .LBB1050_121
; %bb.120:
	ds_write_b64 v5, v[2:3] offset:2064
.LBB1050_121:
	s_or_b64 exec, exec, s[28:29]
	v_cmp_gt_u32_e64 s[26:27], 4, v0
	s_waitcnt lgkmcnt(0)
	s_barrier
	s_and_saveexec_b64 s[30:31], s[26:27]
	s_cbranch_execz .LBB1050_123
; %bb.122:
	v_lshlrev_b32_e32 v4, 3, v0
	ds_read_b64 v[36:37], v4 offset:2064
	v_and_b32_e32 v38, 3, v7
	v_cmp_lt_u32_e64 s[28:29], 1, v38
	s_waitcnt lgkmcnt(0)
	v_mov_b32_dpp v40, v37 row_shr:1 row_mask:0xf bank_mask:0xf
	v_cmp_eq_u32_e64 s[26:27], 0, v36
	v_mov_b32_dpp v39, v36 row_shr:1 row_mask:0xf bank_mask:0xf
	v_cndmask_b32_e64 v40, 0, v40, s[26:27]
	v_cmp_eq_u32_e64 s[26:27], 0, v38
	v_cndmask_b32_e64 v39, v39, 0, s[26:27]
	v_add_u32_e32 v36, v39, v36
	v_cndmask_b32_e64 v39, v40, 0, s[26:27]
	v_add_u32_e32 v37, v39, v37
	v_cmp_eq_u32_e64 s[26:27], 0, v36
	v_mov_b32_dpp v39, v36 row_shr:2 row_mask:0xf bank_mask:0xf
	v_mov_b32_dpp v40, v37 row_shr:2 row_mask:0xf bank_mask:0xf
	v_cndmask_b32_e64 v38, 0, v39, s[28:29]
	s_and_b64 s[26:27], s[28:29], s[26:27]
	v_add_u32_e32 v36, v38, v36
	v_cndmask_b32_e64 v38, 0, v40, s[26:27]
	v_add_u32_e32 v37, v38, v37
	ds_write_b64 v4, v[36:37] offset:2064
.LBB1050_123:
	s_or_b64 exec, exec, s[30:31]
	v_cmp_lt_u32_e64 s[26:27], 63, v0
	v_mov_b32_e32 v36, 0
	v_mov_b32_e32 v4, 0
	s_waitcnt vmcnt(0)
	v_mov_b32_e32 v37, v6
	s_waitcnt lgkmcnt(0)
	s_barrier
	s_and_saveexec_b64 s[28:29], s[26:27]
	s_cbranch_execz .LBB1050_125
; %bb.124:
	ds_read_b64 v[4:5], v5 offset:2056
	s_waitcnt lgkmcnt(0)
	v_cmp_eq_u32_e64 s[26:27], 0, v4
	v_cndmask_b32_e64 v37, 0, v6, s[26:27]
	v_add_u32_e32 v37, v37, v5
.LBB1050_125:
	s_or_b64 exec, exec, s[28:29]
	v_cmp_eq_u32_e64 s[26:27], 0, v2
	v_add_u32_e32 v5, v4, v2
	v_cndmask_b32_e64 v2, 0, v37, s[26:27]
	v_add_u32_e32 v2, v2, v3
	v_add_u32_e32 v3, -1, v7
	v_and_b32_e32 v38, 64, v7
	v_cmp_lt_i32_e64 s[26:27], v3, v38
	v_cndmask_b32_e64 v3, v3, v7, s[26:27]
	v_lshlrev_b32_e32 v3, 2, v3
	ds_bpermute_b32 v2, v3, v2
	ds_bpermute_b32 v5, v3, v5
	v_cmp_eq_u32_e64 s[26:27], 0, v7
	s_waitcnt lgkmcnt(1)
	v_cndmask_b32_e64 v2, v2, v37, s[26:27]
	s_waitcnt lgkmcnt(0)
	v_cndmask_b32_e64 v3, v5, v4, s[26:27]
	v_cndmask_b32_e64 v65, v2, v6, s[0:1]
	v_cmp_eq_u32_e64 s[26:27], 0, v82
	v_cndmask_b32_e64 v2, 0, v65, s[26:27]
	v_add_u32_e32 v63, v2, v34
	v_cndmask_b32_e64 v2, 0, v63, s[2:3]
	v_add_u32_e32 v61, v2, v35
	;; [unrolled: 2-line block ×8, first 2 shown]
	v_cndmask_b32_e64 v64, v3, 0, s[0:1]
	v_cndmask_b32_e64 v2, 0, v49, s[16:17]
	v_add_u32_e32 v62, v64, v82
	v_add_u32_e32 v47, v2, v26
	v_add_u32_e32 v60, v62, v79
	v_cndmask_b32_e64 v2, 0, v47, s[18:19]
	v_add_u32_e32 v58, v60, v78
	v_add_u32_e32 v45, v2, v27
	v_add_u32_e32 v56, v58, v77
	;; [unrolled: 4-line block ×3, first 2 shown]
	v_cndmask_b32_e64 v2, 0, v43, s[22:23]
	v_add_u32_e32 v50, v52, v74
	v_add_u32_e32 v41, v2, v25
	ds_read_b64 v[2:3], v36 offset:2088
	v_add_u32_e32 v48, v50, v73
	v_add_u32_e32 v46, v48, v72
	;; [unrolled: 1-line block ×3, first 2 shown]
	v_cndmask_b32_e64 v4, 0, v41, s[24:25]
	v_add_u32_e32 v42, v44, v70
	v_add_u32_e32 v39, v4, v22
	;; [unrolled: 1-line block ×3, first 2 shown]
	v_cndmask_b32_e32 v4, 0, v39, vcc
	s_waitcnt lgkmcnt(0)
	v_cmp_eq_u32_e32 vcc, 0, v2
	v_add_u32_e32 v38, v40, v68
	v_add_u32_e32 v37, v4, v23
	v_cndmask_b32_e32 v4, 0, v6, vcc
	v_add_u32_e32 v36, v38, v67
	v_add_u32_e32 v81, v4, v3
	s_and_saveexec_b64 s[2:3], s[0:1]
	s_cbranch_execz .LBB1050_127
; %bb.126:
	s_add_u32 s4, s36, 0x400
	v_and_b32_e32 v3, 0xff000000, v81
	v_and_b32_e32 v4, 0xff0000, v81
	s_addc_u32 s5, s37, 0
	v_or_b32_e32 v3, v4, v3
	v_and_b32_e32 v4, 0xff00, v81
	v_and_b32_e32 v6, 0xff, v81
	v_mov_b32_e32 v5, 0
	v_or3_b32 v3, v3, v4, v6
	v_mov_b32_e32 v4, 2
	v_pk_mov_b32 v[6:7], s[4:5], s[4:5] op_sel:[0,1]
	;;#ASMSTART
	global_store_dwordx4 v[6:7], v[2:5] off	
s_waitcnt vmcnt(0)
	;;#ASMEND
.LBB1050_127:
	s_or_b64 exec, exec, s[2:3]
	v_mov_b32_e32 v4, 0
.LBB1050_128:
	s_and_b64 s[2:3], s[38:39], exec
	s_cselect_b32 s3, 0, s51
	s_cselect_b32 s2, 0, s50
	s_cmp_eq_u64 s[2:3], 0
	v_pk_mov_b32 v[6:7], 0, 0
	s_barrier
	s_cbranch_scc1 .LBB1050_130
; %bb.129:
	v_mov_b32_e32 v3, 0
	global_load_dwordx2 v[6:7], v3, s[2:3]
.LBB1050_130:
	s_movk_i32 s38, 0x100
	v_cmp_gt_u32_e32 vcc, s38, v2
	s_cbranch_vccnz .LBB1050_137
; %bb.131:
	v_cmp_eq_u32_e64 s[28:29], 0, v79
	v_cndmask_b32_e64 v33, 1, 2, s[28:29]
	v_cmp_eq_u32_e64 s[28:29], 0, v82
	v_cmp_eq_u32_e64 s[26:27], 0, v78
	v_cndmask_b32_e64 v34, 1, 2, s[28:29]
	v_cmp_eq_u32_e64 s[24:25], 0, v77
	v_cndmask_b32_e64 v32, 1, 2, s[26:27]
	v_and_b32_e32 v33, v33, v34
	v_cmp_eq_u32_e64 s[22:23], 0, v76
	v_cndmask_b32_e64 v31, 1, 2, s[24:25]
	v_and_b32_e32 v32, v33, v32
	;; [unrolled: 3-line block ×11, first 2 shown]
	v_cmp_eq_u32_e32 vcc, 0, v66
	v_cndmask_b32_e64 v5, 1, 2, s[2:3]
	v_and_b32_e32 v22, v23, v22
	v_cndmask_b32_e64 v3, 1, 2, vcc
	v_and_b32_e32 v5, v22, v5
	v_and_b32_e32 v3, v5, v3
	v_cmp_ne_u32_e64 s[20:21], 0, v82
	v_cmp_ne_u32_e32 vcc, 0, v67
	v_cmp_ne_u32_e64 s[2:3], 0, v68
	v_cmp_ne_u32_e64 s[4:5], 0, v69
	;; [unrolled: 1-line block ×12, first 2 shown]
	v_cmp_gt_i16_e64 s[28:29], 2, v3
	s_and_saveexec_b64 s[30:31], s[28:29]
	s_cbranch_execz .LBB1050_136
; %bb.132:
	v_cmp_ne_u16_e64 s[28:29], 1, v3
	s_mov_b64 s[36:37], 0
	s_and_saveexec_b64 s[42:43], s[28:29]
	s_xor_b64 s[28:29], exec, s[42:43]
	s_cbranch_execnz .LBB1050_171
; %bb.133:
	s_andn2_saveexec_b64 s[2:3], s[28:29]
	s_cbranch_execnz .LBB1050_187
.LBB1050_134:
	s_or_b64 exec, exec, s[2:3]
	s_and_b64 exec, exec, s[36:37]
	s_cbranch_execz .LBB1050_136
.LBB1050_135:
	v_sub_u32_e32 v3, v36, v4
	v_lshlrev_b32_e32 v3, 2, v3
	ds_write_b32 v3, v1
.LBB1050_136:
	s_or_b64 exec, exec, s[30:31]
	s_waitcnt lgkmcnt(0)
	s_barrier
.LBB1050_137:
	s_cmpk_lg_i32 s33, 0xf00
	s_cselect_b64 s[2:3], -1, 0
	s_and_b64 s[0:1], s[0:1], s[34:35]
	v_cndmask_b32_e64 v9, v82, 0, s[0:1]
	s_mul_hi_u32 s0, s33, 0x88888889
	s_lshr_b32 s0, s0, 3
	v_mad_i32_i24 v10, v0, -15, s33
	v_cmp_eq_u32_e32 vcc, s0, v0
	v_cmp_ne_u32_e64 s[0:1], 0, v10
	v_cndmask_b32_e64 v11, 1, v9, s[0:1]
	v_cmp_ne_u32_e64 s[0:1], 1, v10
	v_cndmask_b32_e64 v12, 1, v79, s[0:1]
	;; [unrolled: 2-line block ×15, first 2 shown]
	s_and_b64 vcc, vcc, s[40:41]
	v_cndmask_b32_e32 v25, v66, v10, vcc
	v_cndmask_b32_e32 v29, v9, v11, vcc
	s_waitcnt vmcnt(0)
	v_lshlrev_b64 v[10:11], 2, v[6:7]
	v_mov_b32_e32 v5, 0
	v_cndmask_b32_e32 v24, v67, v24, vcc
	v_cndmask_b32_e32 v23, v68, v23, vcc
	;; [unrolled: 1-line block ×13, first 2 shown]
	v_mov_b32_e32 v9, s45
	v_add_co_u32_e32 v12, vcc, s44, v10
	v_addc_co_u32_e32 v9, vcc, v9, v11, vcc
	v_lshlrev_b64 v[10:11], 2, v[4:5]
	v_cndmask_b32_e64 v1, 0, 1, s[34:35]
	v_add_co_u32_e32 v5, vcc, v12, v10
	v_addc_co_u32_e32 v12, vcc, v9, v11, vcc
	v_lshlrev_b32_e32 v9, 2, v1
	v_add_co_u32_e32 v9, vcc, v9, v5
	v_addc_co_u32_e32 v10, vcc, 0, v12, vcc
	v_add_co_u32_e32 v13, vcc, -4, v9
	v_addc_co_u32_e32 v14, vcc, -1, v10, vcc
	v_cmp_eq_u32_e32 vcc, 0, v29
	v_cndmask_b32_e64 v10, 1, 2, vcc
	v_cmp_eq_u32_e32 vcc, 0, v28
	v_cndmask_b32_e64 v11, 1, 2, vcc
	v_cmp_eq_u32_e32 vcc, 0, v27
	v_and_b32_e32 v10, v11, v10
	v_cndmask_b32_e64 v11, 1, 2, vcc
	v_cmp_eq_u32_e32 vcc, 0, v26
	v_and_b32_e32 v10, v10, v11
	;; [unrolled: 3-line block ×10, first 2 shown]
	v_cndmask_b32_e64 v11, 1, 2, vcc
	v_cmp_eq_u32_e32 vcc, 0, v23
	s_and_b64 s[2:3], s[2:3], s[40:41]
	v_and_b32_e32 v10, v10, v11
	v_cndmask_b32_e64 v11, 1, 2, vcc
	v_cmp_eq_u32_e32 vcc, 0, v24
	v_sub_u32_e32 v3, v2, v1
	v_cndmask_b32_e64 v8, 0, 1, s[2:3]
	v_and_b32_e32 v10, v10, v11
	v_cndmask_b32_e64 v11, 1, 2, vcc
	v_cmp_eq_u32_e32 vcc, 0, v25
	v_add_u32_e32 v3, v3, v8
	v_and_b32_e32 v10, v10, v11
	v_cndmask_b32_e64 v11, 1, 2, vcc
	v_and_b32_e32 v10, v10, v11
	v_cmp_gt_u32_e32 vcc, s38, v3
	v_add_u32_e32 v9, v4, v1
	v_cmp_ne_u32_e64 s[28:29], 0, v29
	v_cmp_ne_u32_e64 s[26:27], 0, v28
	;; [unrolled: 1-line block ×15, first 2 shown]
	s_mov_b64 s[34:35], -1
	v_cmp_gt_i16_e64 s[30:31], 2, v10
	s_barrier
	s_cbranch_vccz .LBB1050_144
; %bb.138:
	s_and_saveexec_b64 s[34:35], s[30:31]
	s_cbranch_execz .LBB1050_143
; %bb.139:
	v_cmp_ne_u16_e32 vcc, 1, v10
	s_mov_b64 s[36:37], 0
	s_and_saveexec_b64 s[30:31], vcc
	s_xor_b64 s[30:31], exec, s[30:31]
	s_cbranch_execnz .LBB1050_188
; %bb.140:
	s_andn2_saveexec_b64 s[30:31], s[30:31]
	s_cbranch_execnz .LBB1050_204
.LBB1050_141:
	s_or_b64 exec, exec, s[30:31]
	s_and_b64 exec, exec, s[36:37]
	s_cbranch_execz .LBB1050_143
.LBB1050_142:
	v_sub_u32_e32 v16, v36, v9
	v_mov_b32_e32 v17, 0
	v_lshlrev_b64 v[16:17], 2, v[16:17]
	v_add_co_u32_e32 v16, vcc, v13, v16
	v_addc_co_u32_e32 v17, vcc, v14, v17, vcc
	global_store_dword v[16:17], v37, off
.LBB1050_143:
	s_or_b64 exec, exec, s[34:35]
	s_mov_b64 s[34:35], 0
.LBB1050_144:
	s_and_b64 vcc, exec, s[34:35]
	s_cbranch_vccz .LBB1050_166
; %bb.145:
	v_cmp_gt_i16_e32 vcc, 2, v10
	s_and_saveexec_b64 s[30:31], vcc
	s_cbranch_execz .LBB1050_150
; %bb.146:
	v_cmp_ne_u16_e32 vcc, 1, v10
	s_mov_b64 s[36:37], 0
	s_and_saveexec_b64 s[34:35], vcc
	s_xor_b64 s[34:35], exec, s[34:35]
	s_cbranch_execnz .LBB1050_205
; %bb.147:
	s_andn2_saveexec_b64 s[0:1], s[34:35]
	s_cbranch_execnz .LBB1050_221
.LBB1050_148:
	s_or_b64 exec, exec, s[0:1]
	s_and_b64 exec, exec, s[36:37]
	s_cbranch_execz .LBB1050_150
.LBB1050_149:
	v_sub_u32_e32 v9, v36, v9
	v_lshlrev_b32_e32 v9, 2, v9
	ds_write_b32 v9, v37
.LBB1050_150:
	s_or_b64 exec, exec, s[30:31]
	v_cmp_lt_u32_e32 vcc, v0, v3
	s_waitcnt lgkmcnt(0)
	s_barrier
	s_and_saveexec_b64 s[2:3], vcc
	s_cbranch_execz .LBB1050_165
; %bb.151:
	v_add_u32_e32 v10, v2, v8
	v_xad_u32 v8, v0, -1, v10
	v_sub_u32_e32 v9, v8, v1
	s_movk_i32 s0, 0x1900
	v_cmp_gt_u32_e64 s[4:5], s0, v9
	s_movk_i32 s0, 0x18ff
	v_cmp_lt_u32_e32 vcc, s0, v9
	v_mov_b32_e32 v8, v0
	s_and_saveexec_b64 s[6:7], vcc
	s_cbranch_execz .LBB1050_162
; %bb.152:
	v_sub_u32_e32 v8, v0, v10
	v_add_u32_e32 v1, v8, v1
	v_or_b32_e32 v1, 0xff, v1
	v_cmp_ge_u32_e32 vcc, v1, v0
	s_mov_b64 s[0:1], -1
	v_mov_b32_e32 v8, v0
	s_and_saveexec_b64 s[8:9], vcc
	s_cbranch_execz .LBB1050_161
; %bb.153:
	v_lshrrev_b32_e32 v15, 8, v9
	v_add_u32_e32 v8, -1, v15
	v_or_b32_e32 v1, 0x100, v0
	v_lshrrev_b32_e32 v9, 1, v8
	v_add_u32_e32 v17, 1, v9
	v_cmp_lt_u32_e32 vcc, 13, v8
	v_mov_b32_e32 v20, 0
	v_lshlrev_b32_e32 v16, 2, v0
	v_pk_mov_b32 v[8:9], v[0:1], v[0:1] op_sel:[0,1]
	s_and_saveexec_b64 s[10:11], vcc
	s_cbranch_execz .LBB1050_157
; %bb.154:
	v_and_b32_e32 v18, -8, v17
	s_mov_b32 s14, 0
	s_mov_b64 s[12:13], 0
	v_mov_b32_e32 v11, 0
	v_mov_b32_e32 v19, v16
	v_pk_mov_b32 v[8:9], v[0:1], v[0:1] op_sel:[0,1]
.LBB1050_155:                           ; =>This Inner Loop Header: Depth=1
	v_mov_b32_e32 v10, v8
	v_add_u32_e32 v18, -8, v18
	v_lshlrev_b64 v[50:51], 2, v[10:11]
	v_mov_b32_e32 v10, v9
	ds_read2st64_b32 v[22:23], v19 offset1:4
	s_add_i32 s14, s14, 16
	v_cmp_eq_u32_e32 vcc, 0, v18
	v_lshlrev_b64 v[54:55], 2, v[10:11]
	v_add_u32_e32 v10, 0x200, v8
	s_or_b64 s[12:13], vcc, s[12:13]
	v_add_co_u32_e32 v54, vcc, v13, v54
	v_add_u32_e32 v20, 0x200, v9
	v_mov_b32_e32 v21, v11
	ds_read2st64_b32 v[24:25], v19 offset0:8 offset1:12
	ds_read2st64_b32 v[28:29], v19 offset0:16 offset1:20
	v_add_co_u32_e64 v50, s[0:1], v13, v50
	v_addc_co_u32_e32 v55, vcc, v14, v55, vcc
	v_lshlrev_b64 v[56:57], 2, v[10:11]
	v_lshlrev_b64 v[52:53], 2, v[20:21]
	v_addc_co_u32_e64 v51, s[0:1], v14, v51, s[0:1]
	v_add_u32_e32 v10, 0x400, v8
	v_add_co_u32_e32 v56, vcc, v13, v56
	v_add_u32_e32 v26, 0x400, v9
	v_mov_b32_e32 v27, v11
	ds_read2st64_b32 v[32:33], v19 offset0:24 offset1:28
	v_add_co_u32_e64 v52, s[0:1], v13, v52
	v_addc_co_u32_e32 v57, vcc, v14, v57, vcc
	v_lshlrev_b64 v[58:59], 2, v[10:11]
	ds_read2st64_b32 v[36:37], v19 offset0:32 offset1:36
	ds_read2st64_b32 v[40:41], v19 offset0:40 offset1:44
	;; [unrolled: 1-line block ×4, first 2 shown]
	v_lshlrev_b64 v[26:27], 2, v[26:27]
	v_addc_co_u32_e64 v53, s[0:1], v14, v53, s[0:1]
	v_add_u32_e32 v10, 0x600, v8
	s_waitcnt lgkmcnt(7)
	global_store_dword v[50:51], v22, off
	global_store_dword v[54:55], v23, off
	s_waitcnt lgkmcnt(6)
	global_store_dword v[56:57], v24, off
	global_store_dword v[52:53], v25, off
	v_add_co_u32_e32 v22, vcc, v13, v58
	v_add_u32_e32 v30, 0x600, v9
	v_mov_b32_e32 v31, v11
	v_add_co_u32_e64 v26, s[0:1], v13, v26
	v_addc_co_u32_e32 v23, vcc, v14, v59, vcc
	v_lshlrev_b64 v[24:25], 2, v[10:11]
	v_lshlrev_b64 v[30:31], 2, v[30:31]
	v_addc_co_u32_e64 v27, s[0:1], v14, v27, s[0:1]
	v_add_u32_e32 v10, 0x800, v8
	s_waitcnt lgkmcnt(5)
	global_store_dword v[22:23], v28, off
	global_store_dword v[26:27], v29, off
	v_add_co_u32_e32 v22, vcc, v13, v24
	v_add_u32_e32 v34, 0x800, v9
	v_mov_b32_e32 v35, v11
	v_add_co_u32_e64 v30, s[0:1], v13, v30
	v_addc_co_u32_e32 v23, vcc, v14, v25, vcc
	v_lshlrev_b64 v[24:25], 2, v[10:11]
	v_lshlrev_b64 v[34:35], 2, v[34:35]
	v_addc_co_u32_e64 v31, s[0:1], v14, v31, s[0:1]
	v_add_u32_e32 v10, 0xa00, v8
	;; [unrolled: 12-line block ×4, first 2 shown]
	s_waitcnt lgkmcnt(2)
	global_store_dword v[22:23], v40, off
	global_store_dword v[38:39], v41, off
	v_add_co_u32_e32 v22, vcc, v13, v24
	v_add_u32_e32 v46, 0xe00, v9
	v_mov_b32_e32 v47, v11
	v_add_co_u32_e64 v42, s[0:1], v13, v42
	v_addc_co_u32_e32 v23, vcc, v14, v25, vcc
	v_lshlrev_b64 v[24:25], 2, v[10:11]
	v_lshlrev_b64 v[46:47], 2, v[46:47]
	v_addc_co_u32_e64 v43, s[0:1], v14, v43, s[0:1]
	s_waitcnt lgkmcnt(1)
	global_store_dword v[22:23], v44, off
	global_store_dword v[42:43], v45, off
	v_add_co_u32_e32 v22, vcc, v13, v24
	v_add_u32_e32 v19, 0x4000, v19
	v_add_u32_e32 v9, 0x1000, v9
	v_mov_b32_e32 v20, s14
	v_add_co_u32_e64 v46, s[0:1], v13, v46
	v_add_u32_e32 v8, 0x1000, v8
	v_addc_co_u32_e32 v23, vcc, v14, v25, vcc
	v_addc_co_u32_e64 v47, s[0:1], v14, v47, s[0:1]
	s_waitcnt lgkmcnt(0)
	global_store_dword v[22:23], v48, off
	global_store_dword v[46:47], v49, off
	s_andn2_b64 exec, exec, s[12:13]
	s_cbranch_execnz .LBB1050_155
; %bb.156:
	s_or_b64 exec, exec, s[12:13]
.LBB1050_157:
	s_or_b64 exec, exec, s[10:11]
	v_and_b32_e32 v1, 7, v17
	v_cmp_ne_u32_e32 vcc, 0, v1
	s_and_saveexec_b64 s[10:11], vcc
	s_cbranch_execz .LBB1050_160
; %bb.158:
	v_lshl_or_b32 v16, v20, 10, v16
	s_mov_b64 s[12:13], 0
	v_mov_b32_e32 v11, 0
.LBB1050_159:                           ; =>This Inner Loop Header: Depth=1
	ds_read2st64_b32 v[18:19], v16 offset1:4
	v_mov_b32_e32 v10, v8
	v_add_u32_e32 v1, -1, v1
	v_lshlrev_b64 v[20:21], 2, v[10:11]
	v_mov_b32_e32 v10, v9
	v_cmp_eq_u32_e32 vcc, 0, v1
	v_add_co_u32_e64 v20, s[0:1], v13, v20
	v_lshlrev_b64 v[22:23], 2, v[10:11]
	v_add_u32_e32 v8, 0x200, v8
	v_add_u32_e32 v16, 0x800, v16
	;; [unrolled: 1-line block ×3, first 2 shown]
	v_addc_co_u32_e64 v21, s[0:1], v14, v21, s[0:1]
	s_or_b64 s[12:13], vcc, s[12:13]
	v_add_co_u32_e32 v22, vcc, v13, v22
	v_addc_co_u32_e32 v23, vcc, v14, v23, vcc
	s_waitcnt lgkmcnt(0)
	global_store_dword v[20:21], v18, off
	global_store_dword v[22:23], v19, off
	s_andn2_b64 exec, exec, s[12:13]
	s_cbranch_execnz .LBB1050_159
.LBB1050_160:
	s_or_b64 exec, exec, s[10:11]
	v_add_u32_e32 v1, 1, v15
	v_and_b32_e32 v9, 0x1fffffe, v1
	v_cmp_ne_u32_e32 vcc, v1, v9
	v_lshl_or_b32 v8, v9, 8, v0
	s_orn2_b64 s[0:1], vcc, exec
.LBB1050_161:
	s_or_b64 exec, exec, s[8:9]
	s_andn2_b64 s[4:5], s[4:5], exec
	s_and_b64 s[0:1], s[0:1], exec
	s_or_b64 s[4:5], s[4:5], s[0:1]
.LBB1050_162:
	s_or_b64 exec, exec, s[6:7]
	s_and_b64 exec, exec, s[4:5]
	s_cbranch_execz .LBB1050_165
; %bb.163:
	v_lshlrev_b32_e32 v1, 2, v8
	s_mov_b64 s[0:1], 0
	v_mov_b32_e32 v9, 0
.LBB1050_164:                           ; =>This Inner Loop Header: Depth=1
	v_lshlrev_b64 v[10:11], 2, v[8:9]
	ds_read_b32 v15, v1
	v_add_co_u32_e32 v10, vcc, v13, v10
	v_add_u32_e32 v8, 0x100, v8
	v_addc_co_u32_e32 v11, vcc, v14, v11, vcc
	v_cmp_ge_u32_e32 vcc, v8, v3
	v_add_u32_e32 v1, 0x400, v1
	s_or_b64 s[0:1], vcc, s[0:1]
	s_waitcnt lgkmcnt(0)
	global_store_dword v[10:11], v15, off
	s_andn2_b64 exec, exec, s[0:1]
	s_cbranch_execnz .LBB1050_164
.LBB1050_165:
	s_or_b64 exec, exec, s[2:3]
.LBB1050_166:
	s_movk_i32 s0, 0xff
	v_cmp_eq_u32_e32 vcc, s0, v0
	s_and_b64 s[0:1], vcc, s[40:41]
	s_and_saveexec_b64 s[2:3], s[0:1]
	s_cbranch_execz .LBB1050_169
; %bb.167:
	v_add_co_u32_e32 v0, vcc, v2, v4
	v_addc_co_u32_e64 v1, s[0:1], 0, 0, vcc
	v_add_co_u32_e32 v0, vcc, v0, v6
	v_mov_b32_e32 v3, 0
	v_addc_co_u32_e32 v1, vcc, v1, v7, vcc
	s_cmpk_lg_i32 s33, 0xf00
	global_store_dwordx2 v3, v[0:1], s[46:47]
	s_cbranch_scc1 .LBB1050_169
; %bb.168:
	v_lshlrev_b64 v[0:1], 2, v[2:3]
	v_add_co_u32_e32 v0, vcc, v5, v0
	v_addc_co_u32_e32 v1, vcc, v12, v1, vcc
	global_store_dword v[0:1], v81, off offset:-4
.LBB1050_169:
	s_endpgm
.LBB1050_170:
	s_or_b64 exec, exec, s[6:7]
	v_mov_b32_e32 v82, s10
	s_and_saveexec_b64 s[2:3], s[42:43]
	s_cbranch_execnz .LBB1050_88
	s_branch .LBB1050_89
.LBB1050_171:
	s_and_saveexec_b64 s[36:37], s[20:21]
	s_cbranch_execnz .LBB1050_222
; %bb.172:
	s_or_b64 exec, exec, s[36:37]
	s_and_saveexec_b64 s[20:21], s[26:27]
	s_cbranch_execnz .LBB1050_223
.LBB1050_173:
	s_or_b64 exec, exec, s[20:21]
	s_and_saveexec_b64 s[20:21], s[24:25]
	s_cbranch_execnz .LBB1050_224
.LBB1050_174:
	s_or_b64 exec, exec, s[20:21]
	s_and_saveexec_b64 s[20:21], s[22:23]
	s_cbranch_execnz .LBB1050_225
.LBB1050_175:
	s_or_b64 exec, exec, s[20:21]
	s_and_saveexec_b64 s[20:21], s[18:19]
	s_cbranch_execnz .LBB1050_226
.LBB1050_176:
	s_or_b64 exec, exec, s[20:21]
	s_and_saveexec_b64 s[18:19], s[16:17]
	s_cbranch_execnz .LBB1050_227
.LBB1050_177:
	s_or_b64 exec, exec, s[18:19]
	s_and_saveexec_b64 s[16:17], s[14:15]
	s_cbranch_execnz .LBB1050_228
.LBB1050_178:
	s_or_b64 exec, exec, s[16:17]
	s_and_saveexec_b64 s[14:15], s[12:13]
	s_cbranch_execnz .LBB1050_229
.LBB1050_179:
	s_or_b64 exec, exec, s[14:15]
	s_and_saveexec_b64 s[12:13], s[10:11]
	s_cbranch_execnz .LBB1050_230
.LBB1050_180:
	s_or_b64 exec, exec, s[12:13]
	s_and_saveexec_b64 s[10:11], s[8:9]
	s_cbranch_execnz .LBB1050_231
.LBB1050_181:
	s_or_b64 exec, exec, s[10:11]
	s_and_saveexec_b64 s[8:9], s[6:7]
	s_cbranch_execnz .LBB1050_232
.LBB1050_182:
	s_or_b64 exec, exec, s[8:9]
	s_and_saveexec_b64 s[6:7], s[4:5]
	s_cbranch_execnz .LBB1050_233
.LBB1050_183:
	s_or_b64 exec, exec, s[6:7]
	s_and_saveexec_b64 s[4:5], s[2:3]
	s_cbranch_execnz .LBB1050_234
.LBB1050_184:
	s_or_b64 exec, exec, s[4:5]
	v_cmp_ne_u32_e64 s[2:3], 0, v66
	s_and_saveexec_b64 s[4:5], vcc
	s_cbranch_execz .LBB1050_186
.LBB1050_185:
	v_sub_u32_e32 v3, v38, v4
	v_lshlrev_b32_e32 v3, 2, v3
	ds_write_b32 v3, v9
.LBB1050_186:
	s_or_b64 exec, exec, s[4:5]
	s_and_b64 s[36:37], s[2:3], exec
                                        ; implicit-def: $vgpr8
                                        ; implicit-def: $vgpr10
                                        ; implicit-def: $vgpr12
                                        ; implicit-def: $vgpr14
                                        ; implicit-def: $vgpr16
                                        ; implicit-def: $vgpr18
                                        ; implicit-def: $vgpr20
	s_andn2_saveexec_b64 s[2:3], s[28:29]
	s_cbranch_execz .LBB1050_134
.LBB1050_187:
	v_sub_u32_e32 v3, v64, v4
	v_lshlrev_b32_e32 v3, 2, v3
	ds_write_b32 v3, v20
	v_sub_u32_e32 v3, v62, v4
	v_lshlrev_b32_e32 v3, 2, v3
	ds_write_b32 v3, v21
	;; [unrolled: 3-line block ×13, first 2 shown]
	v_sub_u32_e32 v3, v38, v4
	v_lshlrev_b32_e32 v3, 2, v3
	s_or_b64 s[36:37], s[36:37], exec
	ds_write_b32 v3, v9
	s_or_b64 exec, exec, s[2:3]
	s_and_b64 exec, exec, s[36:37]
	s_cbranch_execnz .LBB1050_135
	s_branch .LBB1050_136
.LBB1050_188:
	s_and_saveexec_b64 s[36:37], s[28:29]
	s_cbranch_execnz .LBB1050_235
; %bb.189:
	s_or_b64 exec, exec, s[36:37]
	s_and_saveexec_b64 s[36:37], s[26:27]
	s_cbranch_execnz .LBB1050_236
.LBB1050_190:
	s_or_b64 exec, exec, s[36:37]
	s_and_saveexec_b64 s[36:37], s[24:25]
	s_cbranch_execnz .LBB1050_237
.LBB1050_191:
	s_or_b64 exec, exec, s[36:37]
	s_and_saveexec_b64 s[36:37], s[22:23]
	s_cbranch_execnz .LBB1050_238
.LBB1050_192:
	s_or_b64 exec, exec, s[36:37]
	s_and_saveexec_b64 s[36:37], s[20:21]
	s_cbranch_execnz .LBB1050_239
.LBB1050_193:
	s_or_b64 exec, exec, s[36:37]
	s_and_saveexec_b64 s[36:37], s[18:19]
	s_cbranch_execnz .LBB1050_240
.LBB1050_194:
	s_or_b64 exec, exec, s[36:37]
	s_and_saveexec_b64 s[36:37], s[16:17]
	s_cbranch_execnz .LBB1050_241
.LBB1050_195:
	s_or_b64 exec, exec, s[36:37]
	s_and_saveexec_b64 s[36:37], s[14:15]
	s_cbranch_execnz .LBB1050_242
.LBB1050_196:
	s_or_b64 exec, exec, s[36:37]
	s_and_saveexec_b64 s[36:37], s[12:13]
	s_cbranch_execnz .LBB1050_243
.LBB1050_197:
	s_or_b64 exec, exec, s[36:37]
	s_and_saveexec_b64 s[36:37], s[10:11]
	s_cbranch_execnz .LBB1050_244
.LBB1050_198:
	s_or_b64 exec, exec, s[36:37]
	s_and_saveexec_b64 s[36:37], s[8:9]
	s_cbranch_execnz .LBB1050_245
.LBB1050_199:
	s_or_b64 exec, exec, s[36:37]
	s_and_saveexec_b64 s[36:37], s[6:7]
	s_cbranch_execnz .LBB1050_246
.LBB1050_200:
	s_or_b64 exec, exec, s[36:37]
	s_and_saveexec_b64 s[36:37], s[4:5]
	s_cbranch_execnz .LBB1050_247
.LBB1050_201:
	s_or_b64 exec, exec, s[36:37]
	s_and_saveexec_b64 s[36:37], s[2:3]
	s_cbranch_execz .LBB1050_203
.LBB1050_202:
	v_sub_u32_e32 v16, v38, v9
	v_mov_b32_e32 v17, 0
	v_lshlrev_b64 v[16:17], 2, v[16:17]
	v_add_co_u32_e32 v16, vcc, v13, v16
	v_addc_co_u32_e32 v17, vcc, v14, v17, vcc
	global_store_dword v[16:17], v39, off
.LBB1050_203:
	s_or_b64 exec, exec, s[36:37]
	s_and_b64 s[36:37], s[0:1], exec
	s_andn2_saveexec_b64 s[30:31], s[30:31]
	s_cbranch_execz .LBB1050_141
.LBB1050_204:
	v_sub_u32_e32 v16, v64, v9
	v_mov_b32_e32 v17, 0
	v_lshlrev_b64 v[18:19], 2, v[16:17]
	v_add_co_u32_e32 v18, vcc, v13, v18
	v_addc_co_u32_e32 v19, vcc, v14, v19, vcc
	v_sub_u32_e32 v16, v62, v9
	global_store_dword v[18:19], v65, off
	v_lshlrev_b64 v[18:19], 2, v[16:17]
	v_add_co_u32_e32 v18, vcc, v13, v18
	v_addc_co_u32_e32 v19, vcc, v14, v19, vcc
	v_sub_u32_e32 v16, v60, v9
	global_store_dword v[18:19], v63, off
	;; [unrolled: 5-line block ×12, first 2 shown]
	v_lshlrev_b64 v[18:19], 2, v[16:17]
	v_add_co_u32_e32 v18, vcc, v13, v18
	v_sub_u32_e32 v16, v38, v9
	v_addc_co_u32_e32 v19, vcc, v14, v19, vcc
	v_lshlrev_b64 v[16:17], 2, v[16:17]
	v_add_co_u32_e32 v16, vcc, v13, v16
	v_addc_co_u32_e32 v17, vcc, v14, v17, vcc
	s_or_b64 s[36:37], s[36:37], exec
	global_store_dword v[18:19], v41, off
	global_store_dword v[16:17], v39, off
	s_or_b64 exec, exec, s[30:31]
	s_and_b64 exec, exec, s[36:37]
	s_cbranch_execnz .LBB1050_142
	s_branch .LBB1050_143
.LBB1050_205:
	s_and_saveexec_b64 s[36:37], s[28:29]
	s_cbranch_execnz .LBB1050_248
; %bb.206:
	s_or_b64 exec, exec, s[36:37]
	s_and_saveexec_b64 s[28:29], s[26:27]
	s_cbranch_execnz .LBB1050_249
.LBB1050_207:
	s_or_b64 exec, exec, s[28:29]
	s_and_saveexec_b64 s[26:27], s[24:25]
	s_cbranch_execnz .LBB1050_250
.LBB1050_208:
	s_or_b64 exec, exec, s[26:27]
	s_and_saveexec_b64 s[24:25], s[22:23]
	s_cbranch_execnz .LBB1050_251
.LBB1050_209:
	s_or_b64 exec, exec, s[24:25]
	s_and_saveexec_b64 s[22:23], s[20:21]
	s_cbranch_execnz .LBB1050_252
.LBB1050_210:
	s_or_b64 exec, exec, s[22:23]
	s_and_saveexec_b64 s[20:21], s[18:19]
	s_cbranch_execnz .LBB1050_253
.LBB1050_211:
	s_or_b64 exec, exec, s[20:21]
	s_and_saveexec_b64 s[18:19], s[16:17]
	s_cbranch_execnz .LBB1050_254
.LBB1050_212:
	s_or_b64 exec, exec, s[18:19]
	s_and_saveexec_b64 s[16:17], s[14:15]
	s_cbranch_execnz .LBB1050_255
.LBB1050_213:
	s_or_b64 exec, exec, s[16:17]
	s_and_saveexec_b64 s[14:15], s[12:13]
	s_cbranch_execnz .LBB1050_256
.LBB1050_214:
	s_or_b64 exec, exec, s[14:15]
	s_and_saveexec_b64 s[12:13], s[10:11]
	s_cbranch_execnz .LBB1050_257
.LBB1050_215:
	s_or_b64 exec, exec, s[12:13]
	s_and_saveexec_b64 s[10:11], s[8:9]
	s_cbranch_execnz .LBB1050_258
.LBB1050_216:
	s_or_b64 exec, exec, s[10:11]
	s_and_saveexec_b64 s[8:9], s[6:7]
	s_cbranch_execnz .LBB1050_259
.LBB1050_217:
	s_or_b64 exec, exec, s[8:9]
	s_and_saveexec_b64 s[6:7], s[4:5]
	s_cbranch_execnz .LBB1050_260
.LBB1050_218:
	s_or_b64 exec, exec, s[6:7]
	s_and_saveexec_b64 s[4:5], s[2:3]
	s_cbranch_execz .LBB1050_220
.LBB1050_219:
	v_sub_u32_e32 v10, v38, v9
	v_lshlrev_b32_e32 v10, 2, v10
	ds_write_b32 v10, v39
.LBB1050_220:
	s_or_b64 exec, exec, s[4:5]
	s_and_b64 s[36:37], s[0:1], exec
                                        ; implicit-def: $vgpr64_vgpr65
                                        ; implicit-def: $vgpr62_vgpr63
                                        ; implicit-def: $vgpr60_vgpr61
                                        ; implicit-def: $vgpr58_vgpr59
                                        ; implicit-def: $vgpr56_vgpr57
                                        ; implicit-def: $vgpr54_vgpr55
                                        ; implicit-def: $vgpr52_vgpr53
                                        ; implicit-def: $vgpr50_vgpr51
                                        ; implicit-def: $vgpr48_vgpr49
                                        ; implicit-def: $vgpr46_vgpr47
                                        ; implicit-def: $vgpr44_vgpr45
                                        ; implicit-def: $vgpr42_vgpr43
                                        ; implicit-def: $vgpr40_vgpr41
                                        ; implicit-def: $vgpr38_vgpr39
	s_andn2_saveexec_b64 s[0:1], s[34:35]
	s_cbranch_execz .LBB1050_148
.LBB1050_221:
	v_sub_u32_e32 v10, v64, v9
	v_lshlrev_b32_e32 v10, 2, v10
	ds_write_b32 v10, v65
	v_sub_u32_e32 v10, v62, v9
	v_lshlrev_b32_e32 v10, 2, v10
	ds_write_b32 v10, v63
	;; [unrolled: 3-line block ×13, first 2 shown]
	v_sub_u32_e32 v10, v38, v9
	v_lshlrev_b32_e32 v10, 2, v10
	s_or_b64 s[36:37], s[36:37], exec
	ds_write_b32 v10, v39
	s_or_b64 exec, exec, s[0:1]
	s_and_b64 exec, exec, s[36:37]
	s_cbranch_execnz .LBB1050_149
	s_branch .LBB1050_150
.LBB1050_222:
	v_sub_u32_e32 v3, v64, v4
	v_lshlrev_b32_e32 v3, 2, v3
	ds_write_b32 v3, v20
	s_or_b64 exec, exec, s[36:37]
	s_and_saveexec_b64 s[20:21], s[26:27]
	s_cbranch_execz .LBB1050_173
.LBB1050_223:
	v_sub_u32_e32 v3, v62, v4
	v_lshlrev_b32_e32 v3, 2, v3
	ds_write_b32 v3, v21
	s_or_b64 exec, exec, s[20:21]
	s_and_saveexec_b64 s[20:21], s[24:25]
	s_cbranch_execz .LBB1050_174
.LBB1050_224:
	v_sub_u32_e32 v3, v60, v4
	v_lshlrev_b32_e32 v3, 2, v3
	ds_write_b32 v3, v18
	s_or_b64 exec, exec, s[20:21]
	s_and_saveexec_b64 s[20:21], s[22:23]
	s_cbranch_execz .LBB1050_175
.LBB1050_225:
	v_sub_u32_e32 v3, v58, v4
	v_lshlrev_b32_e32 v3, 2, v3
	ds_write_b32 v3, v19
	s_or_b64 exec, exec, s[20:21]
	s_and_saveexec_b64 s[20:21], s[18:19]
	s_cbranch_execz .LBB1050_176
.LBB1050_226:
	v_sub_u32_e32 v3, v56, v4
	v_lshlrev_b32_e32 v3, 2, v3
	ds_write_b32 v3, v16
	s_or_b64 exec, exec, s[20:21]
	s_and_saveexec_b64 s[18:19], s[16:17]
	s_cbranch_execz .LBB1050_177
.LBB1050_227:
	v_sub_u32_e32 v3, v54, v4
	v_lshlrev_b32_e32 v3, 2, v3
	ds_write_b32 v3, v17
	s_or_b64 exec, exec, s[18:19]
	s_and_saveexec_b64 s[16:17], s[14:15]
	s_cbranch_execz .LBB1050_178
.LBB1050_228:
	v_sub_u32_e32 v3, v52, v4
	v_lshlrev_b32_e32 v3, 2, v3
	ds_write_b32 v3, v14
	s_or_b64 exec, exec, s[16:17]
	s_and_saveexec_b64 s[14:15], s[12:13]
	s_cbranch_execz .LBB1050_179
.LBB1050_229:
	v_sub_u32_e32 v3, v50, v4
	v_lshlrev_b32_e32 v3, 2, v3
	ds_write_b32 v3, v15
	s_or_b64 exec, exec, s[14:15]
	s_and_saveexec_b64 s[12:13], s[10:11]
	s_cbranch_execz .LBB1050_180
.LBB1050_230:
	v_sub_u32_e32 v3, v48, v4
	v_lshlrev_b32_e32 v3, 2, v3
	ds_write_b32 v3, v12
	s_or_b64 exec, exec, s[12:13]
	s_and_saveexec_b64 s[10:11], s[8:9]
	s_cbranch_execz .LBB1050_181
.LBB1050_231:
	v_sub_u32_e32 v3, v46, v4
	v_lshlrev_b32_e32 v3, 2, v3
	ds_write_b32 v3, v13
	s_or_b64 exec, exec, s[10:11]
	s_and_saveexec_b64 s[8:9], s[6:7]
	s_cbranch_execz .LBB1050_182
.LBB1050_232:
	v_sub_u32_e32 v3, v44, v4
	v_lshlrev_b32_e32 v3, 2, v3
	ds_write_b32 v3, v10
	s_or_b64 exec, exec, s[8:9]
	s_and_saveexec_b64 s[6:7], s[4:5]
	s_cbranch_execz .LBB1050_183
.LBB1050_233:
	v_sub_u32_e32 v3, v42, v4
	v_lshlrev_b32_e32 v3, 2, v3
	ds_write_b32 v3, v11
	s_or_b64 exec, exec, s[6:7]
	s_and_saveexec_b64 s[4:5], s[2:3]
	s_cbranch_execz .LBB1050_184
.LBB1050_234:
	v_sub_u32_e32 v3, v40, v4
	v_lshlrev_b32_e32 v3, 2, v3
	ds_write_b32 v3, v8
	s_or_b64 exec, exec, s[4:5]
	v_cmp_ne_u32_e64 s[2:3], 0, v66
	s_and_saveexec_b64 s[4:5], vcc
	s_cbranch_execnz .LBB1050_185
	s_branch .LBB1050_186
.LBB1050_235:
	v_sub_u32_e32 v16, v64, v9
	v_mov_b32_e32 v17, 0
	v_lshlrev_b64 v[16:17], 2, v[16:17]
	v_add_co_u32_e32 v16, vcc, v13, v16
	v_addc_co_u32_e32 v17, vcc, v14, v17, vcc
	global_store_dword v[16:17], v65, off
	s_or_b64 exec, exec, s[36:37]
	s_and_saveexec_b64 s[36:37], s[26:27]
	s_cbranch_execz .LBB1050_190
.LBB1050_236:
	v_sub_u32_e32 v16, v62, v9
	v_mov_b32_e32 v17, 0
	v_lshlrev_b64 v[16:17], 2, v[16:17]
	v_add_co_u32_e32 v16, vcc, v13, v16
	v_addc_co_u32_e32 v17, vcc, v14, v17, vcc
	global_store_dword v[16:17], v63, off
	s_or_b64 exec, exec, s[36:37]
	s_and_saveexec_b64 s[36:37], s[24:25]
	s_cbranch_execz .LBB1050_191
.LBB1050_237:
	v_sub_u32_e32 v16, v60, v9
	v_mov_b32_e32 v17, 0
	v_lshlrev_b64 v[16:17], 2, v[16:17]
	v_add_co_u32_e32 v16, vcc, v13, v16
	v_addc_co_u32_e32 v17, vcc, v14, v17, vcc
	global_store_dword v[16:17], v61, off
	s_or_b64 exec, exec, s[36:37]
	s_and_saveexec_b64 s[36:37], s[22:23]
	s_cbranch_execz .LBB1050_192
.LBB1050_238:
	v_sub_u32_e32 v16, v58, v9
	v_mov_b32_e32 v17, 0
	v_lshlrev_b64 v[16:17], 2, v[16:17]
	v_add_co_u32_e32 v16, vcc, v13, v16
	v_addc_co_u32_e32 v17, vcc, v14, v17, vcc
	global_store_dword v[16:17], v59, off
	s_or_b64 exec, exec, s[36:37]
	s_and_saveexec_b64 s[36:37], s[20:21]
	s_cbranch_execz .LBB1050_193
.LBB1050_239:
	v_sub_u32_e32 v16, v56, v9
	v_mov_b32_e32 v17, 0
	v_lshlrev_b64 v[16:17], 2, v[16:17]
	v_add_co_u32_e32 v16, vcc, v13, v16
	v_addc_co_u32_e32 v17, vcc, v14, v17, vcc
	global_store_dword v[16:17], v57, off
	s_or_b64 exec, exec, s[36:37]
	s_and_saveexec_b64 s[36:37], s[18:19]
	s_cbranch_execz .LBB1050_194
.LBB1050_240:
	v_sub_u32_e32 v16, v54, v9
	v_mov_b32_e32 v17, 0
	v_lshlrev_b64 v[16:17], 2, v[16:17]
	v_add_co_u32_e32 v16, vcc, v13, v16
	v_addc_co_u32_e32 v17, vcc, v14, v17, vcc
	global_store_dword v[16:17], v55, off
	s_or_b64 exec, exec, s[36:37]
	s_and_saveexec_b64 s[36:37], s[16:17]
	s_cbranch_execz .LBB1050_195
.LBB1050_241:
	v_sub_u32_e32 v16, v52, v9
	v_mov_b32_e32 v17, 0
	v_lshlrev_b64 v[16:17], 2, v[16:17]
	v_add_co_u32_e32 v16, vcc, v13, v16
	v_addc_co_u32_e32 v17, vcc, v14, v17, vcc
	global_store_dword v[16:17], v53, off
	s_or_b64 exec, exec, s[36:37]
	s_and_saveexec_b64 s[36:37], s[14:15]
	s_cbranch_execz .LBB1050_196
.LBB1050_242:
	v_sub_u32_e32 v16, v50, v9
	v_mov_b32_e32 v17, 0
	v_lshlrev_b64 v[16:17], 2, v[16:17]
	v_add_co_u32_e32 v16, vcc, v13, v16
	v_addc_co_u32_e32 v17, vcc, v14, v17, vcc
	global_store_dword v[16:17], v51, off
	s_or_b64 exec, exec, s[36:37]
	s_and_saveexec_b64 s[36:37], s[12:13]
	s_cbranch_execz .LBB1050_197
.LBB1050_243:
	v_sub_u32_e32 v16, v48, v9
	v_mov_b32_e32 v17, 0
	v_lshlrev_b64 v[16:17], 2, v[16:17]
	v_add_co_u32_e32 v16, vcc, v13, v16
	v_addc_co_u32_e32 v17, vcc, v14, v17, vcc
	global_store_dword v[16:17], v49, off
	s_or_b64 exec, exec, s[36:37]
	s_and_saveexec_b64 s[36:37], s[10:11]
	s_cbranch_execz .LBB1050_198
.LBB1050_244:
	v_sub_u32_e32 v16, v46, v9
	v_mov_b32_e32 v17, 0
	v_lshlrev_b64 v[16:17], 2, v[16:17]
	v_add_co_u32_e32 v16, vcc, v13, v16
	v_addc_co_u32_e32 v17, vcc, v14, v17, vcc
	global_store_dword v[16:17], v47, off
	s_or_b64 exec, exec, s[36:37]
	s_and_saveexec_b64 s[36:37], s[8:9]
	s_cbranch_execz .LBB1050_199
.LBB1050_245:
	v_sub_u32_e32 v16, v44, v9
	v_mov_b32_e32 v17, 0
	v_lshlrev_b64 v[16:17], 2, v[16:17]
	v_add_co_u32_e32 v16, vcc, v13, v16
	v_addc_co_u32_e32 v17, vcc, v14, v17, vcc
	global_store_dword v[16:17], v45, off
	s_or_b64 exec, exec, s[36:37]
	s_and_saveexec_b64 s[36:37], s[6:7]
	s_cbranch_execz .LBB1050_200
.LBB1050_246:
	v_sub_u32_e32 v16, v42, v9
	v_mov_b32_e32 v17, 0
	v_lshlrev_b64 v[16:17], 2, v[16:17]
	v_add_co_u32_e32 v16, vcc, v13, v16
	v_addc_co_u32_e32 v17, vcc, v14, v17, vcc
	global_store_dword v[16:17], v43, off
	s_or_b64 exec, exec, s[36:37]
	s_and_saveexec_b64 s[36:37], s[4:5]
	s_cbranch_execz .LBB1050_201
.LBB1050_247:
	v_sub_u32_e32 v16, v40, v9
	v_mov_b32_e32 v17, 0
	v_lshlrev_b64 v[16:17], 2, v[16:17]
	v_add_co_u32_e32 v16, vcc, v13, v16
	v_addc_co_u32_e32 v17, vcc, v14, v17, vcc
	global_store_dword v[16:17], v41, off
	s_or_b64 exec, exec, s[36:37]
	s_and_saveexec_b64 s[36:37], s[2:3]
	s_cbranch_execnz .LBB1050_202
	s_branch .LBB1050_203
.LBB1050_248:
	v_sub_u32_e32 v10, v64, v9
	v_lshlrev_b32_e32 v10, 2, v10
	ds_write_b32 v10, v65
	s_or_b64 exec, exec, s[36:37]
	s_and_saveexec_b64 s[28:29], s[26:27]
	s_cbranch_execz .LBB1050_207
.LBB1050_249:
	v_sub_u32_e32 v10, v62, v9
	v_lshlrev_b32_e32 v10, 2, v10
	ds_write_b32 v10, v63
	s_or_b64 exec, exec, s[28:29]
	s_and_saveexec_b64 s[26:27], s[24:25]
	s_cbranch_execz .LBB1050_208
.LBB1050_250:
	v_sub_u32_e32 v10, v60, v9
	v_lshlrev_b32_e32 v10, 2, v10
	ds_write_b32 v10, v61
	s_or_b64 exec, exec, s[26:27]
	s_and_saveexec_b64 s[24:25], s[22:23]
	s_cbranch_execz .LBB1050_209
.LBB1050_251:
	v_sub_u32_e32 v10, v58, v9
	v_lshlrev_b32_e32 v10, 2, v10
	ds_write_b32 v10, v59
	s_or_b64 exec, exec, s[24:25]
	s_and_saveexec_b64 s[22:23], s[20:21]
	s_cbranch_execz .LBB1050_210
.LBB1050_252:
	v_sub_u32_e32 v10, v56, v9
	v_lshlrev_b32_e32 v10, 2, v10
	ds_write_b32 v10, v57
	s_or_b64 exec, exec, s[22:23]
	s_and_saveexec_b64 s[20:21], s[18:19]
	s_cbranch_execz .LBB1050_211
.LBB1050_253:
	v_sub_u32_e32 v10, v54, v9
	v_lshlrev_b32_e32 v10, 2, v10
	ds_write_b32 v10, v55
	s_or_b64 exec, exec, s[20:21]
	s_and_saveexec_b64 s[18:19], s[16:17]
	s_cbranch_execz .LBB1050_212
.LBB1050_254:
	v_sub_u32_e32 v10, v52, v9
	v_lshlrev_b32_e32 v10, 2, v10
	ds_write_b32 v10, v53
	s_or_b64 exec, exec, s[18:19]
	s_and_saveexec_b64 s[16:17], s[14:15]
	s_cbranch_execz .LBB1050_213
.LBB1050_255:
	v_sub_u32_e32 v10, v50, v9
	v_lshlrev_b32_e32 v10, 2, v10
	ds_write_b32 v10, v51
	s_or_b64 exec, exec, s[16:17]
	s_and_saveexec_b64 s[14:15], s[12:13]
	s_cbranch_execz .LBB1050_214
.LBB1050_256:
	v_sub_u32_e32 v10, v48, v9
	v_lshlrev_b32_e32 v10, 2, v10
	ds_write_b32 v10, v49
	s_or_b64 exec, exec, s[14:15]
	s_and_saveexec_b64 s[12:13], s[10:11]
	s_cbranch_execz .LBB1050_215
.LBB1050_257:
	v_sub_u32_e32 v10, v46, v9
	v_lshlrev_b32_e32 v10, 2, v10
	ds_write_b32 v10, v47
	s_or_b64 exec, exec, s[12:13]
	s_and_saveexec_b64 s[10:11], s[8:9]
	s_cbranch_execz .LBB1050_216
.LBB1050_258:
	v_sub_u32_e32 v10, v44, v9
	v_lshlrev_b32_e32 v10, 2, v10
	ds_write_b32 v10, v45
	s_or_b64 exec, exec, s[10:11]
	s_and_saveexec_b64 s[8:9], s[6:7]
	s_cbranch_execz .LBB1050_217
.LBB1050_259:
	v_sub_u32_e32 v10, v42, v9
	v_lshlrev_b32_e32 v10, 2, v10
	ds_write_b32 v10, v43
	s_or_b64 exec, exec, s[8:9]
	s_and_saveexec_b64 s[6:7], s[4:5]
	s_cbranch_execz .LBB1050_218
.LBB1050_260:
	v_sub_u32_e32 v10, v40, v9
	v_lshlrev_b32_e32 v10, 2, v10
	ds_write_b32 v10, v41
	s_or_b64 exec, exec, s[6:7]
	s_and_saveexec_b64 s[4:5], s[2:3]
	s_cbranch_execnz .LBB1050_219
	s_branch .LBB1050_220
	.section	.rodata,"a",@progbits
	.p2align	6, 0x0
	.amdhsa_kernel _ZN7rocprim17ROCPRIM_400000_NS6detail17trampoline_kernelINS0_14default_configENS1_29reduce_by_key_config_selectorIjiN6thrust23THRUST_200600_302600_NS4plusIiEEEEZZNS1_33reduce_by_key_impl_wrapped_configILNS1_25lookback_scan_determinismE0ES3_S9_NS6_6detail15normal_iteratorINS6_10device_ptrIjEEEENSD_INSE_IiEEEENS6_16discard_iteratorINS6_11use_defaultEEESI_PmS8_NS6_8equal_toIjEEEE10hipError_tPvRmT2_T3_mT4_T5_T6_T7_T8_P12ihipStream_tbENKUlT_T0_E_clISt17integral_constantIbLb0EES15_IbLb1EEEEDaS11_S12_EUlS11_E_NS1_11comp_targetILNS1_3genE4ELNS1_11target_archE910ELNS1_3gpuE8ELNS1_3repE0EEENS1_30default_config_static_selectorELNS0_4arch9wavefront6targetE1EEEvT1_
		.amdhsa_group_segment_fixed_size 15360
		.amdhsa_private_segment_fixed_size 0
		.amdhsa_kernarg_size 128
		.amdhsa_user_sgpr_count 6
		.amdhsa_user_sgpr_private_segment_buffer 1
		.amdhsa_user_sgpr_dispatch_ptr 0
		.amdhsa_user_sgpr_queue_ptr 0
		.amdhsa_user_sgpr_kernarg_segment_ptr 1
		.amdhsa_user_sgpr_dispatch_id 0
		.amdhsa_user_sgpr_flat_scratch_init 0
		.amdhsa_user_sgpr_kernarg_preload_length 0
		.amdhsa_user_sgpr_kernarg_preload_offset 0
		.amdhsa_user_sgpr_private_segment_size 0
		.amdhsa_uses_dynamic_stack 0
		.amdhsa_system_sgpr_private_segment_wavefront_offset 0
		.amdhsa_system_sgpr_workgroup_id_x 1
		.amdhsa_system_sgpr_workgroup_id_y 0
		.amdhsa_system_sgpr_workgroup_id_z 0
		.amdhsa_system_sgpr_workgroup_info 0
		.amdhsa_system_vgpr_workitem_id 0
		.amdhsa_next_free_vgpr 87
		.amdhsa_next_free_sgpr 64
		.amdhsa_accum_offset 88
		.amdhsa_reserve_vcc 1
		.amdhsa_reserve_flat_scratch 0
		.amdhsa_float_round_mode_32 0
		.amdhsa_float_round_mode_16_64 0
		.amdhsa_float_denorm_mode_32 3
		.amdhsa_float_denorm_mode_16_64 3
		.amdhsa_dx10_clamp 1
		.amdhsa_ieee_mode 1
		.amdhsa_fp16_overflow 0
		.amdhsa_tg_split 0
		.amdhsa_exception_fp_ieee_invalid_op 0
		.amdhsa_exception_fp_denorm_src 0
		.amdhsa_exception_fp_ieee_div_zero 0
		.amdhsa_exception_fp_ieee_overflow 0
		.amdhsa_exception_fp_ieee_underflow 0
		.amdhsa_exception_fp_ieee_inexact 0
		.amdhsa_exception_int_div_zero 0
	.end_amdhsa_kernel
	.section	.text._ZN7rocprim17ROCPRIM_400000_NS6detail17trampoline_kernelINS0_14default_configENS1_29reduce_by_key_config_selectorIjiN6thrust23THRUST_200600_302600_NS4plusIiEEEEZZNS1_33reduce_by_key_impl_wrapped_configILNS1_25lookback_scan_determinismE0ES3_S9_NS6_6detail15normal_iteratorINS6_10device_ptrIjEEEENSD_INSE_IiEEEENS6_16discard_iteratorINS6_11use_defaultEEESI_PmS8_NS6_8equal_toIjEEEE10hipError_tPvRmT2_T3_mT4_T5_T6_T7_T8_P12ihipStream_tbENKUlT_T0_E_clISt17integral_constantIbLb0EES15_IbLb1EEEEDaS11_S12_EUlS11_E_NS1_11comp_targetILNS1_3genE4ELNS1_11target_archE910ELNS1_3gpuE8ELNS1_3repE0EEENS1_30default_config_static_selectorELNS0_4arch9wavefront6targetE1EEEvT1_,"axG",@progbits,_ZN7rocprim17ROCPRIM_400000_NS6detail17trampoline_kernelINS0_14default_configENS1_29reduce_by_key_config_selectorIjiN6thrust23THRUST_200600_302600_NS4plusIiEEEEZZNS1_33reduce_by_key_impl_wrapped_configILNS1_25lookback_scan_determinismE0ES3_S9_NS6_6detail15normal_iteratorINS6_10device_ptrIjEEEENSD_INSE_IiEEEENS6_16discard_iteratorINS6_11use_defaultEEESI_PmS8_NS6_8equal_toIjEEEE10hipError_tPvRmT2_T3_mT4_T5_T6_T7_T8_P12ihipStream_tbENKUlT_T0_E_clISt17integral_constantIbLb0EES15_IbLb1EEEEDaS11_S12_EUlS11_E_NS1_11comp_targetILNS1_3genE4ELNS1_11target_archE910ELNS1_3gpuE8ELNS1_3repE0EEENS1_30default_config_static_selectorELNS0_4arch9wavefront6targetE1EEEvT1_,comdat
.Lfunc_end1050:
	.size	_ZN7rocprim17ROCPRIM_400000_NS6detail17trampoline_kernelINS0_14default_configENS1_29reduce_by_key_config_selectorIjiN6thrust23THRUST_200600_302600_NS4plusIiEEEEZZNS1_33reduce_by_key_impl_wrapped_configILNS1_25lookback_scan_determinismE0ES3_S9_NS6_6detail15normal_iteratorINS6_10device_ptrIjEEEENSD_INSE_IiEEEENS6_16discard_iteratorINS6_11use_defaultEEESI_PmS8_NS6_8equal_toIjEEEE10hipError_tPvRmT2_T3_mT4_T5_T6_T7_T8_P12ihipStream_tbENKUlT_T0_E_clISt17integral_constantIbLb0EES15_IbLb1EEEEDaS11_S12_EUlS11_E_NS1_11comp_targetILNS1_3genE4ELNS1_11target_archE910ELNS1_3gpuE8ELNS1_3repE0EEENS1_30default_config_static_selectorELNS0_4arch9wavefront6targetE1EEEvT1_, .Lfunc_end1050-_ZN7rocprim17ROCPRIM_400000_NS6detail17trampoline_kernelINS0_14default_configENS1_29reduce_by_key_config_selectorIjiN6thrust23THRUST_200600_302600_NS4plusIiEEEEZZNS1_33reduce_by_key_impl_wrapped_configILNS1_25lookback_scan_determinismE0ES3_S9_NS6_6detail15normal_iteratorINS6_10device_ptrIjEEEENSD_INSE_IiEEEENS6_16discard_iteratorINS6_11use_defaultEEESI_PmS8_NS6_8equal_toIjEEEE10hipError_tPvRmT2_T3_mT4_T5_T6_T7_T8_P12ihipStream_tbENKUlT_T0_E_clISt17integral_constantIbLb0EES15_IbLb1EEEEDaS11_S12_EUlS11_E_NS1_11comp_targetILNS1_3genE4ELNS1_11target_archE910ELNS1_3gpuE8ELNS1_3repE0EEENS1_30default_config_static_selectorELNS0_4arch9wavefront6targetE1EEEvT1_
                                        ; -- End function
	.section	.AMDGPU.csdata,"",@progbits
; Kernel info:
; codeLenInByte = 14648
; NumSgprs: 68
; NumVgprs: 87
; NumAgprs: 0
; TotalNumVgprs: 87
; ScratchSize: 0
; MemoryBound: 0
; FloatMode: 240
; IeeeMode: 1
; LDSByteSize: 15360 bytes/workgroup (compile time only)
; SGPRBlocks: 8
; VGPRBlocks: 10
; NumSGPRsForWavesPerEU: 68
; NumVGPRsForWavesPerEU: 87
; AccumOffset: 88
; Occupancy: 4
; WaveLimiterHint : 1
; COMPUTE_PGM_RSRC2:SCRATCH_EN: 0
; COMPUTE_PGM_RSRC2:USER_SGPR: 6
; COMPUTE_PGM_RSRC2:TRAP_HANDLER: 0
; COMPUTE_PGM_RSRC2:TGID_X_EN: 1
; COMPUTE_PGM_RSRC2:TGID_Y_EN: 0
; COMPUTE_PGM_RSRC2:TGID_Z_EN: 0
; COMPUTE_PGM_RSRC2:TIDIG_COMP_CNT: 0
; COMPUTE_PGM_RSRC3_GFX90A:ACCUM_OFFSET: 21
; COMPUTE_PGM_RSRC3_GFX90A:TG_SPLIT: 0
	.section	.text._ZN7rocprim17ROCPRIM_400000_NS6detail17trampoline_kernelINS0_14default_configENS1_29reduce_by_key_config_selectorIjiN6thrust23THRUST_200600_302600_NS4plusIiEEEEZZNS1_33reduce_by_key_impl_wrapped_configILNS1_25lookback_scan_determinismE0ES3_S9_NS6_6detail15normal_iteratorINS6_10device_ptrIjEEEENSD_INSE_IiEEEENS6_16discard_iteratorINS6_11use_defaultEEESI_PmS8_NS6_8equal_toIjEEEE10hipError_tPvRmT2_T3_mT4_T5_T6_T7_T8_P12ihipStream_tbENKUlT_T0_E_clISt17integral_constantIbLb0EES15_IbLb1EEEEDaS11_S12_EUlS11_E_NS1_11comp_targetILNS1_3genE3ELNS1_11target_archE908ELNS1_3gpuE7ELNS1_3repE0EEENS1_30default_config_static_selectorELNS0_4arch9wavefront6targetE1EEEvT1_,"axG",@progbits,_ZN7rocprim17ROCPRIM_400000_NS6detail17trampoline_kernelINS0_14default_configENS1_29reduce_by_key_config_selectorIjiN6thrust23THRUST_200600_302600_NS4plusIiEEEEZZNS1_33reduce_by_key_impl_wrapped_configILNS1_25lookback_scan_determinismE0ES3_S9_NS6_6detail15normal_iteratorINS6_10device_ptrIjEEEENSD_INSE_IiEEEENS6_16discard_iteratorINS6_11use_defaultEEESI_PmS8_NS6_8equal_toIjEEEE10hipError_tPvRmT2_T3_mT4_T5_T6_T7_T8_P12ihipStream_tbENKUlT_T0_E_clISt17integral_constantIbLb0EES15_IbLb1EEEEDaS11_S12_EUlS11_E_NS1_11comp_targetILNS1_3genE3ELNS1_11target_archE908ELNS1_3gpuE7ELNS1_3repE0EEENS1_30default_config_static_selectorELNS0_4arch9wavefront6targetE1EEEvT1_,comdat
	.protected	_ZN7rocprim17ROCPRIM_400000_NS6detail17trampoline_kernelINS0_14default_configENS1_29reduce_by_key_config_selectorIjiN6thrust23THRUST_200600_302600_NS4plusIiEEEEZZNS1_33reduce_by_key_impl_wrapped_configILNS1_25lookback_scan_determinismE0ES3_S9_NS6_6detail15normal_iteratorINS6_10device_ptrIjEEEENSD_INSE_IiEEEENS6_16discard_iteratorINS6_11use_defaultEEESI_PmS8_NS6_8equal_toIjEEEE10hipError_tPvRmT2_T3_mT4_T5_T6_T7_T8_P12ihipStream_tbENKUlT_T0_E_clISt17integral_constantIbLb0EES15_IbLb1EEEEDaS11_S12_EUlS11_E_NS1_11comp_targetILNS1_3genE3ELNS1_11target_archE908ELNS1_3gpuE7ELNS1_3repE0EEENS1_30default_config_static_selectorELNS0_4arch9wavefront6targetE1EEEvT1_ ; -- Begin function _ZN7rocprim17ROCPRIM_400000_NS6detail17trampoline_kernelINS0_14default_configENS1_29reduce_by_key_config_selectorIjiN6thrust23THRUST_200600_302600_NS4plusIiEEEEZZNS1_33reduce_by_key_impl_wrapped_configILNS1_25lookback_scan_determinismE0ES3_S9_NS6_6detail15normal_iteratorINS6_10device_ptrIjEEEENSD_INSE_IiEEEENS6_16discard_iteratorINS6_11use_defaultEEESI_PmS8_NS6_8equal_toIjEEEE10hipError_tPvRmT2_T3_mT4_T5_T6_T7_T8_P12ihipStream_tbENKUlT_T0_E_clISt17integral_constantIbLb0EES15_IbLb1EEEEDaS11_S12_EUlS11_E_NS1_11comp_targetILNS1_3genE3ELNS1_11target_archE908ELNS1_3gpuE7ELNS1_3repE0EEENS1_30default_config_static_selectorELNS0_4arch9wavefront6targetE1EEEvT1_
	.globl	_ZN7rocprim17ROCPRIM_400000_NS6detail17trampoline_kernelINS0_14default_configENS1_29reduce_by_key_config_selectorIjiN6thrust23THRUST_200600_302600_NS4plusIiEEEEZZNS1_33reduce_by_key_impl_wrapped_configILNS1_25lookback_scan_determinismE0ES3_S9_NS6_6detail15normal_iteratorINS6_10device_ptrIjEEEENSD_INSE_IiEEEENS6_16discard_iteratorINS6_11use_defaultEEESI_PmS8_NS6_8equal_toIjEEEE10hipError_tPvRmT2_T3_mT4_T5_T6_T7_T8_P12ihipStream_tbENKUlT_T0_E_clISt17integral_constantIbLb0EES15_IbLb1EEEEDaS11_S12_EUlS11_E_NS1_11comp_targetILNS1_3genE3ELNS1_11target_archE908ELNS1_3gpuE7ELNS1_3repE0EEENS1_30default_config_static_selectorELNS0_4arch9wavefront6targetE1EEEvT1_
	.p2align	8
	.type	_ZN7rocprim17ROCPRIM_400000_NS6detail17trampoline_kernelINS0_14default_configENS1_29reduce_by_key_config_selectorIjiN6thrust23THRUST_200600_302600_NS4plusIiEEEEZZNS1_33reduce_by_key_impl_wrapped_configILNS1_25lookback_scan_determinismE0ES3_S9_NS6_6detail15normal_iteratorINS6_10device_ptrIjEEEENSD_INSE_IiEEEENS6_16discard_iteratorINS6_11use_defaultEEESI_PmS8_NS6_8equal_toIjEEEE10hipError_tPvRmT2_T3_mT4_T5_T6_T7_T8_P12ihipStream_tbENKUlT_T0_E_clISt17integral_constantIbLb0EES15_IbLb1EEEEDaS11_S12_EUlS11_E_NS1_11comp_targetILNS1_3genE3ELNS1_11target_archE908ELNS1_3gpuE7ELNS1_3repE0EEENS1_30default_config_static_selectorELNS0_4arch9wavefront6targetE1EEEvT1_,@function
_ZN7rocprim17ROCPRIM_400000_NS6detail17trampoline_kernelINS0_14default_configENS1_29reduce_by_key_config_selectorIjiN6thrust23THRUST_200600_302600_NS4plusIiEEEEZZNS1_33reduce_by_key_impl_wrapped_configILNS1_25lookback_scan_determinismE0ES3_S9_NS6_6detail15normal_iteratorINS6_10device_ptrIjEEEENSD_INSE_IiEEEENS6_16discard_iteratorINS6_11use_defaultEEESI_PmS8_NS6_8equal_toIjEEEE10hipError_tPvRmT2_T3_mT4_T5_T6_T7_T8_P12ihipStream_tbENKUlT_T0_E_clISt17integral_constantIbLb0EES15_IbLb1EEEEDaS11_S12_EUlS11_E_NS1_11comp_targetILNS1_3genE3ELNS1_11target_archE908ELNS1_3gpuE7ELNS1_3repE0EEENS1_30default_config_static_selectorELNS0_4arch9wavefront6targetE1EEEvT1_: ; @_ZN7rocprim17ROCPRIM_400000_NS6detail17trampoline_kernelINS0_14default_configENS1_29reduce_by_key_config_selectorIjiN6thrust23THRUST_200600_302600_NS4plusIiEEEEZZNS1_33reduce_by_key_impl_wrapped_configILNS1_25lookback_scan_determinismE0ES3_S9_NS6_6detail15normal_iteratorINS6_10device_ptrIjEEEENSD_INSE_IiEEEENS6_16discard_iteratorINS6_11use_defaultEEESI_PmS8_NS6_8equal_toIjEEEE10hipError_tPvRmT2_T3_mT4_T5_T6_T7_T8_P12ihipStream_tbENKUlT_T0_E_clISt17integral_constantIbLb0EES15_IbLb1EEEEDaS11_S12_EUlS11_E_NS1_11comp_targetILNS1_3genE3ELNS1_11target_archE908ELNS1_3gpuE7ELNS1_3repE0EEENS1_30default_config_static_selectorELNS0_4arch9wavefront6targetE1EEEvT1_
; %bb.0:
	.section	.rodata,"a",@progbits
	.p2align	6, 0x0
	.amdhsa_kernel _ZN7rocprim17ROCPRIM_400000_NS6detail17trampoline_kernelINS0_14default_configENS1_29reduce_by_key_config_selectorIjiN6thrust23THRUST_200600_302600_NS4plusIiEEEEZZNS1_33reduce_by_key_impl_wrapped_configILNS1_25lookback_scan_determinismE0ES3_S9_NS6_6detail15normal_iteratorINS6_10device_ptrIjEEEENSD_INSE_IiEEEENS6_16discard_iteratorINS6_11use_defaultEEESI_PmS8_NS6_8equal_toIjEEEE10hipError_tPvRmT2_T3_mT4_T5_T6_T7_T8_P12ihipStream_tbENKUlT_T0_E_clISt17integral_constantIbLb0EES15_IbLb1EEEEDaS11_S12_EUlS11_E_NS1_11comp_targetILNS1_3genE3ELNS1_11target_archE908ELNS1_3gpuE7ELNS1_3repE0EEENS1_30default_config_static_selectorELNS0_4arch9wavefront6targetE1EEEvT1_
		.amdhsa_group_segment_fixed_size 0
		.amdhsa_private_segment_fixed_size 0
		.amdhsa_kernarg_size 128
		.amdhsa_user_sgpr_count 6
		.amdhsa_user_sgpr_private_segment_buffer 1
		.amdhsa_user_sgpr_dispatch_ptr 0
		.amdhsa_user_sgpr_queue_ptr 0
		.amdhsa_user_sgpr_kernarg_segment_ptr 1
		.amdhsa_user_sgpr_dispatch_id 0
		.amdhsa_user_sgpr_flat_scratch_init 0
		.amdhsa_user_sgpr_kernarg_preload_length 0
		.amdhsa_user_sgpr_kernarg_preload_offset 0
		.amdhsa_user_sgpr_private_segment_size 0
		.amdhsa_uses_dynamic_stack 0
		.amdhsa_system_sgpr_private_segment_wavefront_offset 0
		.amdhsa_system_sgpr_workgroup_id_x 1
		.amdhsa_system_sgpr_workgroup_id_y 0
		.amdhsa_system_sgpr_workgroup_id_z 0
		.amdhsa_system_sgpr_workgroup_info 0
		.amdhsa_system_vgpr_workitem_id 0
		.amdhsa_next_free_vgpr 1
		.amdhsa_next_free_sgpr 0
		.amdhsa_accum_offset 4
		.amdhsa_reserve_vcc 0
		.amdhsa_reserve_flat_scratch 0
		.amdhsa_float_round_mode_32 0
		.amdhsa_float_round_mode_16_64 0
		.amdhsa_float_denorm_mode_32 3
		.amdhsa_float_denorm_mode_16_64 3
		.amdhsa_dx10_clamp 1
		.amdhsa_ieee_mode 1
		.amdhsa_fp16_overflow 0
		.amdhsa_tg_split 0
		.amdhsa_exception_fp_ieee_invalid_op 0
		.amdhsa_exception_fp_denorm_src 0
		.amdhsa_exception_fp_ieee_div_zero 0
		.amdhsa_exception_fp_ieee_overflow 0
		.amdhsa_exception_fp_ieee_underflow 0
		.amdhsa_exception_fp_ieee_inexact 0
		.amdhsa_exception_int_div_zero 0
	.end_amdhsa_kernel
	.section	.text._ZN7rocprim17ROCPRIM_400000_NS6detail17trampoline_kernelINS0_14default_configENS1_29reduce_by_key_config_selectorIjiN6thrust23THRUST_200600_302600_NS4plusIiEEEEZZNS1_33reduce_by_key_impl_wrapped_configILNS1_25lookback_scan_determinismE0ES3_S9_NS6_6detail15normal_iteratorINS6_10device_ptrIjEEEENSD_INSE_IiEEEENS6_16discard_iteratorINS6_11use_defaultEEESI_PmS8_NS6_8equal_toIjEEEE10hipError_tPvRmT2_T3_mT4_T5_T6_T7_T8_P12ihipStream_tbENKUlT_T0_E_clISt17integral_constantIbLb0EES15_IbLb1EEEEDaS11_S12_EUlS11_E_NS1_11comp_targetILNS1_3genE3ELNS1_11target_archE908ELNS1_3gpuE7ELNS1_3repE0EEENS1_30default_config_static_selectorELNS0_4arch9wavefront6targetE1EEEvT1_,"axG",@progbits,_ZN7rocprim17ROCPRIM_400000_NS6detail17trampoline_kernelINS0_14default_configENS1_29reduce_by_key_config_selectorIjiN6thrust23THRUST_200600_302600_NS4plusIiEEEEZZNS1_33reduce_by_key_impl_wrapped_configILNS1_25lookback_scan_determinismE0ES3_S9_NS6_6detail15normal_iteratorINS6_10device_ptrIjEEEENSD_INSE_IiEEEENS6_16discard_iteratorINS6_11use_defaultEEESI_PmS8_NS6_8equal_toIjEEEE10hipError_tPvRmT2_T3_mT4_T5_T6_T7_T8_P12ihipStream_tbENKUlT_T0_E_clISt17integral_constantIbLb0EES15_IbLb1EEEEDaS11_S12_EUlS11_E_NS1_11comp_targetILNS1_3genE3ELNS1_11target_archE908ELNS1_3gpuE7ELNS1_3repE0EEENS1_30default_config_static_selectorELNS0_4arch9wavefront6targetE1EEEvT1_,comdat
.Lfunc_end1051:
	.size	_ZN7rocprim17ROCPRIM_400000_NS6detail17trampoline_kernelINS0_14default_configENS1_29reduce_by_key_config_selectorIjiN6thrust23THRUST_200600_302600_NS4plusIiEEEEZZNS1_33reduce_by_key_impl_wrapped_configILNS1_25lookback_scan_determinismE0ES3_S9_NS6_6detail15normal_iteratorINS6_10device_ptrIjEEEENSD_INSE_IiEEEENS6_16discard_iteratorINS6_11use_defaultEEESI_PmS8_NS6_8equal_toIjEEEE10hipError_tPvRmT2_T3_mT4_T5_T6_T7_T8_P12ihipStream_tbENKUlT_T0_E_clISt17integral_constantIbLb0EES15_IbLb1EEEEDaS11_S12_EUlS11_E_NS1_11comp_targetILNS1_3genE3ELNS1_11target_archE908ELNS1_3gpuE7ELNS1_3repE0EEENS1_30default_config_static_selectorELNS0_4arch9wavefront6targetE1EEEvT1_, .Lfunc_end1051-_ZN7rocprim17ROCPRIM_400000_NS6detail17trampoline_kernelINS0_14default_configENS1_29reduce_by_key_config_selectorIjiN6thrust23THRUST_200600_302600_NS4plusIiEEEEZZNS1_33reduce_by_key_impl_wrapped_configILNS1_25lookback_scan_determinismE0ES3_S9_NS6_6detail15normal_iteratorINS6_10device_ptrIjEEEENSD_INSE_IiEEEENS6_16discard_iteratorINS6_11use_defaultEEESI_PmS8_NS6_8equal_toIjEEEE10hipError_tPvRmT2_T3_mT4_T5_T6_T7_T8_P12ihipStream_tbENKUlT_T0_E_clISt17integral_constantIbLb0EES15_IbLb1EEEEDaS11_S12_EUlS11_E_NS1_11comp_targetILNS1_3genE3ELNS1_11target_archE908ELNS1_3gpuE7ELNS1_3repE0EEENS1_30default_config_static_selectorELNS0_4arch9wavefront6targetE1EEEvT1_
                                        ; -- End function
	.section	.AMDGPU.csdata,"",@progbits
; Kernel info:
; codeLenInByte = 0
; NumSgprs: 4
; NumVgprs: 0
; NumAgprs: 0
; TotalNumVgprs: 0
; ScratchSize: 0
; MemoryBound: 0
; FloatMode: 240
; IeeeMode: 1
; LDSByteSize: 0 bytes/workgroup (compile time only)
; SGPRBlocks: 0
; VGPRBlocks: 0
; NumSGPRsForWavesPerEU: 4
; NumVGPRsForWavesPerEU: 1
; AccumOffset: 4
; Occupancy: 8
; WaveLimiterHint : 0
; COMPUTE_PGM_RSRC2:SCRATCH_EN: 0
; COMPUTE_PGM_RSRC2:USER_SGPR: 6
; COMPUTE_PGM_RSRC2:TRAP_HANDLER: 0
; COMPUTE_PGM_RSRC2:TGID_X_EN: 1
; COMPUTE_PGM_RSRC2:TGID_Y_EN: 0
; COMPUTE_PGM_RSRC2:TGID_Z_EN: 0
; COMPUTE_PGM_RSRC2:TIDIG_COMP_CNT: 0
; COMPUTE_PGM_RSRC3_GFX90A:ACCUM_OFFSET: 0
; COMPUTE_PGM_RSRC3_GFX90A:TG_SPLIT: 0
	.section	.text._ZN7rocprim17ROCPRIM_400000_NS6detail17trampoline_kernelINS0_14default_configENS1_29reduce_by_key_config_selectorIjiN6thrust23THRUST_200600_302600_NS4plusIiEEEEZZNS1_33reduce_by_key_impl_wrapped_configILNS1_25lookback_scan_determinismE0ES3_S9_NS6_6detail15normal_iteratorINS6_10device_ptrIjEEEENSD_INSE_IiEEEENS6_16discard_iteratorINS6_11use_defaultEEESI_PmS8_NS6_8equal_toIjEEEE10hipError_tPvRmT2_T3_mT4_T5_T6_T7_T8_P12ihipStream_tbENKUlT_T0_E_clISt17integral_constantIbLb0EES15_IbLb1EEEEDaS11_S12_EUlS11_E_NS1_11comp_targetILNS1_3genE2ELNS1_11target_archE906ELNS1_3gpuE6ELNS1_3repE0EEENS1_30default_config_static_selectorELNS0_4arch9wavefront6targetE1EEEvT1_,"axG",@progbits,_ZN7rocprim17ROCPRIM_400000_NS6detail17trampoline_kernelINS0_14default_configENS1_29reduce_by_key_config_selectorIjiN6thrust23THRUST_200600_302600_NS4plusIiEEEEZZNS1_33reduce_by_key_impl_wrapped_configILNS1_25lookback_scan_determinismE0ES3_S9_NS6_6detail15normal_iteratorINS6_10device_ptrIjEEEENSD_INSE_IiEEEENS6_16discard_iteratorINS6_11use_defaultEEESI_PmS8_NS6_8equal_toIjEEEE10hipError_tPvRmT2_T3_mT4_T5_T6_T7_T8_P12ihipStream_tbENKUlT_T0_E_clISt17integral_constantIbLb0EES15_IbLb1EEEEDaS11_S12_EUlS11_E_NS1_11comp_targetILNS1_3genE2ELNS1_11target_archE906ELNS1_3gpuE6ELNS1_3repE0EEENS1_30default_config_static_selectorELNS0_4arch9wavefront6targetE1EEEvT1_,comdat
	.protected	_ZN7rocprim17ROCPRIM_400000_NS6detail17trampoline_kernelINS0_14default_configENS1_29reduce_by_key_config_selectorIjiN6thrust23THRUST_200600_302600_NS4plusIiEEEEZZNS1_33reduce_by_key_impl_wrapped_configILNS1_25lookback_scan_determinismE0ES3_S9_NS6_6detail15normal_iteratorINS6_10device_ptrIjEEEENSD_INSE_IiEEEENS6_16discard_iteratorINS6_11use_defaultEEESI_PmS8_NS6_8equal_toIjEEEE10hipError_tPvRmT2_T3_mT4_T5_T6_T7_T8_P12ihipStream_tbENKUlT_T0_E_clISt17integral_constantIbLb0EES15_IbLb1EEEEDaS11_S12_EUlS11_E_NS1_11comp_targetILNS1_3genE2ELNS1_11target_archE906ELNS1_3gpuE6ELNS1_3repE0EEENS1_30default_config_static_selectorELNS0_4arch9wavefront6targetE1EEEvT1_ ; -- Begin function _ZN7rocprim17ROCPRIM_400000_NS6detail17trampoline_kernelINS0_14default_configENS1_29reduce_by_key_config_selectorIjiN6thrust23THRUST_200600_302600_NS4plusIiEEEEZZNS1_33reduce_by_key_impl_wrapped_configILNS1_25lookback_scan_determinismE0ES3_S9_NS6_6detail15normal_iteratorINS6_10device_ptrIjEEEENSD_INSE_IiEEEENS6_16discard_iteratorINS6_11use_defaultEEESI_PmS8_NS6_8equal_toIjEEEE10hipError_tPvRmT2_T3_mT4_T5_T6_T7_T8_P12ihipStream_tbENKUlT_T0_E_clISt17integral_constantIbLb0EES15_IbLb1EEEEDaS11_S12_EUlS11_E_NS1_11comp_targetILNS1_3genE2ELNS1_11target_archE906ELNS1_3gpuE6ELNS1_3repE0EEENS1_30default_config_static_selectorELNS0_4arch9wavefront6targetE1EEEvT1_
	.globl	_ZN7rocprim17ROCPRIM_400000_NS6detail17trampoline_kernelINS0_14default_configENS1_29reduce_by_key_config_selectorIjiN6thrust23THRUST_200600_302600_NS4plusIiEEEEZZNS1_33reduce_by_key_impl_wrapped_configILNS1_25lookback_scan_determinismE0ES3_S9_NS6_6detail15normal_iteratorINS6_10device_ptrIjEEEENSD_INSE_IiEEEENS6_16discard_iteratorINS6_11use_defaultEEESI_PmS8_NS6_8equal_toIjEEEE10hipError_tPvRmT2_T3_mT4_T5_T6_T7_T8_P12ihipStream_tbENKUlT_T0_E_clISt17integral_constantIbLb0EES15_IbLb1EEEEDaS11_S12_EUlS11_E_NS1_11comp_targetILNS1_3genE2ELNS1_11target_archE906ELNS1_3gpuE6ELNS1_3repE0EEENS1_30default_config_static_selectorELNS0_4arch9wavefront6targetE1EEEvT1_
	.p2align	8
	.type	_ZN7rocprim17ROCPRIM_400000_NS6detail17trampoline_kernelINS0_14default_configENS1_29reduce_by_key_config_selectorIjiN6thrust23THRUST_200600_302600_NS4plusIiEEEEZZNS1_33reduce_by_key_impl_wrapped_configILNS1_25lookback_scan_determinismE0ES3_S9_NS6_6detail15normal_iteratorINS6_10device_ptrIjEEEENSD_INSE_IiEEEENS6_16discard_iteratorINS6_11use_defaultEEESI_PmS8_NS6_8equal_toIjEEEE10hipError_tPvRmT2_T3_mT4_T5_T6_T7_T8_P12ihipStream_tbENKUlT_T0_E_clISt17integral_constantIbLb0EES15_IbLb1EEEEDaS11_S12_EUlS11_E_NS1_11comp_targetILNS1_3genE2ELNS1_11target_archE906ELNS1_3gpuE6ELNS1_3repE0EEENS1_30default_config_static_selectorELNS0_4arch9wavefront6targetE1EEEvT1_,@function
_ZN7rocprim17ROCPRIM_400000_NS6detail17trampoline_kernelINS0_14default_configENS1_29reduce_by_key_config_selectorIjiN6thrust23THRUST_200600_302600_NS4plusIiEEEEZZNS1_33reduce_by_key_impl_wrapped_configILNS1_25lookback_scan_determinismE0ES3_S9_NS6_6detail15normal_iteratorINS6_10device_ptrIjEEEENSD_INSE_IiEEEENS6_16discard_iteratorINS6_11use_defaultEEESI_PmS8_NS6_8equal_toIjEEEE10hipError_tPvRmT2_T3_mT4_T5_T6_T7_T8_P12ihipStream_tbENKUlT_T0_E_clISt17integral_constantIbLb0EES15_IbLb1EEEEDaS11_S12_EUlS11_E_NS1_11comp_targetILNS1_3genE2ELNS1_11target_archE906ELNS1_3gpuE6ELNS1_3repE0EEENS1_30default_config_static_selectorELNS0_4arch9wavefront6targetE1EEEvT1_: ; @_ZN7rocprim17ROCPRIM_400000_NS6detail17trampoline_kernelINS0_14default_configENS1_29reduce_by_key_config_selectorIjiN6thrust23THRUST_200600_302600_NS4plusIiEEEEZZNS1_33reduce_by_key_impl_wrapped_configILNS1_25lookback_scan_determinismE0ES3_S9_NS6_6detail15normal_iteratorINS6_10device_ptrIjEEEENSD_INSE_IiEEEENS6_16discard_iteratorINS6_11use_defaultEEESI_PmS8_NS6_8equal_toIjEEEE10hipError_tPvRmT2_T3_mT4_T5_T6_T7_T8_P12ihipStream_tbENKUlT_T0_E_clISt17integral_constantIbLb0EES15_IbLb1EEEEDaS11_S12_EUlS11_E_NS1_11comp_targetILNS1_3genE2ELNS1_11target_archE906ELNS1_3gpuE6ELNS1_3repE0EEENS1_30default_config_static_selectorELNS0_4arch9wavefront6targetE1EEEvT1_
; %bb.0:
	.section	.rodata,"a",@progbits
	.p2align	6, 0x0
	.amdhsa_kernel _ZN7rocprim17ROCPRIM_400000_NS6detail17trampoline_kernelINS0_14default_configENS1_29reduce_by_key_config_selectorIjiN6thrust23THRUST_200600_302600_NS4plusIiEEEEZZNS1_33reduce_by_key_impl_wrapped_configILNS1_25lookback_scan_determinismE0ES3_S9_NS6_6detail15normal_iteratorINS6_10device_ptrIjEEEENSD_INSE_IiEEEENS6_16discard_iteratorINS6_11use_defaultEEESI_PmS8_NS6_8equal_toIjEEEE10hipError_tPvRmT2_T3_mT4_T5_T6_T7_T8_P12ihipStream_tbENKUlT_T0_E_clISt17integral_constantIbLb0EES15_IbLb1EEEEDaS11_S12_EUlS11_E_NS1_11comp_targetILNS1_3genE2ELNS1_11target_archE906ELNS1_3gpuE6ELNS1_3repE0EEENS1_30default_config_static_selectorELNS0_4arch9wavefront6targetE1EEEvT1_
		.amdhsa_group_segment_fixed_size 0
		.amdhsa_private_segment_fixed_size 0
		.amdhsa_kernarg_size 128
		.amdhsa_user_sgpr_count 6
		.amdhsa_user_sgpr_private_segment_buffer 1
		.amdhsa_user_sgpr_dispatch_ptr 0
		.amdhsa_user_sgpr_queue_ptr 0
		.amdhsa_user_sgpr_kernarg_segment_ptr 1
		.amdhsa_user_sgpr_dispatch_id 0
		.amdhsa_user_sgpr_flat_scratch_init 0
		.amdhsa_user_sgpr_kernarg_preload_length 0
		.amdhsa_user_sgpr_kernarg_preload_offset 0
		.amdhsa_user_sgpr_private_segment_size 0
		.amdhsa_uses_dynamic_stack 0
		.amdhsa_system_sgpr_private_segment_wavefront_offset 0
		.amdhsa_system_sgpr_workgroup_id_x 1
		.amdhsa_system_sgpr_workgroup_id_y 0
		.amdhsa_system_sgpr_workgroup_id_z 0
		.amdhsa_system_sgpr_workgroup_info 0
		.amdhsa_system_vgpr_workitem_id 0
		.amdhsa_next_free_vgpr 1
		.amdhsa_next_free_sgpr 0
		.amdhsa_accum_offset 4
		.amdhsa_reserve_vcc 0
		.amdhsa_reserve_flat_scratch 0
		.amdhsa_float_round_mode_32 0
		.amdhsa_float_round_mode_16_64 0
		.amdhsa_float_denorm_mode_32 3
		.amdhsa_float_denorm_mode_16_64 3
		.amdhsa_dx10_clamp 1
		.amdhsa_ieee_mode 1
		.amdhsa_fp16_overflow 0
		.amdhsa_tg_split 0
		.amdhsa_exception_fp_ieee_invalid_op 0
		.amdhsa_exception_fp_denorm_src 0
		.amdhsa_exception_fp_ieee_div_zero 0
		.amdhsa_exception_fp_ieee_overflow 0
		.amdhsa_exception_fp_ieee_underflow 0
		.amdhsa_exception_fp_ieee_inexact 0
		.amdhsa_exception_int_div_zero 0
	.end_amdhsa_kernel
	.section	.text._ZN7rocprim17ROCPRIM_400000_NS6detail17trampoline_kernelINS0_14default_configENS1_29reduce_by_key_config_selectorIjiN6thrust23THRUST_200600_302600_NS4plusIiEEEEZZNS1_33reduce_by_key_impl_wrapped_configILNS1_25lookback_scan_determinismE0ES3_S9_NS6_6detail15normal_iteratorINS6_10device_ptrIjEEEENSD_INSE_IiEEEENS6_16discard_iteratorINS6_11use_defaultEEESI_PmS8_NS6_8equal_toIjEEEE10hipError_tPvRmT2_T3_mT4_T5_T6_T7_T8_P12ihipStream_tbENKUlT_T0_E_clISt17integral_constantIbLb0EES15_IbLb1EEEEDaS11_S12_EUlS11_E_NS1_11comp_targetILNS1_3genE2ELNS1_11target_archE906ELNS1_3gpuE6ELNS1_3repE0EEENS1_30default_config_static_selectorELNS0_4arch9wavefront6targetE1EEEvT1_,"axG",@progbits,_ZN7rocprim17ROCPRIM_400000_NS6detail17trampoline_kernelINS0_14default_configENS1_29reduce_by_key_config_selectorIjiN6thrust23THRUST_200600_302600_NS4plusIiEEEEZZNS1_33reduce_by_key_impl_wrapped_configILNS1_25lookback_scan_determinismE0ES3_S9_NS6_6detail15normal_iteratorINS6_10device_ptrIjEEEENSD_INSE_IiEEEENS6_16discard_iteratorINS6_11use_defaultEEESI_PmS8_NS6_8equal_toIjEEEE10hipError_tPvRmT2_T3_mT4_T5_T6_T7_T8_P12ihipStream_tbENKUlT_T0_E_clISt17integral_constantIbLb0EES15_IbLb1EEEEDaS11_S12_EUlS11_E_NS1_11comp_targetILNS1_3genE2ELNS1_11target_archE906ELNS1_3gpuE6ELNS1_3repE0EEENS1_30default_config_static_selectorELNS0_4arch9wavefront6targetE1EEEvT1_,comdat
.Lfunc_end1052:
	.size	_ZN7rocprim17ROCPRIM_400000_NS6detail17trampoline_kernelINS0_14default_configENS1_29reduce_by_key_config_selectorIjiN6thrust23THRUST_200600_302600_NS4plusIiEEEEZZNS1_33reduce_by_key_impl_wrapped_configILNS1_25lookback_scan_determinismE0ES3_S9_NS6_6detail15normal_iteratorINS6_10device_ptrIjEEEENSD_INSE_IiEEEENS6_16discard_iteratorINS6_11use_defaultEEESI_PmS8_NS6_8equal_toIjEEEE10hipError_tPvRmT2_T3_mT4_T5_T6_T7_T8_P12ihipStream_tbENKUlT_T0_E_clISt17integral_constantIbLb0EES15_IbLb1EEEEDaS11_S12_EUlS11_E_NS1_11comp_targetILNS1_3genE2ELNS1_11target_archE906ELNS1_3gpuE6ELNS1_3repE0EEENS1_30default_config_static_selectorELNS0_4arch9wavefront6targetE1EEEvT1_, .Lfunc_end1052-_ZN7rocprim17ROCPRIM_400000_NS6detail17trampoline_kernelINS0_14default_configENS1_29reduce_by_key_config_selectorIjiN6thrust23THRUST_200600_302600_NS4plusIiEEEEZZNS1_33reduce_by_key_impl_wrapped_configILNS1_25lookback_scan_determinismE0ES3_S9_NS6_6detail15normal_iteratorINS6_10device_ptrIjEEEENSD_INSE_IiEEEENS6_16discard_iteratorINS6_11use_defaultEEESI_PmS8_NS6_8equal_toIjEEEE10hipError_tPvRmT2_T3_mT4_T5_T6_T7_T8_P12ihipStream_tbENKUlT_T0_E_clISt17integral_constantIbLb0EES15_IbLb1EEEEDaS11_S12_EUlS11_E_NS1_11comp_targetILNS1_3genE2ELNS1_11target_archE906ELNS1_3gpuE6ELNS1_3repE0EEENS1_30default_config_static_selectorELNS0_4arch9wavefront6targetE1EEEvT1_
                                        ; -- End function
	.section	.AMDGPU.csdata,"",@progbits
; Kernel info:
; codeLenInByte = 0
; NumSgprs: 4
; NumVgprs: 0
; NumAgprs: 0
; TotalNumVgprs: 0
; ScratchSize: 0
; MemoryBound: 0
; FloatMode: 240
; IeeeMode: 1
; LDSByteSize: 0 bytes/workgroup (compile time only)
; SGPRBlocks: 0
; VGPRBlocks: 0
; NumSGPRsForWavesPerEU: 4
; NumVGPRsForWavesPerEU: 1
; AccumOffset: 4
; Occupancy: 8
; WaveLimiterHint : 0
; COMPUTE_PGM_RSRC2:SCRATCH_EN: 0
; COMPUTE_PGM_RSRC2:USER_SGPR: 6
; COMPUTE_PGM_RSRC2:TRAP_HANDLER: 0
; COMPUTE_PGM_RSRC2:TGID_X_EN: 1
; COMPUTE_PGM_RSRC2:TGID_Y_EN: 0
; COMPUTE_PGM_RSRC2:TGID_Z_EN: 0
; COMPUTE_PGM_RSRC2:TIDIG_COMP_CNT: 0
; COMPUTE_PGM_RSRC3_GFX90A:ACCUM_OFFSET: 0
; COMPUTE_PGM_RSRC3_GFX90A:TG_SPLIT: 0
	.section	.text._ZN7rocprim17ROCPRIM_400000_NS6detail17trampoline_kernelINS0_14default_configENS1_29reduce_by_key_config_selectorIjiN6thrust23THRUST_200600_302600_NS4plusIiEEEEZZNS1_33reduce_by_key_impl_wrapped_configILNS1_25lookback_scan_determinismE0ES3_S9_NS6_6detail15normal_iteratorINS6_10device_ptrIjEEEENSD_INSE_IiEEEENS6_16discard_iteratorINS6_11use_defaultEEESI_PmS8_NS6_8equal_toIjEEEE10hipError_tPvRmT2_T3_mT4_T5_T6_T7_T8_P12ihipStream_tbENKUlT_T0_E_clISt17integral_constantIbLb0EES15_IbLb1EEEEDaS11_S12_EUlS11_E_NS1_11comp_targetILNS1_3genE10ELNS1_11target_archE1201ELNS1_3gpuE5ELNS1_3repE0EEENS1_30default_config_static_selectorELNS0_4arch9wavefront6targetE1EEEvT1_,"axG",@progbits,_ZN7rocprim17ROCPRIM_400000_NS6detail17trampoline_kernelINS0_14default_configENS1_29reduce_by_key_config_selectorIjiN6thrust23THRUST_200600_302600_NS4plusIiEEEEZZNS1_33reduce_by_key_impl_wrapped_configILNS1_25lookback_scan_determinismE0ES3_S9_NS6_6detail15normal_iteratorINS6_10device_ptrIjEEEENSD_INSE_IiEEEENS6_16discard_iteratorINS6_11use_defaultEEESI_PmS8_NS6_8equal_toIjEEEE10hipError_tPvRmT2_T3_mT4_T5_T6_T7_T8_P12ihipStream_tbENKUlT_T0_E_clISt17integral_constantIbLb0EES15_IbLb1EEEEDaS11_S12_EUlS11_E_NS1_11comp_targetILNS1_3genE10ELNS1_11target_archE1201ELNS1_3gpuE5ELNS1_3repE0EEENS1_30default_config_static_selectorELNS0_4arch9wavefront6targetE1EEEvT1_,comdat
	.protected	_ZN7rocprim17ROCPRIM_400000_NS6detail17trampoline_kernelINS0_14default_configENS1_29reduce_by_key_config_selectorIjiN6thrust23THRUST_200600_302600_NS4plusIiEEEEZZNS1_33reduce_by_key_impl_wrapped_configILNS1_25lookback_scan_determinismE0ES3_S9_NS6_6detail15normal_iteratorINS6_10device_ptrIjEEEENSD_INSE_IiEEEENS6_16discard_iteratorINS6_11use_defaultEEESI_PmS8_NS6_8equal_toIjEEEE10hipError_tPvRmT2_T3_mT4_T5_T6_T7_T8_P12ihipStream_tbENKUlT_T0_E_clISt17integral_constantIbLb0EES15_IbLb1EEEEDaS11_S12_EUlS11_E_NS1_11comp_targetILNS1_3genE10ELNS1_11target_archE1201ELNS1_3gpuE5ELNS1_3repE0EEENS1_30default_config_static_selectorELNS0_4arch9wavefront6targetE1EEEvT1_ ; -- Begin function _ZN7rocprim17ROCPRIM_400000_NS6detail17trampoline_kernelINS0_14default_configENS1_29reduce_by_key_config_selectorIjiN6thrust23THRUST_200600_302600_NS4plusIiEEEEZZNS1_33reduce_by_key_impl_wrapped_configILNS1_25lookback_scan_determinismE0ES3_S9_NS6_6detail15normal_iteratorINS6_10device_ptrIjEEEENSD_INSE_IiEEEENS6_16discard_iteratorINS6_11use_defaultEEESI_PmS8_NS6_8equal_toIjEEEE10hipError_tPvRmT2_T3_mT4_T5_T6_T7_T8_P12ihipStream_tbENKUlT_T0_E_clISt17integral_constantIbLb0EES15_IbLb1EEEEDaS11_S12_EUlS11_E_NS1_11comp_targetILNS1_3genE10ELNS1_11target_archE1201ELNS1_3gpuE5ELNS1_3repE0EEENS1_30default_config_static_selectorELNS0_4arch9wavefront6targetE1EEEvT1_
	.globl	_ZN7rocprim17ROCPRIM_400000_NS6detail17trampoline_kernelINS0_14default_configENS1_29reduce_by_key_config_selectorIjiN6thrust23THRUST_200600_302600_NS4plusIiEEEEZZNS1_33reduce_by_key_impl_wrapped_configILNS1_25lookback_scan_determinismE0ES3_S9_NS6_6detail15normal_iteratorINS6_10device_ptrIjEEEENSD_INSE_IiEEEENS6_16discard_iteratorINS6_11use_defaultEEESI_PmS8_NS6_8equal_toIjEEEE10hipError_tPvRmT2_T3_mT4_T5_T6_T7_T8_P12ihipStream_tbENKUlT_T0_E_clISt17integral_constantIbLb0EES15_IbLb1EEEEDaS11_S12_EUlS11_E_NS1_11comp_targetILNS1_3genE10ELNS1_11target_archE1201ELNS1_3gpuE5ELNS1_3repE0EEENS1_30default_config_static_selectorELNS0_4arch9wavefront6targetE1EEEvT1_
	.p2align	8
	.type	_ZN7rocprim17ROCPRIM_400000_NS6detail17trampoline_kernelINS0_14default_configENS1_29reduce_by_key_config_selectorIjiN6thrust23THRUST_200600_302600_NS4plusIiEEEEZZNS1_33reduce_by_key_impl_wrapped_configILNS1_25lookback_scan_determinismE0ES3_S9_NS6_6detail15normal_iteratorINS6_10device_ptrIjEEEENSD_INSE_IiEEEENS6_16discard_iteratorINS6_11use_defaultEEESI_PmS8_NS6_8equal_toIjEEEE10hipError_tPvRmT2_T3_mT4_T5_T6_T7_T8_P12ihipStream_tbENKUlT_T0_E_clISt17integral_constantIbLb0EES15_IbLb1EEEEDaS11_S12_EUlS11_E_NS1_11comp_targetILNS1_3genE10ELNS1_11target_archE1201ELNS1_3gpuE5ELNS1_3repE0EEENS1_30default_config_static_selectorELNS0_4arch9wavefront6targetE1EEEvT1_,@function
_ZN7rocprim17ROCPRIM_400000_NS6detail17trampoline_kernelINS0_14default_configENS1_29reduce_by_key_config_selectorIjiN6thrust23THRUST_200600_302600_NS4plusIiEEEEZZNS1_33reduce_by_key_impl_wrapped_configILNS1_25lookback_scan_determinismE0ES3_S9_NS6_6detail15normal_iteratorINS6_10device_ptrIjEEEENSD_INSE_IiEEEENS6_16discard_iteratorINS6_11use_defaultEEESI_PmS8_NS6_8equal_toIjEEEE10hipError_tPvRmT2_T3_mT4_T5_T6_T7_T8_P12ihipStream_tbENKUlT_T0_E_clISt17integral_constantIbLb0EES15_IbLb1EEEEDaS11_S12_EUlS11_E_NS1_11comp_targetILNS1_3genE10ELNS1_11target_archE1201ELNS1_3gpuE5ELNS1_3repE0EEENS1_30default_config_static_selectorELNS0_4arch9wavefront6targetE1EEEvT1_: ; @_ZN7rocprim17ROCPRIM_400000_NS6detail17trampoline_kernelINS0_14default_configENS1_29reduce_by_key_config_selectorIjiN6thrust23THRUST_200600_302600_NS4plusIiEEEEZZNS1_33reduce_by_key_impl_wrapped_configILNS1_25lookback_scan_determinismE0ES3_S9_NS6_6detail15normal_iteratorINS6_10device_ptrIjEEEENSD_INSE_IiEEEENS6_16discard_iteratorINS6_11use_defaultEEESI_PmS8_NS6_8equal_toIjEEEE10hipError_tPvRmT2_T3_mT4_T5_T6_T7_T8_P12ihipStream_tbENKUlT_T0_E_clISt17integral_constantIbLb0EES15_IbLb1EEEEDaS11_S12_EUlS11_E_NS1_11comp_targetILNS1_3genE10ELNS1_11target_archE1201ELNS1_3gpuE5ELNS1_3repE0EEENS1_30default_config_static_selectorELNS0_4arch9wavefront6targetE1EEEvT1_
; %bb.0:
	.section	.rodata,"a",@progbits
	.p2align	6, 0x0
	.amdhsa_kernel _ZN7rocprim17ROCPRIM_400000_NS6detail17trampoline_kernelINS0_14default_configENS1_29reduce_by_key_config_selectorIjiN6thrust23THRUST_200600_302600_NS4plusIiEEEEZZNS1_33reduce_by_key_impl_wrapped_configILNS1_25lookback_scan_determinismE0ES3_S9_NS6_6detail15normal_iteratorINS6_10device_ptrIjEEEENSD_INSE_IiEEEENS6_16discard_iteratorINS6_11use_defaultEEESI_PmS8_NS6_8equal_toIjEEEE10hipError_tPvRmT2_T3_mT4_T5_T6_T7_T8_P12ihipStream_tbENKUlT_T0_E_clISt17integral_constantIbLb0EES15_IbLb1EEEEDaS11_S12_EUlS11_E_NS1_11comp_targetILNS1_3genE10ELNS1_11target_archE1201ELNS1_3gpuE5ELNS1_3repE0EEENS1_30default_config_static_selectorELNS0_4arch9wavefront6targetE1EEEvT1_
		.amdhsa_group_segment_fixed_size 0
		.amdhsa_private_segment_fixed_size 0
		.amdhsa_kernarg_size 128
		.amdhsa_user_sgpr_count 6
		.amdhsa_user_sgpr_private_segment_buffer 1
		.amdhsa_user_sgpr_dispatch_ptr 0
		.amdhsa_user_sgpr_queue_ptr 0
		.amdhsa_user_sgpr_kernarg_segment_ptr 1
		.amdhsa_user_sgpr_dispatch_id 0
		.amdhsa_user_sgpr_flat_scratch_init 0
		.amdhsa_user_sgpr_kernarg_preload_length 0
		.amdhsa_user_sgpr_kernarg_preload_offset 0
		.amdhsa_user_sgpr_private_segment_size 0
		.amdhsa_uses_dynamic_stack 0
		.amdhsa_system_sgpr_private_segment_wavefront_offset 0
		.amdhsa_system_sgpr_workgroup_id_x 1
		.amdhsa_system_sgpr_workgroup_id_y 0
		.amdhsa_system_sgpr_workgroup_id_z 0
		.amdhsa_system_sgpr_workgroup_info 0
		.amdhsa_system_vgpr_workitem_id 0
		.amdhsa_next_free_vgpr 1
		.amdhsa_next_free_sgpr 0
		.amdhsa_accum_offset 4
		.amdhsa_reserve_vcc 0
		.amdhsa_reserve_flat_scratch 0
		.amdhsa_float_round_mode_32 0
		.amdhsa_float_round_mode_16_64 0
		.amdhsa_float_denorm_mode_32 3
		.amdhsa_float_denorm_mode_16_64 3
		.amdhsa_dx10_clamp 1
		.amdhsa_ieee_mode 1
		.amdhsa_fp16_overflow 0
		.amdhsa_tg_split 0
		.amdhsa_exception_fp_ieee_invalid_op 0
		.amdhsa_exception_fp_denorm_src 0
		.amdhsa_exception_fp_ieee_div_zero 0
		.amdhsa_exception_fp_ieee_overflow 0
		.amdhsa_exception_fp_ieee_underflow 0
		.amdhsa_exception_fp_ieee_inexact 0
		.amdhsa_exception_int_div_zero 0
	.end_amdhsa_kernel
	.section	.text._ZN7rocprim17ROCPRIM_400000_NS6detail17trampoline_kernelINS0_14default_configENS1_29reduce_by_key_config_selectorIjiN6thrust23THRUST_200600_302600_NS4plusIiEEEEZZNS1_33reduce_by_key_impl_wrapped_configILNS1_25lookback_scan_determinismE0ES3_S9_NS6_6detail15normal_iteratorINS6_10device_ptrIjEEEENSD_INSE_IiEEEENS6_16discard_iteratorINS6_11use_defaultEEESI_PmS8_NS6_8equal_toIjEEEE10hipError_tPvRmT2_T3_mT4_T5_T6_T7_T8_P12ihipStream_tbENKUlT_T0_E_clISt17integral_constantIbLb0EES15_IbLb1EEEEDaS11_S12_EUlS11_E_NS1_11comp_targetILNS1_3genE10ELNS1_11target_archE1201ELNS1_3gpuE5ELNS1_3repE0EEENS1_30default_config_static_selectorELNS0_4arch9wavefront6targetE1EEEvT1_,"axG",@progbits,_ZN7rocprim17ROCPRIM_400000_NS6detail17trampoline_kernelINS0_14default_configENS1_29reduce_by_key_config_selectorIjiN6thrust23THRUST_200600_302600_NS4plusIiEEEEZZNS1_33reduce_by_key_impl_wrapped_configILNS1_25lookback_scan_determinismE0ES3_S9_NS6_6detail15normal_iteratorINS6_10device_ptrIjEEEENSD_INSE_IiEEEENS6_16discard_iteratorINS6_11use_defaultEEESI_PmS8_NS6_8equal_toIjEEEE10hipError_tPvRmT2_T3_mT4_T5_T6_T7_T8_P12ihipStream_tbENKUlT_T0_E_clISt17integral_constantIbLb0EES15_IbLb1EEEEDaS11_S12_EUlS11_E_NS1_11comp_targetILNS1_3genE10ELNS1_11target_archE1201ELNS1_3gpuE5ELNS1_3repE0EEENS1_30default_config_static_selectorELNS0_4arch9wavefront6targetE1EEEvT1_,comdat
.Lfunc_end1053:
	.size	_ZN7rocprim17ROCPRIM_400000_NS6detail17trampoline_kernelINS0_14default_configENS1_29reduce_by_key_config_selectorIjiN6thrust23THRUST_200600_302600_NS4plusIiEEEEZZNS1_33reduce_by_key_impl_wrapped_configILNS1_25lookback_scan_determinismE0ES3_S9_NS6_6detail15normal_iteratorINS6_10device_ptrIjEEEENSD_INSE_IiEEEENS6_16discard_iteratorINS6_11use_defaultEEESI_PmS8_NS6_8equal_toIjEEEE10hipError_tPvRmT2_T3_mT4_T5_T6_T7_T8_P12ihipStream_tbENKUlT_T0_E_clISt17integral_constantIbLb0EES15_IbLb1EEEEDaS11_S12_EUlS11_E_NS1_11comp_targetILNS1_3genE10ELNS1_11target_archE1201ELNS1_3gpuE5ELNS1_3repE0EEENS1_30default_config_static_selectorELNS0_4arch9wavefront6targetE1EEEvT1_, .Lfunc_end1053-_ZN7rocprim17ROCPRIM_400000_NS6detail17trampoline_kernelINS0_14default_configENS1_29reduce_by_key_config_selectorIjiN6thrust23THRUST_200600_302600_NS4plusIiEEEEZZNS1_33reduce_by_key_impl_wrapped_configILNS1_25lookback_scan_determinismE0ES3_S9_NS6_6detail15normal_iteratorINS6_10device_ptrIjEEEENSD_INSE_IiEEEENS6_16discard_iteratorINS6_11use_defaultEEESI_PmS8_NS6_8equal_toIjEEEE10hipError_tPvRmT2_T3_mT4_T5_T6_T7_T8_P12ihipStream_tbENKUlT_T0_E_clISt17integral_constantIbLb0EES15_IbLb1EEEEDaS11_S12_EUlS11_E_NS1_11comp_targetILNS1_3genE10ELNS1_11target_archE1201ELNS1_3gpuE5ELNS1_3repE0EEENS1_30default_config_static_selectorELNS0_4arch9wavefront6targetE1EEEvT1_
                                        ; -- End function
	.section	.AMDGPU.csdata,"",@progbits
; Kernel info:
; codeLenInByte = 0
; NumSgprs: 4
; NumVgprs: 0
; NumAgprs: 0
; TotalNumVgprs: 0
; ScratchSize: 0
; MemoryBound: 0
; FloatMode: 240
; IeeeMode: 1
; LDSByteSize: 0 bytes/workgroup (compile time only)
; SGPRBlocks: 0
; VGPRBlocks: 0
; NumSGPRsForWavesPerEU: 4
; NumVGPRsForWavesPerEU: 1
; AccumOffset: 4
; Occupancy: 8
; WaveLimiterHint : 0
; COMPUTE_PGM_RSRC2:SCRATCH_EN: 0
; COMPUTE_PGM_RSRC2:USER_SGPR: 6
; COMPUTE_PGM_RSRC2:TRAP_HANDLER: 0
; COMPUTE_PGM_RSRC2:TGID_X_EN: 1
; COMPUTE_PGM_RSRC2:TGID_Y_EN: 0
; COMPUTE_PGM_RSRC2:TGID_Z_EN: 0
; COMPUTE_PGM_RSRC2:TIDIG_COMP_CNT: 0
; COMPUTE_PGM_RSRC3_GFX90A:ACCUM_OFFSET: 0
; COMPUTE_PGM_RSRC3_GFX90A:TG_SPLIT: 0
	.section	.text._ZN7rocprim17ROCPRIM_400000_NS6detail17trampoline_kernelINS0_14default_configENS1_29reduce_by_key_config_selectorIjiN6thrust23THRUST_200600_302600_NS4plusIiEEEEZZNS1_33reduce_by_key_impl_wrapped_configILNS1_25lookback_scan_determinismE0ES3_S9_NS6_6detail15normal_iteratorINS6_10device_ptrIjEEEENSD_INSE_IiEEEENS6_16discard_iteratorINS6_11use_defaultEEESI_PmS8_NS6_8equal_toIjEEEE10hipError_tPvRmT2_T3_mT4_T5_T6_T7_T8_P12ihipStream_tbENKUlT_T0_E_clISt17integral_constantIbLb0EES15_IbLb1EEEEDaS11_S12_EUlS11_E_NS1_11comp_targetILNS1_3genE10ELNS1_11target_archE1200ELNS1_3gpuE4ELNS1_3repE0EEENS1_30default_config_static_selectorELNS0_4arch9wavefront6targetE1EEEvT1_,"axG",@progbits,_ZN7rocprim17ROCPRIM_400000_NS6detail17trampoline_kernelINS0_14default_configENS1_29reduce_by_key_config_selectorIjiN6thrust23THRUST_200600_302600_NS4plusIiEEEEZZNS1_33reduce_by_key_impl_wrapped_configILNS1_25lookback_scan_determinismE0ES3_S9_NS6_6detail15normal_iteratorINS6_10device_ptrIjEEEENSD_INSE_IiEEEENS6_16discard_iteratorINS6_11use_defaultEEESI_PmS8_NS6_8equal_toIjEEEE10hipError_tPvRmT2_T3_mT4_T5_T6_T7_T8_P12ihipStream_tbENKUlT_T0_E_clISt17integral_constantIbLb0EES15_IbLb1EEEEDaS11_S12_EUlS11_E_NS1_11comp_targetILNS1_3genE10ELNS1_11target_archE1200ELNS1_3gpuE4ELNS1_3repE0EEENS1_30default_config_static_selectorELNS0_4arch9wavefront6targetE1EEEvT1_,comdat
	.protected	_ZN7rocprim17ROCPRIM_400000_NS6detail17trampoline_kernelINS0_14default_configENS1_29reduce_by_key_config_selectorIjiN6thrust23THRUST_200600_302600_NS4plusIiEEEEZZNS1_33reduce_by_key_impl_wrapped_configILNS1_25lookback_scan_determinismE0ES3_S9_NS6_6detail15normal_iteratorINS6_10device_ptrIjEEEENSD_INSE_IiEEEENS6_16discard_iteratorINS6_11use_defaultEEESI_PmS8_NS6_8equal_toIjEEEE10hipError_tPvRmT2_T3_mT4_T5_T6_T7_T8_P12ihipStream_tbENKUlT_T0_E_clISt17integral_constantIbLb0EES15_IbLb1EEEEDaS11_S12_EUlS11_E_NS1_11comp_targetILNS1_3genE10ELNS1_11target_archE1200ELNS1_3gpuE4ELNS1_3repE0EEENS1_30default_config_static_selectorELNS0_4arch9wavefront6targetE1EEEvT1_ ; -- Begin function _ZN7rocprim17ROCPRIM_400000_NS6detail17trampoline_kernelINS0_14default_configENS1_29reduce_by_key_config_selectorIjiN6thrust23THRUST_200600_302600_NS4plusIiEEEEZZNS1_33reduce_by_key_impl_wrapped_configILNS1_25lookback_scan_determinismE0ES3_S9_NS6_6detail15normal_iteratorINS6_10device_ptrIjEEEENSD_INSE_IiEEEENS6_16discard_iteratorINS6_11use_defaultEEESI_PmS8_NS6_8equal_toIjEEEE10hipError_tPvRmT2_T3_mT4_T5_T6_T7_T8_P12ihipStream_tbENKUlT_T0_E_clISt17integral_constantIbLb0EES15_IbLb1EEEEDaS11_S12_EUlS11_E_NS1_11comp_targetILNS1_3genE10ELNS1_11target_archE1200ELNS1_3gpuE4ELNS1_3repE0EEENS1_30default_config_static_selectorELNS0_4arch9wavefront6targetE1EEEvT1_
	.globl	_ZN7rocprim17ROCPRIM_400000_NS6detail17trampoline_kernelINS0_14default_configENS1_29reduce_by_key_config_selectorIjiN6thrust23THRUST_200600_302600_NS4plusIiEEEEZZNS1_33reduce_by_key_impl_wrapped_configILNS1_25lookback_scan_determinismE0ES3_S9_NS6_6detail15normal_iteratorINS6_10device_ptrIjEEEENSD_INSE_IiEEEENS6_16discard_iteratorINS6_11use_defaultEEESI_PmS8_NS6_8equal_toIjEEEE10hipError_tPvRmT2_T3_mT4_T5_T6_T7_T8_P12ihipStream_tbENKUlT_T0_E_clISt17integral_constantIbLb0EES15_IbLb1EEEEDaS11_S12_EUlS11_E_NS1_11comp_targetILNS1_3genE10ELNS1_11target_archE1200ELNS1_3gpuE4ELNS1_3repE0EEENS1_30default_config_static_selectorELNS0_4arch9wavefront6targetE1EEEvT1_
	.p2align	8
	.type	_ZN7rocprim17ROCPRIM_400000_NS6detail17trampoline_kernelINS0_14default_configENS1_29reduce_by_key_config_selectorIjiN6thrust23THRUST_200600_302600_NS4plusIiEEEEZZNS1_33reduce_by_key_impl_wrapped_configILNS1_25lookback_scan_determinismE0ES3_S9_NS6_6detail15normal_iteratorINS6_10device_ptrIjEEEENSD_INSE_IiEEEENS6_16discard_iteratorINS6_11use_defaultEEESI_PmS8_NS6_8equal_toIjEEEE10hipError_tPvRmT2_T3_mT4_T5_T6_T7_T8_P12ihipStream_tbENKUlT_T0_E_clISt17integral_constantIbLb0EES15_IbLb1EEEEDaS11_S12_EUlS11_E_NS1_11comp_targetILNS1_3genE10ELNS1_11target_archE1200ELNS1_3gpuE4ELNS1_3repE0EEENS1_30default_config_static_selectorELNS0_4arch9wavefront6targetE1EEEvT1_,@function
_ZN7rocprim17ROCPRIM_400000_NS6detail17trampoline_kernelINS0_14default_configENS1_29reduce_by_key_config_selectorIjiN6thrust23THRUST_200600_302600_NS4plusIiEEEEZZNS1_33reduce_by_key_impl_wrapped_configILNS1_25lookback_scan_determinismE0ES3_S9_NS6_6detail15normal_iteratorINS6_10device_ptrIjEEEENSD_INSE_IiEEEENS6_16discard_iteratorINS6_11use_defaultEEESI_PmS8_NS6_8equal_toIjEEEE10hipError_tPvRmT2_T3_mT4_T5_T6_T7_T8_P12ihipStream_tbENKUlT_T0_E_clISt17integral_constantIbLb0EES15_IbLb1EEEEDaS11_S12_EUlS11_E_NS1_11comp_targetILNS1_3genE10ELNS1_11target_archE1200ELNS1_3gpuE4ELNS1_3repE0EEENS1_30default_config_static_selectorELNS0_4arch9wavefront6targetE1EEEvT1_: ; @_ZN7rocprim17ROCPRIM_400000_NS6detail17trampoline_kernelINS0_14default_configENS1_29reduce_by_key_config_selectorIjiN6thrust23THRUST_200600_302600_NS4plusIiEEEEZZNS1_33reduce_by_key_impl_wrapped_configILNS1_25lookback_scan_determinismE0ES3_S9_NS6_6detail15normal_iteratorINS6_10device_ptrIjEEEENSD_INSE_IiEEEENS6_16discard_iteratorINS6_11use_defaultEEESI_PmS8_NS6_8equal_toIjEEEE10hipError_tPvRmT2_T3_mT4_T5_T6_T7_T8_P12ihipStream_tbENKUlT_T0_E_clISt17integral_constantIbLb0EES15_IbLb1EEEEDaS11_S12_EUlS11_E_NS1_11comp_targetILNS1_3genE10ELNS1_11target_archE1200ELNS1_3gpuE4ELNS1_3repE0EEENS1_30default_config_static_selectorELNS0_4arch9wavefront6targetE1EEEvT1_
; %bb.0:
	.section	.rodata,"a",@progbits
	.p2align	6, 0x0
	.amdhsa_kernel _ZN7rocprim17ROCPRIM_400000_NS6detail17trampoline_kernelINS0_14default_configENS1_29reduce_by_key_config_selectorIjiN6thrust23THRUST_200600_302600_NS4plusIiEEEEZZNS1_33reduce_by_key_impl_wrapped_configILNS1_25lookback_scan_determinismE0ES3_S9_NS6_6detail15normal_iteratorINS6_10device_ptrIjEEEENSD_INSE_IiEEEENS6_16discard_iteratorINS6_11use_defaultEEESI_PmS8_NS6_8equal_toIjEEEE10hipError_tPvRmT2_T3_mT4_T5_T6_T7_T8_P12ihipStream_tbENKUlT_T0_E_clISt17integral_constantIbLb0EES15_IbLb1EEEEDaS11_S12_EUlS11_E_NS1_11comp_targetILNS1_3genE10ELNS1_11target_archE1200ELNS1_3gpuE4ELNS1_3repE0EEENS1_30default_config_static_selectorELNS0_4arch9wavefront6targetE1EEEvT1_
		.amdhsa_group_segment_fixed_size 0
		.amdhsa_private_segment_fixed_size 0
		.amdhsa_kernarg_size 128
		.amdhsa_user_sgpr_count 6
		.amdhsa_user_sgpr_private_segment_buffer 1
		.amdhsa_user_sgpr_dispatch_ptr 0
		.amdhsa_user_sgpr_queue_ptr 0
		.amdhsa_user_sgpr_kernarg_segment_ptr 1
		.amdhsa_user_sgpr_dispatch_id 0
		.amdhsa_user_sgpr_flat_scratch_init 0
		.amdhsa_user_sgpr_kernarg_preload_length 0
		.amdhsa_user_sgpr_kernarg_preload_offset 0
		.amdhsa_user_sgpr_private_segment_size 0
		.amdhsa_uses_dynamic_stack 0
		.amdhsa_system_sgpr_private_segment_wavefront_offset 0
		.amdhsa_system_sgpr_workgroup_id_x 1
		.amdhsa_system_sgpr_workgroup_id_y 0
		.amdhsa_system_sgpr_workgroup_id_z 0
		.amdhsa_system_sgpr_workgroup_info 0
		.amdhsa_system_vgpr_workitem_id 0
		.amdhsa_next_free_vgpr 1
		.amdhsa_next_free_sgpr 0
		.amdhsa_accum_offset 4
		.amdhsa_reserve_vcc 0
		.amdhsa_reserve_flat_scratch 0
		.amdhsa_float_round_mode_32 0
		.amdhsa_float_round_mode_16_64 0
		.amdhsa_float_denorm_mode_32 3
		.amdhsa_float_denorm_mode_16_64 3
		.amdhsa_dx10_clamp 1
		.amdhsa_ieee_mode 1
		.amdhsa_fp16_overflow 0
		.amdhsa_tg_split 0
		.amdhsa_exception_fp_ieee_invalid_op 0
		.amdhsa_exception_fp_denorm_src 0
		.amdhsa_exception_fp_ieee_div_zero 0
		.amdhsa_exception_fp_ieee_overflow 0
		.amdhsa_exception_fp_ieee_underflow 0
		.amdhsa_exception_fp_ieee_inexact 0
		.amdhsa_exception_int_div_zero 0
	.end_amdhsa_kernel
	.section	.text._ZN7rocprim17ROCPRIM_400000_NS6detail17trampoline_kernelINS0_14default_configENS1_29reduce_by_key_config_selectorIjiN6thrust23THRUST_200600_302600_NS4plusIiEEEEZZNS1_33reduce_by_key_impl_wrapped_configILNS1_25lookback_scan_determinismE0ES3_S9_NS6_6detail15normal_iteratorINS6_10device_ptrIjEEEENSD_INSE_IiEEEENS6_16discard_iteratorINS6_11use_defaultEEESI_PmS8_NS6_8equal_toIjEEEE10hipError_tPvRmT2_T3_mT4_T5_T6_T7_T8_P12ihipStream_tbENKUlT_T0_E_clISt17integral_constantIbLb0EES15_IbLb1EEEEDaS11_S12_EUlS11_E_NS1_11comp_targetILNS1_3genE10ELNS1_11target_archE1200ELNS1_3gpuE4ELNS1_3repE0EEENS1_30default_config_static_selectorELNS0_4arch9wavefront6targetE1EEEvT1_,"axG",@progbits,_ZN7rocprim17ROCPRIM_400000_NS6detail17trampoline_kernelINS0_14default_configENS1_29reduce_by_key_config_selectorIjiN6thrust23THRUST_200600_302600_NS4plusIiEEEEZZNS1_33reduce_by_key_impl_wrapped_configILNS1_25lookback_scan_determinismE0ES3_S9_NS6_6detail15normal_iteratorINS6_10device_ptrIjEEEENSD_INSE_IiEEEENS6_16discard_iteratorINS6_11use_defaultEEESI_PmS8_NS6_8equal_toIjEEEE10hipError_tPvRmT2_T3_mT4_T5_T6_T7_T8_P12ihipStream_tbENKUlT_T0_E_clISt17integral_constantIbLb0EES15_IbLb1EEEEDaS11_S12_EUlS11_E_NS1_11comp_targetILNS1_3genE10ELNS1_11target_archE1200ELNS1_3gpuE4ELNS1_3repE0EEENS1_30default_config_static_selectorELNS0_4arch9wavefront6targetE1EEEvT1_,comdat
.Lfunc_end1054:
	.size	_ZN7rocprim17ROCPRIM_400000_NS6detail17trampoline_kernelINS0_14default_configENS1_29reduce_by_key_config_selectorIjiN6thrust23THRUST_200600_302600_NS4plusIiEEEEZZNS1_33reduce_by_key_impl_wrapped_configILNS1_25lookback_scan_determinismE0ES3_S9_NS6_6detail15normal_iteratorINS6_10device_ptrIjEEEENSD_INSE_IiEEEENS6_16discard_iteratorINS6_11use_defaultEEESI_PmS8_NS6_8equal_toIjEEEE10hipError_tPvRmT2_T3_mT4_T5_T6_T7_T8_P12ihipStream_tbENKUlT_T0_E_clISt17integral_constantIbLb0EES15_IbLb1EEEEDaS11_S12_EUlS11_E_NS1_11comp_targetILNS1_3genE10ELNS1_11target_archE1200ELNS1_3gpuE4ELNS1_3repE0EEENS1_30default_config_static_selectorELNS0_4arch9wavefront6targetE1EEEvT1_, .Lfunc_end1054-_ZN7rocprim17ROCPRIM_400000_NS6detail17trampoline_kernelINS0_14default_configENS1_29reduce_by_key_config_selectorIjiN6thrust23THRUST_200600_302600_NS4plusIiEEEEZZNS1_33reduce_by_key_impl_wrapped_configILNS1_25lookback_scan_determinismE0ES3_S9_NS6_6detail15normal_iteratorINS6_10device_ptrIjEEEENSD_INSE_IiEEEENS6_16discard_iteratorINS6_11use_defaultEEESI_PmS8_NS6_8equal_toIjEEEE10hipError_tPvRmT2_T3_mT4_T5_T6_T7_T8_P12ihipStream_tbENKUlT_T0_E_clISt17integral_constantIbLb0EES15_IbLb1EEEEDaS11_S12_EUlS11_E_NS1_11comp_targetILNS1_3genE10ELNS1_11target_archE1200ELNS1_3gpuE4ELNS1_3repE0EEENS1_30default_config_static_selectorELNS0_4arch9wavefront6targetE1EEEvT1_
                                        ; -- End function
	.section	.AMDGPU.csdata,"",@progbits
; Kernel info:
; codeLenInByte = 0
; NumSgprs: 4
; NumVgprs: 0
; NumAgprs: 0
; TotalNumVgprs: 0
; ScratchSize: 0
; MemoryBound: 0
; FloatMode: 240
; IeeeMode: 1
; LDSByteSize: 0 bytes/workgroup (compile time only)
; SGPRBlocks: 0
; VGPRBlocks: 0
; NumSGPRsForWavesPerEU: 4
; NumVGPRsForWavesPerEU: 1
; AccumOffset: 4
; Occupancy: 8
; WaveLimiterHint : 0
; COMPUTE_PGM_RSRC2:SCRATCH_EN: 0
; COMPUTE_PGM_RSRC2:USER_SGPR: 6
; COMPUTE_PGM_RSRC2:TRAP_HANDLER: 0
; COMPUTE_PGM_RSRC2:TGID_X_EN: 1
; COMPUTE_PGM_RSRC2:TGID_Y_EN: 0
; COMPUTE_PGM_RSRC2:TGID_Z_EN: 0
; COMPUTE_PGM_RSRC2:TIDIG_COMP_CNT: 0
; COMPUTE_PGM_RSRC3_GFX90A:ACCUM_OFFSET: 0
; COMPUTE_PGM_RSRC3_GFX90A:TG_SPLIT: 0
	.section	.text._ZN7rocprim17ROCPRIM_400000_NS6detail17trampoline_kernelINS0_14default_configENS1_29reduce_by_key_config_selectorIjiN6thrust23THRUST_200600_302600_NS4plusIiEEEEZZNS1_33reduce_by_key_impl_wrapped_configILNS1_25lookback_scan_determinismE0ES3_S9_NS6_6detail15normal_iteratorINS6_10device_ptrIjEEEENSD_INSE_IiEEEENS6_16discard_iteratorINS6_11use_defaultEEESI_PmS8_NS6_8equal_toIjEEEE10hipError_tPvRmT2_T3_mT4_T5_T6_T7_T8_P12ihipStream_tbENKUlT_T0_E_clISt17integral_constantIbLb0EES15_IbLb1EEEEDaS11_S12_EUlS11_E_NS1_11comp_targetILNS1_3genE9ELNS1_11target_archE1100ELNS1_3gpuE3ELNS1_3repE0EEENS1_30default_config_static_selectorELNS0_4arch9wavefront6targetE1EEEvT1_,"axG",@progbits,_ZN7rocprim17ROCPRIM_400000_NS6detail17trampoline_kernelINS0_14default_configENS1_29reduce_by_key_config_selectorIjiN6thrust23THRUST_200600_302600_NS4plusIiEEEEZZNS1_33reduce_by_key_impl_wrapped_configILNS1_25lookback_scan_determinismE0ES3_S9_NS6_6detail15normal_iteratorINS6_10device_ptrIjEEEENSD_INSE_IiEEEENS6_16discard_iteratorINS6_11use_defaultEEESI_PmS8_NS6_8equal_toIjEEEE10hipError_tPvRmT2_T3_mT4_T5_T6_T7_T8_P12ihipStream_tbENKUlT_T0_E_clISt17integral_constantIbLb0EES15_IbLb1EEEEDaS11_S12_EUlS11_E_NS1_11comp_targetILNS1_3genE9ELNS1_11target_archE1100ELNS1_3gpuE3ELNS1_3repE0EEENS1_30default_config_static_selectorELNS0_4arch9wavefront6targetE1EEEvT1_,comdat
	.protected	_ZN7rocprim17ROCPRIM_400000_NS6detail17trampoline_kernelINS0_14default_configENS1_29reduce_by_key_config_selectorIjiN6thrust23THRUST_200600_302600_NS4plusIiEEEEZZNS1_33reduce_by_key_impl_wrapped_configILNS1_25lookback_scan_determinismE0ES3_S9_NS6_6detail15normal_iteratorINS6_10device_ptrIjEEEENSD_INSE_IiEEEENS6_16discard_iteratorINS6_11use_defaultEEESI_PmS8_NS6_8equal_toIjEEEE10hipError_tPvRmT2_T3_mT4_T5_T6_T7_T8_P12ihipStream_tbENKUlT_T0_E_clISt17integral_constantIbLb0EES15_IbLb1EEEEDaS11_S12_EUlS11_E_NS1_11comp_targetILNS1_3genE9ELNS1_11target_archE1100ELNS1_3gpuE3ELNS1_3repE0EEENS1_30default_config_static_selectorELNS0_4arch9wavefront6targetE1EEEvT1_ ; -- Begin function _ZN7rocprim17ROCPRIM_400000_NS6detail17trampoline_kernelINS0_14default_configENS1_29reduce_by_key_config_selectorIjiN6thrust23THRUST_200600_302600_NS4plusIiEEEEZZNS1_33reduce_by_key_impl_wrapped_configILNS1_25lookback_scan_determinismE0ES3_S9_NS6_6detail15normal_iteratorINS6_10device_ptrIjEEEENSD_INSE_IiEEEENS6_16discard_iteratorINS6_11use_defaultEEESI_PmS8_NS6_8equal_toIjEEEE10hipError_tPvRmT2_T3_mT4_T5_T6_T7_T8_P12ihipStream_tbENKUlT_T0_E_clISt17integral_constantIbLb0EES15_IbLb1EEEEDaS11_S12_EUlS11_E_NS1_11comp_targetILNS1_3genE9ELNS1_11target_archE1100ELNS1_3gpuE3ELNS1_3repE0EEENS1_30default_config_static_selectorELNS0_4arch9wavefront6targetE1EEEvT1_
	.globl	_ZN7rocprim17ROCPRIM_400000_NS6detail17trampoline_kernelINS0_14default_configENS1_29reduce_by_key_config_selectorIjiN6thrust23THRUST_200600_302600_NS4plusIiEEEEZZNS1_33reduce_by_key_impl_wrapped_configILNS1_25lookback_scan_determinismE0ES3_S9_NS6_6detail15normal_iteratorINS6_10device_ptrIjEEEENSD_INSE_IiEEEENS6_16discard_iteratorINS6_11use_defaultEEESI_PmS8_NS6_8equal_toIjEEEE10hipError_tPvRmT2_T3_mT4_T5_T6_T7_T8_P12ihipStream_tbENKUlT_T0_E_clISt17integral_constantIbLb0EES15_IbLb1EEEEDaS11_S12_EUlS11_E_NS1_11comp_targetILNS1_3genE9ELNS1_11target_archE1100ELNS1_3gpuE3ELNS1_3repE0EEENS1_30default_config_static_selectorELNS0_4arch9wavefront6targetE1EEEvT1_
	.p2align	8
	.type	_ZN7rocprim17ROCPRIM_400000_NS6detail17trampoline_kernelINS0_14default_configENS1_29reduce_by_key_config_selectorIjiN6thrust23THRUST_200600_302600_NS4plusIiEEEEZZNS1_33reduce_by_key_impl_wrapped_configILNS1_25lookback_scan_determinismE0ES3_S9_NS6_6detail15normal_iteratorINS6_10device_ptrIjEEEENSD_INSE_IiEEEENS6_16discard_iteratorINS6_11use_defaultEEESI_PmS8_NS6_8equal_toIjEEEE10hipError_tPvRmT2_T3_mT4_T5_T6_T7_T8_P12ihipStream_tbENKUlT_T0_E_clISt17integral_constantIbLb0EES15_IbLb1EEEEDaS11_S12_EUlS11_E_NS1_11comp_targetILNS1_3genE9ELNS1_11target_archE1100ELNS1_3gpuE3ELNS1_3repE0EEENS1_30default_config_static_selectorELNS0_4arch9wavefront6targetE1EEEvT1_,@function
_ZN7rocprim17ROCPRIM_400000_NS6detail17trampoline_kernelINS0_14default_configENS1_29reduce_by_key_config_selectorIjiN6thrust23THRUST_200600_302600_NS4plusIiEEEEZZNS1_33reduce_by_key_impl_wrapped_configILNS1_25lookback_scan_determinismE0ES3_S9_NS6_6detail15normal_iteratorINS6_10device_ptrIjEEEENSD_INSE_IiEEEENS6_16discard_iteratorINS6_11use_defaultEEESI_PmS8_NS6_8equal_toIjEEEE10hipError_tPvRmT2_T3_mT4_T5_T6_T7_T8_P12ihipStream_tbENKUlT_T0_E_clISt17integral_constantIbLb0EES15_IbLb1EEEEDaS11_S12_EUlS11_E_NS1_11comp_targetILNS1_3genE9ELNS1_11target_archE1100ELNS1_3gpuE3ELNS1_3repE0EEENS1_30default_config_static_selectorELNS0_4arch9wavefront6targetE1EEEvT1_: ; @_ZN7rocprim17ROCPRIM_400000_NS6detail17trampoline_kernelINS0_14default_configENS1_29reduce_by_key_config_selectorIjiN6thrust23THRUST_200600_302600_NS4plusIiEEEEZZNS1_33reduce_by_key_impl_wrapped_configILNS1_25lookback_scan_determinismE0ES3_S9_NS6_6detail15normal_iteratorINS6_10device_ptrIjEEEENSD_INSE_IiEEEENS6_16discard_iteratorINS6_11use_defaultEEESI_PmS8_NS6_8equal_toIjEEEE10hipError_tPvRmT2_T3_mT4_T5_T6_T7_T8_P12ihipStream_tbENKUlT_T0_E_clISt17integral_constantIbLb0EES15_IbLb1EEEEDaS11_S12_EUlS11_E_NS1_11comp_targetILNS1_3genE9ELNS1_11target_archE1100ELNS1_3gpuE3ELNS1_3repE0EEENS1_30default_config_static_selectorELNS0_4arch9wavefront6targetE1EEEvT1_
; %bb.0:
	.section	.rodata,"a",@progbits
	.p2align	6, 0x0
	.amdhsa_kernel _ZN7rocprim17ROCPRIM_400000_NS6detail17trampoline_kernelINS0_14default_configENS1_29reduce_by_key_config_selectorIjiN6thrust23THRUST_200600_302600_NS4plusIiEEEEZZNS1_33reduce_by_key_impl_wrapped_configILNS1_25lookback_scan_determinismE0ES3_S9_NS6_6detail15normal_iteratorINS6_10device_ptrIjEEEENSD_INSE_IiEEEENS6_16discard_iteratorINS6_11use_defaultEEESI_PmS8_NS6_8equal_toIjEEEE10hipError_tPvRmT2_T3_mT4_T5_T6_T7_T8_P12ihipStream_tbENKUlT_T0_E_clISt17integral_constantIbLb0EES15_IbLb1EEEEDaS11_S12_EUlS11_E_NS1_11comp_targetILNS1_3genE9ELNS1_11target_archE1100ELNS1_3gpuE3ELNS1_3repE0EEENS1_30default_config_static_selectorELNS0_4arch9wavefront6targetE1EEEvT1_
		.amdhsa_group_segment_fixed_size 0
		.amdhsa_private_segment_fixed_size 0
		.amdhsa_kernarg_size 128
		.amdhsa_user_sgpr_count 6
		.amdhsa_user_sgpr_private_segment_buffer 1
		.amdhsa_user_sgpr_dispatch_ptr 0
		.amdhsa_user_sgpr_queue_ptr 0
		.amdhsa_user_sgpr_kernarg_segment_ptr 1
		.amdhsa_user_sgpr_dispatch_id 0
		.amdhsa_user_sgpr_flat_scratch_init 0
		.amdhsa_user_sgpr_kernarg_preload_length 0
		.amdhsa_user_sgpr_kernarg_preload_offset 0
		.amdhsa_user_sgpr_private_segment_size 0
		.amdhsa_uses_dynamic_stack 0
		.amdhsa_system_sgpr_private_segment_wavefront_offset 0
		.amdhsa_system_sgpr_workgroup_id_x 1
		.amdhsa_system_sgpr_workgroup_id_y 0
		.amdhsa_system_sgpr_workgroup_id_z 0
		.amdhsa_system_sgpr_workgroup_info 0
		.amdhsa_system_vgpr_workitem_id 0
		.amdhsa_next_free_vgpr 1
		.amdhsa_next_free_sgpr 0
		.amdhsa_accum_offset 4
		.amdhsa_reserve_vcc 0
		.amdhsa_reserve_flat_scratch 0
		.amdhsa_float_round_mode_32 0
		.amdhsa_float_round_mode_16_64 0
		.amdhsa_float_denorm_mode_32 3
		.amdhsa_float_denorm_mode_16_64 3
		.amdhsa_dx10_clamp 1
		.amdhsa_ieee_mode 1
		.amdhsa_fp16_overflow 0
		.amdhsa_tg_split 0
		.amdhsa_exception_fp_ieee_invalid_op 0
		.amdhsa_exception_fp_denorm_src 0
		.amdhsa_exception_fp_ieee_div_zero 0
		.amdhsa_exception_fp_ieee_overflow 0
		.amdhsa_exception_fp_ieee_underflow 0
		.amdhsa_exception_fp_ieee_inexact 0
		.amdhsa_exception_int_div_zero 0
	.end_amdhsa_kernel
	.section	.text._ZN7rocprim17ROCPRIM_400000_NS6detail17trampoline_kernelINS0_14default_configENS1_29reduce_by_key_config_selectorIjiN6thrust23THRUST_200600_302600_NS4plusIiEEEEZZNS1_33reduce_by_key_impl_wrapped_configILNS1_25lookback_scan_determinismE0ES3_S9_NS6_6detail15normal_iteratorINS6_10device_ptrIjEEEENSD_INSE_IiEEEENS6_16discard_iteratorINS6_11use_defaultEEESI_PmS8_NS6_8equal_toIjEEEE10hipError_tPvRmT2_T3_mT4_T5_T6_T7_T8_P12ihipStream_tbENKUlT_T0_E_clISt17integral_constantIbLb0EES15_IbLb1EEEEDaS11_S12_EUlS11_E_NS1_11comp_targetILNS1_3genE9ELNS1_11target_archE1100ELNS1_3gpuE3ELNS1_3repE0EEENS1_30default_config_static_selectorELNS0_4arch9wavefront6targetE1EEEvT1_,"axG",@progbits,_ZN7rocprim17ROCPRIM_400000_NS6detail17trampoline_kernelINS0_14default_configENS1_29reduce_by_key_config_selectorIjiN6thrust23THRUST_200600_302600_NS4plusIiEEEEZZNS1_33reduce_by_key_impl_wrapped_configILNS1_25lookback_scan_determinismE0ES3_S9_NS6_6detail15normal_iteratorINS6_10device_ptrIjEEEENSD_INSE_IiEEEENS6_16discard_iteratorINS6_11use_defaultEEESI_PmS8_NS6_8equal_toIjEEEE10hipError_tPvRmT2_T3_mT4_T5_T6_T7_T8_P12ihipStream_tbENKUlT_T0_E_clISt17integral_constantIbLb0EES15_IbLb1EEEEDaS11_S12_EUlS11_E_NS1_11comp_targetILNS1_3genE9ELNS1_11target_archE1100ELNS1_3gpuE3ELNS1_3repE0EEENS1_30default_config_static_selectorELNS0_4arch9wavefront6targetE1EEEvT1_,comdat
.Lfunc_end1055:
	.size	_ZN7rocprim17ROCPRIM_400000_NS6detail17trampoline_kernelINS0_14default_configENS1_29reduce_by_key_config_selectorIjiN6thrust23THRUST_200600_302600_NS4plusIiEEEEZZNS1_33reduce_by_key_impl_wrapped_configILNS1_25lookback_scan_determinismE0ES3_S9_NS6_6detail15normal_iteratorINS6_10device_ptrIjEEEENSD_INSE_IiEEEENS6_16discard_iteratorINS6_11use_defaultEEESI_PmS8_NS6_8equal_toIjEEEE10hipError_tPvRmT2_T3_mT4_T5_T6_T7_T8_P12ihipStream_tbENKUlT_T0_E_clISt17integral_constantIbLb0EES15_IbLb1EEEEDaS11_S12_EUlS11_E_NS1_11comp_targetILNS1_3genE9ELNS1_11target_archE1100ELNS1_3gpuE3ELNS1_3repE0EEENS1_30default_config_static_selectorELNS0_4arch9wavefront6targetE1EEEvT1_, .Lfunc_end1055-_ZN7rocprim17ROCPRIM_400000_NS6detail17trampoline_kernelINS0_14default_configENS1_29reduce_by_key_config_selectorIjiN6thrust23THRUST_200600_302600_NS4plusIiEEEEZZNS1_33reduce_by_key_impl_wrapped_configILNS1_25lookback_scan_determinismE0ES3_S9_NS6_6detail15normal_iteratorINS6_10device_ptrIjEEEENSD_INSE_IiEEEENS6_16discard_iteratorINS6_11use_defaultEEESI_PmS8_NS6_8equal_toIjEEEE10hipError_tPvRmT2_T3_mT4_T5_T6_T7_T8_P12ihipStream_tbENKUlT_T0_E_clISt17integral_constantIbLb0EES15_IbLb1EEEEDaS11_S12_EUlS11_E_NS1_11comp_targetILNS1_3genE9ELNS1_11target_archE1100ELNS1_3gpuE3ELNS1_3repE0EEENS1_30default_config_static_selectorELNS0_4arch9wavefront6targetE1EEEvT1_
                                        ; -- End function
	.section	.AMDGPU.csdata,"",@progbits
; Kernel info:
; codeLenInByte = 0
; NumSgprs: 4
; NumVgprs: 0
; NumAgprs: 0
; TotalNumVgprs: 0
; ScratchSize: 0
; MemoryBound: 0
; FloatMode: 240
; IeeeMode: 1
; LDSByteSize: 0 bytes/workgroup (compile time only)
; SGPRBlocks: 0
; VGPRBlocks: 0
; NumSGPRsForWavesPerEU: 4
; NumVGPRsForWavesPerEU: 1
; AccumOffset: 4
; Occupancy: 8
; WaveLimiterHint : 0
; COMPUTE_PGM_RSRC2:SCRATCH_EN: 0
; COMPUTE_PGM_RSRC2:USER_SGPR: 6
; COMPUTE_PGM_RSRC2:TRAP_HANDLER: 0
; COMPUTE_PGM_RSRC2:TGID_X_EN: 1
; COMPUTE_PGM_RSRC2:TGID_Y_EN: 0
; COMPUTE_PGM_RSRC2:TGID_Z_EN: 0
; COMPUTE_PGM_RSRC2:TIDIG_COMP_CNT: 0
; COMPUTE_PGM_RSRC3_GFX90A:ACCUM_OFFSET: 0
; COMPUTE_PGM_RSRC3_GFX90A:TG_SPLIT: 0
	.section	.text._ZN7rocprim17ROCPRIM_400000_NS6detail17trampoline_kernelINS0_14default_configENS1_29reduce_by_key_config_selectorIjiN6thrust23THRUST_200600_302600_NS4plusIiEEEEZZNS1_33reduce_by_key_impl_wrapped_configILNS1_25lookback_scan_determinismE0ES3_S9_NS6_6detail15normal_iteratorINS6_10device_ptrIjEEEENSD_INSE_IiEEEENS6_16discard_iteratorINS6_11use_defaultEEESI_PmS8_NS6_8equal_toIjEEEE10hipError_tPvRmT2_T3_mT4_T5_T6_T7_T8_P12ihipStream_tbENKUlT_T0_E_clISt17integral_constantIbLb0EES15_IbLb1EEEEDaS11_S12_EUlS11_E_NS1_11comp_targetILNS1_3genE8ELNS1_11target_archE1030ELNS1_3gpuE2ELNS1_3repE0EEENS1_30default_config_static_selectorELNS0_4arch9wavefront6targetE1EEEvT1_,"axG",@progbits,_ZN7rocprim17ROCPRIM_400000_NS6detail17trampoline_kernelINS0_14default_configENS1_29reduce_by_key_config_selectorIjiN6thrust23THRUST_200600_302600_NS4plusIiEEEEZZNS1_33reduce_by_key_impl_wrapped_configILNS1_25lookback_scan_determinismE0ES3_S9_NS6_6detail15normal_iteratorINS6_10device_ptrIjEEEENSD_INSE_IiEEEENS6_16discard_iteratorINS6_11use_defaultEEESI_PmS8_NS6_8equal_toIjEEEE10hipError_tPvRmT2_T3_mT4_T5_T6_T7_T8_P12ihipStream_tbENKUlT_T0_E_clISt17integral_constantIbLb0EES15_IbLb1EEEEDaS11_S12_EUlS11_E_NS1_11comp_targetILNS1_3genE8ELNS1_11target_archE1030ELNS1_3gpuE2ELNS1_3repE0EEENS1_30default_config_static_selectorELNS0_4arch9wavefront6targetE1EEEvT1_,comdat
	.protected	_ZN7rocprim17ROCPRIM_400000_NS6detail17trampoline_kernelINS0_14default_configENS1_29reduce_by_key_config_selectorIjiN6thrust23THRUST_200600_302600_NS4plusIiEEEEZZNS1_33reduce_by_key_impl_wrapped_configILNS1_25lookback_scan_determinismE0ES3_S9_NS6_6detail15normal_iteratorINS6_10device_ptrIjEEEENSD_INSE_IiEEEENS6_16discard_iteratorINS6_11use_defaultEEESI_PmS8_NS6_8equal_toIjEEEE10hipError_tPvRmT2_T3_mT4_T5_T6_T7_T8_P12ihipStream_tbENKUlT_T0_E_clISt17integral_constantIbLb0EES15_IbLb1EEEEDaS11_S12_EUlS11_E_NS1_11comp_targetILNS1_3genE8ELNS1_11target_archE1030ELNS1_3gpuE2ELNS1_3repE0EEENS1_30default_config_static_selectorELNS0_4arch9wavefront6targetE1EEEvT1_ ; -- Begin function _ZN7rocprim17ROCPRIM_400000_NS6detail17trampoline_kernelINS0_14default_configENS1_29reduce_by_key_config_selectorIjiN6thrust23THRUST_200600_302600_NS4plusIiEEEEZZNS1_33reduce_by_key_impl_wrapped_configILNS1_25lookback_scan_determinismE0ES3_S9_NS6_6detail15normal_iteratorINS6_10device_ptrIjEEEENSD_INSE_IiEEEENS6_16discard_iteratorINS6_11use_defaultEEESI_PmS8_NS6_8equal_toIjEEEE10hipError_tPvRmT2_T3_mT4_T5_T6_T7_T8_P12ihipStream_tbENKUlT_T0_E_clISt17integral_constantIbLb0EES15_IbLb1EEEEDaS11_S12_EUlS11_E_NS1_11comp_targetILNS1_3genE8ELNS1_11target_archE1030ELNS1_3gpuE2ELNS1_3repE0EEENS1_30default_config_static_selectorELNS0_4arch9wavefront6targetE1EEEvT1_
	.globl	_ZN7rocprim17ROCPRIM_400000_NS6detail17trampoline_kernelINS0_14default_configENS1_29reduce_by_key_config_selectorIjiN6thrust23THRUST_200600_302600_NS4plusIiEEEEZZNS1_33reduce_by_key_impl_wrapped_configILNS1_25lookback_scan_determinismE0ES3_S9_NS6_6detail15normal_iteratorINS6_10device_ptrIjEEEENSD_INSE_IiEEEENS6_16discard_iteratorINS6_11use_defaultEEESI_PmS8_NS6_8equal_toIjEEEE10hipError_tPvRmT2_T3_mT4_T5_T6_T7_T8_P12ihipStream_tbENKUlT_T0_E_clISt17integral_constantIbLb0EES15_IbLb1EEEEDaS11_S12_EUlS11_E_NS1_11comp_targetILNS1_3genE8ELNS1_11target_archE1030ELNS1_3gpuE2ELNS1_3repE0EEENS1_30default_config_static_selectorELNS0_4arch9wavefront6targetE1EEEvT1_
	.p2align	8
	.type	_ZN7rocprim17ROCPRIM_400000_NS6detail17trampoline_kernelINS0_14default_configENS1_29reduce_by_key_config_selectorIjiN6thrust23THRUST_200600_302600_NS4plusIiEEEEZZNS1_33reduce_by_key_impl_wrapped_configILNS1_25lookback_scan_determinismE0ES3_S9_NS6_6detail15normal_iteratorINS6_10device_ptrIjEEEENSD_INSE_IiEEEENS6_16discard_iteratorINS6_11use_defaultEEESI_PmS8_NS6_8equal_toIjEEEE10hipError_tPvRmT2_T3_mT4_T5_T6_T7_T8_P12ihipStream_tbENKUlT_T0_E_clISt17integral_constantIbLb0EES15_IbLb1EEEEDaS11_S12_EUlS11_E_NS1_11comp_targetILNS1_3genE8ELNS1_11target_archE1030ELNS1_3gpuE2ELNS1_3repE0EEENS1_30default_config_static_selectorELNS0_4arch9wavefront6targetE1EEEvT1_,@function
_ZN7rocprim17ROCPRIM_400000_NS6detail17trampoline_kernelINS0_14default_configENS1_29reduce_by_key_config_selectorIjiN6thrust23THRUST_200600_302600_NS4plusIiEEEEZZNS1_33reduce_by_key_impl_wrapped_configILNS1_25lookback_scan_determinismE0ES3_S9_NS6_6detail15normal_iteratorINS6_10device_ptrIjEEEENSD_INSE_IiEEEENS6_16discard_iteratorINS6_11use_defaultEEESI_PmS8_NS6_8equal_toIjEEEE10hipError_tPvRmT2_T3_mT4_T5_T6_T7_T8_P12ihipStream_tbENKUlT_T0_E_clISt17integral_constantIbLb0EES15_IbLb1EEEEDaS11_S12_EUlS11_E_NS1_11comp_targetILNS1_3genE8ELNS1_11target_archE1030ELNS1_3gpuE2ELNS1_3repE0EEENS1_30default_config_static_selectorELNS0_4arch9wavefront6targetE1EEEvT1_: ; @_ZN7rocprim17ROCPRIM_400000_NS6detail17trampoline_kernelINS0_14default_configENS1_29reduce_by_key_config_selectorIjiN6thrust23THRUST_200600_302600_NS4plusIiEEEEZZNS1_33reduce_by_key_impl_wrapped_configILNS1_25lookback_scan_determinismE0ES3_S9_NS6_6detail15normal_iteratorINS6_10device_ptrIjEEEENSD_INSE_IiEEEENS6_16discard_iteratorINS6_11use_defaultEEESI_PmS8_NS6_8equal_toIjEEEE10hipError_tPvRmT2_T3_mT4_T5_T6_T7_T8_P12ihipStream_tbENKUlT_T0_E_clISt17integral_constantIbLb0EES15_IbLb1EEEEDaS11_S12_EUlS11_E_NS1_11comp_targetILNS1_3genE8ELNS1_11target_archE1030ELNS1_3gpuE2ELNS1_3repE0EEENS1_30default_config_static_selectorELNS0_4arch9wavefront6targetE1EEEvT1_
; %bb.0:
	.section	.rodata,"a",@progbits
	.p2align	6, 0x0
	.amdhsa_kernel _ZN7rocprim17ROCPRIM_400000_NS6detail17trampoline_kernelINS0_14default_configENS1_29reduce_by_key_config_selectorIjiN6thrust23THRUST_200600_302600_NS4plusIiEEEEZZNS1_33reduce_by_key_impl_wrapped_configILNS1_25lookback_scan_determinismE0ES3_S9_NS6_6detail15normal_iteratorINS6_10device_ptrIjEEEENSD_INSE_IiEEEENS6_16discard_iteratorINS6_11use_defaultEEESI_PmS8_NS6_8equal_toIjEEEE10hipError_tPvRmT2_T3_mT4_T5_T6_T7_T8_P12ihipStream_tbENKUlT_T0_E_clISt17integral_constantIbLb0EES15_IbLb1EEEEDaS11_S12_EUlS11_E_NS1_11comp_targetILNS1_3genE8ELNS1_11target_archE1030ELNS1_3gpuE2ELNS1_3repE0EEENS1_30default_config_static_selectorELNS0_4arch9wavefront6targetE1EEEvT1_
		.amdhsa_group_segment_fixed_size 0
		.amdhsa_private_segment_fixed_size 0
		.amdhsa_kernarg_size 128
		.amdhsa_user_sgpr_count 6
		.amdhsa_user_sgpr_private_segment_buffer 1
		.amdhsa_user_sgpr_dispatch_ptr 0
		.amdhsa_user_sgpr_queue_ptr 0
		.amdhsa_user_sgpr_kernarg_segment_ptr 1
		.amdhsa_user_sgpr_dispatch_id 0
		.amdhsa_user_sgpr_flat_scratch_init 0
		.amdhsa_user_sgpr_kernarg_preload_length 0
		.amdhsa_user_sgpr_kernarg_preload_offset 0
		.amdhsa_user_sgpr_private_segment_size 0
		.amdhsa_uses_dynamic_stack 0
		.amdhsa_system_sgpr_private_segment_wavefront_offset 0
		.amdhsa_system_sgpr_workgroup_id_x 1
		.amdhsa_system_sgpr_workgroup_id_y 0
		.amdhsa_system_sgpr_workgroup_id_z 0
		.amdhsa_system_sgpr_workgroup_info 0
		.amdhsa_system_vgpr_workitem_id 0
		.amdhsa_next_free_vgpr 1
		.amdhsa_next_free_sgpr 0
		.amdhsa_accum_offset 4
		.amdhsa_reserve_vcc 0
		.amdhsa_reserve_flat_scratch 0
		.amdhsa_float_round_mode_32 0
		.amdhsa_float_round_mode_16_64 0
		.amdhsa_float_denorm_mode_32 3
		.amdhsa_float_denorm_mode_16_64 3
		.amdhsa_dx10_clamp 1
		.amdhsa_ieee_mode 1
		.amdhsa_fp16_overflow 0
		.amdhsa_tg_split 0
		.amdhsa_exception_fp_ieee_invalid_op 0
		.amdhsa_exception_fp_denorm_src 0
		.amdhsa_exception_fp_ieee_div_zero 0
		.amdhsa_exception_fp_ieee_overflow 0
		.amdhsa_exception_fp_ieee_underflow 0
		.amdhsa_exception_fp_ieee_inexact 0
		.amdhsa_exception_int_div_zero 0
	.end_amdhsa_kernel
	.section	.text._ZN7rocprim17ROCPRIM_400000_NS6detail17trampoline_kernelINS0_14default_configENS1_29reduce_by_key_config_selectorIjiN6thrust23THRUST_200600_302600_NS4plusIiEEEEZZNS1_33reduce_by_key_impl_wrapped_configILNS1_25lookback_scan_determinismE0ES3_S9_NS6_6detail15normal_iteratorINS6_10device_ptrIjEEEENSD_INSE_IiEEEENS6_16discard_iteratorINS6_11use_defaultEEESI_PmS8_NS6_8equal_toIjEEEE10hipError_tPvRmT2_T3_mT4_T5_T6_T7_T8_P12ihipStream_tbENKUlT_T0_E_clISt17integral_constantIbLb0EES15_IbLb1EEEEDaS11_S12_EUlS11_E_NS1_11comp_targetILNS1_3genE8ELNS1_11target_archE1030ELNS1_3gpuE2ELNS1_3repE0EEENS1_30default_config_static_selectorELNS0_4arch9wavefront6targetE1EEEvT1_,"axG",@progbits,_ZN7rocprim17ROCPRIM_400000_NS6detail17trampoline_kernelINS0_14default_configENS1_29reduce_by_key_config_selectorIjiN6thrust23THRUST_200600_302600_NS4plusIiEEEEZZNS1_33reduce_by_key_impl_wrapped_configILNS1_25lookback_scan_determinismE0ES3_S9_NS6_6detail15normal_iteratorINS6_10device_ptrIjEEEENSD_INSE_IiEEEENS6_16discard_iteratorINS6_11use_defaultEEESI_PmS8_NS6_8equal_toIjEEEE10hipError_tPvRmT2_T3_mT4_T5_T6_T7_T8_P12ihipStream_tbENKUlT_T0_E_clISt17integral_constantIbLb0EES15_IbLb1EEEEDaS11_S12_EUlS11_E_NS1_11comp_targetILNS1_3genE8ELNS1_11target_archE1030ELNS1_3gpuE2ELNS1_3repE0EEENS1_30default_config_static_selectorELNS0_4arch9wavefront6targetE1EEEvT1_,comdat
.Lfunc_end1056:
	.size	_ZN7rocprim17ROCPRIM_400000_NS6detail17trampoline_kernelINS0_14default_configENS1_29reduce_by_key_config_selectorIjiN6thrust23THRUST_200600_302600_NS4plusIiEEEEZZNS1_33reduce_by_key_impl_wrapped_configILNS1_25lookback_scan_determinismE0ES3_S9_NS6_6detail15normal_iteratorINS6_10device_ptrIjEEEENSD_INSE_IiEEEENS6_16discard_iteratorINS6_11use_defaultEEESI_PmS8_NS6_8equal_toIjEEEE10hipError_tPvRmT2_T3_mT4_T5_T6_T7_T8_P12ihipStream_tbENKUlT_T0_E_clISt17integral_constantIbLb0EES15_IbLb1EEEEDaS11_S12_EUlS11_E_NS1_11comp_targetILNS1_3genE8ELNS1_11target_archE1030ELNS1_3gpuE2ELNS1_3repE0EEENS1_30default_config_static_selectorELNS0_4arch9wavefront6targetE1EEEvT1_, .Lfunc_end1056-_ZN7rocprim17ROCPRIM_400000_NS6detail17trampoline_kernelINS0_14default_configENS1_29reduce_by_key_config_selectorIjiN6thrust23THRUST_200600_302600_NS4plusIiEEEEZZNS1_33reduce_by_key_impl_wrapped_configILNS1_25lookback_scan_determinismE0ES3_S9_NS6_6detail15normal_iteratorINS6_10device_ptrIjEEEENSD_INSE_IiEEEENS6_16discard_iteratorINS6_11use_defaultEEESI_PmS8_NS6_8equal_toIjEEEE10hipError_tPvRmT2_T3_mT4_T5_T6_T7_T8_P12ihipStream_tbENKUlT_T0_E_clISt17integral_constantIbLb0EES15_IbLb1EEEEDaS11_S12_EUlS11_E_NS1_11comp_targetILNS1_3genE8ELNS1_11target_archE1030ELNS1_3gpuE2ELNS1_3repE0EEENS1_30default_config_static_selectorELNS0_4arch9wavefront6targetE1EEEvT1_
                                        ; -- End function
	.section	.AMDGPU.csdata,"",@progbits
; Kernel info:
; codeLenInByte = 0
; NumSgprs: 4
; NumVgprs: 0
; NumAgprs: 0
; TotalNumVgprs: 0
; ScratchSize: 0
; MemoryBound: 0
; FloatMode: 240
; IeeeMode: 1
; LDSByteSize: 0 bytes/workgroup (compile time only)
; SGPRBlocks: 0
; VGPRBlocks: 0
; NumSGPRsForWavesPerEU: 4
; NumVGPRsForWavesPerEU: 1
; AccumOffset: 4
; Occupancy: 8
; WaveLimiterHint : 0
; COMPUTE_PGM_RSRC2:SCRATCH_EN: 0
; COMPUTE_PGM_RSRC2:USER_SGPR: 6
; COMPUTE_PGM_RSRC2:TRAP_HANDLER: 0
; COMPUTE_PGM_RSRC2:TGID_X_EN: 1
; COMPUTE_PGM_RSRC2:TGID_Y_EN: 0
; COMPUTE_PGM_RSRC2:TGID_Z_EN: 0
; COMPUTE_PGM_RSRC2:TIDIG_COMP_CNT: 0
; COMPUTE_PGM_RSRC3_GFX90A:ACCUM_OFFSET: 0
; COMPUTE_PGM_RSRC3_GFX90A:TG_SPLIT: 0
	.section	.text._ZN7rocprim17ROCPRIM_400000_NS6detail17trampoline_kernelINS0_14default_configENS1_29reduce_by_key_config_selectorIjsN6thrust23THRUST_200600_302600_NS4plusIsEEEEZZNS1_33reduce_by_key_impl_wrapped_configILNS1_25lookback_scan_determinismE0ES3_S9_NS6_6detail15normal_iteratorINS6_10device_ptrIjEEEENSD_INSE_IsEEEENS6_16discard_iteratorINS6_11use_defaultEEESI_PmS8_NS6_8equal_toIjEEEE10hipError_tPvRmT2_T3_mT4_T5_T6_T7_T8_P12ihipStream_tbENKUlT_T0_E_clISt17integral_constantIbLb0EES16_EEDaS11_S12_EUlS11_E_NS1_11comp_targetILNS1_3genE0ELNS1_11target_archE4294967295ELNS1_3gpuE0ELNS1_3repE0EEENS1_30default_config_static_selectorELNS0_4arch9wavefront6targetE1EEEvT1_,"axG",@progbits,_ZN7rocprim17ROCPRIM_400000_NS6detail17trampoline_kernelINS0_14default_configENS1_29reduce_by_key_config_selectorIjsN6thrust23THRUST_200600_302600_NS4plusIsEEEEZZNS1_33reduce_by_key_impl_wrapped_configILNS1_25lookback_scan_determinismE0ES3_S9_NS6_6detail15normal_iteratorINS6_10device_ptrIjEEEENSD_INSE_IsEEEENS6_16discard_iteratorINS6_11use_defaultEEESI_PmS8_NS6_8equal_toIjEEEE10hipError_tPvRmT2_T3_mT4_T5_T6_T7_T8_P12ihipStream_tbENKUlT_T0_E_clISt17integral_constantIbLb0EES16_EEDaS11_S12_EUlS11_E_NS1_11comp_targetILNS1_3genE0ELNS1_11target_archE4294967295ELNS1_3gpuE0ELNS1_3repE0EEENS1_30default_config_static_selectorELNS0_4arch9wavefront6targetE1EEEvT1_,comdat
	.protected	_ZN7rocprim17ROCPRIM_400000_NS6detail17trampoline_kernelINS0_14default_configENS1_29reduce_by_key_config_selectorIjsN6thrust23THRUST_200600_302600_NS4plusIsEEEEZZNS1_33reduce_by_key_impl_wrapped_configILNS1_25lookback_scan_determinismE0ES3_S9_NS6_6detail15normal_iteratorINS6_10device_ptrIjEEEENSD_INSE_IsEEEENS6_16discard_iteratorINS6_11use_defaultEEESI_PmS8_NS6_8equal_toIjEEEE10hipError_tPvRmT2_T3_mT4_T5_T6_T7_T8_P12ihipStream_tbENKUlT_T0_E_clISt17integral_constantIbLb0EES16_EEDaS11_S12_EUlS11_E_NS1_11comp_targetILNS1_3genE0ELNS1_11target_archE4294967295ELNS1_3gpuE0ELNS1_3repE0EEENS1_30default_config_static_selectorELNS0_4arch9wavefront6targetE1EEEvT1_ ; -- Begin function _ZN7rocprim17ROCPRIM_400000_NS6detail17trampoline_kernelINS0_14default_configENS1_29reduce_by_key_config_selectorIjsN6thrust23THRUST_200600_302600_NS4plusIsEEEEZZNS1_33reduce_by_key_impl_wrapped_configILNS1_25lookback_scan_determinismE0ES3_S9_NS6_6detail15normal_iteratorINS6_10device_ptrIjEEEENSD_INSE_IsEEEENS6_16discard_iteratorINS6_11use_defaultEEESI_PmS8_NS6_8equal_toIjEEEE10hipError_tPvRmT2_T3_mT4_T5_T6_T7_T8_P12ihipStream_tbENKUlT_T0_E_clISt17integral_constantIbLb0EES16_EEDaS11_S12_EUlS11_E_NS1_11comp_targetILNS1_3genE0ELNS1_11target_archE4294967295ELNS1_3gpuE0ELNS1_3repE0EEENS1_30default_config_static_selectorELNS0_4arch9wavefront6targetE1EEEvT1_
	.globl	_ZN7rocprim17ROCPRIM_400000_NS6detail17trampoline_kernelINS0_14default_configENS1_29reduce_by_key_config_selectorIjsN6thrust23THRUST_200600_302600_NS4plusIsEEEEZZNS1_33reduce_by_key_impl_wrapped_configILNS1_25lookback_scan_determinismE0ES3_S9_NS6_6detail15normal_iteratorINS6_10device_ptrIjEEEENSD_INSE_IsEEEENS6_16discard_iteratorINS6_11use_defaultEEESI_PmS8_NS6_8equal_toIjEEEE10hipError_tPvRmT2_T3_mT4_T5_T6_T7_T8_P12ihipStream_tbENKUlT_T0_E_clISt17integral_constantIbLb0EES16_EEDaS11_S12_EUlS11_E_NS1_11comp_targetILNS1_3genE0ELNS1_11target_archE4294967295ELNS1_3gpuE0ELNS1_3repE0EEENS1_30default_config_static_selectorELNS0_4arch9wavefront6targetE1EEEvT1_
	.p2align	8
	.type	_ZN7rocprim17ROCPRIM_400000_NS6detail17trampoline_kernelINS0_14default_configENS1_29reduce_by_key_config_selectorIjsN6thrust23THRUST_200600_302600_NS4plusIsEEEEZZNS1_33reduce_by_key_impl_wrapped_configILNS1_25lookback_scan_determinismE0ES3_S9_NS6_6detail15normal_iteratorINS6_10device_ptrIjEEEENSD_INSE_IsEEEENS6_16discard_iteratorINS6_11use_defaultEEESI_PmS8_NS6_8equal_toIjEEEE10hipError_tPvRmT2_T3_mT4_T5_T6_T7_T8_P12ihipStream_tbENKUlT_T0_E_clISt17integral_constantIbLb0EES16_EEDaS11_S12_EUlS11_E_NS1_11comp_targetILNS1_3genE0ELNS1_11target_archE4294967295ELNS1_3gpuE0ELNS1_3repE0EEENS1_30default_config_static_selectorELNS0_4arch9wavefront6targetE1EEEvT1_,@function
_ZN7rocprim17ROCPRIM_400000_NS6detail17trampoline_kernelINS0_14default_configENS1_29reduce_by_key_config_selectorIjsN6thrust23THRUST_200600_302600_NS4plusIsEEEEZZNS1_33reduce_by_key_impl_wrapped_configILNS1_25lookback_scan_determinismE0ES3_S9_NS6_6detail15normal_iteratorINS6_10device_ptrIjEEEENSD_INSE_IsEEEENS6_16discard_iteratorINS6_11use_defaultEEESI_PmS8_NS6_8equal_toIjEEEE10hipError_tPvRmT2_T3_mT4_T5_T6_T7_T8_P12ihipStream_tbENKUlT_T0_E_clISt17integral_constantIbLb0EES16_EEDaS11_S12_EUlS11_E_NS1_11comp_targetILNS1_3genE0ELNS1_11target_archE4294967295ELNS1_3gpuE0ELNS1_3repE0EEENS1_30default_config_static_selectorELNS0_4arch9wavefront6targetE1EEEvT1_: ; @_ZN7rocprim17ROCPRIM_400000_NS6detail17trampoline_kernelINS0_14default_configENS1_29reduce_by_key_config_selectorIjsN6thrust23THRUST_200600_302600_NS4plusIsEEEEZZNS1_33reduce_by_key_impl_wrapped_configILNS1_25lookback_scan_determinismE0ES3_S9_NS6_6detail15normal_iteratorINS6_10device_ptrIjEEEENSD_INSE_IsEEEENS6_16discard_iteratorINS6_11use_defaultEEESI_PmS8_NS6_8equal_toIjEEEE10hipError_tPvRmT2_T3_mT4_T5_T6_T7_T8_P12ihipStream_tbENKUlT_T0_E_clISt17integral_constantIbLb0EES16_EEDaS11_S12_EUlS11_E_NS1_11comp_targetILNS1_3genE0ELNS1_11target_archE4294967295ELNS1_3gpuE0ELNS1_3repE0EEENS1_30default_config_static_selectorELNS0_4arch9wavefront6targetE1EEEvT1_
; %bb.0:
	.section	.rodata,"a",@progbits
	.p2align	6, 0x0
	.amdhsa_kernel _ZN7rocprim17ROCPRIM_400000_NS6detail17trampoline_kernelINS0_14default_configENS1_29reduce_by_key_config_selectorIjsN6thrust23THRUST_200600_302600_NS4plusIsEEEEZZNS1_33reduce_by_key_impl_wrapped_configILNS1_25lookback_scan_determinismE0ES3_S9_NS6_6detail15normal_iteratorINS6_10device_ptrIjEEEENSD_INSE_IsEEEENS6_16discard_iteratorINS6_11use_defaultEEESI_PmS8_NS6_8equal_toIjEEEE10hipError_tPvRmT2_T3_mT4_T5_T6_T7_T8_P12ihipStream_tbENKUlT_T0_E_clISt17integral_constantIbLb0EES16_EEDaS11_S12_EUlS11_E_NS1_11comp_targetILNS1_3genE0ELNS1_11target_archE4294967295ELNS1_3gpuE0ELNS1_3repE0EEENS1_30default_config_static_selectorELNS0_4arch9wavefront6targetE1EEEvT1_
		.amdhsa_group_segment_fixed_size 0
		.amdhsa_private_segment_fixed_size 0
		.amdhsa_kernarg_size 128
		.amdhsa_user_sgpr_count 6
		.amdhsa_user_sgpr_private_segment_buffer 1
		.amdhsa_user_sgpr_dispatch_ptr 0
		.amdhsa_user_sgpr_queue_ptr 0
		.amdhsa_user_sgpr_kernarg_segment_ptr 1
		.amdhsa_user_sgpr_dispatch_id 0
		.amdhsa_user_sgpr_flat_scratch_init 0
		.amdhsa_user_sgpr_kernarg_preload_length 0
		.amdhsa_user_sgpr_kernarg_preload_offset 0
		.amdhsa_user_sgpr_private_segment_size 0
		.amdhsa_uses_dynamic_stack 0
		.amdhsa_system_sgpr_private_segment_wavefront_offset 0
		.amdhsa_system_sgpr_workgroup_id_x 1
		.amdhsa_system_sgpr_workgroup_id_y 0
		.amdhsa_system_sgpr_workgroup_id_z 0
		.amdhsa_system_sgpr_workgroup_info 0
		.amdhsa_system_vgpr_workitem_id 0
		.amdhsa_next_free_vgpr 1
		.amdhsa_next_free_sgpr 0
		.amdhsa_accum_offset 4
		.amdhsa_reserve_vcc 0
		.amdhsa_reserve_flat_scratch 0
		.amdhsa_float_round_mode_32 0
		.amdhsa_float_round_mode_16_64 0
		.amdhsa_float_denorm_mode_32 3
		.amdhsa_float_denorm_mode_16_64 3
		.amdhsa_dx10_clamp 1
		.amdhsa_ieee_mode 1
		.amdhsa_fp16_overflow 0
		.amdhsa_tg_split 0
		.amdhsa_exception_fp_ieee_invalid_op 0
		.amdhsa_exception_fp_denorm_src 0
		.amdhsa_exception_fp_ieee_div_zero 0
		.amdhsa_exception_fp_ieee_overflow 0
		.amdhsa_exception_fp_ieee_underflow 0
		.amdhsa_exception_fp_ieee_inexact 0
		.amdhsa_exception_int_div_zero 0
	.end_amdhsa_kernel
	.section	.text._ZN7rocprim17ROCPRIM_400000_NS6detail17trampoline_kernelINS0_14default_configENS1_29reduce_by_key_config_selectorIjsN6thrust23THRUST_200600_302600_NS4plusIsEEEEZZNS1_33reduce_by_key_impl_wrapped_configILNS1_25lookback_scan_determinismE0ES3_S9_NS6_6detail15normal_iteratorINS6_10device_ptrIjEEEENSD_INSE_IsEEEENS6_16discard_iteratorINS6_11use_defaultEEESI_PmS8_NS6_8equal_toIjEEEE10hipError_tPvRmT2_T3_mT4_T5_T6_T7_T8_P12ihipStream_tbENKUlT_T0_E_clISt17integral_constantIbLb0EES16_EEDaS11_S12_EUlS11_E_NS1_11comp_targetILNS1_3genE0ELNS1_11target_archE4294967295ELNS1_3gpuE0ELNS1_3repE0EEENS1_30default_config_static_selectorELNS0_4arch9wavefront6targetE1EEEvT1_,"axG",@progbits,_ZN7rocprim17ROCPRIM_400000_NS6detail17trampoline_kernelINS0_14default_configENS1_29reduce_by_key_config_selectorIjsN6thrust23THRUST_200600_302600_NS4plusIsEEEEZZNS1_33reduce_by_key_impl_wrapped_configILNS1_25lookback_scan_determinismE0ES3_S9_NS6_6detail15normal_iteratorINS6_10device_ptrIjEEEENSD_INSE_IsEEEENS6_16discard_iteratorINS6_11use_defaultEEESI_PmS8_NS6_8equal_toIjEEEE10hipError_tPvRmT2_T3_mT4_T5_T6_T7_T8_P12ihipStream_tbENKUlT_T0_E_clISt17integral_constantIbLb0EES16_EEDaS11_S12_EUlS11_E_NS1_11comp_targetILNS1_3genE0ELNS1_11target_archE4294967295ELNS1_3gpuE0ELNS1_3repE0EEENS1_30default_config_static_selectorELNS0_4arch9wavefront6targetE1EEEvT1_,comdat
.Lfunc_end1057:
	.size	_ZN7rocprim17ROCPRIM_400000_NS6detail17trampoline_kernelINS0_14default_configENS1_29reduce_by_key_config_selectorIjsN6thrust23THRUST_200600_302600_NS4plusIsEEEEZZNS1_33reduce_by_key_impl_wrapped_configILNS1_25lookback_scan_determinismE0ES3_S9_NS6_6detail15normal_iteratorINS6_10device_ptrIjEEEENSD_INSE_IsEEEENS6_16discard_iteratorINS6_11use_defaultEEESI_PmS8_NS6_8equal_toIjEEEE10hipError_tPvRmT2_T3_mT4_T5_T6_T7_T8_P12ihipStream_tbENKUlT_T0_E_clISt17integral_constantIbLb0EES16_EEDaS11_S12_EUlS11_E_NS1_11comp_targetILNS1_3genE0ELNS1_11target_archE4294967295ELNS1_3gpuE0ELNS1_3repE0EEENS1_30default_config_static_selectorELNS0_4arch9wavefront6targetE1EEEvT1_, .Lfunc_end1057-_ZN7rocprim17ROCPRIM_400000_NS6detail17trampoline_kernelINS0_14default_configENS1_29reduce_by_key_config_selectorIjsN6thrust23THRUST_200600_302600_NS4plusIsEEEEZZNS1_33reduce_by_key_impl_wrapped_configILNS1_25lookback_scan_determinismE0ES3_S9_NS6_6detail15normal_iteratorINS6_10device_ptrIjEEEENSD_INSE_IsEEEENS6_16discard_iteratorINS6_11use_defaultEEESI_PmS8_NS6_8equal_toIjEEEE10hipError_tPvRmT2_T3_mT4_T5_T6_T7_T8_P12ihipStream_tbENKUlT_T0_E_clISt17integral_constantIbLb0EES16_EEDaS11_S12_EUlS11_E_NS1_11comp_targetILNS1_3genE0ELNS1_11target_archE4294967295ELNS1_3gpuE0ELNS1_3repE0EEENS1_30default_config_static_selectorELNS0_4arch9wavefront6targetE1EEEvT1_
                                        ; -- End function
	.section	.AMDGPU.csdata,"",@progbits
; Kernel info:
; codeLenInByte = 0
; NumSgprs: 4
; NumVgprs: 0
; NumAgprs: 0
; TotalNumVgprs: 0
; ScratchSize: 0
; MemoryBound: 0
; FloatMode: 240
; IeeeMode: 1
; LDSByteSize: 0 bytes/workgroup (compile time only)
; SGPRBlocks: 0
; VGPRBlocks: 0
; NumSGPRsForWavesPerEU: 4
; NumVGPRsForWavesPerEU: 1
; AccumOffset: 4
; Occupancy: 8
; WaveLimiterHint : 0
; COMPUTE_PGM_RSRC2:SCRATCH_EN: 0
; COMPUTE_PGM_RSRC2:USER_SGPR: 6
; COMPUTE_PGM_RSRC2:TRAP_HANDLER: 0
; COMPUTE_PGM_RSRC2:TGID_X_EN: 1
; COMPUTE_PGM_RSRC2:TGID_Y_EN: 0
; COMPUTE_PGM_RSRC2:TGID_Z_EN: 0
; COMPUTE_PGM_RSRC2:TIDIG_COMP_CNT: 0
; COMPUTE_PGM_RSRC3_GFX90A:ACCUM_OFFSET: 0
; COMPUTE_PGM_RSRC3_GFX90A:TG_SPLIT: 0
	.section	.text._ZN7rocprim17ROCPRIM_400000_NS6detail17trampoline_kernelINS0_14default_configENS1_29reduce_by_key_config_selectorIjsN6thrust23THRUST_200600_302600_NS4plusIsEEEEZZNS1_33reduce_by_key_impl_wrapped_configILNS1_25lookback_scan_determinismE0ES3_S9_NS6_6detail15normal_iteratorINS6_10device_ptrIjEEEENSD_INSE_IsEEEENS6_16discard_iteratorINS6_11use_defaultEEESI_PmS8_NS6_8equal_toIjEEEE10hipError_tPvRmT2_T3_mT4_T5_T6_T7_T8_P12ihipStream_tbENKUlT_T0_E_clISt17integral_constantIbLb0EES16_EEDaS11_S12_EUlS11_E_NS1_11comp_targetILNS1_3genE5ELNS1_11target_archE942ELNS1_3gpuE9ELNS1_3repE0EEENS1_30default_config_static_selectorELNS0_4arch9wavefront6targetE1EEEvT1_,"axG",@progbits,_ZN7rocprim17ROCPRIM_400000_NS6detail17trampoline_kernelINS0_14default_configENS1_29reduce_by_key_config_selectorIjsN6thrust23THRUST_200600_302600_NS4plusIsEEEEZZNS1_33reduce_by_key_impl_wrapped_configILNS1_25lookback_scan_determinismE0ES3_S9_NS6_6detail15normal_iteratorINS6_10device_ptrIjEEEENSD_INSE_IsEEEENS6_16discard_iteratorINS6_11use_defaultEEESI_PmS8_NS6_8equal_toIjEEEE10hipError_tPvRmT2_T3_mT4_T5_T6_T7_T8_P12ihipStream_tbENKUlT_T0_E_clISt17integral_constantIbLb0EES16_EEDaS11_S12_EUlS11_E_NS1_11comp_targetILNS1_3genE5ELNS1_11target_archE942ELNS1_3gpuE9ELNS1_3repE0EEENS1_30default_config_static_selectorELNS0_4arch9wavefront6targetE1EEEvT1_,comdat
	.protected	_ZN7rocprim17ROCPRIM_400000_NS6detail17trampoline_kernelINS0_14default_configENS1_29reduce_by_key_config_selectorIjsN6thrust23THRUST_200600_302600_NS4plusIsEEEEZZNS1_33reduce_by_key_impl_wrapped_configILNS1_25lookback_scan_determinismE0ES3_S9_NS6_6detail15normal_iteratorINS6_10device_ptrIjEEEENSD_INSE_IsEEEENS6_16discard_iteratorINS6_11use_defaultEEESI_PmS8_NS6_8equal_toIjEEEE10hipError_tPvRmT2_T3_mT4_T5_T6_T7_T8_P12ihipStream_tbENKUlT_T0_E_clISt17integral_constantIbLb0EES16_EEDaS11_S12_EUlS11_E_NS1_11comp_targetILNS1_3genE5ELNS1_11target_archE942ELNS1_3gpuE9ELNS1_3repE0EEENS1_30default_config_static_selectorELNS0_4arch9wavefront6targetE1EEEvT1_ ; -- Begin function _ZN7rocprim17ROCPRIM_400000_NS6detail17trampoline_kernelINS0_14default_configENS1_29reduce_by_key_config_selectorIjsN6thrust23THRUST_200600_302600_NS4plusIsEEEEZZNS1_33reduce_by_key_impl_wrapped_configILNS1_25lookback_scan_determinismE0ES3_S9_NS6_6detail15normal_iteratorINS6_10device_ptrIjEEEENSD_INSE_IsEEEENS6_16discard_iteratorINS6_11use_defaultEEESI_PmS8_NS6_8equal_toIjEEEE10hipError_tPvRmT2_T3_mT4_T5_T6_T7_T8_P12ihipStream_tbENKUlT_T0_E_clISt17integral_constantIbLb0EES16_EEDaS11_S12_EUlS11_E_NS1_11comp_targetILNS1_3genE5ELNS1_11target_archE942ELNS1_3gpuE9ELNS1_3repE0EEENS1_30default_config_static_selectorELNS0_4arch9wavefront6targetE1EEEvT1_
	.globl	_ZN7rocprim17ROCPRIM_400000_NS6detail17trampoline_kernelINS0_14default_configENS1_29reduce_by_key_config_selectorIjsN6thrust23THRUST_200600_302600_NS4plusIsEEEEZZNS1_33reduce_by_key_impl_wrapped_configILNS1_25lookback_scan_determinismE0ES3_S9_NS6_6detail15normal_iteratorINS6_10device_ptrIjEEEENSD_INSE_IsEEEENS6_16discard_iteratorINS6_11use_defaultEEESI_PmS8_NS6_8equal_toIjEEEE10hipError_tPvRmT2_T3_mT4_T5_T6_T7_T8_P12ihipStream_tbENKUlT_T0_E_clISt17integral_constantIbLb0EES16_EEDaS11_S12_EUlS11_E_NS1_11comp_targetILNS1_3genE5ELNS1_11target_archE942ELNS1_3gpuE9ELNS1_3repE0EEENS1_30default_config_static_selectorELNS0_4arch9wavefront6targetE1EEEvT1_
	.p2align	8
	.type	_ZN7rocprim17ROCPRIM_400000_NS6detail17trampoline_kernelINS0_14default_configENS1_29reduce_by_key_config_selectorIjsN6thrust23THRUST_200600_302600_NS4plusIsEEEEZZNS1_33reduce_by_key_impl_wrapped_configILNS1_25lookback_scan_determinismE0ES3_S9_NS6_6detail15normal_iteratorINS6_10device_ptrIjEEEENSD_INSE_IsEEEENS6_16discard_iteratorINS6_11use_defaultEEESI_PmS8_NS6_8equal_toIjEEEE10hipError_tPvRmT2_T3_mT4_T5_T6_T7_T8_P12ihipStream_tbENKUlT_T0_E_clISt17integral_constantIbLb0EES16_EEDaS11_S12_EUlS11_E_NS1_11comp_targetILNS1_3genE5ELNS1_11target_archE942ELNS1_3gpuE9ELNS1_3repE0EEENS1_30default_config_static_selectorELNS0_4arch9wavefront6targetE1EEEvT1_,@function
_ZN7rocprim17ROCPRIM_400000_NS6detail17trampoline_kernelINS0_14default_configENS1_29reduce_by_key_config_selectorIjsN6thrust23THRUST_200600_302600_NS4plusIsEEEEZZNS1_33reduce_by_key_impl_wrapped_configILNS1_25lookback_scan_determinismE0ES3_S9_NS6_6detail15normal_iteratorINS6_10device_ptrIjEEEENSD_INSE_IsEEEENS6_16discard_iteratorINS6_11use_defaultEEESI_PmS8_NS6_8equal_toIjEEEE10hipError_tPvRmT2_T3_mT4_T5_T6_T7_T8_P12ihipStream_tbENKUlT_T0_E_clISt17integral_constantIbLb0EES16_EEDaS11_S12_EUlS11_E_NS1_11comp_targetILNS1_3genE5ELNS1_11target_archE942ELNS1_3gpuE9ELNS1_3repE0EEENS1_30default_config_static_selectorELNS0_4arch9wavefront6targetE1EEEvT1_: ; @_ZN7rocprim17ROCPRIM_400000_NS6detail17trampoline_kernelINS0_14default_configENS1_29reduce_by_key_config_selectorIjsN6thrust23THRUST_200600_302600_NS4plusIsEEEEZZNS1_33reduce_by_key_impl_wrapped_configILNS1_25lookback_scan_determinismE0ES3_S9_NS6_6detail15normal_iteratorINS6_10device_ptrIjEEEENSD_INSE_IsEEEENS6_16discard_iteratorINS6_11use_defaultEEESI_PmS8_NS6_8equal_toIjEEEE10hipError_tPvRmT2_T3_mT4_T5_T6_T7_T8_P12ihipStream_tbENKUlT_T0_E_clISt17integral_constantIbLb0EES16_EEDaS11_S12_EUlS11_E_NS1_11comp_targetILNS1_3genE5ELNS1_11target_archE942ELNS1_3gpuE9ELNS1_3repE0EEENS1_30default_config_static_selectorELNS0_4arch9wavefront6targetE1EEEvT1_
; %bb.0:
	.section	.rodata,"a",@progbits
	.p2align	6, 0x0
	.amdhsa_kernel _ZN7rocprim17ROCPRIM_400000_NS6detail17trampoline_kernelINS0_14default_configENS1_29reduce_by_key_config_selectorIjsN6thrust23THRUST_200600_302600_NS4plusIsEEEEZZNS1_33reduce_by_key_impl_wrapped_configILNS1_25lookback_scan_determinismE0ES3_S9_NS6_6detail15normal_iteratorINS6_10device_ptrIjEEEENSD_INSE_IsEEEENS6_16discard_iteratorINS6_11use_defaultEEESI_PmS8_NS6_8equal_toIjEEEE10hipError_tPvRmT2_T3_mT4_T5_T6_T7_T8_P12ihipStream_tbENKUlT_T0_E_clISt17integral_constantIbLb0EES16_EEDaS11_S12_EUlS11_E_NS1_11comp_targetILNS1_3genE5ELNS1_11target_archE942ELNS1_3gpuE9ELNS1_3repE0EEENS1_30default_config_static_selectorELNS0_4arch9wavefront6targetE1EEEvT1_
		.amdhsa_group_segment_fixed_size 0
		.amdhsa_private_segment_fixed_size 0
		.amdhsa_kernarg_size 128
		.amdhsa_user_sgpr_count 6
		.amdhsa_user_sgpr_private_segment_buffer 1
		.amdhsa_user_sgpr_dispatch_ptr 0
		.amdhsa_user_sgpr_queue_ptr 0
		.amdhsa_user_sgpr_kernarg_segment_ptr 1
		.amdhsa_user_sgpr_dispatch_id 0
		.amdhsa_user_sgpr_flat_scratch_init 0
		.amdhsa_user_sgpr_kernarg_preload_length 0
		.amdhsa_user_sgpr_kernarg_preload_offset 0
		.amdhsa_user_sgpr_private_segment_size 0
		.amdhsa_uses_dynamic_stack 0
		.amdhsa_system_sgpr_private_segment_wavefront_offset 0
		.amdhsa_system_sgpr_workgroup_id_x 1
		.amdhsa_system_sgpr_workgroup_id_y 0
		.amdhsa_system_sgpr_workgroup_id_z 0
		.amdhsa_system_sgpr_workgroup_info 0
		.amdhsa_system_vgpr_workitem_id 0
		.amdhsa_next_free_vgpr 1
		.amdhsa_next_free_sgpr 0
		.amdhsa_accum_offset 4
		.amdhsa_reserve_vcc 0
		.amdhsa_reserve_flat_scratch 0
		.amdhsa_float_round_mode_32 0
		.amdhsa_float_round_mode_16_64 0
		.amdhsa_float_denorm_mode_32 3
		.amdhsa_float_denorm_mode_16_64 3
		.amdhsa_dx10_clamp 1
		.amdhsa_ieee_mode 1
		.amdhsa_fp16_overflow 0
		.amdhsa_tg_split 0
		.amdhsa_exception_fp_ieee_invalid_op 0
		.amdhsa_exception_fp_denorm_src 0
		.amdhsa_exception_fp_ieee_div_zero 0
		.amdhsa_exception_fp_ieee_overflow 0
		.amdhsa_exception_fp_ieee_underflow 0
		.amdhsa_exception_fp_ieee_inexact 0
		.amdhsa_exception_int_div_zero 0
	.end_amdhsa_kernel
	.section	.text._ZN7rocprim17ROCPRIM_400000_NS6detail17trampoline_kernelINS0_14default_configENS1_29reduce_by_key_config_selectorIjsN6thrust23THRUST_200600_302600_NS4plusIsEEEEZZNS1_33reduce_by_key_impl_wrapped_configILNS1_25lookback_scan_determinismE0ES3_S9_NS6_6detail15normal_iteratorINS6_10device_ptrIjEEEENSD_INSE_IsEEEENS6_16discard_iteratorINS6_11use_defaultEEESI_PmS8_NS6_8equal_toIjEEEE10hipError_tPvRmT2_T3_mT4_T5_T6_T7_T8_P12ihipStream_tbENKUlT_T0_E_clISt17integral_constantIbLb0EES16_EEDaS11_S12_EUlS11_E_NS1_11comp_targetILNS1_3genE5ELNS1_11target_archE942ELNS1_3gpuE9ELNS1_3repE0EEENS1_30default_config_static_selectorELNS0_4arch9wavefront6targetE1EEEvT1_,"axG",@progbits,_ZN7rocprim17ROCPRIM_400000_NS6detail17trampoline_kernelINS0_14default_configENS1_29reduce_by_key_config_selectorIjsN6thrust23THRUST_200600_302600_NS4plusIsEEEEZZNS1_33reduce_by_key_impl_wrapped_configILNS1_25lookback_scan_determinismE0ES3_S9_NS6_6detail15normal_iteratorINS6_10device_ptrIjEEEENSD_INSE_IsEEEENS6_16discard_iteratorINS6_11use_defaultEEESI_PmS8_NS6_8equal_toIjEEEE10hipError_tPvRmT2_T3_mT4_T5_T6_T7_T8_P12ihipStream_tbENKUlT_T0_E_clISt17integral_constantIbLb0EES16_EEDaS11_S12_EUlS11_E_NS1_11comp_targetILNS1_3genE5ELNS1_11target_archE942ELNS1_3gpuE9ELNS1_3repE0EEENS1_30default_config_static_selectorELNS0_4arch9wavefront6targetE1EEEvT1_,comdat
.Lfunc_end1058:
	.size	_ZN7rocprim17ROCPRIM_400000_NS6detail17trampoline_kernelINS0_14default_configENS1_29reduce_by_key_config_selectorIjsN6thrust23THRUST_200600_302600_NS4plusIsEEEEZZNS1_33reduce_by_key_impl_wrapped_configILNS1_25lookback_scan_determinismE0ES3_S9_NS6_6detail15normal_iteratorINS6_10device_ptrIjEEEENSD_INSE_IsEEEENS6_16discard_iteratorINS6_11use_defaultEEESI_PmS8_NS6_8equal_toIjEEEE10hipError_tPvRmT2_T3_mT4_T5_T6_T7_T8_P12ihipStream_tbENKUlT_T0_E_clISt17integral_constantIbLb0EES16_EEDaS11_S12_EUlS11_E_NS1_11comp_targetILNS1_3genE5ELNS1_11target_archE942ELNS1_3gpuE9ELNS1_3repE0EEENS1_30default_config_static_selectorELNS0_4arch9wavefront6targetE1EEEvT1_, .Lfunc_end1058-_ZN7rocprim17ROCPRIM_400000_NS6detail17trampoline_kernelINS0_14default_configENS1_29reduce_by_key_config_selectorIjsN6thrust23THRUST_200600_302600_NS4plusIsEEEEZZNS1_33reduce_by_key_impl_wrapped_configILNS1_25lookback_scan_determinismE0ES3_S9_NS6_6detail15normal_iteratorINS6_10device_ptrIjEEEENSD_INSE_IsEEEENS6_16discard_iteratorINS6_11use_defaultEEESI_PmS8_NS6_8equal_toIjEEEE10hipError_tPvRmT2_T3_mT4_T5_T6_T7_T8_P12ihipStream_tbENKUlT_T0_E_clISt17integral_constantIbLb0EES16_EEDaS11_S12_EUlS11_E_NS1_11comp_targetILNS1_3genE5ELNS1_11target_archE942ELNS1_3gpuE9ELNS1_3repE0EEENS1_30default_config_static_selectorELNS0_4arch9wavefront6targetE1EEEvT1_
                                        ; -- End function
	.section	.AMDGPU.csdata,"",@progbits
; Kernel info:
; codeLenInByte = 0
; NumSgprs: 4
; NumVgprs: 0
; NumAgprs: 0
; TotalNumVgprs: 0
; ScratchSize: 0
; MemoryBound: 0
; FloatMode: 240
; IeeeMode: 1
; LDSByteSize: 0 bytes/workgroup (compile time only)
; SGPRBlocks: 0
; VGPRBlocks: 0
; NumSGPRsForWavesPerEU: 4
; NumVGPRsForWavesPerEU: 1
; AccumOffset: 4
; Occupancy: 8
; WaveLimiterHint : 0
; COMPUTE_PGM_RSRC2:SCRATCH_EN: 0
; COMPUTE_PGM_RSRC2:USER_SGPR: 6
; COMPUTE_PGM_RSRC2:TRAP_HANDLER: 0
; COMPUTE_PGM_RSRC2:TGID_X_EN: 1
; COMPUTE_PGM_RSRC2:TGID_Y_EN: 0
; COMPUTE_PGM_RSRC2:TGID_Z_EN: 0
; COMPUTE_PGM_RSRC2:TIDIG_COMP_CNT: 0
; COMPUTE_PGM_RSRC3_GFX90A:ACCUM_OFFSET: 0
; COMPUTE_PGM_RSRC3_GFX90A:TG_SPLIT: 0
	.section	.text._ZN7rocprim17ROCPRIM_400000_NS6detail17trampoline_kernelINS0_14default_configENS1_29reduce_by_key_config_selectorIjsN6thrust23THRUST_200600_302600_NS4plusIsEEEEZZNS1_33reduce_by_key_impl_wrapped_configILNS1_25lookback_scan_determinismE0ES3_S9_NS6_6detail15normal_iteratorINS6_10device_ptrIjEEEENSD_INSE_IsEEEENS6_16discard_iteratorINS6_11use_defaultEEESI_PmS8_NS6_8equal_toIjEEEE10hipError_tPvRmT2_T3_mT4_T5_T6_T7_T8_P12ihipStream_tbENKUlT_T0_E_clISt17integral_constantIbLb0EES16_EEDaS11_S12_EUlS11_E_NS1_11comp_targetILNS1_3genE4ELNS1_11target_archE910ELNS1_3gpuE8ELNS1_3repE0EEENS1_30default_config_static_selectorELNS0_4arch9wavefront6targetE1EEEvT1_,"axG",@progbits,_ZN7rocprim17ROCPRIM_400000_NS6detail17trampoline_kernelINS0_14default_configENS1_29reduce_by_key_config_selectorIjsN6thrust23THRUST_200600_302600_NS4plusIsEEEEZZNS1_33reduce_by_key_impl_wrapped_configILNS1_25lookback_scan_determinismE0ES3_S9_NS6_6detail15normal_iteratorINS6_10device_ptrIjEEEENSD_INSE_IsEEEENS6_16discard_iteratorINS6_11use_defaultEEESI_PmS8_NS6_8equal_toIjEEEE10hipError_tPvRmT2_T3_mT4_T5_T6_T7_T8_P12ihipStream_tbENKUlT_T0_E_clISt17integral_constantIbLb0EES16_EEDaS11_S12_EUlS11_E_NS1_11comp_targetILNS1_3genE4ELNS1_11target_archE910ELNS1_3gpuE8ELNS1_3repE0EEENS1_30default_config_static_selectorELNS0_4arch9wavefront6targetE1EEEvT1_,comdat
	.protected	_ZN7rocprim17ROCPRIM_400000_NS6detail17trampoline_kernelINS0_14default_configENS1_29reduce_by_key_config_selectorIjsN6thrust23THRUST_200600_302600_NS4plusIsEEEEZZNS1_33reduce_by_key_impl_wrapped_configILNS1_25lookback_scan_determinismE0ES3_S9_NS6_6detail15normal_iteratorINS6_10device_ptrIjEEEENSD_INSE_IsEEEENS6_16discard_iteratorINS6_11use_defaultEEESI_PmS8_NS6_8equal_toIjEEEE10hipError_tPvRmT2_T3_mT4_T5_T6_T7_T8_P12ihipStream_tbENKUlT_T0_E_clISt17integral_constantIbLb0EES16_EEDaS11_S12_EUlS11_E_NS1_11comp_targetILNS1_3genE4ELNS1_11target_archE910ELNS1_3gpuE8ELNS1_3repE0EEENS1_30default_config_static_selectorELNS0_4arch9wavefront6targetE1EEEvT1_ ; -- Begin function _ZN7rocprim17ROCPRIM_400000_NS6detail17trampoline_kernelINS0_14default_configENS1_29reduce_by_key_config_selectorIjsN6thrust23THRUST_200600_302600_NS4plusIsEEEEZZNS1_33reduce_by_key_impl_wrapped_configILNS1_25lookback_scan_determinismE0ES3_S9_NS6_6detail15normal_iteratorINS6_10device_ptrIjEEEENSD_INSE_IsEEEENS6_16discard_iteratorINS6_11use_defaultEEESI_PmS8_NS6_8equal_toIjEEEE10hipError_tPvRmT2_T3_mT4_T5_T6_T7_T8_P12ihipStream_tbENKUlT_T0_E_clISt17integral_constantIbLb0EES16_EEDaS11_S12_EUlS11_E_NS1_11comp_targetILNS1_3genE4ELNS1_11target_archE910ELNS1_3gpuE8ELNS1_3repE0EEENS1_30default_config_static_selectorELNS0_4arch9wavefront6targetE1EEEvT1_
	.globl	_ZN7rocprim17ROCPRIM_400000_NS6detail17trampoline_kernelINS0_14default_configENS1_29reduce_by_key_config_selectorIjsN6thrust23THRUST_200600_302600_NS4plusIsEEEEZZNS1_33reduce_by_key_impl_wrapped_configILNS1_25lookback_scan_determinismE0ES3_S9_NS6_6detail15normal_iteratorINS6_10device_ptrIjEEEENSD_INSE_IsEEEENS6_16discard_iteratorINS6_11use_defaultEEESI_PmS8_NS6_8equal_toIjEEEE10hipError_tPvRmT2_T3_mT4_T5_T6_T7_T8_P12ihipStream_tbENKUlT_T0_E_clISt17integral_constantIbLb0EES16_EEDaS11_S12_EUlS11_E_NS1_11comp_targetILNS1_3genE4ELNS1_11target_archE910ELNS1_3gpuE8ELNS1_3repE0EEENS1_30default_config_static_selectorELNS0_4arch9wavefront6targetE1EEEvT1_
	.p2align	8
	.type	_ZN7rocprim17ROCPRIM_400000_NS6detail17trampoline_kernelINS0_14default_configENS1_29reduce_by_key_config_selectorIjsN6thrust23THRUST_200600_302600_NS4plusIsEEEEZZNS1_33reduce_by_key_impl_wrapped_configILNS1_25lookback_scan_determinismE0ES3_S9_NS6_6detail15normal_iteratorINS6_10device_ptrIjEEEENSD_INSE_IsEEEENS6_16discard_iteratorINS6_11use_defaultEEESI_PmS8_NS6_8equal_toIjEEEE10hipError_tPvRmT2_T3_mT4_T5_T6_T7_T8_P12ihipStream_tbENKUlT_T0_E_clISt17integral_constantIbLb0EES16_EEDaS11_S12_EUlS11_E_NS1_11comp_targetILNS1_3genE4ELNS1_11target_archE910ELNS1_3gpuE8ELNS1_3repE0EEENS1_30default_config_static_selectorELNS0_4arch9wavefront6targetE1EEEvT1_,@function
_ZN7rocprim17ROCPRIM_400000_NS6detail17trampoline_kernelINS0_14default_configENS1_29reduce_by_key_config_selectorIjsN6thrust23THRUST_200600_302600_NS4plusIsEEEEZZNS1_33reduce_by_key_impl_wrapped_configILNS1_25lookback_scan_determinismE0ES3_S9_NS6_6detail15normal_iteratorINS6_10device_ptrIjEEEENSD_INSE_IsEEEENS6_16discard_iteratorINS6_11use_defaultEEESI_PmS8_NS6_8equal_toIjEEEE10hipError_tPvRmT2_T3_mT4_T5_T6_T7_T8_P12ihipStream_tbENKUlT_T0_E_clISt17integral_constantIbLb0EES16_EEDaS11_S12_EUlS11_E_NS1_11comp_targetILNS1_3genE4ELNS1_11target_archE910ELNS1_3gpuE8ELNS1_3repE0EEENS1_30default_config_static_selectorELNS0_4arch9wavefront6targetE1EEEvT1_: ; @_ZN7rocprim17ROCPRIM_400000_NS6detail17trampoline_kernelINS0_14default_configENS1_29reduce_by_key_config_selectorIjsN6thrust23THRUST_200600_302600_NS4plusIsEEEEZZNS1_33reduce_by_key_impl_wrapped_configILNS1_25lookback_scan_determinismE0ES3_S9_NS6_6detail15normal_iteratorINS6_10device_ptrIjEEEENSD_INSE_IsEEEENS6_16discard_iteratorINS6_11use_defaultEEESI_PmS8_NS6_8equal_toIjEEEE10hipError_tPvRmT2_T3_mT4_T5_T6_T7_T8_P12ihipStream_tbENKUlT_T0_E_clISt17integral_constantIbLb0EES16_EEDaS11_S12_EUlS11_E_NS1_11comp_targetILNS1_3genE4ELNS1_11target_archE910ELNS1_3gpuE8ELNS1_3repE0EEENS1_30default_config_static_selectorELNS0_4arch9wavefront6targetE1EEEvT1_
; %bb.0:
	s_load_dwordx4 s[0:3], s[4:5], 0x0
	s_load_dwordx2 s[8:9], s[4:5], 0x10
	s_load_dwordx2 s[50:51], s[4:5], 0x70
	s_load_dwordx4 s[44:47], s[4:5], 0x60
	s_load_dwordx8 s[36:43], s[4:5], 0x40
	s_waitcnt lgkmcnt(0)
	s_lshl_b64 s[10:11], s[2:3], 2
	s_add_u32 s7, s0, s10
	s_addc_u32 s10, s1, s11
	s_lshl_b64 s[0:1], s[2:3], 1
	s_add_u32 s8, s8, s0
	s_addc_u32 s9, s9, s1
	s_mul_i32 s0, s40, s39
	s_mul_hi_u32 s1, s40, s38
	s_add_i32 s0, s1, s0
	s_mul_i32 s1, s41, s38
	s_add_i32 s11, s0, s1
	s_mul_i32 s0, s6, 0xf00
	s_mov_b32 s1, 0
	s_lshl_b64 s[2:3], s[0:1], 2
	s_add_u32 s7, s7, s2
	s_addc_u32 s58, s10, s3
	s_lshl_b64 s[0:1], s[0:1], 1
	s_add_u32 s56, s8, s0
	s_mul_i32 s12, s40, s38
	s_addc_u32 s57, s9, s1
	s_add_u32 s52, s12, s6
	s_addc_u32 s53, s11, 0
	s_add_u32 s2, s42, -1
	s_addc_u32 s3, s43, -1
	s_cmp_eq_u64 s[52:53], s[2:3]
	s_cselect_b64 s[48:49], -1, 0
	s_cmp_lg_u64 s[52:53], s[2:3]
	s_mov_b64 s[0:1], -1
	s_cselect_b64 s[54:55], -1, 0
	s_mul_i32 s33, s2, 0xfffff100
	s_and_b64 vcc, exec, s[48:49]
	v_lshlrev_b32_e32 v81, 2, v0
	v_mad_u32_u24 v4, v0, 15, 1
	v_mad_u32_u24 v6, v0, 15, 2
	;; [unrolled: 1-line block ×14, first 2 shown]
	s_cbranch_vccnz .LBB1059_2
; %bb.1:
	v_mov_b32_e32 v1, s58
	v_add_co_u32_e32 v10, vcc, s7, v81
	v_addc_co_u32_e32 v11, vcc, 0, v1, vcc
	v_add_co_u32_e32 v12, vcc, 0x1000, v10
	v_addc_co_u32_e32 v13, vcc, 0, v11, vcc
	flat_load_dword v1, v[10:11]
	flat_load_dword v3, v[10:11] offset:1024
	flat_load_dword v5, v[10:11] offset:2048
	;; [unrolled: 1-line block ×3, first 2 shown]
	flat_load_dword v9, v[12:13]
	flat_load_dword v14, v[12:13] offset:1024
	flat_load_dword v15, v[12:13] offset:2048
	flat_load_dword v16, v[12:13] offset:3072
	v_add_co_u32_e32 v12, vcc, 0x2000, v10
	v_addc_co_u32_e32 v13, vcc, 0, v11, vcc
	v_add_co_u32_e32 v10, vcc, 0x3000, v10
	v_addc_co_u32_e32 v11, vcc, 0, v11, vcc
	flat_load_dword v17, v[12:13]
	flat_load_dword v18, v[12:13] offset:1024
	flat_load_dword v19, v[12:13] offset:2048
	;; [unrolled: 1-line block ×3, first 2 shown]
	flat_load_dword v21, v[10:11]
	flat_load_dword v22, v[10:11] offset:1024
	flat_load_dword v23, v[10:11] offset:2048
	v_lshlrev_b32_e32 v10, 1, v0
	v_mov_b32_e32 v11, s57
	v_add_co_u32_e32 v44, vcc, s56, v10
	s_movk_i32 s0, 0x1000
	v_addc_co_u32_e32 v45, vcc, 0, v11, vcc
	v_mad_u32_u24 v25, v0, 56, v81
	v_add_co_u32_e32 v46, vcc, s0, v44
	v_addc_co_u32_e32 v47, vcc, 0, v45, vcc
	s_movk_i32 s0, 0xffc6
	s_waitcnt vmcnt(0) lgkmcnt(0)
	ds_write2st64_b32 v81, v1, v3 offset1:4
	ds_write2st64_b32 v81, v5, v7 offset0:8 offset1:12
	ds_write2st64_b32 v81, v9, v14 offset0:16 offset1:20
	;; [unrolled: 1-line block ×6, first 2 shown]
	ds_write_b32 v81, v23 offset:14336
	s_waitcnt lgkmcnt(0)
	s_barrier
	ds_read2_b32 v[22:23], v25 offset1:1
	ds_read2_b32 v[20:21], v25 offset0:2 offset1:3
	ds_read2_b32 v[18:19], v25 offset0:4 offset1:5
	ds_read2_b32 v[16:17], v25 offset0:6 offset1:7
	ds_read2_b32 v[14:15], v25 offset0:8 offset1:9
	ds_read2_b32 v[12:13], v25 offset0:10 offset1:11
	ds_read2_b32 v[10:11], v25 offset0:12 offset1:13
	ds_read_b32 v1, v25 offset:56
	s_waitcnt lgkmcnt(0)
	s_barrier
	flat_load_ushort v5, v[44:45]
	flat_load_ushort v7, v[44:45] offset:512
	flat_load_ushort v9, v[44:45] offset:1024
	;; [unrolled: 1-line block ×7, first 2 shown]
	flat_load_ushort v37, v[46:47]
	flat_load_ushort v39, v[46:47] offset:512
	flat_load_ushort v41, v[46:47] offset:1024
	;; [unrolled: 1-line block ×6, first 2 shown]
	v_mul_u32_u24_e32 v3, 15, v0
	v_mad_i32_i24 v25, v0, s0, v25
	v_mov_b32_e32 v50, v22
	v_mov_b32_e32 v51, v20
	;; [unrolled: 1-line block ×7, first 2 shown]
	s_mov_b64 s[0:1], 0
	s_waitcnt vmcnt(0) lgkmcnt(0)
	ds_write_b16 v25, v5
	ds_write_b16 v25, v7 offset:512
	ds_write_b16 v25, v9 offset:1024
	;; [unrolled: 1-line block ×14, first 2 shown]
	s_waitcnt lgkmcnt(0)
	s_barrier
	s_branch .LBB1059_3
.LBB1059_2:
                                        ; implicit-def: $vgpr1
                                        ; implicit-def: $vgpr10
                                        ; implicit-def: $vgpr12
                                        ; implicit-def: $vgpr14
                                        ; implicit-def: $vgpr16
                                        ; implicit-def: $vgpr18
                                        ; implicit-def: $vgpr20
                                        ; implicit-def: $vgpr22
                                        ; implicit-def: $vgpr3
                                        ; implicit-def: $vgpr44_vgpr45
                                        ; implicit-def: $vgpr46_vgpr47
                                        ; implicit-def: $vgpr50_vgpr51
                                        ; implicit-def: $vgpr48_vgpr49
.LBB1059_3:
	s_add_i32 s33, s33, s44
	s_andn2_b64 vcc, exec, s[0:1]
	v_mov_b32_e32 v5, v2
	v_mov_b32_e32 v9, v42
	;; [unrolled: 1-line block ×14, first 2 shown]
	s_cbranch_vccnz .LBB1059_65
; %bb.4:
	v_cmp_gt_u32_e32 vcc, s33, v0
                                        ; implicit-def: $vgpr1
	s_and_saveexec_b64 s[2:3], vcc
	s_cbranch_execz .LBB1059_6
; %bb.5:
	v_mov_b32_e32 v1, s58
	v_add_co_u32_e64 v10, s[0:1], s7, v81
	v_addc_co_u32_e64 v11, s[0:1], 0, v1, s[0:1]
	flat_load_dword v1, v[10:11]
.LBB1059_6:
	s_or_b64 exec, exec, s[2:3]
	v_or_b32_e32 v3, 0x100, v0
	v_cmp_gt_u32_e64 s[0:1], s33, v3
                                        ; implicit-def: $vgpr7
	s_and_saveexec_b64 s[8:9], s[0:1]
	s_cbranch_execz .LBB1059_8
; %bb.7:
	v_mov_b32_e32 v3, s58
	v_add_co_u32_e64 v10, s[2:3], s7, v81
	v_addc_co_u32_e64 v11, s[2:3], 0, v3, s[2:3]
	flat_load_dword v7, v[10:11] offset:1024
.LBB1059_8:
	s_or_b64 exec, exec, s[8:9]
	v_or_b32_e32 v3, 0x200, v0
	v_cmp_gt_u32_e64 s[2:3], s33, v3
                                        ; implicit-def: $vgpr10
	s_and_saveexec_b64 s[10:11], s[2:3]
	s_cbranch_execz .LBB1059_10
; %bb.9:
	v_mov_b32_e32 v3, s58
	v_add_co_u32_e64 v10, s[8:9], s7, v81
	v_addc_co_u32_e64 v11, s[8:9], 0, v3, s[8:9]
	flat_load_dword v10, v[10:11] offset:2048
.LBB1059_10:
	s_or_b64 exec, exec, s[10:11]
	v_or_b32_e32 v3, 0x300, v0
	v_cmp_gt_u32_e64 s[30:31], s33, v3
                                        ; implicit-def: $vgpr11
	s_and_saveexec_b64 s[10:11], s[30:31]
	s_cbranch_execz .LBB1059_12
; %bb.11:
	v_mov_b32_e32 v3, s58
	v_add_co_u32_e64 v12, s[8:9], s7, v81
	v_addc_co_u32_e64 v13, s[8:9], 0, v3, s[8:9]
	flat_load_dword v11, v[12:13] offset:3072
.LBB1059_12:
	s_or_b64 exec, exec, s[10:11]
	v_or_b32_e32 v3, 0x400, v0
	v_cmp_gt_u32_e64 s[8:9], s33, v3
                                        ; implicit-def: $vgpr12
	s_and_saveexec_b64 s[12:13], s[8:9]
	s_cbranch_execz .LBB1059_14
; %bb.13:
	v_lshlrev_b32_e32 v3, 2, v3
	v_mov_b32_e32 v5, s58
	v_add_co_u32_e64 v12, s[10:11], s7, v3
	v_addc_co_u32_e64 v13, s[10:11], 0, v5, s[10:11]
	flat_load_dword v12, v[12:13]
.LBB1059_14:
	s_or_b64 exec, exec, s[12:13]
	v_or_b32_e32 v3, 0x500, v0
	v_cmp_gt_u32_e64 s[10:11], s33, v3
                                        ; implicit-def: $vgpr13
	s_and_saveexec_b64 s[14:15], s[10:11]
	s_cbranch_execz .LBB1059_16
; %bb.15:
	v_lshlrev_b32_e32 v3, 2, v3
	v_mov_b32_e32 v5, s58
	v_add_co_u32_e64 v14, s[12:13], s7, v3
	v_addc_co_u32_e64 v15, s[12:13], 0, v5, s[12:13]
	flat_load_dword v13, v[14:15]
.LBB1059_16:
	s_or_b64 exec, exec, s[14:15]
	v_or_b32_e32 v3, 0x600, v0
	v_cmp_gt_u32_e64 s[12:13], s33, v3
                                        ; implicit-def: $vgpr14
	s_and_saveexec_b64 s[16:17], s[12:13]
	s_cbranch_execz .LBB1059_18
; %bb.17:
	v_lshlrev_b32_e32 v3, 2, v3
	v_mov_b32_e32 v5, s58
	v_add_co_u32_e64 v14, s[14:15], s7, v3
	v_addc_co_u32_e64 v15, s[14:15], 0, v5, s[14:15]
	flat_load_dword v14, v[14:15]
.LBB1059_18:
	s_or_b64 exec, exec, s[16:17]
	v_or_b32_e32 v3, 0x700, v0
	v_cmp_gt_u32_e64 s[14:15], s33, v3
                                        ; implicit-def: $vgpr15
	s_and_saveexec_b64 s[18:19], s[14:15]
	s_cbranch_execz .LBB1059_20
; %bb.19:
	v_lshlrev_b32_e32 v3, 2, v3
	v_mov_b32_e32 v5, s58
	v_add_co_u32_e64 v16, s[16:17], s7, v3
	v_addc_co_u32_e64 v17, s[16:17], 0, v5, s[16:17]
	flat_load_dword v15, v[16:17]
.LBB1059_20:
	s_or_b64 exec, exec, s[18:19]
	v_or_b32_e32 v3, 0x800, v0
	v_cmp_gt_u32_e64 s[16:17], s33, v3
                                        ; implicit-def: $vgpr16
	s_and_saveexec_b64 s[20:21], s[16:17]
	s_cbranch_execz .LBB1059_22
; %bb.21:
	v_lshlrev_b32_e32 v5, 2, v3
	v_mov_b32_e32 v9, s58
	v_add_co_u32_e64 v16, s[18:19], s7, v5
	v_addc_co_u32_e64 v17, s[18:19], 0, v9, s[18:19]
	flat_load_dword v16, v[16:17]
.LBB1059_22:
	s_or_b64 exec, exec, s[20:21]
	v_or_b32_e32 v5, 0x900, v0
	v_cmp_gt_u32_e64 s[18:19], s33, v5
                                        ; implicit-def: $vgpr17
	s_and_saveexec_b64 s[22:23], s[18:19]
	s_cbranch_execz .LBB1059_24
; %bb.23:
	v_lshlrev_b32_e32 v9, 2, v5
	v_mov_b32_e32 v17, s58
	v_add_co_u32_e64 v18, s[20:21], s7, v9
	v_addc_co_u32_e64 v19, s[20:21], 0, v17, s[20:21]
	flat_load_dword v17, v[18:19]
.LBB1059_24:
	s_or_b64 exec, exec, s[22:23]
	v_or_b32_e32 v9, 0xa00, v0
	v_cmp_gt_u32_e64 s[20:21], s33, v9
                                        ; implicit-def: $vgpr18
	s_and_saveexec_b64 s[24:25], s[20:21]
	s_cbranch_execz .LBB1059_26
; %bb.25:
	v_lshlrev_b32_e32 v18, 2, v9
	v_mov_b32_e32 v19, s58
	v_add_co_u32_e64 v18, s[22:23], s7, v18
	v_addc_co_u32_e64 v19, s[22:23], 0, v19, s[22:23]
	flat_load_dword v18, v[18:19]
.LBB1059_26:
	s_or_b64 exec, exec, s[24:25]
	v_or_b32_e32 v25, 0xb00, v0
	v_cmp_gt_u32_e64 s[22:23], s33, v25
                                        ; implicit-def: $vgpr19
	s_and_saveexec_b64 s[26:27], s[22:23]
	s_cbranch_execz .LBB1059_28
; %bb.27:
	v_lshlrev_b32_e32 v19, 2, v25
	v_mov_b32_e32 v21, s58
	v_add_co_u32_e64 v20, s[24:25], s7, v19
	v_addc_co_u32_e64 v21, s[24:25], 0, v21, s[24:25]
	flat_load_dword v19, v[20:21]
.LBB1059_28:
	s_or_b64 exec, exec, s[26:27]
	v_or_b32_e32 v27, 0xc00, v0
	v_cmp_gt_u32_e64 s[24:25], s33, v27
                                        ; implicit-def: $vgpr20
	s_and_saveexec_b64 s[28:29], s[24:25]
	s_cbranch_execz .LBB1059_30
; %bb.29:
	v_lshlrev_b32_e32 v20, 2, v27
	v_mov_b32_e32 v21, s58
	v_add_co_u32_e64 v20, s[26:27], s7, v20
	v_addc_co_u32_e64 v21, s[26:27], 0, v21, s[26:27]
	flat_load_dword v20, v[20:21]
.LBB1059_30:
	s_or_b64 exec, exec, s[28:29]
	v_or_b32_e32 v29, 0xd00, v0
	v_cmp_gt_u32_e64 s[26:27], s33, v29
                                        ; implicit-def: $vgpr21
	s_and_saveexec_b64 s[34:35], s[26:27]
	s_cbranch_execz .LBB1059_32
; %bb.31:
	v_lshlrev_b32_e32 v21, 2, v29
	v_mov_b32_e32 v23, s58
	v_add_co_u32_e64 v22, s[28:29], s7, v21
	v_addc_co_u32_e64 v23, s[28:29], 0, v23, s[28:29]
	flat_load_dword v21, v[22:23]
.LBB1059_32:
	s_or_b64 exec, exec, s[34:35]
	v_or_b32_e32 v31, 0xe00, v0
	v_cmp_gt_u32_e64 s[28:29], s33, v31
                                        ; implicit-def: $vgpr22
	s_and_saveexec_b64 s[40:41], s[28:29]
	s_cbranch_execz .LBB1059_34
; %bb.33:
	v_lshlrev_b32_e32 v22, 2, v31
	v_mov_b32_e32 v23, s58
	v_add_co_u32_e64 v22, s[34:35], s7, v22
	v_addc_co_u32_e64 v23, s[34:35], 0, v23, s[34:35]
	flat_load_dword v22, v[22:23]
.LBB1059_34:
	s_or_b64 exec, exec, s[40:41]
	s_waitcnt vmcnt(0) lgkmcnt(0)
	ds_write2st64_b32 v81, v1, v7 offset1:4
	ds_write2st64_b32 v81, v10, v11 offset0:8 offset1:12
	ds_write2st64_b32 v81, v12, v13 offset0:16 offset1:20
	;; [unrolled: 1-line block ×6, first 2 shown]
	ds_write_b32 v81, v22 offset:14336
	v_mad_u32_u24 v7, v0, 56, v81
	s_waitcnt lgkmcnt(0)
	s_barrier
	ds_read2_b32 v[22:23], v7 offset1:1
	ds_read2_b32 v[20:21], v7 offset0:2 offset1:3
	ds_read2_b32 v[18:19], v7 offset0:4 offset1:5
	;; [unrolled: 1-line block ×6, first 2 shown]
	ds_read_b32 v1, v7 offset:56
	s_waitcnt lgkmcnt(0)
	s_barrier
	s_waitcnt lgkmcnt(0)
                                        ; implicit-def: $vgpr33
	s_and_saveexec_b64 s[34:35], vcc
	s_cbranch_execz .LBB1059_48
; %bb.35:
	v_lshlrev_b32_e32 v33, 1, v0
	v_mov_b32_e32 v35, s57
	v_add_co_u32_e32 v44, vcc, s56, v33
	v_addc_co_u32_e32 v45, vcc, 0, v35, vcc
	flat_load_ushort v33, v[44:45]
	s_or_b64 exec, exec, s[34:35]
                                        ; implicit-def: $vgpr35
	s_and_saveexec_b64 s[34:35], s[0:1]
	s_cbranch_execnz .LBB1059_49
.LBB1059_36:
	s_or_b64 exec, exec, s[34:35]
                                        ; implicit-def: $vgpr37
	s_and_saveexec_b64 s[0:1], s[2:3]
	s_cbranch_execz .LBB1059_50
.LBB1059_37:
	v_lshlrev_b32_e32 v37, 1, v0
	v_mov_b32_e32 v39, s57
	v_add_co_u32_e32 v44, vcc, s56, v37
	v_addc_co_u32_e32 v45, vcc, 0, v39, vcc
	flat_load_ushort v37, v[44:45] offset:1024
	s_or_b64 exec, exec, s[0:1]
                                        ; implicit-def: $vgpr39
	s_and_saveexec_b64 s[0:1], s[30:31]
	s_cbranch_execnz .LBB1059_51
.LBB1059_38:
	s_or_b64 exec, exec, s[0:1]
                                        ; implicit-def: $vgpr41
	s_and_saveexec_b64 s[0:1], s[8:9]
	s_cbranch_execz .LBB1059_52
.LBB1059_39:
	v_lshlrev_b32_e32 v41, 1, v0
	v_mov_b32_e32 v43, s57
	v_add_co_u32_e32 v44, vcc, s56, v41
	v_addc_co_u32_e32 v45, vcc, 0, v43, vcc
	flat_load_ushort v41, v[44:45] offset:2048
	s_or_b64 exec, exec, s[0:1]
                                        ; implicit-def: $vgpr43
	s_and_saveexec_b64 s[0:1], s[10:11]
	s_cbranch_execnz .LBB1059_53
.LBB1059_40:
	s_or_b64 exec, exec, s[0:1]
                                        ; implicit-def: $vgpr44
	s_and_saveexec_b64 s[0:1], s[12:13]
	s_cbranch_execz .LBB1059_54
.LBB1059_41:
	v_lshlrev_b32_e32 v44, 1, v0
	v_mov_b32_e32 v45, s57
	v_add_co_u32_e32 v44, vcc, s56, v44
	v_addc_co_u32_e32 v45, vcc, 0, v45, vcc
	flat_load_ushort v44, v[44:45] offset:3072
	s_or_b64 exec, exec, s[0:1]
                                        ; implicit-def: $vgpr45
	s_and_saveexec_b64 s[0:1], s[14:15]
	s_cbranch_execnz .LBB1059_55
.LBB1059_42:
	s_or_b64 exec, exec, s[0:1]
                                        ; implicit-def: $vgpr46
	s_and_saveexec_b64 s[0:1], s[16:17]
	s_cbranch_execz .LBB1059_56
.LBB1059_43:
	v_lshlrev_b32_e32 v3, 1, v3
	v_mov_b32_e32 v47, s57
	v_add_co_u32_e32 v46, vcc, s56, v3
	v_addc_co_u32_e32 v47, vcc, 0, v47, vcc
	flat_load_ushort v46, v[46:47]
	s_or_b64 exec, exec, s[0:1]
                                        ; implicit-def: $vgpr47
	s_and_saveexec_b64 s[0:1], s[18:19]
	s_cbranch_execnz .LBB1059_57
.LBB1059_44:
	s_or_b64 exec, exec, s[0:1]
                                        ; implicit-def: $vgpr48
	s_and_saveexec_b64 s[0:1], s[20:21]
	s_cbranch_execz .LBB1059_58
.LBB1059_45:
	v_lshlrev_b32_e32 v3, 1, v9
	v_mov_b32_e32 v5, s57
	v_add_co_u32_e32 v48, vcc, s56, v3
	v_addc_co_u32_e32 v49, vcc, 0, v5, vcc
	flat_load_ushort v48, v[48:49]
	s_or_b64 exec, exec, s[0:1]
                                        ; implicit-def: $vgpr50
	s_and_saveexec_b64 s[0:1], s[22:23]
	s_cbranch_execnz .LBB1059_59
.LBB1059_46:
	s_or_b64 exec, exec, s[0:1]
                                        ; implicit-def: $vgpr51
	s_and_saveexec_b64 s[0:1], s[24:25]
	s_cbranch_execz .LBB1059_60
.LBB1059_47:
	v_lshlrev_b32_e32 v3, 1, v27
	v_mov_b32_e32 v5, s57
	v_add_co_u32_e32 v52, vcc, s56, v3
	v_addc_co_u32_e32 v53, vcc, 0, v5, vcc
	flat_load_ushort v51, v[52:53]
	s_or_b64 exec, exec, s[0:1]
                                        ; implicit-def: $vgpr59
	s_and_saveexec_b64 s[0:1], s[26:27]
	s_cbranch_execz .LBB1059_62
	s_branch .LBB1059_61
.LBB1059_48:
	s_or_b64 exec, exec, s[34:35]
                                        ; implicit-def: $vgpr35
	s_and_saveexec_b64 s[34:35], s[0:1]
	s_cbranch_execz .LBB1059_36
.LBB1059_49:
	v_lshlrev_b32_e32 v35, 1, v0
	v_mov_b32_e32 v37, s57
	v_add_co_u32_e32 v44, vcc, s56, v35
	v_addc_co_u32_e32 v45, vcc, 0, v37, vcc
	flat_load_ushort v35, v[44:45] offset:512
	s_or_b64 exec, exec, s[34:35]
                                        ; implicit-def: $vgpr37
	s_and_saveexec_b64 s[0:1], s[2:3]
	s_cbranch_execnz .LBB1059_37
.LBB1059_50:
	s_or_b64 exec, exec, s[0:1]
                                        ; implicit-def: $vgpr39
	s_and_saveexec_b64 s[0:1], s[30:31]
	s_cbranch_execz .LBB1059_38
.LBB1059_51:
	v_lshlrev_b32_e32 v39, 1, v0
	v_mov_b32_e32 v41, s57
	v_add_co_u32_e32 v44, vcc, s56, v39
	v_addc_co_u32_e32 v45, vcc, 0, v41, vcc
	flat_load_ushort v39, v[44:45] offset:1536
	s_or_b64 exec, exec, s[0:1]
                                        ; implicit-def: $vgpr41
	s_and_saveexec_b64 s[0:1], s[8:9]
	s_cbranch_execnz .LBB1059_39
.LBB1059_52:
	s_or_b64 exec, exec, s[0:1]
                                        ; implicit-def: $vgpr43
	s_and_saveexec_b64 s[0:1], s[10:11]
	s_cbranch_execz .LBB1059_40
.LBB1059_53:
	v_lshlrev_b32_e32 v43, 1, v0
	v_mov_b32_e32 v45, s57
	v_add_co_u32_e32 v44, vcc, s56, v43
	v_addc_co_u32_e32 v45, vcc, 0, v45, vcc
	flat_load_ushort v43, v[44:45] offset:2560
	s_or_b64 exec, exec, s[0:1]
                                        ; implicit-def: $vgpr44
	s_and_saveexec_b64 s[0:1], s[12:13]
	s_cbranch_execnz .LBB1059_41
.LBB1059_54:
	s_or_b64 exec, exec, s[0:1]
                                        ; implicit-def: $vgpr45
	s_and_saveexec_b64 s[0:1], s[14:15]
	s_cbranch_execz .LBB1059_42
.LBB1059_55:
	v_lshlrev_b32_e32 v45, 1, v0
	v_mov_b32_e32 v47, s57
	v_add_co_u32_e32 v46, vcc, s56, v45
	v_addc_co_u32_e32 v47, vcc, 0, v47, vcc
	flat_load_ushort v45, v[46:47] offset:3584
	s_or_b64 exec, exec, s[0:1]
                                        ; implicit-def: $vgpr46
	s_and_saveexec_b64 s[0:1], s[16:17]
	s_cbranch_execnz .LBB1059_43
.LBB1059_56:
	s_or_b64 exec, exec, s[0:1]
                                        ; implicit-def: $vgpr47
	s_and_saveexec_b64 s[0:1], s[18:19]
	s_cbranch_execz .LBB1059_44
.LBB1059_57:
	v_lshlrev_b32_e32 v3, 1, v5
	v_mov_b32_e32 v5, s57
	v_add_co_u32_e32 v48, vcc, s56, v3
	v_addc_co_u32_e32 v49, vcc, 0, v5, vcc
	flat_load_ushort v47, v[48:49]
	s_or_b64 exec, exec, s[0:1]
                                        ; implicit-def: $vgpr48
	s_and_saveexec_b64 s[0:1], s[20:21]
	s_cbranch_execnz .LBB1059_45
.LBB1059_58:
	s_or_b64 exec, exec, s[0:1]
                                        ; implicit-def: $vgpr50
	s_and_saveexec_b64 s[0:1], s[22:23]
	s_cbranch_execz .LBB1059_46
.LBB1059_59:
	v_lshlrev_b32_e32 v3, 1, v25
	v_mov_b32_e32 v5, s57
	v_add_co_u32_e32 v50, vcc, s56, v3
	v_addc_co_u32_e32 v51, vcc, 0, v5, vcc
	flat_load_ushort v50, v[50:51]
	s_or_b64 exec, exec, s[0:1]
                                        ; implicit-def: $vgpr51
	s_and_saveexec_b64 s[0:1], s[24:25]
	s_cbranch_execnz .LBB1059_47
.LBB1059_60:
	s_or_b64 exec, exec, s[0:1]
                                        ; implicit-def: $vgpr59
	s_and_saveexec_b64 s[0:1], s[26:27]
	s_cbranch_execz .LBB1059_62
.LBB1059_61:
	v_lshlrev_b32_e32 v3, 1, v29
	v_mov_b32_e32 v5, s57
	v_add_co_u32_e32 v52, vcc, s56, v3
	v_addc_co_u32_e32 v53, vcc, 0, v5, vcc
	flat_load_ushort v59, v[52:53]
.LBB1059_62:
	s_or_b64 exec, exec, s[0:1]
	v_mul_u32_u24_e32 v3, 15, v0
                                        ; implicit-def: $vgpr60
	s_and_saveexec_b64 s[0:1], s[28:29]
	s_cbranch_execz .LBB1059_64
; %bb.63:
	v_lshlrev_b32_e32 v5, 1, v31
	v_mov_b32_e32 v9, s57
	v_add_co_u32_e32 v52, vcc, s56, v5
	v_addc_co_u32_e32 v53, vcc, 0, v9, vcc
	flat_load_ushort v60, v[52:53]
.LBB1059_64:
	s_or_b64 exec, exec, s[0:1]
	s_movk_i32 s0, 0xffc6
	v_mad_i32_i24 v7, v0, s0, v7
	v_add_u32_e32 v58, 1, v3
	v_add_u32_e32 v57, 2, v3
	v_add_u32_e32 v56, 3, v3
	v_add_u32_e32 v55, 4, v3
	v_add_u32_e32 v54, 5, v3
	v_add_u32_e32 v53, 6, v3
	v_add_u32_e32 v52, 7, v3
	v_add_u32_e32 v49, 8, v3
	v_add_u32_e32 v31, 9, v3
	v_add_u32_e32 v29, 10, v3
	v_add_u32_e32 v27, 11, v3
	v_add_u32_e32 v25, 12, v3
	v_add_u32_e32 v9, 13, v3
	v_add_u32_e32 v5, 14, v3
	s_waitcnt vmcnt(0) lgkmcnt(0)
	ds_write_b16 v7, v33
	ds_write_b16 v7, v35 offset:512
	ds_write_b16 v7, v37 offset:1024
	;; [unrolled: 1-line block ×14, first 2 shown]
	v_mov_b32_e32 v50, v22
	v_mov_b32_e32 v51, v20
	v_mov_b32_e32 v46, v18
	v_mov_b32_e32 v47, v16
	v_mov_b32_e32 v44, v14
	v_mov_b32_e32 v45, v12
	v_mov_b32_e32 v48, v10
	s_waitcnt lgkmcnt(0)
	s_barrier
.LBB1059_65:
	v_lshlrev_b32_e32 v3, 1, v3
	v_lshlrev_b32_e32 v7, 1, v58
	;; [unrolled: 1-line block ×8, first 2 shown]
	ds_read_u16 v79, v3
	ds_read_u16 v78, v7
	;; [unrolled: 1-line block ×8, first 2 shown]
	v_lshlrev_b32_e32 v3, 1, v49
	v_lshlrev_b32_e32 v7, 1, v31
	;; [unrolled: 1-line block ×7, first 2 shown]
	ds_read_u16 v77, v3
	ds_read_u16 v75, v7
	;; [unrolled: 1-line block ×7, first 2 shown]
	s_load_dwordx4 s[40:43], s[4:5], 0x28
	s_cmp_eq_u64 s[52:53], 0
	s_cselect_b64 s[34:35], -1, 0
	s_cmp_lg_u64 s[52:53], 0
	s_mov_b64 s[56:57], 0
	s_cselect_b64 s[2:3], -1, 0
	s_and_b64 vcc, exec, s[54:55]
	s_waitcnt lgkmcnt(0)
	s_barrier
	s_cbranch_vccz .LBB1059_71
; %bb.66:
	s_and_b64 vcc, exec, s[2:3]
	s_cbranch_vccz .LBB1059_132
; %bb.67:
	v_mov_b32_e32 v3, s58
	v_add_co_u32_e64 v52, vcc, -4, s7
	v_addc_co_u32_e32 v53, vcc, -1, v3, vcc
	flat_load_dword v3, v[52:53]
	v_cmp_ne_u32_e32 vcc, 0, v0
	ds_write_b32 v81, v1
	s_waitcnt lgkmcnt(0)
	s_barrier
	s_and_saveexec_b64 s[0:1], vcc
	s_cbranch_execz .LBB1059_69
; %bb.68:
	s_waitcnt vmcnt(0)
	v_add_u32_e32 v3, -4, v81
	ds_read_b32 v3, v3
.LBB1059_69:
	s_or_b64 exec, exec, s[0:1]
	v_cmp_ne_u32_e32 vcc, v50, v23
	v_cndmask_b32_e64 v65, 0, 1, vcc
	v_cmp_ne_u32_e32 vcc, v51, v23
	v_cndmask_b32_e64 v64, 0, 1, vcc
	;; [unrolled: 2-line block ×14, first 2 shown]
	s_waitcnt vmcnt(0) lgkmcnt(0)
	v_cmp_ne_u32_e64 s[0:1], v3, v22
	s_mov_b64 s[56:57], -1
.LBB1059_70:
                                        ; implicit-def: $sgpr8
	s_branch .LBB1059_72
.LBB1059_71:
                                        ; implicit-def: $sgpr0_sgpr1
                                        ; implicit-def: $vgpr52
                                        ; implicit-def: $vgpr53
                                        ; implicit-def: $vgpr54
                                        ; implicit-def: $vgpr55
                                        ; implicit-def: $vgpr56
                                        ; implicit-def: $vgpr57
                                        ; implicit-def: $vgpr58
                                        ; implicit-def: $vgpr59
                                        ; implicit-def: $vgpr60
                                        ; implicit-def: $vgpr61
                                        ; implicit-def: $vgpr62
                                        ; implicit-def: $vgpr63
                                        ; implicit-def: $vgpr64
                                        ; implicit-def: $vgpr65
                                        ; implicit-def: $sgpr8
	s_cbranch_execnz .LBB1059_136
.LBB1059_72:
	v_mov_b32_e32 v82, s8
	s_and_saveexec_b64 s[2:3], s[56:57]
.LBB1059_73:
	v_cndmask_b32_e64 v82, 0, 1, s[0:1]
.LBB1059_74:
	s_or_b64 exec, exec, s[2:3]
	s_cmp_eq_u64 s[38:39], 0
	v_add3_u32 v2, v65, v82, v64
	s_cselect_b64 s[30:31], -1, 0
	s_cmp_lg_u32 s6, 0
	v_cmp_eq_u32_e64 s[24:25], 0, v65
	v_cmp_eq_u32_e64 s[22:23], 0, v64
	;; [unrolled: 1-line block ×3, first 2 shown]
	v_add3_u32 v86, v2, v63, v62
	v_cmp_eq_u32_e64 s[18:19], 0, v62
	v_cmp_eq_u32_e64 s[16:17], 0, v61
	;; [unrolled: 1-line block ×10, first 2 shown]
	v_cmp_eq_u32_e32 vcc, 0, v52
	v_mbcnt_lo_u32_b32 v85, -1, 0
	v_lshrrev_b32_e32 v83, 6, v0
	v_or_b32_e32 v84, 63, v0
	s_cbranch_scc0 .LBB1059_101
; %bb.75:
	v_cndmask_b32_e64 v2, 0, v79, s[24:25]
	v_add_u16_e32 v2, v2, v78
	v_cndmask_b32_e64 v2, 0, v2, s[22:23]
	v_add_u16_e32 v2, v2, v76
	;; [unrolled: 2-line block ×11, first 2 shown]
	v_cndmask_b32_e64 v2, 0, v2, s[2:3]
	v_add3_u32 v3, v86, v61, v60
	v_add_u16_e32 v2, v2, v69
	v_add3_u32 v3, v3, v59, v58
	v_cndmask_b32_e64 v2, 0, v2, s[0:1]
	v_add3_u32 v3, v3, v57, v56
	v_add_u16_e32 v2, v2, v66
	v_add3_u32 v3, v3, v55, v54
	v_cndmask_b32_e32 v2, 0, v2, vcc
	v_add3_u32 v3, v3, v53, v52
	v_add_u16_e32 v2, v2, v80
	v_mbcnt_hi_u32_b32 v25, -1, v85
	v_and_b32_e32 v4, 15, v25
	v_mov_b32_dpp v6, v2 row_shr:1 row_mask:0xf bank_mask:0xf
	v_cmp_eq_u32_e32 vcc, 0, v3
	v_mov_b32_dpp v5, v3 row_shr:1 row_mask:0xf bank_mask:0xf
	v_cndmask_b32_e32 v6, 0, v6, vcc
	v_cmp_eq_u32_e32 vcc, 0, v4
	v_add_u16_e32 v6, v6, v2
	v_cndmask_b32_e64 v5, v5, 0, vcc
	v_add_u32_e32 v3, v5, v3
	v_cndmask_b32_e32 v2, v6, v2, vcc
	v_cmp_eq_u32_e32 vcc, 0, v3
	v_mov_b32_dpp v5, v3 row_shr:2 row_mask:0xf bank_mask:0xf
	v_mov_b32_dpp v6, v2 row_shr:2 row_mask:0xf bank_mask:0xf
	v_cndmask_b32_e32 v6, 0, v6, vcc
	v_cmp_lt_u32_e32 vcc, 1, v4
	v_add_u16_e32 v6, v6, v2
	v_cndmask_b32_e32 v5, 0, v5, vcc
	v_cndmask_b32_e32 v2, v2, v6, vcc
	v_add_u32_e32 v3, v3, v5
	v_cmp_eq_u32_e32 vcc, 0, v3
	v_mov_b32_dpp v6, v2 row_shr:4 row_mask:0xf bank_mask:0xf
	v_mov_b32_dpp v5, v3 row_shr:4 row_mask:0xf bank_mask:0xf
	v_cndmask_b32_e32 v6, 0, v6, vcc
	v_cmp_lt_u32_e32 vcc, 3, v4
	v_add_u16_e32 v6, v6, v2
	v_cndmask_b32_e32 v5, 0, v5, vcc
	v_cndmask_b32_e32 v2, v2, v6, vcc
	v_add_u32_e32 v3, v5, v3
	;; [unrolled: 9-line block ×3, first 2 shown]
	v_bfe_i32 v6, v25, 4, 1
	v_mov_b32_dpp v5, v2 row_bcast:15 row_mask:0xf bank_mask:0xf
	v_mov_b32_dpp v4, v3 row_bcast:15 row_mask:0xf bank_mask:0xf
	v_cmp_eq_u32_e32 vcc, 0, v3
	v_and_b32_e32 v7, 16, v25
	v_cndmask_b32_e32 v5, 0, v5, vcc
	v_and_b32_e32 v4, v6, v4
	v_add_u16_e32 v5, v5, v2
	v_add_u32_e32 v3, v4, v3
	v_cmp_eq_u32_e32 vcc, 0, v7
	v_cndmask_b32_e32 v4, v5, v2, vcc
	v_mov_b32_dpp v2, v3 row_bcast:31 row_mask:0xf bank_mask:0xf
	v_cmp_eq_u32_e32 vcc, 0, v3
	v_cmp_lt_u32_e64 s[26:27], 31, v25
	v_mov_b32_dpp v5, v4 row_bcast:31 row_mask:0xf bank_mask:0xf
	v_cndmask_b32_e64 v2, 0, v2, s[26:27]
	s_and_b64 vcc, s[26:27], vcc
	v_add_u32_e32 v2, v2, v3
	v_cndmask_b32_e32 v3, 0, v5, vcc
	v_add_u16_e32 v3, v3, v4
	v_cmp_eq_u32_e32 vcc, v84, v0
	v_lshlrev_b32_e32 v4, 3, v83
	s_and_saveexec_b64 s[26:27], vcc
	s_cbranch_execz .LBB1059_77
; %bb.76:
	ds_write_b32 v4, v2 offset:2064
	ds_write_b16 v4, v3 offset:2068
.LBB1059_77:
	s_or_b64 exec, exec, s[26:27]
	v_cmp_gt_u32_e32 vcc, 4, v0
	s_waitcnt lgkmcnt(0)
	s_barrier
	s_and_saveexec_b64 s[38:39], vcc
	s_cbranch_execz .LBB1059_79
; %bb.78:
	v_lshlrev_b32_e32 v5, 3, v0
	ds_read_b64 v[6:7], v5 offset:2064
	v_and_b32_e32 v8, 3, v25
	s_mov_b32 s7, 0xffff0000
	v_cmp_lt_u32_e64 s[26:27], 1, v8
	s_waitcnt lgkmcnt(0)
	v_mov_b32_dpp v24, v7 row_shr:1 row_mask:0xf bank_mask:0xf
	v_cmp_eq_u32_e32 vcc, 0, v6
	v_mov_b32_dpp v9, v6 row_shr:1 row_mask:0xf bank_mask:0xf
	v_cndmask_b32_e32 v24, 0, v24, vcc
	v_cmp_eq_u32_e32 vcc, 0, v8
	v_add_u16_e32 v24, v24, v7
	v_cndmask_b32_e64 v9, v9, 0, vcc
	v_and_or_b32 v26, v7, s7, v24
	v_add_u32_e32 v6, v9, v6
	v_cndmask_b32_e32 v9, v24, v7, vcc
	v_cndmask_b32_e32 v7, v26, v7, vcc
	v_mov_b32_dpp v24, v6 row_shr:2 row_mask:0xf bank_mask:0xf
	v_cmp_eq_u32_e32 vcc, 0, v6
	v_mov_b32_dpp v7, v7 row_shr:2 row_mask:0xf bank_mask:0xf
	v_cndmask_b32_e64 v8, 0, v24, s[26:27]
	s_and_b64 vcc, s[26:27], vcc
	v_add_u32_e32 v6, v8, v6
	v_cndmask_b32_e32 v7, 0, v7, vcc
	v_add_u16_e32 v7, v9, v7
	ds_write_b32 v5, v6 offset:2064
	ds_write_b16 v5, v7 offset:2068
.LBB1059_79:
	s_or_b64 exec, exec, s[38:39]
	v_cmp_gt_u32_e32 vcc, 64, v0
	v_cmp_lt_u32_e64 s[26:27], 63, v0
	v_mov_b32_e32 v28, 0
	v_mov_b32_e32 v29, 0
	s_waitcnt lgkmcnt(0)
	s_barrier
	s_and_saveexec_b64 s[38:39], s[26:27]
	s_cbranch_execz .LBB1059_81
; %bb.80:
	ds_read_b32 v28, v4 offset:2056
	ds_read_u16 v29, v4 offset:2060
	v_cmp_eq_u32_e64 s[26:27], 0, v2
	s_waitcnt lgkmcnt(1)
	v_add_u32_e32 v4, v28, v2
	s_waitcnt lgkmcnt(0)
	v_cndmask_b32_e64 v2, 0, v29, s[26:27]
	v_add_u16_e32 v3, v2, v3
	v_mov_b32_e32 v2, v4
.LBB1059_81:
	s_or_b64 exec, exec, s[38:39]
	v_add_u32_e32 v4, -1, v25
	v_and_b32_e32 v5, 64, v25
	v_cmp_lt_i32_e64 s[26:27], v4, v5
	v_cndmask_b32_e64 v4, v4, v25, s[26:27]
	v_and_b32_e32 v3, 0xffff, v3
	v_lshlrev_b32_e32 v4, 2, v4
	ds_bpermute_b32 v30, v4, v2
	ds_bpermute_b32 v31, v4, v3
	v_cmp_eq_u32_e64 s[26:27], 0, v25
	s_and_saveexec_b64 s[38:39], vcc
	s_cbranch_execz .LBB1059_100
; %bb.82:
	v_mov_b32_e32 v5, 0
	ds_read_b64 v[2:3], v5 offset:2088
	s_waitcnt lgkmcnt(0)
	v_readfirstlane_b32 s7, v3
	s_and_saveexec_b64 s[44:45], s[26:27]
	s_cbranch_execz .LBB1059_84
; %bb.83:
	s_add_i32 s52, s6, 64
	s_mov_b32 s53, 0
	s_lshl_b64 s[54:55], s[52:53], 4
	s_add_u32 s54, s36, s54
	s_addc_u32 s55, s37, s55
	s_and_b32 s57, s7, 0xff000000
	s_mov_b32 s56, s53
	s_and_b32 s59, s7, 0xff0000
	s_mov_b32 s58, s53
	s_or_b64 s[56:57], s[58:59], s[56:57]
	s_and_b32 s59, s7, 0xff00
	s_or_b64 s[56:57], s[56:57], s[58:59]
	s_and_b32 s59, s7, 0xff
	s_or_b64 s[52:53], s[56:57], s[58:59]
	v_mov_b32_e32 v3, s53
	v_mov_b32_e32 v4, 1
	v_pk_mov_b32 v[6:7], s[54:55], s[54:55] op_sel:[0,1]
	;;#ASMSTART
	global_store_dwordx4 v[6:7], v[2:5] off	
s_waitcnt vmcnt(0)
	;;#ASMEND
.LBB1059_84:
	s_or_b64 exec, exec, s[44:45]
	v_xad_u32 v24, v25, -1, s6
	v_add_u32_e32 v4, 64, v24
	v_lshlrev_b64 v[6:7], 4, v[4:5]
	v_mov_b32_e32 v3, s37
	v_add_co_u32_e32 v26, vcc, s36, v6
	v_addc_co_u32_e32 v27, vcc, v3, v7, vcc
	;;#ASMSTART
	global_load_dwordx4 v[6:9], v[26:27] off glc	
s_waitcnt vmcnt(0)
	;;#ASMEND
	v_and_b32_e32 v3, 0xffffff, v6
	v_and_b32_e32 v4, 0xff000000, v6
	v_or_b32_e32 v3, v3, v4
	v_and_b32_e32 v4, 0xff, v7
	v_and_b32_e32 v6, 0xff00, v7
	v_or3_b32 v7, 0, v4, v6
	v_or3_b32 v6, v3, 0, 0
	v_cmp_eq_u16_sdwa s[52:53], v8, v5 src0_sel:BYTE_0 src1_sel:DWORD
	s_and_saveexec_b64 s[44:45], s[52:53]
	s_cbranch_execz .LBB1059_88
; %bb.85:
	s_mov_b64 s[52:53], 0
	v_mov_b32_e32 v3, 0
.LBB1059_86:                            ; =>This Inner Loop Header: Depth=1
	;;#ASMSTART
	global_load_dwordx4 v[6:9], v[26:27] off glc	
s_waitcnt vmcnt(0)
	;;#ASMEND
	v_cmp_ne_u16_sdwa s[54:55], v8, v3 src0_sel:BYTE_0 src1_sel:DWORD
	s_or_b64 s[52:53], s[54:55], s[52:53]
	s_andn2_b64 exec, exec, s[52:53]
	s_cbranch_execnz .LBB1059_86
; %bb.87:
	s_or_b64 exec, exec, s[52:53]
	v_and_b32_e32 v7, 0xffff, v7
.LBB1059_88:
	s_or_b64 exec, exec, s[44:45]
	v_mov_b32_e32 v3, 2
	v_and_b32_e32 v32, 63, v25
	v_cmp_eq_u16_sdwa s[44:45], v8, v3 src0_sel:BYTE_0 src1_sel:DWORD
	v_lshlrev_b64 v[4:5], v25, -1
	v_cmp_ne_u32_e32 vcc, 63, v32
	v_and_b32_e32 v9, s45, v5
	v_addc_co_u32_e32 v27, vcc, 0, v25, vcc
	v_or_b32_e32 v9, 0x80000000, v9
	v_lshlrev_b32_e32 v33, 2, v27
	v_and_b32_e32 v26, s44, v4
	v_ffbl_b32_e32 v9, v9
	ds_bpermute_b32 v27, v33, v7
	v_add_u32_e32 v9, 32, v9
	v_ffbl_b32_e32 v26, v26
	v_min_u32_e32 v9, v26, v9
	ds_bpermute_b32 v26, v33, v6
	v_cmp_eq_u32_e32 vcc, 0, v6
	s_waitcnt lgkmcnt(1)
	v_cndmask_b32_e32 v27, 0, v27, vcc
	v_add_u16_e32 v27, v27, v7
	v_cmp_lt_u32_e32 vcc, v32, v9
	v_cndmask_b32_e32 v7, v7, v27, vcc
	s_waitcnt lgkmcnt(0)
	v_cndmask_b32_e32 v26, 0, v26, vcc
	v_cmp_gt_u32_e32 vcc, 62, v32
	v_cndmask_b32_e64 v27, 0, 1, vcc
	v_lshlrev_b32_e32 v27, 1, v27
	v_add_lshl_u32 v34, v27, v25, 2
	ds_bpermute_b32 v27, v34, v7
	v_add_u32_e32 v6, v26, v6
	ds_bpermute_b32 v26, v34, v6
	v_cmp_eq_u32_e32 vcc, 0, v6
	v_add_u32_e32 v35, 2, v32
	s_waitcnt lgkmcnt(1)
	v_cndmask_b32_e32 v27, 0, v27, vcc
	v_add_u16_e32 v27, v27, v7
	v_cmp_gt_u32_e32 vcc, v35, v9
	v_cndmask_b32_e32 v7, v27, v7, vcc
	s_waitcnt lgkmcnt(0)
	v_cndmask_b32_e64 v26, v26, 0, vcc
	v_cmp_gt_u32_e32 vcc, 60, v32
	v_cndmask_b32_e64 v27, 0, 1, vcc
	v_lshlrev_b32_e32 v27, 2, v27
	v_add_lshl_u32 v36, v27, v25, 2
	ds_bpermute_b32 v27, v36, v7
	v_add_u32_e32 v6, v6, v26
	ds_bpermute_b32 v26, v36, v6
	v_cmp_eq_u32_e32 vcc, 0, v6
	v_add_u32_e32 v37, 4, v32
	s_waitcnt lgkmcnt(1)
	v_cndmask_b32_e32 v27, 0, v27, vcc
	v_add_u16_e32 v27, v7, v27
	v_cmp_gt_u32_e32 vcc, v37, v9
	v_cndmask_b32_e32 v7, v27, v7, vcc
	s_waitcnt lgkmcnt(0)
	v_cndmask_b32_e64 v26, v26, 0, vcc
	;; [unrolled: 16-line block ×4, first 2 shown]
	v_cmp_gt_u32_e32 vcc, 32, v32
	v_cndmask_b32_e64 v27, 0, 1, vcc
	v_lshlrev_b32_e32 v27, 5, v27
	v_add_lshl_u32 v44, v27, v25, 2
	ds_bpermute_b32 v25, v44, v7
	v_add_u32_e32 v6, v6, v26
	ds_bpermute_b32 v26, v44, v6
	v_add_u32_e32 v45, 32, v32
	v_cmp_eq_u32_e32 vcc, 0, v6
	s_waitcnt lgkmcnt(1)
	v_cndmask_b32_e32 v25, 0, v25, vcc
	v_cmp_gt_u32_e32 vcc, v45, v9
	v_cndmask_b32_e64 v9, v25, 0, vcc
	v_add_u16_e32 v7, v7, v9
	s_waitcnt lgkmcnt(0)
	v_cndmask_b32_e64 v9, v26, 0, vcc
	v_add_u32_e32 v6, v9, v6
	v_mov_b32_e32 v25, 0
	s_branch .LBB1059_90
.LBB1059_89:                            ;   in Loop: Header=BB1059_90 Depth=1
	s_or_b64 exec, exec, s[44:45]
	v_cmp_eq_u16_sdwa s[44:45], v8, v3 src0_sel:BYTE_0 src1_sel:DWORD
	ds_bpermute_b32 v27, v33, v7
	v_and_b32_e32 v9, s45, v5
	v_or_b32_e32 v9, 0x80000000, v9
	v_and_b32_e32 v26, s44, v4
	v_ffbl_b32_e32 v9, v9
	v_add_u32_e32 v9, 32, v9
	v_ffbl_b32_e32 v26, v26
	v_cmp_eq_u32_e32 vcc, 0, v6
	v_min_u32_e32 v9, v26, v9
	ds_bpermute_b32 v26, v33, v6
	s_waitcnt lgkmcnt(1)
	v_cndmask_b32_e32 v27, 0, v27, vcc
	v_add_u16_e32 v27, v27, v7
	v_cmp_lt_u32_e32 vcc, v32, v9
	v_cndmask_b32_e32 v7, v7, v27, vcc
	ds_bpermute_b32 v27, v34, v7
	s_waitcnt lgkmcnt(1)
	v_cndmask_b32_e32 v26, 0, v26, vcc
	v_add_u32_e32 v6, v26, v6
	v_cmp_eq_u32_e32 vcc, 0, v6
	ds_bpermute_b32 v26, v34, v6
	s_waitcnt lgkmcnt(1)
	v_cndmask_b32_e32 v27, 0, v27, vcc
	v_add_u16_e32 v27, v27, v7
	v_cmp_gt_u32_e32 vcc, v35, v9
	v_cndmask_b32_e32 v7, v27, v7, vcc
	ds_bpermute_b32 v27, v36, v7
	s_waitcnt lgkmcnt(1)
	v_cndmask_b32_e64 v26, v26, 0, vcc
	v_add_u32_e32 v6, v6, v26
	v_cmp_eq_u32_e32 vcc, 0, v6
	ds_bpermute_b32 v26, v36, v6
	s_waitcnt lgkmcnt(1)
	v_cndmask_b32_e32 v27, 0, v27, vcc
	v_add_u16_e32 v27, v7, v27
	v_cmp_gt_u32_e32 vcc, v37, v9
	v_cndmask_b32_e32 v7, v27, v7, vcc
	ds_bpermute_b32 v27, v38, v7
	s_waitcnt lgkmcnt(1)
	v_cndmask_b32_e64 v26, v26, 0, vcc
	v_add_u32_e32 v6, v6, v26
	ds_bpermute_b32 v26, v38, v6
	v_cmp_eq_u32_e32 vcc, 0, v6
	s_waitcnt lgkmcnt(1)
	v_cndmask_b32_e32 v27, 0, v27, vcc
	v_add_u16_e32 v27, v7, v27
	v_cmp_gt_u32_e32 vcc, v39, v9
	v_cndmask_b32_e32 v7, v27, v7, vcc
	ds_bpermute_b32 v27, v41, v7
	s_waitcnt lgkmcnt(1)
	v_cndmask_b32_e64 v26, v26, 0, vcc
	v_add_u32_e32 v6, v6, v26
	ds_bpermute_b32 v26, v41, v6
	v_cmp_eq_u32_e32 vcc, 0, v6
	;; [unrolled: 11-line block ×3, first 2 shown]
	s_waitcnt lgkmcnt(1)
	v_cndmask_b32_e32 v27, 0, v27, vcc
	v_cmp_gt_u32_e32 vcc, v45, v9
	v_cndmask_b32_e64 v9, v27, 0, vcc
	v_add_u16_e32 v7, v7, v9
	s_waitcnt lgkmcnt(0)
	v_cndmask_b32_e64 v9, v26, 0, vcc
	v_cmp_eq_u32_e32 vcc, 0, v42
	v_cndmask_b32_e32 v7, 0, v7, vcc
	v_subrev_u32_e32 v24, 64, v24
	v_add3_u32 v6, v6, v42, v9
	v_add_u16_e32 v7, v7, v40
.LBB1059_90:                            ; =>This Loop Header: Depth=1
                                        ;     Child Loop BB1059_93 Depth 2
	v_cmp_ne_u16_sdwa s[44:45], v8, v3 src0_sel:BYTE_0 src1_sel:DWORD
	v_mov_b32_e32 v40, v7
	v_cndmask_b32_e64 v7, 0, 1, s[44:45]
	;;#ASMSTART
	;;#ASMEND
	v_cmp_ne_u32_e32 vcc, 0, v7
	s_cmp_lg_u64 vcc, exec
	v_mov_b32_e32 v42, v6
	s_cbranch_scc1 .LBB1059_95
; %bb.91:                               ;   in Loop: Header=BB1059_90 Depth=1
	v_lshlrev_b64 v[6:7], 4, v[24:25]
	v_mov_b32_e32 v8, s37
	v_add_co_u32_e32 v26, vcc, s36, v6
	v_addc_co_u32_e32 v27, vcc, v8, v7, vcc
	;;#ASMSTART
	global_load_dwordx4 v[6:9], v[26:27] off glc	
s_waitcnt vmcnt(0)
	;;#ASMEND
	v_and_b32_e32 v9, 0xffffff, v6
	v_and_b32_e32 v6, 0xff000000, v6
	v_or_b32_e32 v6, v9, v6
	v_and_b32_e32 v9, 0xff, v7
	v_and_b32_e32 v7, 0xff00, v7
	v_or3_b32 v7, 0, v9, v7
	v_or3_b32 v6, v6, 0, 0
	v_cmp_eq_u16_sdwa s[52:53], v8, v25 src0_sel:BYTE_0 src1_sel:DWORD
	s_and_saveexec_b64 s[44:45], s[52:53]
	s_cbranch_execz .LBB1059_89
; %bb.92:                               ;   in Loop: Header=BB1059_90 Depth=1
	s_mov_b64 s[52:53], 0
.LBB1059_93:                            ;   Parent Loop BB1059_90 Depth=1
                                        ; =>  This Inner Loop Header: Depth=2
	;;#ASMSTART
	global_load_dwordx4 v[6:9], v[26:27] off glc	
s_waitcnt vmcnt(0)
	;;#ASMEND
	v_cmp_ne_u16_sdwa s[54:55], v8, v25 src0_sel:BYTE_0 src1_sel:DWORD
	s_or_b64 s[52:53], s[54:55], s[52:53]
	s_andn2_b64 exec, exec, s[52:53]
	s_cbranch_execnz .LBB1059_93
; %bb.94:                               ;   in Loop: Header=BB1059_90 Depth=1
	s_or_b64 exec, exec, s[52:53]
	v_and_b32_e32 v7, 0xffff, v7
	s_branch .LBB1059_89
.LBB1059_95:                            ;   in Loop: Header=BB1059_90 Depth=1
                                        ; implicit-def: $vgpr7
                                        ; implicit-def: $vgpr6
                                        ; implicit-def: $vgpr8
	s_cbranch_execz .LBB1059_90
; %bb.96:
	s_and_saveexec_b64 s[44:45], s[26:27]
	s_cbranch_execz .LBB1059_98
; %bb.97:
	s_mov_b32 s53, 0
	v_cmp_eq_u32_e32 vcc, 0, v2
	s_add_i32 s52, s6, 64
	v_cndmask_b32_e32 v3, 0, v40, vcc
	s_lshl_b64 s[52:53], s[52:53], 4
	v_add_u16_e32 v3, s7, v3
	s_add_u32 s52, s36, s52
	s_addc_u32 s53, s37, s53
	v_and_b32_e32 v5, 0xff00, v3
	v_add_u32_e32 v4, v42, v2
	v_mov_b32_e32 v7, 0
	v_or_b32_sdwa v5, v5, v3 dst_sel:DWORD dst_unused:UNUSED_PAD src0_sel:DWORD src1_sel:BYTE_0
	v_mov_b32_e32 v6, 2
	v_pk_mov_b32 v[8:9], s[52:53], s[52:53] op_sel:[0,1]
	;;#ASMSTART
	global_store_dwordx4 v[8:9], v[4:7] off	
s_waitcnt vmcnt(0)
	;;#ASMEND
	v_mov_b32_e32 v3, s7
	s_movk_i32 s6, 0x800
	ds_write_b16 v7, v3 offset:2052
	v_add_u32_e64 v3, s6, 0
	ds_write2_b32 v3, v2, v42 offset1:2
	ds_write_b16 v7, v40 offset:2060
.LBB1059_98:
	s_or_b64 exec, exec, s[44:45]
	v_cmp_eq_u32_e32 vcc, 0, v0
	s_and_b64 exec, exec, vcc
	s_cbranch_execz .LBB1059_100
; %bb.99:
	v_mov_b32_e32 v2, 0
	ds_write_b32 v2, v42 offset:2088
	ds_write_b16 v2, v40 offset:2092
.LBB1059_100:
	s_or_b64 exec, exec, s[38:39]
	v_mov_b32_e32 v4, 0
	s_waitcnt lgkmcnt(0)
	s_barrier
	ds_read_b64 v[2:3], v4 offset:2088
	v_cndmask_b32_e64 v6, v30, v28, s[26:27]
	v_cmp_eq_u32_e32 vcc, 0, v6
	v_cndmask_b32_e64 v5, v31, v29, s[26:27]
	s_waitcnt lgkmcnt(0)
	v_cndmask_b32_e32 v7, 0, v3, vcc
	v_add_u16_e32 v5, v7, v5
	v_cmp_eq_u32_e32 vcc, 0, v0
	v_cndmask_b32_e32 v3, v5, v3, vcc
	v_cndmask_b32_e64 v5, v6, 0, vcc
	v_cmp_eq_u32_e32 vcc, 0, v82
	v_add_u32_e32 v50, v2, v5
	v_cndmask_b32_e32 v2, 0, v3, vcc
	v_add_u16_e32 v49, v2, v79
	v_cndmask_b32_e64 v2, 0, v49, s[24:25]
	v_add_u16_e32 v47, v2, v78
	v_cndmask_b32_e64 v2, 0, v47, s[22:23]
	;; [unrolled: 2-line block ×6, first 2 shown]
	v_add_u16_e32 v37, v2, v68
	v_add_u32_e32 v48, v50, v82
	v_cndmask_b32_e64 v2, 0, v37, s[12:13]
	v_add_u32_e32 v46, v48, v65
	v_add_u16_e32 v35, v2, v67
	v_add_u32_e32 v44, v46, v64
	v_cndmask_b32_e64 v2, 0, v35, s[10:11]
	v_add_u32_e32 v42, v44, v63
	;; [unrolled: 4-line block ×3, first 2 shown]
	v_add_u16_e32 v31, v2, v75
	v_add_u32_e32 v36, v38, v60
	v_cndmask_b32_e64 v2, 0, v31, s[28:29]
	s_barrier
	ds_read_b128 v[4:7], v4 offset:2048
	v_add_u32_e32 v34, v36, v59
	v_add_u16_e32 v29, v2, v73
	v_add_u32_e32 v32, v34, v58
	v_cndmask_b32_e64 v2, 0, v29, s[4:5]
	v_add_u32_e32 v30, v32, v57
	v_add_u16_e32 v27, v2, v71
	v_add_u32_e32 v28, v30, v56
	v_cndmask_b32_e64 v2, 0, v27, s[2:3]
	v_add_u32_e32 v26, v28, v55
	v_add_u16_e32 v9, v2, v69
	s_waitcnt lgkmcnt(0)
	v_cmp_eq_u32_e32 vcc, 0, v4
	v_and_b32_e32 v51, 0xffff, v3
	v_add_u32_e32 v8, v26, v54
	v_cndmask_b32_e64 v3, 0, v9, s[0:1]
	v_cndmask_b32_e32 v7, 0, v7, vcc
	v_add_u32_e32 v2, v8, v53
	v_add_u16_e32 v3, v3, v66
	v_add_u32_e32 v81, v7, v5
	s_branch .LBB1059_113
.LBB1059_101:
                                        ; implicit-def: $vgpr4
                                        ; implicit-def: $vgpr81
                                        ; implicit-def: $vgpr50_vgpr51
                                        ; implicit-def: $vgpr48_vgpr49
                                        ; implicit-def: $vgpr46_vgpr47
                                        ; implicit-def: $vgpr44_vgpr45
                                        ; implicit-def: $vgpr42_vgpr43
                                        ; implicit-def: $vgpr40_vgpr41
                                        ; implicit-def: $vgpr38_vgpr39
                                        ; implicit-def: $vgpr36_vgpr37
                                        ; implicit-def: $vgpr34_vgpr35
                                        ; implicit-def: $vgpr32_vgpr33
                                        ; implicit-def: $vgpr30_vgpr31
                                        ; implicit-def: $vgpr28_vgpr29
                                        ; implicit-def: $vgpr26_vgpr27
                                        ; implicit-def: $vgpr8_vgpr9
                                        ; implicit-def: $vgpr2_vgpr3
	s_cbranch_execz .LBB1059_113
; %bb.102:
	s_and_b64 s[0:1], s[30:31], exec
	s_cselect_b32 s1, 0, s51
	s_cselect_b32 s0, 0, s50
	s_cmp_eq_u64 s[0:1], 0
	v_mov_b32_e32 v5, v79
	s_cbranch_scc1 .LBB1059_104
; %bb.103:
	v_mov_b32_e32 v2, 0
	global_load_ushort v5, v2, s[0:1]
.LBB1059_104:
	v_cmp_eq_u32_e64 s[0:1], 0, v65
	v_cndmask_b32_e64 v2, 0, v79, s[0:1]
	v_add_u16_e32 v2, v2, v78
	v_cmp_eq_u32_e64 s[2:3], 0, v64
	v_cndmask_b32_e64 v2, 0, v2, s[2:3]
	v_add_u16_e32 v2, v2, v76
	v_cmp_eq_u32_e64 s[4:5], 0, v63
	v_cndmask_b32_e64 v2, 0, v2, s[4:5]
	v_add_u16_e32 v2, v2, v74
	v_cmp_eq_u32_e64 s[6:7], 0, v62
	v_cndmask_b32_e64 v2, 0, v2, s[6:7]
	v_add_u16_e32 v2, v2, v72
	v_cmp_eq_u32_e64 s[8:9], 0, v61
	v_cndmask_b32_e64 v2, 0, v2, s[8:9]
	v_add_u16_e32 v2, v2, v70
	v_cmp_eq_u32_e64 s[10:11], 0, v60
	v_cndmask_b32_e64 v2, 0, v2, s[10:11]
	v_add_u16_e32 v2, v2, v68
	v_cmp_eq_u32_e64 s[12:13], 0, v59
	v_cndmask_b32_e64 v2, 0, v2, s[12:13]
	v_add_u16_e32 v2, v2, v67
	v_cmp_eq_u32_e64 s[14:15], 0, v58
	v_cndmask_b32_e64 v2, 0, v2, s[14:15]
	v_add_u16_e32 v2, v2, v77
	v_cmp_eq_u32_e64 s[16:17], 0, v57
	v_cndmask_b32_e64 v2, 0, v2, s[16:17]
	v_add_u16_e32 v2, v2, v75
	v_cmp_eq_u32_e64 s[18:19], 0, v56
	v_cndmask_b32_e64 v2, 0, v2, s[18:19]
	v_add_u16_e32 v2, v2, v73
	v_cmp_eq_u32_e64 s[20:21], 0, v55
	v_cndmask_b32_e64 v2, 0, v2, s[20:21]
	v_add_u16_e32 v2, v2, v71
	v_cmp_eq_u32_e64 s[22:23], 0, v54
	v_cndmask_b32_e64 v2, 0, v2, s[22:23]
	v_add3_u32 v3, v86, v61, v60
	v_add_u16_e32 v2, v2, v69
	v_cmp_eq_u32_e32 vcc, 0, v53
	v_add3_u32 v3, v3, v59, v58
	v_cndmask_b32_e32 v2, 0, v2, vcc
	v_add3_u32 v3, v3, v57, v56
	v_add_u16_e32 v2, v2, v66
	v_cmp_eq_u32_e64 s[24:25], 0, v52
	v_add3_u32 v3, v3, v55, v54
	v_cndmask_b32_e64 v2, 0, v2, s[24:25]
	v_add3_u32 v3, v3, v53, v52
	v_add_u16_e32 v4, v2, v80
	v_mbcnt_hi_u32_b32 v2, -1, v85
	v_and_b32_e32 v6, 15, v2
	v_mov_b32_dpp v8, v4 row_shr:1 row_mask:0xf bank_mask:0xf
	v_cmp_eq_u32_e64 s[24:25], 0, v3
	v_mov_b32_dpp v7, v3 row_shr:1 row_mask:0xf bank_mask:0xf
	v_cndmask_b32_e64 v8, 0, v8, s[24:25]
	v_cmp_eq_u32_e64 s[24:25], 0, v6
	v_add_u16_e32 v8, v8, v4
	v_cndmask_b32_e64 v7, v7, 0, s[24:25]
	v_add_u32_e32 v3, v7, v3
	v_cndmask_b32_e64 v4, v8, v4, s[24:25]
	v_cmp_eq_u32_e64 s[24:25], 0, v3
	v_mov_b32_dpp v7, v3 row_shr:2 row_mask:0xf bank_mask:0xf
	v_mov_b32_dpp v8, v4 row_shr:2 row_mask:0xf bank_mask:0xf
	v_cndmask_b32_e64 v8, 0, v8, s[24:25]
	v_cmp_lt_u32_e64 s[24:25], 1, v6
	v_add_u16_e32 v8, v8, v4
	v_cndmask_b32_e64 v7, 0, v7, s[24:25]
	v_cndmask_b32_e64 v4, v4, v8, s[24:25]
	v_add_u32_e32 v3, v3, v7
	v_cmp_eq_u32_e64 s[24:25], 0, v3
	v_mov_b32_dpp v8, v4 row_shr:4 row_mask:0xf bank_mask:0xf
	v_mov_b32_dpp v7, v3 row_shr:4 row_mask:0xf bank_mask:0xf
	v_cndmask_b32_e64 v8, 0, v8, s[24:25]
	v_cmp_lt_u32_e64 s[24:25], 3, v6
	v_add_u16_e32 v8, v8, v4
	v_cndmask_b32_e64 v7, 0, v7, s[24:25]
	v_cndmask_b32_e64 v4, v4, v8, s[24:25]
	v_add_u32_e32 v3, v7, v3
	;; [unrolled: 9-line block ×3, first 2 shown]
	v_bfe_i32 v8, v2, 4, 1
	v_mov_b32_dpp v7, v4 row_bcast:15 row_mask:0xf bank_mask:0xf
	v_mov_b32_dpp v6, v3 row_bcast:15 row_mask:0xf bank_mask:0xf
	v_cmp_eq_u32_e64 s[24:25], 0, v3
	v_and_b32_e32 v9, 16, v2
	v_cndmask_b32_e64 v7, 0, v7, s[24:25]
	v_and_b32_e32 v6, v8, v6
	v_add_u16_e32 v7, v7, v4
	v_add_u32_e32 v3, v6, v3
	v_cmp_eq_u32_e64 s[24:25], 0, v9
	v_cndmask_b32_e64 v4, v7, v4, s[24:25]
	v_mov_b32_dpp v6, v3 row_bcast:31 row_mask:0xf bank_mask:0xf
	v_cmp_eq_u32_e64 s[24:25], 0, v3
	v_cmp_lt_u32_e64 s[26:27], 31, v2
	v_mov_b32_dpp v7, v4 row_bcast:31 row_mask:0xf bank_mask:0xf
	v_cndmask_b32_e64 v6, 0, v6, s[26:27]
	s_and_b64 s[24:25], s[26:27], s[24:25]
	v_add_u32_e32 v3, v6, v3
	v_cndmask_b32_e64 v6, 0, v7, s[24:25]
	v_add_u16_e32 v4, v6, v4
	v_cmp_eq_u32_e64 s[24:25], v84, v0
	v_lshlrev_b32_e32 v7, 3, v83
	s_and_saveexec_b64 s[26:27], s[24:25]
	s_cbranch_execz .LBB1059_106
; %bb.105:
	ds_write_b32 v7, v3 offset:2064
	ds_write_b16 v7, v4 offset:2068
.LBB1059_106:
	s_or_b64 exec, exec, s[26:27]
	v_cmp_gt_u32_e64 s[24:25], 4, v0
	s_waitcnt lgkmcnt(0)
	s_barrier
	s_and_saveexec_b64 s[28:29], s[24:25]
	s_cbranch_execz .LBB1059_108
; %bb.107:
	v_lshlrev_b32_e32 v6, 3, v0
	ds_read_b64 v[8:9], v6 offset:2064
	v_and_b32_e32 v24, 3, v2
	s_mov_b32 s26, 0xffff0000
	s_waitcnt lgkmcnt(0)
	v_mov_b32_dpp v26, v9 row_shr:1 row_mask:0xf bank_mask:0xf
	v_cmp_eq_u32_e64 s[24:25], 0, v8
	v_mov_b32_dpp v25, v8 row_shr:1 row_mask:0xf bank_mask:0xf
	v_cndmask_b32_e64 v26, 0, v26, s[24:25]
	v_cmp_eq_u32_e64 s[24:25], 0, v24
	v_add_u16_e32 v26, v26, v9
	v_cndmask_b32_e64 v25, v25, 0, s[24:25]
	v_and_or_b32 v27, v9, s26, v26
	v_add_u32_e32 v8, v25, v8
	v_cndmask_b32_e64 v25, v26, v9, s[24:25]
	v_cndmask_b32_e64 v9, v27, v9, s[24:25]
	v_mov_b32_dpp v26, v8 row_shr:2 row_mask:0xf bank_mask:0xf
	v_cmp_eq_u32_e64 s[24:25], 0, v8
	v_cmp_lt_u32_e64 s[26:27], 1, v24
	v_mov_b32_dpp v9, v9 row_shr:2 row_mask:0xf bank_mask:0xf
	v_cndmask_b32_e64 v24, 0, v26, s[26:27]
	s_and_b64 s[24:25], s[26:27], s[24:25]
	v_add_u32_e32 v8, v24, v8
	v_cndmask_b32_e64 v9, 0, v9, s[24:25]
	v_add_u16_e32 v9, v25, v9
	ds_write_b32 v6, v8 offset:2064
	ds_write_b16 v6, v9 offset:2068
.LBB1059_108:
	s_or_b64 exec, exec, s[28:29]
	v_cmp_lt_u32_e64 s[24:25], 63, v0
	v_mov_b32_e32 v6, 0
	v_mov_b32_e32 v8, 0
	s_waitcnt vmcnt(0)
	v_mov_b32_e32 v9, v5
	s_waitcnt lgkmcnt(0)
	s_barrier
	s_and_saveexec_b64 s[26:27], s[24:25]
	s_cbranch_execz .LBB1059_110
; %bb.109:
	ds_read_b32 v8, v7 offset:2056
	ds_read_u16 v7, v7 offset:2060
	s_waitcnt lgkmcnt(1)
	v_cmp_eq_u32_e64 s[24:25], 0, v8
	v_cndmask_b32_e64 v9, 0, v5, s[24:25]
	s_waitcnt lgkmcnt(0)
	v_add_u16_e32 v9, v9, v7
.LBB1059_110:
	s_or_b64 exec, exec, s[26:27]
	v_cmp_eq_u32_e64 s[24:25], 0, v3
	v_add_u32_e32 v7, v8, v3
	v_cndmask_b32_e64 v3, 0, v9, s[24:25]
	v_add_u16_e32 v3, v3, v4
	v_add_u32_e32 v4, -1, v2
	v_and_b32_e32 v24, 64, v2
	v_cmp_lt_i32_e64 s[24:25], v4, v24
	v_cndmask_b32_e64 v4, v4, v2, s[24:25]
	v_lshlrev_b32_e32 v4, 2, v4
	ds_bpermute_b32 v7, v4, v7
	ds_bpermute_b32 v3, v4, v3
	v_cmp_eq_u32_e64 s[24:25], 0, v2
	v_cmp_eq_u32_e64 s[26:27], 0, v82
	ds_read_b32 v4, v6 offset:2088
	s_waitcnt lgkmcnt(2)
	v_cndmask_b32_e64 v2, v7, v8, s[24:25]
	s_waitcnt lgkmcnt(1)
	v_cndmask_b32_e64 v3, v3, v9, s[24:25]
	v_cmp_eq_u32_e64 s[24:25], 0, v0
	v_cndmask_b32_e64 v3, v3, v5, s[24:25]
	v_cndmask_b32_e64 v50, v2, 0, s[24:25]
	;; [unrolled: 1-line block ×3, first 2 shown]
	v_add_u16_e32 v49, v2, v79
	v_cndmask_b32_e64 v2, 0, v49, s[0:1]
	v_add_u16_e32 v47, v2, v78
	v_cndmask_b32_e64 v2, 0, v47, s[2:3]
	;; [unrolled: 2-line block ×7, first 2 shown]
	v_add_u32_e32 v48, v50, v82
	v_add_u16_e32 v35, v2, v67
	v_add_u32_e32 v46, v48, v65
	v_cndmask_b32_e64 v2, 0, v35, s[14:15]
	v_add_u32_e32 v44, v46, v64
	v_add_u16_e32 v33, v2, v77
	v_add_u32_e32 v42, v44, v63
	v_cndmask_b32_e64 v2, 0, v33, s[16:17]
	;; [unrolled: 4-line block ×4, first 2 shown]
	v_add_u32_e32 v32, v34, v58
	v_add_u16_e32 v27, v2, v71
	ds_read_u16 v6, v6 offset:2092
	v_add_u32_e32 v30, v32, v57
	v_cndmask_b32_e64 v2, 0, v27, s[22:23]
	v_add_u32_e32 v28, v30, v56
	v_add_u16_e32 v9, v2, v69
	v_and_b32_e32 v51, 0xffff, v3
	v_add_u32_e32 v26, v28, v55
	v_cndmask_b32_e32 v3, 0, v9, vcc
	s_waitcnt lgkmcnt(1)
	v_cmp_eq_u32_e32 vcc, 0, v4
	v_add_u32_e32 v8, v26, v54
	v_cndmask_b32_e32 v5, 0, v5, vcc
	v_add_u32_e32 v2, v8, v53
	v_add_u16_e32 v3, v3, v66
	s_waitcnt lgkmcnt(0)
	v_add_u16_e32 v81, v5, v6
	s_and_saveexec_b64 s[0:1], s[24:25]
	s_cbranch_execz .LBB1059_112
; %bb.111:
	s_add_u32 s2, s36, 0x400
	s_addc_u32 s3, s37, 0
	v_and_b32_e32 v5, 0xff00, v81
	v_mov_b32_e32 v7, 0
	v_or_b32_sdwa v5, v5, v81 dst_sel:DWORD dst_unused:UNUSED_PAD src0_sel:DWORD src1_sel:BYTE_0
	v_mov_b32_e32 v6, 2
	v_pk_mov_b32 v[24:25], s[2:3], s[2:3] op_sel:[0,1]
	;;#ASMSTART
	global_store_dwordx4 v[24:25], v[4:7] off	
s_waitcnt vmcnt(0)
	;;#ASMEND
.LBB1059_112:
	s_or_b64 exec, exec, s[0:1]
	v_mov_b32_e32 v6, 0
.LBB1059_113:
	s_and_b64 s[0:1], s[30:31], exec
	s_cselect_b32 s1, 0, s47
	s_cselect_b32 s0, 0, s46
	s_cmp_eq_u64 s[0:1], 0
	v_pk_mov_b32 v[24:25], 0, 0
	s_barrier
	s_cbranch_scc1 .LBB1059_115
; %bb.114:
	v_mov_b32_e32 v5, 0
	global_load_dwordx2 v[24:25], v5, s[0:1]
.LBB1059_115:
	s_movk_i32 s36, 0x100
	v_cmp_gt_u32_e32 vcc, s36, v4
	s_cbranch_vccnz .LBB1059_164
; %bb.116:
	v_cmp_eq_u32_e64 s[26:27], 0, v65
	v_cndmask_b32_e64 v77, 1, 2, s[26:27]
	v_cmp_eq_u32_e64 s[26:27], 0, v82
	v_cmp_eq_u32_e64 s[24:25], 0, v64
	v_cndmask_b32_e64 v78, 1, 2, s[26:27]
	v_cmp_eq_u32_e64 s[22:23], 0, v63
	v_cndmask_b32_e64 v76, 1, 2, s[24:25]
	v_and_b32_e32 v77, v77, v78
	v_cmp_eq_u32_e64 s[20:21], 0, v62
	v_cndmask_b32_e64 v75, 1, 2, s[22:23]
	v_and_b32_e32 v76, v77, v76
	;; [unrolled: 3-line block ×11, first 2 shown]
	v_cmp_eq_u32_e32 vcc, 0, v52
	v_cndmask_b32_e64 v7, 1, 2, s[0:1]
	v_and_b32_e32 v66, v67, v66
	v_cndmask_b32_e64 v5, 1, 2, vcc
	v_and_b32_e32 v7, v66, v7
	v_and_b32_e32 v5, v7, v5
	v_cmp_ne_u32_e64 s[18:19], 0, v82
	v_cmp_ne_u32_e32 vcc, 0, v53
	v_cmp_ne_u32_e64 s[0:1], 0, v54
	v_cmp_ne_u32_e64 s[2:3], 0, v55
	;; [unrolled: 1-line block ×12, first 2 shown]
	v_cmp_gt_i16_e64 s[26:27], 2, v5
	s_and_saveexec_b64 s[28:29], s[26:27]
	s_cbranch_execz .LBB1059_163
; %bb.117:
	v_cmp_ne_u16_e64 s[26:27], 1, v5
	s_mov_b64 s[30:31], 0
	s_and_saveexec_b64 s[38:39], s[26:27]
	s_xor_b64 s[26:27], exec, s[38:39]
	s_cbranch_execz .LBB1059_141
; %bb.118:
	s_and_saveexec_b64 s[30:31], s[18:19]
	s_cbranch_execz .LBB1059_146
; %bb.119:
	v_sub_u32_e32 v5, v50, v6
	v_lshlrev_b32_e32 v5, 2, v5
	ds_write_b32 v5, v22
	s_or_b64 exec, exec, s[30:31]
	s_and_saveexec_b64 s[18:19], s[24:25]
	s_cbranch_execnz .LBB1059_147
.LBB1059_120:
	s_or_b64 exec, exec, s[18:19]
	s_and_saveexec_b64 s[18:19], s[22:23]
	s_cbranch_execz .LBB1059_148
.LBB1059_121:
	v_sub_u32_e32 v5, v46, v6
	v_lshlrev_b32_e32 v5, 2, v5
	ds_write_b32 v5, v20
	s_or_b64 exec, exec, s[18:19]
	s_and_saveexec_b64 s[18:19], s[20:21]
	s_cbranch_execnz .LBB1059_149
.LBB1059_122:
	s_or_b64 exec, exec, s[18:19]
	s_and_saveexec_b64 s[18:19], s[16:17]
	s_cbranch_execz .LBB1059_150
.LBB1059_123:
	v_sub_u32_e32 v5, v42, v6
	v_lshlrev_b32_e32 v5, 2, v5
	ds_write_b32 v5, v18
	s_or_b64 exec, exec, s[18:19]
	s_and_saveexec_b64 s[16:17], s[14:15]
	s_cbranch_execnz .LBB1059_151
.LBB1059_124:
	s_or_b64 exec, exec, s[16:17]
	s_and_saveexec_b64 s[14:15], s[12:13]
	s_cbranch_execz .LBB1059_152
.LBB1059_125:
	v_sub_u32_e32 v5, v38, v6
	v_lshlrev_b32_e32 v5, 2, v5
	ds_write_b32 v5, v16
	s_or_b64 exec, exec, s[14:15]
	s_and_saveexec_b64 s[12:13], s[10:11]
	s_cbranch_execnz .LBB1059_153
.LBB1059_126:
	s_or_b64 exec, exec, s[12:13]
	s_and_saveexec_b64 s[10:11], s[8:9]
	s_cbranch_execz .LBB1059_154
.LBB1059_127:
	v_sub_u32_e32 v5, v34, v6
	v_lshlrev_b32_e32 v5, 2, v5
	ds_write_b32 v5, v14
	s_or_b64 exec, exec, s[10:11]
	s_and_saveexec_b64 s[8:9], s[6:7]
	s_cbranch_execnz .LBB1059_155
.LBB1059_128:
	s_or_b64 exec, exec, s[8:9]
	s_and_saveexec_b64 s[6:7], s[4:5]
	s_cbranch_execz .LBB1059_156
.LBB1059_129:
	v_sub_u32_e32 v5, v30, v6
	v_lshlrev_b32_e32 v5, 2, v5
	ds_write_b32 v5, v12
	s_or_b64 exec, exec, s[6:7]
	s_and_saveexec_b64 s[4:5], s[2:3]
	s_cbranch_execnz .LBB1059_157
.LBB1059_130:
	s_or_b64 exec, exec, s[4:5]
	s_and_saveexec_b64 s[2:3], s[0:1]
	s_cbranch_execz .LBB1059_158
.LBB1059_131:
	v_sub_u32_e32 v5, v26, v6
	v_lshlrev_b32_e32 v5, 2, v5
	ds_write_b32 v5, v10
	s_or_b64 exec, exec, s[2:3]
	v_cmp_ne_u32_e64 s[0:1], 0, v52
	s_and_saveexec_b64 s[2:3], vcc
	s_cbranch_execnz .LBB1059_159
	s_branch .LBB1059_160
.LBB1059_132:
                                        ; implicit-def: $sgpr0_sgpr1
                                        ; implicit-def: $vgpr52
                                        ; implicit-def: $vgpr53
                                        ; implicit-def: $vgpr54
                                        ; implicit-def: $vgpr55
                                        ; implicit-def: $vgpr56
                                        ; implicit-def: $vgpr57
                                        ; implicit-def: $vgpr58
                                        ; implicit-def: $vgpr59
                                        ; implicit-def: $vgpr60
                                        ; implicit-def: $vgpr61
                                        ; implicit-def: $vgpr62
                                        ; implicit-def: $vgpr63
                                        ; implicit-def: $vgpr64
                                        ; implicit-def: $vgpr65
	s_cbranch_execz .LBB1059_70
; %bb.133:
	v_cmp_ne_u32_e32 vcc, v23, v50
	v_cndmask_b32_e64 v65, 0, 1, vcc
	v_cmp_ne_u32_e32 vcc, v23, v51
	v_cndmask_b32_e64 v64, 0, 1, vcc
	;; [unrolled: 2-line block ×14, first 2 shown]
	v_cmp_ne_u32_e32 vcc, 0, v0
	ds_write_b32 v81, v1
	s_waitcnt lgkmcnt(0)
	s_barrier
	s_waitcnt lgkmcnt(0)
                                        ; implicit-def: $sgpr0_sgpr1
	s_and_saveexec_b64 s[4:5], vcc
	s_xor_b64 s[4:5], exec, s[4:5]
	s_cbranch_execz .LBB1059_135
; %bb.134:
	v_add_u32_e32 v3, -4, v81
	ds_read_b32 v3, v3
	s_or_b64 s[56:57], s[56:57], exec
	s_waitcnt lgkmcnt(0)
	v_cmp_ne_u32_e32 vcc, v3, v22
	s_and_b64 s[0:1], vcc, exec
.LBB1059_135:
	s_or_b64 exec, exec, s[4:5]
	s_mov_b32 s8, 1
	s_branch .LBB1059_72
.LBB1059_136:
	s_mul_hi_u32 s1, s52, 0xfffff100
	s_mul_i32 s0, s53, 0xfffff100
	s_sub_i32 s1, s1, s52
	s_add_i32 s1, s1, s0
	s_mul_i32 s0, s52, 0xfffff100
	s_add_u32 s44, s0, s44
	s_addc_u32 s45, s1, s45
	s_and_b64 vcc, exec, s[2:3]
	v_cmp_ne_u32_e64 s[28:29], v11, v1
	v_cmp_ne_u32_e64 s[26:27], v10, v11
	;; [unrolled: 1-line block ×15, first 2 shown]
	s_cbranch_vccz .LBB1059_143
; %bb.137:
	v_mov_b32_e32 v3, s58
	v_add_co_u32_e64 v44, vcc, -4, s7
	v_addc_co_u32_e32 v45, vcc, -1, v3, vcc
	flat_load_dword v46, v[44:45]
	v_mov_b32_e32 v3, 0
	v_cmp_gt_u64_e32 vcc, s[44:45], v[2:3]
	v_mov_b32_e32 v43, v3
	s_and_b64 s[28:29], vcc, s[28:29]
	v_cmp_gt_u64_e32 vcc, s[44:45], v[42:43]
	v_mov_b32_e32 v41, v3
	s_and_b64 s[26:27], vcc, s[26:27]
	;; [unrolled: 3-line block ×13, first 2 shown]
	v_cmp_gt_u64_e32 vcc, s[44:45], v[4:5]
	v_mul_u32_u24_e32 v44, 15, v0
	s_and_b64 s[2:3], vcc, s[2:3]
	ds_write_b32 v81, v1
	s_waitcnt lgkmcnt(0)
	s_barrier
	s_and_saveexec_b64 s[52:53], s[0:1]
	s_cbranch_execz .LBB1059_139
; %bb.138:
	v_add_u32_e32 v5, -4, v81
	s_waitcnt vmcnt(0)
	ds_read_b32 v46, v5
.LBB1059_139:
	s_or_b64 exec, exec, s[52:53]
	v_mov_b32_e32 v45, v3
	v_cmp_gt_u64_e32 vcc, s[44:45], v[44:45]
	s_waitcnt vmcnt(0) lgkmcnt(0)
	v_cmp_ne_u32_e64 s[0:1], v46, v22
	v_cndmask_b32_e64 v52, 0, 1, s[28:29]
	v_cndmask_b32_e64 v53, 0, 1, s[26:27]
	;; [unrolled: 1-line block ×14, first 2 shown]
	s_and_b64 s[0:1], vcc, s[0:1]
	s_mov_b64 s[56:57], -1
.LBB1059_140:
                                        ; implicit-def: $sgpr8
	v_mov_b32_e32 v82, s8
	s_and_saveexec_b64 s[2:3], s[56:57]
	s_cbranch_execnz .LBB1059_73
	s_branch .LBB1059_74
.LBB1059_141:
	s_andn2_saveexec_b64 s[0:1], s[26:27]
	s_cbranch_execz .LBB1059_161
.LBB1059_142:
	v_sub_u32_e32 v5, v50, v6
	v_lshlrev_b32_e32 v5, 2, v5
	ds_write_b32 v5, v22
	v_sub_u32_e32 v5, v48, v6
	v_lshlrev_b32_e32 v5, 2, v5
	ds_write_b32 v5, v23
	;; [unrolled: 3-line block ×13, first 2 shown]
	v_sub_u32_e32 v5, v8, v6
	v_lshlrev_b32_e32 v5, 2, v5
	s_or_b64 s[30:31], s[30:31], exec
	ds_write_b32 v5, v11
	s_or_b64 exec, exec, s[0:1]
	s_and_b64 exec, exec, s[30:31]
	s_cbranch_execnz .LBB1059_162
	s_branch .LBB1059_163
.LBB1059_143:
                                        ; implicit-def: $sgpr0_sgpr1
                                        ; implicit-def: $vgpr52
                                        ; implicit-def: $vgpr53
                                        ; implicit-def: $vgpr54
                                        ; implicit-def: $vgpr55
                                        ; implicit-def: $vgpr56
                                        ; implicit-def: $vgpr57
                                        ; implicit-def: $vgpr58
                                        ; implicit-def: $vgpr59
                                        ; implicit-def: $vgpr60
                                        ; implicit-def: $vgpr61
                                        ; implicit-def: $vgpr62
                                        ; implicit-def: $vgpr63
                                        ; implicit-def: $vgpr64
                                        ; implicit-def: $vgpr65
	s_cbranch_execz .LBB1059_140
; %bb.144:
	v_mov_b32_e32 v3, 0
	v_cmp_gt_u64_e32 vcc, s[44:45], v[2:3]
	v_cmp_ne_u32_e64 s[0:1], v11, v1
	s_and_b64 s[0:1], vcc, s[0:1]
	v_mov_b32_e32 v43, v3
	v_cndmask_b32_e64 v52, 0, 1, s[0:1]
	v_cmp_gt_u64_e32 vcc, s[44:45], v[42:43]
	v_cmp_ne_u32_e64 s[0:1], v10, v11
	s_and_b64 s[0:1], vcc, s[0:1]
	v_mov_b32_e32 v41, v3
	v_cndmask_b32_e64 v53, 0, 1, s[0:1]
	;; [unrolled: 5-line block ×13, first 2 shown]
	v_cmp_gt_u64_e32 vcc, s[44:45], v[4:5]
	v_cmp_ne_u32_e64 s[0:1], v22, v23
	s_and_b64 s[0:1], vcc, s[0:1]
	s_mov_b32 s8, 1
	v_cndmask_b32_e64 v65, 0, 1, s[0:1]
	v_cmp_ne_u32_e32 vcc, 0, v0
	ds_write_b32 v81, v1
	s_waitcnt lgkmcnt(0)
	s_barrier
	s_waitcnt lgkmcnt(0)
                                        ; implicit-def: $sgpr0_sgpr1
	s_and_saveexec_b64 s[2:3], vcc
	s_cbranch_execz .LBB1059_183
; %bb.145:
	v_add_u32_e32 v2, -4, v81
	ds_read_b32 v4, v2
	v_mul_u32_u24_e32 v2, 15, v0
	v_cmp_gt_u64_e32 vcc, s[44:45], v[2:3]
	s_or_b64 s[56:57], s[56:57], exec
	s_waitcnt lgkmcnt(0)
	v_cmp_ne_u32_e64 s[0:1], v4, v22
	s_and_b64 s[0:1], vcc, s[0:1]
	s_and_b64 s[0:1], s[0:1], exec
	s_or_b64 exec, exec, s[2:3]
	v_mov_b32_e32 v82, s8
	s_and_saveexec_b64 s[2:3], s[56:57]
	s_cbranch_execz .LBB1059_74
	s_branch .LBB1059_73
.LBB1059_146:
	s_or_b64 exec, exec, s[30:31]
	s_and_saveexec_b64 s[18:19], s[24:25]
	s_cbranch_execz .LBB1059_120
.LBB1059_147:
	v_sub_u32_e32 v5, v48, v6
	v_lshlrev_b32_e32 v5, 2, v5
	ds_write_b32 v5, v23
	s_or_b64 exec, exec, s[18:19]
	s_and_saveexec_b64 s[18:19], s[22:23]
	s_cbranch_execnz .LBB1059_121
.LBB1059_148:
	s_or_b64 exec, exec, s[18:19]
	s_and_saveexec_b64 s[18:19], s[20:21]
	s_cbranch_execz .LBB1059_122
.LBB1059_149:
	v_sub_u32_e32 v5, v44, v6
	v_lshlrev_b32_e32 v5, 2, v5
	ds_write_b32 v5, v21
	s_or_b64 exec, exec, s[18:19]
	s_and_saveexec_b64 s[18:19], s[16:17]
	s_cbranch_execnz .LBB1059_123
.LBB1059_150:
	s_or_b64 exec, exec, s[18:19]
	s_and_saveexec_b64 s[16:17], s[14:15]
	s_cbranch_execz .LBB1059_124
.LBB1059_151:
	v_sub_u32_e32 v5, v40, v6
	v_lshlrev_b32_e32 v5, 2, v5
	ds_write_b32 v5, v19
	s_or_b64 exec, exec, s[16:17]
	s_and_saveexec_b64 s[14:15], s[12:13]
	s_cbranch_execnz .LBB1059_125
.LBB1059_152:
	s_or_b64 exec, exec, s[14:15]
	s_and_saveexec_b64 s[12:13], s[10:11]
	s_cbranch_execz .LBB1059_126
.LBB1059_153:
	v_sub_u32_e32 v5, v36, v6
	v_lshlrev_b32_e32 v5, 2, v5
	ds_write_b32 v5, v17
	s_or_b64 exec, exec, s[12:13]
	s_and_saveexec_b64 s[10:11], s[8:9]
	s_cbranch_execnz .LBB1059_127
.LBB1059_154:
	s_or_b64 exec, exec, s[10:11]
	s_and_saveexec_b64 s[8:9], s[6:7]
	s_cbranch_execz .LBB1059_128
.LBB1059_155:
	v_sub_u32_e32 v5, v32, v6
	v_lshlrev_b32_e32 v5, 2, v5
	ds_write_b32 v5, v15
	s_or_b64 exec, exec, s[8:9]
	s_and_saveexec_b64 s[6:7], s[4:5]
	s_cbranch_execnz .LBB1059_129
.LBB1059_156:
	s_or_b64 exec, exec, s[6:7]
	s_and_saveexec_b64 s[4:5], s[2:3]
	s_cbranch_execz .LBB1059_130
.LBB1059_157:
	v_sub_u32_e32 v5, v28, v6
	v_lshlrev_b32_e32 v5, 2, v5
	ds_write_b32 v5, v13
	s_or_b64 exec, exec, s[4:5]
	s_and_saveexec_b64 s[2:3], s[0:1]
	s_cbranch_execnz .LBB1059_131
.LBB1059_158:
	s_or_b64 exec, exec, s[2:3]
	v_cmp_ne_u32_e64 s[0:1], 0, v52
	s_and_saveexec_b64 s[2:3], vcc
	s_cbranch_execz .LBB1059_160
.LBB1059_159:
	v_sub_u32_e32 v5, v8, v6
	v_lshlrev_b32_e32 v5, 2, v5
	ds_write_b32 v5, v11
.LBB1059_160:
	s_or_b64 exec, exec, s[2:3]
	s_and_b64 s[30:31], s[0:1], exec
                                        ; implicit-def: $vgpr10
                                        ; implicit-def: $vgpr12
                                        ; implicit-def: $vgpr14
                                        ; implicit-def: $vgpr16
                                        ; implicit-def: $vgpr18
                                        ; implicit-def: $vgpr20
                                        ; implicit-def: $vgpr22
	s_andn2_saveexec_b64 s[0:1], s[26:27]
	s_cbranch_execnz .LBB1059_142
.LBB1059_161:
	s_or_b64 exec, exec, s[0:1]
	s_and_b64 exec, exec, s[30:31]
	s_cbranch_execz .LBB1059_163
.LBB1059_162:
	v_sub_u32_e32 v5, v2, v6
	v_lshlrev_b32_e32 v5, 2, v5
	ds_write_b32 v5, v1
.LBB1059_163:
	s_or_b64 exec, exec, s[28:29]
	s_waitcnt lgkmcnt(0)
	s_barrier
.LBB1059_164:
	s_cmpk_lg_i32 s33, 0xf00
	s_cselect_b64 s[0:1], -1, 0
	s_and_b64 s[0:1], s[48:49], s[0:1]
	v_cmp_eq_u32_e32 vcc, 0, v0
	v_cndmask_b32_e64 v10, 0, 1, s[0:1]
	s_and_b64 s[0:1], vcc, s[34:35]
	v_cndmask_b32_e64 v11, v82, 0, s[0:1]
	s_mul_hi_u32 s0, s33, 0x88888889
	s_lshr_b32 s0, s0, 3
	v_mad_i32_i24 v12, v0, -15, s33
	v_cmp_eq_u32_e32 vcc, s0, v0
	v_cmp_ne_u32_e64 s[0:1], 0, v12
	v_cndmask_b32_e64 v13, 1, v11, s[0:1]
	v_cmp_ne_u32_e64 s[0:1], 1, v12
	v_cndmask_b32_e64 v14, 1, v65, s[0:1]
	;; [unrolled: 2-line block ×15, first 2 shown]
	s_and_b64 vcc, s[48:49], vcc
	v_cndmask_b32_e32 v52, v52, v12, vcc
	v_cndmask_b32_e32 v20, v59, v20, vcc
	;; [unrolled: 1-line block ×3, first 2 shown]
	s_waitcnt vmcnt(0)
	v_lshlrev_b64 v[12:13], 1, v[24:25]
	v_mov_b32_e32 v7, 0
	v_cndmask_b32_e32 v53, v53, v68, vcc
	v_cndmask_b32_e32 v54, v54, v67, vcc
	;; [unrolled: 1-line block ×12, first 2 shown]
	v_mov_b32_e32 v11, s41
	v_add_co_u32_e32 v14, vcc, s40, v12
	v_addc_co_u32_e32 v11, vcc, v11, v13, vcc
	v_lshlrev_b64 v[12:13], 1, v[6:7]
	v_cndmask_b32_e64 v1, 0, 1, s[34:35]
	v_add_co_u32_e32 v7, vcc, v14, v12
	v_addc_co_u32_e32 v14, vcc, v11, v13, vcc
	v_lshlrev_b32_e32 v11, 1, v1
	v_add_co_u32_e32 v11, vcc, v11, v7
	v_addc_co_u32_e32 v12, vcc, 0, v14, vcc
	v_add_co_u32_e32 v15, vcc, -2, v11
	v_addc_co_u32_e32 v16, vcc, -1, v12, vcc
	v_cmp_eq_u32_e32 vcc, 0, v59
	v_cndmask_b32_e64 v12, 1, 2, vcc
	v_cmp_eq_u32_e32 vcc, 0, v58
	v_cndmask_b32_e64 v13, 1, 2, vcc
	v_cmp_eq_u32_e32 vcc, 0, v57
	v_and_b32_e32 v12, v13, v12
	v_cndmask_b32_e64 v13, 1, 2, vcc
	v_cmp_eq_u32_e32 vcc, 0, v56
	v_and_b32_e32 v12, v12, v13
	;; [unrolled: 3-line block ×11, first 2 shown]
	v_cndmask_b32_e64 v13, 1, 2, vcc
	v_cmp_eq_u32_e32 vcc, 0, v53
	v_sub_u32_e32 v5, v4, v1
	v_and_b32_e32 v12, v12, v13
	v_cndmask_b32_e64 v13, 1, 2, vcc
	v_cmp_eq_u32_e32 vcc, 0, v52
	v_add_u32_e32 v5, v5, v10
	v_and_b32_e32 v12, v12, v13
	v_cndmask_b32_e64 v13, 1, 2, vcc
	v_and_b32_e32 v12, v12, v13
	v_cmp_gt_u32_e32 vcc, s36, v5
	v_add_u32_e32 v11, v6, v1
	v_cmp_ne_u32_e64 s[28:29], 0, v59
	v_cmp_ne_u32_e64 s[26:27], 0, v58
	;; [unrolled: 1-line block ×15, first 2 shown]
	s_mov_b64 s[34:35], -1
	v_cmp_gt_i16_e64 s[30:31], 2, v12
	s_barrier
	s_cbranch_vccz .LBB1059_202
; %bb.165:
	s_and_saveexec_b64 s[34:35], s[30:31]
	s_cbranch_execz .LBB1059_201
; %bb.166:
	v_cmp_ne_u16_e32 vcc, 1, v12
	s_mov_b64 s[36:37], 0
	s_and_saveexec_b64 s[30:31], vcc
	s_xor_b64 s[30:31], exec, s[30:31]
	s_cbranch_execz .LBB1059_181
; %bb.167:
	s_and_saveexec_b64 s[36:37], s[28:29]
	s_cbranch_execz .LBB1059_184
; %bb.168:
	v_sub_u32_e32 v18, v50, v11
	v_mov_b32_e32 v19, 0
	v_lshlrev_b64 v[18:19], 1, v[18:19]
	v_add_co_u32_e32 v18, vcc, v15, v18
	v_addc_co_u32_e32 v19, vcc, v16, v19, vcc
	global_store_short v[18:19], v51, off
	s_or_b64 exec, exec, s[36:37]
	s_and_saveexec_b64 s[36:37], s[26:27]
	s_cbranch_execnz .LBB1059_185
.LBB1059_169:
	s_or_b64 exec, exec, s[36:37]
	s_and_saveexec_b64 s[36:37], s[24:25]
	s_cbranch_execz .LBB1059_186
.LBB1059_170:
	v_sub_u32_e32 v18, v46, v11
	v_mov_b32_e32 v19, 0
	v_lshlrev_b64 v[18:19], 1, v[18:19]
	v_add_co_u32_e32 v18, vcc, v15, v18
	v_addc_co_u32_e32 v19, vcc, v16, v19, vcc
	global_store_short v[18:19], v47, off
	s_or_b64 exec, exec, s[36:37]
	s_and_saveexec_b64 s[36:37], s[22:23]
	s_cbranch_execnz .LBB1059_187
.LBB1059_171:
	s_or_b64 exec, exec, s[36:37]
	s_and_saveexec_b64 s[36:37], s[20:21]
	s_cbranch_execz .LBB1059_188
.LBB1059_172:
	v_sub_u32_e32 v18, v42, v11
	v_mov_b32_e32 v19, 0
	v_lshlrev_b64 v[18:19], 1, v[18:19]
	v_add_co_u32_e32 v18, vcc, v15, v18
	v_addc_co_u32_e32 v19, vcc, v16, v19, vcc
	global_store_short v[18:19], v43, off
	s_or_b64 exec, exec, s[36:37]
	s_and_saveexec_b64 s[36:37], s[18:19]
	s_cbranch_execnz .LBB1059_189
.LBB1059_173:
	s_or_b64 exec, exec, s[36:37]
	s_and_saveexec_b64 s[36:37], s[16:17]
	s_cbranch_execz .LBB1059_190
.LBB1059_174:
	v_sub_u32_e32 v18, v38, v11
	v_mov_b32_e32 v19, 0
	v_lshlrev_b64 v[18:19], 1, v[18:19]
	v_add_co_u32_e32 v18, vcc, v15, v18
	v_addc_co_u32_e32 v19, vcc, v16, v19, vcc
	global_store_short v[18:19], v39, off
	s_or_b64 exec, exec, s[36:37]
	s_and_saveexec_b64 s[36:37], s[14:15]
	s_cbranch_execnz .LBB1059_191
.LBB1059_175:
	s_or_b64 exec, exec, s[36:37]
	s_and_saveexec_b64 s[36:37], s[12:13]
	s_cbranch_execz .LBB1059_192
.LBB1059_176:
	v_sub_u32_e32 v18, v34, v11
	v_mov_b32_e32 v19, 0
	v_lshlrev_b64 v[18:19], 1, v[18:19]
	v_add_co_u32_e32 v18, vcc, v15, v18
	v_addc_co_u32_e32 v19, vcc, v16, v19, vcc
	global_store_short v[18:19], v35, off
	s_or_b64 exec, exec, s[36:37]
	s_and_saveexec_b64 s[36:37], s[10:11]
	s_cbranch_execnz .LBB1059_193
.LBB1059_177:
	s_or_b64 exec, exec, s[36:37]
	s_and_saveexec_b64 s[36:37], s[8:9]
	s_cbranch_execz .LBB1059_194
.LBB1059_178:
	v_sub_u32_e32 v18, v30, v11
	v_mov_b32_e32 v19, 0
	v_lshlrev_b64 v[18:19], 1, v[18:19]
	v_add_co_u32_e32 v18, vcc, v15, v18
	v_addc_co_u32_e32 v19, vcc, v16, v19, vcc
	global_store_short v[18:19], v31, off
	s_or_b64 exec, exec, s[36:37]
	s_and_saveexec_b64 s[36:37], s[6:7]
	s_cbranch_execnz .LBB1059_195
.LBB1059_179:
	s_or_b64 exec, exec, s[36:37]
	s_and_saveexec_b64 s[36:37], s[4:5]
	s_cbranch_execz .LBB1059_196
.LBB1059_180:
	v_sub_u32_e32 v18, v26, v11
	v_mov_b32_e32 v19, 0
	v_lshlrev_b64 v[18:19], 1, v[18:19]
	v_add_co_u32_e32 v18, vcc, v15, v18
	v_addc_co_u32_e32 v19, vcc, v16, v19, vcc
	global_store_short v[18:19], v27, off
	s_or_b64 exec, exec, s[36:37]
	s_and_saveexec_b64 s[36:37], s[2:3]
	s_cbranch_execnz .LBB1059_197
	s_branch .LBB1059_198
.LBB1059_181:
	s_andn2_saveexec_b64 s[30:31], s[30:31]
	s_cbranch_execz .LBB1059_199
.LBB1059_182:
	v_sub_u32_e32 v18, v50, v11
	v_mov_b32_e32 v19, 0
	v_lshlrev_b64 v[20:21], 1, v[18:19]
	v_add_co_u32_e32 v20, vcc, v15, v20
	v_addc_co_u32_e32 v21, vcc, v16, v21, vcc
	v_sub_u32_e32 v18, v48, v11
	global_store_short v[20:21], v51, off
	v_lshlrev_b64 v[20:21], 1, v[18:19]
	v_add_co_u32_e32 v20, vcc, v15, v20
	v_addc_co_u32_e32 v21, vcc, v16, v21, vcc
	v_sub_u32_e32 v18, v46, v11
	global_store_short v[20:21], v49, off
	;; [unrolled: 5-line block ×12, first 2 shown]
	v_lshlrev_b64 v[20:21], 1, v[18:19]
	v_add_co_u32_e32 v20, vcc, v15, v20
	v_sub_u32_e32 v18, v8, v11
	v_addc_co_u32_e32 v21, vcc, v16, v21, vcc
	v_lshlrev_b64 v[18:19], 1, v[18:19]
	v_add_co_u32_e32 v18, vcc, v15, v18
	v_addc_co_u32_e32 v19, vcc, v16, v19, vcc
	s_or_b64 s[36:37], s[36:37], exec
	global_store_short v[20:21], v27, off
	global_store_short v[18:19], v9, off
	s_or_b64 exec, exec, s[30:31]
	s_and_b64 exec, exec, s[36:37]
	s_cbranch_execnz .LBB1059_200
	s_branch .LBB1059_201
.LBB1059_183:
	s_or_b64 exec, exec, s[2:3]
	v_mov_b32_e32 v82, s8
	s_and_saveexec_b64 s[2:3], s[56:57]
	s_cbranch_execnz .LBB1059_73
	s_branch .LBB1059_74
.LBB1059_184:
	s_or_b64 exec, exec, s[36:37]
	s_and_saveexec_b64 s[36:37], s[26:27]
	s_cbranch_execz .LBB1059_169
.LBB1059_185:
	v_sub_u32_e32 v18, v48, v11
	v_mov_b32_e32 v19, 0
	v_lshlrev_b64 v[18:19], 1, v[18:19]
	v_add_co_u32_e32 v18, vcc, v15, v18
	v_addc_co_u32_e32 v19, vcc, v16, v19, vcc
	global_store_short v[18:19], v49, off
	s_or_b64 exec, exec, s[36:37]
	s_and_saveexec_b64 s[36:37], s[24:25]
	s_cbranch_execnz .LBB1059_170
.LBB1059_186:
	s_or_b64 exec, exec, s[36:37]
	s_and_saveexec_b64 s[36:37], s[22:23]
	s_cbranch_execz .LBB1059_171
.LBB1059_187:
	v_sub_u32_e32 v18, v44, v11
	v_mov_b32_e32 v19, 0
	v_lshlrev_b64 v[18:19], 1, v[18:19]
	v_add_co_u32_e32 v18, vcc, v15, v18
	v_addc_co_u32_e32 v19, vcc, v16, v19, vcc
	global_store_short v[18:19], v45, off
	s_or_b64 exec, exec, s[36:37]
	s_and_saveexec_b64 s[36:37], s[20:21]
	s_cbranch_execnz .LBB1059_172
.LBB1059_188:
	s_or_b64 exec, exec, s[36:37]
	s_and_saveexec_b64 s[36:37], s[18:19]
	s_cbranch_execz .LBB1059_173
.LBB1059_189:
	v_sub_u32_e32 v18, v40, v11
	v_mov_b32_e32 v19, 0
	v_lshlrev_b64 v[18:19], 1, v[18:19]
	v_add_co_u32_e32 v18, vcc, v15, v18
	v_addc_co_u32_e32 v19, vcc, v16, v19, vcc
	global_store_short v[18:19], v41, off
	s_or_b64 exec, exec, s[36:37]
	s_and_saveexec_b64 s[36:37], s[16:17]
	s_cbranch_execnz .LBB1059_174
.LBB1059_190:
	s_or_b64 exec, exec, s[36:37]
	s_and_saveexec_b64 s[36:37], s[14:15]
	s_cbranch_execz .LBB1059_175
.LBB1059_191:
	v_sub_u32_e32 v18, v36, v11
	v_mov_b32_e32 v19, 0
	v_lshlrev_b64 v[18:19], 1, v[18:19]
	v_add_co_u32_e32 v18, vcc, v15, v18
	v_addc_co_u32_e32 v19, vcc, v16, v19, vcc
	global_store_short v[18:19], v37, off
	s_or_b64 exec, exec, s[36:37]
	s_and_saveexec_b64 s[36:37], s[12:13]
	s_cbranch_execnz .LBB1059_176
.LBB1059_192:
	s_or_b64 exec, exec, s[36:37]
	s_and_saveexec_b64 s[36:37], s[10:11]
	s_cbranch_execz .LBB1059_177
.LBB1059_193:
	v_sub_u32_e32 v18, v32, v11
	v_mov_b32_e32 v19, 0
	v_lshlrev_b64 v[18:19], 1, v[18:19]
	v_add_co_u32_e32 v18, vcc, v15, v18
	v_addc_co_u32_e32 v19, vcc, v16, v19, vcc
	global_store_short v[18:19], v33, off
	s_or_b64 exec, exec, s[36:37]
	s_and_saveexec_b64 s[36:37], s[8:9]
	s_cbranch_execnz .LBB1059_178
.LBB1059_194:
	s_or_b64 exec, exec, s[36:37]
	s_and_saveexec_b64 s[36:37], s[6:7]
	s_cbranch_execz .LBB1059_179
.LBB1059_195:
	v_sub_u32_e32 v18, v28, v11
	v_mov_b32_e32 v19, 0
	v_lshlrev_b64 v[18:19], 1, v[18:19]
	v_add_co_u32_e32 v18, vcc, v15, v18
	v_addc_co_u32_e32 v19, vcc, v16, v19, vcc
	global_store_short v[18:19], v29, off
	s_or_b64 exec, exec, s[36:37]
	s_and_saveexec_b64 s[36:37], s[4:5]
	s_cbranch_execnz .LBB1059_180
.LBB1059_196:
	s_or_b64 exec, exec, s[36:37]
	s_and_saveexec_b64 s[36:37], s[2:3]
	s_cbranch_execz .LBB1059_198
.LBB1059_197:
	v_sub_u32_e32 v18, v8, v11
	v_mov_b32_e32 v19, 0
	v_lshlrev_b64 v[18:19], 1, v[18:19]
	v_add_co_u32_e32 v18, vcc, v15, v18
	v_addc_co_u32_e32 v19, vcc, v16, v19, vcc
	global_store_short v[18:19], v9, off
.LBB1059_198:
	s_or_b64 exec, exec, s[36:37]
	s_and_b64 s[36:37], s[0:1], exec
	s_andn2_saveexec_b64 s[30:31], s[30:31]
	s_cbranch_execnz .LBB1059_182
.LBB1059_199:
	s_or_b64 exec, exec, s[30:31]
	s_and_b64 exec, exec, s[36:37]
	s_cbranch_execz .LBB1059_201
.LBB1059_200:
	v_sub_u32_e32 v18, v2, v11
	v_mov_b32_e32 v19, 0
	v_lshlrev_b64 v[18:19], 1, v[18:19]
	v_add_co_u32_e32 v18, vcc, v15, v18
	v_addc_co_u32_e32 v19, vcc, v16, v19, vcc
	global_store_short v[18:19], v3, off
.LBB1059_201:
	s_or_b64 exec, exec, s[34:35]
	s_mov_b64 s[34:35], 0
.LBB1059_202:
	s_and_b64 vcc, exec, s[34:35]
	s_cbranch_vccz .LBB1059_254
; %bb.203:
	v_cmp_gt_i16_e32 vcc, 2, v12
	s_and_saveexec_b64 s[30:31], vcc
	s_cbranch_execz .LBB1059_238
; %bb.204:
	v_cmp_ne_u16_e32 vcc, 1, v12
	s_mov_b64 s[36:37], 0
	s_and_saveexec_b64 s[34:35], vcc
	s_xor_b64 s[34:35], exec, s[34:35]
	s_cbranch_execz .LBB1059_219
; %bb.205:
	s_and_saveexec_b64 s[36:37], s[28:29]
	s_cbranch_execz .LBB1059_221
; %bb.206:
	v_sub_u32_e32 v12, v50, v11
	v_lshlrev_b32_e32 v12, 1, v12
	ds_write_b16 v12, v51
	s_or_b64 exec, exec, s[36:37]
	s_and_saveexec_b64 s[28:29], s[26:27]
	s_cbranch_execnz .LBB1059_222
.LBB1059_207:
	s_or_b64 exec, exec, s[28:29]
	s_and_saveexec_b64 s[26:27], s[24:25]
	s_cbranch_execz .LBB1059_223
.LBB1059_208:
	v_sub_u32_e32 v12, v46, v11
	v_lshlrev_b32_e32 v12, 1, v12
	ds_write_b16 v12, v47
	s_or_b64 exec, exec, s[26:27]
	s_and_saveexec_b64 s[24:25], s[22:23]
	s_cbranch_execnz .LBB1059_224
.LBB1059_209:
	s_or_b64 exec, exec, s[24:25]
	s_and_saveexec_b64 s[22:23], s[20:21]
	s_cbranch_execz .LBB1059_225
.LBB1059_210:
	v_sub_u32_e32 v12, v42, v11
	v_lshlrev_b32_e32 v12, 1, v12
	ds_write_b16 v12, v43
	s_or_b64 exec, exec, s[22:23]
	s_and_saveexec_b64 s[20:21], s[18:19]
	s_cbranch_execnz .LBB1059_226
.LBB1059_211:
	s_or_b64 exec, exec, s[20:21]
	s_and_saveexec_b64 s[18:19], s[16:17]
	s_cbranch_execz .LBB1059_227
.LBB1059_212:
	v_sub_u32_e32 v12, v38, v11
	v_lshlrev_b32_e32 v12, 1, v12
	ds_write_b16 v12, v39
	s_or_b64 exec, exec, s[18:19]
	s_and_saveexec_b64 s[16:17], s[14:15]
	s_cbranch_execnz .LBB1059_228
.LBB1059_213:
	s_or_b64 exec, exec, s[16:17]
	s_and_saveexec_b64 s[14:15], s[12:13]
	s_cbranch_execz .LBB1059_229
.LBB1059_214:
	v_sub_u32_e32 v12, v34, v11
	v_lshlrev_b32_e32 v12, 1, v12
	ds_write_b16 v12, v35
	s_or_b64 exec, exec, s[14:15]
	s_and_saveexec_b64 s[12:13], s[10:11]
	s_cbranch_execnz .LBB1059_230
.LBB1059_215:
	s_or_b64 exec, exec, s[12:13]
	s_and_saveexec_b64 s[10:11], s[8:9]
	s_cbranch_execz .LBB1059_231
.LBB1059_216:
	v_sub_u32_e32 v12, v30, v11
	v_lshlrev_b32_e32 v12, 1, v12
	ds_write_b16 v12, v31
	s_or_b64 exec, exec, s[10:11]
	s_and_saveexec_b64 s[8:9], s[6:7]
	s_cbranch_execnz .LBB1059_232
.LBB1059_217:
	s_or_b64 exec, exec, s[8:9]
	s_and_saveexec_b64 s[6:7], s[4:5]
	s_cbranch_execz .LBB1059_233
.LBB1059_218:
	v_sub_u32_e32 v12, v26, v11
	v_lshlrev_b32_e32 v12, 1, v12
	ds_write_b16 v12, v27
	s_or_b64 exec, exec, s[6:7]
	s_and_saveexec_b64 s[4:5], s[2:3]
	s_cbranch_execnz .LBB1059_234
	s_branch .LBB1059_235
.LBB1059_219:
	s_andn2_saveexec_b64 s[0:1], s[34:35]
	s_cbranch_execz .LBB1059_236
.LBB1059_220:
	v_sub_u32_e32 v12, v50, v11
	v_lshlrev_b32_e32 v12, 1, v12
	ds_write_b16 v12, v51
	v_sub_u32_e32 v12, v48, v11
	v_lshlrev_b32_e32 v12, 1, v12
	ds_write_b16 v12, v49
	;; [unrolled: 3-line block ×12, first 2 shown]
	v_sub_u32_e32 v12, v26, v11
	v_sub_u32_e32 v8, v8, v11
	v_lshlrev_b32_e32 v12, 1, v12
	v_lshlrev_b32_e32 v8, 1, v8
	s_or_b64 s[36:37], s[36:37], exec
	ds_write_b16 v12, v27
	ds_write_b16 v8, v9
	s_or_b64 exec, exec, s[0:1]
	s_and_b64 exec, exec, s[36:37]
	s_cbranch_execnz .LBB1059_237
	s_branch .LBB1059_238
.LBB1059_221:
	s_or_b64 exec, exec, s[36:37]
	s_and_saveexec_b64 s[28:29], s[26:27]
	s_cbranch_execz .LBB1059_207
.LBB1059_222:
	v_sub_u32_e32 v12, v48, v11
	v_lshlrev_b32_e32 v12, 1, v12
	ds_write_b16 v12, v49
	s_or_b64 exec, exec, s[28:29]
	s_and_saveexec_b64 s[26:27], s[24:25]
	s_cbranch_execnz .LBB1059_208
.LBB1059_223:
	s_or_b64 exec, exec, s[26:27]
	s_and_saveexec_b64 s[24:25], s[22:23]
	s_cbranch_execz .LBB1059_209
.LBB1059_224:
	v_sub_u32_e32 v12, v44, v11
	v_lshlrev_b32_e32 v12, 1, v12
	ds_write_b16 v12, v45
	s_or_b64 exec, exec, s[24:25]
	s_and_saveexec_b64 s[22:23], s[20:21]
	s_cbranch_execnz .LBB1059_210
.LBB1059_225:
	s_or_b64 exec, exec, s[22:23]
	s_and_saveexec_b64 s[20:21], s[18:19]
	s_cbranch_execz .LBB1059_211
.LBB1059_226:
	v_sub_u32_e32 v12, v40, v11
	v_lshlrev_b32_e32 v12, 1, v12
	ds_write_b16 v12, v41
	s_or_b64 exec, exec, s[20:21]
	s_and_saveexec_b64 s[18:19], s[16:17]
	s_cbranch_execnz .LBB1059_212
.LBB1059_227:
	s_or_b64 exec, exec, s[18:19]
	s_and_saveexec_b64 s[16:17], s[14:15]
	s_cbranch_execz .LBB1059_213
.LBB1059_228:
	v_sub_u32_e32 v12, v36, v11
	v_lshlrev_b32_e32 v12, 1, v12
	ds_write_b16 v12, v37
	s_or_b64 exec, exec, s[16:17]
	s_and_saveexec_b64 s[14:15], s[12:13]
	s_cbranch_execnz .LBB1059_214
.LBB1059_229:
	s_or_b64 exec, exec, s[14:15]
	s_and_saveexec_b64 s[12:13], s[10:11]
	s_cbranch_execz .LBB1059_215
.LBB1059_230:
	v_sub_u32_e32 v12, v32, v11
	v_lshlrev_b32_e32 v12, 1, v12
	ds_write_b16 v12, v33
	s_or_b64 exec, exec, s[12:13]
	s_and_saveexec_b64 s[10:11], s[8:9]
	s_cbranch_execnz .LBB1059_216
.LBB1059_231:
	s_or_b64 exec, exec, s[10:11]
	s_and_saveexec_b64 s[8:9], s[6:7]
	s_cbranch_execz .LBB1059_217
.LBB1059_232:
	v_sub_u32_e32 v12, v28, v11
	v_lshlrev_b32_e32 v12, 1, v12
	ds_write_b16 v12, v29
	s_or_b64 exec, exec, s[8:9]
	s_and_saveexec_b64 s[6:7], s[4:5]
	s_cbranch_execnz .LBB1059_218
.LBB1059_233:
	s_or_b64 exec, exec, s[6:7]
	s_and_saveexec_b64 s[4:5], s[2:3]
	s_cbranch_execz .LBB1059_235
.LBB1059_234:
	v_sub_u32_e32 v8, v8, v11
	v_lshlrev_b32_e32 v8, 1, v8
	ds_write_b16 v8, v9
.LBB1059_235:
	s_or_b64 exec, exec, s[4:5]
	s_and_b64 s[36:37], s[0:1], exec
                                        ; implicit-def: $vgpr50_vgpr51
                                        ; implicit-def: $vgpr48_vgpr49
                                        ; implicit-def: $vgpr46_vgpr47
                                        ; implicit-def: $vgpr44_vgpr45
                                        ; implicit-def: $vgpr42_vgpr43
                                        ; implicit-def: $vgpr40_vgpr41
                                        ; implicit-def: $vgpr38_vgpr39
                                        ; implicit-def: $vgpr36_vgpr37
                                        ; implicit-def: $vgpr34_vgpr35
                                        ; implicit-def: $vgpr32_vgpr33
                                        ; implicit-def: $vgpr30_vgpr31
                                        ; implicit-def: $vgpr28_vgpr29
                                        ; implicit-def: $vgpr26_vgpr27
                                        ; implicit-def: $vgpr8_vgpr9
	s_andn2_saveexec_b64 s[0:1], s[34:35]
	s_cbranch_execnz .LBB1059_220
.LBB1059_236:
	s_or_b64 exec, exec, s[0:1]
	s_and_b64 exec, exec, s[36:37]
	s_cbranch_execz .LBB1059_238
.LBB1059_237:
	v_sub_u32_e32 v2, v2, v11
	v_lshlrev_b32_e32 v2, 1, v2
	ds_write_b16 v2, v3
.LBB1059_238:
	s_or_b64 exec, exec, s[30:31]
	v_cmp_lt_u32_e32 vcc, v0, v5
	s_waitcnt lgkmcnt(0)
	s_barrier
	s_and_saveexec_b64 s[2:3], vcc
	s_cbranch_execz .LBB1059_253
; %bb.239:
	v_add_u32_e32 v8, v4, v10
	v_xad_u32 v2, v0, -1, v8
	v_sub_u32_e32 v3, v2, v1
	s_movk_i32 s0, 0x1b00
	v_cmp_gt_u32_e64 s[4:5], s0, v3
	s_movk_i32 s0, 0x1aff
	v_cmp_lt_u32_e32 vcc, s0, v3
	v_mov_b32_e32 v2, v0
	s_and_saveexec_b64 s[6:7], vcc
	s_cbranch_execz .LBB1059_250
; %bb.240:
	v_sub_u32_e32 v2, v0, v8
	v_add_u32_e32 v1, v2, v1
	v_or_b32_e32 v1, 0xff, v1
	v_cmp_ge_u32_e32 vcc, v1, v0
	s_mov_b64 s[0:1], -1
	v_mov_b32_e32 v2, v0
	s_and_saveexec_b64 s[8:9], vcc
	s_cbranch_execz .LBB1059_249
; %bb.241:
	v_lshrrev_b32_e32 v17, 8, v3
	v_add_u32_e32 v8, -3, v17
	v_or_b32_e32 v3, 0x300, v0
	v_or_b32_e32 v2, 0x200, v0
	v_lshrrev_b32_e32 v9, 2, v8
	v_or_b32_e32 v1, 0x100, v0
	v_add_u32_e32 v19, 1, v9
	v_cmp_lt_u32_e32 vcc, 11, v8
	v_pk_mov_b32 v[10:11], v[2:3], v[2:3] op_sel:[0,1]
	v_mov_b32_e32 v22, 0
	v_lshlrev_b32_e32 v18, 1, v0
	v_pk_mov_b32 v[8:9], v[0:1], v[0:1] op_sel:[0,1]
	s_and_saveexec_b64 s[10:11], vcc
	s_cbranch_execz .LBB1059_245
; %bb.242:
	v_pk_mov_b32 v[10:11], v[2:3], v[2:3] op_sel:[0,1]
	v_and_b32_e32 v20, 0x7ffffffc, v19
	s_mov_b32 s14, 0
	s_mov_b64 s[12:13], 0
	v_mov_b32_e32 v13, 0
	v_mov_b32_e32 v21, v18
	v_pk_mov_b32 v[8:9], v[0:1], v[0:1] op_sel:[0,1]
.LBB1059_243:                           ; =>This Inner Loop Header: Depth=1
	v_mov_b32_e32 v12, v8
	v_lshlrev_b64 v[40:41], 1, v[12:13]
	v_add_u32_e32 v26, 0x400, v9
	v_mov_b32_e32 v27, v13
	v_add_co_u32_e64 v40, s[0:1], v15, v40
	v_lshlrev_b64 v[26:27], 1, v[26:27]
	v_addc_co_u32_e64 v41, s[0:1], v16, v41, s[0:1]
	v_add_u32_e32 v22, 0x400, v10
	v_mov_b32_e32 v23, v13
	v_add_co_u32_e64 v26, s[0:1], v15, v26
	v_lshlrev_b64 v[42:43], 1, v[22:23]
	v_addc_co_u32_e64 v27, s[0:1], v16, v27, s[0:1]
	v_add_u32_e32 v2, 0x400, v11
	v_mov_b32_e32 v3, v13
	v_add_co_u32_e64 v42, s[0:1], v15, v42
	v_add_u32_e32 v20, -4, v20
	v_mov_b32_e32 v12, v9
	v_lshlrev_b64 v[2:3], 1, v[2:3]
	v_addc_co_u32_e64 v43, s[0:1], v16, v43, s[0:1]
	v_add_u32_e32 v32, 0x800, v9
	v_mov_b32_e32 v33, v13
	s_add_i32 s14, s14, 16
	v_cmp_eq_u32_e32 vcc, 0, v20
	v_lshlrev_b64 v[44:45], 1, v[12:13]
	v_add_co_u32_e64 v2, s[0:1], v15, v2
	v_lshlrev_b64 v[32:33], 1, v[32:33]
	v_mov_b32_e32 v12, v10
	v_addc_co_u32_e64 v3, s[0:1], v16, v3, s[0:1]
	s_or_b64 s[12:13], vcc, s[12:13]
	v_add_co_u32_e32 v44, vcc, v15, v44
	v_add_u32_e32 v30, 0x800, v10
	v_mov_b32_e32 v31, v13
	v_add_co_u32_e64 v32, s[0:1], v15, v32
	v_addc_co_u32_e32 v45, vcc, v16, v45, vcc
	v_lshlrev_b64 v[46:47], 1, v[12:13]
	v_lshlrev_b64 v[30:31], 1, v[30:31]
	v_addc_co_u32_e64 v33, s[0:1], v16, v33, s[0:1]
	v_mov_b32_e32 v12, v11
	v_add_co_u32_e32 v46, vcc, v15, v46
	ds_read_u16 v1, v21
	ds_read_u16 v50, v21 offset:512
	ds_read_u16 v51, v21 offset:1024
	;; [unrolled: 1-line block ×7, first 2 shown]
	v_add_u32_e32 v28, 0x800, v11
	v_mov_b32_e32 v29, v13
	v_add_co_u32_e64 v30, s[0:1], v15, v30
	v_addc_co_u32_e32 v47, vcc, v16, v47, vcc
	v_lshlrev_b64 v[48:49], 1, v[12:13]
	v_lshlrev_b64 v[28:29], 1, v[28:29]
	v_addc_co_u32_e64 v31, s[0:1], v16, v31, s[0:1]
	v_add_u32_e32 v12, 0x400, v8
	v_add_co_u32_e32 v48, vcc, v15, v48
	v_add_u32_e32 v38, 0xc00, v9
	v_mov_b32_e32 v39, v13
	ds_read_u16 v57, v21 offset:4096
	ds_read_u16 v58, v21 offset:4608
	;; [unrolled: 1-line block ×8, first 2 shown]
	v_add_co_u32_e64 v28, s[0:1], v15, v28
	v_addc_co_u32_e32 v49, vcc, v16, v49, vcc
	s_waitcnt lgkmcnt(14)
	global_store_short v[40:41], v1, off
	global_store_short v[44:45], v50, off
	s_waitcnt lgkmcnt(13)
	global_store_short v[46:47], v51, off
	v_lshlrev_b64 v[40:41], 1, v[12:13]
	v_lshlrev_b64 v[38:39], 1, v[38:39]
	v_addc_co_u32_e64 v29, s[0:1], v16, v29, s[0:1]
	v_add_u32_e32 v12, 0x800, v8
	v_add_co_u32_e32 v40, vcc, v15, v40
	v_add_u32_e32 v36, 0xc00, v10
	v_mov_b32_e32 v37, v13
	v_add_co_u32_e64 v38, s[0:1], v15, v38
	v_addc_co_u32_e32 v41, vcc, v16, v41, vcc
	v_lshlrev_b64 v[44:45], 1, v[12:13]
	v_lshlrev_b64 v[36:37], 1, v[36:37]
	v_addc_co_u32_e64 v39, s[0:1], v16, v39, s[0:1]
	s_waitcnt lgkmcnt(12)
	global_store_short v[48:49], v52, off
	v_add_u32_e32 v12, 0xc00, v8
	s_waitcnt lgkmcnt(11)
	global_store_short v[40:41], v53, off
	s_waitcnt lgkmcnt(10)
	global_store_short v[26:27], v54, off
	;; [unrolled: 2-line block ×4, first 2 shown]
	v_add_co_u32_e32 v2, vcc, v15, v44
	v_add_u32_e32 v34, 0xc00, v11
	v_mov_b32_e32 v35, v13
	v_add_co_u32_e64 v36, s[0:1], v15, v36
	v_addc_co_u32_e32 v3, vcc, v16, v45, vcc
	v_lshlrev_b64 v[26:27], 1, v[12:13]
	v_lshlrev_b64 v[34:35], 1, v[34:35]
	v_addc_co_u32_e64 v37, s[0:1], v16, v37, s[0:1]
	s_waitcnt lgkmcnt(7)
	global_store_short v[2:3], v57, off
	s_waitcnt lgkmcnt(6)
	global_store_short v[32:33], v58, off
	;; [unrolled: 2-line block ×4, first 2 shown]
	v_add_co_u32_e32 v2, vcc, v15, v26
	v_add_u32_e32 v21, 0x2000, v21
	v_add_u32_e32 v9, 0x1000, v9
	v_mov_b32_e32 v22, s14
	v_add_co_u32_e64 v34, s[0:1], v15, v34
	v_add_u32_e32 v10, 0x1000, v10
	v_add_u32_e32 v11, 0x1000, v11
	;; [unrolled: 1-line block ×3, first 2 shown]
	v_addc_co_u32_e32 v3, vcc, v16, v27, vcc
	v_addc_co_u32_e64 v35, s[0:1], v16, v35, s[0:1]
	s_waitcnt lgkmcnt(3)
	global_store_short v[2:3], v61, off
	s_waitcnt lgkmcnt(2)
	global_store_short v[38:39], v62, off
	;; [unrolled: 2-line block ×4, first 2 shown]
	s_andn2_b64 exec, exec, s[12:13]
	s_cbranch_execnz .LBB1059_243
; %bb.244:
	s_or_b64 exec, exec, s[12:13]
.LBB1059_245:
	s_or_b64 exec, exec, s[10:11]
	v_and_b32_e32 v1, 3, v19
	v_cmp_ne_u32_e32 vcc, 0, v1
	s_and_saveexec_b64 s[10:11], vcc
	s_cbranch_execz .LBB1059_248
; %bb.246:
	v_lshl_or_b32 v12, v22, 9, v18
	s_mov_b64 s[12:13], 0
	v_mov_b32_e32 v3, 0
.LBB1059_247:                           ; =>This Inner Loop Header: Depth=1
	v_mov_b32_e32 v2, v8
	v_add_u32_e32 v1, -1, v1
	v_lshlrev_b64 v[18:19], 1, v[2:3]
	v_mov_b32_e32 v2, v9
	v_cmp_eq_u32_e32 vcc, 0, v1
	v_lshlrev_b64 v[20:21], 1, v[2:3]
	ds_read_u16 v13, v12
	ds_read_u16 v28, v12 offset:512
	ds_read_u16 v29, v12 offset:1024
	;; [unrolled: 1-line block ×3, first 2 shown]
	v_mov_b32_e32 v2, v10
	s_or_b64 s[12:13], vcc, s[12:13]
	v_add_co_u32_e32 v20, vcc, v15, v20
	v_addc_co_u32_e32 v21, vcc, v16, v21, vcc
	v_lshlrev_b64 v[22:23], 1, v[2:3]
	v_mov_b32_e32 v2, v11
	v_add_co_u32_e32 v22, vcc, v15, v22
	v_add_co_u32_e64 v18, s[0:1], v15, v18
	v_addc_co_u32_e32 v23, vcc, v16, v23, vcc
	v_lshlrev_b64 v[26:27], 1, v[2:3]
	v_add_u32_e32 v8, 0x400, v8
	v_add_u32_e32 v12, 0x800, v12
	v_add_u32_e32 v9, 0x400, v9
	v_addc_co_u32_e64 v19, s[0:1], v16, v19, s[0:1]
	v_add_u32_e32 v10, 0x400, v10
	v_add_u32_e32 v11, 0x400, v11
	v_add_co_u32_e32 v26, vcc, v15, v26
	v_addc_co_u32_e32 v27, vcc, v16, v27, vcc
	s_waitcnt lgkmcnt(3)
	global_store_short v[18:19], v13, off
	s_waitcnt lgkmcnt(2)
	global_store_short v[20:21], v28, off
	;; [unrolled: 2-line block ×4, first 2 shown]
	s_andn2_b64 exec, exec, s[12:13]
	s_cbranch_execnz .LBB1059_247
.LBB1059_248:
	s_or_b64 exec, exec, s[10:11]
	v_add_u32_e32 v1, 1, v17
	v_and_b32_e32 v3, 0x1fffffc, v1
	v_cmp_ne_u32_e32 vcc, v1, v3
	v_lshl_or_b32 v2, v3, 8, v0
	s_orn2_b64 s[0:1], vcc, exec
.LBB1059_249:
	s_or_b64 exec, exec, s[8:9]
	s_andn2_b64 s[4:5], s[4:5], exec
	s_and_b64 s[0:1], s[0:1], exec
	s_or_b64 s[4:5], s[4:5], s[0:1]
.LBB1059_250:
	s_or_b64 exec, exec, s[6:7]
	s_and_b64 exec, exec, s[4:5]
	s_cbranch_execz .LBB1059_253
; %bb.251:
	v_lshlrev_b32_e32 v1, 1, v2
	s_mov_b64 s[0:1], 0
	v_mov_b32_e32 v3, 0
.LBB1059_252:                           ; =>This Inner Loop Header: Depth=1
	v_lshlrev_b64 v[8:9], 1, v[2:3]
	ds_read_u16 v10, v1
	v_add_co_u32_e32 v8, vcc, v15, v8
	v_add_u32_e32 v2, 0x100, v2
	v_addc_co_u32_e32 v9, vcc, v16, v9, vcc
	v_cmp_ge_u32_e32 vcc, v2, v5
	v_add_u32_e32 v1, 0x200, v1
	s_or_b64 s[0:1], vcc, s[0:1]
	s_waitcnt lgkmcnt(0)
	global_store_short v[8:9], v10, off
	s_andn2_b64 exec, exec, s[0:1]
	s_cbranch_execnz .LBB1059_252
.LBB1059_253:
	s_or_b64 exec, exec, s[2:3]
.LBB1059_254:
	s_movk_i32 s0, 0xff
	v_cmp_eq_u32_e32 vcc, s0, v0
	s_and_b64 s[0:1], vcc, s[48:49]
	s_and_saveexec_b64 s[2:3], s[0:1]
	s_cbranch_execz .LBB1059_257
; %bb.255:
	v_add_co_u32_e32 v0, vcc, v4, v6
	v_addc_co_u32_e64 v1, s[0:1], 0, 0, vcc
	v_add_co_u32_e32 v0, vcc, v0, v24
	v_mov_b32_e32 v5, 0
	v_addc_co_u32_e32 v1, vcc, v1, v25, vcc
	s_cmpk_lg_i32 s33, 0xf00
	global_store_dwordx2 v5, v[0:1], s[42:43]
	s_cbranch_scc1 .LBB1059_257
; %bb.256:
	v_lshlrev_b64 v[0:1], 1, v[4:5]
	v_add_co_u32_e32 v0, vcc, v7, v0
	v_addc_co_u32_e32 v1, vcc, v14, v1, vcc
	global_store_short v[0:1], v81, off offset:-2
.LBB1059_257:
	s_endpgm
	.section	.rodata,"a",@progbits
	.p2align	6, 0x0
	.amdhsa_kernel _ZN7rocprim17ROCPRIM_400000_NS6detail17trampoline_kernelINS0_14default_configENS1_29reduce_by_key_config_selectorIjsN6thrust23THRUST_200600_302600_NS4plusIsEEEEZZNS1_33reduce_by_key_impl_wrapped_configILNS1_25lookback_scan_determinismE0ES3_S9_NS6_6detail15normal_iteratorINS6_10device_ptrIjEEEENSD_INSE_IsEEEENS6_16discard_iteratorINS6_11use_defaultEEESI_PmS8_NS6_8equal_toIjEEEE10hipError_tPvRmT2_T3_mT4_T5_T6_T7_T8_P12ihipStream_tbENKUlT_T0_E_clISt17integral_constantIbLb0EES16_EEDaS11_S12_EUlS11_E_NS1_11comp_targetILNS1_3genE4ELNS1_11target_archE910ELNS1_3gpuE8ELNS1_3repE0EEENS1_30default_config_static_selectorELNS0_4arch9wavefront6targetE1EEEvT1_
		.amdhsa_group_segment_fixed_size 15360
		.amdhsa_private_segment_fixed_size 0
		.amdhsa_kernarg_size 128
		.amdhsa_user_sgpr_count 6
		.amdhsa_user_sgpr_private_segment_buffer 1
		.amdhsa_user_sgpr_dispatch_ptr 0
		.amdhsa_user_sgpr_queue_ptr 0
		.amdhsa_user_sgpr_kernarg_segment_ptr 1
		.amdhsa_user_sgpr_dispatch_id 0
		.amdhsa_user_sgpr_flat_scratch_init 0
		.amdhsa_user_sgpr_kernarg_preload_length 0
		.amdhsa_user_sgpr_kernarg_preload_offset 0
		.amdhsa_user_sgpr_private_segment_size 0
		.amdhsa_uses_dynamic_stack 0
		.amdhsa_system_sgpr_private_segment_wavefront_offset 0
		.amdhsa_system_sgpr_workgroup_id_x 1
		.amdhsa_system_sgpr_workgroup_id_y 0
		.amdhsa_system_sgpr_workgroup_id_z 0
		.amdhsa_system_sgpr_workgroup_info 0
		.amdhsa_system_vgpr_workitem_id 0
		.amdhsa_next_free_vgpr 87
		.amdhsa_next_free_sgpr 60
		.amdhsa_accum_offset 88
		.amdhsa_reserve_vcc 1
		.amdhsa_reserve_flat_scratch 0
		.amdhsa_float_round_mode_32 0
		.amdhsa_float_round_mode_16_64 0
		.amdhsa_float_denorm_mode_32 3
		.amdhsa_float_denorm_mode_16_64 3
		.amdhsa_dx10_clamp 1
		.amdhsa_ieee_mode 1
		.amdhsa_fp16_overflow 0
		.amdhsa_tg_split 0
		.amdhsa_exception_fp_ieee_invalid_op 0
		.amdhsa_exception_fp_denorm_src 0
		.amdhsa_exception_fp_ieee_div_zero 0
		.amdhsa_exception_fp_ieee_overflow 0
		.amdhsa_exception_fp_ieee_underflow 0
		.amdhsa_exception_fp_ieee_inexact 0
		.amdhsa_exception_int_div_zero 0
	.end_amdhsa_kernel
	.section	.text._ZN7rocprim17ROCPRIM_400000_NS6detail17trampoline_kernelINS0_14default_configENS1_29reduce_by_key_config_selectorIjsN6thrust23THRUST_200600_302600_NS4plusIsEEEEZZNS1_33reduce_by_key_impl_wrapped_configILNS1_25lookback_scan_determinismE0ES3_S9_NS6_6detail15normal_iteratorINS6_10device_ptrIjEEEENSD_INSE_IsEEEENS6_16discard_iteratorINS6_11use_defaultEEESI_PmS8_NS6_8equal_toIjEEEE10hipError_tPvRmT2_T3_mT4_T5_T6_T7_T8_P12ihipStream_tbENKUlT_T0_E_clISt17integral_constantIbLb0EES16_EEDaS11_S12_EUlS11_E_NS1_11comp_targetILNS1_3genE4ELNS1_11target_archE910ELNS1_3gpuE8ELNS1_3repE0EEENS1_30default_config_static_selectorELNS0_4arch9wavefront6targetE1EEEvT1_,"axG",@progbits,_ZN7rocprim17ROCPRIM_400000_NS6detail17trampoline_kernelINS0_14default_configENS1_29reduce_by_key_config_selectorIjsN6thrust23THRUST_200600_302600_NS4plusIsEEEEZZNS1_33reduce_by_key_impl_wrapped_configILNS1_25lookback_scan_determinismE0ES3_S9_NS6_6detail15normal_iteratorINS6_10device_ptrIjEEEENSD_INSE_IsEEEENS6_16discard_iteratorINS6_11use_defaultEEESI_PmS8_NS6_8equal_toIjEEEE10hipError_tPvRmT2_T3_mT4_T5_T6_T7_T8_P12ihipStream_tbENKUlT_T0_E_clISt17integral_constantIbLb0EES16_EEDaS11_S12_EUlS11_E_NS1_11comp_targetILNS1_3genE4ELNS1_11target_archE910ELNS1_3gpuE8ELNS1_3repE0EEENS1_30default_config_static_selectorELNS0_4arch9wavefront6targetE1EEEvT1_,comdat
.Lfunc_end1059:
	.size	_ZN7rocprim17ROCPRIM_400000_NS6detail17trampoline_kernelINS0_14default_configENS1_29reduce_by_key_config_selectorIjsN6thrust23THRUST_200600_302600_NS4plusIsEEEEZZNS1_33reduce_by_key_impl_wrapped_configILNS1_25lookback_scan_determinismE0ES3_S9_NS6_6detail15normal_iteratorINS6_10device_ptrIjEEEENSD_INSE_IsEEEENS6_16discard_iteratorINS6_11use_defaultEEESI_PmS8_NS6_8equal_toIjEEEE10hipError_tPvRmT2_T3_mT4_T5_T6_T7_T8_P12ihipStream_tbENKUlT_T0_E_clISt17integral_constantIbLb0EES16_EEDaS11_S12_EUlS11_E_NS1_11comp_targetILNS1_3genE4ELNS1_11target_archE910ELNS1_3gpuE8ELNS1_3repE0EEENS1_30default_config_static_selectorELNS0_4arch9wavefront6targetE1EEEvT1_, .Lfunc_end1059-_ZN7rocprim17ROCPRIM_400000_NS6detail17trampoline_kernelINS0_14default_configENS1_29reduce_by_key_config_selectorIjsN6thrust23THRUST_200600_302600_NS4plusIsEEEEZZNS1_33reduce_by_key_impl_wrapped_configILNS1_25lookback_scan_determinismE0ES3_S9_NS6_6detail15normal_iteratorINS6_10device_ptrIjEEEENSD_INSE_IsEEEENS6_16discard_iteratorINS6_11use_defaultEEESI_PmS8_NS6_8equal_toIjEEEE10hipError_tPvRmT2_T3_mT4_T5_T6_T7_T8_P12ihipStream_tbENKUlT_T0_E_clISt17integral_constantIbLb0EES16_EEDaS11_S12_EUlS11_E_NS1_11comp_targetILNS1_3genE4ELNS1_11target_archE910ELNS1_3gpuE8ELNS1_3repE0EEENS1_30default_config_static_selectorELNS0_4arch9wavefront6targetE1EEEvT1_
                                        ; -- End function
	.section	.AMDGPU.csdata,"",@progbits
; Kernel info:
; codeLenInByte = 15364
; NumSgprs: 64
; NumVgprs: 87
; NumAgprs: 0
; TotalNumVgprs: 87
; ScratchSize: 0
; MemoryBound: 0
; FloatMode: 240
; IeeeMode: 1
; LDSByteSize: 15360 bytes/workgroup (compile time only)
; SGPRBlocks: 7
; VGPRBlocks: 10
; NumSGPRsForWavesPerEU: 64
; NumVGPRsForWavesPerEU: 87
; AccumOffset: 88
; Occupancy: 4
; WaveLimiterHint : 1
; COMPUTE_PGM_RSRC2:SCRATCH_EN: 0
; COMPUTE_PGM_RSRC2:USER_SGPR: 6
; COMPUTE_PGM_RSRC2:TRAP_HANDLER: 0
; COMPUTE_PGM_RSRC2:TGID_X_EN: 1
; COMPUTE_PGM_RSRC2:TGID_Y_EN: 0
; COMPUTE_PGM_RSRC2:TGID_Z_EN: 0
; COMPUTE_PGM_RSRC2:TIDIG_COMP_CNT: 0
; COMPUTE_PGM_RSRC3_GFX90A:ACCUM_OFFSET: 21
; COMPUTE_PGM_RSRC3_GFX90A:TG_SPLIT: 0
	.section	.text._ZN7rocprim17ROCPRIM_400000_NS6detail17trampoline_kernelINS0_14default_configENS1_29reduce_by_key_config_selectorIjsN6thrust23THRUST_200600_302600_NS4plusIsEEEEZZNS1_33reduce_by_key_impl_wrapped_configILNS1_25lookback_scan_determinismE0ES3_S9_NS6_6detail15normal_iteratorINS6_10device_ptrIjEEEENSD_INSE_IsEEEENS6_16discard_iteratorINS6_11use_defaultEEESI_PmS8_NS6_8equal_toIjEEEE10hipError_tPvRmT2_T3_mT4_T5_T6_T7_T8_P12ihipStream_tbENKUlT_T0_E_clISt17integral_constantIbLb0EES16_EEDaS11_S12_EUlS11_E_NS1_11comp_targetILNS1_3genE3ELNS1_11target_archE908ELNS1_3gpuE7ELNS1_3repE0EEENS1_30default_config_static_selectorELNS0_4arch9wavefront6targetE1EEEvT1_,"axG",@progbits,_ZN7rocprim17ROCPRIM_400000_NS6detail17trampoline_kernelINS0_14default_configENS1_29reduce_by_key_config_selectorIjsN6thrust23THRUST_200600_302600_NS4plusIsEEEEZZNS1_33reduce_by_key_impl_wrapped_configILNS1_25lookback_scan_determinismE0ES3_S9_NS6_6detail15normal_iteratorINS6_10device_ptrIjEEEENSD_INSE_IsEEEENS6_16discard_iteratorINS6_11use_defaultEEESI_PmS8_NS6_8equal_toIjEEEE10hipError_tPvRmT2_T3_mT4_T5_T6_T7_T8_P12ihipStream_tbENKUlT_T0_E_clISt17integral_constantIbLb0EES16_EEDaS11_S12_EUlS11_E_NS1_11comp_targetILNS1_3genE3ELNS1_11target_archE908ELNS1_3gpuE7ELNS1_3repE0EEENS1_30default_config_static_selectorELNS0_4arch9wavefront6targetE1EEEvT1_,comdat
	.protected	_ZN7rocprim17ROCPRIM_400000_NS6detail17trampoline_kernelINS0_14default_configENS1_29reduce_by_key_config_selectorIjsN6thrust23THRUST_200600_302600_NS4plusIsEEEEZZNS1_33reduce_by_key_impl_wrapped_configILNS1_25lookback_scan_determinismE0ES3_S9_NS6_6detail15normal_iteratorINS6_10device_ptrIjEEEENSD_INSE_IsEEEENS6_16discard_iteratorINS6_11use_defaultEEESI_PmS8_NS6_8equal_toIjEEEE10hipError_tPvRmT2_T3_mT4_T5_T6_T7_T8_P12ihipStream_tbENKUlT_T0_E_clISt17integral_constantIbLb0EES16_EEDaS11_S12_EUlS11_E_NS1_11comp_targetILNS1_3genE3ELNS1_11target_archE908ELNS1_3gpuE7ELNS1_3repE0EEENS1_30default_config_static_selectorELNS0_4arch9wavefront6targetE1EEEvT1_ ; -- Begin function _ZN7rocprim17ROCPRIM_400000_NS6detail17trampoline_kernelINS0_14default_configENS1_29reduce_by_key_config_selectorIjsN6thrust23THRUST_200600_302600_NS4plusIsEEEEZZNS1_33reduce_by_key_impl_wrapped_configILNS1_25lookback_scan_determinismE0ES3_S9_NS6_6detail15normal_iteratorINS6_10device_ptrIjEEEENSD_INSE_IsEEEENS6_16discard_iteratorINS6_11use_defaultEEESI_PmS8_NS6_8equal_toIjEEEE10hipError_tPvRmT2_T3_mT4_T5_T6_T7_T8_P12ihipStream_tbENKUlT_T0_E_clISt17integral_constantIbLb0EES16_EEDaS11_S12_EUlS11_E_NS1_11comp_targetILNS1_3genE3ELNS1_11target_archE908ELNS1_3gpuE7ELNS1_3repE0EEENS1_30default_config_static_selectorELNS0_4arch9wavefront6targetE1EEEvT1_
	.globl	_ZN7rocprim17ROCPRIM_400000_NS6detail17trampoline_kernelINS0_14default_configENS1_29reduce_by_key_config_selectorIjsN6thrust23THRUST_200600_302600_NS4plusIsEEEEZZNS1_33reduce_by_key_impl_wrapped_configILNS1_25lookback_scan_determinismE0ES3_S9_NS6_6detail15normal_iteratorINS6_10device_ptrIjEEEENSD_INSE_IsEEEENS6_16discard_iteratorINS6_11use_defaultEEESI_PmS8_NS6_8equal_toIjEEEE10hipError_tPvRmT2_T3_mT4_T5_T6_T7_T8_P12ihipStream_tbENKUlT_T0_E_clISt17integral_constantIbLb0EES16_EEDaS11_S12_EUlS11_E_NS1_11comp_targetILNS1_3genE3ELNS1_11target_archE908ELNS1_3gpuE7ELNS1_3repE0EEENS1_30default_config_static_selectorELNS0_4arch9wavefront6targetE1EEEvT1_
	.p2align	8
	.type	_ZN7rocprim17ROCPRIM_400000_NS6detail17trampoline_kernelINS0_14default_configENS1_29reduce_by_key_config_selectorIjsN6thrust23THRUST_200600_302600_NS4plusIsEEEEZZNS1_33reduce_by_key_impl_wrapped_configILNS1_25lookback_scan_determinismE0ES3_S9_NS6_6detail15normal_iteratorINS6_10device_ptrIjEEEENSD_INSE_IsEEEENS6_16discard_iteratorINS6_11use_defaultEEESI_PmS8_NS6_8equal_toIjEEEE10hipError_tPvRmT2_T3_mT4_T5_T6_T7_T8_P12ihipStream_tbENKUlT_T0_E_clISt17integral_constantIbLb0EES16_EEDaS11_S12_EUlS11_E_NS1_11comp_targetILNS1_3genE3ELNS1_11target_archE908ELNS1_3gpuE7ELNS1_3repE0EEENS1_30default_config_static_selectorELNS0_4arch9wavefront6targetE1EEEvT1_,@function
_ZN7rocprim17ROCPRIM_400000_NS6detail17trampoline_kernelINS0_14default_configENS1_29reduce_by_key_config_selectorIjsN6thrust23THRUST_200600_302600_NS4plusIsEEEEZZNS1_33reduce_by_key_impl_wrapped_configILNS1_25lookback_scan_determinismE0ES3_S9_NS6_6detail15normal_iteratorINS6_10device_ptrIjEEEENSD_INSE_IsEEEENS6_16discard_iteratorINS6_11use_defaultEEESI_PmS8_NS6_8equal_toIjEEEE10hipError_tPvRmT2_T3_mT4_T5_T6_T7_T8_P12ihipStream_tbENKUlT_T0_E_clISt17integral_constantIbLb0EES16_EEDaS11_S12_EUlS11_E_NS1_11comp_targetILNS1_3genE3ELNS1_11target_archE908ELNS1_3gpuE7ELNS1_3repE0EEENS1_30default_config_static_selectorELNS0_4arch9wavefront6targetE1EEEvT1_: ; @_ZN7rocprim17ROCPRIM_400000_NS6detail17trampoline_kernelINS0_14default_configENS1_29reduce_by_key_config_selectorIjsN6thrust23THRUST_200600_302600_NS4plusIsEEEEZZNS1_33reduce_by_key_impl_wrapped_configILNS1_25lookback_scan_determinismE0ES3_S9_NS6_6detail15normal_iteratorINS6_10device_ptrIjEEEENSD_INSE_IsEEEENS6_16discard_iteratorINS6_11use_defaultEEESI_PmS8_NS6_8equal_toIjEEEE10hipError_tPvRmT2_T3_mT4_T5_T6_T7_T8_P12ihipStream_tbENKUlT_T0_E_clISt17integral_constantIbLb0EES16_EEDaS11_S12_EUlS11_E_NS1_11comp_targetILNS1_3genE3ELNS1_11target_archE908ELNS1_3gpuE7ELNS1_3repE0EEENS1_30default_config_static_selectorELNS0_4arch9wavefront6targetE1EEEvT1_
; %bb.0:
	.section	.rodata,"a",@progbits
	.p2align	6, 0x0
	.amdhsa_kernel _ZN7rocprim17ROCPRIM_400000_NS6detail17trampoline_kernelINS0_14default_configENS1_29reduce_by_key_config_selectorIjsN6thrust23THRUST_200600_302600_NS4plusIsEEEEZZNS1_33reduce_by_key_impl_wrapped_configILNS1_25lookback_scan_determinismE0ES3_S9_NS6_6detail15normal_iteratorINS6_10device_ptrIjEEEENSD_INSE_IsEEEENS6_16discard_iteratorINS6_11use_defaultEEESI_PmS8_NS6_8equal_toIjEEEE10hipError_tPvRmT2_T3_mT4_T5_T6_T7_T8_P12ihipStream_tbENKUlT_T0_E_clISt17integral_constantIbLb0EES16_EEDaS11_S12_EUlS11_E_NS1_11comp_targetILNS1_3genE3ELNS1_11target_archE908ELNS1_3gpuE7ELNS1_3repE0EEENS1_30default_config_static_selectorELNS0_4arch9wavefront6targetE1EEEvT1_
		.amdhsa_group_segment_fixed_size 0
		.amdhsa_private_segment_fixed_size 0
		.amdhsa_kernarg_size 128
		.amdhsa_user_sgpr_count 6
		.amdhsa_user_sgpr_private_segment_buffer 1
		.amdhsa_user_sgpr_dispatch_ptr 0
		.amdhsa_user_sgpr_queue_ptr 0
		.amdhsa_user_sgpr_kernarg_segment_ptr 1
		.amdhsa_user_sgpr_dispatch_id 0
		.amdhsa_user_sgpr_flat_scratch_init 0
		.amdhsa_user_sgpr_kernarg_preload_length 0
		.amdhsa_user_sgpr_kernarg_preload_offset 0
		.amdhsa_user_sgpr_private_segment_size 0
		.amdhsa_uses_dynamic_stack 0
		.amdhsa_system_sgpr_private_segment_wavefront_offset 0
		.amdhsa_system_sgpr_workgroup_id_x 1
		.amdhsa_system_sgpr_workgroup_id_y 0
		.amdhsa_system_sgpr_workgroup_id_z 0
		.amdhsa_system_sgpr_workgroup_info 0
		.amdhsa_system_vgpr_workitem_id 0
		.amdhsa_next_free_vgpr 1
		.amdhsa_next_free_sgpr 0
		.amdhsa_accum_offset 4
		.amdhsa_reserve_vcc 0
		.amdhsa_reserve_flat_scratch 0
		.amdhsa_float_round_mode_32 0
		.amdhsa_float_round_mode_16_64 0
		.amdhsa_float_denorm_mode_32 3
		.amdhsa_float_denorm_mode_16_64 3
		.amdhsa_dx10_clamp 1
		.amdhsa_ieee_mode 1
		.amdhsa_fp16_overflow 0
		.amdhsa_tg_split 0
		.amdhsa_exception_fp_ieee_invalid_op 0
		.amdhsa_exception_fp_denorm_src 0
		.amdhsa_exception_fp_ieee_div_zero 0
		.amdhsa_exception_fp_ieee_overflow 0
		.amdhsa_exception_fp_ieee_underflow 0
		.amdhsa_exception_fp_ieee_inexact 0
		.amdhsa_exception_int_div_zero 0
	.end_amdhsa_kernel
	.section	.text._ZN7rocprim17ROCPRIM_400000_NS6detail17trampoline_kernelINS0_14default_configENS1_29reduce_by_key_config_selectorIjsN6thrust23THRUST_200600_302600_NS4plusIsEEEEZZNS1_33reduce_by_key_impl_wrapped_configILNS1_25lookback_scan_determinismE0ES3_S9_NS6_6detail15normal_iteratorINS6_10device_ptrIjEEEENSD_INSE_IsEEEENS6_16discard_iteratorINS6_11use_defaultEEESI_PmS8_NS6_8equal_toIjEEEE10hipError_tPvRmT2_T3_mT4_T5_T6_T7_T8_P12ihipStream_tbENKUlT_T0_E_clISt17integral_constantIbLb0EES16_EEDaS11_S12_EUlS11_E_NS1_11comp_targetILNS1_3genE3ELNS1_11target_archE908ELNS1_3gpuE7ELNS1_3repE0EEENS1_30default_config_static_selectorELNS0_4arch9wavefront6targetE1EEEvT1_,"axG",@progbits,_ZN7rocprim17ROCPRIM_400000_NS6detail17trampoline_kernelINS0_14default_configENS1_29reduce_by_key_config_selectorIjsN6thrust23THRUST_200600_302600_NS4plusIsEEEEZZNS1_33reduce_by_key_impl_wrapped_configILNS1_25lookback_scan_determinismE0ES3_S9_NS6_6detail15normal_iteratorINS6_10device_ptrIjEEEENSD_INSE_IsEEEENS6_16discard_iteratorINS6_11use_defaultEEESI_PmS8_NS6_8equal_toIjEEEE10hipError_tPvRmT2_T3_mT4_T5_T6_T7_T8_P12ihipStream_tbENKUlT_T0_E_clISt17integral_constantIbLb0EES16_EEDaS11_S12_EUlS11_E_NS1_11comp_targetILNS1_3genE3ELNS1_11target_archE908ELNS1_3gpuE7ELNS1_3repE0EEENS1_30default_config_static_selectorELNS0_4arch9wavefront6targetE1EEEvT1_,comdat
.Lfunc_end1060:
	.size	_ZN7rocprim17ROCPRIM_400000_NS6detail17trampoline_kernelINS0_14default_configENS1_29reduce_by_key_config_selectorIjsN6thrust23THRUST_200600_302600_NS4plusIsEEEEZZNS1_33reduce_by_key_impl_wrapped_configILNS1_25lookback_scan_determinismE0ES3_S9_NS6_6detail15normal_iteratorINS6_10device_ptrIjEEEENSD_INSE_IsEEEENS6_16discard_iteratorINS6_11use_defaultEEESI_PmS8_NS6_8equal_toIjEEEE10hipError_tPvRmT2_T3_mT4_T5_T6_T7_T8_P12ihipStream_tbENKUlT_T0_E_clISt17integral_constantIbLb0EES16_EEDaS11_S12_EUlS11_E_NS1_11comp_targetILNS1_3genE3ELNS1_11target_archE908ELNS1_3gpuE7ELNS1_3repE0EEENS1_30default_config_static_selectorELNS0_4arch9wavefront6targetE1EEEvT1_, .Lfunc_end1060-_ZN7rocprim17ROCPRIM_400000_NS6detail17trampoline_kernelINS0_14default_configENS1_29reduce_by_key_config_selectorIjsN6thrust23THRUST_200600_302600_NS4plusIsEEEEZZNS1_33reduce_by_key_impl_wrapped_configILNS1_25lookback_scan_determinismE0ES3_S9_NS6_6detail15normal_iteratorINS6_10device_ptrIjEEEENSD_INSE_IsEEEENS6_16discard_iteratorINS6_11use_defaultEEESI_PmS8_NS6_8equal_toIjEEEE10hipError_tPvRmT2_T3_mT4_T5_T6_T7_T8_P12ihipStream_tbENKUlT_T0_E_clISt17integral_constantIbLb0EES16_EEDaS11_S12_EUlS11_E_NS1_11comp_targetILNS1_3genE3ELNS1_11target_archE908ELNS1_3gpuE7ELNS1_3repE0EEENS1_30default_config_static_selectorELNS0_4arch9wavefront6targetE1EEEvT1_
                                        ; -- End function
	.section	.AMDGPU.csdata,"",@progbits
; Kernel info:
; codeLenInByte = 0
; NumSgprs: 4
; NumVgprs: 0
; NumAgprs: 0
; TotalNumVgprs: 0
; ScratchSize: 0
; MemoryBound: 0
; FloatMode: 240
; IeeeMode: 1
; LDSByteSize: 0 bytes/workgroup (compile time only)
; SGPRBlocks: 0
; VGPRBlocks: 0
; NumSGPRsForWavesPerEU: 4
; NumVGPRsForWavesPerEU: 1
; AccumOffset: 4
; Occupancy: 8
; WaveLimiterHint : 0
; COMPUTE_PGM_RSRC2:SCRATCH_EN: 0
; COMPUTE_PGM_RSRC2:USER_SGPR: 6
; COMPUTE_PGM_RSRC2:TRAP_HANDLER: 0
; COMPUTE_PGM_RSRC2:TGID_X_EN: 1
; COMPUTE_PGM_RSRC2:TGID_Y_EN: 0
; COMPUTE_PGM_RSRC2:TGID_Z_EN: 0
; COMPUTE_PGM_RSRC2:TIDIG_COMP_CNT: 0
; COMPUTE_PGM_RSRC3_GFX90A:ACCUM_OFFSET: 0
; COMPUTE_PGM_RSRC3_GFX90A:TG_SPLIT: 0
	.section	.text._ZN7rocprim17ROCPRIM_400000_NS6detail17trampoline_kernelINS0_14default_configENS1_29reduce_by_key_config_selectorIjsN6thrust23THRUST_200600_302600_NS4plusIsEEEEZZNS1_33reduce_by_key_impl_wrapped_configILNS1_25lookback_scan_determinismE0ES3_S9_NS6_6detail15normal_iteratorINS6_10device_ptrIjEEEENSD_INSE_IsEEEENS6_16discard_iteratorINS6_11use_defaultEEESI_PmS8_NS6_8equal_toIjEEEE10hipError_tPvRmT2_T3_mT4_T5_T6_T7_T8_P12ihipStream_tbENKUlT_T0_E_clISt17integral_constantIbLb0EES16_EEDaS11_S12_EUlS11_E_NS1_11comp_targetILNS1_3genE2ELNS1_11target_archE906ELNS1_3gpuE6ELNS1_3repE0EEENS1_30default_config_static_selectorELNS0_4arch9wavefront6targetE1EEEvT1_,"axG",@progbits,_ZN7rocprim17ROCPRIM_400000_NS6detail17trampoline_kernelINS0_14default_configENS1_29reduce_by_key_config_selectorIjsN6thrust23THRUST_200600_302600_NS4plusIsEEEEZZNS1_33reduce_by_key_impl_wrapped_configILNS1_25lookback_scan_determinismE0ES3_S9_NS6_6detail15normal_iteratorINS6_10device_ptrIjEEEENSD_INSE_IsEEEENS6_16discard_iteratorINS6_11use_defaultEEESI_PmS8_NS6_8equal_toIjEEEE10hipError_tPvRmT2_T3_mT4_T5_T6_T7_T8_P12ihipStream_tbENKUlT_T0_E_clISt17integral_constantIbLb0EES16_EEDaS11_S12_EUlS11_E_NS1_11comp_targetILNS1_3genE2ELNS1_11target_archE906ELNS1_3gpuE6ELNS1_3repE0EEENS1_30default_config_static_selectorELNS0_4arch9wavefront6targetE1EEEvT1_,comdat
	.protected	_ZN7rocprim17ROCPRIM_400000_NS6detail17trampoline_kernelINS0_14default_configENS1_29reduce_by_key_config_selectorIjsN6thrust23THRUST_200600_302600_NS4plusIsEEEEZZNS1_33reduce_by_key_impl_wrapped_configILNS1_25lookback_scan_determinismE0ES3_S9_NS6_6detail15normal_iteratorINS6_10device_ptrIjEEEENSD_INSE_IsEEEENS6_16discard_iteratorINS6_11use_defaultEEESI_PmS8_NS6_8equal_toIjEEEE10hipError_tPvRmT2_T3_mT4_T5_T6_T7_T8_P12ihipStream_tbENKUlT_T0_E_clISt17integral_constantIbLb0EES16_EEDaS11_S12_EUlS11_E_NS1_11comp_targetILNS1_3genE2ELNS1_11target_archE906ELNS1_3gpuE6ELNS1_3repE0EEENS1_30default_config_static_selectorELNS0_4arch9wavefront6targetE1EEEvT1_ ; -- Begin function _ZN7rocprim17ROCPRIM_400000_NS6detail17trampoline_kernelINS0_14default_configENS1_29reduce_by_key_config_selectorIjsN6thrust23THRUST_200600_302600_NS4plusIsEEEEZZNS1_33reduce_by_key_impl_wrapped_configILNS1_25lookback_scan_determinismE0ES3_S9_NS6_6detail15normal_iteratorINS6_10device_ptrIjEEEENSD_INSE_IsEEEENS6_16discard_iteratorINS6_11use_defaultEEESI_PmS8_NS6_8equal_toIjEEEE10hipError_tPvRmT2_T3_mT4_T5_T6_T7_T8_P12ihipStream_tbENKUlT_T0_E_clISt17integral_constantIbLb0EES16_EEDaS11_S12_EUlS11_E_NS1_11comp_targetILNS1_3genE2ELNS1_11target_archE906ELNS1_3gpuE6ELNS1_3repE0EEENS1_30default_config_static_selectorELNS0_4arch9wavefront6targetE1EEEvT1_
	.globl	_ZN7rocprim17ROCPRIM_400000_NS6detail17trampoline_kernelINS0_14default_configENS1_29reduce_by_key_config_selectorIjsN6thrust23THRUST_200600_302600_NS4plusIsEEEEZZNS1_33reduce_by_key_impl_wrapped_configILNS1_25lookback_scan_determinismE0ES3_S9_NS6_6detail15normal_iteratorINS6_10device_ptrIjEEEENSD_INSE_IsEEEENS6_16discard_iteratorINS6_11use_defaultEEESI_PmS8_NS6_8equal_toIjEEEE10hipError_tPvRmT2_T3_mT4_T5_T6_T7_T8_P12ihipStream_tbENKUlT_T0_E_clISt17integral_constantIbLb0EES16_EEDaS11_S12_EUlS11_E_NS1_11comp_targetILNS1_3genE2ELNS1_11target_archE906ELNS1_3gpuE6ELNS1_3repE0EEENS1_30default_config_static_selectorELNS0_4arch9wavefront6targetE1EEEvT1_
	.p2align	8
	.type	_ZN7rocprim17ROCPRIM_400000_NS6detail17trampoline_kernelINS0_14default_configENS1_29reduce_by_key_config_selectorIjsN6thrust23THRUST_200600_302600_NS4plusIsEEEEZZNS1_33reduce_by_key_impl_wrapped_configILNS1_25lookback_scan_determinismE0ES3_S9_NS6_6detail15normal_iteratorINS6_10device_ptrIjEEEENSD_INSE_IsEEEENS6_16discard_iteratorINS6_11use_defaultEEESI_PmS8_NS6_8equal_toIjEEEE10hipError_tPvRmT2_T3_mT4_T5_T6_T7_T8_P12ihipStream_tbENKUlT_T0_E_clISt17integral_constantIbLb0EES16_EEDaS11_S12_EUlS11_E_NS1_11comp_targetILNS1_3genE2ELNS1_11target_archE906ELNS1_3gpuE6ELNS1_3repE0EEENS1_30default_config_static_selectorELNS0_4arch9wavefront6targetE1EEEvT1_,@function
_ZN7rocprim17ROCPRIM_400000_NS6detail17trampoline_kernelINS0_14default_configENS1_29reduce_by_key_config_selectorIjsN6thrust23THRUST_200600_302600_NS4plusIsEEEEZZNS1_33reduce_by_key_impl_wrapped_configILNS1_25lookback_scan_determinismE0ES3_S9_NS6_6detail15normal_iteratorINS6_10device_ptrIjEEEENSD_INSE_IsEEEENS6_16discard_iteratorINS6_11use_defaultEEESI_PmS8_NS6_8equal_toIjEEEE10hipError_tPvRmT2_T3_mT4_T5_T6_T7_T8_P12ihipStream_tbENKUlT_T0_E_clISt17integral_constantIbLb0EES16_EEDaS11_S12_EUlS11_E_NS1_11comp_targetILNS1_3genE2ELNS1_11target_archE906ELNS1_3gpuE6ELNS1_3repE0EEENS1_30default_config_static_selectorELNS0_4arch9wavefront6targetE1EEEvT1_: ; @_ZN7rocprim17ROCPRIM_400000_NS6detail17trampoline_kernelINS0_14default_configENS1_29reduce_by_key_config_selectorIjsN6thrust23THRUST_200600_302600_NS4plusIsEEEEZZNS1_33reduce_by_key_impl_wrapped_configILNS1_25lookback_scan_determinismE0ES3_S9_NS6_6detail15normal_iteratorINS6_10device_ptrIjEEEENSD_INSE_IsEEEENS6_16discard_iteratorINS6_11use_defaultEEESI_PmS8_NS6_8equal_toIjEEEE10hipError_tPvRmT2_T3_mT4_T5_T6_T7_T8_P12ihipStream_tbENKUlT_T0_E_clISt17integral_constantIbLb0EES16_EEDaS11_S12_EUlS11_E_NS1_11comp_targetILNS1_3genE2ELNS1_11target_archE906ELNS1_3gpuE6ELNS1_3repE0EEENS1_30default_config_static_selectorELNS0_4arch9wavefront6targetE1EEEvT1_
; %bb.0:
	.section	.rodata,"a",@progbits
	.p2align	6, 0x0
	.amdhsa_kernel _ZN7rocprim17ROCPRIM_400000_NS6detail17trampoline_kernelINS0_14default_configENS1_29reduce_by_key_config_selectorIjsN6thrust23THRUST_200600_302600_NS4plusIsEEEEZZNS1_33reduce_by_key_impl_wrapped_configILNS1_25lookback_scan_determinismE0ES3_S9_NS6_6detail15normal_iteratorINS6_10device_ptrIjEEEENSD_INSE_IsEEEENS6_16discard_iteratorINS6_11use_defaultEEESI_PmS8_NS6_8equal_toIjEEEE10hipError_tPvRmT2_T3_mT4_T5_T6_T7_T8_P12ihipStream_tbENKUlT_T0_E_clISt17integral_constantIbLb0EES16_EEDaS11_S12_EUlS11_E_NS1_11comp_targetILNS1_3genE2ELNS1_11target_archE906ELNS1_3gpuE6ELNS1_3repE0EEENS1_30default_config_static_selectorELNS0_4arch9wavefront6targetE1EEEvT1_
		.amdhsa_group_segment_fixed_size 0
		.amdhsa_private_segment_fixed_size 0
		.amdhsa_kernarg_size 128
		.amdhsa_user_sgpr_count 6
		.amdhsa_user_sgpr_private_segment_buffer 1
		.amdhsa_user_sgpr_dispatch_ptr 0
		.amdhsa_user_sgpr_queue_ptr 0
		.amdhsa_user_sgpr_kernarg_segment_ptr 1
		.amdhsa_user_sgpr_dispatch_id 0
		.amdhsa_user_sgpr_flat_scratch_init 0
		.amdhsa_user_sgpr_kernarg_preload_length 0
		.amdhsa_user_sgpr_kernarg_preload_offset 0
		.amdhsa_user_sgpr_private_segment_size 0
		.amdhsa_uses_dynamic_stack 0
		.amdhsa_system_sgpr_private_segment_wavefront_offset 0
		.amdhsa_system_sgpr_workgroup_id_x 1
		.amdhsa_system_sgpr_workgroup_id_y 0
		.amdhsa_system_sgpr_workgroup_id_z 0
		.amdhsa_system_sgpr_workgroup_info 0
		.amdhsa_system_vgpr_workitem_id 0
		.amdhsa_next_free_vgpr 1
		.amdhsa_next_free_sgpr 0
		.amdhsa_accum_offset 4
		.amdhsa_reserve_vcc 0
		.amdhsa_reserve_flat_scratch 0
		.amdhsa_float_round_mode_32 0
		.amdhsa_float_round_mode_16_64 0
		.amdhsa_float_denorm_mode_32 3
		.amdhsa_float_denorm_mode_16_64 3
		.amdhsa_dx10_clamp 1
		.amdhsa_ieee_mode 1
		.amdhsa_fp16_overflow 0
		.amdhsa_tg_split 0
		.amdhsa_exception_fp_ieee_invalid_op 0
		.amdhsa_exception_fp_denorm_src 0
		.amdhsa_exception_fp_ieee_div_zero 0
		.amdhsa_exception_fp_ieee_overflow 0
		.amdhsa_exception_fp_ieee_underflow 0
		.amdhsa_exception_fp_ieee_inexact 0
		.amdhsa_exception_int_div_zero 0
	.end_amdhsa_kernel
	.section	.text._ZN7rocprim17ROCPRIM_400000_NS6detail17trampoline_kernelINS0_14default_configENS1_29reduce_by_key_config_selectorIjsN6thrust23THRUST_200600_302600_NS4plusIsEEEEZZNS1_33reduce_by_key_impl_wrapped_configILNS1_25lookback_scan_determinismE0ES3_S9_NS6_6detail15normal_iteratorINS6_10device_ptrIjEEEENSD_INSE_IsEEEENS6_16discard_iteratorINS6_11use_defaultEEESI_PmS8_NS6_8equal_toIjEEEE10hipError_tPvRmT2_T3_mT4_T5_T6_T7_T8_P12ihipStream_tbENKUlT_T0_E_clISt17integral_constantIbLb0EES16_EEDaS11_S12_EUlS11_E_NS1_11comp_targetILNS1_3genE2ELNS1_11target_archE906ELNS1_3gpuE6ELNS1_3repE0EEENS1_30default_config_static_selectorELNS0_4arch9wavefront6targetE1EEEvT1_,"axG",@progbits,_ZN7rocprim17ROCPRIM_400000_NS6detail17trampoline_kernelINS0_14default_configENS1_29reduce_by_key_config_selectorIjsN6thrust23THRUST_200600_302600_NS4plusIsEEEEZZNS1_33reduce_by_key_impl_wrapped_configILNS1_25lookback_scan_determinismE0ES3_S9_NS6_6detail15normal_iteratorINS6_10device_ptrIjEEEENSD_INSE_IsEEEENS6_16discard_iteratorINS6_11use_defaultEEESI_PmS8_NS6_8equal_toIjEEEE10hipError_tPvRmT2_T3_mT4_T5_T6_T7_T8_P12ihipStream_tbENKUlT_T0_E_clISt17integral_constantIbLb0EES16_EEDaS11_S12_EUlS11_E_NS1_11comp_targetILNS1_3genE2ELNS1_11target_archE906ELNS1_3gpuE6ELNS1_3repE0EEENS1_30default_config_static_selectorELNS0_4arch9wavefront6targetE1EEEvT1_,comdat
.Lfunc_end1061:
	.size	_ZN7rocprim17ROCPRIM_400000_NS6detail17trampoline_kernelINS0_14default_configENS1_29reduce_by_key_config_selectorIjsN6thrust23THRUST_200600_302600_NS4plusIsEEEEZZNS1_33reduce_by_key_impl_wrapped_configILNS1_25lookback_scan_determinismE0ES3_S9_NS6_6detail15normal_iteratorINS6_10device_ptrIjEEEENSD_INSE_IsEEEENS6_16discard_iteratorINS6_11use_defaultEEESI_PmS8_NS6_8equal_toIjEEEE10hipError_tPvRmT2_T3_mT4_T5_T6_T7_T8_P12ihipStream_tbENKUlT_T0_E_clISt17integral_constantIbLb0EES16_EEDaS11_S12_EUlS11_E_NS1_11comp_targetILNS1_3genE2ELNS1_11target_archE906ELNS1_3gpuE6ELNS1_3repE0EEENS1_30default_config_static_selectorELNS0_4arch9wavefront6targetE1EEEvT1_, .Lfunc_end1061-_ZN7rocprim17ROCPRIM_400000_NS6detail17trampoline_kernelINS0_14default_configENS1_29reduce_by_key_config_selectorIjsN6thrust23THRUST_200600_302600_NS4plusIsEEEEZZNS1_33reduce_by_key_impl_wrapped_configILNS1_25lookback_scan_determinismE0ES3_S9_NS6_6detail15normal_iteratorINS6_10device_ptrIjEEEENSD_INSE_IsEEEENS6_16discard_iteratorINS6_11use_defaultEEESI_PmS8_NS6_8equal_toIjEEEE10hipError_tPvRmT2_T3_mT4_T5_T6_T7_T8_P12ihipStream_tbENKUlT_T0_E_clISt17integral_constantIbLb0EES16_EEDaS11_S12_EUlS11_E_NS1_11comp_targetILNS1_3genE2ELNS1_11target_archE906ELNS1_3gpuE6ELNS1_3repE0EEENS1_30default_config_static_selectorELNS0_4arch9wavefront6targetE1EEEvT1_
                                        ; -- End function
	.section	.AMDGPU.csdata,"",@progbits
; Kernel info:
; codeLenInByte = 0
; NumSgprs: 4
; NumVgprs: 0
; NumAgprs: 0
; TotalNumVgprs: 0
; ScratchSize: 0
; MemoryBound: 0
; FloatMode: 240
; IeeeMode: 1
; LDSByteSize: 0 bytes/workgroup (compile time only)
; SGPRBlocks: 0
; VGPRBlocks: 0
; NumSGPRsForWavesPerEU: 4
; NumVGPRsForWavesPerEU: 1
; AccumOffset: 4
; Occupancy: 8
; WaveLimiterHint : 0
; COMPUTE_PGM_RSRC2:SCRATCH_EN: 0
; COMPUTE_PGM_RSRC2:USER_SGPR: 6
; COMPUTE_PGM_RSRC2:TRAP_HANDLER: 0
; COMPUTE_PGM_RSRC2:TGID_X_EN: 1
; COMPUTE_PGM_RSRC2:TGID_Y_EN: 0
; COMPUTE_PGM_RSRC2:TGID_Z_EN: 0
; COMPUTE_PGM_RSRC2:TIDIG_COMP_CNT: 0
; COMPUTE_PGM_RSRC3_GFX90A:ACCUM_OFFSET: 0
; COMPUTE_PGM_RSRC3_GFX90A:TG_SPLIT: 0
	.section	.text._ZN7rocprim17ROCPRIM_400000_NS6detail17trampoline_kernelINS0_14default_configENS1_29reduce_by_key_config_selectorIjsN6thrust23THRUST_200600_302600_NS4plusIsEEEEZZNS1_33reduce_by_key_impl_wrapped_configILNS1_25lookback_scan_determinismE0ES3_S9_NS6_6detail15normal_iteratorINS6_10device_ptrIjEEEENSD_INSE_IsEEEENS6_16discard_iteratorINS6_11use_defaultEEESI_PmS8_NS6_8equal_toIjEEEE10hipError_tPvRmT2_T3_mT4_T5_T6_T7_T8_P12ihipStream_tbENKUlT_T0_E_clISt17integral_constantIbLb0EES16_EEDaS11_S12_EUlS11_E_NS1_11comp_targetILNS1_3genE10ELNS1_11target_archE1201ELNS1_3gpuE5ELNS1_3repE0EEENS1_30default_config_static_selectorELNS0_4arch9wavefront6targetE1EEEvT1_,"axG",@progbits,_ZN7rocprim17ROCPRIM_400000_NS6detail17trampoline_kernelINS0_14default_configENS1_29reduce_by_key_config_selectorIjsN6thrust23THRUST_200600_302600_NS4plusIsEEEEZZNS1_33reduce_by_key_impl_wrapped_configILNS1_25lookback_scan_determinismE0ES3_S9_NS6_6detail15normal_iteratorINS6_10device_ptrIjEEEENSD_INSE_IsEEEENS6_16discard_iteratorINS6_11use_defaultEEESI_PmS8_NS6_8equal_toIjEEEE10hipError_tPvRmT2_T3_mT4_T5_T6_T7_T8_P12ihipStream_tbENKUlT_T0_E_clISt17integral_constantIbLb0EES16_EEDaS11_S12_EUlS11_E_NS1_11comp_targetILNS1_3genE10ELNS1_11target_archE1201ELNS1_3gpuE5ELNS1_3repE0EEENS1_30default_config_static_selectorELNS0_4arch9wavefront6targetE1EEEvT1_,comdat
	.protected	_ZN7rocprim17ROCPRIM_400000_NS6detail17trampoline_kernelINS0_14default_configENS1_29reduce_by_key_config_selectorIjsN6thrust23THRUST_200600_302600_NS4plusIsEEEEZZNS1_33reduce_by_key_impl_wrapped_configILNS1_25lookback_scan_determinismE0ES3_S9_NS6_6detail15normal_iteratorINS6_10device_ptrIjEEEENSD_INSE_IsEEEENS6_16discard_iteratorINS6_11use_defaultEEESI_PmS8_NS6_8equal_toIjEEEE10hipError_tPvRmT2_T3_mT4_T5_T6_T7_T8_P12ihipStream_tbENKUlT_T0_E_clISt17integral_constantIbLb0EES16_EEDaS11_S12_EUlS11_E_NS1_11comp_targetILNS1_3genE10ELNS1_11target_archE1201ELNS1_3gpuE5ELNS1_3repE0EEENS1_30default_config_static_selectorELNS0_4arch9wavefront6targetE1EEEvT1_ ; -- Begin function _ZN7rocprim17ROCPRIM_400000_NS6detail17trampoline_kernelINS0_14default_configENS1_29reduce_by_key_config_selectorIjsN6thrust23THRUST_200600_302600_NS4plusIsEEEEZZNS1_33reduce_by_key_impl_wrapped_configILNS1_25lookback_scan_determinismE0ES3_S9_NS6_6detail15normal_iteratorINS6_10device_ptrIjEEEENSD_INSE_IsEEEENS6_16discard_iteratorINS6_11use_defaultEEESI_PmS8_NS6_8equal_toIjEEEE10hipError_tPvRmT2_T3_mT4_T5_T6_T7_T8_P12ihipStream_tbENKUlT_T0_E_clISt17integral_constantIbLb0EES16_EEDaS11_S12_EUlS11_E_NS1_11comp_targetILNS1_3genE10ELNS1_11target_archE1201ELNS1_3gpuE5ELNS1_3repE0EEENS1_30default_config_static_selectorELNS0_4arch9wavefront6targetE1EEEvT1_
	.globl	_ZN7rocprim17ROCPRIM_400000_NS6detail17trampoline_kernelINS0_14default_configENS1_29reduce_by_key_config_selectorIjsN6thrust23THRUST_200600_302600_NS4plusIsEEEEZZNS1_33reduce_by_key_impl_wrapped_configILNS1_25lookback_scan_determinismE0ES3_S9_NS6_6detail15normal_iteratorINS6_10device_ptrIjEEEENSD_INSE_IsEEEENS6_16discard_iteratorINS6_11use_defaultEEESI_PmS8_NS6_8equal_toIjEEEE10hipError_tPvRmT2_T3_mT4_T5_T6_T7_T8_P12ihipStream_tbENKUlT_T0_E_clISt17integral_constantIbLb0EES16_EEDaS11_S12_EUlS11_E_NS1_11comp_targetILNS1_3genE10ELNS1_11target_archE1201ELNS1_3gpuE5ELNS1_3repE0EEENS1_30default_config_static_selectorELNS0_4arch9wavefront6targetE1EEEvT1_
	.p2align	8
	.type	_ZN7rocprim17ROCPRIM_400000_NS6detail17trampoline_kernelINS0_14default_configENS1_29reduce_by_key_config_selectorIjsN6thrust23THRUST_200600_302600_NS4plusIsEEEEZZNS1_33reduce_by_key_impl_wrapped_configILNS1_25lookback_scan_determinismE0ES3_S9_NS6_6detail15normal_iteratorINS6_10device_ptrIjEEEENSD_INSE_IsEEEENS6_16discard_iteratorINS6_11use_defaultEEESI_PmS8_NS6_8equal_toIjEEEE10hipError_tPvRmT2_T3_mT4_T5_T6_T7_T8_P12ihipStream_tbENKUlT_T0_E_clISt17integral_constantIbLb0EES16_EEDaS11_S12_EUlS11_E_NS1_11comp_targetILNS1_3genE10ELNS1_11target_archE1201ELNS1_3gpuE5ELNS1_3repE0EEENS1_30default_config_static_selectorELNS0_4arch9wavefront6targetE1EEEvT1_,@function
_ZN7rocprim17ROCPRIM_400000_NS6detail17trampoline_kernelINS0_14default_configENS1_29reduce_by_key_config_selectorIjsN6thrust23THRUST_200600_302600_NS4plusIsEEEEZZNS1_33reduce_by_key_impl_wrapped_configILNS1_25lookback_scan_determinismE0ES3_S9_NS6_6detail15normal_iteratorINS6_10device_ptrIjEEEENSD_INSE_IsEEEENS6_16discard_iteratorINS6_11use_defaultEEESI_PmS8_NS6_8equal_toIjEEEE10hipError_tPvRmT2_T3_mT4_T5_T6_T7_T8_P12ihipStream_tbENKUlT_T0_E_clISt17integral_constantIbLb0EES16_EEDaS11_S12_EUlS11_E_NS1_11comp_targetILNS1_3genE10ELNS1_11target_archE1201ELNS1_3gpuE5ELNS1_3repE0EEENS1_30default_config_static_selectorELNS0_4arch9wavefront6targetE1EEEvT1_: ; @_ZN7rocprim17ROCPRIM_400000_NS6detail17trampoline_kernelINS0_14default_configENS1_29reduce_by_key_config_selectorIjsN6thrust23THRUST_200600_302600_NS4plusIsEEEEZZNS1_33reduce_by_key_impl_wrapped_configILNS1_25lookback_scan_determinismE0ES3_S9_NS6_6detail15normal_iteratorINS6_10device_ptrIjEEEENSD_INSE_IsEEEENS6_16discard_iteratorINS6_11use_defaultEEESI_PmS8_NS6_8equal_toIjEEEE10hipError_tPvRmT2_T3_mT4_T5_T6_T7_T8_P12ihipStream_tbENKUlT_T0_E_clISt17integral_constantIbLb0EES16_EEDaS11_S12_EUlS11_E_NS1_11comp_targetILNS1_3genE10ELNS1_11target_archE1201ELNS1_3gpuE5ELNS1_3repE0EEENS1_30default_config_static_selectorELNS0_4arch9wavefront6targetE1EEEvT1_
; %bb.0:
	.section	.rodata,"a",@progbits
	.p2align	6, 0x0
	.amdhsa_kernel _ZN7rocprim17ROCPRIM_400000_NS6detail17trampoline_kernelINS0_14default_configENS1_29reduce_by_key_config_selectorIjsN6thrust23THRUST_200600_302600_NS4plusIsEEEEZZNS1_33reduce_by_key_impl_wrapped_configILNS1_25lookback_scan_determinismE0ES3_S9_NS6_6detail15normal_iteratorINS6_10device_ptrIjEEEENSD_INSE_IsEEEENS6_16discard_iteratorINS6_11use_defaultEEESI_PmS8_NS6_8equal_toIjEEEE10hipError_tPvRmT2_T3_mT4_T5_T6_T7_T8_P12ihipStream_tbENKUlT_T0_E_clISt17integral_constantIbLb0EES16_EEDaS11_S12_EUlS11_E_NS1_11comp_targetILNS1_3genE10ELNS1_11target_archE1201ELNS1_3gpuE5ELNS1_3repE0EEENS1_30default_config_static_selectorELNS0_4arch9wavefront6targetE1EEEvT1_
		.amdhsa_group_segment_fixed_size 0
		.amdhsa_private_segment_fixed_size 0
		.amdhsa_kernarg_size 128
		.amdhsa_user_sgpr_count 6
		.amdhsa_user_sgpr_private_segment_buffer 1
		.amdhsa_user_sgpr_dispatch_ptr 0
		.amdhsa_user_sgpr_queue_ptr 0
		.amdhsa_user_sgpr_kernarg_segment_ptr 1
		.amdhsa_user_sgpr_dispatch_id 0
		.amdhsa_user_sgpr_flat_scratch_init 0
		.amdhsa_user_sgpr_kernarg_preload_length 0
		.amdhsa_user_sgpr_kernarg_preload_offset 0
		.amdhsa_user_sgpr_private_segment_size 0
		.amdhsa_uses_dynamic_stack 0
		.amdhsa_system_sgpr_private_segment_wavefront_offset 0
		.amdhsa_system_sgpr_workgroup_id_x 1
		.amdhsa_system_sgpr_workgroup_id_y 0
		.amdhsa_system_sgpr_workgroup_id_z 0
		.amdhsa_system_sgpr_workgroup_info 0
		.amdhsa_system_vgpr_workitem_id 0
		.amdhsa_next_free_vgpr 1
		.amdhsa_next_free_sgpr 0
		.amdhsa_accum_offset 4
		.amdhsa_reserve_vcc 0
		.amdhsa_reserve_flat_scratch 0
		.amdhsa_float_round_mode_32 0
		.amdhsa_float_round_mode_16_64 0
		.amdhsa_float_denorm_mode_32 3
		.amdhsa_float_denorm_mode_16_64 3
		.amdhsa_dx10_clamp 1
		.amdhsa_ieee_mode 1
		.amdhsa_fp16_overflow 0
		.amdhsa_tg_split 0
		.amdhsa_exception_fp_ieee_invalid_op 0
		.amdhsa_exception_fp_denorm_src 0
		.amdhsa_exception_fp_ieee_div_zero 0
		.amdhsa_exception_fp_ieee_overflow 0
		.amdhsa_exception_fp_ieee_underflow 0
		.amdhsa_exception_fp_ieee_inexact 0
		.amdhsa_exception_int_div_zero 0
	.end_amdhsa_kernel
	.section	.text._ZN7rocprim17ROCPRIM_400000_NS6detail17trampoline_kernelINS0_14default_configENS1_29reduce_by_key_config_selectorIjsN6thrust23THRUST_200600_302600_NS4plusIsEEEEZZNS1_33reduce_by_key_impl_wrapped_configILNS1_25lookback_scan_determinismE0ES3_S9_NS6_6detail15normal_iteratorINS6_10device_ptrIjEEEENSD_INSE_IsEEEENS6_16discard_iteratorINS6_11use_defaultEEESI_PmS8_NS6_8equal_toIjEEEE10hipError_tPvRmT2_T3_mT4_T5_T6_T7_T8_P12ihipStream_tbENKUlT_T0_E_clISt17integral_constantIbLb0EES16_EEDaS11_S12_EUlS11_E_NS1_11comp_targetILNS1_3genE10ELNS1_11target_archE1201ELNS1_3gpuE5ELNS1_3repE0EEENS1_30default_config_static_selectorELNS0_4arch9wavefront6targetE1EEEvT1_,"axG",@progbits,_ZN7rocprim17ROCPRIM_400000_NS6detail17trampoline_kernelINS0_14default_configENS1_29reduce_by_key_config_selectorIjsN6thrust23THRUST_200600_302600_NS4plusIsEEEEZZNS1_33reduce_by_key_impl_wrapped_configILNS1_25lookback_scan_determinismE0ES3_S9_NS6_6detail15normal_iteratorINS6_10device_ptrIjEEEENSD_INSE_IsEEEENS6_16discard_iteratorINS6_11use_defaultEEESI_PmS8_NS6_8equal_toIjEEEE10hipError_tPvRmT2_T3_mT4_T5_T6_T7_T8_P12ihipStream_tbENKUlT_T0_E_clISt17integral_constantIbLb0EES16_EEDaS11_S12_EUlS11_E_NS1_11comp_targetILNS1_3genE10ELNS1_11target_archE1201ELNS1_3gpuE5ELNS1_3repE0EEENS1_30default_config_static_selectorELNS0_4arch9wavefront6targetE1EEEvT1_,comdat
.Lfunc_end1062:
	.size	_ZN7rocprim17ROCPRIM_400000_NS6detail17trampoline_kernelINS0_14default_configENS1_29reduce_by_key_config_selectorIjsN6thrust23THRUST_200600_302600_NS4plusIsEEEEZZNS1_33reduce_by_key_impl_wrapped_configILNS1_25lookback_scan_determinismE0ES3_S9_NS6_6detail15normal_iteratorINS6_10device_ptrIjEEEENSD_INSE_IsEEEENS6_16discard_iteratorINS6_11use_defaultEEESI_PmS8_NS6_8equal_toIjEEEE10hipError_tPvRmT2_T3_mT4_T5_T6_T7_T8_P12ihipStream_tbENKUlT_T0_E_clISt17integral_constantIbLb0EES16_EEDaS11_S12_EUlS11_E_NS1_11comp_targetILNS1_3genE10ELNS1_11target_archE1201ELNS1_3gpuE5ELNS1_3repE0EEENS1_30default_config_static_selectorELNS0_4arch9wavefront6targetE1EEEvT1_, .Lfunc_end1062-_ZN7rocprim17ROCPRIM_400000_NS6detail17trampoline_kernelINS0_14default_configENS1_29reduce_by_key_config_selectorIjsN6thrust23THRUST_200600_302600_NS4plusIsEEEEZZNS1_33reduce_by_key_impl_wrapped_configILNS1_25lookback_scan_determinismE0ES3_S9_NS6_6detail15normal_iteratorINS6_10device_ptrIjEEEENSD_INSE_IsEEEENS6_16discard_iteratorINS6_11use_defaultEEESI_PmS8_NS6_8equal_toIjEEEE10hipError_tPvRmT2_T3_mT4_T5_T6_T7_T8_P12ihipStream_tbENKUlT_T0_E_clISt17integral_constantIbLb0EES16_EEDaS11_S12_EUlS11_E_NS1_11comp_targetILNS1_3genE10ELNS1_11target_archE1201ELNS1_3gpuE5ELNS1_3repE0EEENS1_30default_config_static_selectorELNS0_4arch9wavefront6targetE1EEEvT1_
                                        ; -- End function
	.section	.AMDGPU.csdata,"",@progbits
; Kernel info:
; codeLenInByte = 0
; NumSgprs: 4
; NumVgprs: 0
; NumAgprs: 0
; TotalNumVgprs: 0
; ScratchSize: 0
; MemoryBound: 0
; FloatMode: 240
; IeeeMode: 1
; LDSByteSize: 0 bytes/workgroup (compile time only)
; SGPRBlocks: 0
; VGPRBlocks: 0
; NumSGPRsForWavesPerEU: 4
; NumVGPRsForWavesPerEU: 1
; AccumOffset: 4
; Occupancy: 8
; WaveLimiterHint : 0
; COMPUTE_PGM_RSRC2:SCRATCH_EN: 0
; COMPUTE_PGM_RSRC2:USER_SGPR: 6
; COMPUTE_PGM_RSRC2:TRAP_HANDLER: 0
; COMPUTE_PGM_RSRC2:TGID_X_EN: 1
; COMPUTE_PGM_RSRC2:TGID_Y_EN: 0
; COMPUTE_PGM_RSRC2:TGID_Z_EN: 0
; COMPUTE_PGM_RSRC2:TIDIG_COMP_CNT: 0
; COMPUTE_PGM_RSRC3_GFX90A:ACCUM_OFFSET: 0
; COMPUTE_PGM_RSRC3_GFX90A:TG_SPLIT: 0
	.section	.text._ZN7rocprim17ROCPRIM_400000_NS6detail17trampoline_kernelINS0_14default_configENS1_29reduce_by_key_config_selectorIjsN6thrust23THRUST_200600_302600_NS4plusIsEEEEZZNS1_33reduce_by_key_impl_wrapped_configILNS1_25lookback_scan_determinismE0ES3_S9_NS6_6detail15normal_iteratorINS6_10device_ptrIjEEEENSD_INSE_IsEEEENS6_16discard_iteratorINS6_11use_defaultEEESI_PmS8_NS6_8equal_toIjEEEE10hipError_tPvRmT2_T3_mT4_T5_T6_T7_T8_P12ihipStream_tbENKUlT_T0_E_clISt17integral_constantIbLb0EES16_EEDaS11_S12_EUlS11_E_NS1_11comp_targetILNS1_3genE10ELNS1_11target_archE1200ELNS1_3gpuE4ELNS1_3repE0EEENS1_30default_config_static_selectorELNS0_4arch9wavefront6targetE1EEEvT1_,"axG",@progbits,_ZN7rocprim17ROCPRIM_400000_NS6detail17trampoline_kernelINS0_14default_configENS1_29reduce_by_key_config_selectorIjsN6thrust23THRUST_200600_302600_NS4plusIsEEEEZZNS1_33reduce_by_key_impl_wrapped_configILNS1_25lookback_scan_determinismE0ES3_S9_NS6_6detail15normal_iteratorINS6_10device_ptrIjEEEENSD_INSE_IsEEEENS6_16discard_iteratorINS6_11use_defaultEEESI_PmS8_NS6_8equal_toIjEEEE10hipError_tPvRmT2_T3_mT4_T5_T6_T7_T8_P12ihipStream_tbENKUlT_T0_E_clISt17integral_constantIbLb0EES16_EEDaS11_S12_EUlS11_E_NS1_11comp_targetILNS1_3genE10ELNS1_11target_archE1200ELNS1_3gpuE4ELNS1_3repE0EEENS1_30default_config_static_selectorELNS0_4arch9wavefront6targetE1EEEvT1_,comdat
	.protected	_ZN7rocprim17ROCPRIM_400000_NS6detail17trampoline_kernelINS0_14default_configENS1_29reduce_by_key_config_selectorIjsN6thrust23THRUST_200600_302600_NS4plusIsEEEEZZNS1_33reduce_by_key_impl_wrapped_configILNS1_25lookback_scan_determinismE0ES3_S9_NS6_6detail15normal_iteratorINS6_10device_ptrIjEEEENSD_INSE_IsEEEENS6_16discard_iteratorINS6_11use_defaultEEESI_PmS8_NS6_8equal_toIjEEEE10hipError_tPvRmT2_T3_mT4_T5_T6_T7_T8_P12ihipStream_tbENKUlT_T0_E_clISt17integral_constantIbLb0EES16_EEDaS11_S12_EUlS11_E_NS1_11comp_targetILNS1_3genE10ELNS1_11target_archE1200ELNS1_3gpuE4ELNS1_3repE0EEENS1_30default_config_static_selectorELNS0_4arch9wavefront6targetE1EEEvT1_ ; -- Begin function _ZN7rocprim17ROCPRIM_400000_NS6detail17trampoline_kernelINS0_14default_configENS1_29reduce_by_key_config_selectorIjsN6thrust23THRUST_200600_302600_NS4plusIsEEEEZZNS1_33reduce_by_key_impl_wrapped_configILNS1_25lookback_scan_determinismE0ES3_S9_NS6_6detail15normal_iteratorINS6_10device_ptrIjEEEENSD_INSE_IsEEEENS6_16discard_iteratorINS6_11use_defaultEEESI_PmS8_NS6_8equal_toIjEEEE10hipError_tPvRmT2_T3_mT4_T5_T6_T7_T8_P12ihipStream_tbENKUlT_T0_E_clISt17integral_constantIbLb0EES16_EEDaS11_S12_EUlS11_E_NS1_11comp_targetILNS1_3genE10ELNS1_11target_archE1200ELNS1_3gpuE4ELNS1_3repE0EEENS1_30default_config_static_selectorELNS0_4arch9wavefront6targetE1EEEvT1_
	.globl	_ZN7rocprim17ROCPRIM_400000_NS6detail17trampoline_kernelINS0_14default_configENS1_29reduce_by_key_config_selectorIjsN6thrust23THRUST_200600_302600_NS4plusIsEEEEZZNS1_33reduce_by_key_impl_wrapped_configILNS1_25lookback_scan_determinismE0ES3_S9_NS6_6detail15normal_iteratorINS6_10device_ptrIjEEEENSD_INSE_IsEEEENS6_16discard_iteratorINS6_11use_defaultEEESI_PmS8_NS6_8equal_toIjEEEE10hipError_tPvRmT2_T3_mT4_T5_T6_T7_T8_P12ihipStream_tbENKUlT_T0_E_clISt17integral_constantIbLb0EES16_EEDaS11_S12_EUlS11_E_NS1_11comp_targetILNS1_3genE10ELNS1_11target_archE1200ELNS1_3gpuE4ELNS1_3repE0EEENS1_30default_config_static_selectorELNS0_4arch9wavefront6targetE1EEEvT1_
	.p2align	8
	.type	_ZN7rocprim17ROCPRIM_400000_NS6detail17trampoline_kernelINS0_14default_configENS1_29reduce_by_key_config_selectorIjsN6thrust23THRUST_200600_302600_NS4plusIsEEEEZZNS1_33reduce_by_key_impl_wrapped_configILNS1_25lookback_scan_determinismE0ES3_S9_NS6_6detail15normal_iteratorINS6_10device_ptrIjEEEENSD_INSE_IsEEEENS6_16discard_iteratorINS6_11use_defaultEEESI_PmS8_NS6_8equal_toIjEEEE10hipError_tPvRmT2_T3_mT4_T5_T6_T7_T8_P12ihipStream_tbENKUlT_T0_E_clISt17integral_constantIbLb0EES16_EEDaS11_S12_EUlS11_E_NS1_11comp_targetILNS1_3genE10ELNS1_11target_archE1200ELNS1_3gpuE4ELNS1_3repE0EEENS1_30default_config_static_selectorELNS0_4arch9wavefront6targetE1EEEvT1_,@function
_ZN7rocprim17ROCPRIM_400000_NS6detail17trampoline_kernelINS0_14default_configENS1_29reduce_by_key_config_selectorIjsN6thrust23THRUST_200600_302600_NS4plusIsEEEEZZNS1_33reduce_by_key_impl_wrapped_configILNS1_25lookback_scan_determinismE0ES3_S9_NS6_6detail15normal_iteratorINS6_10device_ptrIjEEEENSD_INSE_IsEEEENS6_16discard_iteratorINS6_11use_defaultEEESI_PmS8_NS6_8equal_toIjEEEE10hipError_tPvRmT2_T3_mT4_T5_T6_T7_T8_P12ihipStream_tbENKUlT_T0_E_clISt17integral_constantIbLb0EES16_EEDaS11_S12_EUlS11_E_NS1_11comp_targetILNS1_3genE10ELNS1_11target_archE1200ELNS1_3gpuE4ELNS1_3repE0EEENS1_30default_config_static_selectorELNS0_4arch9wavefront6targetE1EEEvT1_: ; @_ZN7rocprim17ROCPRIM_400000_NS6detail17trampoline_kernelINS0_14default_configENS1_29reduce_by_key_config_selectorIjsN6thrust23THRUST_200600_302600_NS4plusIsEEEEZZNS1_33reduce_by_key_impl_wrapped_configILNS1_25lookback_scan_determinismE0ES3_S9_NS6_6detail15normal_iteratorINS6_10device_ptrIjEEEENSD_INSE_IsEEEENS6_16discard_iteratorINS6_11use_defaultEEESI_PmS8_NS6_8equal_toIjEEEE10hipError_tPvRmT2_T3_mT4_T5_T6_T7_T8_P12ihipStream_tbENKUlT_T0_E_clISt17integral_constantIbLb0EES16_EEDaS11_S12_EUlS11_E_NS1_11comp_targetILNS1_3genE10ELNS1_11target_archE1200ELNS1_3gpuE4ELNS1_3repE0EEENS1_30default_config_static_selectorELNS0_4arch9wavefront6targetE1EEEvT1_
; %bb.0:
	.section	.rodata,"a",@progbits
	.p2align	6, 0x0
	.amdhsa_kernel _ZN7rocprim17ROCPRIM_400000_NS6detail17trampoline_kernelINS0_14default_configENS1_29reduce_by_key_config_selectorIjsN6thrust23THRUST_200600_302600_NS4plusIsEEEEZZNS1_33reduce_by_key_impl_wrapped_configILNS1_25lookback_scan_determinismE0ES3_S9_NS6_6detail15normal_iteratorINS6_10device_ptrIjEEEENSD_INSE_IsEEEENS6_16discard_iteratorINS6_11use_defaultEEESI_PmS8_NS6_8equal_toIjEEEE10hipError_tPvRmT2_T3_mT4_T5_T6_T7_T8_P12ihipStream_tbENKUlT_T0_E_clISt17integral_constantIbLb0EES16_EEDaS11_S12_EUlS11_E_NS1_11comp_targetILNS1_3genE10ELNS1_11target_archE1200ELNS1_3gpuE4ELNS1_3repE0EEENS1_30default_config_static_selectorELNS0_4arch9wavefront6targetE1EEEvT1_
		.amdhsa_group_segment_fixed_size 0
		.amdhsa_private_segment_fixed_size 0
		.amdhsa_kernarg_size 128
		.amdhsa_user_sgpr_count 6
		.amdhsa_user_sgpr_private_segment_buffer 1
		.amdhsa_user_sgpr_dispatch_ptr 0
		.amdhsa_user_sgpr_queue_ptr 0
		.amdhsa_user_sgpr_kernarg_segment_ptr 1
		.amdhsa_user_sgpr_dispatch_id 0
		.amdhsa_user_sgpr_flat_scratch_init 0
		.amdhsa_user_sgpr_kernarg_preload_length 0
		.amdhsa_user_sgpr_kernarg_preload_offset 0
		.amdhsa_user_sgpr_private_segment_size 0
		.amdhsa_uses_dynamic_stack 0
		.amdhsa_system_sgpr_private_segment_wavefront_offset 0
		.amdhsa_system_sgpr_workgroup_id_x 1
		.amdhsa_system_sgpr_workgroup_id_y 0
		.amdhsa_system_sgpr_workgroup_id_z 0
		.amdhsa_system_sgpr_workgroup_info 0
		.amdhsa_system_vgpr_workitem_id 0
		.amdhsa_next_free_vgpr 1
		.amdhsa_next_free_sgpr 0
		.amdhsa_accum_offset 4
		.amdhsa_reserve_vcc 0
		.amdhsa_reserve_flat_scratch 0
		.amdhsa_float_round_mode_32 0
		.amdhsa_float_round_mode_16_64 0
		.amdhsa_float_denorm_mode_32 3
		.amdhsa_float_denorm_mode_16_64 3
		.amdhsa_dx10_clamp 1
		.amdhsa_ieee_mode 1
		.amdhsa_fp16_overflow 0
		.amdhsa_tg_split 0
		.amdhsa_exception_fp_ieee_invalid_op 0
		.amdhsa_exception_fp_denorm_src 0
		.amdhsa_exception_fp_ieee_div_zero 0
		.amdhsa_exception_fp_ieee_overflow 0
		.amdhsa_exception_fp_ieee_underflow 0
		.amdhsa_exception_fp_ieee_inexact 0
		.amdhsa_exception_int_div_zero 0
	.end_amdhsa_kernel
	.section	.text._ZN7rocprim17ROCPRIM_400000_NS6detail17trampoline_kernelINS0_14default_configENS1_29reduce_by_key_config_selectorIjsN6thrust23THRUST_200600_302600_NS4plusIsEEEEZZNS1_33reduce_by_key_impl_wrapped_configILNS1_25lookback_scan_determinismE0ES3_S9_NS6_6detail15normal_iteratorINS6_10device_ptrIjEEEENSD_INSE_IsEEEENS6_16discard_iteratorINS6_11use_defaultEEESI_PmS8_NS6_8equal_toIjEEEE10hipError_tPvRmT2_T3_mT4_T5_T6_T7_T8_P12ihipStream_tbENKUlT_T0_E_clISt17integral_constantIbLb0EES16_EEDaS11_S12_EUlS11_E_NS1_11comp_targetILNS1_3genE10ELNS1_11target_archE1200ELNS1_3gpuE4ELNS1_3repE0EEENS1_30default_config_static_selectorELNS0_4arch9wavefront6targetE1EEEvT1_,"axG",@progbits,_ZN7rocprim17ROCPRIM_400000_NS6detail17trampoline_kernelINS0_14default_configENS1_29reduce_by_key_config_selectorIjsN6thrust23THRUST_200600_302600_NS4plusIsEEEEZZNS1_33reduce_by_key_impl_wrapped_configILNS1_25lookback_scan_determinismE0ES3_S9_NS6_6detail15normal_iteratorINS6_10device_ptrIjEEEENSD_INSE_IsEEEENS6_16discard_iteratorINS6_11use_defaultEEESI_PmS8_NS6_8equal_toIjEEEE10hipError_tPvRmT2_T3_mT4_T5_T6_T7_T8_P12ihipStream_tbENKUlT_T0_E_clISt17integral_constantIbLb0EES16_EEDaS11_S12_EUlS11_E_NS1_11comp_targetILNS1_3genE10ELNS1_11target_archE1200ELNS1_3gpuE4ELNS1_3repE0EEENS1_30default_config_static_selectorELNS0_4arch9wavefront6targetE1EEEvT1_,comdat
.Lfunc_end1063:
	.size	_ZN7rocprim17ROCPRIM_400000_NS6detail17trampoline_kernelINS0_14default_configENS1_29reduce_by_key_config_selectorIjsN6thrust23THRUST_200600_302600_NS4plusIsEEEEZZNS1_33reduce_by_key_impl_wrapped_configILNS1_25lookback_scan_determinismE0ES3_S9_NS6_6detail15normal_iteratorINS6_10device_ptrIjEEEENSD_INSE_IsEEEENS6_16discard_iteratorINS6_11use_defaultEEESI_PmS8_NS6_8equal_toIjEEEE10hipError_tPvRmT2_T3_mT4_T5_T6_T7_T8_P12ihipStream_tbENKUlT_T0_E_clISt17integral_constantIbLb0EES16_EEDaS11_S12_EUlS11_E_NS1_11comp_targetILNS1_3genE10ELNS1_11target_archE1200ELNS1_3gpuE4ELNS1_3repE0EEENS1_30default_config_static_selectorELNS0_4arch9wavefront6targetE1EEEvT1_, .Lfunc_end1063-_ZN7rocprim17ROCPRIM_400000_NS6detail17trampoline_kernelINS0_14default_configENS1_29reduce_by_key_config_selectorIjsN6thrust23THRUST_200600_302600_NS4plusIsEEEEZZNS1_33reduce_by_key_impl_wrapped_configILNS1_25lookback_scan_determinismE0ES3_S9_NS6_6detail15normal_iteratorINS6_10device_ptrIjEEEENSD_INSE_IsEEEENS6_16discard_iteratorINS6_11use_defaultEEESI_PmS8_NS6_8equal_toIjEEEE10hipError_tPvRmT2_T3_mT4_T5_T6_T7_T8_P12ihipStream_tbENKUlT_T0_E_clISt17integral_constantIbLb0EES16_EEDaS11_S12_EUlS11_E_NS1_11comp_targetILNS1_3genE10ELNS1_11target_archE1200ELNS1_3gpuE4ELNS1_3repE0EEENS1_30default_config_static_selectorELNS0_4arch9wavefront6targetE1EEEvT1_
                                        ; -- End function
	.section	.AMDGPU.csdata,"",@progbits
; Kernel info:
; codeLenInByte = 0
; NumSgprs: 4
; NumVgprs: 0
; NumAgprs: 0
; TotalNumVgprs: 0
; ScratchSize: 0
; MemoryBound: 0
; FloatMode: 240
; IeeeMode: 1
; LDSByteSize: 0 bytes/workgroup (compile time only)
; SGPRBlocks: 0
; VGPRBlocks: 0
; NumSGPRsForWavesPerEU: 4
; NumVGPRsForWavesPerEU: 1
; AccumOffset: 4
; Occupancy: 8
; WaveLimiterHint : 0
; COMPUTE_PGM_RSRC2:SCRATCH_EN: 0
; COMPUTE_PGM_RSRC2:USER_SGPR: 6
; COMPUTE_PGM_RSRC2:TRAP_HANDLER: 0
; COMPUTE_PGM_RSRC2:TGID_X_EN: 1
; COMPUTE_PGM_RSRC2:TGID_Y_EN: 0
; COMPUTE_PGM_RSRC2:TGID_Z_EN: 0
; COMPUTE_PGM_RSRC2:TIDIG_COMP_CNT: 0
; COMPUTE_PGM_RSRC3_GFX90A:ACCUM_OFFSET: 0
; COMPUTE_PGM_RSRC3_GFX90A:TG_SPLIT: 0
	.section	.text._ZN7rocprim17ROCPRIM_400000_NS6detail17trampoline_kernelINS0_14default_configENS1_29reduce_by_key_config_selectorIjsN6thrust23THRUST_200600_302600_NS4plusIsEEEEZZNS1_33reduce_by_key_impl_wrapped_configILNS1_25lookback_scan_determinismE0ES3_S9_NS6_6detail15normal_iteratorINS6_10device_ptrIjEEEENSD_INSE_IsEEEENS6_16discard_iteratorINS6_11use_defaultEEESI_PmS8_NS6_8equal_toIjEEEE10hipError_tPvRmT2_T3_mT4_T5_T6_T7_T8_P12ihipStream_tbENKUlT_T0_E_clISt17integral_constantIbLb0EES16_EEDaS11_S12_EUlS11_E_NS1_11comp_targetILNS1_3genE9ELNS1_11target_archE1100ELNS1_3gpuE3ELNS1_3repE0EEENS1_30default_config_static_selectorELNS0_4arch9wavefront6targetE1EEEvT1_,"axG",@progbits,_ZN7rocprim17ROCPRIM_400000_NS6detail17trampoline_kernelINS0_14default_configENS1_29reduce_by_key_config_selectorIjsN6thrust23THRUST_200600_302600_NS4plusIsEEEEZZNS1_33reduce_by_key_impl_wrapped_configILNS1_25lookback_scan_determinismE0ES3_S9_NS6_6detail15normal_iteratorINS6_10device_ptrIjEEEENSD_INSE_IsEEEENS6_16discard_iteratorINS6_11use_defaultEEESI_PmS8_NS6_8equal_toIjEEEE10hipError_tPvRmT2_T3_mT4_T5_T6_T7_T8_P12ihipStream_tbENKUlT_T0_E_clISt17integral_constantIbLb0EES16_EEDaS11_S12_EUlS11_E_NS1_11comp_targetILNS1_3genE9ELNS1_11target_archE1100ELNS1_3gpuE3ELNS1_3repE0EEENS1_30default_config_static_selectorELNS0_4arch9wavefront6targetE1EEEvT1_,comdat
	.protected	_ZN7rocprim17ROCPRIM_400000_NS6detail17trampoline_kernelINS0_14default_configENS1_29reduce_by_key_config_selectorIjsN6thrust23THRUST_200600_302600_NS4plusIsEEEEZZNS1_33reduce_by_key_impl_wrapped_configILNS1_25lookback_scan_determinismE0ES3_S9_NS6_6detail15normal_iteratorINS6_10device_ptrIjEEEENSD_INSE_IsEEEENS6_16discard_iteratorINS6_11use_defaultEEESI_PmS8_NS6_8equal_toIjEEEE10hipError_tPvRmT2_T3_mT4_T5_T6_T7_T8_P12ihipStream_tbENKUlT_T0_E_clISt17integral_constantIbLb0EES16_EEDaS11_S12_EUlS11_E_NS1_11comp_targetILNS1_3genE9ELNS1_11target_archE1100ELNS1_3gpuE3ELNS1_3repE0EEENS1_30default_config_static_selectorELNS0_4arch9wavefront6targetE1EEEvT1_ ; -- Begin function _ZN7rocprim17ROCPRIM_400000_NS6detail17trampoline_kernelINS0_14default_configENS1_29reduce_by_key_config_selectorIjsN6thrust23THRUST_200600_302600_NS4plusIsEEEEZZNS1_33reduce_by_key_impl_wrapped_configILNS1_25lookback_scan_determinismE0ES3_S9_NS6_6detail15normal_iteratorINS6_10device_ptrIjEEEENSD_INSE_IsEEEENS6_16discard_iteratorINS6_11use_defaultEEESI_PmS8_NS6_8equal_toIjEEEE10hipError_tPvRmT2_T3_mT4_T5_T6_T7_T8_P12ihipStream_tbENKUlT_T0_E_clISt17integral_constantIbLb0EES16_EEDaS11_S12_EUlS11_E_NS1_11comp_targetILNS1_3genE9ELNS1_11target_archE1100ELNS1_3gpuE3ELNS1_3repE0EEENS1_30default_config_static_selectorELNS0_4arch9wavefront6targetE1EEEvT1_
	.globl	_ZN7rocprim17ROCPRIM_400000_NS6detail17trampoline_kernelINS0_14default_configENS1_29reduce_by_key_config_selectorIjsN6thrust23THRUST_200600_302600_NS4plusIsEEEEZZNS1_33reduce_by_key_impl_wrapped_configILNS1_25lookback_scan_determinismE0ES3_S9_NS6_6detail15normal_iteratorINS6_10device_ptrIjEEEENSD_INSE_IsEEEENS6_16discard_iteratorINS6_11use_defaultEEESI_PmS8_NS6_8equal_toIjEEEE10hipError_tPvRmT2_T3_mT4_T5_T6_T7_T8_P12ihipStream_tbENKUlT_T0_E_clISt17integral_constantIbLb0EES16_EEDaS11_S12_EUlS11_E_NS1_11comp_targetILNS1_3genE9ELNS1_11target_archE1100ELNS1_3gpuE3ELNS1_3repE0EEENS1_30default_config_static_selectorELNS0_4arch9wavefront6targetE1EEEvT1_
	.p2align	8
	.type	_ZN7rocprim17ROCPRIM_400000_NS6detail17trampoline_kernelINS0_14default_configENS1_29reduce_by_key_config_selectorIjsN6thrust23THRUST_200600_302600_NS4plusIsEEEEZZNS1_33reduce_by_key_impl_wrapped_configILNS1_25lookback_scan_determinismE0ES3_S9_NS6_6detail15normal_iteratorINS6_10device_ptrIjEEEENSD_INSE_IsEEEENS6_16discard_iteratorINS6_11use_defaultEEESI_PmS8_NS6_8equal_toIjEEEE10hipError_tPvRmT2_T3_mT4_T5_T6_T7_T8_P12ihipStream_tbENKUlT_T0_E_clISt17integral_constantIbLb0EES16_EEDaS11_S12_EUlS11_E_NS1_11comp_targetILNS1_3genE9ELNS1_11target_archE1100ELNS1_3gpuE3ELNS1_3repE0EEENS1_30default_config_static_selectorELNS0_4arch9wavefront6targetE1EEEvT1_,@function
_ZN7rocprim17ROCPRIM_400000_NS6detail17trampoline_kernelINS0_14default_configENS1_29reduce_by_key_config_selectorIjsN6thrust23THRUST_200600_302600_NS4plusIsEEEEZZNS1_33reduce_by_key_impl_wrapped_configILNS1_25lookback_scan_determinismE0ES3_S9_NS6_6detail15normal_iteratorINS6_10device_ptrIjEEEENSD_INSE_IsEEEENS6_16discard_iteratorINS6_11use_defaultEEESI_PmS8_NS6_8equal_toIjEEEE10hipError_tPvRmT2_T3_mT4_T5_T6_T7_T8_P12ihipStream_tbENKUlT_T0_E_clISt17integral_constantIbLb0EES16_EEDaS11_S12_EUlS11_E_NS1_11comp_targetILNS1_3genE9ELNS1_11target_archE1100ELNS1_3gpuE3ELNS1_3repE0EEENS1_30default_config_static_selectorELNS0_4arch9wavefront6targetE1EEEvT1_: ; @_ZN7rocprim17ROCPRIM_400000_NS6detail17trampoline_kernelINS0_14default_configENS1_29reduce_by_key_config_selectorIjsN6thrust23THRUST_200600_302600_NS4plusIsEEEEZZNS1_33reduce_by_key_impl_wrapped_configILNS1_25lookback_scan_determinismE0ES3_S9_NS6_6detail15normal_iteratorINS6_10device_ptrIjEEEENSD_INSE_IsEEEENS6_16discard_iteratorINS6_11use_defaultEEESI_PmS8_NS6_8equal_toIjEEEE10hipError_tPvRmT2_T3_mT4_T5_T6_T7_T8_P12ihipStream_tbENKUlT_T0_E_clISt17integral_constantIbLb0EES16_EEDaS11_S12_EUlS11_E_NS1_11comp_targetILNS1_3genE9ELNS1_11target_archE1100ELNS1_3gpuE3ELNS1_3repE0EEENS1_30default_config_static_selectorELNS0_4arch9wavefront6targetE1EEEvT1_
; %bb.0:
	.section	.rodata,"a",@progbits
	.p2align	6, 0x0
	.amdhsa_kernel _ZN7rocprim17ROCPRIM_400000_NS6detail17trampoline_kernelINS0_14default_configENS1_29reduce_by_key_config_selectorIjsN6thrust23THRUST_200600_302600_NS4plusIsEEEEZZNS1_33reduce_by_key_impl_wrapped_configILNS1_25lookback_scan_determinismE0ES3_S9_NS6_6detail15normal_iteratorINS6_10device_ptrIjEEEENSD_INSE_IsEEEENS6_16discard_iteratorINS6_11use_defaultEEESI_PmS8_NS6_8equal_toIjEEEE10hipError_tPvRmT2_T3_mT4_T5_T6_T7_T8_P12ihipStream_tbENKUlT_T0_E_clISt17integral_constantIbLb0EES16_EEDaS11_S12_EUlS11_E_NS1_11comp_targetILNS1_3genE9ELNS1_11target_archE1100ELNS1_3gpuE3ELNS1_3repE0EEENS1_30default_config_static_selectorELNS0_4arch9wavefront6targetE1EEEvT1_
		.amdhsa_group_segment_fixed_size 0
		.amdhsa_private_segment_fixed_size 0
		.amdhsa_kernarg_size 128
		.amdhsa_user_sgpr_count 6
		.amdhsa_user_sgpr_private_segment_buffer 1
		.amdhsa_user_sgpr_dispatch_ptr 0
		.amdhsa_user_sgpr_queue_ptr 0
		.amdhsa_user_sgpr_kernarg_segment_ptr 1
		.amdhsa_user_sgpr_dispatch_id 0
		.amdhsa_user_sgpr_flat_scratch_init 0
		.amdhsa_user_sgpr_kernarg_preload_length 0
		.amdhsa_user_sgpr_kernarg_preload_offset 0
		.amdhsa_user_sgpr_private_segment_size 0
		.amdhsa_uses_dynamic_stack 0
		.amdhsa_system_sgpr_private_segment_wavefront_offset 0
		.amdhsa_system_sgpr_workgroup_id_x 1
		.amdhsa_system_sgpr_workgroup_id_y 0
		.amdhsa_system_sgpr_workgroup_id_z 0
		.amdhsa_system_sgpr_workgroup_info 0
		.amdhsa_system_vgpr_workitem_id 0
		.amdhsa_next_free_vgpr 1
		.amdhsa_next_free_sgpr 0
		.amdhsa_accum_offset 4
		.amdhsa_reserve_vcc 0
		.amdhsa_reserve_flat_scratch 0
		.amdhsa_float_round_mode_32 0
		.amdhsa_float_round_mode_16_64 0
		.amdhsa_float_denorm_mode_32 3
		.amdhsa_float_denorm_mode_16_64 3
		.amdhsa_dx10_clamp 1
		.amdhsa_ieee_mode 1
		.amdhsa_fp16_overflow 0
		.amdhsa_tg_split 0
		.amdhsa_exception_fp_ieee_invalid_op 0
		.amdhsa_exception_fp_denorm_src 0
		.amdhsa_exception_fp_ieee_div_zero 0
		.amdhsa_exception_fp_ieee_overflow 0
		.amdhsa_exception_fp_ieee_underflow 0
		.amdhsa_exception_fp_ieee_inexact 0
		.amdhsa_exception_int_div_zero 0
	.end_amdhsa_kernel
	.section	.text._ZN7rocprim17ROCPRIM_400000_NS6detail17trampoline_kernelINS0_14default_configENS1_29reduce_by_key_config_selectorIjsN6thrust23THRUST_200600_302600_NS4plusIsEEEEZZNS1_33reduce_by_key_impl_wrapped_configILNS1_25lookback_scan_determinismE0ES3_S9_NS6_6detail15normal_iteratorINS6_10device_ptrIjEEEENSD_INSE_IsEEEENS6_16discard_iteratorINS6_11use_defaultEEESI_PmS8_NS6_8equal_toIjEEEE10hipError_tPvRmT2_T3_mT4_T5_T6_T7_T8_P12ihipStream_tbENKUlT_T0_E_clISt17integral_constantIbLb0EES16_EEDaS11_S12_EUlS11_E_NS1_11comp_targetILNS1_3genE9ELNS1_11target_archE1100ELNS1_3gpuE3ELNS1_3repE0EEENS1_30default_config_static_selectorELNS0_4arch9wavefront6targetE1EEEvT1_,"axG",@progbits,_ZN7rocprim17ROCPRIM_400000_NS6detail17trampoline_kernelINS0_14default_configENS1_29reduce_by_key_config_selectorIjsN6thrust23THRUST_200600_302600_NS4plusIsEEEEZZNS1_33reduce_by_key_impl_wrapped_configILNS1_25lookback_scan_determinismE0ES3_S9_NS6_6detail15normal_iteratorINS6_10device_ptrIjEEEENSD_INSE_IsEEEENS6_16discard_iteratorINS6_11use_defaultEEESI_PmS8_NS6_8equal_toIjEEEE10hipError_tPvRmT2_T3_mT4_T5_T6_T7_T8_P12ihipStream_tbENKUlT_T0_E_clISt17integral_constantIbLb0EES16_EEDaS11_S12_EUlS11_E_NS1_11comp_targetILNS1_3genE9ELNS1_11target_archE1100ELNS1_3gpuE3ELNS1_3repE0EEENS1_30default_config_static_selectorELNS0_4arch9wavefront6targetE1EEEvT1_,comdat
.Lfunc_end1064:
	.size	_ZN7rocprim17ROCPRIM_400000_NS6detail17trampoline_kernelINS0_14default_configENS1_29reduce_by_key_config_selectorIjsN6thrust23THRUST_200600_302600_NS4plusIsEEEEZZNS1_33reduce_by_key_impl_wrapped_configILNS1_25lookback_scan_determinismE0ES3_S9_NS6_6detail15normal_iteratorINS6_10device_ptrIjEEEENSD_INSE_IsEEEENS6_16discard_iteratorINS6_11use_defaultEEESI_PmS8_NS6_8equal_toIjEEEE10hipError_tPvRmT2_T3_mT4_T5_T6_T7_T8_P12ihipStream_tbENKUlT_T0_E_clISt17integral_constantIbLb0EES16_EEDaS11_S12_EUlS11_E_NS1_11comp_targetILNS1_3genE9ELNS1_11target_archE1100ELNS1_3gpuE3ELNS1_3repE0EEENS1_30default_config_static_selectorELNS0_4arch9wavefront6targetE1EEEvT1_, .Lfunc_end1064-_ZN7rocprim17ROCPRIM_400000_NS6detail17trampoline_kernelINS0_14default_configENS1_29reduce_by_key_config_selectorIjsN6thrust23THRUST_200600_302600_NS4plusIsEEEEZZNS1_33reduce_by_key_impl_wrapped_configILNS1_25lookback_scan_determinismE0ES3_S9_NS6_6detail15normal_iteratorINS6_10device_ptrIjEEEENSD_INSE_IsEEEENS6_16discard_iteratorINS6_11use_defaultEEESI_PmS8_NS6_8equal_toIjEEEE10hipError_tPvRmT2_T3_mT4_T5_T6_T7_T8_P12ihipStream_tbENKUlT_T0_E_clISt17integral_constantIbLb0EES16_EEDaS11_S12_EUlS11_E_NS1_11comp_targetILNS1_3genE9ELNS1_11target_archE1100ELNS1_3gpuE3ELNS1_3repE0EEENS1_30default_config_static_selectorELNS0_4arch9wavefront6targetE1EEEvT1_
                                        ; -- End function
	.section	.AMDGPU.csdata,"",@progbits
; Kernel info:
; codeLenInByte = 0
; NumSgprs: 4
; NumVgprs: 0
; NumAgprs: 0
; TotalNumVgprs: 0
; ScratchSize: 0
; MemoryBound: 0
; FloatMode: 240
; IeeeMode: 1
; LDSByteSize: 0 bytes/workgroup (compile time only)
; SGPRBlocks: 0
; VGPRBlocks: 0
; NumSGPRsForWavesPerEU: 4
; NumVGPRsForWavesPerEU: 1
; AccumOffset: 4
; Occupancy: 8
; WaveLimiterHint : 0
; COMPUTE_PGM_RSRC2:SCRATCH_EN: 0
; COMPUTE_PGM_RSRC2:USER_SGPR: 6
; COMPUTE_PGM_RSRC2:TRAP_HANDLER: 0
; COMPUTE_PGM_RSRC2:TGID_X_EN: 1
; COMPUTE_PGM_RSRC2:TGID_Y_EN: 0
; COMPUTE_PGM_RSRC2:TGID_Z_EN: 0
; COMPUTE_PGM_RSRC2:TIDIG_COMP_CNT: 0
; COMPUTE_PGM_RSRC3_GFX90A:ACCUM_OFFSET: 0
; COMPUTE_PGM_RSRC3_GFX90A:TG_SPLIT: 0
	.section	.text._ZN7rocprim17ROCPRIM_400000_NS6detail17trampoline_kernelINS0_14default_configENS1_29reduce_by_key_config_selectorIjsN6thrust23THRUST_200600_302600_NS4plusIsEEEEZZNS1_33reduce_by_key_impl_wrapped_configILNS1_25lookback_scan_determinismE0ES3_S9_NS6_6detail15normal_iteratorINS6_10device_ptrIjEEEENSD_INSE_IsEEEENS6_16discard_iteratorINS6_11use_defaultEEESI_PmS8_NS6_8equal_toIjEEEE10hipError_tPvRmT2_T3_mT4_T5_T6_T7_T8_P12ihipStream_tbENKUlT_T0_E_clISt17integral_constantIbLb0EES16_EEDaS11_S12_EUlS11_E_NS1_11comp_targetILNS1_3genE8ELNS1_11target_archE1030ELNS1_3gpuE2ELNS1_3repE0EEENS1_30default_config_static_selectorELNS0_4arch9wavefront6targetE1EEEvT1_,"axG",@progbits,_ZN7rocprim17ROCPRIM_400000_NS6detail17trampoline_kernelINS0_14default_configENS1_29reduce_by_key_config_selectorIjsN6thrust23THRUST_200600_302600_NS4plusIsEEEEZZNS1_33reduce_by_key_impl_wrapped_configILNS1_25lookback_scan_determinismE0ES3_S9_NS6_6detail15normal_iteratorINS6_10device_ptrIjEEEENSD_INSE_IsEEEENS6_16discard_iteratorINS6_11use_defaultEEESI_PmS8_NS6_8equal_toIjEEEE10hipError_tPvRmT2_T3_mT4_T5_T6_T7_T8_P12ihipStream_tbENKUlT_T0_E_clISt17integral_constantIbLb0EES16_EEDaS11_S12_EUlS11_E_NS1_11comp_targetILNS1_3genE8ELNS1_11target_archE1030ELNS1_3gpuE2ELNS1_3repE0EEENS1_30default_config_static_selectorELNS0_4arch9wavefront6targetE1EEEvT1_,comdat
	.protected	_ZN7rocprim17ROCPRIM_400000_NS6detail17trampoline_kernelINS0_14default_configENS1_29reduce_by_key_config_selectorIjsN6thrust23THRUST_200600_302600_NS4plusIsEEEEZZNS1_33reduce_by_key_impl_wrapped_configILNS1_25lookback_scan_determinismE0ES3_S9_NS6_6detail15normal_iteratorINS6_10device_ptrIjEEEENSD_INSE_IsEEEENS6_16discard_iteratorINS6_11use_defaultEEESI_PmS8_NS6_8equal_toIjEEEE10hipError_tPvRmT2_T3_mT4_T5_T6_T7_T8_P12ihipStream_tbENKUlT_T0_E_clISt17integral_constantIbLb0EES16_EEDaS11_S12_EUlS11_E_NS1_11comp_targetILNS1_3genE8ELNS1_11target_archE1030ELNS1_3gpuE2ELNS1_3repE0EEENS1_30default_config_static_selectorELNS0_4arch9wavefront6targetE1EEEvT1_ ; -- Begin function _ZN7rocprim17ROCPRIM_400000_NS6detail17trampoline_kernelINS0_14default_configENS1_29reduce_by_key_config_selectorIjsN6thrust23THRUST_200600_302600_NS4plusIsEEEEZZNS1_33reduce_by_key_impl_wrapped_configILNS1_25lookback_scan_determinismE0ES3_S9_NS6_6detail15normal_iteratorINS6_10device_ptrIjEEEENSD_INSE_IsEEEENS6_16discard_iteratorINS6_11use_defaultEEESI_PmS8_NS6_8equal_toIjEEEE10hipError_tPvRmT2_T3_mT4_T5_T6_T7_T8_P12ihipStream_tbENKUlT_T0_E_clISt17integral_constantIbLb0EES16_EEDaS11_S12_EUlS11_E_NS1_11comp_targetILNS1_3genE8ELNS1_11target_archE1030ELNS1_3gpuE2ELNS1_3repE0EEENS1_30default_config_static_selectorELNS0_4arch9wavefront6targetE1EEEvT1_
	.globl	_ZN7rocprim17ROCPRIM_400000_NS6detail17trampoline_kernelINS0_14default_configENS1_29reduce_by_key_config_selectorIjsN6thrust23THRUST_200600_302600_NS4plusIsEEEEZZNS1_33reduce_by_key_impl_wrapped_configILNS1_25lookback_scan_determinismE0ES3_S9_NS6_6detail15normal_iteratorINS6_10device_ptrIjEEEENSD_INSE_IsEEEENS6_16discard_iteratorINS6_11use_defaultEEESI_PmS8_NS6_8equal_toIjEEEE10hipError_tPvRmT2_T3_mT4_T5_T6_T7_T8_P12ihipStream_tbENKUlT_T0_E_clISt17integral_constantIbLb0EES16_EEDaS11_S12_EUlS11_E_NS1_11comp_targetILNS1_3genE8ELNS1_11target_archE1030ELNS1_3gpuE2ELNS1_3repE0EEENS1_30default_config_static_selectorELNS0_4arch9wavefront6targetE1EEEvT1_
	.p2align	8
	.type	_ZN7rocprim17ROCPRIM_400000_NS6detail17trampoline_kernelINS0_14default_configENS1_29reduce_by_key_config_selectorIjsN6thrust23THRUST_200600_302600_NS4plusIsEEEEZZNS1_33reduce_by_key_impl_wrapped_configILNS1_25lookback_scan_determinismE0ES3_S9_NS6_6detail15normal_iteratorINS6_10device_ptrIjEEEENSD_INSE_IsEEEENS6_16discard_iteratorINS6_11use_defaultEEESI_PmS8_NS6_8equal_toIjEEEE10hipError_tPvRmT2_T3_mT4_T5_T6_T7_T8_P12ihipStream_tbENKUlT_T0_E_clISt17integral_constantIbLb0EES16_EEDaS11_S12_EUlS11_E_NS1_11comp_targetILNS1_3genE8ELNS1_11target_archE1030ELNS1_3gpuE2ELNS1_3repE0EEENS1_30default_config_static_selectorELNS0_4arch9wavefront6targetE1EEEvT1_,@function
_ZN7rocprim17ROCPRIM_400000_NS6detail17trampoline_kernelINS0_14default_configENS1_29reduce_by_key_config_selectorIjsN6thrust23THRUST_200600_302600_NS4plusIsEEEEZZNS1_33reduce_by_key_impl_wrapped_configILNS1_25lookback_scan_determinismE0ES3_S9_NS6_6detail15normal_iteratorINS6_10device_ptrIjEEEENSD_INSE_IsEEEENS6_16discard_iteratorINS6_11use_defaultEEESI_PmS8_NS6_8equal_toIjEEEE10hipError_tPvRmT2_T3_mT4_T5_T6_T7_T8_P12ihipStream_tbENKUlT_T0_E_clISt17integral_constantIbLb0EES16_EEDaS11_S12_EUlS11_E_NS1_11comp_targetILNS1_3genE8ELNS1_11target_archE1030ELNS1_3gpuE2ELNS1_3repE0EEENS1_30default_config_static_selectorELNS0_4arch9wavefront6targetE1EEEvT1_: ; @_ZN7rocprim17ROCPRIM_400000_NS6detail17trampoline_kernelINS0_14default_configENS1_29reduce_by_key_config_selectorIjsN6thrust23THRUST_200600_302600_NS4plusIsEEEEZZNS1_33reduce_by_key_impl_wrapped_configILNS1_25lookback_scan_determinismE0ES3_S9_NS6_6detail15normal_iteratorINS6_10device_ptrIjEEEENSD_INSE_IsEEEENS6_16discard_iteratorINS6_11use_defaultEEESI_PmS8_NS6_8equal_toIjEEEE10hipError_tPvRmT2_T3_mT4_T5_T6_T7_T8_P12ihipStream_tbENKUlT_T0_E_clISt17integral_constantIbLb0EES16_EEDaS11_S12_EUlS11_E_NS1_11comp_targetILNS1_3genE8ELNS1_11target_archE1030ELNS1_3gpuE2ELNS1_3repE0EEENS1_30default_config_static_selectorELNS0_4arch9wavefront6targetE1EEEvT1_
; %bb.0:
	.section	.rodata,"a",@progbits
	.p2align	6, 0x0
	.amdhsa_kernel _ZN7rocprim17ROCPRIM_400000_NS6detail17trampoline_kernelINS0_14default_configENS1_29reduce_by_key_config_selectorIjsN6thrust23THRUST_200600_302600_NS4plusIsEEEEZZNS1_33reduce_by_key_impl_wrapped_configILNS1_25lookback_scan_determinismE0ES3_S9_NS6_6detail15normal_iteratorINS6_10device_ptrIjEEEENSD_INSE_IsEEEENS6_16discard_iteratorINS6_11use_defaultEEESI_PmS8_NS6_8equal_toIjEEEE10hipError_tPvRmT2_T3_mT4_T5_T6_T7_T8_P12ihipStream_tbENKUlT_T0_E_clISt17integral_constantIbLb0EES16_EEDaS11_S12_EUlS11_E_NS1_11comp_targetILNS1_3genE8ELNS1_11target_archE1030ELNS1_3gpuE2ELNS1_3repE0EEENS1_30default_config_static_selectorELNS0_4arch9wavefront6targetE1EEEvT1_
		.amdhsa_group_segment_fixed_size 0
		.amdhsa_private_segment_fixed_size 0
		.amdhsa_kernarg_size 128
		.amdhsa_user_sgpr_count 6
		.amdhsa_user_sgpr_private_segment_buffer 1
		.amdhsa_user_sgpr_dispatch_ptr 0
		.amdhsa_user_sgpr_queue_ptr 0
		.amdhsa_user_sgpr_kernarg_segment_ptr 1
		.amdhsa_user_sgpr_dispatch_id 0
		.amdhsa_user_sgpr_flat_scratch_init 0
		.amdhsa_user_sgpr_kernarg_preload_length 0
		.amdhsa_user_sgpr_kernarg_preload_offset 0
		.amdhsa_user_sgpr_private_segment_size 0
		.amdhsa_uses_dynamic_stack 0
		.amdhsa_system_sgpr_private_segment_wavefront_offset 0
		.amdhsa_system_sgpr_workgroup_id_x 1
		.amdhsa_system_sgpr_workgroup_id_y 0
		.amdhsa_system_sgpr_workgroup_id_z 0
		.amdhsa_system_sgpr_workgroup_info 0
		.amdhsa_system_vgpr_workitem_id 0
		.amdhsa_next_free_vgpr 1
		.amdhsa_next_free_sgpr 0
		.amdhsa_accum_offset 4
		.amdhsa_reserve_vcc 0
		.amdhsa_reserve_flat_scratch 0
		.amdhsa_float_round_mode_32 0
		.amdhsa_float_round_mode_16_64 0
		.amdhsa_float_denorm_mode_32 3
		.amdhsa_float_denorm_mode_16_64 3
		.amdhsa_dx10_clamp 1
		.amdhsa_ieee_mode 1
		.amdhsa_fp16_overflow 0
		.amdhsa_tg_split 0
		.amdhsa_exception_fp_ieee_invalid_op 0
		.amdhsa_exception_fp_denorm_src 0
		.amdhsa_exception_fp_ieee_div_zero 0
		.amdhsa_exception_fp_ieee_overflow 0
		.amdhsa_exception_fp_ieee_underflow 0
		.amdhsa_exception_fp_ieee_inexact 0
		.amdhsa_exception_int_div_zero 0
	.end_amdhsa_kernel
	.section	.text._ZN7rocprim17ROCPRIM_400000_NS6detail17trampoline_kernelINS0_14default_configENS1_29reduce_by_key_config_selectorIjsN6thrust23THRUST_200600_302600_NS4plusIsEEEEZZNS1_33reduce_by_key_impl_wrapped_configILNS1_25lookback_scan_determinismE0ES3_S9_NS6_6detail15normal_iteratorINS6_10device_ptrIjEEEENSD_INSE_IsEEEENS6_16discard_iteratorINS6_11use_defaultEEESI_PmS8_NS6_8equal_toIjEEEE10hipError_tPvRmT2_T3_mT4_T5_T6_T7_T8_P12ihipStream_tbENKUlT_T0_E_clISt17integral_constantIbLb0EES16_EEDaS11_S12_EUlS11_E_NS1_11comp_targetILNS1_3genE8ELNS1_11target_archE1030ELNS1_3gpuE2ELNS1_3repE0EEENS1_30default_config_static_selectorELNS0_4arch9wavefront6targetE1EEEvT1_,"axG",@progbits,_ZN7rocprim17ROCPRIM_400000_NS6detail17trampoline_kernelINS0_14default_configENS1_29reduce_by_key_config_selectorIjsN6thrust23THRUST_200600_302600_NS4plusIsEEEEZZNS1_33reduce_by_key_impl_wrapped_configILNS1_25lookback_scan_determinismE0ES3_S9_NS6_6detail15normal_iteratorINS6_10device_ptrIjEEEENSD_INSE_IsEEEENS6_16discard_iteratorINS6_11use_defaultEEESI_PmS8_NS6_8equal_toIjEEEE10hipError_tPvRmT2_T3_mT4_T5_T6_T7_T8_P12ihipStream_tbENKUlT_T0_E_clISt17integral_constantIbLb0EES16_EEDaS11_S12_EUlS11_E_NS1_11comp_targetILNS1_3genE8ELNS1_11target_archE1030ELNS1_3gpuE2ELNS1_3repE0EEENS1_30default_config_static_selectorELNS0_4arch9wavefront6targetE1EEEvT1_,comdat
.Lfunc_end1065:
	.size	_ZN7rocprim17ROCPRIM_400000_NS6detail17trampoline_kernelINS0_14default_configENS1_29reduce_by_key_config_selectorIjsN6thrust23THRUST_200600_302600_NS4plusIsEEEEZZNS1_33reduce_by_key_impl_wrapped_configILNS1_25lookback_scan_determinismE0ES3_S9_NS6_6detail15normal_iteratorINS6_10device_ptrIjEEEENSD_INSE_IsEEEENS6_16discard_iteratorINS6_11use_defaultEEESI_PmS8_NS6_8equal_toIjEEEE10hipError_tPvRmT2_T3_mT4_T5_T6_T7_T8_P12ihipStream_tbENKUlT_T0_E_clISt17integral_constantIbLb0EES16_EEDaS11_S12_EUlS11_E_NS1_11comp_targetILNS1_3genE8ELNS1_11target_archE1030ELNS1_3gpuE2ELNS1_3repE0EEENS1_30default_config_static_selectorELNS0_4arch9wavefront6targetE1EEEvT1_, .Lfunc_end1065-_ZN7rocprim17ROCPRIM_400000_NS6detail17trampoline_kernelINS0_14default_configENS1_29reduce_by_key_config_selectorIjsN6thrust23THRUST_200600_302600_NS4plusIsEEEEZZNS1_33reduce_by_key_impl_wrapped_configILNS1_25lookback_scan_determinismE0ES3_S9_NS6_6detail15normal_iteratorINS6_10device_ptrIjEEEENSD_INSE_IsEEEENS6_16discard_iteratorINS6_11use_defaultEEESI_PmS8_NS6_8equal_toIjEEEE10hipError_tPvRmT2_T3_mT4_T5_T6_T7_T8_P12ihipStream_tbENKUlT_T0_E_clISt17integral_constantIbLb0EES16_EEDaS11_S12_EUlS11_E_NS1_11comp_targetILNS1_3genE8ELNS1_11target_archE1030ELNS1_3gpuE2ELNS1_3repE0EEENS1_30default_config_static_selectorELNS0_4arch9wavefront6targetE1EEEvT1_
                                        ; -- End function
	.section	.AMDGPU.csdata,"",@progbits
; Kernel info:
; codeLenInByte = 0
; NumSgprs: 4
; NumVgprs: 0
; NumAgprs: 0
; TotalNumVgprs: 0
; ScratchSize: 0
; MemoryBound: 0
; FloatMode: 240
; IeeeMode: 1
; LDSByteSize: 0 bytes/workgroup (compile time only)
; SGPRBlocks: 0
; VGPRBlocks: 0
; NumSGPRsForWavesPerEU: 4
; NumVGPRsForWavesPerEU: 1
; AccumOffset: 4
; Occupancy: 8
; WaveLimiterHint : 0
; COMPUTE_PGM_RSRC2:SCRATCH_EN: 0
; COMPUTE_PGM_RSRC2:USER_SGPR: 6
; COMPUTE_PGM_RSRC2:TRAP_HANDLER: 0
; COMPUTE_PGM_RSRC2:TGID_X_EN: 1
; COMPUTE_PGM_RSRC2:TGID_Y_EN: 0
; COMPUTE_PGM_RSRC2:TGID_Z_EN: 0
; COMPUTE_PGM_RSRC2:TIDIG_COMP_CNT: 0
; COMPUTE_PGM_RSRC3_GFX90A:ACCUM_OFFSET: 0
; COMPUTE_PGM_RSRC3_GFX90A:TG_SPLIT: 0
	.section	.text._ZN7rocprim17ROCPRIM_400000_NS6detail17trampoline_kernelINS0_14default_configENS1_29reduce_by_key_config_selectorIjsN6thrust23THRUST_200600_302600_NS4plusIsEEEEZZNS1_33reduce_by_key_impl_wrapped_configILNS1_25lookback_scan_determinismE0ES3_S9_NS6_6detail15normal_iteratorINS6_10device_ptrIjEEEENSD_INSE_IsEEEENS6_16discard_iteratorINS6_11use_defaultEEESI_PmS8_NS6_8equal_toIjEEEE10hipError_tPvRmT2_T3_mT4_T5_T6_T7_T8_P12ihipStream_tbENKUlT_T0_E_clISt17integral_constantIbLb1EES16_EEDaS11_S12_EUlS11_E_NS1_11comp_targetILNS1_3genE0ELNS1_11target_archE4294967295ELNS1_3gpuE0ELNS1_3repE0EEENS1_30default_config_static_selectorELNS0_4arch9wavefront6targetE1EEEvT1_,"axG",@progbits,_ZN7rocprim17ROCPRIM_400000_NS6detail17trampoline_kernelINS0_14default_configENS1_29reduce_by_key_config_selectorIjsN6thrust23THRUST_200600_302600_NS4plusIsEEEEZZNS1_33reduce_by_key_impl_wrapped_configILNS1_25lookback_scan_determinismE0ES3_S9_NS6_6detail15normal_iteratorINS6_10device_ptrIjEEEENSD_INSE_IsEEEENS6_16discard_iteratorINS6_11use_defaultEEESI_PmS8_NS6_8equal_toIjEEEE10hipError_tPvRmT2_T3_mT4_T5_T6_T7_T8_P12ihipStream_tbENKUlT_T0_E_clISt17integral_constantIbLb1EES16_EEDaS11_S12_EUlS11_E_NS1_11comp_targetILNS1_3genE0ELNS1_11target_archE4294967295ELNS1_3gpuE0ELNS1_3repE0EEENS1_30default_config_static_selectorELNS0_4arch9wavefront6targetE1EEEvT1_,comdat
	.protected	_ZN7rocprim17ROCPRIM_400000_NS6detail17trampoline_kernelINS0_14default_configENS1_29reduce_by_key_config_selectorIjsN6thrust23THRUST_200600_302600_NS4plusIsEEEEZZNS1_33reduce_by_key_impl_wrapped_configILNS1_25lookback_scan_determinismE0ES3_S9_NS6_6detail15normal_iteratorINS6_10device_ptrIjEEEENSD_INSE_IsEEEENS6_16discard_iteratorINS6_11use_defaultEEESI_PmS8_NS6_8equal_toIjEEEE10hipError_tPvRmT2_T3_mT4_T5_T6_T7_T8_P12ihipStream_tbENKUlT_T0_E_clISt17integral_constantIbLb1EES16_EEDaS11_S12_EUlS11_E_NS1_11comp_targetILNS1_3genE0ELNS1_11target_archE4294967295ELNS1_3gpuE0ELNS1_3repE0EEENS1_30default_config_static_selectorELNS0_4arch9wavefront6targetE1EEEvT1_ ; -- Begin function _ZN7rocprim17ROCPRIM_400000_NS6detail17trampoline_kernelINS0_14default_configENS1_29reduce_by_key_config_selectorIjsN6thrust23THRUST_200600_302600_NS4plusIsEEEEZZNS1_33reduce_by_key_impl_wrapped_configILNS1_25lookback_scan_determinismE0ES3_S9_NS6_6detail15normal_iteratorINS6_10device_ptrIjEEEENSD_INSE_IsEEEENS6_16discard_iteratorINS6_11use_defaultEEESI_PmS8_NS6_8equal_toIjEEEE10hipError_tPvRmT2_T3_mT4_T5_T6_T7_T8_P12ihipStream_tbENKUlT_T0_E_clISt17integral_constantIbLb1EES16_EEDaS11_S12_EUlS11_E_NS1_11comp_targetILNS1_3genE0ELNS1_11target_archE4294967295ELNS1_3gpuE0ELNS1_3repE0EEENS1_30default_config_static_selectorELNS0_4arch9wavefront6targetE1EEEvT1_
	.globl	_ZN7rocprim17ROCPRIM_400000_NS6detail17trampoline_kernelINS0_14default_configENS1_29reduce_by_key_config_selectorIjsN6thrust23THRUST_200600_302600_NS4plusIsEEEEZZNS1_33reduce_by_key_impl_wrapped_configILNS1_25lookback_scan_determinismE0ES3_S9_NS6_6detail15normal_iteratorINS6_10device_ptrIjEEEENSD_INSE_IsEEEENS6_16discard_iteratorINS6_11use_defaultEEESI_PmS8_NS6_8equal_toIjEEEE10hipError_tPvRmT2_T3_mT4_T5_T6_T7_T8_P12ihipStream_tbENKUlT_T0_E_clISt17integral_constantIbLb1EES16_EEDaS11_S12_EUlS11_E_NS1_11comp_targetILNS1_3genE0ELNS1_11target_archE4294967295ELNS1_3gpuE0ELNS1_3repE0EEENS1_30default_config_static_selectorELNS0_4arch9wavefront6targetE1EEEvT1_
	.p2align	8
	.type	_ZN7rocprim17ROCPRIM_400000_NS6detail17trampoline_kernelINS0_14default_configENS1_29reduce_by_key_config_selectorIjsN6thrust23THRUST_200600_302600_NS4plusIsEEEEZZNS1_33reduce_by_key_impl_wrapped_configILNS1_25lookback_scan_determinismE0ES3_S9_NS6_6detail15normal_iteratorINS6_10device_ptrIjEEEENSD_INSE_IsEEEENS6_16discard_iteratorINS6_11use_defaultEEESI_PmS8_NS6_8equal_toIjEEEE10hipError_tPvRmT2_T3_mT4_T5_T6_T7_T8_P12ihipStream_tbENKUlT_T0_E_clISt17integral_constantIbLb1EES16_EEDaS11_S12_EUlS11_E_NS1_11comp_targetILNS1_3genE0ELNS1_11target_archE4294967295ELNS1_3gpuE0ELNS1_3repE0EEENS1_30default_config_static_selectorELNS0_4arch9wavefront6targetE1EEEvT1_,@function
_ZN7rocprim17ROCPRIM_400000_NS6detail17trampoline_kernelINS0_14default_configENS1_29reduce_by_key_config_selectorIjsN6thrust23THRUST_200600_302600_NS4plusIsEEEEZZNS1_33reduce_by_key_impl_wrapped_configILNS1_25lookback_scan_determinismE0ES3_S9_NS6_6detail15normal_iteratorINS6_10device_ptrIjEEEENSD_INSE_IsEEEENS6_16discard_iteratorINS6_11use_defaultEEESI_PmS8_NS6_8equal_toIjEEEE10hipError_tPvRmT2_T3_mT4_T5_T6_T7_T8_P12ihipStream_tbENKUlT_T0_E_clISt17integral_constantIbLb1EES16_EEDaS11_S12_EUlS11_E_NS1_11comp_targetILNS1_3genE0ELNS1_11target_archE4294967295ELNS1_3gpuE0ELNS1_3repE0EEENS1_30default_config_static_selectorELNS0_4arch9wavefront6targetE1EEEvT1_: ; @_ZN7rocprim17ROCPRIM_400000_NS6detail17trampoline_kernelINS0_14default_configENS1_29reduce_by_key_config_selectorIjsN6thrust23THRUST_200600_302600_NS4plusIsEEEEZZNS1_33reduce_by_key_impl_wrapped_configILNS1_25lookback_scan_determinismE0ES3_S9_NS6_6detail15normal_iteratorINS6_10device_ptrIjEEEENSD_INSE_IsEEEENS6_16discard_iteratorINS6_11use_defaultEEESI_PmS8_NS6_8equal_toIjEEEE10hipError_tPvRmT2_T3_mT4_T5_T6_T7_T8_P12ihipStream_tbENKUlT_T0_E_clISt17integral_constantIbLb1EES16_EEDaS11_S12_EUlS11_E_NS1_11comp_targetILNS1_3genE0ELNS1_11target_archE4294967295ELNS1_3gpuE0ELNS1_3repE0EEENS1_30default_config_static_selectorELNS0_4arch9wavefront6targetE1EEEvT1_
; %bb.0:
	.section	.rodata,"a",@progbits
	.p2align	6, 0x0
	.amdhsa_kernel _ZN7rocprim17ROCPRIM_400000_NS6detail17trampoline_kernelINS0_14default_configENS1_29reduce_by_key_config_selectorIjsN6thrust23THRUST_200600_302600_NS4plusIsEEEEZZNS1_33reduce_by_key_impl_wrapped_configILNS1_25lookback_scan_determinismE0ES3_S9_NS6_6detail15normal_iteratorINS6_10device_ptrIjEEEENSD_INSE_IsEEEENS6_16discard_iteratorINS6_11use_defaultEEESI_PmS8_NS6_8equal_toIjEEEE10hipError_tPvRmT2_T3_mT4_T5_T6_T7_T8_P12ihipStream_tbENKUlT_T0_E_clISt17integral_constantIbLb1EES16_EEDaS11_S12_EUlS11_E_NS1_11comp_targetILNS1_3genE0ELNS1_11target_archE4294967295ELNS1_3gpuE0ELNS1_3repE0EEENS1_30default_config_static_selectorELNS0_4arch9wavefront6targetE1EEEvT1_
		.amdhsa_group_segment_fixed_size 0
		.amdhsa_private_segment_fixed_size 0
		.amdhsa_kernarg_size 128
		.amdhsa_user_sgpr_count 6
		.amdhsa_user_sgpr_private_segment_buffer 1
		.amdhsa_user_sgpr_dispatch_ptr 0
		.amdhsa_user_sgpr_queue_ptr 0
		.amdhsa_user_sgpr_kernarg_segment_ptr 1
		.amdhsa_user_sgpr_dispatch_id 0
		.amdhsa_user_sgpr_flat_scratch_init 0
		.amdhsa_user_sgpr_kernarg_preload_length 0
		.amdhsa_user_sgpr_kernarg_preload_offset 0
		.amdhsa_user_sgpr_private_segment_size 0
		.amdhsa_uses_dynamic_stack 0
		.amdhsa_system_sgpr_private_segment_wavefront_offset 0
		.amdhsa_system_sgpr_workgroup_id_x 1
		.amdhsa_system_sgpr_workgroup_id_y 0
		.amdhsa_system_sgpr_workgroup_id_z 0
		.amdhsa_system_sgpr_workgroup_info 0
		.amdhsa_system_vgpr_workitem_id 0
		.amdhsa_next_free_vgpr 1
		.amdhsa_next_free_sgpr 0
		.amdhsa_accum_offset 4
		.amdhsa_reserve_vcc 0
		.amdhsa_reserve_flat_scratch 0
		.amdhsa_float_round_mode_32 0
		.amdhsa_float_round_mode_16_64 0
		.amdhsa_float_denorm_mode_32 3
		.amdhsa_float_denorm_mode_16_64 3
		.amdhsa_dx10_clamp 1
		.amdhsa_ieee_mode 1
		.amdhsa_fp16_overflow 0
		.amdhsa_tg_split 0
		.amdhsa_exception_fp_ieee_invalid_op 0
		.amdhsa_exception_fp_denorm_src 0
		.amdhsa_exception_fp_ieee_div_zero 0
		.amdhsa_exception_fp_ieee_overflow 0
		.amdhsa_exception_fp_ieee_underflow 0
		.amdhsa_exception_fp_ieee_inexact 0
		.amdhsa_exception_int_div_zero 0
	.end_amdhsa_kernel
	.section	.text._ZN7rocprim17ROCPRIM_400000_NS6detail17trampoline_kernelINS0_14default_configENS1_29reduce_by_key_config_selectorIjsN6thrust23THRUST_200600_302600_NS4plusIsEEEEZZNS1_33reduce_by_key_impl_wrapped_configILNS1_25lookback_scan_determinismE0ES3_S9_NS6_6detail15normal_iteratorINS6_10device_ptrIjEEEENSD_INSE_IsEEEENS6_16discard_iteratorINS6_11use_defaultEEESI_PmS8_NS6_8equal_toIjEEEE10hipError_tPvRmT2_T3_mT4_T5_T6_T7_T8_P12ihipStream_tbENKUlT_T0_E_clISt17integral_constantIbLb1EES16_EEDaS11_S12_EUlS11_E_NS1_11comp_targetILNS1_3genE0ELNS1_11target_archE4294967295ELNS1_3gpuE0ELNS1_3repE0EEENS1_30default_config_static_selectorELNS0_4arch9wavefront6targetE1EEEvT1_,"axG",@progbits,_ZN7rocprim17ROCPRIM_400000_NS6detail17trampoline_kernelINS0_14default_configENS1_29reduce_by_key_config_selectorIjsN6thrust23THRUST_200600_302600_NS4plusIsEEEEZZNS1_33reduce_by_key_impl_wrapped_configILNS1_25lookback_scan_determinismE0ES3_S9_NS6_6detail15normal_iteratorINS6_10device_ptrIjEEEENSD_INSE_IsEEEENS6_16discard_iteratorINS6_11use_defaultEEESI_PmS8_NS6_8equal_toIjEEEE10hipError_tPvRmT2_T3_mT4_T5_T6_T7_T8_P12ihipStream_tbENKUlT_T0_E_clISt17integral_constantIbLb1EES16_EEDaS11_S12_EUlS11_E_NS1_11comp_targetILNS1_3genE0ELNS1_11target_archE4294967295ELNS1_3gpuE0ELNS1_3repE0EEENS1_30default_config_static_selectorELNS0_4arch9wavefront6targetE1EEEvT1_,comdat
.Lfunc_end1066:
	.size	_ZN7rocprim17ROCPRIM_400000_NS6detail17trampoline_kernelINS0_14default_configENS1_29reduce_by_key_config_selectorIjsN6thrust23THRUST_200600_302600_NS4plusIsEEEEZZNS1_33reduce_by_key_impl_wrapped_configILNS1_25lookback_scan_determinismE0ES3_S9_NS6_6detail15normal_iteratorINS6_10device_ptrIjEEEENSD_INSE_IsEEEENS6_16discard_iteratorINS6_11use_defaultEEESI_PmS8_NS6_8equal_toIjEEEE10hipError_tPvRmT2_T3_mT4_T5_T6_T7_T8_P12ihipStream_tbENKUlT_T0_E_clISt17integral_constantIbLb1EES16_EEDaS11_S12_EUlS11_E_NS1_11comp_targetILNS1_3genE0ELNS1_11target_archE4294967295ELNS1_3gpuE0ELNS1_3repE0EEENS1_30default_config_static_selectorELNS0_4arch9wavefront6targetE1EEEvT1_, .Lfunc_end1066-_ZN7rocprim17ROCPRIM_400000_NS6detail17trampoline_kernelINS0_14default_configENS1_29reduce_by_key_config_selectorIjsN6thrust23THRUST_200600_302600_NS4plusIsEEEEZZNS1_33reduce_by_key_impl_wrapped_configILNS1_25lookback_scan_determinismE0ES3_S9_NS6_6detail15normal_iteratorINS6_10device_ptrIjEEEENSD_INSE_IsEEEENS6_16discard_iteratorINS6_11use_defaultEEESI_PmS8_NS6_8equal_toIjEEEE10hipError_tPvRmT2_T3_mT4_T5_T6_T7_T8_P12ihipStream_tbENKUlT_T0_E_clISt17integral_constantIbLb1EES16_EEDaS11_S12_EUlS11_E_NS1_11comp_targetILNS1_3genE0ELNS1_11target_archE4294967295ELNS1_3gpuE0ELNS1_3repE0EEENS1_30default_config_static_selectorELNS0_4arch9wavefront6targetE1EEEvT1_
                                        ; -- End function
	.section	.AMDGPU.csdata,"",@progbits
; Kernel info:
; codeLenInByte = 0
; NumSgprs: 4
; NumVgprs: 0
; NumAgprs: 0
; TotalNumVgprs: 0
; ScratchSize: 0
; MemoryBound: 0
; FloatMode: 240
; IeeeMode: 1
; LDSByteSize: 0 bytes/workgroup (compile time only)
; SGPRBlocks: 0
; VGPRBlocks: 0
; NumSGPRsForWavesPerEU: 4
; NumVGPRsForWavesPerEU: 1
; AccumOffset: 4
; Occupancy: 8
; WaveLimiterHint : 0
; COMPUTE_PGM_RSRC2:SCRATCH_EN: 0
; COMPUTE_PGM_RSRC2:USER_SGPR: 6
; COMPUTE_PGM_RSRC2:TRAP_HANDLER: 0
; COMPUTE_PGM_RSRC2:TGID_X_EN: 1
; COMPUTE_PGM_RSRC2:TGID_Y_EN: 0
; COMPUTE_PGM_RSRC2:TGID_Z_EN: 0
; COMPUTE_PGM_RSRC2:TIDIG_COMP_CNT: 0
; COMPUTE_PGM_RSRC3_GFX90A:ACCUM_OFFSET: 0
; COMPUTE_PGM_RSRC3_GFX90A:TG_SPLIT: 0
	.section	.text._ZN7rocprim17ROCPRIM_400000_NS6detail17trampoline_kernelINS0_14default_configENS1_29reduce_by_key_config_selectorIjsN6thrust23THRUST_200600_302600_NS4plusIsEEEEZZNS1_33reduce_by_key_impl_wrapped_configILNS1_25lookback_scan_determinismE0ES3_S9_NS6_6detail15normal_iteratorINS6_10device_ptrIjEEEENSD_INSE_IsEEEENS6_16discard_iteratorINS6_11use_defaultEEESI_PmS8_NS6_8equal_toIjEEEE10hipError_tPvRmT2_T3_mT4_T5_T6_T7_T8_P12ihipStream_tbENKUlT_T0_E_clISt17integral_constantIbLb1EES16_EEDaS11_S12_EUlS11_E_NS1_11comp_targetILNS1_3genE5ELNS1_11target_archE942ELNS1_3gpuE9ELNS1_3repE0EEENS1_30default_config_static_selectorELNS0_4arch9wavefront6targetE1EEEvT1_,"axG",@progbits,_ZN7rocprim17ROCPRIM_400000_NS6detail17trampoline_kernelINS0_14default_configENS1_29reduce_by_key_config_selectorIjsN6thrust23THRUST_200600_302600_NS4plusIsEEEEZZNS1_33reduce_by_key_impl_wrapped_configILNS1_25lookback_scan_determinismE0ES3_S9_NS6_6detail15normal_iteratorINS6_10device_ptrIjEEEENSD_INSE_IsEEEENS6_16discard_iteratorINS6_11use_defaultEEESI_PmS8_NS6_8equal_toIjEEEE10hipError_tPvRmT2_T3_mT4_T5_T6_T7_T8_P12ihipStream_tbENKUlT_T0_E_clISt17integral_constantIbLb1EES16_EEDaS11_S12_EUlS11_E_NS1_11comp_targetILNS1_3genE5ELNS1_11target_archE942ELNS1_3gpuE9ELNS1_3repE0EEENS1_30default_config_static_selectorELNS0_4arch9wavefront6targetE1EEEvT1_,comdat
	.protected	_ZN7rocprim17ROCPRIM_400000_NS6detail17trampoline_kernelINS0_14default_configENS1_29reduce_by_key_config_selectorIjsN6thrust23THRUST_200600_302600_NS4plusIsEEEEZZNS1_33reduce_by_key_impl_wrapped_configILNS1_25lookback_scan_determinismE0ES3_S9_NS6_6detail15normal_iteratorINS6_10device_ptrIjEEEENSD_INSE_IsEEEENS6_16discard_iteratorINS6_11use_defaultEEESI_PmS8_NS6_8equal_toIjEEEE10hipError_tPvRmT2_T3_mT4_T5_T6_T7_T8_P12ihipStream_tbENKUlT_T0_E_clISt17integral_constantIbLb1EES16_EEDaS11_S12_EUlS11_E_NS1_11comp_targetILNS1_3genE5ELNS1_11target_archE942ELNS1_3gpuE9ELNS1_3repE0EEENS1_30default_config_static_selectorELNS0_4arch9wavefront6targetE1EEEvT1_ ; -- Begin function _ZN7rocprim17ROCPRIM_400000_NS6detail17trampoline_kernelINS0_14default_configENS1_29reduce_by_key_config_selectorIjsN6thrust23THRUST_200600_302600_NS4plusIsEEEEZZNS1_33reduce_by_key_impl_wrapped_configILNS1_25lookback_scan_determinismE0ES3_S9_NS6_6detail15normal_iteratorINS6_10device_ptrIjEEEENSD_INSE_IsEEEENS6_16discard_iteratorINS6_11use_defaultEEESI_PmS8_NS6_8equal_toIjEEEE10hipError_tPvRmT2_T3_mT4_T5_T6_T7_T8_P12ihipStream_tbENKUlT_T0_E_clISt17integral_constantIbLb1EES16_EEDaS11_S12_EUlS11_E_NS1_11comp_targetILNS1_3genE5ELNS1_11target_archE942ELNS1_3gpuE9ELNS1_3repE0EEENS1_30default_config_static_selectorELNS0_4arch9wavefront6targetE1EEEvT1_
	.globl	_ZN7rocprim17ROCPRIM_400000_NS6detail17trampoline_kernelINS0_14default_configENS1_29reduce_by_key_config_selectorIjsN6thrust23THRUST_200600_302600_NS4plusIsEEEEZZNS1_33reduce_by_key_impl_wrapped_configILNS1_25lookback_scan_determinismE0ES3_S9_NS6_6detail15normal_iteratorINS6_10device_ptrIjEEEENSD_INSE_IsEEEENS6_16discard_iteratorINS6_11use_defaultEEESI_PmS8_NS6_8equal_toIjEEEE10hipError_tPvRmT2_T3_mT4_T5_T6_T7_T8_P12ihipStream_tbENKUlT_T0_E_clISt17integral_constantIbLb1EES16_EEDaS11_S12_EUlS11_E_NS1_11comp_targetILNS1_3genE5ELNS1_11target_archE942ELNS1_3gpuE9ELNS1_3repE0EEENS1_30default_config_static_selectorELNS0_4arch9wavefront6targetE1EEEvT1_
	.p2align	8
	.type	_ZN7rocprim17ROCPRIM_400000_NS6detail17trampoline_kernelINS0_14default_configENS1_29reduce_by_key_config_selectorIjsN6thrust23THRUST_200600_302600_NS4plusIsEEEEZZNS1_33reduce_by_key_impl_wrapped_configILNS1_25lookback_scan_determinismE0ES3_S9_NS6_6detail15normal_iteratorINS6_10device_ptrIjEEEENSD_INSE_IsEEEENS6_16discard_iteratorINS6_11use_defaultEEESI_PmS8_NS6_8equal_toIjEEEE10hipError_tPvRmT2_T3_mT4_T5_T6_T7_T8_P12ihipStream_tbENKUlT_T0_E_clISt17integral_constantIbLb1EES16_EEDaS11_S12_EUlS11_E_NS1_11comp_targetILNS1_3genE5ELNS1_11target_archE942ELNS1_3gpuE9ELNS1_3repE0EEENS1_30default_config_static_selectorELNS0_4arch9wavefront6targetE1EEEvT1_,@function
_ZN7rocprim17ROCPRIM_400000_NS6detail17trampoline_kernelINS0_14default_configENS1_29reduce_by_key_config_selectorIjsN6thrust23THRUST_200600_302600_NS4plusIsEEEEZZNS1_33reduce_by_key_impl_wrapped_configILNS1_25lookback_scan_determinismE0ES3_S9_NS6_6detail15normal_iteratorINS6_10device_ptrIjEEEENSD_INSE_IsEEEENS6_16discard_iteratorINS6_11use_defaultEEESI_PmS8_NS6_8equal_toIjEEEE10hipError_tPvRmT2_T3_mT4_T5_T6_T7_T8_P12ihipStream_tbENKUlT_T0_E_clISt17integral_constantIbLb1EES16_EEDaS11_S12_EUlS11_E_NS1_11comp_targetILNS1_3genE5ELNS1_11target_archE942ELNS1_3gpuE9ELNS1_3repE0EEENS1_30default_config_static_selectorELNS0_4arch9wavefront6targetE1EEEvT1_: ; @_ZN7rocprim17ROCPRIM_400000_NS6detail17trampoline_kernelINS0_14default_configENS1_29reduce_by_key_config_selectorIjsN6thrust23THRUST_200600_302600_NS4plusIsEEEEZZNS1_33reduce_by_key_impl_wrapped_configILNS1_25lookback_scan_determinismE0ES3_S9_NS6_6detail15normal_iteratorINS6_10device_ptrIjEEEENSD_INSE_IsEEEENS6_16discard_iteratorINS6_11use_defaultEEESI_PmS8_NS6_8equal_toIjEEEE10hipError_tPvRmT2_T3_mT4_T5_T6_T7_T8_P12ihipStream_tbENKUlT_T0_E_clISt17integral_constantIbLb1EES16_EEDaS11_S12_EUlS11_E_NS1_11comp_targetILNS1_3genE5ELNS1_11target_archE942ELNS1_3gpuE9ELNS1_3repE0EEENS1_30default_config_static_selectorELNS0_4arch9wavefront6targetE1EEEvT1_
; %bb.0:
	.section	.rodata,"a",@progbits
	.p2align	6, 0x0
	.amdhsa_kernel _ZN7rocprim17ROCPRIM_400000_NS6detail17trampoline_kernelINS0_14default_configENS1_29reduce_by_key_config_selectorIjsN6thrust23THRUST_200600_302600_NS4plusIsEEEEZZNS1_33reduce_by_key_impl_wrapped_configILNS1_25lookback_scan_determinismE0ES3_S9_NS6_6detail15normal_iteratorINS6_10device_ptrIjEEEENSD_INSE_IsEEEENS6_16discard_iteratorINS6_11use_defaultEEESI_PmS8_NS6_8equal_toIjEEEE10hipError_tPvRmT2_T3_mT4_T5_T6_T7_T8_P12ihipStream_tbENKUlT_T0_E_clISt17integral_constantIbLb1EES16_EEDaS11_S12_EUlS11_E_NS1_11comp_targetILNS1_3genE5ELNS1_11target_archE942ELNS1_3gpuE9ELNS1_3repE0EEENS1_30default_config_static_selectorELNS0_4arch9wavefront6targetE1EEEvT1_
		.amdhsa_group_segment_fixed_size 0
		.amdhsa_private_segment_fixed_size 0
		.amdhsa_kernarg_size 128
		.amdhsa_user_sgpr_count 6
		.amdhsa_user_sgpr_private_segment_buffer 1
		.amdhsa_user_sgpr_dispatch_ptr 0
		.amdhsa_user_sgpr_queue_ptr 0
		.amdhsa_user_sgpr_kernarg_segment_ptr 1
		.amdhsa_user_sgpr_dispatch_id 0
		.amdhsa_user_sgpr_flat_scratch_init 0
		.amdhsa_user_sgpr_kernarg_preload_length 0
		.amdhsa_user_sgpr_kernarg_preload_offset 0
		.amdhsa_user_sgpr_private_segment_size 0
		.amdhsa_uses_dynamic_stack 0
		.amdhsa_system_sgpr_private_segment_wavefront_offset 0
		.amdhsa_system_sgpr_workgroup_id_x 1
		.amdhsa_system_sgpr_workgroup_id_y 0
		.amdhsa_system_sgpr_workgroup_id_z 0
		.amdhsa_system_sgpr_workgroup_info 0
		.amdhsa_system_vgpr_workitem_id 0
		.amdhsa_next_free_vgpr 1
		.amdhsa_next_free_sgpr 0
		.amdhsa_accum_offset 4
		.amdhsa_reserve_vcc 0
		.amdhsa_reserve_flat_scratch 0
		.amdhsa_float_round_mode_32 0
		.amdhsa_float_round_mode_16_64 0
		.amdhsa_float_denorm_mode_32 3
		.amdhsa_float_denorm_mode_16_64 3
		.amdhsa_dx10_clamp 1
		.amdhsa_ieee_mode 1
		.amdhsa_fp16_overflow 0
		.amdhsa_tg_split 0
		.amdhsa_exception_fp_ieee_invalid_op 0
		.amdhsa_exception_fp_denorm_src 0
		.amdhsa_exception_fp_ieee_div_zero 0
		.amdhsa_exception_fp_ieee_overflow 0
		.amdhsa_exception_fp_ieee_underflow 0
		.amdhsa_exception_fp_ieee_inexact 0
		.amdhsa_exception_int_div_zero 0
	.end_amdhsa_kernel
	.section	.text._ZN7rocprim17ROCPRIM_400000_NS6detail17trampoline_kernelINS0_14default_configENS1_29reduce_by_key_config_selectorIjsN6thrust23THRUST_200600_302600_NS4plusIsEEEEZZNS1_33reduce_by_key_impl_wrapped_configILNS1_25lookback_scan_determinismE0ES3_S9_NS6_6detail15normal_iteratorINS6_10device_ptrIjEEEENSD_INSE_IsEEEENS6_16discard_iteratorINS6_11use_defaultEEESI_PmS8_NS6_8equal_toIjEEEE10hipError_tPvRmT2_T3_mT4_T5_T6_T7_T8_P12ihipStream_tbENKUlT_T0_E_clISt17integral_constantIbLb1EES16_EEDaS11_S12_EUlS11_E_NS1_11comp_targetILNS1_3genE5ELNS1_11target_archE942ELNS1_3gpuE9ELNS1_3repE0EEENS1_30default_config_static_selectorELNS0_4arch9wavefront6targetE1EEEvT1_,"axG",@progbits,_ZN7rocprim17ROCPRIM_400000_NS6detail17trampoline_kernelINS0_14default_configENS1_29reduce_by_key_config_selectorIjsN6thrust23THRUST_200600_302600_NS4plusIsEEEEZZNS1_33reduce_by_key_impl_wrapped_configILNS1_25lookback_scan_determinismE0ES3_S9_NS6_6detail15normal_iteratorINS6_10device_ptrIjEEEENSD_INSE_IsEEEENS6_16discard_iteratorINS6_11use_defaultEEESI_PmS8_NS6_8equal_toIjEEEE10hipError_tPvRmT2_T3_mT4_T5_T6_T7_T8_P12ihipStream_tbENKUlT_T0_E_clISt17integral_constantIbLb1EES16_EEDaS11_S12_EUlS11_E_NS1_11comp_targetILNS1_3genE5ELNS1_11target_archE942ELNS1_3gpuE9ELNS1_3repE0EEENS1_30default_config_static_selectorELNS0_4arch9wavefront6targetE1EEEvT1_,comdat
.Lfunc_end1067:
	.size	_ZN7rocprim17ROCPRIM_400000_NS6detail17trampoline_kernelINS0_14default_configENS1_29reduce_by_key_config_selectorIjsN6thrust23THRUST_200600_302600_NS4plusIsEEEEZZNS1_33reduce_by_key_impl_wrapped_configILNS1_25lookback_scan_determinismE0ES3_S9_NS6_6detail15normal_iteratorINS6_10device_ptrIjEEEENSD_INSE_IsEEEENS6_16discard_iteratorINS6_11use_defaultEEESI_PmS8_NS6_8equal_toIjEEEE10hipError_tPvRmT2_T3_mT4_T5_T6_T7_T8_P12ihipStream_tbENKUlT_T0_E_clISt17integral_constantIbLb1EES16_EEDaS11_S12_EUlS11_E_NS1_11comp_targetILNS1_3genE5ELNS1_11target_archE942ELNS1_3gpuE9ELNS1_3repE0EEENS1_30default_config_static_selectorELNS0_4arch9wavefront6targetE1EEEvT1_, .Lfunc_end1067-_ZN7rocprim17ROCPRIM_400000_NS6detail17trampoline_kernelINS0_14default_configENS1_29reduce_by_key_config_selectorIjsN6thrust23THRUST_200600_302600_NS4plusIsEEEEZZNS1_33reduce_by_key_impl_wrapped_configILNS1_25lookback_scan_determinismE0ES3_S9_NS6_6detail15normal_iteratorINS6_10device_ptrIjEEEENSD_INSE_IsEEEENS6_16discard_iteratorINS6_11use_defaultEEESI_PmS8_NS6_8equal_toIjEEEE10hipError_tPvRmT2_T3_mT4_T5_T6_T7_T8_P12ihipStream_tbENKUlT_T0_E_clISt17integral_constantIbLb1EES16_EEDaS11_S12_EUlS11_E_NS1_11comp_targetILNS1_3genE5ELNS1_11target_archE942ELNS1_3gpuE9ELNS1_3repE0EEENS1_30default_config_static_selectorELNS0_4arch9wavefront6targetE1EEEvT1_
                                        ; -- End function
	.section	.AMDGPU.csdata,"",@progbits
; Kernel info:
; codeLenInByte = 0
; NumSgprs: 4
; NumVgprs: 0
; NumAgprs: 0
; TotalNumVgprs: 0
; ScratchSize: 0
; MemoryBound: 0
; FloatMode: 240
; IeeeMode: 1
; LDSByteSize: 0 bytes/workgroup (compile time only)
; SGPRBlocks: 0
; VGPRBlocks: 0
; NumSGPRsForWavesPerEU: 4
; NumVGPRsForWavesPerEU: 1
; AccumOffset: 4
; Occupancy: 8
; WaveLimiterHint : 0
; COMPUTE_PGM_RSRC2:SCRATCH_EN: 0
; COMPUTE_PGM_RSRC2:USER_SGPR: 6
; COMPUTE_PGM_RSRC2:TRAP_HANDLER: 0
; COMPUTE_PGM_RSRC2:TGID_X_EN: 1
; COMPUTE_PGM_RSRC2:TGID_Y_EN: 0
; COMPUTE_PGM_RSRC2:TGID_Z_EN: 0
; COMPUTE_PGM_RSRC2:TIDIG_COMP_CNT: 0
; COMPUTE_PGM_RSRC3_GFX90A:ACCUM_OFFSET: 0
; COMPUTE_PGM_RSRC3_GFX90A:TG_SPLIT: 0
	.section	.text._ZN7rocprim17ROCPRIM_400000_NS6detail17trampoline_kernelINS0_14default_configENS1_29reduce_by_key_config_selectorIjsN6thrust23THRUST_200600_302600_NS4plusIsEEEEZZNS1_33reduce_by_key_impl_wrapped_configILNS1_25lookback_scan_determinismE0ES3_S9_NS6_6detail15normal_iteratorINS6_10device_ptrIjEEEENSD_INSE_IsEEEENS6_16discard_iteratorINS6_11use_defaultEEESI_PmS8_NS6_8equal_toIjEEEE10hipError_tPvRmT2_T3_mT4_T5_T6_T7_T8_P12ihipStream_tbENKUlT_T0_E_clISt17integral_constantIbLb1EES16_EEDaS11_S12_EUlS11_E_NS1_11comp_targetILNS1_3genE4ELNS1_11target_archE910ELNS1_3gpuE8ELNS1_3repE0EEENS1_30default_config_static_selectorELNS0_4arch9wavefront6targetE1EEEvT1_,"axG",@progbits,_ZN7rocprim17ROCPRIM_400000_NS6detail17trampoline_kernelINS0_14default_configENS1_29reduce_by_key_config_selectorIjsN6thrust23THRUST_200600_302600_NS4plusIsEEEEZZNS1_33reduce_by_key_impl_wrapped_configILNS1_25lookback_scan_determinismE0ES3_S9_NS6_6detail15normal_iteratorINS6_10device_ptrIjEEEENSD_INSE_IsEEEENS6_16discard_iteratorINS6_11use_defaultEEESI_PmS8_NS6_8equal_toIjEEEE10hipError_tPvRmT2_T3_mT4_T5_T6_T7_T8_P12ihipStream_tbENKUlT_T0_E_clISt17integral_constantIbLb1EES16_EEDaS11_S12_EUlS11_E_NS1_11comp_targetILNS1_3genE4ELNS1_11target_archE910ELNS1_3gpuE8ELNS1_3repE0EEENS1_30default_config_static_selectorELNS0_4arch9wavefront6targetE1EEEvT1_,comdat
	.protected	_ZN7rocprim17ROCPRIM_400000_NS6detail17trampoline_kernelINS0_14default_configENS1_29reduce_by_key_config_selectorIjsN6thrust23THRUST_200600_302600_NS4plusIsEEEEZZNS1_33reduce_by_key_impl_wrapped_configILNS1_25lookback_scan_determinismE0ES3_S9_NS6_6detail15normal_iteratorINS6_10device_ptrIjEEEENSD_INSE_IsEEEENS6_16discard_iteratorINS6_11use_defaultEEESI_PmS8_NS6_8equal_toIjEEEE10hipError_tPvRmT2_T3_mT4_T5_T6_T7_T8_P12ihipStream_tbENKUlT_T0_E_clISt17integral_constantIbLb1EES16_EEDaS11_S12_EUlS11_E_NS1_11comp_targetILNS1_3genE4ELNS1_11target_archE910ELNS1_3gpuE8ELNS1_3repE0EEENS1_30default_config_static_selectorELNS0_4arch9wavefront6targetE1EEEvT1_ ; -- Begin function _ZN7rocprim17ROCPRIM_400000_NS6detail17trampoline_kernelINS0_14default_configENS1_29reduce_by_key_config_selectorIjsN6thrust23THRUST_200600_302600_NS4plusIsEEEEZZNS1_33reduce_by_key_impl_wrapped_configILNS1_25lookback_scan_determinismE0ES3_S9_NS6_6detail15normal_iteratorINS6_10device_ptrIjEEEENSD_INSE_IsEEEENS6_16discard_iteratorINS6_11use_defaultEEESI_PmS8_NS6_8equal_toIjEEEE10hipError_tPvRmT2_T3_mT4_T5_T6_T7_T8_P12ihipStream_tbENKUlT_T0_E_clISt17integral_constantIbLb1EES16_EEDaS11_S12_EUlS11_E_NS1_11comp_targetILNS1_3genE4ELNS1_11target_archE910ELNS1_3gpuE8ELNS1_3repE0EEENS1_30default_config_static_selectorELNS0_4arch9wavefront6targetE1EEEvT1_
	.globl	_ZN7rocprim17ROCPRIM_400000_NS6detail17trampoline_kernelINS0_14default_configENS1_29reduce_by_key_config_selectorIjsN6thrust23THRUST_200600_302600_NS4plusIsEEEEZZNS1_33reduce_by_key_impl_wrapped_configILNS1_25lookback_scan_determinismE0ES3_S9_NS6_6detail15normal_iteratorINS6_10device_ptrIjEEEENSD_INSE_IsEEEENS6_16discard_iteratorINS6_11use_defaultEEESI_PmS8_NS6_8equal_toIjEEEE10hipError_tPvRmT2_T3_mT4_T5_T6_T7_T8_P12ihipStream_tbENKUlT_T0_E_clISt17integral_constantIbLb1EES16_EEDaS11_S12_EUlS11_E_NS1_11comp_targetILNS1_3genE4ELNS1_11target_archE910ELNS1_3gpuE8ELNS1_3repE0EEENS1_30default_config_static_selectorELNS0_4arch9wavefront6targetE1EEEvT1_
	.p2align	8
	.type	_ZN7rocprim17ROCPRIM_400000_NS6detail17trampoline_kernelINS0_14default_configENS1_29reduce_by_key_config_selectorIjsN6thrust23THRUST_200600_302600_NS4plusIsEEEEZZNS1_33reduce_by_key_impl_wrapped_configILNS1_25lookback_scan_determinismE0ES3_S9_NS6_6detail15normal_iteratorINS6_10device_ptrIjEEEENSD_INSE_IsEEEENS6_16discard_iteratorINS6_11use_defaultEEESI_PmS8_NS6_8equal_toIjEEEE10hipError_tPvRmT2_T3_mT4_T5_T6_T7_T8_P12ihipStream_tbENKUlT_T0_E_clISt17integral_constantIbLb1EES16_EEDaS11_S12_EUlS11_E_NS1_11comp_targetILNS1_3genE4ELNS1_11target_archE910ELNS1_3gpuE8ELNS1_3repE0EEENS1_30default_config_static_selectorELNS0_4arch9wavefront6targetE1EEEvT1_,@function
_ZN7rocprim17ROCPRIM_400000_NS6detail17trampoline_kernelINS0_14default_configENS1_29reduce_by_key_config_selectorIjsN6thrust23THRUST_200600_302600_NS4plusIsEEEEZZNS1_33reduce_by_key_impl_wrapped_configILNS1_25lookback_scan_determinismE0ES3_S9_NS6_6detail15normal_iteratorINS6_10device_ptrIjEEEENSD_INSE_IsEEEENS6_16discard_iteratorINS6_11use_defaultEEESI_PmS8_NS6_8equal_toIjEEEE10hipError_tPvRmT2_T3_mT4_T5_T6_T7_T8_P12ihipStream_tbENKUlT_T0_E_clISt17integral_constantIbLb1EES16_EEDaS11_S12_EUlS11_E_NS1_11comp_targetILNS1_3genE4ELNS1_11target_archE910ELNS1_3gpuE8ELNS1_3repE0EEENS1_30default_config_static_selectorELNS0_4arch9wavefront6targetE1EEEvT1_: ; @_ZN7rocprim17ROCPRIM_400000_NS6detail17trampoline_kernelINS0_14default_configENS1_29reduce_by_key_config_selectorIjsN6thrust23THRUST_200600_302600_NS4plusIsEEEEZZNS1_33reduce_by_key_impl_wrapped_configILNS1_25lookback_scan_determinismE0ES3_S9_NS6_6detail15normal_iteratorINS6_10device_ptrIjEEEENSD_INSE_IsEEEENS6_16discard_iteratorINS6_11use_defaultEEESI_PmS8_NS6_8equal_toIjEEEE10hipError_tPvRmT2_T3_mT4_T5_T6_T7_T8_P12ihipStream_tbENKUlT_T0_E_clISt17integral_constantIbLb1EES16_EEDaS11_S12_EUlS11_E_NS1_11comp_targetILNS1_3genE4ELNS1_11target_archE910ELNS1_3gpuE8ELNS1_3repE0EEENS1_30default_config_static_selectorELNS0_4arch9wavefront6targetE1EEEvT1_
; %bb.0:
	s_load_dwordx4 s[8:11], s[4:5], 0x0
	s_load_dwordx2 s[6:7], s[4:5], 0x10
	s_load_dwordx2 s[52:53], s[4:5], 0x70
	s_load_dwordx4 s[48:51], s[4:5], 0x60
	s_load_dwordx8 s[36:43], s[4:5], 0x40
	v_cmp_ne_u32_e64 s[2:3], 0, v0
	v_cmp_eq_u32_e64 s[0:1], 0, v0
	s_and_saveexec_b64 s[12:13], s[0:1]
	s_cbranch_execz .LBB1068_4
; %bb.1:
	s_mov_b64 s[16:17], exec
	v_mbcnt_lo_u32_b32 v1, s16, 0
	v_mbcnt_hi_u32_b32 v1, s17, v1
	v_cmp_eq_u32_e32 vcc, 0, v1
                                        ; implicit-def: $vgpr2
	s_and_saveexec_b64 s[14:15], vcc
	s_cbranch_execz .LBB1068_3
; %bb.2:
	s_load_dwordx2 s[18:19], s[4:5], 0x78
	s_bcnt1_i32_b64 s16, s[16:17]
	v_mov_b32_e32 v2, 0
	v_mov_b32_e32 v3, s16
	s_waitcnt lgkmcnt(0)
	global_atomic_add v2, v2, v3, s[18:19] glc
.LBB1068_3:
	s_or_b64 exec, exec, s[14:15]
	s_waitcnt vmcnt(0)
	v_readfirstlane_b32 s14, v2
	v_add_u32_e32 v1, s14, v1
	v_mov_b32_e32 v2, 0
	ds_write_b32 v2, v1
.LBB1068_4:
	s_or_b64 exec, exec, s[12:13]
	s_load_dwordx4 s[44:47], s[4:5], 0x28
	s_waitcnt lgkmcnt(0)
	s_lshl_b64 s[4:5], s[10:11], 2
	v_mov_b32_e32 v3, 0
	s_add_u32 s8, s8, s4
	s_barrier
	ds_read_b32 v1, v3
	s_addc_u32 s9, s9, s5
	s_lshl_b64 s[4:5], s[10:11], 1
	s_add_u32 s4, s6, s4
	s_addc_u32 s5, s7, s5
	s_mul_i32 s6, s40, s39
	s_mul_hi_u32 s7, s40, s38
	s_add_i32 s6, s7, s6
	s_mul_i32 s7, s41, s38
	s_add_i32 s6, s6, s7
	s_mul_i32 s7, s40, s38
	s_waitcnt lgkmcnt(0)
	v_readfirstlane_b32 s58, v1
	s_movk_i32 s10, 0xf00
	v_mul_lo_u32 v2, v1, s10
	s_add_u32 s54, s7, s58
	v_lshlrev_b64 v[4:5], 2, v[2:3]
	s_addc_u32 s55, s6, 0
	v_mov_b32_e32 v1, s9
	v_add_co_u32_e32 v24, vcc, s8, v4
	s_add_u32 s6, s42, -1
	v_addc_co_u32_e32 v25, vcc, v1, v5, vcc
	v_lshlrev_b64 v[2:3], 1, v[2:3]
	s_addc_u32 s7, s43, -1
	v_mov_b32_e32 v1, s5
	v_add_co_u32_e32 v26, vcc, s4, v2
	s_cmp_eq_u64 s[54:55], s[6:7]
	v_addc_co_u32_e32 v27, vcc, v1, v3, vcc
	s_cselect_b64 s[40:41], -1, 0
	s_cmp_lg_u64 s[54:55], s[6:7]
	s_mov_b64 s[4:5], -1
	s_cselect_b64 s[42:43], -1, 0
	s_mul_i32 s33, s6, 0xfffff100
	s_and_b64 vcc, exec, s[40:41]
	s_barrier
	s_cbranch_vccnz .LBB1068_6
; %bb.5:
	v_lshlrev_b32_e32 v1, 2, v0
	v_add_co_u32_e32 v2, vcc, v24, v1
	v_addc_co_u32_e32 v3, vcc, 0, v25, vcc
	v_add_co_u32_e32 v4, vcc, 0x1000, v2
	v_addc_co_u32_e32 v5, vcc, 0, v3, vcc
	flat_load_dword v6, v[2:3]
	flat_load_dword v7, v[2:3] offset:1024
	flat_load_dword v8, v[2:3] offset:2048
	;; [unrolled: 1-line block ×3, first 2 shown]
	flat_load_dword v10, v[4:5]
	flat_load_dword v11, v[4:5] offset:1024
	flat_load_dword v12, v[4:5] offset:2048
	;; [unrolled: 1-line block ×3, first 2 shown]
	v_add_co_u32_e32 v4, vcc, 0x2000, v2
	v_addc_co_u32_e32 v5, vcc, 0, v3, vcc
	v_add_co_u32_e32 v2, vcc, 0x3000, v2
	v_addc_co_u32_e32 v3, vcc, 0, v3, vcc
	flat_load_dword v14, v[4:5]
	flat_load_dword v15, v[4:5] offset:1024
	flat_load_dword v16, v[4:5] offset:2048
	;; [unrolled: 1-line block ×3, first 2 shown]
	flat_load_dword v18, v[2:3]
	flat_load_dword v19, v[2:3] offset:1024
	flat_load_dword v20, v[2:3] offset:2048
	v_lshlrev_b32_e32 v2, 1, v0
	v_add_co_u32_e32 v2, vcc, v26, v2
	s_movk_i32 s4, 0x1000
	v_addc_co_u32_e32 v3, vcc, 0, v27, vcc
	v_mad_u32_u24 v43, v0, 56, v1
	v_add_co_u32_e32 v4, vcc, s4, v2
	v_addc_co_u32_e32 v5, vcc, 0, v3, vcc
	s_movk_i32 s4, 0xffc6
	v_mul_u32_u24_e32 v28, 15, v0
	v_mad_u32_u24 v42, v0, 15, 1
	v_mad_u32_u24 v38, v0, 15, 2
	;; [unrolled: 1-line block ×14, first 2 shown]
	s_waitcnt vmcnt(0) lgkmcnt(0)
	ds_write2st64_b32 v1, v6, v7 offset1:4
	ds_write2st64_b32 v1, v8, v9 offset0:8 offset1:12
	ds_write2st64_b32 v1, v10, v11 offset0:16 offset1:20
	;; [unrolled: 1-line block ×6, first 2 shown]
	ds_write_b32 v1, v20 offset:14336
	s_waitcnt lgkmcnt(0)
	s_barrier
	ds_read2_b32 v[22:23], v43 offset1:1
	ds_read2_b32 v[20:21], v43 offset0:2 offset1:3
	ds_read2_b32 v[18:19], v43 offset0:4 offset1:5
	;; [unrolled: 1-line block ×6, first 2 shown]
	ds_read_b32 v1, v43 offset:56
	s_waitcnt lgkmcnt(0)
	s_barrier
	flat_load_ushort v7, v[2:3]
	flat_load_ushort v44, v[2:3] offset:512
	flat_load_ushort v45, v[2:3] offset:1024
	;; [unrolled: 1-line block ×7, first 2 shown]
	flat_load_ushort v51, v[4:5]
	flat_load_ushort v52, v[4:5] offset:512
	flat_load_ushort v53, v[4:5] offset:1024
	;; [unrolled: 1-line block ×6, first 2 shown]
	v_mad_i32_i24 v43, v0, s4, v43
	v_mov_b32_e32 v8, v22
	v_mov_b32_e32 v9, v20
	v_mov_b32_e32 v4, v18
	v_mov_b32_e32 v5, v16
	v_mov_b32_e32 v2, v14
	v_mov_b32_e32 v3, v12
	v_mov_b32_e32 v6, v10
	s_waitcnt vmcnt(0) lgkmcnt(0)
	ds_write_b16 v43, v7
	ds_write_b16 v43, v44 offset:512
	ds_write_b16 v43, v45 offset:1024
	;; [unrolled: 1-line block ×14, first 2 shown]
	s_waitcnt lgkmcnt(0)
	s_barrier
	s_add_i32 s33, s33, s48
	s_cbranch_execz .LBB1068_7
	s_branch .LBB1068_68
.LBB1068_6:
                                        ; implicit-def: $vgpr1
                                        ; implicit-def: $vgpr10
                                        ; implicit-def: $vgpr12
                                        ; implicit-def: $vgpr14
                                        ; implicit-def: $vgpr16
                                        ; implicit-def: $vgpr18
                                        ; implicit-def: $vgpr20
                                        ; implicit-def: $vgpr22
                                        ; implicit-def: $vgpr29
                                        ; implicit-def: $vgpr33
                                        ; implicit-def: $vgpr30
                                        ; implicit-def: $vgpr34
                                        ; implicit-def: $vgpr31
                                        ; implicit-def: $vgpr35
                                        ; implicit-def: $vgpr32
                                        ; implicit-def: $vgpr39
                                        ; implicit-def: $vgpr36
                                        ; implicit-def: $vgpr40
                                        ; implicit-def: $vgpr37
                                        ; implicit-def: $vgpr41
                                        ; implicit-def: $vgpr38
                                        ; implicit-def: $vgpr42
                                        ; implicit-def: $vgpr28
                                        ; implicit-def: $vgpr2_vgpr3
                                        ; implicit-def: $vgpr4_vgpr5
                                        ; implicit-def: $vgpr8_vgpr9
                                        ; implicit-def: $vgpr6_vgpr7
	s_andn2_b64 vcc, exec, s[4:5]
	s_add_i32 s33, s33, s48
	s_cbranch_vccnz .LBB1068_68
.LBB1068_7:
	v_cmp_gt_u32_e32 vcc, s33, v0
                                        ; implicit-def: $vgpr1
	s_and_saveexec_b64 s[6:7], vcc
	s_cbranch_execz .LBB1068_9
; %bb.8:
	v_lshlrev_b32_e32 v1, 2, v0
	v_add_co_u32_e64 v2, s[4:5], v24, v1
	v_addc_co_u32_e64 v3, s[4:5], 0, v25, s[4:5]
	flat_load_dword v1, v[2:3]
.LBB1068_9:
	s_or_b64 exec, exec, s[6:7]
	v_or_b32_e32 v2, 0x100, v0
	v_cmp_gt_u32_e64 s[4:5], s33, v2
                                        ; implicit-def: $vgpr4
	s_and_saveexec_b64 s[8:9], s[4:5]
	s_cbranch_execz .LBB1068_11
; %bb.10:
	v_lshlrev_b32_e32 v2, 2, v0
	v_add_co_u32_e64 v2, s[6:7], v24, v2
	v_addc_co_u32_e64 v3, s[6:7], 0, v25, s[6:7]
	flat_load_dword v4, v[2:3] offset:1024
.LBB1068_11:
	s_or_b64 exec, exec, s[8:9]
	v_or_b32_e32 v2, 0x200, v0
	v_cmp_gt_u32_e64 s[6:7], s33, v2
                                        ; implicit-def: $vgpr10
	s_and_saveexec_b64 s[10:11], s[6:7]
	s_cbranch_execz .LBB1068_13
; %bb.12:
	v_lshlrev_b32_e32 v2, 2, v0
	v_add_co_u32_e64 v2, s[8:9], v24, v2
	v_addc_co_u32_e64 v3, s[8:9], 0, v25, s[8:9]
	flat_load_dword v10, v[2:3] offset:2048
.LBB1068_13:
	s_or_b64 exec, exec, s[10:11]
	v_or_b32_e32 v2, 0x300, v0
	v_cmp_gt_u32_e64 s[8:9], s33, v2
                                        ; implicit-def: $vgpr11
	s_and_saveexec_b64 s[12:13], s[8:9]
	s_cbranch_execz .LBB1068_15
; %bb.14:
	v_lshlrev_b32_e32 v2, 2, v0
	v_add_co_u32_e64 v2, s[10:11], v24, v2
	v_addc_co_u32_e64 v3, s[10:11], 0, v25, s[10:11]
	flat_load_dword v11, v[2:3] offset:3072
.LBB1068_15:
	s_or_b64 exec, exec, s[12:13]
	v_or_b32_e32 v2, 0x400, v0
	v_cmp_gt_u32_e64 s[10:11], s33, v2
                                        ; implicit-def: $vgpr12
	s_and_saveexec_b64 s[14:15], s[10:11]
	s_cbranch_execz .LBB1068_17
; %bb.16:
	v_lshlrev_b32_e32 v2, 2, v2
	v_add_co_u32_e64 v2, s[12:13], v24, v2
	v_addc_co_u32_e64 v3, s[12:13], 0, v25, s[12:13]
	flat_load_dword v12, v[2:3]
.LBB1068_17:
	s_or_b64 exec, exec, s[14:15]
	v_or_b32_e32 v2, 0x500, v0
	v_cmp_gt_u32_e64 s[12:13], s33, v2
                                        ; implicit-def: $vgpr13
	s_and_saveexec_b64 s[16:17], s[12:13]
	s_cbranch_execz .LBB1068_19
; %bb.18:
	v_lshlrev_b32_e32 v2, 2, v2
	v_add_co_u32_e64 v2, s[14:15], v24, v2
	v_addc_co_u32_e64 v3, s[14:15], 0, v25, s[14:15]
	flat_load_dword v13, v[2:3]
.LBB1068_19:
	s_or_b64 exec, exec, s[16:17]
	v_or_b32_e32 v2, 0x600, v0
	v_cmp_gt_u32_e64 s[14:15], s33, v2
                                        ; implicit-def: $vgpr14
	s_and_saveexec_b64 s[18:19], s[14:15]
	s_cbranch_execz .LBB1068_21
; %bb.20:
	v_lshlrev_b32_e32 v2, 2, v2
	v_add_co_u32_e64 v2, s[16:17], v24, v2
	v_addc_co_u32_e64 v3, s[16:17], 0, v25, s[16:17]
	flat_load_dword v14, v[2:3]
.LBB1068_21:
	s_or_b64 exec, exec, s[18:19]
	v_or_b32_e32 v2, 0x700, v0
	v_cmp_gt_u32_e64 s[16:17], s33, v2
                                        ; implicit-def: $vgpr15
	s_and_saveexec_b64 s[20:21], s[16:17]
	s_cbranch_execz .LBB1068_23
; %bb.22:
	v_lshlrev_b32_e32 v2, 2, v2
	v_add_co_u32_e64 v2, s[18:19], v24, v2
	v_addc_co_u32_e64 v3, s[18:19], 0, v25, s[18:19]
	flat_load_dword v15, v[2:3]
.LBB1068_23:
	s_or_b64 exec, exec, s[20:21]
	v_or_b32_e32 v2, 0x800, v0
	v_cmp_gt_u32_e64 s[18:19], s33, v2
                                        ; implicit-def: $vgpr16
	s_and_saveexec_b64 s[22:23], s[18:19]
	s_cbranch_execz .LBB1068_25
; %bb.24:
	v_lshlrev_b32_e32 v3, 2, v2
	v_add_co_u32_e64 v6, s[20:21], v24, v3
	v_addc_co_u32_e64 v7, s[20:21], 0, v25, s[20:21]
	flat_load_dword v16, v[6:7]
.LBB1068_25:
	s_or_b64 exec, exec, s[22:23]
	v_or_b32_e32 v3, 0x900, v0
	v_cmp_gt_u32_e64 s[20:21], s33, v3
                                        ; implicit-def: $vgpr17
	s_and_saveexec_b64 s[24:25], s[20:21]
	s_cbranch_execz .LBB1068_27
; %bb.26:
	v_lshlrev_b32_e32 v5, 2, v3
	v_add_co_u32_e64 v6, s[22:23], v24, v5
	v_addc_co_u32_e64 v7, s[22:23], 0, v25, s[22:23]
	flat_load_dword v17, v[6:7]
.LBB1068_27:
	s_or_b64 exec, exec, s[24:25]
	v_or_b32_e32 v5, 0xa00, v0
	v_cmp_gt_u32_e64 s[22:23], s33, v5
                                        ; implicit-def: $vgpr18
	s_and_saveexec_b64 s[26:27], s[22:23]
	s_cbranch_execz .LBB1068_29
; %bb.28:
	v_lshlrev_b32_e32 v6, 2, v5
	v_add_co_u32_e64 v6, s[24:25], v24, v6
	v_addc_co_u32_e64 v7, s[24:25], 0, v25, s[24:25]
	flat_load_dword v18, v[6:7]
.LBB1068_29:
	s_or_b64 exec, exec, s[26:27]
	v_or_b32_e32 v6, 0xb00, v0
	v_cmp_gt_u32_e64 s[24:25], s33, v6
                                        ; implicit-def: $vgpr19
	s_and_saveexec_b64 s[28:29], s[24:25]
	s_cbranch_execz .LBB1068_31
; %bb.30:
	v_lshlrev_b32_e32 v7, 2, v6
	v_add_co_u32_e64 v8, s[26:27], v24, v7
	v_addc_co_u32_e64 v9, s[26:27], 0, v25, s[26:27]
	flat_load_dword v19, v[8:9]
.LBB1068_31:
	s_or_b64 exec, exec, s[28:29]
	v_or_b32_e32 v7, 0xc00, v0
	v_cmp_gt_u32_e64 s[26:27], s33, v7
                                        ; implicit-def: $vgpr20
	s_and_saveexec_b64 s[30:31], s[26:27]
	s_cbranch_execz .LBB1068_33
; %bb.32:
	v_lshlrev_b32_e32 v8, 2, v7
	v_add_co_u32_e64 v8, s[28:29], v24, v8
	v_addc_co_u32_e64 v9, s[28:29], 0, v25, s[28:29]
	flat_load_dword v20, v[8:9]
.LBB1068_33:
	s_or_b64 exec, exec, s[30:31]
	v_or_b32_e32 v8, 0xd00, v0
	v_cmp_gt_u32_e64 s[28:29], s33, v8
                                        ; implicit-def: $vgpr21
	s_and_saveexec_b64 s[34:35], s[28:29]
	s_cbranch_execz .LBB1068_35
; %bb.34:
	v_lshlrev_b32_e32 v9, 2, v8
	v_add_co_u32_e64 v22, s[30:31], v24, v9
	v_addc_co_u32_e64 v23, s[30:31], 0, v25, s[30:31]
	flat_load_dword v21, v[22:23]
.LBB1068_35:
	s_or_b64 exec, exec, s[34:35]
	v_or_b32_e32 v9, 0xe00, v0
	v_cmp_gt_u32_e64 s[30:31], s33, v9
                                        ; implicit-def: $vgpr22
	s_and_saveexec_b64 s[56:57], s[30:31]
	s_cbranch_execz .LBB1068_37
; %bb.36:
	v_lshlrev_b32_e32 v22, 2, v9
	v_add_co_u32_e64 v22, s[34:35], v24, v22
	v_addc_co_u32_e64 v23, s[34:35], 0, v25, s[34:35]
	flat_load_dword v22, v[22:23]
.LBB1068_37:
	s_or_b64 exec, exec, s[56:57]
	v_lshlrev_b32_e32 v23, 2, v0
	s_waitcnt vmcnt(0) lgkmcnt(0)
	ds_write2st64_b32 v23, v1, v4 offset1:4
	ds_write2st64_b32 v23, v10, v11 offset0:8 offset1:12
	ds_write2st64_b32 v23, v12, v13 offset0:16 offset1:20
	;; [unrolled: 1-line block ×6, first 2 shown]
	ds_write_b32 v23, v22 offset:14336
	v_mad_u32_u24 v4, v0, 56, v23
	s_waitcnt lgkmcnt(0)
	s_barrier
	ds_read2_b32 v[22:23], v4 offset1:1
	ds_read2_b32 v[20:21], v4 offset0:2 offset1:3
	ds_read2_b32 v[18:19], v4 offset0:4 offset1:5
	;; [unrolled: 1-line block ×6, first 2 shown]
	ds_read_b32 v1, v4 offset:56
	s_waitcnt lgkmcnt(0)
	s_barrier
	s_waitcnt lgkmcnt(0)
                                        ; implicit-def: $vgpr43
	s_and_saveexec_b64 s[34:35], vcc
	s_cbranch_execz .LBB1068_51
; %bb.38:
	v_lshlrev_b32_e32 v28, 1, v0
	v_add_co_u32_e32 v28, vcc, v26, v28
	v_addc_co_u32_e32 v29, vcc, 0, v27, vcc
	flat_load_ushort v43, v[28:29]
	s_or_b64 exec, exec, s[34:35]
                                        ; implicit-def: $vgpr44
	s_and_saveexec_b64 s[34:35], s[4:5]
	s_cbranch_execnz .LBB1068_52
.LBB1068_39:
	s_or_b64 exec, exec, s[34:35]
                                        ; implicit-def: $vgpr45
	s_and_saveexec_b64 s[4:5], s[6:7]
	s_cbranch_execz .LBB1068_53
.LBB1068_40:
	v_lshlrev_b32_e32 v28, 1, v0
	v_add_co_u32_e32 v28, vcc, v26, v28
	v_addc_co_u32_e32 v29, vcc, 0, v27, vcc
	flat_load_ushort v45, v[28:29] offset:1024
	s_or_b64 exec, exec, s[4:5]
                                        ; implicit-def: $vgpr46
	s_and_saveexec_b64 s[4:5], s[8:9]
	s_cbranch_execnz .LBB1068_54
.LBB1068_41:
	s_or_b64 exec, exec, s[4:5]
                                        ; implicit-def: $vgpr47
	s_and_saveexec_b64 s[4:5], s[10:11]
	s_cbranch_execz .LBB1068_55
.LBB1068_42:
	v_lshlrev_b32_e32 v28, 1, v0
	v_add_co_u32_e32 v28, vcc, v26, v28
	v_addc_co_u32_e32 v29, vcc, 0, v27, vcc
	flat_load_ushort v47, v[28:29] offset:2048
	s_or_b64 exec, exec, s[4:5]
                                        ; implicit-def: $vgpr48
	s_and_saveexec_b64 s[4:5], s[12:13]
	s_cbranch_execnz .LBB1068_56
.LBB1068_43:
	s_or_b64 exec, exec, s[4:5]
                                        ; implicit-def: $vgpr49
	s_and_saveexec_b64 s[4:5], s[14:15]
	s_cbranch_execz .LBB1068_57
.LBB1068_44:
	v_lshlrev_b32_e32 v28, 1, v0
	v_add_co_u32_e32 v28, vcc, v26, v28
	v_addc_co_u32_e32 v29, vcc, 0, v27, vcc
	flat_load_ushort v49, v[28:29] offset:3072
	s_or_b64 exec, exec, s[4:5]
                                        ; implicit-def: $vgpr50
	s_and_saveexec_b64 s[4:5], s[16:17]
	s_cbranch_execnz .LBB1068_58
.LBB1068_45:
	s_or_b64 exec, exec, s[4:5]
                                        ; implicit-def: $vgpr51
	s_and_saveexec_b64 s[4:5], s[18:19]
	s_cbranch_execz .LBB1068_59
.LBB1068_46:
	v_lshlrev_b32_e32 v2, 1, v2
	v_add_co_u32_e32 v28, vcc, v26, v2
	v_addc_co_u32_e32 v29, vcc, 0, v27, vcc
	flat_load_ushort v51, v[28:29]
	s_or_b64 exec, exec, s[4:5]
                                        ; implicit-def: $vgpr2
	s_and_saveexec_b64 s[4:5], s[20:21]
	s_cbranch_execnz .LBB1068_60
.LBB1068_47:
	s_or_b64 exec, exec, s[4:5]
                                        ; implicit-def: $vgpr3
	s_and_saveexec_b64 s[4:5], s[22:23]
	s_cbranch_execz .LBB1068_61
.LBB1068_48:
	v_lshlrev_b32_e32 v3, 1, v5
	v_add_co_u32_e32 v28, vcc, v26, v3
	v_addc_co_u32_e32 v29, vcc, 0, v27, vcc
	flat_load_ushort v3, v[28:29]
	s_or_b64 exec, exec, s[4:5]
                                        ; implicit-def: $vgpr5
	s_and_saveexec_b64 s[4:5], s[24:25]
	s_cbranch_execnz .LBB1068_62
.LBB1068_49:
	s_or_b64 exec, exec, s[4:5]
                                        ; implicit-def: $vgpr6
	s_and_saveexec_b64 s[4:5], s[26:27]
	s_cbranch_execz .LBB1068_63
.LBB1068_50:
	v_lshlrev_b32_e32 v6, 1, v7
	v_add_co_u32_e32 v6, vcc, v26, v6
	v_addc_co_u32_e32 v7, vcc, 0, v27, vcc
	flat_load_ushort v6, v[6:7]
	s_or_b64 exec, exec, s[4:5]
                                        ; implicit-def: $vgpr7
	s_and_saveexec_b64 s[4:5], s[28:29]
	s_cbranch_execz .LBB1068_65
	s_branch .LBB1068_64
.LBB1068_51:
	s_or_b64 exec, exec, s[34:35]
                                        ; implicit-def: $vgpr44
	s_and_saveexec_b64 s[34:35], s[4:5]
	s_cbranch_execz .LBB1068_39
.LBB1068_52:
	v_lshlrev_b32_e32 v28, 1, v0
	v_add_co_u32_e32 v28, vcc, v26, v28
	v_addc_co_u32_e32 v29, vcc, 0, v27, vcc
	flat_load_ushort v44, v[28:29] offset:512
	s_or_b64 exec, exec, s[34:35]
                                        ; implicit-def: $vgpr45
	s_and_saveexec_b64 s[4:5], s[6:7]
	s_cbranch_execnz .LBB1068_40
.LBB1068_53:
	s_or_b64 exec, exec, s[4:5]
                                        ; implicit-def: $vgpr46
	s_and_saveexec_b64 s[4:5], s[8:9]
	s_cbranch_execz .LBB1068_41
.LBB1068_54:
	v_lshlrev_b32_e32 v28, 1, v0
	v_add_co_u32_e32 v28, vcc, v26, v28
	v_addc_co_u32_e32 v29, vcc, 0, v27, vcc
	flat_load_ushort v46, v[28:29] offset:1536
	s_or_b64 exec, exec, s[4:5]
                                        ; implicit-def: $vgpr47
	s_and_saveexec_b64 s[4:5], s[10:11]
	s_cbranch_execnz .LBB1068_42
.LBB1068_55:
	s_or_b64 exec, exec, s[4:5]
                                        ; implicit-def: $vgpr48
	s_and_saveexec_b64 s[4:5], s[12:13]
	s_cbranch_execz .LBB1068_43
.LBB1068_56:
	v_lshlrev_b32_e32 v28, 1, v0
	v_add_co_u32_e32 v28, vcc, v26, v28
	v_addc_co_u32_e32 v29, vcc, 0, v27, vcc
	flat_load_ushort v48, v[28:29] offset:2560
	s_or_b64 exec, exec, s[4:5]
                                        ; implicit-def: $vgpr49
	s_and_saveexec_b64 s[4:5], s[14:15]
	s_cbranch_execnz .LBB1068_44
.LBB1068_57:
	s_or_b64 exec, exec, s[4:5]
                                        ; implicit-def: $vgpr50
	s_and_saveexec_b64 s[4:5], s[16:17]
	s_cbranch_execz .LBB1068_45
.LBB1068_58:
	v_lshlrev_b32_e32 v28, 1, v0
	v_add_co_u32_e32 v28, vcc, v26, v28
	v_addc_co_u32_e32 v29, vcc, 0, v27, vcc
	flat_load_ushort v50, v[28:29] offset:3584
	s_or_b64 exec, exec, s[4:5]
                                        ; implicit-def: $vgpr51
	s_and_saveexec_b64 s[4:5], s[18:19]
	s_cbranch_execnz .LBB1068_46
.LBB1068_59:
	s_or_b64 exec, exec, s[4:5]
                                        ; implicit-def: $vgpr2
	s_and_saveexec_b64 s[4:5], s[20:21]
	s_cbranch_execz .LBB1068_47
.LBB1068_60:
	v_lshlrev_b32_e32 v2, 1, v3
	v_add_co_u32_e32 v2, vcc, v26, v2
	v_addc_co_u32_e32 v3, vcc, 0, v27, vcc
	flat_load_ushort v2, v[2:3]
	s_or_b64 exec, exec, s[4:5]
                                        ; implicit-def: $vgpr3
	s_and_saveexec_b64 s[4:5], s[22:23]
	s_cbranch_execnz .LBB1068_48
.LBB1068_61:
	s_or_b64 exec, exec, s[4:5]
                                        ; implicit-def: $vgpr5
	s_and_saveexec_b64 s[4:5], s[24:25]
	s_cbranch_execz .LBB1068_49
.LBB1068_62:
	v_lshlrev_b32_e32 v5, 1, v6
	v_add_co_u32_e32 v28, vcc, v26, v5
	v_addc_co_u32_e32 v29, vcc, 0, v27, vcc
	flat_load_ushort v5, v[28:29]
	s_or_b64 exec, exec, s[4:5]
                                        ; implicit-def: $vgpr6
	s_and_saveexec_b64 s[4:5], s[26:27]
	s_cbranch_execnz .LBB1068_50
.LBB1068_63:
	s_or_b64 exec, exec, s[4:5]
                                        ; implicit-def: $vgpr7
	s_and_saveexec_b64 s[4:5], s[28:29]
	s_cbranch_execz .LBB1068_65
.LBB1068_64:
	v_lshlrev_b32_e32 v7, 1, v8
	v_add_co_u32_e32 v28, vcc, v26, v7
	v_addc_co_u32_e32 v29, vcc, 0, v27, vcc
	flat_load_ushort v7, v[28:29]
.LBB1068_65:
	s_or_b64 exec, exec, s[4:5]
	v_mul_u32_u24_e32 v28, 15, v0
                                        ; implicit-def: $vgpr8
	s_and_saveexec_b64 s[4:5], s[30:31]
	s_cbranch_execz .LBB1068_67
; %bb.66:
	v_lshlrev_b32_e32 v8, 1, v9
	v_add_co_u32_e32 v8, vcc, v26, v8
	v_addc_co_u32_e32 v9, vcc, 0, v27, vcc
	flat_load_ushort v8, v[8:9]
.LBB1068_67:
	s_or_b64 exec, exec, s[4:5]
	s_movk_i32 s4, 0xffc6
	v_mad_i32_i24 v4, v0, s4, v4
	v_add_u32_e32 v42, 1, v28
	v_add_u32_e32 v38, 2, v28
	;; [unrolled: 1-line block ×14, first 2 shown]
	s_waitcnt vmcnt(0) lgkmcnt(0)
	ds_write_b16 v4, v43
	ds_write_b16 v4, v44 offset:512
	ds_write_b16 v4, v45 offset:1024
	;; [unrolled: 1-line block ×14, first 2 shown]
	v_mov_b32_e32 v8, v22
	v_mov_b32_e32 v9, v20
	v_mov_b32_e32 v4, v18
	v_mov_b32_e32 v5, v16
	v_mov_b32_e32 v2, v14
	v_mov_b32_e32 v3, v12
	v_mov_b32_e32 v6, v10
	s_waitcnt lgkmcnt(0)
	s_barrier
.LBB1068_68:
	v_lshlrev_b32_e32 v7, 1, v28
	v_lshlrev_b32_e32 v26, 1, v42
	;; [unrolled: 1-line block ×8, first 2 shown]
	ds_read_u16 v79, v7
	ds_read_u16 v78, v26
	;; [unrolled: 1-line block ×8, first 2 shown]
	v_lshlrev_b32_e32 v7, 1, v32
	v_lshlrev_b32_e32 v26, 1, v35
	;; [unrolled: 1-line block ×7, first 2 shown]
	ds_read_u16 v77, v7
	ds_read_u16 v75, v26
	;; [unrolled: 1-line block ×7, first 2 shown]
	s_cmp_eq_u64 s[54:55], 0
	s_cselect_b64 s[30:31], -1, 0
	s_cmp_lg_u64 s[54:55], 0
	s_mov_b64 s[6:7], 0
	s_cselect_b64 s[8:9], -1, 0
	s_and_b64 vcc, exec, s[42:43]
	s_waitcnt lgkmcnt(0)
	s_barrier
	s_cbranch_vccz .LBB1068_74
; %bb.69:
	s_and_b64 vcc, exec, s[8:9]
	s_cbranch_vccz .LBB1068_139
; %bb.70:
	v_add_co_u32_e32 v26, vcc, -4, v24
	v_addc_co_u32_e32 v27, vcc, -1, v25, vcc
	flat_load_dword v7, v[26:27]
	v_lshlrev_b32_e32 v26, 2, v0
	ds_write_b32 v26, v1
	s_waitcnt lgkmcnt(0)
	s_barrier
	s_and_saveexec_b64 s[4:5], s[2:3]
	s_cbranch_execz .LBB1068_72
; %bb.71:
	s_waitcnt vmcnt(0)
	v_add_u32_e32 v7, -4, v26
	ds_read_b32 v7, v7
.LBB1068_72:
	s_or_b64 exec, exec, s[4:5]
	v_cmp_ne_u32_e32 vcc, v8, v23
	v_cndmask_b32_e64 v65, 0, 1, vcc
	v_cmp_ne_u32_e32 vcc, v9, v23
	v_cndmask_b32_e64 v64, 0, 1, vcc
	;; [unrolled: 2-line block ×14, first 2 shown]
	s_waitcnt vmcnt(0) lgkmcnt(0)
	v_cmp_ne_u32_e64 s[4:5], v7, v22
	s_mov_b64 s[6:7], -1
.LBB1068_73:
                                        ; implicit-def: $sgpr12
	s_branch .LBB1068_75
.LBB1068_74:
                                        ; implicit-def: $sgpr4_sgpr5
                                        ; implicit-def: $vgpr52
                                        ; implicit-def: $vgpr53
                                        ; implicit-def: $vgpr54
                                        ; implicit-def: $vgpr55
                                        ; implicit-def: $vgpr56
                                        ; implicit-def: $vgpr57
                                        ; implicit-def: $vgpr58
                                        ; implicit-def: $vgpr59
                                        ; implicit-def: $vgpr60
                                        ; implicit-def: $vgpr61
                                        ; implicit-def: $vgpr62
                                        ; implicit-def: $vgpr63
                                        ; implicit-def: $vgpr64
                                        ; implicit-def: $vgpr65
                                        ; implicit-def: $sgpr12
	s_cbranch_execnz .LBB1068_143
.LBB1068_75:
	v_mov_b32_e32 v82, s12
	s_and_saveexec_b64 s[2:3], s[6:7]
.LBB1068_76:
	v_cndmask_b32_e64 v82, 0, 1, s[4:5]
.LBB1068_77:
	s_or_b64 exec, exec, s[2:3]
	s_cmp_eq_u64 s[38:39], 0
	v_add3_u32 v2, v65, v82, v64
	s_cselect_b64 s[34:35], -1, 0
	s_cmp_lg_u32 s58, 0
	v_cmp_eq_u32_e64 s[26:27], 0, v65
	v_cmp_eq_u32_e64 s[24:25], 0, v64
	;; [unrolled: 1-line block ×3, first 2 shown]
	v_add3_u32 v86, v2, v63, v62
	v_cmp_eq_u32_e64 s[20:21], 0, v62
	v_cmp_eq_u32_e64 s[18:19], 0, v61
	;; [unrolled: 1-line block ×10, first 2 shown]
	v_cmp_eq_u32_e32 vcc, 0, v52
	v_mbcnt_lo_u32_b32 v85, -1, 0
	v_lshrrev_b32_e32 v83, 6, v0
	v_or_b32_e32 v84, 63, v0
	s_cbranch_scc0 .LBB1068_108
; %bb.78:
	v_cndmask_b32_e64 v2, 0, v79, s[26:27]
	v_add_u16_e32 v2, v2, v78
	v_cndmask_b32_e64 v2, 0, v2, s[24:25]
	v_add_u16_e32 v2, v2, v76
	;; [unrolled: 2-line block ×11, first 2 shown]
	v_cndmask_b32_e64 v2, 0, v2, s[4:5]
	v_add3_u32 v3, v86, v61, v60
	v_add_u16_e32 v2, v2, v69
	v_add3_u32 v3, v3, v59, v58
	v_cndmask_b32_e64 v2, 0, v2, s[2:3]
	v_add3_u32 v3, v3, v57, v56
	v_add_u16_e32 v2, v2, v66
	v_add3_u32 v3, v3, v55, v54
	v_cndmask_b32_e32 v2, 0, v2, vcc
	v_add3_u32 v3, v3, v53, v52
	v_add_u16_e32 v2, v2, v80
	v_mbcnt_hi_u32_b32 v25, -1, v85
	v_and_b32_e32 v4, 15, v25
	v_mov_b32_dpp v6, v2 row_shr:1 row_mask:0xf bank_mask:0xf
	v_cmp_eq_u32_e32 vcc, 0, v3
	v_mov_b32_dpp v5, v3 row_shr:1 row_mask:0xf bank_mask:0xf
	v_cndmask_b32_e32 v6, 0, v6, vcc
	v_cmp_eq_u32_e32 vcc, 0, v4
	v_add_u16_e32 v6, v6, v2
	v_cndmask_b32_e64 v5, v5, 0, vcc
	v_add_u32_e32 v3, v5, v3
	v_cndmask_b32_e32 v2, v6, v2, vcc
	v_cmp_eq_u32_e32 vcc, 0, v3
	v_mov_b32_dpp v5, v3 row_shr:2 row_mask:0xf bank_mask:0xf
	v_mov_b32_dpp v6, v2 row_shr:2 row_mask:0xf bank_mask:0xf
	v_cndmask_b32_e32 v6, 0, v6, vcc
	v_cmp_lt_u32_e32 vcc, 1, v4
	v_add_u16_e32 v6, v6, v2
	v_cndmask_b32_e32 v5, 0, v5, vcc
	v_cndmask_b32_e32 v2, v2, v6, vcc
	v_add_u32_e32 v3, v3, v5
	v_cmp_eq_u32_e32 vcc, 0, v3
	v_mov_b32_dpp v6, v2 row_shr:4 row_mask:0xf bank_mask:0xf
	v_mov_b32_dpp v5, v3 row_shr:4 row_mask:0xf bank_mask:0xf
	v_cndmask_b32_e32 v6, 0, v6, vcc
	v_cmp_lt_u32_e32 vcc, 3, v4
	v_add_u16_e32 v6, v6, v2
	v_cndmask_b32_e32 v5, 0, v5, vcc
	v_cndmask_b32_e32 v2, v2, v6, vcc
	v_add_u32_e32 v3, v5, v3
	;; [unrolled: 9-line block ×3, first 2 shown]
	v_bfe_i32 v6, v25, 4, 1
	v_mov_b32_dpp v5, v2 row_bcast:15 row_mask:0xf bank_mask:0xf
	v_mov_b32_dpp v4, v3 row_bcast:15 row_mask:0xf bank_mask:0xf
	v_cmp_eq_u32_e32 vcc, 0, v3
	v_and_b32_e32 v7, 16, v25
	v_cndmask_b32_e32 v5, 0, v5, vcc
	v_and_b32_e32 v4, v6, v4
	v_add_u16_e32 v5, v5, v2
	v_add_u32_e32 v3, v4, v3
	v_cmp_eq_u32_e32 vcc, 0, v7
	v_cndmask_b32_e32 v4, v5, v2, vcc
	v_mov_b32_dpp v2, v3 row_bcast:31 row_mask:0xf bank_mask:0xf
	v_cmp_eq_u32_e32 vcc, 0, v3
	v_cmp_lt_u32_e64 s[28:29], 31, v25
	v_mov_b32_dpp v5, v4 row_bcast:31 row_mask:0xf bank_mask:0xf
	v_cndmask_b32_e64 v2, 0, v2, s[28:29]
	s_and_b64 vcc, s[28:29], vcc
	v_add_u32_e32 v2, v2, v3
	v_cndmask_b32_e32 v3, 0, v5, vcc
	v_add_u16_e32 v3, v3, v4
	v_cmp_eq_u32_e32 vcc, v84, v0
	v_lshlrev_b32_e32 v4, 3, v83
	s_and_saveexec_b64 s[28:29], vcc
	s_cbranch_execz .LBB1068_80
; %bb.79:
	ds_write_b32 v4, v2 offset:2064
	ds_write_b16 v4, v3 offset:2068
.LBB1068_80:
	s_or_b64 exec, exec, s[28:29]
	v_cmp_gt_u32_e32 vcc, 4, v0
	s_waitcnt lgkmcnt(0)
	s_barrier
	s_and_saveexec_b64 s[38:39], vcc
	s_cbranch_execz .LBB1068_82
; %bb.81:
	v_lshlrev_b32_e32 v5, 3, v0
	ds_read_b64 v[6:7], v5 offset:2064
	v_and_b32_e32 v8, 3, v25
	s_mov_b32 s28, 0xffff0000
	s_waitcnt lgkmcnt(0)
	v_mov_b32_dpp v24, v7 row_shr:1 row_mask:0xf bank_mask:0xf
	v_cmp_eq_u32_e32 vcc, 0, v6
	v_mov_b32_dpp v9, v6 row_shr:1 row_mask:0xf bank_mask:0xf
	v_cndmask_b32_e32 v24, 0, v24, vcc
	v_cmp_eq_u32_e32 vcc, 0, v8
	v_add_u16_e32 v24, v24, v7
	v_cndmask_b32_e64 v9, v9, 0, vcc
	v_and_or_b32 v26, v7, s28, v24
	v_add_u32_e32 v6, v9, v6
	v_cndmask_b32_e32 v9, v24, v7, vcc
	v_cndmask_b32_e32 v7, v26, v7, vcc
	v_mov_b32_dpp v24, v6 row_shr:2 row_mask:0xf bank_mask:0xf
	v_cmp_eq_u32_e32 vcc, 0, v6
	v_cmp_lt_u32_e64 s[28:29], 1, v8
	v_mov_b32_dpp v7, v7 row_shr:2 row_mask:0xf bank_mask:0xf
	v_cndmask_b32_e64 v8, 0, v24, s[28:29]
	s_and_b64 vcc, s[28:29], vcc
	v_add_u32_e32 v6, v8, v6
	v_cndmask_b32_e32 v7, 0, v7, vcc
	v_add_u16_e32 v7, v9, v7
	ds_write_b32 v5, v6 offset:2064
	ds_write_b16 v5, v7 offset:2068
.LBB1068_82:
	s_or_b64 exec, exec, s[38:39]
	v_cmp_gt_u32_e32 vcc, 64, v0
	v_cmp_lt_u32_e64 s[28:29], 63, v0
	v_mov_b32_e32 v28, 0
	v_mov_b32_e32 v29, 0
	s_waitcnt lgkmcnt(0)
	s_barrier
	s_and_saveexec_b64 s[38:39], s[28:29]
	s_cbranch_execz .LBB1068_84
; %bb.83:
	ds_read_b32 v28, v4 offset:2056
	ds_read_u16 v29, v4 offset:2060
	v_cmp_eq_u32_e64 s[28:29], 0, v2
	s_waitcnt lgkmcnt(1)
	v_add_u32_e32 v4, v28, v2
	s_waitcnt lgkmcnt(0)
	v_cndmask_b32_e64 v2, 0, v29, s[28:29]
	v_add_u16_e32 v3, v2, v3
	v_mov_b32_e32 v2, v4
.LBB1068_84:
	s_or_b64 exec, exec, s[38:39]
	v_add_u32_e32 v4, -1, v25
	v_and_b32_e32 v5, 64, v25
	v_cmp_lt_i32_e64 s[28:29], v4, v5
	v_cndmask_b32_e64 v4, v4, v25, s[28:29]
	v_and_b32_e32 v3, 0xffff, v3
	v_lshlrev_b32_e32 v4, 2, v4
	ds_bpermute_b32 v30, v4, v2
	ds_bpermute_b32 v31, v4, v3
	v_cmp_eq_u32_e64 s[28:29], 0, v25
	s_and_saveexec_b64 s[38:39], vcc
	s_cbranch_execz .LBB1068_107
; %bb.85:
	v_mov_b32_e32 v5, 0
	ds_read_b64 v[2:3], v5 offset:2088
	s_waitcnt lgkmcnt(0)
	v_readfirstlane_b32 s54, v3
	s_and_saveexec_b64 s[42:43], s[28:29]
	s_cbranch_execz .LBB1068_87
; %bb.86:
	s_add_i32 s48, s58, 64
	s_mov_b32 s49, 0
	s_lshl_b64 s[56:57], s[48:49], 4
	s_add_u32 s56, s36, s56
	s_addc_u32 s57, s37, s57
	s_and_b32 s61, s54, 0xff000000
	s_mov_b32 s60, s49
	s_and_b32 s63, s54, 0xff0000
	s_mov_b32 s62, s49
	s_or_b64 s[60:61], s[62:63], s[60:61]
	s_and_b32 s63, s54, 0xff00
	s_or_b64 s[60:61], s[60:61], s[62:63]
	s_and_b32 s63, s54, 0xff
	s_or_b64 s[48:49], s[60:61], s[62:63]
	v_mov_b32_e32 v3, s49
	v_mov_b32_e32 v4, 1
	v_pk_mov_b32 v[6:7], s[56:57], s[56:57] op_sel:[0,1]
	;;#ASMSTART
	global_store_dwordx4 v[6:7], v[2:5] off	
s_waitcnt vmcnt(0)
	;;#ASMEND
.LBB1068_87:
	s_or_b64 exec, exec, s[42:43]
	v_xad_u32 v24, v25, -1, s58
	v_add_u32_e32 v4, 64, v24
	v_lshlrev_b64 v[6:7], 4, v[4:5]
	v_mov_b32_e32 v3, s37
	v_add_co_u32_e32 v26, vcc, s36, v6
	v_addc_co_u32_e32 v27, vcc, v3, v7, vcc
	;;#ASMSTART
	global_load_dwordx4 v[6:9], v[26:27] off glc	
s_waitcnt vmcnt(0)
	;;#ASMEND
	v_and_b32_e32 v3, 0xffffff, v6
	v_and_b32_e32 v4, 0xff000000, v6
	v_or_b32_e32 v3, v3, v4
	v_and_b32_e32 v4, 0xff, v7
	v_and_b32_e32 v6, 0xff00, v7
	v_or3_b32 v7, 0, v4, v6
	v_or3_b32 v6, v3, 0, 0
	v_cmp_eq_u16_sdwa s[48:49], v8, v5 src0_sel:BYTE_0 src1_sel:DWORD
	s_and_saveexec_b64 s[42:43], s[48:49]
	s_cbranch_execz .LBB1068_93
; %bb.88:
	s_mov_b32 s55, 1
	s_mov_b64 s[48:49], 0
	v_mov_b32_e32 v3, 0
.LBB1068_89:                            ; =>This Loop Header: Depth=1
                                        ;     Child Loop BB1068_90 Depth 2
	s_max_u32 s56, s55, 1
.LBB1068_90:                            ;   Parent Loop BB1068_89 Depth=1
                                        ; =>  This Inner Loop Header: Depth=2
	s_add_i32 s56, s56, -1
	s_cmp_eq_u32 s56, 0
	s_sleep 1
	s_cbranch_scc0 .LBB1068_90
; %bb.91:                               ;   in Loop: Header=BB1068_89 Depth=1
	s_cmp_lt_u32 s55, 32
	s_cselect_b64 s[56:57], -1, 0
	s_cmp_lg_u64 s[56:57], 0
	s_addc_u32 s55, s55, 0
	;;#ASMSTART
	global_load_dwordx4 v[6:9], v[26:27] off glc	
s_waitcnt vmcnt(0)
	;;#ASMEND
	v_cmp_ne_u16_sdwa s[56:57], v8, v3 src0_sel:BYTE_0 src1_sel:DWORD
	s_or_b64 s[48:49], s[56:57], s[48:49]
	s_andn2_b64 exec, exec, s[48:49]
	s_cbranch_execnz .LBB1068_89
; %bb.92:
	s_or_b64 exec, exec, s[48:49]
	v_and_b32_e32 v7, 0xffff, v7
.LBB1068_93:
	s_or_b64 exec, exec, s[42:43]
	v_mov_b32_e32 v3, 2
	v_and_b32_e32 v32, 63, v25
	v_cmp_eq_u16_sdwa s[42:43], v8, v3 src0_sel:BYTE_0 src1_sel:DWORD
	v_lshlrev_b64 v[4:5], v25, -1
	v_cmp_ne_u32_e32 vcc, 63, v32
	v_and_b32_e32 v9, s43, v5
	v_addc_co_u32_e32 v27, vcc, 0, v25, vcc
	v_or_b32_e32 v9, 0x80000000, v9
	v_lshlrev_b32_e32 v33, 2, v27
	v_and_b32_e32 v26, s42, v4
	v_ffbl_b32_e32 v9, v9
	ds_bpermute_b32 v27, v33, v7
	v_add_u32_e32 v9, 32, v9
	v_ffbl_b32_e32 v26, v26
	v_min_u32_e32 v9, v26, v9
	ds_bpermute_b32 v26, v33, v6
	v_cmp_eq_u32_e32 vcc, 0, v6
	s_waitcnt lgkmcnt(1)
	v_cndmask_b32_e32 v27, 0, v27, vcc
	v_add_u16_e32 v27, v27, v7
	v_cmp_lt_u32_e32 vcc, v32, v9
	v_cndmask_b32_e32 v7, v7, v27, vcc
	s_waitcnt lgkmcnt(0)
	v_cndmask_b32_e32 v26, 0, v26, vcc
	v_cmp_gt_u32_e32 vcc, 62, v32
	v_cndmask_b32_e64 v27, 0, 1, vcc
	v_lshlrev_b32_e32 v27, 1, v27
	v_add_lshl_u32 v34, v27, v25, 2
	ds_bpermute_b32 v27, v34, v7
	v_add_u32_e32 v6, v26, v6
	ds_bpermute_b32 v26, v34, v6
	v_cmp_eq_u32_e32 vcc, 0, v6
	v_add_u32_e32 v35, 2, v32
	s_waitcnt lgkmcnt(1)
	v_cndmask_b32_e32 v27, 0, v27, vcc
	v_add_u16_e32 v27, v27, v7
	v_cmp_gt_u32_e32 vcc, v35, v9
	v_cndmask_b32_e32 v7, v27, v7, vcc
	s_waitcnt lgkmcnt(0)
	v_cndmask_b32_e64 v26, v26, 0, vcc
	v_cmp_gt_u32_e32 vcc, 60, v32
	v_cndmask_b32_e64 v27, 0, 1, vcc
	v_lshlrev_b32_e32 v27, 2, v27
	v_add_lshl_u32 v36, v27, v25, 2
	ds_bpermute_b32 v27, v36, v7
	v_add_u32_e32 v6, v6, v26
	ds_bpermute_b32 v26, v36, v6
	v_cmp_eq_u32_e32 vcc, 0, v6
	v_add_u32_e32 v37, 4, v32
	s_waitcnt lgkmcnt(1)
	v_cndmask_b32_e32 v27, 0, v27, vcc
	v_add_u16_e32 v27, v7, v27
	v_cmp_gt_u32_e32 vcc, v37, v9
	v_cndmask_b32_e32 v7, v27, v7, vcc
	s_waitcnt lgkmcnt(0)
	v_cndmask_b32_e64 v26, v26, 0, vcc
	;; [unrolled: 16-line block ×4, first 2 shown]
	v_cmp_gt_u32_e32 vcc, 32, v32
	v_cndmask_b32_e64 v27, 0, 1, vcc
	v_lshlrev_b32_e32 v27, 5, v27
	v_add_lshl_u32 v44, v27, v25, 2
	ds_bpermute_b32 v25, v44, v7
	v_add_u32_e32 v6, v6, v26
	ds_bpermute_b32 v26, v44, v6
	v_add_u32_e32 v45, 32, v32
	v_cmp_eq_u32_e32 vcc, 0, v6
	s_waitcnt lgkmcnt(1)
	v_cndmask_b32_e32 v25, 0, v25, vcc
	v_cmp_gt_u32_e32 vcc, v45, v9
	v_cndmask_b32_e64 v9, v25, 0, vcc
	v_add_u16_e32 v7, v7, v9
	s_waitcnt lgkmcnt(0)
	v_cndmask_b32_e64 v9, v26, 0, vcc
	v_add_u32_e32 v6, v9, v6
	v_mov_b32_e32 v25, 0
	s_branch .LBB1068_95
.LBB1068_94:                            ;   in Loop: Header=BB1068_95 Depth=1
	s_or_b64 exec, exec, s[42:43]
	v_cmp_eq_u16_sdwa s[42:43], v8, v3 src0_sel:BYTE_0 src1_sel:DWORD
	ds_bpermute_b32 v27, v33, v7
	v_and_b32_e32 v9, s43, v5
	v_or_b32_e32 v9, 0x80000000, v9
	v_and_b32_e32 v26, s42, v4
	v_ffbl_b32_e32 v9, v9
	v_add_u32_e32 v9, 32, v9
	v_ffbl_b32_e32 v26, v26
	v_cmp_eq_u32_e32 vcc, 0, v6
	v_min_u32_e32 v9, v26, v9
	ds_bpermute_b32 v26, v33, v6
	s_waitcnt lgkmcnt(1)
	v_cndmask_b32_e32 v27, 0, v27, vcc
	v_add_u16_e32 v27, v27, v7
	v_cmp_lt_u32_e32 vcc, v32, v9
	v_cndmask_b32_e32 v7, v7, v27, vcc
	ds_bpermute_b32 v27, v34, v7
	s_waitcnt lgkmcnt(1)
	v_cndmask_b32_e32 v26, 0, v26, vcc
	v_add_u32_e32 v6, v26, v6
	v_cmp_eq_u32_e32 vcc, 0, v6
	ds_bpermute_b32 v26, v34, v6
	s_waitcnt lgkmcnt(1)
	v_cndmask_b32_e32 v27, 0, v27, vcc
	v_add_u16_e32 v27, v27, v7
	v_cmp_gt_u32_e32 vcc, v35, v9
	v_cndmask_b32_e32 v7, v27, v7, vcc
	ds_bpermute_b32 v27, v36, v7
	s_waitcnt lgkmcnt(1)
	v_cndmask_b32_e64 v26, v26, 0, vcc
	v_add_u32_e32 v6, v6, v26
	v_cmp_eq_u32_e32 vcc, 0, v6
	ds_bpermute_b32 v26, v36, v6
	s_waitcnt lgkmcnt(1)
	v_cndmask_b32_e32 v27, 0, v27, vcc
	v_add_u16_e32 v27, v7, v27
	v_cmp_gt_u32_e32 vcc, v37, v9
	v_cndmask_b32_e32 v7, v27, v7, vcc
	ds_bpermute_b32 v27, v38, v7
	s_waitcnt lgkmcnt(1)
	v_cndmask_b32_e64 v26, v26, 0, vcc
	v_add_u32_e32 v6, v6, v26
	ds_bpermute_b32 v26, v38, v6
	v_cmp_eq_u32_e32 vcc, 0, v6
	s_waitcnt lgkmcnt(1)
	v_cndmask_b32_e32 v27, 0, v27, vcc
	v_add_u16_e32 v27, v7, v27
	v_cmp_gt_u32_e32 vcc, v39, v9
	v_cndmask_b32_e32 v7, v27, v7, vcc
	ds_bpermute_b32 v27, v41, v7
	s_waitcnt lgkmcnt(1)
	v_cndmask_b32_e64 v26, v26, 0, vcc
	v_add_u32_e32 v6, v6, v26
	ds_bpermute_b32 v26, v41, v6
	v_cmp_eq_u32_e32 vcc, 0, v6
	s_waitcnt lgkmcnt(1)
	v_cndmask_b32_e32 v27, 0, v27, vcc
	v_add_u16_e32 v27, v7, v27
	v_cmp_gt_u32_e32 vcc, v43, v9
	v_cndmask_b32_e32 v7, v27, v7, vcc
	ds_bpermute_b32 v27, v44, v7
	s_waitcnt lgkmcnt(1)
	v_cndmask_b32_e64 v26, v26, 0, vcc
	v_add_u32_e32 v6, v6, v26
	ds_bpermute_b32 v26, v44, v6
	v_cmp_eq_u32_e32 vcc, 0, v6
	s_waitcnt lgkmcnt(1)
	v_cndmask_b32_e32 v27, 0, v27, vcc
	v_cmp_gt_u32_e32 vcc, v45, v9
	v_cndmask_b32_e64 v9, v27, 0, vcc
	v_add_u16_e32 v7, v7, v9
	s_waitcnt lgkmcnt(0)
	v_cndmask_b32_e64 v9, v26, 0, vcc
	v_cmp_eq_u32_e32 vcc, 0, v42
	v_cndmask_b32_e32 v7, 0, v7, vcc
	v_subrev_u32_e32 v24, 64, v24
	v_add3_u32 v6, v6, v42, v9
	v_add_u16_e32 v7, v7, v40
.LBB1068_95:                            ; =>This Loop Header: Depth=1
                                        ;     Child Loop BB1068_98 Depth 2
                                        ;       Child Loop BB1068_99 Depth 3
	v_cmp_ne_u16_sdwa s[42:43], v8, v3 src0_sel:BYTE_0 src1_sel:DWORD
	v_mov_b32_e32 v40, v7
	v_cndmask_b32_e64 v7, 0, 1, s[42:43]
	;;#ASMSTART
	;;#ASMEND
	v_cmp_ne_u32_e32 vcc, 0, v7
	s_cmp_lg_u64 vcc, exec
	v_mov_b32_e32 v42, v6
	s_cbranch_scc1 .LBB1068_102
; %bb.96:                               ;   in Loop: Header=BB1068_95 Depth=1
	v_lshlrev_b64 v[6:7], 4, v[24:25]
	v_mov_b32_e32 v8, s37
	v_add_co_u32_e32 v26, vcc, s36, v6
	v_addc_co_u32_e32 v27, vcc, v8, v7, vcc
	;;#ASMSTART
	global_load_dwordx4 v[6:9], v[26:27] off glc	
s_waitcnt vmcnt(0)
	;;#ASMEND
	v_and_b32_e32 v9, 0xffffff, v6
	v_and_b32_e32 v6, 0xff000000, v6
	v_or_b32_e32 v6, v9, v6
	v_and_b32_e32 v9, 0xff, v7
	v_and_b32_e32 v7, 0xff00, v7
	v_or3_b32 v7, 0, v9, v7
	v_or3_b32 v6, v6, 0, 0
	v_cmp_eq_u16_sdwa s[48:49], v8, v25 src0_sel:BYTE_0 src1_sel:DWORD
	s_and_saveexec_b64 s[42:43], s[48:49]
	s_cbranch_execz .LBB1068_94
; %bb.97:                               ;   in Loop: Header=BB1068_95 Depth=1
	s_mov_b32 s55, 1
	s_mov_b64 s[48:49], 0
.LBB1068_98:                            ;   Parent Loop BB1068_95 Depth=1
                                        ; =>  This Loop Header: Depth=2
                                        ;       Child Loop BB1068_99 Depth 3
	s_max_u32 s56, s55, 1
.LBB1068_99:                            ;   Parent Loop BB1068_95 Depth=1
                                        ;     Parent Loop BB1068_98 Depth=2
                                        ; =>    This Inner Loop Header: Depth=3
	s_add_i32 s56, s56, -1
	s_cmp_eq_u32 s56, 0
	s_sleep 1
	s_cbranch_scc0 .LBB1068_99
; %bb.100:                              ;   in Loop: Header=BB1068_98 Depth=2
	s_cmp_lt_u32 s55, 32
	s_cselect_b64 s[56:57], -1, 0
	s_cmp_lg_u64 s[56:57], 0
	s_addc_u32 s55, s55, 0
	;;#ASMSTART
	global_load_dwordx4 v[6:9], v[26:27] off glc	
s_waitcnt vmcnt(0)
	;;#ASMEND
	v_cmp_ne_u16_sdwa s[56:57], v8, v25 src0_sel:BYTE_0 src1_sel:DWORD
	s_or_b64 s[48:49], s[56:57], s[48:49]
	s_andn2_b64 exec, exec, s[48:49]
	s_cbranch_execnz .LBB1068_98
; %bb.101:                              ;   in Loop: Header=BB1068_95 Depth=1
	s_or_b64 exec, exec, s[48:49]
	v_and_b32_e32 v7, 0xffff, v7
	s_branch .LBB1068_94
.LBB1068_102:                           ;   in Loop: Header=BB1068_95 Depth=1
                                        ; implicit-def: $vgpr7
                                        ; implicit-def: $vgpr6
                                        ; implicit-def: $vgpr8
	s_cbranch_execz .LBB1068_95
; %bb.103:
	s_and_saveexec_b64 s[42:43], s[28:29]
	s_cbranch_execz .LBB1068_105
; %bb.104:
	s_mov_b32 s49, 0
	v_cmp_eq_u32_e32 vcc, 0, v2
	s_add_i32 s48, s58, 64
	v_cndmask_b32_e32 v3, 0, v40, vcc
	s_lshl_b64 s[48:49], s[48:49], 4
	v_add_u16_e32 v3, s54, v3
	s_add_u32 s48, s36, s48
	s_addc_u32 s49, s37, s49
	v_and_b32_e32 v5, 0xff00, v3
	v_add_u32_e32 v4, v42, v2
	v_mov_b32_e32 v7, 0
	v_or_b32_sdwa v5, v5, v3 dst_sel:DWORD dst_unused:UNUSED_PAD src0_sel:DWORD src1_sel:BYTE_0
	v_mov_b32_e32 v6, 2
	v_pk_mov_b32 v[8:9], s[48:49], s[48:49] op_sel:[0,1]
	;;#ASMSTART
	global_store_dwordx4 v[8:9], v[4:7] off	
s_waitcnt vmcnt(0)
	;;#ASMEND
	v_mov_b32_e32 v3, s54
	s_movk_i32 s48, 0x800
	ds_write_b16 v7, v3 offset:2052
	v_add_u32_e64 v3, s48, 0
	ds_write2_b32 v3, v2, v42 offset1:2
	ds_write_b16 v7, v40 offset:2060
.LBB1068_105:
	s_or_b64 exec, exec, s[42:43]
	s_and_b64 exec, exec, s[0:1]
	s_cbranch_execz .LBB1068_107
; %bb.106:
	v_mov_b32_e32 v2, 0
	ds_write_b32 v2, v42 offset:2088
	ds_write_b16 v2, v40 offset:2092
.LBB1068_107:
	s_or_b64 exec, exec, s[38:39]
	v_mov_b32_e32 v4, 0
	s_waitcnt lgkmcnt(0)
	s_barrier
	ds_read_b64 v[2:3], v4 offset:2088
	v_cndmask_b32_e64 v6, v30, v28, s[28:29]
	v_cmp_eq_u32_e32 vcc, 0, v6
	v_cndmask_b32_e64 v5, v31, v29, s[28:29]
	s_waitcnt lgkmcnt(0)
	v_cndmask_b32_e32 v7, 0, v3, vcc
	v_add_u16_e32 v5, v7, v5
	v_cndmask_b32_e64 v3, v5, v3, s[0:1]
	v_cndmask_b32_e64 v5, v6, 0, s[0:1]
	v_cmp_eq_u32_e32 vcc, 0, v82
	v_add_u32_e32 v50, v2, v5
	v_cndmask_b32_e32 v2, 0, v3, vcc
	v_add_u16_e32 v49, v2, v79
	v_cndmask_b32_e64 v2, 0, v49, s[26:27]
	v_add_u16_e32 v47, v2, v78
	v_cndmask_b32_e64 v2, 0, v47, s[24:25]
	;; [unrolled: 2-line block ×6, first 2 shown]
	v_add_u16_e32 v37, v2, v68
	v_add_u32_e32 v48, v50, v82
	v_cndmask_b32_e64 v2, 0, v37, s[14:15]
	v_add_u32_e32 v46, v48, v65
	v_add_u16_e32 v35, v2, v67
	v_add_u32_e32 v44, v46, v64
	v_cndmask_b32_e64 v2, 0, v35, s[12:13]
	v_add_u32_e32 v42, v44, v63
	v_add_u16_e32 v33, v2, v77
	v_add_u32_e32 v40, v42, v62
	v_cndmask_b32_e64 v2, 0, v33, s[10:11]
	v_add_u32_e32 v38, v40, v61
	v_add_u16_e32 v31, v2, v75
	v_add_u32_e32 v36, v38, v60
	v_cndmask_b32_e64 v2, 0, v31, s[8:9]
	s_barrier
	ds_read_b128 v[4:7], v4 offset:2048
	v_add_u32_e32 v34, v36, v59
	v_add_u16_e32 v29, v2, v73
	v_add_u32_e32 v32, v34, v58
	v_cndmask_b32_e64 v2, 0, v29, s[6:7]
	v_add_u32_e32 v30, v32, v57
	v_add_u16_e32 v27, v2, v71
	v_add_u32_e32 v28, v30, v56
	v_cndmask_b32_e64 v2, 0, v27, s[4:5]
	v_add_u32_e32 v26, v28, v55
	v_add_u16_e32 v9, v2, v69
	s_waitcnt lgkmcnt(0)
	v_cmp_eq_u32_e32 vcc, 0, v4
	v_and_b32_e32 v51, 0xffff, v3
	v_add_u32_e32 v8, v26, v54
	v_cndmask_b32_e64 v3, 0, v9, s[2:3]
	v_cndmask_b32_e32 v7, 0, v7, vcc
	v_add_u32_e32 v2, v8, v53
	v_add_u16_e32 v3, v3, v66
	v_add_u32_e32 v81, v7, v5
	s_branch .LBB1068_120
.LBB1068_108:
                                        ; implicit-def: $vgpr4
                                        ; implicit-def: $vgpr81
                                        ; implicit-def: $vgpr50_vgpr51
                                        ; implicit-def: $vgpr48_vgpr49
                                        ; implicit-def: $vgpr46_vgpr47
                                        ; implicit-def: $vgpr44_vgpr45
                                        ; implicit-def: $vgpr42_vgpr43
                                        ; implicit-def: $vgpr40_vgpr41
                                        ; implicit-def: $vgpr38_vgpr39
                                        ; implicit-def: $vgpr36_vgpr37
                                        ; implicit-def: $vgpr34_vgpr35
                                        ; implicit-def: $vgpr32_vgpr33
                                        ; implicit-def: $vgpr30_vgpr31
                                        ; implicit-def: $vgpr28_vgpr29
                                        ; implicit-def: $vgpr26_vgpr27
                                        ; implicit-def: $vgpr8_vgpr9
                                        ; implicit-def: $vgpr2_vgpr3
	s_cbranch_execz .LBB1068_120
; %bb.109:
	s_and_b64 s[2:3], s[34:35], exec
	s_cselect_b32 s3, 0, s53
	s_cselect_b32 s2, 0, s52
	s_cmp_eq_u64 s[2:3], 0
	v_mov_b32_e32 v5, v79
	s_cbranch_scc1 .LBB1068_111
; %bb.110:
	v_mov_b32_e32 v2, 0
	global_load_ushort v5, v2, s[2:3]
.LBB1068_111:
	v_cmp_eq_u32_e64 s[2:3], 0, v65
	v_cndmask_b32_e64 v2, 0, v79, s[2:3]
	v_add_u16_e32 v2, v2, v78
	v_cmp_eq_u32_e64 s[4:5], 0, v64
	v_cndmask_b32_e64 v2, 0, v2, s[4:5]
	v_add_u16_e32 v2, v2, v76
	;; [unrolled: 3-line block ×11, first 2 shown]
	v_cmp_eq_u32_e64 s[24:25], 0, v54
	v_cndmask_b32_e64 v2, 0, v2, s[24:25]
	v_add3_u32 v3, v86, v61, v60
	v_add_u16_e32 v2, v2, v69
	v_cmp_eq_u32_e32 vcc, 0, v53
	v_add3_u32 v3, v3, v59, v58
	v_cndmask_b32_e32 v2, 0, v2, vcc
	v_add3_u32 v3, v3, v57, v56
	v_add_u16_e32 v2, v2, v66
	v_cmp_eq_u32_e64 s[26:27], 0, v52
	v_add3_u32 v3, v3, v55, v54
	v_cndmask_b32_e64 v2, 0, v2, s[26:27]
	v_add3_u32 v3, v3, v53, v52
	v_add_u16_e32 v4, v2, v80
	v_mbcnt_hi_u32_b32 v2, -1, v85
	v_and_b32_e32 v6, 15, v2
	v_mov_b32_dpp v8, v4 row_shr:1 row_mask:0xf bank_mask:0xf
	v_cmp_eq_u32_e64 s[26:27], 0, v3
	v_mov_b32_dpp v7, v3 row_shr:1 row_mask:0xf bank_mask:0xf
	v_cndmask_b32_e64 v8, 0, v8, s[26:27]
	v_cmp_eq_u32_e64 s[26:27], 0, v6
	v_add_u16_e32 v8, v8, v4
	v_cndmask_b32_e64 v7, v7, 0, s[26:27]
	v_add_u32_e32 v3, v7, v3
	v_cndmask_b32_e64 v4, v8, v4, s[26:27]
	v_cmp_eq_u32_e64 s[26:27], 0, v3
	v_mov_b32_dpp v7, v3 row_shr:2 row_mask:0xf bank_mask:0xf
	v_mov_b32_dpp v8, v4 row_shr:2 row_mask:0xf bank_mask:0xf
	v_cndmask_b32_e64 v8, 0, v8, s[26:27]
	v_cmp_lt_u32_e64 s[26:27], 1, v6
	v_add_u16_e32 v8, v8, v4
	v_cndmask_b32_e64 v7, 0, v7, s[26:27]
	v_cndmask_b32_e64 v4, v4, v8, s[26:27]
	v_add_u32_e32 v3, v3, v7
	v_cmp_eq_u32_e64 s[26:27], 0, v3
	v_mov_b32_dpp v8, v4 row_shr:4 row_mask:0xf bank_mask:0xf
	v_mov_b32_dpp v7, v3 row_shr:4 row_mask:0xf bank_mask:0xf
	v_cndmask_b32_e64 v8, 0, v8, s[26:27]
	v_cmp_lt_u32_e64 s[26:27], 3, v6
	v_add_u16_e32 v8, v8, v4
	v_cndmask_b32_e64 v7, 0, v7, s[26:27]
	v_cndmask_b32_e64 v4, v4, v8, s[26:27]
	v_add_u32_e32 v3, v7, v3
	;; [unrolled: 9-line block ×3, first 2 shown]
	v_bfe_i32 v8, v2, 4, 1
	v_mov_b32_dpp v7, v4 row_bcast:15 row_mask:0xf bank_mask:0xf
	v_mov_b32_dpp v6, v3 row_bcast:15 row_mask:0xf bank_mask:0xf
	v_cmp_eq_u32_e64 s[26:27], 0, v3
	v_and_b32_e32 v9, 16, v2
	v_cndmask_b32_e64 v7, 0, v7, s[26:27]
	v_and_b32_e32 v6, v8, v6
	v_add_u16_e32 v7, v7, v4
	v_add_u32_e32 v3, v6, v3
	v_cmp_eq_u32_e64 s[26:27], 0, v9
	v_cndmask_b32_e64 v4, v7, v4, s[26:27]
	v_mov_b32_dpp v6, v3 row_bcast:31 row_mask:0xf bank_mask:0xf
	v_cmp_eq_u32_e64 s[26:27], 0, v3
	v_cmp_lt_u32_e64 s[28:29], 31, v2
	v_mov_b32_dpp v7, v4 row_bcast:31 row_mask:0xf bank_mask:0xf
	v_cndmask_b32_e64 v6, 0, v6, s[28:29]
	s_and_b64 s[26:27], s[28:29], s[26:27]
	v_add_u32_e32 v3, v6, v3
	v_cndmask_b32_e64 v6, 0, v7, s[26:27]
	v_add_u16_e32 v4, v6, v4
	v_cmp_eq_u32_e64 s[26:27], v84, v0
	s_and_saveexec_b64 s[28:29], s[26:27]
	s_cbranch_execz .LBB1068_113
; %bb.112:
	v_lshlrev_b32_e32 v6, 3, v83
	ds_write_b32 v6, v3 offset:2064
	ds_write_b16 v6, v4 offset:2068
.LBB1068_113:
	s_or_b64 exec, exec, s[28:29]
	v_cmp_gt_u32_e64 s[26:27], 4, v0
	s_waitcnt lgkmcnt(0)
	s_barrier
	s_and_saveexec_b64 s[38:39], s[26:27]
	s_cbranch_execz .LBB1068_115
; %bb.114:
	v_lshlrev_b32_e32 v8, 3, v0
	ds_read_b64 v[6:7], v8 offset:2064
	v_and_b32_e32 v9, 3, v2
	s_mov_b32 s28, 0xffff0000
	s_waitcnt lgkmcnt(0)
	v_mov_b32_dpp v25, v7 row_shr:1 row_mask:0xf bank_mask:0xf
	v_cmp_eq_u32_e64 s[26:27], 0, v6
	v_mov_b32_dpp v24, v6 row_shr:1 row_mask:0xf bank_mask:0xf
	v_cndmask_b32_e64 v25, 0, v25, s[26:27]
	v_cmp_eq_u32_e64 s[26:27], 0, v9
	v_add_u16_e32 v25, v25, v7
	v_cndmask_b32_e64 v24, v24, 0, s[26:27]
	v_and_or_b32 v26, v7, s28, v25
	v_add_u32_e32 v6, v24, v6
	v_cndmask_b32_e64 v24, v25, v7, s[26:27]
	v_cndmask_b32_e64 v7, v26, v7, s[26:27]
	v_mov_b32_dpp v25, v6 row_shr:2 row_mask:0xf bank_mask:0xf
	v_cmp_eq_u32_e64 s[26:27], 0, v6
	v_cmp_lt_u32_e64 s[28:29], 1, v9
	v_mov_b32_dpp v7, v7 row_shr:2 row_mask:0xf bank_mask:0xf
	v_cndmask_b32_e64 v9, 0, v25, s[28:29]
	s_and_b64 s[26:27], s[28:29], s[26:27]
	v_add_u32_e32 v6, v9, v6
	v_cndmask_b32_e64 v7, 0, v7, s[26:27]
	v_add_u16_e32 v7, v24, v7
	ds_write_b32 v8, v6 offset:2064
	ds_write_b16 v8, v7 offset:2068
.LBB1068_115:
	s_or_b64 exec, exec, s[38:39]
	v_cmp_lt_u32_e64 s[26:27], 63, v0
	v_mov_b32_e32 v6, 0
	v_mov_b32_e32 v7, 0
	s_waitcnt vmcnt(0)
	v_mov_b32_e32 v8, v5
	s_waitcnt lgkmcnt(0)
	s_barrier
	s_and_saveexec_b64 s[28:29], s[26:27]
	s_cbranch_execz .LBB1068_117
; %bb.116:
	v_lshlrev_b32_e32 v8, 3, v83
	ds_read_b32 v7, v8 offset:2056
	ds_read_u16 v8, v8 offset:2060
	s_waitcnt lgkmcnt(1)
	v_cmp_eq_u32_e64 s[26:27], 0, v7
	v_cndmask_b32_e64 v9, 0, v5, s[26:27]
	s_waitcnt lgkmcnt(0)
	v_add_u16_e32 v8, v9, v8
.LBB1068_117:
	s_or_b64 exec, exec, s[28:29]
	v_cmp_eq_u32_e64 s[26:27], 0, v3
	v_add_u32_e32 v9, v7, v3
	v_cndmask_b32_e64 v3, 0, v8, s[26:27]
	v_add_u16_e32 v3, v3, v4
	v_add_u32_e32 v4, -1, v2
	v_and_b32_e32 v24, 64, v2
	v_cmp_lt_i32_e64 s[26:27], v4, v24
	v_cndmask_b32_e64 v4, v4, v2, s[26:27]
	v_lshlrev_b32_e32 v4, 2, v4
	ds_bpermute_b32 v3, v4, v3
	ds_bpermute_b32 v9, v4, v9
	v_cmp_eq_u32_e64 s[26:27], 0, v2
	ds_read_b32 v4, v6 offset:2088
	ds_read_u16 v6, v6 offset:2092
	s_waitcnt lgkmcnt(3)
	v_cndmask_b32_e64 v3, v3, v8, s[26:27]
	s_waitcnt lgkmcnt(2)
	v_cndmask_b32_e64 v2, v9, v7, s[26:27]
	v_cndmask_b32_e64 v3, v3, v5, s[0:1]
	v_cmp_eq_u32_e64 s[26:27], 0, v82
	v_cndmask_b32_e64 v50, v2, 0, s[0:1]
	v_cndmask_b32_e64 v2, 0, v3, s[26:27]
	v_add_u16_e32 v49, v2, v79
	v_cndmask_b32_e64 v2, 0, v49, s[2:3]
	v_add_u16_e32 v47, v2, v78
	;; [unrolled: 2-line block ×7, first 2 shown]
	v_cndmask_b32_e64 v2, 0, v37, s[14:15]
	v_add_u32_e32 v48, v50, v82
	v_add_u16_e32 v35, v2, v67
	v_add_u32_e32 v46, v48, v65
	v_cndmask_b32_e64 v2, 0, v35, s[16:17]
	v_add_u32_e32 v44, v46, v64
	v_add_u16_e32 v33, v2, v77
	v_add_u32_e32 v42, v44, v63
	;; [unrolled: 4-line block ×5, first 2 shown]
	v_cndmask_b32_e64 v2, 0, v27, s[24:25]
	v_add_u32_e32 v28, v30, v56
	v_add_u16_e32 v9, v2, v69
	v_and_b32_e32 v51, 0xffff, v3
	v_add_u32_e32 v26, v28, v55
	v_cndmask_b32_e32 v3, 0, v9, vcc
	s_waitcnt lgkmcnt(1)
	v_cmp_eq_u32_e32 vcc, 0, v4
	v_add_u32_e32 v8, v26, v54
	v_cndmask_b32_e32 v5, 0, v5, vcc
	v_add_u32_e32 v2, v8, v53
	v_add_u16_e32 v3, v3, v66
	s_waitcnt lgkmcnt(0)
	v_add_u16_e32 v81, v5, v6
	s_and_saveexec_b64 s[2:3], s[0:1]
	s_cbranch_execz .LBB1068_119
; %bb.118:
	s_add_u32 s4, s36, 0x400
	s_addc_u32 s5, s37, 0
	v_and_b32_e32 v5, 0xff00, v81
	v_mov_b32_e32 v7, 0
	v_or_b32_sdwa v5, v5, v81 dst_sel:DWORD dst_unused:UNUSED_PAD src0_sel:DWORD src1_sel:BYTE_0
	v_mov_b32_e32 v6, 2
	v_pk_mov_b32 v[24:25], s[4:5], s[4:5] op_sel:[0,1]
	;;#ASMSTART
	global_store_dwordx4 v[24:25], v[4:7] off	
s_waitcnt vmcnt(0)
	;;#ASMEND
.LBB1068_119:
	s_or_b64 exec, exec, s[2:3]
	v_mov_b32_e32 v6, 0
.LBB1068_120:
	s_and_b64 s[2:3], s[34:35], exec
	s_cselect_b32 s3, 0, s51
	s_cselect_b32 s2, 0, s50
	s_cmp_eq_u64 s[2:3], 0
	v_pk_mov_b32 v[24:25], 0, 0
	s_barrier
	s_cbranch_scc1 .LBB1068_122
; %bb.121:
	v_mov_b32_e32 v5, 0
	global_load_dwordx2 v[24:25], v5, s[2:3]
.LBB1068_122:
	s_movk_i32 s38, 0x100
	v_cmp_gt_u32_e32 vcc, s38, v4
	s_cbranch_vccnz .LBB1068_171
; %bb.123:
	v_cmp_eq_u32_e64 s[28:29], 0, v65
	v_cndmask_b32_e64 v77, 1, 2, s[28:29]
	v_cmp_eq_u32_e64 s[28:29], 0, v82
	v_cmp_eq_u32_e64 s[26:27], 0, v64
	v_cndmask_b32_e64 v78, 1, 2, s[28:29]
	v_cmp_eq_u32_e64 s[24:25], 0, v63
	v_cndmask_b32_e64 v76, 1, 2, s[26:27]
	v_and_b32_e32 v77, v77, v78
	v_cmp_eq_u32_e64 s[22:23], 0, v62
	v_cndmask_b32_e64 v75, 1, 2, s[24:25]
	v_and_b32_e32 v76, v77, v76
	;; [unrolled: 3-line block ×11, first 2 shown]
	v_cmp_eq_u32_e32 vcc, 0, v52
	v_cndmask_b32_e64 v7, 1, 2, s[2:3]
	v_and_b32_e32 v66, v67, v66
	v_cndmask_b32_e64 v5, 1, 2, vcc
	v_and_b32_e32 v7, v66, v7
	v_and_b32_e32 v5, v7, v5
	v_cmp_ne_u32_e64 s[20:21], 0, v82
	v_cmp_ne_u32_e32 vcc, 0, v53
	v_cmp_ne_u32_e64 s[2:3], 0, v54
	v_cmp_ne_u32_e64 s[4:5], 0, v55
	;; [unrolled: 1-line block ×12, first 2 shown]
	v_cmp_gt_i16_e64 s[28:29], 2, v5
	s_and_saveexec_b64 s[34:35], s[28:29]
	s_cbranch_execz .LBB1068_170
; %bb.124:
	v_cmp_ne_u16_e64 s[28:29], 1, v5
	s_mov_b64 s[36:37], 0
	s_and_saveexec_b64 s[42:43], s[28:29]
	s_xor_b64 s[28:29], exec, s[42:43]
	s_cbranch_execz .LBB1068_148
; %bb.125:
	s_and_saveexec_b64 s[36:37], s[20:21]
	s_cbranch_execz .LBB1068_153
; %bb.126:
	v_sub_u32_e32 v5, v50, v6
	v_lshlrev_b32_e32 v5, 2, v5
	ds_write_b32 v5, v22
	s_or_b64 exec, exec, s[36:37]
	s_and_saveexec_b64 s[20:21], s[26:27]
	s_cbranch_execnz .LBB1068_154
.LBB1068_127:
	s_or_b64 exec, exec, s[20:21]
	s_and_saveexec_b64 s[20:21], s[24:25]
	s_cbranch_execz .LBB1068_155
.LBB1068_128:
	v_sub_u32_e32 v5, v46, v6
	v_lshlrev_b32_e32 v5, 2, v5
	ds_write_b32 v5, v20
	s_or_b64 exec, exec, s[20:21]
	s_and_saveexec_b64 s[20:21], s[22:23]
	s_cbranch_execnz .LBB1068_156
.LBB1068_129:
	s_or_b64 exec, exec, s[20:21]
	s_and_saveexec_b64 s[20:21], s[18:19]
	s_cbranch_execz .LBB1068_157
.LBB1068_130:
	v_sub_u32_e32 v5, v42, v6
	v_lshlrev_b32_e32 v5, 2, v5
	ds_write_b32 v5, v18
	s_or_b64 exec, exec, s[20:21]
	s_and_saveexec_b64 s[18:19], s[16:17]
	s_cbranch_execnz .LBB1068_158
.LBB1068_131:
	s_or_b64 exec, exec, s[18:19]
	s_and_saveexec_b64 s[16:17], s[14:15]
	s_cbranch_execz .LBB1068_159
.LBB1068_132:
	v_sub_u32_e32 v5, v38, v6
	v_lshlrev_b32_e32 v5, 2, v5
	ds_write_b32 v5, v16
	s_or_b64 exec, exec, s[16:17]
	s_and_saveexec_b64 s[14:15], s[12:13]
	s_cbranch_execnz .LBB1068_160
.LBB1068_133:
	s_or_b64 exec, exec, s[14:15]
	s_and_saveexec_b64 s[12:13], s[10:11]
	s_cbranch_execz .LBB1068_161
.LBB1068_134:
	v_sub_u32_e32 v5, v34, v6
	v_lshlrev_b32_e32 v5, 2, v5
	ds_write_b32 v5, v14
	s_or_b64 exec, exec, s[12:13]
	s_and_saveexec_b64 s[10:11], s[8:9]
	s_cbranch_execnz .LBB1068_162
.LBB1068_135:
	s_or_b64 exec, exec, s[10:11]
	s_and_saveexec_b64 s[8:9], s[6:7]
	s_cbranch_execz .LBB1068_163
.LBB1068_136:
	v_sub_u32_e32 v5, v30, v6
	v_lshlrev_b32_e32 v5, 2, v5
	ds_write_b32 v5, v12
	s_or_b64 exec, exec, s[8:9]
	s_and_saveexec_b64 s[6:7], s[4:5]
	s_cbranch_execnz .LBB1068_164
.LBB1068_137:
	s_or_b64 exec, exec, s[6:7]
	s_and_saveexec_b64 s[4:5], s[2:3]
	s_cbranch_execz .LBB1068_165
.LBB1068_138:
	v_sub_u32_e32 v5, v26, v6
	v_lshlrev_b32_e32 v5, 2, v5
	ds_write_b32 v5, v10
	s_or_b64 exec, exec, s[4:5]
	v_cmp_ne_u32_e64 s[2:3], 0, v52
	s_and_saveexec_b64 s[4:5], vcc
	s_cbranch_execnz .LBB1068_166
	s_branch .LBB1068_167
.LBB1068_139:
                                        ; implicit-def: $sgpr4_sgpr5
                                        ; implicit-def: $vgpr52
                                        ; implicit-def: $vgpr53
                                        ; implicit-def: $vgpr54
                                        ; implicit-def: $vgpr55
                                        ; implicit-def: $vgpr56
                                        ; implicit-def: $vgpr57
                                        ; implicit-def: $vgpr58
                                        ; implicit-def: $vgpr59
                                        ; implicit-def: $vgpr60
                                        ; implicit-def: $vgpr61
                                        ; implicit-def: $vgpr62
                                        ; implicit-def: $vgpr63
                                        ; implicit-def: $vgpr64
                                        ; implicit-def: $vgpr65
	s_cbranch_execz .LBB1068_73
; %bb.140:
	v_cmp_ne_u32_e32 vcc, v23, v8
	v_cndmask_b32_e64 v65, 0, 1, vcc
	v_cmp_ne_u32_e32 vcc, v23, v9
	v_cndmask_b32_e64 v64, 0, 1, vcc
	;; [unrolled: 2-line block ×13, first 2 shown]
	v_cmp_ne_u32_e32 vcc, v11, v1
	v_lshlrev_b32_e32 v7, 2, v0
	v_cndmask_b32_e64 v52, 0, 1, vcc
	ds_write_b32 v7, v1
	s_waitcnt lgkmcnt(0)
	s_barrier
	s_waitcnt lgkmcnt(0)
                                        ; implicit-def: $sgpr4_sgpr5
	s_and_saveexec_b64 s[10:11], s[2:3]
	s_xor_b64 s[10:11], exec, s[10:11]
	s_cbranch_execz .LBB1068_142
; %bb.141:
	v_add_u32_e32 v2, -4, v7
	ds_read_b32 v2, v2
	s_or_b64 s[6:7], s[6:7], exec
	s_waitcnt lgkmcnt(0)
	v_cmp_ne_u32_e32 vcc, v2, v22
	s_and_b64 s[4:5], vcc, exec
.LBB1068_142:
	s_or_b64 exec, exec, s[10:11]
	s_mov_b32 s12, 1
	s_branch .LBB1068_75
.LBB1068_143:
	s_mul_hi_u32 s5, s54, 0xfffff100
	s_mul_i32 s4, s55, 0xfffff100
	s_sub_i32 s5, s5, s54
	s_add_i32 s5, s5, s4
	s_mul_i32 s4, s54, 0xfffff100
	s_add_u32 s10, s4, s48
	s_addc_u32 s11, s5, s49
	s_and_b64 vcc, exec, s[8:9]
	s_cbranch_vccz .LBB1068_150
; %bb.144:
	v_add_co_u32_e32 v2, vcc, -4, v24
	v_addc_co_u32_e32 v3, vcc, -1, v25, vcc
	flat_load_dword v6, v[2:3]
	v_mad_u32_u24 v4, v0, 15, 14
	v_mov_b32_e32 v5, 0
	v_cmp_gt_u64_e32 vcc, s[10:11], v[4:5]
	v_cmp_ne_u32_e64 s[4:5], v11, v1
	v_mad_u32_u24 v4, v0, 15, 13
	s_and_b64 s[6:7], vcc, s[4:5]
	v_cmp_gt_u64_e32 vcc, s[10:11], v[4:5]
	v_cmp_ne_u32_e64 s[4:5], v10, v11
	v_mad_u32_u24 v4, v0, 15, 12
	s_and_b64 s[8:9], vcc, s[4:5]
	;; [unrolled: 4-line block ×13, first 2 shown]
	v_cmp_gt_u64_e32 vcc, s[10:11], v[4:5]
	v_cmp_ne_u32_e64 s[4:5], v22, v23
	v_lshlrev_b32_e32 v3, 2, v0
	v_mul_u32_u24_e32 v2, 15, v0
	s_and_b64 s[4:5], vcc, s[4:5]
	ds_write_b32 v3, v1
	s_waitcnt lgkmcnt(0)
	s_barrier
	s_and_saveexec_b64 s[48:49], s[2:3]
	s_cbranch_execz .LBB1068_146
; %bb.145:
	v_add_u32_e32 v3, -4, v3
	s_waitcnt vmcnt(0)
	ds_read_b32 v6, v3
.LBB1068_146:
	s_or_b64 exec, exec, s[48:49]
	v_mov_b32_e32 v3, v5
	v_cndmask_b32_e64 v65, 0, 1, s[4:5]
	v_cmp_gt_u64_e32 vcc, s[10:11], v[2:3]
	s_waitcnt vmcnt(0) lgkmcnt(0)
	v_cmp_ne_u32_e64 s[4:5], v6, v22
	v_cndmask_b32_e64 v52, 0, 1, s[6:7]
	v_cndmask_b32_e64 v53, 0, 1, s[8:9]
	;; [unrolled: 1-line block ×13, first 2 shown]
	s_and_b64 s[4:5], vcc, s[4:5]
	s_mov_b64 s[6:7], -1
.LBB1068_147:
                                        ; implicit-def: $sgpr12
	v_mov_b32_e32 v82, s12
	s_and_saveexec_b64 s[2:3], s[6:7]
	s_cbranch_execnz .LBB1068_76
	s_branch .LBB1068_77
.LBB1068_148:
	s_andn2_saveexec_b64 s[2:3], s[28:29]
	s_cbranch_execz .LBB1068_168
.LBB1068_149:
	v_sub_u32_e32 v5, v50, v6
	v_lshlrev_b32_e32 v5, 2, v5
	ds_write_b32 v5, v22
	v_sub_u32_e32 v5, v48, v6
	v_lshlrev_b32_e32 v5, 2, v5
	ds_write_b32 v5, v23
	;; [unrolled: 3-line block ×13, first 2 shown]
	v_sub_u32_e32 v5, v8, v6
	v_lshlrev_b32_e32 v5, 2, v5
	s_or_b64 s[36:37], s[36:37], exec
	ds_write_b32 v5, v11
	s_or_b64 exec, exec, s[2:3]
	s_and_b64 exec, exec, s[36:37]
	s_cbranch_execnz .LBB1068_169
	s_branch .LBB1068_170
.LBB1068_150:
                                        ; implicit-def: $sgpr4_sgpr5
                                        ; implicit-def: $vgpr52
                                        ; implicit-def: $vgpr53
                                        ; implicit-def: $vgpr54
                                        ; implicit-def: $vgpr55
                                        ; implicit-def: $vgpr56
                                        ; implicit-def: $vgpr57
                                        ; implicit-def: $vgpr58
                                        ; implicit-def: $vgpr59
                                        ; implicit-def: $vgpr60
                                        ; implicit-def: $vgpr61
                                        ; implicit-def: $vgpr62
                                        ; implicit-def: $vgpr63
                                        ; implicit-def: $vgpr64
                                        ; implicit-def: $vgpr65
	s_cbranch_execz .LBB1068_147
; %bb.151:
	v_mad_u32_u24 v2, v0, 15, 14
	v_mov_b32_e32 v3, 0
	v_cmp_gt_u64_e32 vcc, s[10:11], v[2:3]
	v_cmp_ne_u32_e64 s[4:5], v11, v1
	s_and_b64 s[4:5], vcc, s[4:5]
	v_mad_u32_u24 v2, v0, 15, 13
	v_cndmask_b32_e64 v52, 0, 1, s[4:5]
	v_cmp_gt_u64_e32 vcc, s[10:11], v[2:3]
	v_cmp_ne_u32_e64 s[4:5], v10, v11
	s_and_b64 s[4:5], vcc, s[4:5]
	v_mad_u32_u24 v2, v0, 15, 12
	v_cndmask_b32_e64 v53, 0, 1, s[4:5]
	;; [unrolled: 5-line block ×13, first 2 shown]
	v_cmp_gt_u64_e32 vcc, s[10:11], v[2:3]
	v_cmp_ne_u32_e64 s[4:5], v22, v23
	s_and_b64 s[4:5], vcc, s[4:5]
	v_lshlrev_b32_e32 v4, 2, v0
	s_mov_b32 s12, 1
	v_cndmask_b32_e64 v65, 0, 1, s[4:5]
	ds_write_b32 v4, v1
	s_waitcnt lgkmcnt(0)
	s_barrier
	s_waitcnt lgkmcnt(0)
                                        ; implicit-def: $sgpr4_sgpr5
	s_and_saveexec_b64 s[8:9], s[2:3]
	s_cbranch_execz .LBB1068_190
; %bb.152:
	v_add_u32_e32 v2, -4, v4
	ds_read_b32 v4, v2
	v_mul_u32_u24_e32 v2, 15, v0
	v_cmp_gt_u64_e32 vcc, s[10:11], v[2:3]
	s_or_b64 s[6:7], s[6:7], exec
	s_waitcnt lgkmcnt(0)
	v_cmp_ne_u32_e64 s[2:3], v4, v22
	s_and_b64 s[2:3], vcc, s[2:3]
	s_and_b64 s[4:5], s[2:3], exec
	s_or_b64 exec, exec, s[8:9]
	v_mov_b32_e32 v82, s12
	s_and_saveexec_b64 s[2:3], s[6:7]
	s_cbranch_execz .LBB1068_77
	s_branch .LBB1068_76
.LBB1068_153:
	s_or_b64 exec, exec, s[36:37]
	s_and_saveexec_b64 s[20:21], s[26:27]
	s_cbranch_execz .LBB1068_127
.LBB1068_154:
	v_sub_u32_e32 v5, v48, v6
	v_lshlrev_b32_e32 v5, 2, v5
	ds_write_b32 v5, v23
	s_or_b64 exec, exec, s[20:21]
	s_and_saveexec_b64 s[20:21], s[24:25]
	s_cbranch_execnz .LBB1068_128
.LBB1068_155:
	s_or_b64 exec, exec, s[20:21]
	s_and_saveexec_b64 s[20:21], s[22:23]
	s_cbranch_execz .LBB1068_129
.LBB1068_156:
	v_sub_u32_e32 v5, v44, v6
	v_lshlrev_b32_e32 v5, 2, v5
	ds_write_b32 v5, v21
	s_or_b64 exec, exec, s[20:21]
	s_and_saveexec_b64 s[20:21], s[18:19]
	s_cbranch_execnz .LBB1068_130
.LBB1068_157:
	s_or_b64 exec, exec, s[20:21]
	s_and_saveexec_b64 s[18:19], s[16:17]
	s_cbranch_execz .LBB1068_131
.LBB1068_158:
	v_sub_u32_e32 v5, v40, v6
	v_lshlrev_b32_e32 v5, 2, v5
	ds_write_b32 v5, v19
	s_or_b64 exec, exec, s[18:19]
	s_and_saveexec_b64 s[16:17], s[14:15]
	s_cbranch_execnz .LBB1068_132
.LBB1068_159:
	s_or_b64 exec, exec, s[16:17]
	s_and_saveexec_b64 s[14:15], s[12:13]
	s_cbranch_execz .LBB1068_133
.LBB1068_160:
	v_sub_u32_e32 v5, v36, v6
	v_lshlrev_b32_e32 v5, 2, v5
	ds_write_b32 v5, v17
	s_or_b64 exec, exec, s[14:15]
	s_and_saveexec_b64 s[12:13], s[10:11]
	s_cbranch_execnz .LBB1068_134
.LBB1068_161:
	s_or_b64 exec, exec, s[12:13]
	s_and_saveexec_b64 s[10:11], s[8:9]
	s_cbranch_execz .LBB1068_135
.LBB1068_162:
	v_sub_u32_e32 v5, v32, v6
	v_lshlrev_b32_e32 v5, 2, v5
	ds_write_b32 v5, v15
	s_or_b64 exec, exec, s[10:11]
	s_and_saveexec_b64 s[8:9], s[6:7]
	s_cbranch_execnz .LBB1068_136
.LBB1068_163:
	s_or_b64 exec, exec, s[8:9]
	s_and_saveexec_b64 s[6:7], s[4:5]
	s_cbranch_execz .LBB1068_137
.LBB1068_164:
	v_sub_u32_e32 v5, v28, v6
	v_lshlrev_b32_e32 v5, 2, v5
	ds_write_b32 v5, v13
	s_or_b64 exec, exec, s[6:7]
	s_and_saveexec_b64 s[4:5], s[2:3]
	s_cbranch_execnz .LBB1068_138
.LBB1068_165:
	s_or_b64 exec, exec, s[4:5]
	v_cmp_ne_u32_e64 s[2:3], 0, v52
	s_and_saveexec_b64 s[4:5], vcc
	s_cbranch_execz .LBB1068_167
.LBB1068_166:
	v_sub_u32_e32 v5, v8, v6
	v_lshlrev_b32_e32 v5, 2, v5
	ds_write_b32 v5, v11
.LBB1068_167:
	s_or_b64 exec, exec, s[4:5]
	s_and_b64 s[36:37], s[2:3], exec
                                        ; implicit-def: $vgpr10
                                        ; implicit-def: $vgpr12
                                        ; implicit-def: $vgpr14
                                        ; implicit-def: $vgpr16
                                        ; implicit-def: $vgpr18
                                        ; implicit-def: $vgpr20
                                        ; implicit-def: $vgpr22
	s_andn2_saveexec_b64 s[2:3], s[28:29]
	s_cbranch_execnz .LBB1068_149
.LBB1068_168:
	s_or_b64 exec, exec, s[2:3]
	s_and_b64 exec, exec, s[36:37]
	s_cbranch_execz .LBB1068_170
.LBB1068_169:
	v_sub_u32_e32 v5, v2, v6
	v_lshlrev_b32_e32 v5, 2, v5
	ds_write_b32 v5, v1
.LBB1068_170:
	s_or_b64 exec, exec, s[34:35]
	s_waitcnt lgkmcnt(0)
	s_barrier
.LBB1068_171:
	s_cmpk_lg_i32 s33, 0xf00
	s_cselect_b64 s[2:3], -1, 0
	s_and_b64 s[0:1], s[0:1], s[30:31]
	v_cndmask_b32_e64 v11, v82, 0, s[0:1]
	s_mul_hi_u32 s0, s33, 0x88888889
	s_lshr_b32 s0, s0, 3
	v_mad_i32_i24 v12, v0, -15, s33
	v_cmp_eq_u32_e32 vcc, s0, v0
	v_cmp_ne_u32_e64 s[0:1], 0, v12
	v_cndmask_b32_e64 v13, 1, v11, s[0:1]
	v_cmp_ne_u32_e64 s[0:1], 1, v12
	v_cndmask_b32_e64 v14, 1, v65, s[0:1]
	;; [unrolled: 2-line block ×15, first 2 shown]
	s_and_b64 vcc, vcc, s[40:41]
	v_cndmask_b32_e32 v52, v52, v12, vcc
	v_cndmask_b32_e32 v20, v59, v20, vcc
	;; [unrolled: 1-line block ×3, first 2 shown]
	s_waitcnt vmcnt(0)
	v_lshlrev_b64 v[12:13], 1, v[24:25]
	v_mov_b32_e32 v7, 0
	v_cndmask_b32_e32 v53, v53, v68, vcc
	v_cndmask_b32_e32 v54, v54, v67, vcc
	;; [unrolled: 1-line block ×12, first 2 shown]
	v_mov_b32_e32 v11, s45
	v_add_co_u32_e32 v14, vcc, s44, v12
	v_addc_co_u32_e32 v11, vcc, v11, v13, vcc
	v_lshlrev_b64 v[12:13], 1, v[6:7]
	v_cndmask_b32_e64 v1, 0, 1, s[30:31]
	v_add_co_u32_e32 v7, vcc, v14, v12
	v_addc_co_u32_e32 v14, vcc, v11, v13, vcc
	v_lshlrev_b32_e32 v11, 1, v1
	v_add_co_u32_e32 v11, vcc, v11, v7
	v_addc_co_u32_e32 v12, vcc, 0, v14, vcc
	v_add_co_u32_e32 v15, vcc, -2, v11
	v_addc_co_u32_e32 v16, vcc, -1, v12, vcc
	v_cmp_eq_u32_e32 vcc, 0, v59
	v_cndmask_b32_e64 v12, 1, 2, vcc
	v_cmp_eq_u32_e32 vcc, 0, v58
	v_cndmask_b32_e64 v13, 1, 2, vcc
	v_cmp_eq_u32_e32 vcc, 0, v57
	v_and_b32_e32 v12, v13, v12
	v_cndmask_b32_e64 v13, 1, 2, vcc
	v_cmp_eq_u32_e32 vcc, 0, v56
	v_and_b32_e32 v12, v12, v13
	;; [unrolled: 3-line block ×10, first 2 shown]
	v_cndmask_b32_e64 v13, 1, 2, vcc
	v_cmp_eq_u32_e32 vcc, 0, v54
	s_and_b64 s[2:3], s[2:3], s[40:41]
	v_and_b32_e32 v12, v12, v13
	v_cndmask_b32_e64 v13, 1, 2, vcc
	v_cmp_eq_u32_e32 vcc, 0, v53
	v_sub_u32_e32 v5, v4, v1
	v_cndmask_b32_e64 v10, 0, 1, s[2:3]
	v_and_b32_e32 v12, v12, v13
	v_cndmask_b32_e64 v13, 1, 2, vcc
	v_cmp_eq_u32_e32 vcc, 0, v52
	v_add_u32_e32 v5, v5, v10
	v_and_b32_e32 v12, v12, v13
	v_cndmask_b32_e64 v13, 1, 2, vcc
	v_and_b32_e32 v12, v12, v13
	v_cmp_gt_u32_e32 vcc, s38, v5
	v_add_u32_e32 v11, v6, v1
	v_cmp_ne_u32_e64 s[28:29], 0, v59
	v_cmp_ne_u32_e64 s[26:27], 0, v58
	;; [unrolled: 1-line block ×15, first 2 shown]
	s_mov_b64 s[34:35], -1
	v_cmp_gt_i16_e64 s[30:31], 2, v12
	s_barrier
	s_cbranch_vccz .LBB1068_209
; %bb.172:
	s_and_saveexec_b64 s[34:35], s[30:31]
	s_cbranch_execz .LBB1068_208
; %bb.173:
	v_cmp_ne_u16_e32 vcc, 1, v12
	s_mov_b64 s[36:37], 0
	s_and_saveexec_b64 s[30:31], vcc
	s_xor_b64 s[30:31], exec, s[30:31]
	s_cbranch_execz .LBB1068_188
; %bb.174:
	s_and_saveexec_b64 s[36:37], s[28:29]
	s_cbranch_execz .LBB1068_191
; %bb.175:
	v_sub_u32_e32 v18, v50, v11
	v_mov_b32_e32 v19, 0
	v_lshlrev_b64 v[18:19], 1, v[18:19]
	v_add_co_u32_e32 v18, vcc, v15, v18
	v_addc_co_u32_e32 v19, vcc, v16, v19, vcc
	global_store_short v[18:19], v51, off
	s_or_b64 exec, exec, s[36:37]
	s_and_saveexec_b64 s[36:37], s[26:27]
	s_cbranch_execnz .LBB1068_192
.LBB1068_176:
	s_or_b64 exec, exec, s[36:37]
	s_and_saveexec_b64 s[36:37], s[24:25]
	s_cbranch_execz .LBB1068_193
.LBB1068_177:
	v_sub_u32_e32 v18, v46, v11
	v_mov_b32_e32 v19, 0
	v_lshlrev_b64 v[18:19], 1, v[18:19]
	v_add_co_u32_e32 v18, vcc, v15, v18
	v_addc_co_u32_e32 v19, vcc, v16, v19, vcc
	global_store_short v[18:19], v47, off
	s_or_b64 exec, exec, s[36:37]
	s_and_saveexec_b64 s[36:37], s[22:23]
	s_cbranch_execnz .LBB1068_194
.LBB1068_178:
	s_or_b64 exec, exec, s[36:37]
	s_and_saveexec_b64 s[36:37], s[20:21]
	s_cbranch_execz .LBB1068_195
.LBB1068_179:
	v_sub_u32_e32 v18, v42, v11
	v_mov_b32_e32 v19, 0
	v_lshlrev_b64 v[18:19], 1, v[18:19]
	v_add_co_u32_e32 v18, vcc, v15, v18
	v_addc_co_u32_e32 v19, vcc, v16, v19, vcc
	global_store_short v[18:19], v43, off
	s_or_b64 exec, exec, s[36:37]
	s_and_saveexec_b64 s[36:37], s[18:19]
	s_cbranch_execnz .LBB1068_196
.LBB1068_180:
	s_or_b64 exec, exec, s[36:37]
	s_and_saveexec_b64 s[36:37], s[16:17]
	s_cbranch_execz .LBB1068_197
.LBB1068_181:
	v_sub_u32_e32 v18, v38, v11
	v_mov_b32_e32 v19, 0
	v_lshlrev_b64 v[18:19], 1, v[18:19]
	v_add_co_u32_e32 v18, vcc, v15, v18
	v_addc_co_u32_e32 v19, vcc, v16, v19, vcc
	global_store_short v[18:19], v39, off
	s_or_b64 exec, exec, s[36:37]
	s_and_saveexec_b64 s[36:37], s[14:15]
	s_cbranch_execnz .LBB1068_198
.LBB1068_182:
	s_or_b64 exec, exec, s[36:37]
	s_and_saveexec_b64 s[36:37], s[12:13]
	s_cbranch_execz .LBB1068_199
.LBB1068_183:
	v_sub_u32_e32 v18, v34, v11
	v_mov_b32_e32 v19, 0
	v_lshlrev_b64 v[18:19], 1, v[18:19]
	v_add_co_u32_e32 v18, vcc, v15, v18
	v_addc_co_u32_e32 v19, vcc, v16, v19, vcc
	global_store_short v[18:19], v35, off
	s_or_b64 exec, exec, s[36:37]
	s_and_saveexec_b64 s[36:37], s[10:11]
	s_cbranch_execnz .LBB1068_200
.LBB1068_184:
	s_or_b64 exec, exec, s[36:37]
	s_and_saveexec_b64 s[36:37], s[8:9]
	s_cbranch_execz .LBB1068_201
.LBB1068_185:
	v_sub_u32_e32 v18, v30, v11
	v_mov_b32_e32 v19, 0
	v_lshlrev_b64 v[18:19], 1, v[18:19]
	v_add_co_u32_e32 v18, vcc, v15, v18
	v_addc_co_u32_e32 v19, vcc, v16, v19, vcc
	global_store_short v[18:19], v31, off
	s_or_b64 exec, exec, s[36:37]
	s_and_saveexec_b64 s[36:37], s[6:7]
	s_cbranch_execnz .LBB1068_202
.LBB1068_186:
	s_or_b64 exec, exec, s[36:37]
	s_and_saveexec_b64 s[36:37], s[4:5]
	s_cbranch_execz .LBB1068_203
.LBB1068_187:
	v_sub_u32_e32 v18, v26, v11
	v_mov_b32_e32 v19, 0
	v_lshlrev_b64 v[18:19], 1, v[18:19]
	v_add_co_u32_e32 v18, vcc, v15, v18
	v_addc_co_u32_e32 v19, vcc, v16, v19, vcc
	global_store_short v[18:19], v27, off
	s_or_b64 exec, exec, s[36:37]
	s_and_saveexec_b64 s[36:37], s[2:3]
	s_cbranch_execnz .LBB1068_204
	s_branch .LBB1068_205
.LBB1068_188:
	s_andn2_saveexec_b64 s[30:31], s[30:31]
	s_cbranch_execz .LBB1068_206
.LBB1068_189:
	v_sub_u32_e32 v18, v50, v11
	v_mov_b32_e32 v19, 0
	v_lshlrev_b64 v[20:21], 1, v[18:19]
	v_add_co_u32_e32 v20, vcc, v15, v20
	v_addc_co_u32_e32 v21, vcc, v16, v21, vcc
	v_sub_u32_e32 v18, v48, v11
	global_store_short v[20:21], v51, off
	v_lshlrev_b64 v[20:21], 1, v[18:19]
	v_add_co_u32_e32 v20, vcc, v15, v20
	v_addc_co_u32_e32 v21, vcc, v16, v21, vcc
	v_sub_u32_e32 v18, v46, v11
	global_store_short v[20:21], v49, off
	;; [unrolled: 5-line block ×12, first 2 shown]
	v_lshlrev_b64 v[20:21], 1, v[18:19]
	v_add_co_u32_e32 v20, vcc, v15, v20
	v_sub_u32_e32 v18, v8, v11
	v_addc_co_u32_e32 v21, vcc, v16, v21, vcc
	v_lshlrev_b64 v[18:19], 1, v[18:19]
	v_add_co_u32_e32 v18, vcc, v15, v18
	v_addc_co_u32_e32 v19, vcc, v16, v19, vcc
	s_or_b64 s[36:37], s[36:37], exec
	global_store_short v[20:21], v27, off
	global_store_short v[18:19], v9, off
	s_or_b64 exec, exec, s[30:31]
	s_and_b64 exec, exec, s[36:37]
	s_cbranch_execnz .LBB1068_207
	s_branch .LBB1068_208
.LBB1068_190:
	s_or_b64 exec, exec, s[8:9]
	v_mov_b32_e32 v82, s12
	s_and_saveexec_b64 s[2:3], s[6:7]
	s_cbranch_execnz .LBB1068_76
	s_branch .LBB1068_77
.LBB1068_191:
	s_or_b64 exec, exec, s[36:37]
	s_and_saveexec_b64 s[36:37], s[26:27]
	s_cbranch_execz .LBB1068_176
.LBB1068_192:
	v_sub_u32_e32 v18, v48, v11
	v_mov_b32_e32 v19, 0
	v_lshlrev_b64 v[18:19], 1, v[18:19]
	v_add_co_u32_e32 v18, vcc, v15, v18
	v_addc_co_u32_e32 v19, vcc, v16, v19, vcc
	global_store_short v[18:19], v49, off
	s_or_b64 exec, exec, s[36:37]
	s_and_saveexec_b64 s[36:37], s[24:25]
	s_cbranch_execnz .LBB1068_177
.LBB1068_193:
	s_or_b64 exec, exec, s[36:37]
	s_and_saveexec_b64 s[36:37], s[22:23]
	s_cbranch_execz .LBB1068_178
.LBB1068_194:
	v_sub_u32_e32 v18, v44, v11
	v_mov_b32_e32 v19, 0
	v_lshlrev_b64 v[18:19], 1, v[18:19]
	v_add_co_u32_e32 v18, vcc, v15, v18
	v_addc_co_u32_e32 v19, vcc, v16, v19, vcc
	global_store_short v[18:19], v45, off
	s_or_b64 exec, exec, s[36:37]
	s_and_saveexec_b64 s[36:37], s[20:21]
	s_cbranch_execnz .LBB1068_179
.LBB1068_195:
	s_or_b64 exec, exec, s[36:37]
	s_and_saveexec_b64 s[36:37], s[18:19]
	s_cbranch_execz .LBB1068_180
.LBB1068_196:
	v_sub_u32_e32 v18, v40, v11
	v_mov_b32_e32 v19, 0
	v_lshlrev_b64 v[18:19], 1, v[18:19]
	v_add_co_u32_e32 v18, vcc, v15, v18
	v_addc_co_u32_e32 v19, vcc, v16, v19, vcc
	global_store_short v[18:19], v41, off
	s_or_b64 exec, exec, s[36:37]
	s_and_saveexec_b64 s[36:37], s[16:17]
	s_cbranch_execnz .LBB1068_181
.LBB1068_197:
	s_or_b64 exec, exec, s[36:37]
	s_and_saveexec_b64 s[36:37], s[14:15]
	s_cbranch_execz .LBB1068_182
.LBB1068_198:
	v_sub_u32_e32 v18, v36, v11
	v_mov_b32_e32 v19, 0
	v_lshlrev_b64 v[18:19], 1, v[18:19]
	v_add_co_u32_e32 v18, vcc, v15, v18
	v_addc_co_u32_e32 v19, vcc, v16, v19, vcc
	global_store_short v[18:19], v37, off
	s_or_b64 exec, exec, s[36:37]
	s_and_saveexec_b64 s[36:37], s[12:13]
	s_cbranch_execnz .LBB1068_183
.LBB1068_199:
	s_or_b64 exec, exec, s[36:37]
	s_and_saveexec_b64 s[36:37], s[10:11]
	s_cbranch_execz .LBB1068_184
.LBB1068_200:
	v_sub_u32_e32 v18, v32, v11
	v_mov_b32_e32 v19, 0
	v_lshlrev_b64 v[18:19], 1, v[18:19]
	v_add_co_u32_e32 v18, vcc, v15, v18
	v_addc_co_u32_e32 v19, vcc, v16, v19, vcc
	global_store_short v[18:19], v33, off
	s_or_b64 exec, exec, s[36:37]
	s_and_saveexec_b64 s[36:37], s[8:9]
	s_cbranch_execnz .LBB1068_185
.LBB1068_201:
	s_or_b64 exec, exec, s[36:37]
	s_and_saveexec_b64 s[36:37], s[6:7]
	s_cbranch_execz .LBB1068_186
.LBB1068_202:
	v_sub_u32_e32 v18, v28, v11
	v_mov_b32_e32 v19, 0
	v_lshlrev_b64 v[18:19], 1, v[18:19]
	v_add_co_u32_e32 v18, vcc, v15, v18
	v_addc_co_u32_e32 v19, vcc, v16, v19, vcc
	global_store_short v[18:19], v29, off
	s_or_b64 exec, exec, s[36:37]
	s_and_saveexec_b64 s[36:37], s[4:5]
	s_cbranch_execnz .LBB1068_187
.LBB1068_203:
	s_or_b64 exec, exec, s[36:37]
	s_and_saveexec_b64 s[36:37], s[2:3]
	s_cbranch_execz .LBB1068_205
.LBB1068_204:
	v_sub_u32_e32 v18, v8, v11
	v_mov_b32_e32 v19, 0
	v_lshlrev_b64 v[18:19], 1, v[18:19]
	v_add_co_u32_e32 v18, vcc, v15, v18
	v_addc_co_u32_e32 v19, vcc, v16, v19, vcc
	global_store_short v[18:19], v9, off
.LBB1068_205:
	s_or_b64 exec, exec, s[36:37]
	s_and_b64 s[36:37], s[0:1], exec
	s_andn2_saveexec_b64 s[30:31], s[30:31]
	s_cbranch_execnz .LBB1068_189
.LBB1068_206:
	s_or_b64 exec, exec, s[30:31]
	s_and_b64 exec, exec, s[36:37]
	s_cbranch_execz .LBB1068_208
.LBB1068_207:
	v_sub_u32_e32 v18, v2, v11
	v_mov_b32_e32 v19, 0
	v_lshlrev_b64 v[18:19], 1, v[18:19]
	v_add_co_u32_e32 v18, vcc, v15, v18
	v_addc_co_u32_e32 v19, vcc, v16, v19, vcc
	global_store_short v[18:19], v3, off
.LBB1068_208:
	s_or_b64 exec, exec, s[34:35]
	s_mov_b64 s[34:35], 0
.LBB1068_209:
	s_and_b64 vcc, exec, s[34:35]
	s_cbranch_vccz .LBB1068_261
; %bb.210:
	v_cmp_gt_i16_e32 vcc, 2, v12
	s_and_saveexec_b64 s[30:31], vcc
	s_cbranch_execz .LBB1068_245
; %bb.211:
	v_cmp_ne_u16_e32 vcc, 1, v12
	s_mov_b64 s[36:37], 0
	s_and_saveexec_b64 s[34:35], vcc
	s_xor_b64 s[34:35], exec, s[34:35]
	s_cbranch_execz .LBB1068_226
; %bb.212:
	s_and_saveexec_b64 s[36:37], s[28:29]
	s_cbranch_execz .LBB1068_228
; %bb.213:
	v_sub_u32_e32 v12, v50, v11
	v_lshlrev_b32_e32 v12, 1, v12
	ds_write_b16 v12, v51
	s_or_b64 exec, exec, s[36:37]
	s_and_saveexec_b64 s[28:29], s[26:27]
	s_cbranch_execnz .LBB1068_229
.LBB1068_214:
	s_or_b64 exec, exec, s[28:29]
	s_and_saveexec_b64 s[26:27], s[24:25]
	s_cbranch_execz .LBB1068_230
.LBB1068_215:
	v_sub_u32_e32 v12, v46, v11
	v_lshlrev_b32_e32 v12, 1, v12
	ds_write_b16 v12, v47
	s_or_b64 exec, exec, s[26:27]
	s_and_saveexec_b64 s[24:25], s[22:23]
	s_cbranch_execnz .LBB1068_231
.LBB1068_216:
	s_or_b64 exec, exec, s[24:25]
	s_and_saveexec_b64 s[22:23], s[20:21]
	s_cbranch_execz .LBB1068_232
.LBB1068_217:
	v_sub_u32_e32 v12, v42, v11
	v_lshlrev_b32_e32 v12, 1, v12
	ds_write_b16 v12, v43
	s_or_b64 exec, exec, s[22:23]
	s_and_saveexec_b64 s[20:21], s[18:19]
	s_cbranch_execnz .LBB1068_233
.LBB1068_218:
	s_or_b64 exec, exec, s[20:21]
	s_and_saveexec_b64 s[18:19], s[16:17]
	s_cbranch_execz .LBB1068_234
.LBB1068_219:
	v_sub_u32_e32 v12, v38, v11
	v_lshlrev_b32_e32 v12, 1, v12
	ds_write_b16 v12, v39
	s_or_b64 exec, exec, s[18:19]
	s_and_saveexec_b64 s[16:17], s[14:15]
	s_cbranch_execnz .LBB1068_235
.LBB1068_220:
	s_or_b64 exec, exec, s[16:17]
	s_and_saveexec_b64 s[14:15], s[12:13]
	s_cbranch_execz .LBB1068_236
.LBB1068_221:
	v_sub_u32_e32 v12, v34, v11
	v_lshlrev_b32_e32 v12, 1, v12
	ds_write_b16 v12, v35
	s_or_b64 exec, exec, s[14:15]
	s_and_saveexec_b64 s[12:13], s[10:11]
	s_cbranch_execnz .LBB1068_237
.LBB1068_222:
	s_or_b64 exec, exec, s[12:13]
	s_and_saveexec_b64 s[10:11], s[8:9]
	s_cbranch_execz .LBB1068_238
.LBB1068_223:
	v_sub_u32_e32 v12, v30, v11
	v_lshlrev_b32_e32 v12, 1, v12
	ds_write_b16 v12, v31
	s_or_b64 exec, exec, s[10:11]
	s_and_saveexec_b64 s[8:9], s[6:7]
	s_cbranch_execnz .LBB1068_239
.LBB1068_224:
	s_or_b64 exec, exec, s[8:9]
	s_and_saveexec_b64 s[6:7], s[4:5]
	s_cbranch_execz .LBB1068_240
.LBB1068_225:
	v_sub_u32_e32 v12, v26, v11
	v_lshlrev_b32_e32 v12, 1, v12
	ds_write_b16 v12, v27
	s_or_b64 exec, exec, s[6:7]
	s_and_saveexec_b64 s[4:5], s[2:3]
	s_cbranch_execnz .LBB1068_241
	s_branch .LBB1068_242
.LBB1068_226:
	s_andn2_saveexec_b64 s[0:1], s[34:35]
	s_cbranch_execz .LBB1068_243
.LBB1068_227:
	v_sub_u32_e32 v12, v50, v11
	v_lshlrev_b32_e32 v12, 1, v12
	ds_write_b16 v12, v51
	v_sub_u32_e32 v12, v48, v11
	v_lshlrev_b32_e32 v12, 1, v12
	ds_write_b16 v12, v49
	;; [unrolled: 3-line block ×12, first 2 shown]
	v_sub_u32_e32 v12, v26, v11
	v_sub_u32_e32 v8, v8, v11
	v_lshlrev_b32_e32 v12, 1, v12
	v_lshlrev_b32_e32 v8, 1, v8
	s_or_b64 s[36:37], s[36:37], exec
	ds_write_b16 v12, v27
	ds_write_b16 v8, v9
	s_or_b64 exec, exec, s[0:1]
	s_and_b64 exec, exec, s[36:37]
	s_cbranch_execnz .LBB1068_244
	s_branch .LBB1068_245
.LBB1068_228:
	s_or_b64 exec, exec, s[36:37]
	s_and_saveexec_b64 s[28:29], s[26:27]
	s_cbranch_execz .LBB1068_214
.LBB1068_229:
	v_sub_u32_e32 v12, v48, v11
	v_lshlrev_b32_e32 v12, 1, v12
	ds_write_b16 v12, v49
	s_or_b64 exec, exec, s[28:29]
	s_and_saveexec_b64 s[26:27], s[24:25]
	s_cbranch_execnz .LBB1068_215
.LBB1068_230:
	s_or_b64 exec, exec, s[26:27]
	s_and_saveexec_b64 s[24:25], s[22:23]
	s_cbranch_execz .LBB1068_216
.LBB1068_231:
	v_sub_u32_e32 v12, v44, v11
	v_lshlrev_b32_e32 v12, 1, v12
	ds_write_b16 v12, v45
	s_or_b64 exec, exec, s[24:25]
	s_and_saveexec_b64 s[22:23], s[20:21]
	s_cbranch_execnz .LBB1068_217
.LBB1068_232:
	s_or_b64 exec, exec, s[22:23]
	s_and_saveexec_b64 s[20:21], s[18:19]
	s_cbranch_execz .LBB1068_218
.LBB1068_233:
	v_sub_u32_e32 v12, v40, v11
	v_lshlrev_b32_e32 v12, 1, v12
	ds_write_b16 v12, v41
	s_or_b64 exec, exec, s[20:21]
	s_and_saveexec_b64 s[18:19], s[16:17]
	s_cbranch_execnz .LBB1068_219
.LBB1068_234:
	s_or_b64 exec, exec, s[18:19]
	s_and_saveexec_b64 s[16:17], s[14:15]
	s_cbranch_execz .LBB1068_220
.LBB1068_235:
	v_sub_u32_e32 v12, v36, v11
	v_lshlrev_b32_e32 v12, 1, v12
	ds_write_b16 v12, v37
	s_or_b64 exec, exec, s[16:17]
	s_and_saveexec_b64 s[14:15], s[12:13]
	s_cbranch_execnz .LBB1068_221
.LBB1068_236:
	s_or_b64 exec, exec, s[14:15]
	s_and_saveexec_b64 s[12:13], s[10:11]
	s_cbranch_execz .LBB1068_222
.LBB1068_237:
	v_sub_u32_e32 v12, v32, v11
	v_lshlrev_b32_e32 v12, 1, v12
	ds_write_b16 v12, v33
	s_or_b64 exec, exec, s[12:13]
	s_and_saveexec_b64 s[10:11], s[8:9]
	s_cbranch_execnz .LBB1068_223
.LBB1068_238:
	s_or_b64 exec, exec, s[10:11]
	s_and_saveexec_b64 s[8:9], s[6:7]
	s_cbranch_execz .LBB1068_224
.LBB1068_239:
	v_sub_u32_e32 v12, v28, v11
	v_lshlrev_b32_e32 v12, 1, v12
	ds_write_b16 v12, v29
	s_or_b64 exec, exec, s[8:9]
	s_and_saveexec_b64 s[6:7], s[4:5]
	s_cbranch_execnz .LBB1068_225
.LBB1068_240:
	s_or_b64 exec, exec, s[6:7]
	s_and_saveexec_b64 s[4:5], s[2:3]
	s_cbranch_execz .LBB1068_242
.LBB1068_241:
	v_sub_u32_e32 v8, v8, v11
	v_lshlrev_b32_e32 v8, 1, v8
	ds_write_b16 v8, v9
.LBB1068_242:
	s_or_b64 exec, exec, s[4:5]
	s_and_b64 s[36:37], s[0:1], exec
                                        ; implicit-def: $vgpr50_vgpr51
                                        ; implicit-def: $vgpr48_vgpr49
                                        ; implicit-def: $vgpr46_vgpr47
                                        ; implicit-def: $vgpr44_vgpr45
                                        ; implicit-def: $vgpr42_vgpr43
                                        ; implicit-def: $vgpr40_vgpr41
                                        ; implicit-def: $vgpr38_vgpr39
                                        ; implicit-def: $vgpr36_vgpr37
                                        ; implicit-def: $vgpr34_vgpr35
                                        ; implicit-def: $vgpr32_vgpr33
                                        ; implicit-def: $vgpr30_vgpr31
                                        ; implicit-def: $vgpr28_vgpr29
                                        ; implicit-def: $vgpr26_vgpr27
                                        ; implicit-def: $vgpr8_vgpr9
	s_andn2_saveexec_b64 s[0:1], s[34:35]
	s_cbranch_execnz .LBB1068_227
.LBB1068_243:
	s_or_b64 exec, exec, s[0:1]
	s_and_b64 exec, exec, s[36:37]
	s_cbranch_execz .LBB1068_245
.LBB1068_244:
	v_sub_u32_e32 v2, v2, v11
	v_lshlrev_b32_e32 v2, 1, v2
	ds_write_b16 v2, v3
.LBB1068_245:
	s_or_b64 exec, exec, s[30:31]
	v_cmp_lt_u32_e32 vcc, v0, v5
	s_waitcnt lgkmcnt(0)
	s_barrier
	s_and_saveexec_b64 s[2:3], vcc
	s_cbranch_execz .LBB1068_260
; %bb.246:
	v_add_u32_e32 v8, v4, v10
	v_xad_u32 v2, v0, -1, v8
	v_sub_u32_e32 v3, v2, v1
	s_movk_i32 s0, 0x1b00
	v_cmp_gt_u32_e64 s[4:5], s0, v3
	s_movk_i32 s0, 0x1aff
	v_cmp_lt_u32_e32 vcc, s0, v3
	v_mov_b32_e32 v2, v0
	s_and_saveexec_b64 s[6:7], vcc
	s_cbranch_execz .LBB1068_257
; %bb.247:
	v_sub_u32_e32 v2, v0, v8
	v_add_u32_e32 v1, v2, v1
	v_or_b32_e32 v1, 0xff, v1
	v_cmp_ge_u32_e32 vcc, v1, v0
	s_mov_b64 s[0:1], -1
	v_mov_b32_e32 v2, v0
	s_and_saveexec_b64 s[8:9], vcc
	s_cbranch_execz .LBB1068_256
; %bb.248:
	v_lshrrev_b32_e32 v17, 8, v3
	v_add_u32_e32 v8, -3, v17
	v_or_b32_e32 v3, 0x300, v0
	v_or_b32_e32 v2, 0x200, v0
	v_lshrrev_b32_e32 v9, 2, v8
	v_or_b32_e32 v1, 0x100, v0
	v_add_u32_e32 v19, 1, v9
	v_cmp_lt_u32_e32 vcc, 11, v8
	v_pk_mov_b32 v[10:11], v[2:3], v[2:3] op_sel:[0,1]
	v_mov_b32_e32 v22, 0
	v_lshlrev_b32_e32 v18, 1, v0
	v_pk_mov_b32 v[8:9], v[0:1], v[0:1] op_sel:[0,1]
	s_and_saveexec_b64 s[10:11], vcc
	s_cbranch_execz .LBB1068_252
; %bb.249:
	v_pk_mov_b32 v[10:11], v[2:3], v[2:3] op_sel:[0,1]
	v_and_b32_e32 v20, 0x7ffffffc, v19
	s_mov_b32 s14, 0
	s_mov_b64 s[12:13], 0
	v_mov_b32_e32 v13, 0
	v_mov_b32_e32 v21, v18
	v_pk_mov_b32 v[8:9], v[0:1], v[0:1] op_sel:[0,1]
.LBB1068_250:                           ; =>This Inner Loop Header: Depth=1
	v_mov_b32_e32 v12, v8
	v_lshlrev_b64 v[40:41], 1, v[12:13]
	v_add_u32_e32 v26, 0x400, v9
	v_mov_b32_e32 v27, v13
	v_add_co_u32_e64 v40, s[0:1], v15, v40
	v_lshlrev_b64 v[26:27], 1, v[26:27]
	v_addc_co_u32_e64 v41, s[0:1], v16, v41, s[0:1]
	v_add_u32_e32 v22, 0x400, v10
	v_mov_b32_e32 v23, v13
	v_add_co_u32_e64 v26, s[0:1], v15, v26
	v_lshlrev_b64 v[42:43], 1, v[22:23]
	v_addc_co_u32_e64 v27, s[0:1], v16, v27, s[0:1]
	v_add_u32_e32 v2, 0x400, v11
	v_mov_b32_e32 v3, v13
	v_add_co_u32_e64 v42, s[0:1], v15, v42
	v_add_u32_e32 v20, -4, v20
	v_mov_b32_e32 v12, v9
	v_lshlrev_b64 v[2:3], 1, v[2:3]
	v_addc_co_u32_e64 v43, s[0:1], v16, v43, s[0:1]
	v_add_u32_e32 v32, 0x800, v9
	v_mov_b32_e32 v33, v13
	s_add_i32 s14, s14, 16
	v_cmp_eq_u32_e32 vcc, 0, v20
	v_lshlrev_b64 v[44:45], 1, v[12:13]
	v_add_co_u32_e64 v2, s[0:1], v15, v2
	v_lshlrev_b64 v[32:33], 1, v[32:33]
	v_mov_b32_e32 v12, v10
	v_addc_co_u32_e64 v3, s[0:1], v16, v3, s[0:1]
	s_or_b64 s[12:13], vcc, s[12:13]
	v_add_co_u32_e32 v44, vcc, v15, v44
	v_add_u32_e32 v30, 0x800, v10
	v_mov_b32_e32 v31, v13
	v_add_co_u32_e64 v32, s[0:1], v15, v32
	v_addc_co_u32_e32 v45, vcc, v16, v45, vcc
	v_lshlrev_b64 v[46:47], 1, v[12:13]
	v_lshlrev_b64 v[30:31], 1, v[30:31]
	v_addc_co_u32_e64 v33, s[0:1], v16, v33, s[0:1]
	v_mov_b32_e32 v12, v11
	v_add_co_u32_e32 v46, vcc, v15, v46
	ds_read_u16 v1, v21
	ds_read_u16 v50, v21 offset:512
	ds_read_u16 v51, v21 offset:1024
	ds_read_u16 v52, v21 offset:1536
	ds_read_u16 v53, v21 offset:2048
	ds_read_u16 v54, v21 offset:2560
	ds_read_u16 v55, v21 offset:3072
	ds_read_u16 v56, v21 offset:3584
	v_add_u32_e32 v28, 0x800, v11
	v_mov_b32_e32 v29, v13
	v_add_co_u32_e64 v30, s[0:1], v15, v30
	v_addc_co_u32_e32 v47, vcc, v16, v47, vcc
	v_lshlrev_b64 v[48:49], 1, v[12:13]
	v_lshlrev_b64 v[28:29], 1, v[28:29]
	v_addc_co_u32_e64 v31, s[0:1], v16, v31, s[0:1]
	v_add_u32_e32 v12, 0x400, v8
	v_add_co_u32_e32 v48, vcc, v15, v48
	v_add_u32_e32 v38, 0xc00, v9
	v_mov_b32_e32 v39, v13
	ds_read_u16 v57, v21 offset:4096
	ds_read_u16 v58, v21 offset:4608
	;; [unrolled: 1-line block ×8, first 2 shown]
	v_add_co_u32_e64 v28, s[0:1], v15, v28
	v_addc_co_u32_e32 v49, vcc, v16, v49, vcc
	s_waitcnt lgkmcnt(14)
	global_store_short v[40:41], v1, off
	global_store_short v[44:45], v50, off
	s_waitcnt lgkmcnt(13)
	global_store_short v[46:47], v51, off
	v_lshlrev_b64 v[40:41], 1, v[12:13]
	v_lshlrev_b64 v[38:39], 1, v[38:39]
	v_addc_co_u32_e64 v29, s[0:1], v16, v29, s[0:1]
	v_add_u32_e32 v12, 0x800, v8
	v_add_co_u32_e32 v40, vcc, v15, v40
	v_add_u32_e32 v36, 0xc00, v10
	v_mov_b32_e32 v37, v13
	v_add_co_u32_e64 v38, s[0:1], v15, v38
	v_addc_co_u32_e32 v41, vcc, v16, v41, vcc
	v_lshlrev_b64 v[44:45], 1, v[12:13]
	v_lshlrev_b64 v[36:37], 1, v[36:37]
	v_addc_co_u32_e64 v39, s[0:1], v16, v39, s[0:1]
	s_waitcnt lgkmcnt(12)
	global_store_short v[48:49], v52, off
	v_add_u32_e32 v12, 0xc00, v8
	s_waitcnt lgkmcnt(11)
	global_store_short v[40:41], v53, off
	s_waitcnt lgkmcnt(10)
	global_store_short v[26:27], v54, off
	s_waitcnt lgkmcnt(9)
	global_store_short v[42:43], v55, off
	s_waitcnt lgkmcnt(8)
	global_store_short v[2:3], v56, off
	v_add_co_u32_e32 v2, vcc, v15, v44
	v_add_u32_e32 v34, 0xc00, v11
	v_mov_b32_e32 v35, v13
	v_add_co_u32_e64 v36, s[0:1], v15, v36
	v_addc_co_u32_e32 v3, vcc, v16, v45, vcc
	v_lshlrev_b64 v[26:27], 1, v[12:13]
	v_lshlrev_b64 v[34:35], 1, v[34:35]
	v_addc_co_u32_e64 v37, s[0:1], v16, v37, s[0:1]
	s_waitcnt lgkmcnt(7)
	global_store_short v[2:3], v57, off
	s_waitcnt lgkmcnt(6)
	global_store_short v[32:33], v58, off
	;; [unrolled: 2-line block ×4, first 2 shown]
	v_add_co_u32_e32 v2, vcc, v15, v26
	v_add_u32_e32 v21, 0x2000, v21
	v_add_u32_e32 v9, 0x1000, v9
	v_mov_b32_e32 v22, s14
	v_add_co_u32_e64 v34, s[0:1], v15, v34
	v_add_u32_e32 v10, 0x1000, v10
	v_add_u32_e32 v11, 0x1000, v11
	;; [unrolled: 1-line block ×3, first 2 shown]
	v_addc_co_u32_e32 v3, vcc, v16, v27, vcc
	v_addc_co_u32_e64 v35, s[0:1], v16, v35, s[0:1]
	s_waitcnt lgkmcnt(3)
	global_store_short v[2:3], v61, off
	s_waitcnt lgkmcnt(2)
	global_store_short v[38:39], v62, off
	;; [unrolled: 2-line block ×4, first 2 shown]
	s_andn2_b64 exec, exec, s[12:13]
	s_cbranch_execnz .LBB1068_250
; %bb.251:
	s_or_b64 exec, exec, s[12:13]
.LBB1068_252:
	s_or_b64 exec, exec, s[10:11]
	v_and_b32_e32 v1, 3, v19
	v_cmp_ne_u32_e32 vcc, 0, v1
	s_and_saveexec_b64 s[10:11], vcc
	s_cbranch_execz .LBB1068_255
; %bb.253:
	v_lshl_or_b32 v12, v22, 9, v18
	s_mov_b64 s[12:13], 0
	v_mov_b32_e32 v3, 0
.LBB1068_254:                           ; =>This Inner Loop Header: Depth=1
	v_mov_b32_e32 v2, v8
	v_add_u32_e32 v1, -1, v1
	v_lshlrev_b64 v[18:19], 1, v[2:3]
	v_mov_b32_e32 v2, v9
	v_cmp_eq_u32_e32 vcc, 0, v1
	v_lshlrev_b64 v[20:21], 1, v[2:3]
	ds_read_u16 v13, v12
	ds_read_u16 v28, v12 offset:512
	ds_read_u16 v29, v12 offset:1024
	;; [unrolled: 1-line block ×3, first 2 shown]
	v_mov_b32_e32 v2, v10
	s_or_b64 s[12:13], vcc, s[12:13]
	v_add_co_u32_e32 v20, vcc, v15, v20
	v_addc_co_u32_e32 v21, vcc, v16, v21, vcc
	v_lshlrev_b64 v[22:23], 1, v[2:3]
	v_mov_b32_e32 v2, v11
	v_add_co_u32_e32 v22, vcc, v15, v22
	v_add_co_u32_e64 v18, s[0:1], v15, v18
	v_addc_co_u32_e32 v23, vcc, v16, v23, vcc
	v_lshlrev_b64 v[26:27], 1, v[2:3]
	v_add_u32_e32 v8, 0x400, v8
	v_add_u32_e32 v12, 0x800, v12
	;; [unrolled: 1-line block ×3, first 2 shown]
	v_addc_co_u32_e64 v19, s[0:1], v16, v19, s[0:1]
	v_add_u32_e32 v10, 0x400, v10
	v_add_u32_e32 v11, 0x400, v11
	v_add_co_u32_e32 v26, vcc, v15, v26
	v_addc_co_u32_e32 v27, vcc, v16, v27, vcc
	s_waitcnt lgkmcnt(3)
	global_store_short v[18:19], v13, off
	s_waitcnt lgkmcnt(2)
	global_store_short v[20:21], v28, off
	;; [unrolled: 2-line block ×4, first 2 shown]
	s_andn2_b64 exec, exec, s[12:13]
	s_cbranch_execnz .LBB1068_254
.LBB1068_255:
	s_or_b64 exec, exec, s[10:11]
	v_add_u32_e32 v1, 1, v17
	v_and_b32_e32 v3, 0x1fffffc, v1
	v_cmp_ne_u32_e32 vcc, v1, v3
	v_lshl_or_b32 v2, v3, 8, v0
	s_orn2_b64 s[0:1], vcc, exec
.LBB1068_256:
	s_or_b64 exec, exec, s[8:9]
	s_andn2_b64 s[4:5], s[4:5], exec
	s_and_b64 s[0:1], s[0:1], exec
	s_or_b64 s[4:5], s[4:5], s[0:1]
.LBB1068_257:
	s_or_b64 exec, exec, s[6:7]
	s_and_b64 exec, exec, s[4:5]
	s_cbranch_execz .LBB1068_260
; %bb.258:
	v_lshlrev_b32_e32 v1, 1, v2
	s_mov_b64 s[0:1], 0
	v_mov_b32_e32 v3, 0
.LBB1068_259:                           ; =>This Inner Loop Header: Depth=1
	v_lshlrev_b64 v[8:9], 1, v[2:3]
	ds_read_u16 v10, v1
	v_add_co_u32_e32 v8, vcc, v15, v8
	v_add_u32_e32 v2, 0x100, v2
	v_addc_co_u32_e32 v9, vcc, v16, v9, vcc
	v_cmp_ge_u32_e32 vcc, v2, v5
	v_add_u32_e32 v1, 0x200, v1
	s_or_b64 s[0:1], vcc, s[0:1]
	s_waitcnt lgkmcnt(0)
	global_store_short v[8:9], v10, off
	s_andn2_b64 exec, exec, s[0:1]
	s_cbranch_execnz .LBB1068_259
.LBB1068_260:
	s_or_b64 exec, exec, s[2:3]
.LBB1068_261:
	s_movk_i32 s0, 0xff
	v_cmp_eq_u32_e32 vcc, s0, v0
	s_and_b64 s[0:1], vcc, s[40:41]
	s_and_saveexec_b64 s[2:3], s[0:1]
	s_cbranch_execz .LBB1068_264
; %bb.262:
	v_add_co_u32_e32 v0, vcc, v4, v6
	v_addc_co_u32_e64 v1, s[0:1], 0, 0, vcc
	v_add_co_u32_e32 v0, vcc, v0, v24
	v_mov_b32_e32 v5, 0
	v_addc_co_u32_e32 v1, vcc, v1, v25, vcc
	s_cmpk_lg_i32 s33, 0xf00
	global_store_dwordx2 v5, v[0:1], s[46:47]
	s_cbranch_scc1 .LBB1068_264
; %bb.263:
	v_lshlrev_b64 v[0:1], 1, v[4:5]
	v_add_co_u32_e32 v0, vcc, v7, v0
	v_addc_co_u32_e32 v1, vcc, v14, v1, vcc
	global_store_short v[0:1], v81, off offset:-2
.LBB1068_264:
	s_endpgm
	.section	.rodata,"a",@progbits
	.p2align	6, 0x0
	.amdhsa_kernel _ZN7rocprim17ROCPRIM_400000_NS6detail17trampoline_kernelINS0_14default_configENS1_29reduce_by_key_config_selectorIjsN6thrust23THRUST_200600_302600_NS4plusIsEEEEZZNS1_33reduce_by_key_impl_wrapped_configILNS1_25lookback_scan_determinismE0ES3_S9_NS6_6detail15normal_iteratorINS6_10device_ptrIjEEEENSD_INSE_IsEEEENS6_16discard_iteratorINS6_11use_defaultEEESI_PmS8_NS6_8equal_toIjEEEE10hipError_tPvRmT2_T3_mT4_T5_T6_T7_T8_P12ihipStream_tbENKUlT_T0_E_clISt17integral_constantIbLb1EES16_EEDaS11_S12_EUlS11_E_NS1_11comp_targetILNS1_3genE4ELNS1_11target_archE910ELNS1_3gpuE8ELNS1_3repE0EEENS1_30default_config_static_selectorELNS0_4arch9wavefront6targetE1EEEvT1_
		.amdhsa_group_segment_fixed_size 15360
		.amdhsa_private_segment_fixed_size 0
		.amdhsa_kernarg_size 128
		.amdhsa_user_sgpr_count 6
		.amdhsa_user_sgpr_private_segment_buffer 1
		.amdhsa_user_sgpr_dispatch_ptr 0
		.amdhsa_user_sgpr_queue_ptr 0
		.amdhsa_user_sgpr_kernarg_segment_ptr 1
		.amdhsa_user_sgpr_dispatch_id 0
		.amdhsa_user_sgpr_flat_scratch_init 0
		.amdhsa_user_sgpr_kernarg_preload_length 0
		.amdhsa_user_sgpr_kernarg_preload_offset 0
		.amdhsa_user_sgpr_private_segment_size 0
		.amdhsa_uses_dynamic_stack 0
		.amdhsa_system_sgpr_private_segment_wavefront_offset 0
		.amdhsa_system_sgpr_workgroup_id_x 1
		.amdhsa_system_sgpr_workgroup_id_y 0
		.amdhsa_system_sgpr_workgroup_id_z 0
		.amdhsa_system_sgpr_workgroup_info 0
		.amdhsa_system_vgpr_workitem_id 0
		.amdhsa_next_free_vgpr 87
		.amdhsa_next_free_sgpr 64
		.amdhsa_accum_offset 88
		.amdhsa_reserve_vcc 1
		.amdhsa_reserve_flat_scratch 0
		.amdhsa_float_round_mode_32 0
		.amdhsa_float_round_mode_16_64 0
		.amdhsa_float_denorm_mode_32 3
		.amdhsa_float_denorm_mode_16_64 3
		.amdhsa_dx10_clamp 1
		.amdhsa_ieee_mode 1
		.amdhsa_fp16_overflow 0
		.amdhsa_tg_split 0
		.amdhsa_exception_fp_ieee_invalid_op 0
		.amdhsa_exception_fp_denorm_src 0
		.amdhsa_exception_fp_ieee_div_zero 0
		.amdhsa_exception_fp_ieee_overflow 0
		.amdhsa_exception_fp_ieee_underflow 0
		.amdhsa_exception_fp_ieee_inexact 0
		.amdhsa_exception_int_div_zero 0
	.end_amdhsa_kernel
	.section	.text._ZN7rocprim17ROCPRIM_400000_NS6detail17trampoline_kernelINS0_14default_configENS1_29reduce_by_key_config_selectorIjsN6thrust23THRUST_200600_302600_NS4plusIsEEEEZZNS1_33reduce_by_key_impl_wrapped_configILNS1_25lookback_scan_determinismE0ES3_S9_NS6_6detail15normal_iteratorINS6_10device_ptrIjEEEENSD_INSE_IsEEEENS6_16discard_iteratorINS6_11use_defaultEEESI_PmS8_NS6_8equal_toIjEEEE10hipError_tPvRmT2_T3_mT4_T5_T6_T7_T8_P12ihipStream_tbENKUlT_T0_E_clISt17integral_constantIbLb1EES16_EEDaS11_S12_EUlS11_E_NS1_11comp_targetILNS1_3genE4ELNS1_11target_archE910ELNS1_3gpuE8ELNS1_3repE0EEENS1_30default_config_static_selectorELNS0_4arch9wavefront6targetE1EEEvT1_,"axG",@progbits,_ZN7rocprim17ROCPRIM_400000_NS6detail17trampoline_kernelINS0_14default_configENS1_29reduce_by_key_config_selectorIjsN6thrust23THRUST_200600_302600_NS4plusIsEEEEZZNS1_33reduce_by_key_impl_wrapped_configILNS1_25lookback_scan_determinismE0ES3_S9_NS6_6detail15normal_iteratorINS6_10device_ptrIjEEEENSD_INSE_IsEEEENS6_16discard_iteratorINS6_11use_defaultEEESI_PmS8_NS6_8equal_toIjEEEE10hipError_tPvRmT2_T3_mT4_T5_T6_T7_T8_P12ihipStream_tbENKUlT_T0_E_clISt17integral_constantIbLb1EES16_EEDaS11_S12_EUlS11_E_NS1_11comp_targetILNS1_3genE4ELNS1_11target_archE910ELNS1_3gpuE8ELNS1_3repE0EEENS1_30default_config_static_selectorELNS0_4arch9wavefront6targetE1EEEvT1_,comdat
.Lfunc_end1068:
	.size	_ZN7rocprim17ROCPRIM_400000_NS6detail17trampoline_kernelINS0_14default_configENS1_29reduce_by_key_config_selectorIjsN6thrust23THRUST_200600_302600_NS4plusIsEEEEZZNS1_33reduce_by_key_impl_wrapped_configILNS1_25lookback_scan_determinismE0ES3_S9_NS6_6detail15normal_iteratorINS6_10device_ptrIjEEEENSD_INSE_IsEEEENS6_16discard_iteratorINS6_11use_defaultEEESI_PmS8_NS6_8equal_toIjEEEE10hipError_tPvRmT2_T3_mT4_T5_T6_T7_T8_P12ihipStream_tbENKUlT_T0_E_clISt17integral_constantIbLb1EES16_EEDaS11_S12_EUlS11_E_NS1_11comp_targetILNS1_3genE4ELNS1_11target_archE910ELNS1_3gpuE8ELNS1_3repE0EEENS1_30default_config_static_selectorELNS0_4arch9wavefront6targetE1EEEvT1_, .Lfunc_end1068-_ZN7rocprim17ROCPRIM_400000_NS6detail17trampoline_kernelINS0_14default_configENS1_29reduce_by_key_config_selectorIjsN6thrust23THRUST_200600_302600_NS4plusIsEEEEZZNS1_33reduce_by_key_impl_wrapped_configILNS1_25lookback_scan_determinismE0ES3_S9_NS6_6detail15normal_iteratorINS6_10device_ptrIjEEEENSD_INSE_IsEEEENS6_16discard_iteratorINS6_11use_defaultEEESI_PmS8_NS6_8equal_toIjEEEE10hipError_tPvRmT2_T3_mT4_T5_T6_T7_T8_P12ihipStream_tbENKUlT_T0_E_clISt17integral_constantIbLb1EES16_EEDaS11_S12_EUlS11_E_NS1_11comp_targetILNS1_3genE4ELNS1_11target_archE910ELNS1_3gpuE8ELNS1_3repE0EEENS1_30default_config_static_selectorELNS0_4arch9wavefront6targetE1EEEvT1_
                                        ; -- End function
	.section	.AMDGPU.csdata,"",@progbits
; Kernel info:
; codeLenInByte = 15536
; NumSgprs: 68
; NumVgprs: 87
; NumAgprs: 0
; TotalNumVgprs: 87
; ScratchSize: 0
; MemoryBound: 0
; FloatMode: 240
; IeeeMode: 1
; LDSByteSize: 15360 bytes/workgroup (compile time only)
; SGPRBlocks: 8
; VGPRBlocks: 10
; NumSGPRsForWavesPerEU: 68
; NumVGPRsForWavesPerEU: 87
; AccumOffset: 88
; Occupancy: 4
; WaveLimiterHint : 1
; COMPUTE_PGM_RSRC2:SCRATCH_EN: 0
; COMPUTE_PGM_RSRC2:USER_SGPR: 6
; COMPUTE_PGM_RSRC2:TRAP_HANDLER: 0
; COMPUTE_PGM_RSRC2:TGID_X_EN: 1
; COMPUTE_PGM_RSRC2:TGID_Y_EN: 0
; COMPUTE_PGM_RSRC2:TGID_Z_EN: 0
; COMPUTE_PGM_RSRC2:TIDIG_COMP_CNT: 0
; COMPUTE_PGM_RSRC3_GFX90A:ACCUM_OFFSET: 21
; COMPUTE_PGM_RSRC3_GFX90A:TG_SPLIT: 0
	.section	.text._ZN7rocprim17ROCPRIM_400000_NS6detail17trampoline_kernelINS0_14default_configENS1_29reduce_by_key_config_selectorIjsN6thrust23THRUST_200600_302600_NS4plusIsEEEEZZNS1_33reduce_by_key_impl_wrapped_configILNS1_25lookback_scan_determinismE0ES3_S9_NS6_6detail15normal_iteratorINS6_10device_ptrIjEEEENSD_INSE_IsEEEENS6_16discard_iteratorINS6_11use_defaultEEESI_PmS8_NS6_8equal_toIjEEEE10hipError_tPvRmT2_T3_mT4_T5_T6_T7_T8_P12ihipStream_tbENKUlT_T0_E_clISt17integral_constantIbLb1EES16_EEDaS11_S12_EUlS11_E_NS1_11comp_targetILNS1_3genE3ELNS1_11target_archE908ELNS1_3gpuE7ELNS1_3repE0EEENS1_30default_config_static_selectorELNS0_4arch9wavefront6targetE1EEEvT1_,"axG",@progbits,_ZN7rocprim17ROCPRIM_400000_NS6detail17trampoline_kernelINS0_14default_configENS1_29reduce_by_key_config_selectorIjsN6thrust23THRUST_200600_302600_NS4plusIsEEEEZZNS1_33reduce_by_key_impl_wrapped_configILNS1_25lookback_scan_determinismE0ES3_S9_NS6_6detail15normal_iteratorINS6_10device_ptrIjEEEENSD_INSE_IsEEEENS6_16discard_iteratorINS6_11use_defaultEEESI_PmS8_NS6_8equal_toIjEEEE10hipError_tPvRmT2_T3_mT4_T5_T6_T7_T8_P12ihipStream_tbENKUlT_T0_E_clISt17integral_constantIbLb1EES16_EEDaS11_S12_EUlS11_E_NS1_11comp_targetILNS1_3genE3ELNS1_11target_archE908ELNS1_3gpuE7ELNS1_3repE0EEENS1_30default_config_static_selectorELNS0_4arch9wavefront6targetE1EEEvT1_,comdat
	.protected	_ZN7rocprim17ROCPRIM_400000_NS6detail17trampoline_kernelINS0_14default_configENS1_29reduce_by_key_config_selectorIjsN6thrust23THRUST_200600_302600_NS4plusIsEEEEZZNS1_33reduce_by_key_impl_wrapped_configILNS1_25lookback_scan_determinismE0ES3_S9_NS6_6detail15normal_iteratorINS6_10device_ptrIjEEEENSD_INSE_IsEEEENS6_16discard_iteratorINS6_11use_defaultEEESI_PmS8_NS6_8equal_toIjEEEE10hipError_tPvRmT2_T3_mT4_T5_T6_T7_T8_P12ihipStream_tbENKUlT_T0_E_clISt17integral_constantIbLb1EES16_EEDaS11_S12_EUlS11_E_NS1_11comp_targetILNS1_3genE3ELNS1_11target_archE908ELNS1_3gpuE7ELNS1_3repE0EEENS1_30default_config_static_selectorELNS0_4arch9wavefront6targetE1EEEvT1_ ; -- Begin function _ZN7rocprim17ROCPRIM_400000_NS6detail17trampoline_kernelINS0_14default_configENS1_29reduce_by_key_config_selectorIjsN6thrust23THRUST_200600_302600_NS4plusIsEEEEZZNS1_33reduce_by_key_impl_wrapped_configILNS1_25lookback_scan_determinismE0ES3_S9_NS6_6detail15normal_iteratorINS6_10device_ptrIjEEEENSD_INSE_IsEEEENS6_16discard_iteratorINS6_11use_defaultEEESI_PmS8_NS6_8equal_toIjEEEE10hipError_tPvRmT2_T3_mT4_T5_T6_T7_T8_P12ihipStream_tbENKUlT_T0_E_clISt17integral_constantIbLb1EES16_EEDaS11_S12_EUlS11_E_NS1_11comp_targetILNS1_3genE3ELNS1_11target_archE908ELNS1_3gpuE7ELNS1_3repE0EEENS1_30default_config_static_selectorELNS0_4arch9wavefront6targetE1EEEvT1_
	.globl	_ZN7rocprim17ROCPRIM_400000_NS6detail17trampoline_kernelINS0_14default_configENS1_29reduce_by_key_config_selectorIjsN6thrust23THRUST_200600_302600_NS4plusIsEEEEZZNS1_33reduce_by_key_impl_wrapped_configILNS1_25lookback_scan_determinismE0ES3_S9_NS6_6detail15normal_iteratorINS6_10device_ptrIjEEEENSD_INSE_IsEEEENS6_16discard_iteratorINS6_11use_defaultEEESI_PmS8_NS6_8equal_toIjEEEE10hipError_tPvRmT2_T3_mT4_T5_T6_T7_T8_P12ihipStream_tbENKUlT_T0_E_clISt17integral_constantIbLb1EES16_EEDaS11_S12_EUlS11_E_NS1_11comp_targetILNS1_3genE3ELNS1_11target_archE908ELNS1_3gpuE7ELNS1_3repE0EEENS1_30default_config_static_selectorELNS0_4arch9wavefront6targetE1EEEvT1_
	.p2align	8
	.type	_ZN7rocprim17ROCPRIM_400000_NS6detail17trampoline_kernelINS0_14default_configENS1_29reduce_by_key_config_selectorIjsN6thrust23THRUST_200600_302600_NS4plusIsEEEEZZNS1_33reduce_by_key_impl_wrapped_configILNS1_25lookback_scan_determinismE0ES3_S9_NS6_6detail15normal_iteratorINS6_10device_ptrIjEEEENSD_INSE_IsEEEENS6_16discard_iteratorINS6_11use_defaultEEESI_PmS8_NS6_8equal_toIjEEEE10hipError_tPvRmT2_T3_mT4_T5_T6_T7_T8_P12ihipStream_tbENKUlT_T0_E_clISt17integral_constantIbLb1EES16_EEDaS11_S12_EUlS11_E_NS1_11comp_targetILNS1_3genE3ELNS1_11target_archE908ELNS1_3gpuE7ELNS1_3repE0EEENS1_30default_config_static_selectorELNS0_4arch9wavefront6targetE1EEEvT1_,@function
_ZN7rocprim17ROCPRIM_400000_NS6detail17trampoline_kernelINS0_14default_configENS1_29reduce_by_key_config_selectorIjsN6thrust23THRUST_200600_302600_NS4plusIsEEEEZZNS1_33reduce_by_key_impl_wrapped_configILNS1_25lookback_scan_determinismE0ES3_S9_NS6_6detail15normal_iteratorINS6_10device_ptrIjEEEENSD_INSE_IsEEEENS6_16discard_iteratorINS6_11use_defaultEEESI_PmS8_NS6_8equal_toIjEEEE10hipError_tPvRmT2_T3_mT4_T5_T6_T7_T8_P12ihipStream_tbENKUlT_T0_E_clISt17integral_constantIbLb1EES16_EEDaS11_S12_EUlS11_E_NS1_11comp_targetILNS1_3genE3ELNS1_11target_archE908ELNS1_3gpuE7ELNS1_3repE0EEENS1_30default_config_static_selectorELNS0_4arch9wavefront6targetE1EEEvT1_: ; @_ZN7rocprim17ROCPRIM_400000_NS6detail17trampoline_kernelINS0_14default_configENS1_29reduce_by_key_config_selectorIjsN6thrust23THRUST_200600_302600_NS4plusIsEEEEZZNS1_33reduce_by_key_impl_wrapped_configILNS1_25lookback_scan_determinismE0ES3_S9_NS6_6detail15normal_iteratorINS6_10device_ptrIjEEEENSD_INSE_IsEEEENS6_16discard_iteratorINS6_11use_defaultEEESI_PmS8_NS6_8equal_toIjEEEE10hipError_tPvRmT2_T3_mT4_T5_T6_T7_T8_P12ihipStream_tbENKUlT_T0_E_clISt17integral_constantIbLb1EES16_EEDaS11_S12_EUlS11_E_NS1_11comp_targetILNS1_3genE3ELNS1_11target_archE908ELNS1_3gpuE7ELNS1_3repE0EEENS1_30default_config_static_selectorELNS0_4arch9wavefront6targetE1EEEvT1_
; %bb.0:
	.section	.rodata,"a",@progbits
	.p2align	6, 0x0
	.amdhsa_kernel _ZN7rocprim17ROCPRIM_400000_NS6detail17trampoline_kernelINS0_14default_configENS1_29reduce_by_key_config_selectorIjsN6thrust23THRUST_200600_302600_NS4plusIsEEEEZZNS1_33reduce_by_key_impl_wrapped_configILNS1_25lookback_scan_determinismE0ES3_S9_NS6_6detail15normal_iteratorINS6_10device_ptrIjEEEENSD_INSE_IsEEEENS6_16discard_iteratorINS6_11use_defaultEEESI_PmS8_NS6_8equal_toIjEEEE10hipError_tPvRmT2_T3_mT4_T5_T6_T7_T8_P12ihipStream_tbENKUlT_T0_E_clISt17integral_constantIbLb1EES16_EEDaS11_S12_EUlS11_E_NS1_11comp_targetILNS1_3genE3ELNS1_11target_archE908ELNS1_3gpuE7ELNS1_3repE0EEENS1_30default_config_static_selectorELNS0_4arch9wavefront6targetE1EEEvT1_
		.amdhsa_group_segment_fixed_size 0
		.amdhsa_private_segment_fixed_size 0
		.amdhsa_kernarg_size 128
		.amdhsa_user_sgpr_count 6
		.amdhsa_user_sgpr_private_segment_buffer 1
		.amdhsa_user_sgpr_dispatch_ptr 0
		.amdhsa_user_sgpr_queue_ptr 0
		.amdhsa_user_sgpr_kernarg_segment_ptr 1
		.amdhsa_user_sgpr_dispatch_id 0
		.amdhsa_user_sgpr_flat_scratch_init 0
		.amdhsa_user_sgpr_kernarg_preload_length 0
		.amdhsa_user_sgpr_kernarg_preload_offset 0
		.amdhsa_user_sgpr_private_segment_size 0
		.amdhsa_uses_dynamic_stack 0
		.amdhsa_system_sgpr_private_segment_wavefront_offset 0
		.amdhsa_system_sgpr_workgroup_id_x 1
		.amdhsa_system_sgpr_workgroup_id_y 0
		.amdhsa_system_sgpr_workgroup_id_z 0
		.amdhsa_system_sgpr_workgroup_info 0
		.amdhsa_system_vgpr_workitem_id 0
		.amdhsa_next_free_vgpr 1
		.amdhsa_next_free_sgpr 0
		.amdhsa_accum_offset 4
		.amdhsa_reserve_vcc 0
		.amdhsa_reserve_flat_scratch 0
		.amdhsa_float_round_mode_32 0
		.amdhsa_float_round_mode_16_64 0
		.amdhsa_float_denorm_mode_32 3
		.amdhsa_float_denorm_mode_16_64 3
		.amdhsa_dx10_clamp 1
		.amdhsa_ieee_mode 1
		.amdhsa_fp16_overflow 0
		.amdhsa_tg_split 0
		.amdhsa_exception_fp_ieee_invalid_op 0
		.amdhsa_exception_fp_denorm_src 0
		.amdhsa_exception_fp_ieee_div_zero 0
		.amdhsa_exception_fp_ieee_overflow 0
		.amdhsa_exception_fp_ieee_underflow 0
		.amdhsa_exception_fp_ieee_inexact 0
		.amdhsa_exception_int_div_zero 0
	.end_amdhsa_kernel
	.section	.text._ZN7rocprim17ROCPRIM_400000_NS6detail17trampoline_kernelINS0_14default_configENS1_29reduce_by_key_config_selectorIjsN6thrust23THRUST_200600_302600_NS4plusIsEEEEZZNS1_33reduce_by_key_impl_wrapped_configILNS1_25lookback_scan_determinismE0ES3_S9_NS6_6detail15normal_iteratorINS6_10device_ptrIjEEEENSD_INSE_IsEEEENS6_16discard_iteratorINS6_11use_defaultEEESI_PmS8_NS6_8equal_toIjEEEE10hipError_tPvRmT2_T3_mT4_T5_T6_T7_T8_P12ihipStream_tbENKUlT_T0_E_clISt17integral_constantIbLb1EES16_EEDaS11_S12_EUlS11_E_NS1_11comp_targetILNS1_3genE3ELNS1_11target_archE908ELNS1_3gpuE7ELNS1_3repE0EEENS1_30default_config_static_selectorELNS0_4arch9wavefront6targetE1EEEvT1_,"axG",@progbits,_ZN7rocprim17ROCPRIM_400000_NS6detail17trampoline_kernelINS0_14default_configENS1_29reduce_by_key_config_selectorIjsN6thrust23THRUST_200600_302600_NS4plusIsEEEEZZNS1_33reduce_by_key_impl_wrapped_configILNS1_25lookback_scan_determinismE0ES3_S9_NS6_6detail15normal_iteratorINS6_10device_ptrIjEEEENSD_INSE_IsEEEENS6_16discard_iteratorINS6_11use_defaultEEESI_PmS8_NS6_8equal_toIjEEEE10hipError_tPvRmT2_T3_mT4_T5_T6_T7_T8_P12ihipStream_tbENKUlT_T0_E_clISt17integral_constantIbLb1EES16_EEDaS11_S12_EUlS11_E_NS1_11comp_targetILNS1_3genE3ELNS1_11target_archE908ELNS1_3gpuE7ELNS1_3repE0EEENS1_30default_config_static_selectorELNS0_4arch9wavefront6targetE1EEEvT1_,comdat
.Lfunc_end1069:
	.size	_ZN7rocprim17ROCPRIM_400000_NS6detail17trampoline_kernelINS0_14default_configENS1_29reduce_by_key_config_selectorIjsN6thrust23THRUST_200600_302600_NS4plusIsEEEEZZNS1_33reduce_by_key_impl_wrapped_configILNS1_25lookback_scan_determinismE0ES3_S9_NS6_6detail15normal_iteratorINS6_10device_ptrIjEEEENSD_INSE_IsEEEENS6_16discard_iteratorINS6_11use_defaultEEESI_PmS8_NS6_8equal_toIjEEEE10hipError_tPvRmT2_T3_mT4_T5_T6_T7_T8_P12ihipStream_tbENKUlT_T0_E_clISt17integral_constantIbLb1EES16_EEDaS11_S12_EUlS11_E_NS1_11comp_targetILNS1_3genE3ELNS1_11target_archE908ELNS1_3gpuE7ELNS1_3repE0EEENS1_30default_config_static_selectorELNS0_4arch9wavefront6targetE1EEEvT1_, .Lfunc_end1069-_ZN7rocprim17ROCPRIM_400000_NS6detail17trampoline_kernelINS0_14default_configENS1_29reduce_by_key_config_selectorIjsN6thrust23THRUST_200600_302600_NS4plusIsEEEEZZNS1_33reduce_by_key_impl_wrapped_configILNS1_25lookback_scan_determinismE0ES3_S9_NS6_6detail15normal_iteratorINS6_10device_ptrIjEEEENSD_INSE_IsEEEENS6_16discard_iteratorINS6_11use_defaultEEESI_PmS8_NS6_8equal_toIjEEEE10hipError_tPvRmT2_T3_mT4_T5_T6_T7_T8_P12ihipStream_tbENKUlT_T0_E_clISt17integral_constantIbLb1EES16_EEDaS11_S12_EUlS11_E_NS1_11comp_targetILNS1_3genE3ELNS1_11target_archE908ELNS1_3gpuE7ELNS1_3repE0EEENS1_30default_config_static_selectorELNS0_4arch9wavefront6targetE1EEEvT1_
                                        ; -- End function
	.section	.AMDGPU.csdata,"",@progbits
; Kernel info:
; codeLenInByte = 0
; NumSgprs: 4
; NumVgprs: 0
; NumAgprs: 0
; TotalNumVgprs: 0
; ScratchSize: 0
; MemoryBound: 0
; FloatMode: 240
; IeeeMode: 1
; LDSByteSize: 0 bytes/workgroup (compile time only)
; SGPRBlocks: 0
; VGPRBlocks: 0
; NumSGPRsForWavesPerEU: 4
; NumVGPRsForWavesPerEU: 1
; AccumOffset: 4
; Occupancy: 8
; WaveLimiterHint : 0
; COMPUTE_PGM_RSRC2:SCRATCH_EN: 0
; COMPUTE_PGM_RSRC2:USER_SGPR: 6
; COMPUTE_PGM_RSRC2:TRAP_HANDLER: 0
; COMPUTE_PGM_RSRC2:TGID_X_EN: 1
; COMPUTE_PGM_RSRC2:TGID_Y_EN: 0
; COMPUTE_PGM_RSRC2:TGID_Z_EN: 0
; COMPUTE_PGM_RSRC2:TIDIG_COMP_CNT: 0
; COMPUTE_PGM_RSRC3_GFX90A:ACCUM_OFFSET: 0
; COMPUTE_PGM_RSRC3_GFX90A:TG_SPLIT: 0
	.section	.text._ZN7rocprim17ROCPRIM_400000_NS6detail17trampoline_kernelINS0_14default_configENS1_29reduce_by_key_config_selectorIjsN6thrust23THRUST_200600_302600_NS4plusIsEEEEZZNS1_33reduce_by_key_impl_wrapped_configILNS1_25lookback_scan_determinismE0ES3_S9_NS6_6detail15normal_iteratorINS6_10device_ptrIjEEEENSD_INSE_IsEEEENS6_16discard_iteratorINS6_11use_defaultEEESI_PmS8_NS6_8equal_toIjEEEE10hipError_tPvRmT2_T3_mT4_T5_T6_T7_T8_P12ihipStream_tbENKUlT_T0_E_clISt17integral_constantIbLb1EES16_EEDaS11_S12_EUlS11_E_NS1_11comp_targetILNS1_3genE2ELNS1_11target_archE906ELNS1_3gpuE6ELNS1_3repE0EEENS1_30default_config_static_selectorELNS0_4arch9wavefront6targetE1EEEvT1_,"axG",@progbits,_ZN7rocprim17ROCPRIM_400000_NS6detail17trampoline_kernelINS0_14default_configENS1_29reduce_by_key_config_selectorIjsN6thrust23THRUST_200600_302600_NS4plusIsEEEEZZNS1_33reduce_by_key_impl_wrapped_configILNS1_25lookback_scan_determinismE0ES3_S9_NS6_6detail15normal_iteratorINS6_10device_ptrIjEEEENSD_INSE_IsEEEENS6_16discard_iteratorINS6_11use_defaultEEESI_PmS8_NS6_8equal_toIjEEEE10hipError_tPvRmT2_T3_mT4_T5_T6_T7_T8_P12ihipStream_tbENKUlT_T0_E_clISt17integral_constantIbLb1EES16_EEDaS11_S12_EUlS11_E_NS1_11comp_targetILNS1_3genE2ELNS1_11target_archE906ELNS1_3gpuE6ELNS1_3repE0EEENS1_30default_config_static_selectorELNS0_4arch9wavefront6targetE1EEEvT1_,comdat
	.protected	_ZN7rocprim17ROCPRIM_400000_NS6detail17trampoline_kernelINS0_14default_configENS1_29reduce_by_key_config_selectorIjsN6thrust23THRUST_200600_302600_NS4plusIsEEEEZZNS1_33reduce_by_key_impl_wrapped_configILNS1_25lookback_scan_determinismE0ES3_S9_NS6_6detail15normal_iteratorINS6_10device_ptrIjEEEENSD_INSE_IsEEEENS6_16discard_iteratorINS6_11use_defaultEEESI_PmS8_NS6_8equal_toIjEEEE10hipError_tPvRmT2_T3_mT4_T5_T6_T7_T8_P12ihipStream_tbENKUlT_T0_E_clISt17integral_constantIbLb1EES16_EEDaS11_S12_EUlS11_E_NS1_11comp_targetILNS1_3genE2ELNS1_11target_archE906ELNS1_3gpuE6ELNS1_3repE0EEENS1_30default_config_static_selectorELNS0_4arch9wavefront6targetE1EEEvT1_ ; -- Begin function _ZN7rocprim17ROCPRIM_400000_NS6detail17trampoline_kernelINS0_14default_configENS1_29reduce_by_key_config_selectorIjsN6thrust23THRUST_200600_302600_NS4plusIsEEEEZZNS1_33reduce_by_key_impl_wrapped_configILNS1_25lookback_scan_determinismE0ES3_S9_NS6_6detail15normal_iteratorINS6_10device_ptrIjEEEENSD_INSE_IsEEEENS6_16discard_iteratorINS6_11use_defaultEEESI_PmS8_NS6_8equal_toIjEEEE10hipError_tPvRmT2_T3_mT4_T5_T6_T7_T8_P12ihipStream_tbENKUlT_T0_E_clISt17integral_constantIbLb1EES16_EEDaS11_S12_EUlS11_E_NS1_11comp_targetILNS1_3genE2ELNS1_11target_archE906ELNS1_3gpuE6ELNS1_3repE0EEENS1_30default_config_static_selectorELNS0_4arch9wavefront6targetE1EEEvT1_
	.globl	_ZN7rocprim17ROCPRIM_400000_NS6detail17trampoline_kernelINS0_14default_configENS1_29reduce_by_key_config_selectorIjsN6thrust23THRUST_200600_302600_NS4plusIsEEEEZZNS1_33reduce_by_key_impl_wrapped_configILNS1_25lookback_scan_determinismE0ES3_S9_NS6_6detail15normal_iteratorINS6_10device_ptrIjEEEENSD_INSE_IsEEEENS6_16discard_iteratorINS6_11use_defaultEEESI_PmS8_NS6_8equal_toIjEEEE10hipError_tPvRmT2_T3_mT4_T5_T6_T7_T8_P12ihipStream_tbENKUlT_T0_E_clISt17integral_constantIbLb1EES16_EEDaS11_S12_EUlS11_E_NS1_11comp_targetILNS1_3genE2ELNS1_11target_archE906ELNS1_3gpuE6ELNS1_3repE0EEENS1_30default_config_static_selectorELNS0_4arch9wavefront6targetE1EEEvT1_
	.p2align	8
	.type	_ZN7rocprim17ROCPRIM_400000_NS6detail17trampoline_kernelINS0_14default_configENS1_29reduce_by_key_config_selectorIjsN6thrust23THRUST_200600_302600_NS4plusIsEEEEZZNS1_33reduce_by_key_impl_wrapped_configILNS1_25lookback_scan_determinismE0ES3_S9_NS6_6detail15normal_iteratorINS6_10device_ptrIjEEEENSD_INSE_IsEEEENS6_16discard_iteratorINS6_11use_defaultEEESI_PmS8_NS6_8equal_toIjEEEE10hipError_tPvRmT2_T3_mT4_T5_T6_T7_T8_P12ihipStream_tbENKUlT_T0_E_clISt17integral_constantIbLb1EES16_EEDaS11_S12_EUlS11_E_NS1_11comp_targetILNS1_3genE2ELNS1_11target_archE906ELNS1_3gpuE6ELNS1_3repE0EEENS1_30default_config_static_selectorELNS0_4arch9wavefront6targetE1EEEvT1_,@function
_ZN7rocprim17ROCPRIM_400000_NS6detail17trampoline_kernelINS0_14default_configENS1_29reduce_by_key_config_selectorIjsN6thrust23THRUST_200600_302600_NS4plusIsEEEEZZNS1_33reduce_by_key_impl_wrapped_configILNS1_25lookback_scan_determinismE0ES3_S9_NS6_6detail15normal_iteratorINS6_10device_ptrIjEEEENSD_INSE_IsEEEENS6_16discard_iteratorINS6_11use_defaultEEESI_PmS8_NS6_8equal_toIjEEEE10hipError_tPvRmT2_T3_mT4_T5_T6_T7_T8_P12ihipStream_tbENKUlT_T0_E_clISt17integral_constantIbLb1EES16_EEDaS11_S12_EUlS11_E_NS1_11comp_targetILNS1_3genE2ELNS1_11target_archE906ELNS1_3gpuE6ELNS1_3repE0EEENS1_30default_config_static_selectorELNS0_4arch9wavefront6targetE1EEEvT1_: ; @_ZN7rocprim17ROCPRIM_400000_NS6detail17trampoline_kernelINS0_14default_configENS1_29reduce_by_key_config_selectorIjsN6thrust23THRUST_200600_302600_NS4plusIsEEEEZZNS1_33reduce_by_key_impl_wrapped_configILNS1_25lookback_scan_determinismE0ES3_S9_NS6_6detail15normal_iteratorINS6_10device_ptrIjEEEENSD_INSE_IsEEEENS6_16discard_iteratorINS6_11use_defaultEEESI_PmS8_NS6_8equal_toIjEEEE10hipError_tPvRmT2_T3_mT4_T5_T6_T7_T8_P12ihipStream_tbENKUlT_T0_E_clISt17integral_constantIbLb1EES16_EEDaS11_S12_EUlS11_E_NS1_11comp_targetILNS1_3genE2ELNS1_11target_archE906ELNS1_3gpuE6ELNS1_3repE0EEENS1_30default_config_static_selectorELNS0_4arch9wavefront6targetE1EEEvT1_
; %bb.0:
	.section	.rodata,"a",@progbits
	.p2align	6, 0x0
	.amdhsa_kernel _ZN7rocprim17ROCPRIM_400000_NS6detail17trampoline_kernelINS0_14default_configENS1_29reduce_by_key_config_selectorIjsN6thrust23THRUST_200600_302600_NS4plusIsEEEEZZNS1_33reduce_by_key_impl_wrapped_configILNS1_25lookback_scan_determinismE0ES3_S9_NS6_6detail15normal_iteratorINS6_10device_ptrIjEEEENSD_INSE_IsEEEENS6_16discard_iteratorINS6_11use_defaultEEESI_PmS8_NS6_8equal_toIjEEEE10hipError_tPvRmT2_T3_mT4_T5_T6_T7_T8_P12ihipStream_tbENKUlT_T0_E_clISt17integral_constantIbLb1EES16_EEDaS11_S12_EUlS11_E_NS1_11comp_targetILNS1_3genE2ELNS1_11target_archE906ELNS1_3gpuE6ELNS1_3repE0EEENS1_30default_config_static_selectorELNS0_4arch9wavefront6targetE1EEEvT1_
		.amdhsa_group_segment_fixed_size 0
		.amdhsa_private_segment_fixed_size 0
		.amdhsa_kernarg_size 128
		.amdhsa_user_sgpr_count 6
		.amdhsa_user_sgpr_private_segment_buffer 1
		.amdhsa_user_sgpr_dispatch_ptr 0
		.amdhsa_user_sgpr_queue_ptr 0
		.amdhsa_user_sgpr_kernarg_segment_ptr 1
		.amdhsa_user_sgpr_dispatch_id 0
		.amdhsa_user_sgpr_flat_scratch_init 0
		.amdhsa_user_sgpr_kernarg_preload_length 0
		.amdhsa_user_sgpr_kernarg_preload_offset 0
		.amdhsa_user_sgpr_private_segment_size 0
		.amdhsa_uses_dynamic_stack 0
		.amdhsa_system_sgpr_private_segment_wavefront_offset 0
		.amdhsa_system_sgpr_workgroup_id_x 1
		.amdhsa_system_sgpr_workgroup_id_y 0
		.amdhsa_system_sgpr_workgroup_id_z 0
		.amdhsa_system_sgpr_workgroup_info 0
		.amdhsa_system_vgpr_workitem_id 0
		.amdhsa_next_free_vgpr 1
		.amdhsa_next_free_sgpr 0
		.amdhsa_accum_offset 4
		.amdhsa_reserve_vcc 0
		.amdhsa_reserve_flat_scratch 0
		.amdhsa_float_round_mode_32 0
		.amdhsa_float_round_mode_16_64 0
		.amdhsa_float_denorm_mode_32 3
		.amdhsa_float_denorm_mode_16_64 3
		.amdhsa_dx10_clamp 1
		.amdhsa_ieee_mode 1
		.amdhsa_fp16_overflow 0
		.amdhsa_tg_split 0
		.amdhsa_exception_fp_ieee_invalid_op 0
		.amdhsa_exception_fp_denorm_src 0
		.amdhsa_exception_fp_ieee_div_zero 0
		.amdhsa_exception_fp_ieee_overflow 0
		.amdhsa_exception_fp_ieee_underflow 0
		.amdhsa_exception_fp_ieee_inexact 0
		.amdhsa_exception_int_div_zero 0
	.end_amdhsa_kernel
	.section	.text._ZN7rocprim17ROCPRIM_400000_NS6detail17trampoline_kernelINS0_14default_configENS1_29reduce_by_key_config_selectorIjsN6thrust23THRUST_200600_302600_NS4plusIsEEEEZZNS1_33reduce_by_key_impl_wrapped_configILNS1_25lookback_scan_determinismE0ES3_S9_NS6_6detail15normal_iteratorINS6_10device_ptrIjEEEENSD_INSE_IsEEEENS6_16discard_iteratorINS6_11use_defaultEEESI_PmS8_NS6_8equal_toIjEEEE10hipError_tPvRmT2_T3_mT4_T5_T6_T7_T8_P12ihipStream_tbENKUlT_T0_E_clISt17integral_constantIbLb1EES16_EEDaS11_S12_EUlS11_E_NS1_11comp_targetILNS1_3genE2ELNS1_11target_archE906ELNS1_3gpuE6ELNS1_3repE0EEENS1_30default_config_static_selectorELNS0_4arch9wavefront6targetE1EEEvT1_,"axG",@progbits,_ZN7rocprim17ROCPRIM_400000_NS6detail17trampoline_kernelINS0_14default_configENS1_29reduce_by_key_config_selectorIjsN6thrust23THRUST_200600_302600_NS4plusIsEEEEZZNS1_33reduce_by_key_impl_wrapped_configILNS1_25lookback_scan_determinismE0ES3_S9_NS6_6detail15normal_iteratorINS6_10device_ptrIjEEEENSD_INSE_IsEEEENS6_16discard_iteratorINS6_11use_defaultEEESI_PmS8_NS6_8equal_toIjEEEE10hipError_tPvRmT2_T3_mT4_T5_T6_T7_T8_P12ihipStream_tbENKUlT_T0_E_clISt17integral_constantIbLb1EES16_EEDaS11_S12_EUlS11_E_NS1_11comp_targetILNS1_3genE2ELNS1_11target_archE906ELNS1_3gpuE6ELNS1_3repE0EEENS1_30default_config_static_selectorELNS0_4arch9wavefront6targetE1EEEvT1_,comdat
.Lfunc_end1070:
	.size	_ZN7rocprim17ROCPRIM_400000_NS6detail17trampoline_kernelINS0_14default_configENS1_29reduce_by_key_config_selectorIjsN6thrust23THRUST_200600_302600_NS4plusIsEEEEZZNS1_33reduce_by_key_impl_wrapped_configILNS1_25lookback_scan_determinismE0ES3_S9_NS6_6detail15normal_iteratorINS6_10device_ptrIjEEEENSD_INSE_IsEEEENS6_16discard_iteratorINS6_11use_defaultEEESI_PmS8_NS6_8equal_toIjEEEE10hipError_tPvRmT2_T3_mT4_T5_T6_T7_T8_P12ihipStream_tbENKUlT_T0_E_clISt17integral_constantIbLb1EES16_EEDaS11_S12_EUlS11_E_NS1_11comp_targetILNS1_3genE2ELNS1_11target_archE906ELNS1_3gpuE6ELNS1_3repE0EEENS1_30default_config_static_selectorELNS0_4arch9wavefront6targetE1EEEvT1_, .Lfunc_end1070-_ZN7rocprim17ROCPRIM_400000_NS6detail17trampoline_kernelINS0_14default_configENS1_29reduce_by_key_config_selectorIjsN6thrust23THRUST_200600_302600_NS4plusIsEEEEZZNS1_33reduce_by_key_impl_wrapped_configILNS1_25lookback_scan_determinismE0ES3_S9_NS6_6detail15normal_iteratorINS6_10device_ptrIjEEEENSD_INSE_IsEEEENS6_16discard_iteratorINS6_11use_defaultEEESI_PmS8_NS6_8equal_toIjEEEE10hipError_tPvRmT2_T3_mT4_T5_T6_T7_T8_P12ihipStream_tbENKUlT_T0_E_clISt17integral_constantIbLb1EES16_EEDaS11_S12_EUlS11_E_NS1_11comp_targetILNS1_3genE2ELNS1_11target_archE906ELNS1_3gpuE6ELNS1_3repE0EEENS1_30default_config_static_selectorELNS0_4arch9wavefront6targetE1EEEvT1_
                                        ; -- End function
	.section	.AMDGPU.csdata,"",@progbits
; Kernel info:
; codeLenInByte = 0
; NumSgprs: 4
; NumVgprs: 0
; NumAgprs: 0
; TotalNumVgprs: 0
; ScratchSize: 0
; MemoryBound: 0
; FloatMode: 240
; IeeeMode: 1
; LDSByteSize: 0 bytes/workgroup (compile time only)
; SGPRBlocks: 0
; VGPRBlocks: 0
; NumSGPRsForWavesPerEU: 4
; NumVGPRsForWavesPerEU: 1
; AccumOffset: 4
; Occupancy: 8
; WaveLimiterHint : 0
; COMPUTE_PGM_RSRC2:SCRATCH_EN: 0
; COMPUTE_PGM_RSRC2:USER_SGPR: 6
; COMPUTE_PGM_RSRC2:TRAP_HANDLER: 0
; COMPUTE_PGM_RSRC2:TGID_X_EN: 1
; COMPUTE_PGM_RSRC2:TGID_Y_EN: 0
; COMPUTE_PGM_RSRC2:TGID_Z_EN: 0
; COMPUTE_PGM_RSRC2:TIDIG_COMP_CNT: 0
; COMPUTE_PGM_RSRC3_GFX90A:ACCUM_OFFSET: 0
; COMPUTE_PGM_RSRC3_GFX90A:TG_SPLIT: 0
	.section	.text._ZN7rocprim17ROCPRIM_400000_NS6detail17trampoline_kernelINS0_14default_configENS1_29reduce_by_key_config_selectorIjsN6thrust23THRUST_200600_302600_NS4plusIsEEEEZZNS1_33reduce_by_key_impl_wrapped_configILNS1_25lookback_scan_determinismE0ES3_S9_NS6_6detail15normal_iteratorINS6_10device_ptrIjEEEENSD_INSE_IsEEEENS6_16discard_iteratorINS6_11use_defaultEEESI_PmS8_NS6_8equal_toIjEEEE10hipError_tPvRmT2_T3_mT4_T5_T6_T7_T8_P12ihipStream_tbENKUlT_T0_E_clISt17integral_constantIbLb1EES16_EEDaS11_S12_EUlS11_E_NS1_11comp_targetILNS1_3genE10ELNS1_11target_archE1201ELNS1_3gpuE5ELNS1_3repE0EEENS1_30default_config_static_selectorELNS0_4arch9wavefront6targetE1EEEvT1_,"axG",@progbits,_ZN7rocprim17ROCPRIM_400000_NS6detail17trampoline_kernelINS0_14default_configENS1_29reduce_by_key_config_selectorIjsN6thrust23THRUST_200600_302600_NS4plusIsEEEEZZNS1_33reduce_by_key_impl_wrapped_configILNS1_25lookback_scan_determinismE0ES3_S9_NS6_6detail15normal_iteratorINS6_10device_ptrIjEEEENSD_INSE_IsEEEENS6_16discard_iteratorINS6_11use_defaultEEESI_PmS8_NS6_8equal_toIjEEEE10hipError_tPvRmT2_T3_mT4_T5_T6_T7_T8_P12ihipStream_tbENKUlT_T0_E_clISt17integral_constantIbLb1EES16_EEDaS11_S12_EUlS11_E_NS1_11comp_targetILNS1_3genE10ELNS1_11target_archE1201ELNS1_3gpuE5ELNS1_3repE0EEENS1_30default_config_static_selectorELNS0_4arch9wavefront6targetE1EEEvT1_,comdat
	.protected	_ZN7rocprim17ROCPRIM_400000_NS6detail17trampoline_kernelINS0_14default_configENS1_29reduce_by_key_config_selectorIjsN6thrust23THRUST_200600_302600_NS4plusIsEEEEZZNS1_33reduce_by_key_impl_wrapped_configILNS1_25lookback_scan_determinismE0ES3_S9_NS6_6detail15normal_iteratorINS6_10device_ptrIjEEEENSD_INSE_IsEEEENS6_16discard_iteratorINS6_11use_defaultEEESI_PmS8_NS6_8equal_toIjEEEE10hipError_tPvRmT2_T3_mT4_T5_T6_T7_T8_P12ihipStream_tbENKUlT_T0_E_clISt17integral_constantIbLb1EES16_EEDaS11_S12_EUlS11_E_NS1_11comp_targetILNS1_3genE10ELNS1_11target_archE1201ELNS1_3gpuE5ELNS1_3repE0EEENS1_30default_config_static_selectorELNS0_4arch9wavefront6targetE1EEEvT1_ ; -- Begin function _ZN7rocprim17ROCPRIM_400000_NS6detail17trampoline_kernelINS0_14default_configENS1_29reduce_by_key_config_selectorIjsN6thrust23THRUST_200600_302600_NS4plusIsEEEEZZNS1_33reduce_by_key_impl_wrapped_configILNS1_25lookback_scan_determinismE0ES3_S9_NS6_6detail15normal_iteratorINS6_10device_ptrIjEEEENSD_INSE_IsEEEENS6_16discard_iteratorINS6_11use_defaultEEESI_PmS8_NS6_8equal_toIjEEEE10hipError_tPvRmT2_T3_mT4_T5_T6_T7_T8_P12ihipStream_tbENKUlT_T0_E_clISt17integral_constantIbLb1EES16_EEDaS11_S12_EUlS11_E_NS1_11comp_targetILNS1_3genE10ELNS1_11target_archE1201ELNS1_3gpuE5ELNS1_3repE0EEENS1_30default_config_static_selectorELNS0_4arch9wavefront6targetE1EEEvT1_
	.globl	_ZN7rocprim17ROCPRIM_400000_NS6detail17trampoline_kernelINS0_14default_configENS1_29reduce_by_key_config_selectorIjsN6thrust23THRUST_200600_302600_NS4plusIsEEEEZZNS1_33reduce_by_key_impl_wrapped_configILNS1_25lookback_scan_determinismE0ES3_S9_NS6_6detail15normal_iteratorINS6_10device_ptrIjEEEENSD_INSE_IsEEEENS6_16discard_iteratorINS6_11use_defaultEEESI_PmS8_NS6_8equal_toIjEEEE10hipError_tPvRmT2_T3_mT4_T5_T6_T7_T8_P12ihipStream_tbENKUlT_T0_E_clISt17integral_constantIbLb1EES16_EEDaS11_S12_EUlS11_E_NS1_11comp_targetILNS1_3genE10ELNS1_11target_archE1201ELNS1_3gpuE5ELNS1_3repE0EEENS1_30default_config_static_selectorELNS0_4arch9wavefront6targetE1EEEvT1_
	.p2align	8
	.type	_ZN7rocprim17ROCPRIM_400000_NS6detail17trampoline_kernelINS0_14default_configENS1_29reduce_by_key_config_selectorIjsN6thrust23THRUST_200600_302600_NS4plusIsEEEEZZNS1_33reduce_by_key_impl_wrapped_configILNS1_25lookback_scan_determinismE0ES3_S9_NS6_6detail15normal_iteratorINS6_10device_ptrIjEEEENSD_INSE_IsEEEENS6_16discard_iteratorINS6_11use_defaultEEESI_PmS8_NS6_8equal_toIjEEEE10hipError_tPvRmT2_T3_mT4_T5_T6_T7_T8_P12ihipStream_tbENKUlT_T0_E_clISt17integral_constantIbLb1EES16_EEDaS11_S12_EUlS11_E_NS1_11comp_targetILNS1_3genE10ELNS1_11target_archE1201ELNS1_3gpuE5ELNS1_3repE0EEENS1_30default_config_static_selectorELNS0_4arch9wavefront6targetE1EEEvT1_,@function
_ZN7rocprim17ROCPRIM_400000_NS6detail17trampoline_kernelINS0_14default_configENS1_29reduce_by_key_config_selectorIjsN6thrust23THRUST_200600_302600_NS4plusIsEEEEZZNS1_33reduce_by_key_impl_wrapped_configILNS1_25lookback_scan_determinismE0ES3_S9_NS6_6detail15normal_iteratorINS6_10device_ptrIjEEEENSD_INSE_IsEEEENS6_16discard_iteratorINS6_11use_defaultEEESI_PmS8_NS6_8equal_toIjEEEE10hipError_tPvRmT2_T3_mT4_T5_T6_T7_T8_P12ihipStream_tbENKUlT_T0_E_clISt17integral_constantIbLb1EES16_EEDaS11_S12_EUlS11_E_NS1_11comp_targetILNS1_3genE10ELNS1_11target_archE1201ELNS1_3gpuE5ELNS1_3repE0EEENS1_30default_config_static_selectorELNS0_4arch9wavefront6targetE1EEEvT1_: ; @_ZN7rocprim17ROCPRIM_400000_NS6detail17trampoline_kernelINS0_14default_configENS1_29reduce_by_key_config_selectorIjsN6thrust23THRUST_200600_302600_NS4plusIsEEEEZZNS1_33reduce_by_key_impl_wrapped_configILNS1_25lookback_scan_determinismE0ES3_S9_NS6_6detail15normal_iteratorINS6_10device_ptrIjEEEENSD_INSE_IsEEEENS6_16discard_iteratorINS6_11use_defaultEEESI_PmS8_NS6_8equal_toIjEEEE10hipError_tPvRmT2_T3_mT4_T5_T6_T7_T8_P12ihipStream_tbENKUlT_T0_E_clISt17integral_constantIbLb1EES16_EEDaS11_S12_EUlS11_E_NS1_11comp_targetILNS1_3genE10ELNS1_11target_archE1201ELNS1_3gpuE5ELNS1_3repE0EEENS1_30default_config_static_selectorELNS0_4arch9wavefront6targetE1EEEvT1_
; %bb.0:
	.section	.rodata,"a",@progbits
	.p2align	6, 0x0
	.amdhsa_kernel _ZN7rocprim17ROCPRIM_400000_NS6detail17trampoline_kernelINS0_14default_configENS1_29reduce_by_key_config_selectorIjsN6thrust23THRUST_200600_302600_NS4plusIsEEEEZZNS1_33reduce_by_key_impl_wrapped_configILNS1_25lookback_scan_determinismE0ES3_S9_NS6_6detail15normal_iteratorINS6_10device_ptrIjEEEENSD_INSE_IsEEEENS6_16discard_iteratorINS6_11use_defaultEEESI_PmS8_NS6_8equal_toIjEEEE10hipError_tPvRmT2_T3_mT4_T5_T6_T7_T8_P12ihipStream_tbENKUlT_T0_E_clISt17integral_constantIbLb1EES16_EEDaS11_S12_EUlS11_E_NS1_11comp_targetILNS1_3genE10ELNS1_11target_archE1201ELNS1_3gpuE5ELNS1_3repE0EEENS1_30default_config_static_selectorELNS0_4arch9wavefront6targetE1EEEvT1_
		.amdhsa_group_segment_fixed_size 0
		.amdhsa_private_segment_fixed_size 0
		.amdhsa_kernarg_size 128
		.amdhsa_user_sgpr_count 6
		.amdhsa_user_sgpr_private_segment_buffer 1
		.amdhsa_user_sgpr_dispatch_ptr 0
		.amdhsa_user_sgpr_queue_ptr 0
		.amdhsa_user_sgpr_kernarg_segment_ptr 1
		.amdhsa_user_sgpr_dispatch_id 0
		.amdhsa_user_sgpr_flat_scratch_init 0
		.amdhsa_user_sgpr_kernarg_preload_length 0
		.amdhsa_user_sgpr_kernarg_preload_offset 0
		.amdhsa_user_sgpr_private_segment_size 0
		.amdhsa_uses_dynamic_stack 0
		.amdhsa_system_sgpr_private_segment_wavefront_offset 0
		.amdhsa_system_sgpr_workgroup_id_x 1
		.amdhsa_system_sgpr_workgroup_id_y 0
		.amdhsa_system_sgpr_workgroup_id_z 0
		.amdhsa_system_sgpr_workgroup_info 0
		.amdhsa_system_vgpr_workitem_id 0
		.amdhsa_next_free_vgpr 1
		.amdhsa_next_free_sgpr 0
		.amdhsa_accum_offset 4
		.amdhsa_reserve_vcc 0
		.amdhsa_reserve_flat_scratch 0
		.amdhsa_float_round_mode_32 0
		.amdhsa_float_round_mode_16_64 0
		.amdhsa_float_denorm_mode_32 3
		.amdhsa_float_denorm_mode_16_64 3
		.amdhsa_dx10_clamp 1
		.amdhsa_ieee_mode 1
		.amdhsa_fp16_overflow 0
		.amdhsa_tg_split 0
		.amdhsa_exception_fp_ieee_invalid_op 0
		.amdhsa_exception_fp_denorm_src 0
		.amdhsa_exception_fp_ieee_div_zero 0
		.amdhsa_exception_fp_ieee_overflow 0
		.amdhsa_exception_fp_ieee_underflow 0
		.amdhsa_exception_fp_ieee_inexact 0
		.amdhsa_exception_int_div_zero 0
	.end_amdhsa_kernel
	.section	.text._ZN7rocprim17ROCPRIM_400000_NS6detail17trampoline_kernelINS0_14default_configENS1_29reduce_by_key_config_selectorIjsN6thrust23THRUST_200600_302600_NS4plusIsEEEEZZNS1_33reduce_by_key_impl_wrapped_configILNS1_25lookback_scan_determinismE0ES3_S9_NS6_6detail15normal_iteratorINS6_10device_ptrIjEEEENSD_INSE_IsEEEENS6_16discard_iteratorINS6_11use_defaultEEESI_PmS8_NS6_8equal_toIjEEEE10hipError_tPvRmT2_T3_mT4_T5_T6_T7_T8_P12ihipStream_tbENKUlT_T0_E_clISt17integral_constantIbLb1EES16_EEDaS11_S12_EUlS11_E_NS1_11comp_targetILNS1_3genE10ELNS1_11target_archE1201ELNS1_3gpuE5ELNS1_3repE0EEENS1_30default_config_static_selectorELNS0_4arch9wavefront6targetE1EEEvT1_,"axG",@progbits,_ZN7rocprim17ROCPRIM_400000_NS6detail17trampoline_kernelINS0_14default_configENS1_29reduce_by_key_config_selectorIjsN6thrust23THRUST_200600_302600_NS4plusIsEEEEZZNS1_33reduce_by_key_impl_wrapped_configILNS1_25lookback_scan_determinismE0ES3_S9_NS6_6detail15normal_iteratorINS6_10device_ptrIjEEEENSD_INSE_IsEEEENS6_16discard_iteratorINS6_11use_defaultEEESI_PmS8_NS6_8equal_toIjEEEE10hipError_tPvRmT2_T3_mT4_T5_T6_T7_T8_P12ihipStream_tbENKUlT_T0_E_clISt17integral_constantIbLb1EES16_EEDaS11_S12_EUlS11_E_NS1_11comp_targetILNS1_3genE10ELNS1_11target_archE1201ELNS1_3gpuE5ELNS1_3repE0EEENS1_30default_config_static_selectorELNS0_4arch9wavefront6targetE1EEEvT1_,comdat
.Lfunc_end1071:
	.size	_ZN7rocprim17ROCPRIM_400000_NS6detail17trampoline_kernelINS0_14default_configENS1_29reduce_by_key_config_selectorIjsN6thrust23THRUST_200600_302600_NS4plusIsEEEEZZNS1_33reduce_by_key_impl_wrapped_configILNS1_25lookback_scan_determinismE0ES3_S9_NS6_6detail15normal_iteratorINS6_10device_ptrIjEEEENSD_INSE_IsEEEENS6_16discard_iteratorINS6_11use_defaultEEESI_PmS8_NS6_8equal_toIjEEEE10hipError_tPvRmT2_T3_mT4_T5_T6_T7_T8_P12ihipStream_tbENKUlT_T0_E_clISt17integral_constantIbLb1EES16_EEDaS11_S12_EUlS11_E_NS1_11comp_targetILNS1_3genE10ELNS1_11target_archE1201ELNS1_3gpuE5ELNS1_3repE0EEENS1_30default_config_static_selectorELNS0_4arch9wavefront6targetE1EEEvT1_, .Lfunc_end1071-_ZN7rocprim17ROCPRIM_400000_NS6detail17trampoline_kernelINS0_14default_configENS1_29reduce_by_key_config_selectorIjsN6thrust23THRUST_200600_302600_NS4plusIsEEEEZZNS1_33reduce_by_key_impl_wrapped_configILNS1_25lookback_scan_determinismE0ES3_S9_NS6_6detail15normal_iteratorINS6_10device_ptrIjEEEENSD_INSE_IsEEEENS6_16discard_iteratorINS6_11use_defaultEEESI_PmS8_NS6_8equal_toIjEEEE10hipError_tPvRmT2_T3_mT4_T5_T6_T7_T8_P12ihipStream_tbENKUlT_T0_E_clISt17integral_constantIbLb1EES16_EEDaS11_S12_EUlS11_E_NS1_11comp_targetILNS1_3genE10ELNS1_11target_archE1201ELNS1_3gpuE5ELNS1_3repE0EEENS1_30default_config_static_selectorELNS0_4arch9wavefront6targetE1EEEvT1_
                                        ; -- End function
	.section	.AMDGPU.csdata,"",@progbits
; Kernel info:
; codeLenInByte = 0
; NumSgprs: 4
; NumVgprs: 0
; NumAgprs: 0
; TotalNumVgprs: 0
; ScratchSize: 0
; MemoryBound: 0
; FloatMode: 240
; IeeeMode: 1
; LDSByteSize: 0 bytes/workgroup (compile time only)
; SGPRBlocks: 0
; VGPRBlocks: 0
; NumSGPRsForWavesPerEU: 4
; NumVGPRsForWavesPerEU: 1
; AccumOffset: 4
; Occupancy: 8
; WaveLimiterHint : 0
; COMPUTE_PGM_RSRC2:SCRATCH_EN: 0
; COMPUTE_PGM_RSRC2:USER_SGPR: 6
; COMPUTE_PGM_RSRC2:TRAP_HANDLER: 0
; COMPUTE_PGM_RSRC2:TGID_X_EN: 1
; COMPUTE_PGM_RSRC2:TGID_Y_EN: 0
; COMPUTE_PGM_RSRC2:TGID_Z_EN: 0
; COMPUTE_PGM_RSRC2:TIDIG_COMP_CNT: 0
; COMPUTE_PGM_RSRC3_GFX90A:ACCUM_OFFSET: 0
; COMPUTE_PGM_RSRC3_GFX90A:TG_SPLIT: 0
	.section	.text._ZN7rocprim17ROCPRIM_400000_NS6detail17trampoline_kernelINS0_14default_configENS1_29reduce_by_key_config_selectorIjsN6thrust23THRUST_200600_302600_NS4plusIsEEEEZZNS1_33reduce_by_key_impl_wrapped_configILNS1_25lookback_scan_determinismE0ES3_S9_NS6_6detail15normal_iteratorINS6_10device_ptrIjEEEENSD_INSE_IsEEEENS6_16discard_iteratorINS6_11use_defaultEEESI_PmS8_NS6_8equal_toIjEEEE10hipError_tPvRmT2_T3_mT4_T5_T6_T7_T8_P12ihipStream_tbENKUlT_T0_E_clISt17integral_constantIbLb1EES16_EEDaS11_S12_EUlS11_E_NS1_11comp_targetILNS1_3genE10ELNS1_11target_archE1200ELNS1_3gpuE4ELNS1_3repE0EEENS1_30default_config_static_selectorELNS0_4arch9wavefront6targetE1EEEvT1_,"axG",@progbits,_ZN7rocprim17ROCPRIM_400000_NS6detail17trampoline_kernelINS0_14default_configENS1_29reduce_by_key_config_selectorIjsN6thrust23THRUST_200600_302600_NS4plusIsEEEEZZNS1_33reduce_by_key_impl_wrapped_configILNS1_25lookback_scan_determinismE0ES3_S9_NS6_6detail15normal_iteratorINS6_10device_ptrIjEEEENSD_INSE_IsEEEENS6_16discard_iteratorINS6_11use_defaultEEESI_PmS8_NS6_8equal_toIjEEEE10hipError_tPvRmT2_T3_mT4_T5_T6_T7_T8_P12ihipStream_tbENKUlT_T0_E_clISt17integral_constantIbLb1EES16_EEDaS11_S12_EUlS11_E_NS1_11comp_targetILNS1_3genE10ELNS1_11target_archE1200ELNS1_3gpuE4ELNS1_3repE0EEENS1_30default_config_static_selectorELNS0_4arch9wavefront6targetE1EEEvT1_,comdat
	.protected	_ZN7rocprim17ROCPRIM_400000_NS6detail17trampoline_kernelINS0_14default_configENS1_29reduce_by_key_config_selectorIjsN6thrust23THRUST_200600_302600_NS4plusIsEEEEZZNS1_33reduce_by_key_impl_wrapped_configILNS1_25lookback_scan_determinismE0ES3_S9_NS6_6detail15normal_iteratorINS6_10device_ptrIjEEEENSD_INSE_IsEEEENS6_16discard_iteratorINS6_11use_defaultEEESI_PmS8_NS6_8equal_toIjEEEE10hipError_tPvRmT2_T3_mT4_T5_T6_T7_T8_P12ihipStream_tbENKUlT_T0_E_clISt17integral_constantIbLb1EES16_EEDaS11_S12_EUlS11_E_NS1_11comp_targetILNS1_3genE10ELNS1_11target_archE1200ELNS1_3gpuE4ELNS1_3repE0EEENS1_30default_config_static_selectorELNS0_4arch9wavefront6targetE1EEEvT1_ ; -- Begin function _ZN7rocprim17ROCPRIM_400000_NS6detail17trampoline_kernelINS0_14default_configENS1_29reduce_by_key_config_selectorIjsN6thrust23THRUST_200600_302600_NS4plusIsEEEEZZNS1_33reduce_by_key_impl_wrapped_configILNS1_25lookback_scan_determinismE0ES3_S9_NS6_6detail15normal_iteratorINS6_10device_ptrIjEEEENSD_INSE_IsEEEENS6_16discard_iteratorINS6_11use_defaultEEESI_PmS8_NS6_8equal_toIjEEEE10hipError_tPvRmT2_T3_mT4_T5_T6_T7_T8_P12ihipStream_tbENKUlT_T0_E_clISt17integral_constantIbLb1EES16_EEDaS11_S12_EUlS11_E_NS1_11comp_targetILNS1_3genE10ELNS1_11target_archE1200ELNS1_3gpuE4ELNS1_3repE0EEENS1_30default_config_static_selectorELNS0_4arch9wavefront6targetE1EEEvT1_
	.globl	_ZN7rocprim17ROCPRIM_400000_NS6detail17trampoline_kernelINS0_14default_configENS1_29reduce_by_key_config_selectorIjsN6thrust23THRUST_200600_302600_NS4plusIsEEEEZZNS1_33reduce_by_key_impl_wrapped_configILNS1_25lookback_scan_determinismE0ES3_S9_NS6_6detail15normal_iteratorINS6_10device_ptrIjEEEENSD_INSE_IsEEEENS6_16discard_iteratorINS6_11use_defaultEEESI_PmS8_NS6_8equal_toIjEEEE10hipError_tPvRmT2_T3_mT4_T5_T6_T7_T8_P12ihipStream_tbENKUlT_T0_E_clISt17integral_constantIbLb1EES16_EEDaS11_S12_EUlS11_E_NS1_11comp_targetILNS1_3genE10ELNS1_11target_archE1200ELNS1_3gpuE4ELNS1_3repE0EEENS1_30default_config_static_selectorELNS0_4arch9wavefront6targetE1EEEvT1_
	.p2align	8
	.type	_ZN7rocprim17ROCPRIM_400000_NS6detail17trampoline_kernelINS0_14default_configENS1_29reduce_by_key_config_selectorIjsN6thrust23THRUST_200600_302600_NS4plusIsEEEEZZNS1_33reduce_by_key_impl_wrapped_configILNS1_25lookback_scan_determinismE0ES3_S9_NS6_6detail15normal_iteratorINS6_10device_ptrIjEEEENSD_INSE_IsEEEENS6_16discard_iteratorINS6_11use_defaultEEESI_PmS8_NS6_8equal_toIjEEEE10hipError_tPvRmT2_T3_mT4_T5_T6_T7_T8_P12ihipStream_tbENKUlT_T0_E_clISt17integral_constantIbLb1EES16_EEDaS11_S12_EUlS11_E_NS1_11comp_targetILNS1_3genE10ELNS1_11target_archE1200ELNS1_3gpuE4ELNS1_3repE0EEENS1_30default_config_static_selectorELNS0_4arch9wavefront6targetE1EEEvT1_,@function
_ZN7rocprim17ROCPRIM_400000_NS6detail17trampoline_kernelINS0_14default_configENS1_29reduce_by_key_config_selectorIjsN6thrust23THRUST_200600_302600_NS4plusIsEEEEZZNS1_33reduce_by_key_impl_wrapped_configILNS1_25lookback_scan_determinismE0ES3_S9_NS6_6detail15normal_iteratorINS6_10device_ptrIjEEEENSD_INSE_IsEEEENS6_16discard_iteratorINS6_11use_defaultEEESI_PmS8_NS6_8equal_toIjEEEE10hipError_tPvRmT2_T3_mT4_T5_T6_T7_T8_P12ihipStream_tbENKUlT_T0_E_clISt17integral_constantIbLb1EES16_EEDaS11_S12_EUlS11_E_NS1_11comp_targetILNS1_3genE10ELNS1_11target_archE1200ELNS1_3gpuE4ELNS1_3repE0EEENS1_30default_config_static_selectorELNS0_4arch9wavefront6targetE1EEEvT1_: ; @_ZN7rocprim17ROCPRIM_400000_NS6detail17trampoline_kernelINS0_14default_configENS1_29reduce_by_key_config_selectorIjsN6thrust23THRUST_200600_302600_NS4plusIsEEEEZZNS1_33reduce_by_key_impl_wrapped_configILNS1_25lookback_scan_determinismE0ES3_S9_NS6_6detail15normal_iteratorINS6_10device_ptrIjEEEENSD_INSE_IsEEEENS6_16discard_iteratorINS6_11use_defaultEEESI_PmS8_NS6_8equal_toIjEEEE10hipError_tPvRmT2_T3_mT4_T5_T6_T7_T8_P12ihipStream_tbENKUlT_T0_E_clISt17integral_constantIbLb1EES16_EEDaS11_S12_EUlS11_E_NS1_11comp_targetILNS1_3genE10ELNS1_11target_archE1200ELNS1_3gpuE4ELNS1_3repE0EEENS1_30default_config_static_selectorELNS0_4arch9wavefront6targetE1EEEvT1_
; %bb.0:
	.section	.rodata,"a",@progbits
	.p2align	6, 0x0
	.amdhsa_kernel _ZN7rocprim17ROCPRIM_400000_NS6detail17trampoline_kernelINS0_14default_configENS1_29reduce_by_key_config_selectorIjsN6thrust23THRUST_200600_302600_NS4plusIsEEEEZZNS1_33reduce_by_key_impl_wrapped_configILNS1_25lookback_scan_determinismE0ES3_S9_NS6_6detail15normal_iteratorINS6_10device_ptrIjEEEENSD_INSE_IsEEEENS6_16discard_iteratorINS6_11use_defaultEEESI_PmS8_NS6_8equal_toIjEEEE10hipError_tPvRmT2_T3_mT4_T5_T6_T7_T8_P12ihipStream_tbENKUlT_T0_E_clISt17integral_constantIbLb1EES16_EEDaS11_S12_EUlS11_E_NS1_11comp_targetILNS1_3genE10ELNS1_11target_archE1200ELNS1_3gpuE4ELNS1_3repE0EEENS1_30default_config_static_selectorELNS0_4arch9wavefront6targetE1EEEvT1_
		.amdhsa_group_segment_fixed_size 0
		.amdhsa_private_segment_fixed_size 0
		.amdhsa_kernarg_size 128
		.amdhsa_user_sgpr_count 6
		.amdhsa_user_sgpr_private_segment_buffer 1
		.amdhsa_user_sgpr_dispatch_ptr 0
		.amdhsa_user_sgpr_queue_ptr 0
		.amdhsa_user_sgpr_kernarg_segment_ptr 1
		.amdhsa_user_sgpr_dispatch_id 0
		.amdhsa_user_sgpr_flat_scratch_init 0
		.amdhsa_user_sgpr_kernarg_preload_length 0
		.amdhsa_user_sgpr_kernarg_preload_offset 0
		.amdhsa_user_sgpr_private_segment_size 0
		.amdhsa_uses_dynamic_stack 0
		.amdhsa_system_sgpr_private_segment_wavefront_offset 0
		.amdhsa_system_sgpr_workgroup_id_x 1
		.amdhsa_system_sgpr_workgroup_id_y 0
		.amdhsa_system_sgpr_workgroup_id_z 0
		.amdhsa_system_sgpr_workgroup_info 0
		.amdhsa_system_vgpr_workitem_id 0
		.amdhsa_next_free_vgpr 1
		.amdhsa_next_free_sgpr 0
		.amdhsa_accum_offset 4
		.amdhsa_reserve_vcc 0
		.amdhsa_reserve_flat_scratch 0
		.amdhsa_float_round_mode_32 0
		.amdhsa_float_round_mode_16_64 0
		.amdhsa_float_denorm_mode_32 3
		.amdhsa_float_denorm_mode_16_64 3
		.amdhsa_dx10_clamp 1
		.amdhsa_ieee_mode 1
		.amdhsa_fp16_overflow 0
		.amdhsa_tg_split 0
		.amdhsa_exception_fp_ieee_invalid_op 0
		.amdhsa_exception_fp_denorm_src 0
		.amdhsa_exception_fp_ieee_div_zero 0
		.amdhsa_exception_fp_ieee_overflow 0
		.amdhsa_exception_fp_ieee_underflow 0
		.amdhsa_exception_fp_ieee_inexact 0
		.amdhsa_exception_int_div_zero 0
	.end_amdhsa_kernel
	.section	.text._ZN7rocprim17ROCPRIM_400000_NS6detail17trampoline_kernelINS0_14default_configENS1_29reduce_by_key_config_selectorIjsN6thrust23THRUST_200600_302600_NS4plusIsEEEEZZNS1_33reduce_by_key_impl_wrapped_configILNS1_25lookback_scan_determinismE0ES3_S9_NS6_6detail15normal_iteratorINS6_10device_ptrIjEEEENSD_INSE_IsEEEENS6_16discard_iteratorINS6_11use_defaultEEESI_PmS8_NS6_8equal_toIjEEEE10hipError_tPvRmT2_T3_mT4_T5_T6_T7_T8_P12ihipStream_tbENKUlT_T0_E_clISt17integral_constantIbLb1EES16_EEDaS11_S12_EUlS11_E_NS1_11comp_targetILNS1_3genE10ELNS1_11target_archE1200ELNS1_3gpuE4ELNS1_3repE0EEENS1_30default_config_static_selectorELNS0_4arch9wavefront6targetE1EEEvT1_,"axG",@progbits,_ZN7rocprim17ROCPRIM_400000_NS6detail17trampoline_kernelINS0_14default_configENS1_29reduce_by_key_config_selectorIjsN6thrust23THRUST_200600_302600_NS4plusIsEEEEZZNS1_33reduce_by_key_impl_wrapped_configILNS1_25lookback_scan_determinismE0ES3_S9_NS6_6detail15normal_iteratorINS6_10device_ptrIjEEEENSD_INSE_IsEEEENS6_16discard_iteratorINS6_11use_defaultEEESI_PmS8_NS6_8equal_toIjEEEE10hipError_tPvRmT2_T3_mT4_T5_T6_T7_T8_P12ihipStream_tbENKUlT_T0_E_clISt17integral_constantIbLb1EES16_EEDaS11_S12_EUlS11_E_NS1_11comp_targetILNS1_3genE10ELNS1_11target_archE1200ELNS1_3gpuE4ELNS1_3repE0EEENS1_30default_config_static_selectorELNS0_4arch9wavefront6targetE1EEEvT1_,comdat
.Lfunc_end1072:
	.size	_ZN7rocprim17ROCPRIM_400000_NS6detail17trampoline_kernelINS0_14default_configENS1_29reduce_by_key_config_selectorIjsN6thrust23THRUST_200600_302600_NS4plusIsEEEEZZNS1_33reduce_by_key_impl_wrapped_configILNS1_25lookback_scan_determinismE0ES3_S9_NS6_6detail15normal_iteratorINS6_10device_ptrIjEEEENSD_INSE_IsEEEENS6_16discard_iteratorINS6_11use_defaultEEESI_PmS8_NS6_8equal_toIjEEEE10hipError_tPvRmT2_T3_mT4_T5_T6_T7_T8_P12ihipStream_tbENKUlT_T0_E_clISt17integral_constantIbLb1EES16_EEDaS11_S12_EUlS11_E_NS1_11comp_targetILNS1_3genE10ELNS1_11target_archE1200ELNS1_3gpuE4ELNS1_3repE0EEENS1_30default_config_static_selectorELNS0_4arch9wavefront6targetE1EEEvT1_, .Lfunc_end1072-_ZN7rocprim17ROCPRIM_400000_NS6detail17trampoline_kernelINS0_14default_configENS1_29reduce_by_key_config_selectorIjsN6thrust23THRUST_200600_302600_NS4plusIsEEEEZZNS1_33reduce_by_key_impl_wrapped_configILNS1_25lookback_scan_determinismE0ES3_S9_NS6_6detail15normal_iteratorINS6_10device_ptrIjEEEENSD_INSE_IsEEEENS6_16discard_iteratorINS6_11use_defaultEEESI_PmS8_NS6_8equal_toIjEEEE10hipError_tPvRmT2_T3_mT4_T5_T6_T7_T8_P12ihipStream_tbENKUlT_T0_E_clISt17integral_constantIbLb1EES16_EEDaS11_S12_EUlS11_E_NS1_11comp_targetILNS1_3genE10ELNS1_11target_archE1200ELNS1_3gpuE4ELNS1_3repE0EEENS1_30default_config_static_selectorELNS0_4arch9wavefront6targetE1EEEvT1_
                                        ; -- End function
	.section	.AMDGPU.csdata,"",@progbits
; Kernel info:
; codeLenInByte = 0
; NumSgprs: 4
; NumVgprs: 0
; NumAgprs: 0
; TotalNumVgprs: 0
; ScratchSize: 0
; MemoryBound: 0
; FloatMode: 240
; IeeeMode: 1
; LDSByteSize: 0 bytes/workgroup (compile time only)
; SGPRBlocks: 0
; VGPRBlocks: 0
; NumSGPRsForWavesPerEU: 4
; NumVGPRsForWavesPerEU: 1
; AccumOffset: 4
; Occupancy: 8
; WaveLimiterHint : 0
; COMPUTE_PGM_RSRC2:SCRATCH_EN: 0
; COMPUTE_PGM_RSRC2:USER_SGPR: 6
; COMPUTE_PGM_RSRC2:TRAP_HANDLER: 0
; COMPUTE_PGM_RSRC2:TGID_X_EN: 1
; COMPUTE_PGM_RSRC2:TGID_Y_EN: 0
; COMPUTE_PGM_RSRC2:TGID_Z_EN: 0
; COMPUTE_PGM_RSRC2:TIDIG_COMP_CNT: 0
; COMPUTE_PGM_RSRC3_GFX90A:ACCUM_OFFSET: 0
; COMPUTE_PGM_RSRC3_GFX90A:TG_SPLIT: 0
	.section	.text._ZN7rocprim17ROCPRIM_400000_NS6detail17trampoline_kernelINS0_14default_configENS1_29reduce_by_key_config_selectorIjsN6thrust23THRUST_200600_302600_NS4plusIsEEEEZZNS1_33reduce_by_key_impl_wrapped_configILNS1_25lookback_scan_determinismE0ES3_S9_NS6_6detail15normal_iteratorINS6_10device_ptrIjEEEENSD_INSE_IsEEEENS6_16discard_iteratorINS6_11use_defaultEEESI_PmS8_NS6_8equal_toIjEEEE10hipError_tPvRmT2_T3_mT4_T5_T6_T7_T8_P12ihipStream_tbENKUlT_T0_E_clISt17integral_constantIbLb1EES16_EEDaS11_S12_EUlS11_E_NS1_11comp_targetILNS1_3genE9ELNS1_11target_archE1100ELNS1_3gpuE3ELNS1_3repE0EEENS1_30default_config_static_selectorELNS0_4arch9wavefront6targetE1EEEvT1_,"axG",@progbits,_ZN7rocprim17ROCPRIM_400000_NS6detail17trampoline_kernelINS0_14default_configENS1_29reduce_by_key_config_selectorIjsN6thrust23THRUST_200600_302600_NS4plusIsEEEEZZNS1_33reduce_by_key_impl_wrapped_configILNS1_25lookback_scan_determinismE0ES3_S9_NS6_6detail15normal_iteratorINS6_10device_ptrIjEEEENSD_INSE_IsEEEENS6_16discard_iteratorINS6_11use_defaultEEESI_PmS8_NS6_8equal_toIjEEEE10hipError_tPvRmT2_T3_mT4_T5_T6_T7_T8_P12ihipStream_tbENKUlT_T0_E_clISt17integral_constantIbLb1EES16_EEDaS11_S12_EUlS11_E_NS1_11comp_targetILNS1_3genE9ELNS1_11target_archE1100ELNS1_3gpuE3ELNS1_3repE0EEENS1_30default_config_static_selectorELNS0_4arch9wavefront6targetE1EEEvT1_,comdat
	.protected	_ZN7rocprim17ROCPRIM_400000_NS6detail17trampoline_kernelINS0_14default_configENS1_29reduce_by_key_config_selectorIjsN6thrust23THRUST_200600_302600_NS4plusIsEEEEZZNS1_33reduce_by_key_impl_wrapped_configILNS1_25lookback_scan_determinismE0ES3_S9_NS6_6detail15normal_iteratorINS6_10device_ptrIjEEEENSD_INSE_IsEEEENS6_16discard_iteratorINS6_11use_defaultEEESI_PmS8_NS6_8equal_toIjEEEE10hipError_tPvRmT2_T3_mT4_T5_T6_T7_T8_P12ihipStream_tbENKUlT_T0_E_clISt17integral_constantIbLb1EES16_EEDaS11_S12_EUlS11_E_NS1_11comp_targetILNS1_3genE9ELNS1_11target_archE1100ELNS1_3gpuE3ELNS1_3repE0EEENS1_30default_config_static_selectorELNS0_4arch9wavefront6targetE1EEEvT1_ ; -- Begin function _ZN7rocprim17ROCPRIM_400000_NS6detail17trampoline_kernelINS0_14default_configENS1_29reduce_by_key_config_selectorIjsN6thrust23THRUST_200600_302600_NS4plusIsEEEEZZNS1_33reduce_by_key_impl_wrapped_configILNS1_25lookback_scan_determinismE0ES3_S9_NS6_6detail15normal_iteratorINS6_10device_ptrIjEEEENSD_INSE_IsEEEENS6_16discard_iteratorINS6_11use_defaultEEESI_PmS8_NS6_8equal_toIjEEEE10hipError_tPvRmT2_T3_mT4_T5_T6_T7_T8_P12ihipStream_tbENKUlT_T0_E_clISt17integral_constantIbLb1EES16_EEDaS11_S12_EUlS11_E_NS1_11comp_targetILNS1_3genE9ELNS1_11target_archE1100ELNS1_3gpuE3ELNS1_3repE0EEENS1_30default_config_static_selectorELNS0_4arch9wavefront6targetE1EEEvT1_
	.globl	_ZN7rocprim17ROCPRIM_400000_NS6detail17trampoline_kernelINS0_14default_configENS1_29reduce_by_key_config_selectorIjsN6thrust23THRUST_200600_302600_NS4plusIsEEEEZZNS1_33reduce_by_key_impl_wrapped_configILNS1_25lookback_scan_determinismE0ES3_S9_NS6_6detail15normal_iteratorINS6_10device_ptrIjEEEENSD_INSE_IsEEEENS6_16discard_iteratorINS6_11use_defaultEEESI_PmS8_NS6_8equal_toIjEEEE10hipError_tPvRmT2_T3_mT4_T5_T6_T7_T8_P12ihipStream_tbENKUlT_T0_E_clISt17integral_constantIbLb1EES16_EEDaS11_S12_EUlS11_E_NS1_11comp_targetILNS1_3genE9ELNS1_11target_archE1100ELNS1_3gpuE3ELNS1_3repE0EEENS1_30default_config_static_selectorELNS0_4arch9wavefront6targetE1EEEvT1_
	.p2align	8
	.type	_ZN7rocprim17ROCPRIM_400000_NS6detail17trampoline_kernelINS0_14default_configENS1_29reduce_by_key_config_selectorIjsN6thrust23THRUST_200600_302600_NS4plusIsEEEEZZNS1_33reduce_by_key_impl_wrapped_configILNS1_25lookback_scan_determinismE0ES3_S9_NS6_6detail15normal_iteratorINS6_10device_ptrIjEEEENSD_INSE_IsEEEENS6_16discard_iteratorINS6_11use_defaultEEESI_PmS8_NS6_8equal_toIjEEEE10hipError_tPvRmT2_T3_mT4_T5_T6_T7_T8_P12ihipStream_tbENKUlT_T0_E_clISt17integral_constantIbLb1EES16_EEDaS11_S12_EUlS11_E_NS1_11comp_targetILNS1_3genE9ELNS1_11target_archE1100ELNS1_3gpuE3ELNS1_3repE0EEENS1_30default_config_static_selectorELNS0_4arch9wavefront6targetE1EEEvT1_,@function
_ZN7rocprim17ROCPRIM_400000_NS6detail17trampoline_kernelINS0_14default_configENS1_29reduce_by_key_config_selectorIjsN6thrust23THRUST_200600_302600_NS4plusIsEEEEZZNS1_33reduce_by_key_impl_wrapped_configILNS1_25lookback_scan_determinismE0ES3_S9_NS6_6detail15normal_iteratorINS6_10device_ptrIjEEEENSD_INSE_IsEEEENS6_16discard_iteratorINS6_11use_defaultEEESI_PmS8_NS6_8equal_toIjEEEE10hipError_tPvRmT2_T3_mT4_T5_T6_T7_T8_P12ihipStream_tbENKUlT_T0_E_clISt17integral_constantIbLb1EES16_EEDaS11_S12_EUlS11_E_NS1_11comp_targetILNS1_3genE9ELNS1_11target_archE1100ELNS1_3gpuE3ELNS1_3repE0EEENS1_30default_config_static_selectorELNS0_4arch9wavefront6targetE1EEEvT1_: ; @_ZN7rocprim17ROCPRIM_400000_NS6detail17trampoline_kernelINS0_14default_configENS1_29reduce_by_key_config_selectorIjsN6thrust23THRUST_200600_302600_NS4plusIsEEEEZZNS1_33reduce_by_key_impl_wrapped_configILNS1_25lookback_scan_determinismE0ES3_S9_NS6_6detail15normal_iteratorINS6_10device_ptrIjEEEENSD_INSE_IsEEEENS6_16discard_iteratorINS6_11use_defaultEEESI_PmS8_NS6_8equal_toIjEEEE10hipError_tPvRmT2_T3_mT4_T5_T6_T7_T8_P12ihipStream_tbENKUlT_T0_E_clISt17integral_constantIbLb1EES16_EEDaS11_S12_EUlS11_E_NS1_11comp_targetILNS1_3genE9ELNS1_11target_archE1100ELNS1_3gpuE3ELNS1_3repE0EEENS1_30default_config_static_selectorELNS0_4arch9wavefront6targetE1EEEvT1_
; %bb.0:
	.section	.rodata,"a",@progbits
	.p2align	6, 0x0
	.amdhsa_kernel _ZN7rocprim17ROCPRIM_400000_NS6detail17trampoline_kernelINS0_14default_configENS1_29reduce_by_key_config_selectorIjsN6thrust23THRUST_200600_302600_NS4plusIsEEEEZZNS1_33reduce_by_key_impl_wrapped_configILNS1_25lookback_scan_determinismE0ES3_S9_NS6_6detail15normal_iteratorINS6_10device_ptrIjEEEENSD_INSE_IsEEEENS6_16discard_iteratorINS6_11use_defaultEEESI_PmS8_NS6_8equal_toIjEEEE10hipError_tPvRmT2_T3_mT4_T5_T6_T7_T8_P12ihipStream_tbENKUlT_T0_E_clISt17integral_constantIbLb1EES16_EEDaS11_S12_EUlS11_E_NS1_11comp_targetILNS1_3genE9ELNS1_11target_archE1100ELNS1_3gpuE3ELNS1_3repE0EEENS1_30default_config_static_selectorELNS0_4arch9wavefront6targetE1EEEvT1_
		.amdhsa_group_segment_fixed_size 0
		.amdhsa_private_segment_fixed_size 0
		.amdhsa_kernarg_size 128
		.amdhsa_user_sgpr_count 6
		.amdhsa_user_sgpr_private_segment_buffer 1
		.amdhsa_user_sgpr_dispatch_ptr 0
		.amdhsa_user_sgpr_queue_ptr 0
		.amdhsa_user_sgpr_kernarg_segment_ptr 1
		.amdhsa_user_sgpr_dispatch_id 0
		.amdhsa_user_sgpr_flat_scratch_init 0
		.amdhsa_user_sgpr_kernarg_preload_length 0
		.amdhsa_user_sgpr_kernarg_preload_offset 0
		.amdhsa_user_sgpr_private_segment_size 0
		.amdhsa_uses_dynamic_stack 0
		.amdhsa_system_sgpr_private_segment_wavefront_offset 0
		.amdhsa_system_sgpr_workgroup_id_x 1
		.amdhsa_system_sgpr_workgroup_id_y 0
		.amdhsa_system_sgpr_workgroup_id_z 0
		.amdhsa_system_sgpr_workgroup_info 0
		.amdhsa_system_vgpr_workitem_id 0
		.amdhsa_next_free_vgpr 1
		.amdhsa_next_free_sgpr 0
		.amdhsa_accum_offset 4
		.amdhsa_reserve_vcc 0
		.amdhsa_reserve_flat_scratch 0
		.amdhsa_float_round_mode_32 0
		.amdhsa_float_round_mode_16_64 0
		.amdhsa_float_denorm_mode_32 3
		.amdhsa_float_denorm_mode_16_64 3
		.amdhsa_dx10_clamp 1
		.amdhsa_ieee_mode 1
		.amdhsa_fp16_overflow 0
		.amdhsa_tg_split 0
		.amdhsa_exception_fp_ieee_invalid_op 0
		.amdhsa_exception_fp_denorm_src 0
		.amdhsa_exception_fp_ieee_div_zero 0
		.amdhsa_exception_fp_ieee_overflow 0
		.amdhsa_exception_fp_ieee_underflow 0
		.amdhsa_exception_fp_ieee_inexact 0
		.amdhsa_exception_int_div_zero 0
	.end_amdhsa_kernel
	.section	.text._ZN7rocprim17ROCPRIM_400000_NS6detail17trampoline_kernelINS0_14default_configENS1_29reduce_by_key_config_selectorIjsN6thrust23THRUST_200600_302600_NS4plusIsEEEEZZNS1_33reduce_by_key_impl_wrapped_configILNS1_25lookback_scan_determinismE0ES3_S9_NS6_6detail15normal_iteratorINS6_10device_ptrIjEEEENSD_INSE_IsEEEENS6_16discard_iteratorINS6_11use_defaultEEESI_PmS8_NS6_8equal_toIjEEEE10hipError_tPvRmT2_T3_mT4_T5_T6_T7_T8_P12ihipStream_tbENKUlT_T0_E_clISt17integral_constantIbLb1EES16_EEDaS11_S12_EUlS11_E_NS1_11comp_targetILNS1_3genE9ELNS1_11target_archE1100ELNS1_3gpuE3ELNS1_3repE0EEENS1_30default_config_static_selectorELNS0_4arch9wavefront6targetE1EEEvT1_,"axG",@progbits,_ZN7rocprim17ROCPRIM_400000_NS6detail17trampoline_kernelINS0_14default_configENS1_29reduce_by_key_config_selectorIjsN6thrust23THRUST_200600_302600_NS4plusIsEEEEZZNS1_33reduce_by_key_impl_wrapped_configILNS1_25lookback_scan_determinismE0ES3_S9_NS6_6detail15normal_iteratorINS6_10device_ptrIjEEEENSD_INSE_IsEEEENS6_16discard_iteratorINS6_11use_defaultEEESI_PmS8_NS6_8equal_toIjEEEE10hipError_tPvRmT2_T3_mT4_T5_T6_T7_T8_P12ihipStream_tbENKUlT_T0_E_clISt17integral_constantIbLb1EES16_EEDaS11_S12_EUlS11_E_NS1_11comp_targetILNS1_3genE9ELNS1_11target_archE1100ELNS1_3gpuE3ELNS1_3repE0EEENS1_30default_config_static_selectorELNS0_4arch9wavefront6targetE1EEEvT1_,comdat
.Lfunc_end1073:
	.size	_ZN7rocprim17ROCPRIM_400000_NS6detail17trampoline_kernelINS0_14default_configENS1_29reduce_by_key_config_selectorIjsN6thrust23THRUST_200600_302600_NS4plusIsEEEEZZNS1_33reduce_by_key_impl_wrapped_configILNS1_25lookback_scan_determinismE0ES3_S9_NS6_6detail15normal_iteratorINS6_10device_ptrIjEEEENSD_INSE_IsEEEENS6_16discard_iteratorINS6_11use_defaultEEESI_PmS8_NS6_8equal_toIjEEEE10hipError_tPvRmT2_T3_mT4_T5_T6_T7_T8_P12ihipStream_tbENKUlT_T0_E_clISt17integral_constantIbLb1EES16_EEDaS11_S12_EUlS11_E_NS1_11comp_targetILNS1_3genE9ELNS1_11target_archE1100ELNS1_3gpuE3ELNS1_3repE0EEENS1_30default_config_static_selectorELNS0_4arch9wavefront6targetE1EEEvT1_, .Lfunc_end1073-_ZN7rocprim17ROCPRIM_400000_NS6detail17trampoline_kernelINS0_14default_configENS1_29reduce_by_key_config_selectorIjsN6thrust23THRUST_200600_302600_NS4plusIsEEEEZZNS1_33reduce_by_key_impl_wrapped_configILNS1_25lookback_scan_determinismE0ES3_S9_NS6_6detail15normal_iteratorINS6_10device_ptrIjEEEENSD_INSE_IsEEEENS6_16discard_iteratorINS6_11use_defaultEEESI_PmS8_NS6_8equal_toIjEEEE10hipError_tPvRmT2_T3_mT4_T5_T6_T7_T8_P12ihipStream_tbENKUlT_T0_E_clISt17integral_constantIbLb1EES16_EEDaS11_S12_EUlS11_E_NS1_11comp_targetILNS1_3genE9ELNS1_11target_archE1100ELNS1_3gpuE3ELNS1_3repE0EEENS1_30default_config_static_selectorELNS0_4arch9wavefront6targetE1EEEvT1_
                                        ; -- End function
	.section	.AMDGPU.csdata,"",@progbits
; Kernel info:
; codeLenInByte = 0
; NumSgprs: 4
; NumVgprs: 0
; NumAgprs: 0
; TotalNumVgprs: 0
; ScratchSize: 0
; MemoryBound: 0
; FloatMode: 240
; IeeeMode: 1
; LDSByteSize: 0 bytes/workgroup (compile time only)
; SGPRBlocks: 0
; VGPRBlocks: 0
; NumSGPRsForWavesPerEU: 4
; NumVGPRsForWavesPerEU: 1
; AccumOffset: 4
; Occupancy: 8
; WaveLimiterHint : 0
; COMPUTE_PGM_RSRC2:SCRATCH_EN: 0
; COMPUTE_PGM_RSRC2:USER_SGPR: 6
; COMPUTE_PGM_RSRC2:TRAP_HANDLER: 0
; COMPUTE_PGM_RSRC2:TGID_X_EN: 1
; COMPUTE_PGM_RSRC2:TGID_Y_EN: 0
; COMPUTE_PGM_RSRC2:TGID_Z_EN: 0
; COMPUTE_PGM_RSRC2:TIDIG_COMP_CNT: 0
; COMPUTE_PGM_RSRC3_GFX90A:ACCUM_OFFSET: 0
; COMPUTE_PGM_RSRC3_GFX90A:TG_SPLIT: 0
	.section	.text._ZN7rocprim17ROCPRIM_400000_NS6detail17trampoline_kernelINS0_14default_configENS1_29reduce_by_key_config_selectorIjsN6thrust23THRUST_200600_302600_NS4plusIsEEEEZZNS1_33reduce_by_key_impl_wrapped_configILNS1_25lookback_scan_determinismE0ES3_S9_NS6_6detail15normal_iteratorINS6_10device_ptrIjEEEENSD_INSE_IsEEEENS6_16discard_iteratorINS6_11use_defaultEEESI_PmS8_NS6_8equal_toIjEEEE10hipError_tPvRmT2_T3_mT4_T5_T6_T7_T8_P12ihipStream_tbENKUlT_T0_E_clISt17integral_constantIbLb1EES16_EEDaS11_S12_EUlS11_E_NS1_11comp_targetILNS1_3genE8ELNS1_11target_archE1030ELNS1_3gpuE2ELNS1_3repE0EEENS1_30default_config_static_selectorELNS0_4arch9wavefront6targetE1EEEvT1_,"axG",@progbits,_ZN7rocprim17ROCPRIM_400000_NS6detail17trampoline_kernelINS0_14default_configENS1_29reduce_by_key_config_selectorIjsN6thrust23THRUST_200600_302600_NS4plusIsEEEEZZNS1_33reduce_by_key_impl_wrapped_configILNS1_25lookback_scan_determinismE0ES3_S9_NS6_6detail15normal_iteratorINS6_10device_ptrIjEEEENSD_INSE_IsEEEENS6_16discard_iteratorINS6_11use_defaultEEESI_PmS8_NS6_8equal_toIjEEEE10hipError_tPvRmT2_T3_mT4_T5_T6_T7_T8_P12ihipStream_tbENKUlT_T0_E_clISt17integral_constantIbLb1EES16_EEDaS11_S12_EUlS11_E_NS1_11comp_targetILNS1_3genE8ELNS1_11target_archE1030ELNS1_3gpuE2ELNS1_3repE0EEENS1_30default_config_static_selectorELNS0_4arch9wavefront6targetE1EEEvT1_,comdat
	.protected	_ZN7rocprim17ROCPRIM_400000_NS6detail17trampoline_kernelINS0_14default_configENS1_29reduce_by_key_config_selectorIjsN6thrust23THRUST_200600_302600_NS4plusIsEEEEZZNS1_33reduce_by_key_impl_wrapped_configILNS1_25lookback_scan_determinismE0ES3_S9_NS6_6detail15normal_iteratorINS6_10device_ptrIjEEEENSD_INSE_IsEEEENS6_16discard_iteratorINS6_11use_defaultEEESI_PmS8_NS6_8equal_toIjEEEE10hipError_tPvRmT2_T3_mT4_T5_T6_T7_T8_P12ihipStream_tbENKUlT_T0_E_clISt17integral_constantIbLb1EES16_EEDaS11_S12_EUlS11_E_NS1_11comp_targetILNS1_3genE8ELNS1_11target_archE1030ELNS1_3gpuE2ELNS1_3repE0EEENS1_30default_config_static_selectorELNS0_4arch9wavefront6targetE1EEEvT1_ ; -- Begin function _ZN7rocprim17ROCPRIM_400000_NS6detail17trampoline_kernelINS0_14default_configENS1_29reduce_by_key_config_selectorIjsN6thrust23THRUST_200600_302600_NS4plusIsEEEEZZNS1_33reduce_by_key_impl_wrapped_configILNS1_25lookback_scan_determinismE0ES3_S9_NS6_6detail15normal_iteratorINS6_10device_ptrIjEEEENSD_INSE_IsEEEENS6_16discard_iteratorINS6_11use_defaultEEESI_PmS8_NS6_8equal_toIjEEEE10hipError_tPvRmT2_T3_mT4_T5_T6_T7_T8_P12ihipStream_tbENKUlT_T0_E_clISt17integral_constantIbLb1EES16_EEDaS11_S12_EUlS11_E_NS1_11comp_targetILNS1_3genE8ELNS1_11target_archE1030ELNS1_3gpuE2ELNS1_3repE0EEENS1_30default_config_static_selectorELNS0_4arch9wavefront6targetE1EEEvT1_
	.globl	_ZN7rocprim17ROCPRIM_400000_NS6detail17trampoline_kernelINS0_14default_configENS1_29reduce_by_key_config_selectorIjsN6thrust23THRUST_200600_302600_NS4plusIsEEEEZZNS1_33reduce_by_key_impl_wrapped_configILNS1_25lookback_scan_determinismE0ES3_S9_NS6_6detail15normal_iteratorINS6_10device_ptrIjEEEENSD_INSE_IsEEEENS6_16discard_iteratorINS6_11use_defaultEEESI_PmS8_NS6_8equal_toIjEEEE10hipError_tPvRmT2_T3_mT4_T5_T6_T7_T8_P12ihipStream_tbENKUlT_T0_E_clISt17integral_constantIbLb1EES16_EEDaS11_S12_EUlS11_E_NS1_11comp_targetILNS1_3genE8ELNS1_11target_archE1030ELNS1_3gpuE2ELNS1_3repE0EEENS1_30default_config_static_selectorELNS0_4arch9wavefront6targetE1EEEvT1_
	.p2align	8
	.type	_ZN7rocprim17ROCPRIM_400000_NS6detail17trampoline_kernelINS0_14default_configENS1_29reduce_by_key_config_selectorIjsN6thrust23THRUST_200600_302600_NS4plusIsEEEEZZNS1_33reduce_by_key_impl_wrapped_configILNS1_25lookback_scan_determinismE0ES3_S9_NS6_6detail15normal_iteratorINS6_10device_ptrIjEEEENSD_INSE_IsEEEENS6_16discard_iteratorINS6_11use_defaultEEESI_PmS8_NS6_8equal_toIjEEEE10hipError_tPvRmT2_T3_mT4_T5_T6_T7_T8_P12ihipStream_tbENKUlT_T0_E_clISt17integral_constantIbLb1EES16_EEDaS11_S12_EUlS11_E_NS1_11comp_targetILNS1_3genE8ELNS1_11target_archE1030ELNS1_3gpuE2ELNS1_3repE0EEENS1_30default_config_static_selectorELNS0_4arch9wavefront6targetE1EEEvT1_,@function
_ZN7rocprim17ROCPRIM_400000_NS6detail17trampoline_kernelINS0_14default_configENS1_29reduce_by_key_config_selectorIjsN6thrust23THRUST_200600_302600_NS4plusIsEEEEZZNS1_33reduce_by_key_impl_wrapped_configILNS1_25lookback_scan_determinismE0ES3_S9_NS6_6detail15normal_iteratorINS6_10device_ptrIjEEEENSD_INSE_IsEEEENS6_16discard_iteratorINS6_11use_defaultEEESI_PmS8_NS6_8equal_toIjEEEE10hipError_tPvRmT2_T3_mT4_T5_T6_T7_T8_P12ihipStream_tbENKUlT_T0_E_clISt17integral_constantIbLb1EES16_EEDaS11_S12_EUlS11_E_NS1_11comp_targetILNS1_3genE8ELNS1_11target_archE1030ELNS1_3gpuE2ELNS1_3repE0EEENS1_30default_config_static_selectorELNS0_4arch9wavefront6targetE1EEEvT1_: ; @_ZN7rocprim17ROCPRIM_400000_NS6detail17trampoline_kernelINS0_14default_configENS1_29reduce_by_key_config_selectorIjsN6thrust23THRUST_200600_302600_NS4plusIsEEEEZZNS1_33reduce_by_key_impl_wrapped_configILNS1_25lookback_scan_determinismE0ES3_S9_NS6_6detail15normal_iteratorINS6_10device_ptrIjEEEENSD_INSE_IsEEEENS6_16discard_iteratorINS6_11use_defaultEEESI_PmS8_NS6_8equal_toIjEEEE10hipError_tPvRmT2_T3_mT4_T5_T6_T7_T8_P12ihipStream_tbENKUlT_T0_E_clISt17integral_constantIbLb1EES16_EEDaS11_S12_EUlS11_E_NS1_11comp_targetILNS1_3genE8ELNS1_11target_archE1030ELNS1_3gpuE2ELNS1_3repE0EEENS1_30default_config_static_selectorELNS0_4arch9wavefront6targetE1EEEvT1_
; %bb.0:
	.section	.rodata,"a",@progbits
	.p2align	6, 0x0
	.amdhsa_kernel _ZN7rocprim17ROCPRIM_400000_NS6detail17trampoline_kernelINS0_14default_configENS1_29reduce_by_key_config_selectorIjsN6thrust23THRUST_200600_302600_NS4plusIsEEEEZZNS1_33reduce_by_key_impl_wrapped_configILNS1_25lookback_scan_determinismE0ES3_S9_NS6_6detail15normal_iteratorINS6_10device_ptrIjEEEENSD_INSE_IsEEEENS6_16discard_iteratorINS6_11use_defaultEEESI_PmS8_NS6_8equal_toIjEEEE10hipError_tPvRmT2_T3_mT4_T5_T6_T7_T8_P12ihipStream_tbENKUlT_T0_E_clISt17integral_constantIbLb1EES16_EEDaS11_S12_EUlS11_E_NS1_11comp_targetILNS1_3genE8ELNS1_11target_archE1030ELNS1_3gpuE2ELNS1_3repE0EEENS1_30default_config_static_selectorELNS0_4arch9wavefront6targetE1EEEvT1_
		.amdhsa_group_segment_fixed_size 0
		.amdhsa_private_segment_fixed_size 0
		.amdhsa_kernarg_size 128
		.amdhsa_user_sgpr_count 6
		.amdhsa_user_sgpr_private_segment_buffer 1
		.amdhsa_user_sgpr_dispatch_ptr 0
		.amdhsa_user_sgpr_queue_ptr 0
		.amdhsa_user_sgpr_kernarg_segment_ptr 1
		.amdhsa_user_sgpr_dispatch_id 0
		.amdhsa_user_sgpr_flat_scratch_init 0
		.amdhsa_user_sgpr_kernarg_preload_length 0
		.amdhsa_user_sgpr_kernarg_preload_offset 0
		.amdhsa_user_sgpr_private_segment_size 0
		.amdhsa_uses_dynamic_stack 0
		.amdhsa_system_sgpr_private_segment_wavefront_offset 0
		.amdhsa_system_sgpr_workgroup_id_x 1
		.amdhsa_system_sgpr_workgroup_id_y 0
		.amdhsa_system_sgpr_workgroup_id_z 0
		.amdhsa_system_sgpr_workgroup_info 0
		.amdhsa_system_vgpr_workitem_id 0
		.amdhsa_next_free_vgpr 1
		.amdhsa_next_free_sgpr 0
		.amdhsa_accum_offset 4
		.amdhsa_reserve_vcc 0
		.amdhsa_reserve_flat_scratch 0
		.amdhsa_float_round_mode_32 0
		.amdhsa_float_round_mode_16_64 0
		.amdhsa_float_denorm_mode_32 3
		.amdhsa_float_denorm_mode_16_64 3
		.amdhsa_dx10_clamp 1
		.amdhsa_ieee_mode 1
		.amdhsa_fp16_overflow 0
		.amdhsa_tg_split 0
		.amdhsa_exception_fp_ieee_invalid_op 0
		.amdhsa_exception_fp_denorm_src 0
		.amdhsa_exception_fp_ieee_div_zero 0
		.amdhsa_exception_fp_ieee_overflow 0
		.amdhsa_exception_fp_ieee_underflow 0
		.amdhsa_exception_fp_ieee_inexact 0
		.amdhsa_exception_int_div_zero 0
	.end_amdhsa_kernel
	.section	.text._ZN7rocprim17ROCPRIM_400000_NS6detail17trampoline_kernelINS0_14default_configENS1_29reduce_by_key_config_selectorIjsN6thrust23THRUST_200600_302600_NS4plusIsEEEEZZNS1_33reduce_by_key_impl_wrapped_configILNS1_25lookback_scan_determinismE0ES3_S9_NS6_6detail15normal_iteratorINS6_10device_ptrIjEEEENSD_INSE_IsEEEENS6_16discard_iteratorINS6_11use_defaultEEESI_PmS8_NS6_8equal_toIjEEEE10hipError_tPvRmT2_T3_mT4_T5_T6_T7_T8_P12ihipStream_tbENKUlT_T0_E_clISt17integral_constantIbLb1EES16_EEDaS11_S12_EUlS11_E_NS1_11comp_targetILNS1_3genE8ELNS1_11target_archE1030ELNS1_3gpuE2ELNS1_3repE0EEENS1_30default_config_static_selectorELNS0_4arch9wavefront6targetE1EEEvT1_,"axG",@progbits,_ZN7rocprim17ROCPRIM_400000_NS6detail17trampoline_kernelINS0_14default_configENS1_29reduce_by_key_config_selectorIjsN6thrust23THRUST_200600_302600_NS4plusIsEEEEZZNS1_33reduce_by_key_impl_wrapped_configILNS1_25lookback_scan_determinismE0ES3_S9_NS6_6detail15normal_iteratorINS6_10device_ptrIjEEEENSD_INSE_IsEEEENS6_16discard_iteratorINS6_11use_defaultEEESI_PmS8_NS6_8equal_toIjEEEE10hipError_tPvRmT2_T3_mT4_T5_T6_T7_T8_P12ihipStream_tbENKUlT_T0_E_clISt17integral_constantIbLb1EES16_EEDaS11_S12_EUlS11_E_NS1_11comp_targetILNS1_3genE8ELNS1_11target_archE1030ELNS1_3gpuE2ELNS1_3repE0EEENS1_30default_config_static_selectorELNS0_4arch9wavefront6targetE1EEEvT1_,comdat
.Lfunc_end1074:
	.size	_ZN7rocprim17ROCPRIM_400000_NS6detail17trampoline_kernelINS0_14default_configENS1_29reduce_by_key_config_selectorIjsN6thrust23THRUST_200600_302600_NS4plusIsEEEEZZNS1_33reduce_by_key_impl_wrapped_configILNS1_25lookback_scan_determinismE0ES3_S9_NS6_6detail15normal_iteratorINS6_10device_ptrIjEEEENSD_INSE_IsEEEENS6_16discard_iteratorINS6_11use_defaultEEESI_PmS8_NS6_8equal_toIjEEEE10hipError_tPvRmT2_T3_mT4_T5_T6_T7_T8_P12ihipStream_tbENKUlT_T0_E_clISt17integral_constantIbLb1EES16_EEDaS11_S12_EUlS11_E_NS1_11comp_targetILNS1_3genE8ELNS1_11target_archE1030ELNS1_3gpuE2ELNS1_3repE0EEENS1_30default_config_static_selectorELNS0_4arch9wavefront6targetE1EEEvT1_, .Lfunc_end1074-_ZN7rocprim17ROCPRIM_400000_NS6detail17trampoline_kernelINS0_14default_configENS1_29reduce_by_key_config_selectorIjsN6thrust23THRUST_200600_302600_NS4plusIsEEEEZZNS1_33reduce_by_key_impl_wrapped_configILNS1_25lookback_scan_determinismE0ES3_S9_NS6_6detail15normal_iteratorINS6_10device_ptrIjEEEENSD_INSE_IsEEEENS6_16discard_iteratorINS6_11use_defaultEEESI_PmS8_NS6_8equal_toIjEEEE10hipError_tPvRmT2_T3_mT4_T5_T6_T7_T8_P12ihipStream_tbENKUlT_T0_E_clISt17integral_constantIbLb1EES16_EEDaS11_S12_EUlS11_E_NS1_11comp_targetILNS1_3genE8ELNS1_11target_archE1030ELNS1_3gpuE2ELNS1_3repE0EEENS1_30default_config_static_selectorELNS0_4arch9wavefront6targetE1EEEvT1_
                                        ; -- End function
	.section	.AMDGPU.csdata,"",@progbits
; Kernel info:
; codeLenInByte = 0
; NumSgprs: 4
; NumVgprs: 0
; NumAgprs: 0
; TotalNumVgprs: 0
; ScratchSize: 0
; MemoryBound: 0
; FloatMode: 240
; IeeeMode: 1
; LDSByteSize: 0 bytes/workgroup (compile time only)
; SGPRBlocks: 0
; VGPRBlocks: 0
; NumSGPRsForWavesPerEU: 4
; NumVGPRsForWavesPerEU: 1
; AccumOffset: 4
; Occupancy: 8
; WaveLimiterHint : 0
; COMPUTE_PGM_RSRC2:SCRATCH_EN: 0
; COMPUTE_PGM_RSRC2:USER_SGPR: 6
; COMPUTE_PGM_RSRC2:TRAP_HANDLER: 0
; COMPUTE_PGM_RSRC2:TGID_X_EN: 1
; COMPUTE_PGM_RSRC2:TGID_Y_EN: 0
; COMPUTE_PGM_RSRC2:TGID_Z_EN: 0
; COMPUTE_PGM_RSRC2:TIDIG_COMP_CNT: 0
; COMPUTE_PGM_RSRC3_GFX90A:ACCUM_OFFSET: 0
; COMPUTE_PGM_RSRC3_GFX90A:TG_SPLIT: 0
	.section	.text._ZN7rocprim17ROCPRIM_400000_NS6detail17trampoline_kernelINS0_14default_configENS1_29reduce_by_key_config_selectorIjsN6thrust23THRUST_200600_302600_NS4plusIsEEEEZZNS1_33reduce_by_key_impl_wrapped_configILNS1_25lookback_scan_determinismE0ES3_S9_NS6_6detail15normal_iteratorINS6_10device_ptrIjEEEENSD_INSE_IsEEEENS6_16discard_iteratorINS6_11use_defaultEEESI_PmS8_NS6_8equal_toIjEEEE10hipError_tPvRmT2_T3_mT4_T5_T6_T7_T8_P12ihipStream_tbENKUlT_T0_E_clISt17integral_constantIbLb1EES15_IbLb0EEEEDaS11_S12_EUlS11_E_NS1_11comp_targetILNS1_3genE0ELNS1_11target_archE4294967295ELNS1_3gpuE0ELNS1_3repE0EEENS1_30default_config_static_selectorELNS0_4arch9wavefront6targetE1EEEvT1_,"axG",@progbits,_ZN7rocprim17ROCPRIM_400000_NS6detail17trampoline_kernelINS0_14default_configENS1_29reduce_by_key_config_selectorIjsN6thrust23THRUST_200600_302600_NS4plusIsEEEEZZNS1_33reduce_by_key_impl_wrapped_configILNS1_25lookback_scan_determinismE0ES3_S9_NS6_6detail15normal_iteratorINS6_10device_ptrIjEEEENSD_INSE_IsEEEENS6_16discard_iteratorINS6_11use_defaultEEESI_PmS8_NS6_8equal_toIjEEEE10hipError_tPvRmT2_T3_mT4_T5_T6_T7_T8_P12ihipStream_tbENKUlT_T0_E_clISt17integral_constantIbLb1EES15_IbLb0EEEEDaS11_S12_EUlS11_E_NS1_11comp_targetILNS1_3genE0ELNS1_11target_archE4294967295ELNS1_3gpuE0ELNS1_3repE0EEENS1_30default_config_static_selectorELNS0_4arch9wavefront6targetE1EEEvT1_,comdat
	.protected	_ZN7rocprim17ROCPRIM_400000_NS6detail17trampoline_kernelINS0_14default_configENS1_29reduce_by_key_config_selectorIjsN6thrust23THRUST_200600_302600_NS4plusIsEEEEZZNS1_33reduce_by_key_impl_wrapped_configILNS1_25lookback_scan_determinismE0ES3_S9_NS6_6detail15normal_iteratorINS6_10device_ptrIjEEEENSD_INSE_IsEEEENS6_16discard_iteratorINS6_11use_defaultEEESI_PmS8_NS6_8equal_toIjEEEE10hipError_tPvRmT2_T3_mT4_T5_T6_T7_T8_P12ihipStream_tbENKUlT_T0_E_clISt17integral_constantIbLb1EES15_IbLb0EEEEDaS11_S12_EUlS11_E_NS1_11comp_targetILNS1_3genE0ELNS1_11target_archE4294967295ELNS1_3gpuE0ELNS1_3repE0EEENS1_30default_config_static_selectorELNS0_4arch9wavefront6targetE1EEEvT1_ ; -- Begin function _ZN7rocprim17ROCPRIM_400000_NS6detail17trampoline_kernelINS0_14default_configENS1_29reduce_by_key_config_selectorIjsN6thrust23THRUST_200600_302600_NS4plusIsEEEEZZNS1_33reduce_by_key_impl_wrapped_configILNS1_25lookback_scan_determinismE0ES3_S9_NS6_6detail15normal_iteratorINS6_10device_ptrIjEEEENSD_INSE_IsEEEENS6_16discard_iteratorINS6_11use_defaultEEESI_PmS8_NS6_8equal_toIjEEEE10hipError_tPvRmT2_T3_mT4_T5_T6_T7_T8_P12ihipStream_tbENKUlT_T0_E_clISt17integral_constantIbLb1EES15_IbLb0EEEEDaS11_S12_EUlS11_E_NS1_11comp_targetILNS1_3genE0ELNS1_11target_archE4294967295ELNS1_3gpuE0ELNS1_3repE0EEENS1_30default_config_static_selectorELNS0_4arch9wavefront6targetE1EEEvT1_
	.globl	_ZN7rocprim17ROCPRIM_400000_NS6detail17trampoline_kernelINS0_14default_configENS1_29reduce_by_key_config_selectorIjsN6thrust23THRUST_200600_302600_NS4plusIsEEEEZZNS1_33reduce_by_key_impl_wrapped_configILNS1_25lookback_scan_determinismE0ES3_S9_NS6_6detail15normal_iteratorINS6_10device_ptrIjEEEENSD_INSE_IsEEEENS6_16discard_iteratorINS6_11use_defaultEEESI_PmS8_NS6_8equal_toIjEEEE10hipError_tPvRmT2_T3_mT4_T5_T6_T7_T8_P12ihipStream_tbENKUlT_T0_E_clISt17integral_constantIbLb1EES15_IbLb0EEEEDaS11_S12_EUlS11_E_NS1_11comp_targetILNS1_3genE0ELNS1_11target_archE4294967295ELNS1_3gpuE0ELNS1_3repE0EEENS1_30default_config_static_selectorELNS0_4arch9wavefront6targetE1EEEvT1_
	.p2align	8
	.type	_ZN7rocprim17ROCPRIM_400000_NS6detail17trampoline_kernelINS0_14default_configENS1_29reduce_by_key_config_selectorIjsN6thrust23THRUST_200600_302600_NS4plusIsEEEEZZNS1_33reduce_by_key_impl_wrapped_configILNS1_25lookback_scan_determinismE0ES3_S9_NS6_6detail15normal_iteratorINS6_10device_ptrIjEEEENSD_INSE_IsEEEENS6_16discard_iteratorINS6_11use_defaultEEESI_PmS8_NS6_8equal_toIjEEEE10hipError_tPvRmT2_T3_mT4_T5_T6_T7_T8_P12ihipStream_tbENKUlT_T0_E_clISt17integral_constantIbLb1EES15_IbLb0EEEEDaS11_S12_EUlS11_E_NS1_11comp_targetILNS1_3genE0ELNS1_11target_archE4294967295ELNS1_3gpuE0ELNS1_3repE0EEENS1_30default_config_static_selectorELNS0_4arch9wavefront6targetE1EEEvT1_,@function
_ZN7rocprim17ROCPRIM_400000_NS6detail17trampoline_kernelINS0_14default_configENS1_29reduce_by_key_config_selectorIjsN6thrust23THRUST_200600_302600_NS4plusIsEEEEZZNS1_33reduce_by_key_impl_wrapped_configILNS1_25lookback_scan_determinismE0ES3_S9_NS6_6detail15normal_iteratorINS6_10device_ptrIjEEEENSD_INSE_IsEEEENS6_16discard_iteratorINS6_11use_defaultEEESI_PmS8_NS6_8equal_toIjEEEE10hipError_tPvRmT2_T3_mT4_T5_T6_T7_T8_P12ihipStream_tbENKUlT_T0_E_clISt17integral_constantIbLb1EES15_IbLb0EEEEDaS11_S12_EUlS11_E_NS1_11comp_targetILNS1_3genE0ELNS1_11target_archE4294967295ELNS1_3gpuE0ELNS1_3repE0EEENS1_30default_config_static_selectorELNS0_4arch9wavefront6targetE1EEEvT1_: ; @_ZN7rocprim17ROCPRIM_400000_NS6detail17trampoline_kernelINS0_14default_configENS1_29reduce_by_key_config_selectorIjsN6thrust23THRUST_200600_302600_NS4plusIsEEEEZZNS1_33reduce_by_key_impl_wrapped_configILNS1_25lookback_scan_determinismE0ES3_S9_NS6_6detail15normal_iteratorINS6_10device_ptrIjEEEENSD_INSE_IsEEEENS6_16discard_iteratorINS6_11use_defaultEEESI_PmS8_NS6_8equal_toIjEEEE10hipError_tPvRmT2_T3_mT4_T5_T6_T7_T8_P12ihipStream_tbENKUlT_T0_E_clISt17integral_constantIbLb1EES15_IbLb0EEEEDaS11_S12_EUlS11_E_NS1_11comp_targetILNS1_3genE0ELNS1_11target_archE4294967295ELNS1_3gpuE0ELNS1_3repE0EEENS1_30default_config_static_selectorELNS0_4arch9wavefront6targetE1EEEvT1_
; %bb.0:
	.section	.rodata,"a",@progbits
	.p2align	6, 0x0
	.amdhsa_kernel _ZN7rocprim17ROCPRIM_400000_NS6detail17trampoline_kernelINS0_14default_configENS1_29reduce_by_key_config_selectorIjsN6thrust23THRUST_200600_302600_NS4plusIsEEEEZZNS1_33reduce_by_key_impl_wrapped_configILNS1_25lookback_scan_determinismE0ES3_S9_NS6_6detail15normal_iteratorINS6_10device_ptrIjEEEENSD_INSE_IsEEEENS6_16discard_iteratorINS6_11use_defaultEEESI_PmS8_NS6_8equal_toIjEEEE10hipError_tPvRmT2_T3_mT4_T5_T6_T7_T8_P12ihipStream_tbENKUlT_T0_E_clISt17integral_constantIbLb1EES15_IbLb0EEEEDaS11_S12_EUlS11_E_NS1_11comp_targetILNS1_3genE0ELNS1_11target_archE4294967295ELNS1_3gpuE0ELNS1_3repE0EEENS1_30default_config_static_selectorELNS0_4arch9wavefront6targetE1EEEvT1_
		.amdhsa_group_segment_fixed_size 0
		.amdhsa_private_segment_fixed_size 0
		.amdhsa_kernarg_size 128
		.amdhsa_user_sgpr_count 6
		.amdhsa_user_sgpr_private_segment_buffer 1
		.amdhsa_user_sgpr_dispatch_ptr 0
		.amdhsa_user_sgpr_queue_ptr 0
		.amdhsa_user_sgpr_kernarg_segment_ptr 1
		.amdhsa_user_sgpr_dispatch_id 0
		.amdhsa_user_sgpr_flat_scratch_init 0
		.amdhsa_user_sgpr_kernarg_preload_length 0
		.amdhsa_user_sgpr_kernarg_preload_offset 0
		.amdhsa_user_sgpr_private_segment_size 0
		.amdhsa_uses_dynamic_stack 0
		.amdhsa_system_sgpr_private_segment_wavefront_offset 0
		.amdhsa_system_sgpr_workgroup_id_x 1
		.amdhsa_system_sgpr_workgroup_id_y 0
		.amdhsa_system_sgpr_workgroup_id_z 0
		.amdhsa_system_sgpr_workgroup_info 0
		.amdhsa_system_vgpr_workitem_id 0
		.amdhsa_next_free_vgpr 1
		.amdhsa_next_free_sgpr 0
		.amdhsa_accum_offset 4
		.amdhsa_reserve_vcc 0
		.amdhsa_reserve_flat_scratch 0
		.amdhsa_float_round_mode_32 0
		.amdhsa_float_round_mode_16_64 0
		.amdhsa_float_denorm_mode_32 3
		.amdhsa_float_denorm_mode_16_64 3
		.amdhsa_dx10_clamp 1
		.amdhsa_ieee_mode 1
		.amdhsa_fp16_overflow 0
		.amdhsa_tg_split 0
		.amdhsa_exception_fp_ieee_invalid_op 0
		.amdhsa_exception_fp_denorm_src 0
		.amdhsa_exception_fp_ieee_div_zero 0
		.amdhsa_exception_fp_ieee_overflow 0
		.amdhsa_exception_fp_ieee_underflow 0
		.amdhsa_exception_fp_ieee_inexact 0
		.amdhsa_exception_int_div_zero 0
	.end_amdhsa_kernel
	.section	.text._ZN7rocprim17ROCPRIM_400000_NS6detail17trampoline_kernelINS0_14default_configENS1_29reduce_by_key_config_selectorIjsN6thrust23THRUST_200600_302600_NS4plusIsEEEEZZNS1_33reduce_by_key_impl_wrapped_configILNS1_25lookback_scan_determinismE0ES3_S9_NS6_6detail15normal_iteratorINS6_10device_ptrIjEEEENSD_INSE_IsEEEENS6_16discard_iteratorINS6_11use_defaultEEESI_PmS8_NS6_8equal_toIjEEEE10hipError_tPvRmT2_T3_mT4_T5_T6_T7_T8_P12ihipStream_tbENKUlT_T0_E_clISt17integral_constantIbLb1EES15_IbLb0EEEEDaS11_S12_EUlS11_E_NS1_11comp_targetILNS1_3genE0ELNS1_11target_archE4294967295ELNS1_3gpuE0ELNS1_3repE0EEENS1_30default_config_static_selectorELNS0_4arch9wavefront6targetE1EEEvT1_,"axG",@progbits,_ZN7rocprim17ROCPRIM_400000_NS6detail17trampoline_kernelINS0_14default_configENS1_29reduce_by_key_config_selectorIjsN6thrust23THRUST_200600_302600_NS4plusIsEEEEZZNS1_33reduce_by_key_impl_wrapped_configILNS1_25lookback_scan_determinismE0ES3_S9_NS6_6detail15normal_iteratorINS6_10device_ptrIjEEEENSD_INSE_IsEEEENS6_16discard_iteratorINS6_11use_defaultEEESI_PmS8_NS6_8equal_toIjEEEE10hipError_tPvRmT2_T3_mT4_T5_T6_T7_T8_P12ihipStream_tbENKUlT_T0_E_clISt17integral_constantIbLb1EES15_IbLb0EEEEDaS11_S12_EUlS11_E_NS1_11comp_targetILNS1_3genE0ELNS1_11target_archE4294967295ELNS1_3gpuE0ELNS1_3repE0EEENS1_30default_config_static_selectorELNS0_4arch9wavefront6targetE1EEEvT1_,comdat
.Lfunc_end1075:
	.size	_ZN7rocprim17ROCPRIM_400000_NS6detail17trampoline_kernelINS0_14default_configENS1_29reduce_by_key_config_selectorIjsN6thrust23THRUST_200600_302600_NS4plusIsEEEEZZNS1_33reduce_by_key_impl_wrapped_configILNS1_25lookback_scan_determinismE0ES3_S9_NS6_6detail15normal_iteratorINS6_10device_ptrIjEEEENSD_INSE_IsEEEENS6_16discard_iteratorINS6_11use_defaultEEESI_PmS8_NS6_8equal_toIjEEEE10hipError_tPvRmT2_T3_mT4_T5_T6_T7_T8_P12ihipStream_tbENKUlT_T0_E_clISt17integral_constantIbLb1EES15_IbLb0EEEEDaS11_S12_EUlS11_E_NS1_11comp_targetILNS1_3genE0ELNS1_11target_archE4294967295ELNS1_3gpuE0ELNS1_3repE0EEENS1_30default_config_static_selectorELNS0_4arch9wavefront6targetE1EEEvT1_, .Lfunc_end1075-_ZN7rocprim17ROCPRIM_400000_NS6detail17trampoline_kernelINS0_14default_configENS1_29reduce_by_key_config_selectorIjsN6thrust23THRUST_200600_302600_NS4plusIsEEEEZZNS1_33reduce_by_key_impl_wrapped_configILNS1_25lookback_scan_determinismE0ES3_S9_NS6_6detail15normal_iteratorINS6_10device_ptrIjEEEENSD_INSE_IsEEEENS6_16discard_iteratorINS6_11use_defaultEEESI_PmS8_NS6_8equal_toIjEEEE10hipError_tPvRmT2_T3_mT4_T5_T6_T7_T8_P12ihipStream_tbENKUlT_T0_E_clISt17integral_constantIbLb1EES15_IbLb0EEEEDaS11_S12_EUlS11_E_NS1_11comp_targetILNS1_3genE0ELNS1_11target_archE4294967295ELNS1_3gpuE0ELNS1_3repE0EEENS1_30default_config_static_selectorELNS0_4arch9wavefront6targetE1EEEvT1_
                                        ; -- End function
	.section	.AMDGPU.csdata,"",@progbits
; Kernel info:
; codeLenInByte = 0
; NumSgprs: 4
; NumVgprs: 0
; NumAgprs: 0
; TotalNumVgprs: 0
; ScratchSize: 0
; MemoryBound: 0
; FloatMode: 240
; IeeeMode: 1
; LDSByteSize: 0 bytes/workgroup (compile time only)
; SGPRBlocks: 0
; VGPRBlocks: 0
; NumSGPRsForWavesPerEU: 4
; NumVGPRsForWavesPerEU: 1
; AccumOffset: 4
; Occupancy: 8
; WaveLimiterHint : 0
; COMPUTE_PGM_RSRC2:SCRATCH_EN: 0
; COMPUTE_PGM_RSRC2:USER_SGPR: 6
; COMPUTE_PGM_RSRC2:TRAP_HANDLER: 0
; COMPUTE_PGM_RSRC2:TGID_X_EN: 1
; COMPUTE_PGM_RSRC2:TGID_Y_EN: 0
; COMPUTE_PGM_RSRC2:TGID_Z_EN: 0
; COMPUTE_PGM_RSRC2:TIDIG_COMP_CNT: 0
; COMPUTE_PGM_RSRC3_GFX90A:ACCUM_OFFSET: 0
; COMPUTE_PGM_RSRC3_GFX90A:TG_SPLIT: 0
	.section	.text._ZN7rocprim17ROCPRIM_400000_NS6detail17trampoline_kernelINS0_14default_configENS1_29reduce_by_key_config_selectorIjsN6thrust23THRUST_200600_302600_NS4plusIsEEEEZZNS1_33reduce_by_key_impl_wrapped_configILNS1_25lookback_scan_determinismE0ES3_S9_NS6_6detail15normal_iteratorINS6_10device_ptrIjEEEENSD_INSE_IsEEEENS6_16discard_iteratorINS6_11use_defaultEEESI_PmS8_NS6_8equal_toIjEEEE10hipError_tPvRmT2_T3_mT4_T5_T6_T7_T8_P12ihipStream_tbENKUlT_T0_E_clISt17integral_constantIbLb1EES15_IbLb0EEEEDaS11_S12_EUlS11_E_NS1_11comp_targetILNS1_3genE5ELNS1_11target_archE942ELNS1_3gpuE9ELNS1_3repE0EEENS1_30default_config_static_selectorELNS0_4arch9wavefront6targetE1EEEvT1_,"axG",@progbits,_ZN7rocprim17ROCPRIM_400000_NS6detail17trampoline_kernelINS0_14default_configENS1_29reduce_by_key_config_selectorIjsN6thrust23THRUST_200600_302600_NS4plusIsEEEEZZNS1_33reduce_by_key_impl_wrapped_configILNS1_25lookback_scan_determinismE0ES3_S9_NS6_6detail15normal_iteratorINS6_10device_ptrIjEEEENSD_INSE_IsEEEENS6_16discard_iteratorINS6_11use_defaultEEESI_PmS8_NS6_8equal_toIjEEEE10hipError_tPvRmT2_T3_mT4_T5_T6_T7_T8_P12ihipStream_tbENKUlT_T0_E_clISt17integral_constantIbLb1EES15_IbLb0EEEEDaS11_S12_EUlS11_E_NS1_11comp_targetILNS1_3genE5ELNS1_11target_archE942ELNS1_3gpuE9ELNS1_3repE0EEENS1_30default_config_static_selectorELNS0_4arch9wavefront6targetE1EEEvT1_,comdat
	.protected	_ZN7rocprim17ROCPRIM_400000_NS6detail17trampoline_kernelINS0_14default_configENS1_29reduce_by_key_config_selectorIjsN6thrust23THRUST_200600_302600_NS4plusIsEEEEZZNS1_33reduce_by_key_impl_wrapped_configILNS1_25lookback_scan_determinismE0ES3_S9_NS6_6detail15normal_iteratorINS6_10device_ptrIjEEEENSD_INSE_IsEEEENS6_16discard_iteratorINS6_11use_defaultEEESI_PmS8_NS6_8equal_toIjEEEE10hipError_tPvRmT2_T3_mT4_T5_T6_T7_T8_P12ihipStream_tbENKUlT_T0_E_clISt17integral_constantIbLb1EES15_IbLb0EEEEDaS11_S12_EUlS11_E_NS1_11comp_targetILNS1_3genE5ELNS1_11target_archE942ELNS1_3gpuE9ELNS1_3repE0EEENS1_30default_config_static_selectorELNS0_4arch9wavefront6targetE1EEEvT1_ ; -- Begin function _ZN7rocprim17ROCPRIM_400000_NS6detail17trampoline_kernelINS0_14default_configENS1_29reduce_by_key_config_selectorIjsN6thrust23THRUST_200600_302600_NS4plusIsEEEEZZNS1_33reduce_by_key_impl_wrapped_configILNS1_25lookback_scan_determinismE0ES3_S9_NS6_6detail15normal_iteratorINS6_10device_ptrIjEEEENSD_INSE_IsEEEENS6_16discard_iteratorINS6_11use_defaultEEESI_PmS8_NS6_8equal_toIjEEEE10hipError_tPvRmT2_T3_mT4_T5_T6_T7_T8_P12ihipStream_tbENKUlT_T0_E_clISt17integral_constantIbLb1EES15_IbLb0EEEEDaS11_S12_EUlS11_E_NS1_11comp_targetILNS1_3genE5ELNS1_11target_archE942ELNS1_3gpuE9ELNS1_3repE0EEENS1_30default_config_static_selectorELNS0_4arch9wavefront6targetE1EEEvT1_
	.globl	_ZN7rocprim17ROCPRIM_400000_NS6detail17trampoline_kernelINS0_14default_configENS1_29reduce_by_key_config_selectorIjsN6thrust23THRUST_200600_302600_NS4plusIsEEEEZZNS1_33reduce_by_key_impl_wrapped_configILNS1_25lookback_scan_determinismE0ES3_S9_NS6_6detail15normal_iteratorINS6_10device_ptrIjEEEENSD_INSE_IsEEEENS6_16discard_iteratorINS6_11use_defaultEEESI_PmS8_NS6_8equal_toIjEEEE10hipError_tPvRmT2_T3_mT4_T5_T6_T7_T8_P12ihipStream_tbENKUlT_T0_E_clISt17integral_constantIbLb1EES15_IbLb0EEEEDaS11_S12_EUlS11_E_NS1_11comp_targetILNS1_3genE5ELNS1_11target_archE942ELNS1_3gpuE9ELNS1_3repE0EEENS1_30default_config_static_selectorELNS0_4arch9wavefront6targetE1EEEvT1_
	.p2align	8
	.type	_ZN7rocprim17ROCPRIM_400000_NS6detail17trampoline_kernelINS0_14default_configENS1_29reduce_by_key_config_selectorIjsN6thrust23THRUST_200600_302600_NS4plusIsEEEEZZNS1_33reduce_by_key_impl_wrapped_configILNS1_25lookback_scan_determinismE0ES3_S9_NS6_6detail15normal_iteratorINS6_10device_ptrIjEEEENSD_INSE_IsEEEENS6_16discard_iteratorINS6_11use_defaultEEESI_PmS8_NS6_8equal_toIjEEEE10hipError_tPvRmT2_T3_mT4_T5_T6_T7_T8_P12ihipStream_tbENKUlT_T0_E_clISt17integral_constantIbLb1EES15_IbLb0EEEEDaS11_S12_EUlS11_E_NS1_11comp_targetILNS1_3genE5ELNS1_11target_archE942ELNS1_3gpuE9ELNS1_3repE0EEENS1_30default_config_static_selectorELNS0_4arch9wavefront6targetE1EEEvT1_,@function
_ZN7rocprim17ROCPRIM_400000_NS6detail17trampoline_kernelINS0_14default_configENS1_29reduce_by_key_config_selectorIjsN6thrust23THRUST_200600_302600_NS4plusIsEEEEZZNS1_33reduce_by_key_impl_wrapped_configILNS1_25lookback_scan_determinismE0ES3_S9_NS6_6detail15normal_iteratorINS6_10device_ptrIjEEEENSD_INSE_IsEEEENS6_16discard_iteratorINS6_11use_defaultEEESI_PmS8_NS6_8equal_toIjEEEE10hipError_tPvRmT2_T3_mT4_T5_T6_T7_T8_P12ihipStream_tbENKUlT_T0_E_clISt17integral_constantIbLb1EES15_IbLb0EEEEDaS11_S12_EUlS11_E_NS1_11comp_targetILNS1_3genE5ELNS1_11target_archE942ELNS1_3gpuE9ELNS1_3repE0EEENS1_30default_config_static_selectorELNS0_4arch9wavefront6targetE1EEEvT1_: ; @_ZN7rocprim17ROCPRIM_400000_NS6detail17trampoline_kernelINS0_14default_configENS1_29reduce_by_key_config_selectorIjsN6thrust23THRUST_200600_302600_NS4plusIsEEEEZZNS1_33reduce_by_key_impl_wrapped_configILNS1_25lookback_scan_determinismE0ES3_S9_NS6_6detail15normal_iteratorINS6_10device_ptrIjEEEENSD_INSE_IsEEEENS6_16discard_iteratorINS6_11use_defaultEEESI_PmS8_NS6_8equal_toIjEEEE10hipError_tPvRmT2_T3_mT4_T5_T6_T7_T8_P12ihipStream_tbENKUlT_T0_E_clISt17integral_constantIbLb1EES15_IbLb0EEEEDaS11_S12_EUlS11_E_NS1_11comp_targetILNS1_3genE5ELNS1_11target_archE942ELNS1_3gpuE9ELNS1_3repE0EEENS1_30default_config_static_selectorELNS0_4arch9wavefront6targetE1EEEvT1_
; %bb.0:
	.section	.rodata,"a",@progbits
	.p2align	6, 0x0
	.amdhsa_kernel _ZN7rocprim17ROCPRIM_400000_NS6detail17trampoline_kernelINS0_14default_configENS1_29reduce_by_key_config_selectorIjsN6thrust23THRUST_200600_302600_NS4plusIsEEEEZZNS1_33reduce_by_key_impl_wrapped_configILNS1_25lookback_scan_determinismE0ES3_S9_NS6_6detail15normal_iteratorINS6_10device_ptrIjEEEENSD_INSE_IsEEEENS6_16discard_iteratorINS6_11use_defaultEEESI_PmS8_NS6_8equal_toIjEEEE10hipError_tPvRmT2_T3_mT4_T5_T6_T7_T8_P12ihipStream_tbENKUlT_T0_E_clISt17integral_constantIbLb1EES15_IbLb0EEEEDaS11_S12_EUlS11_E_NS1_11comp_targetILNS1_3genE5ELNS1_11target_archE942ELNS1_3gpuE9ELNS1_3repE0EEENS1_30default_config_static_selectorELNS0_4arch9wavefront6targetE1EEEvT1_
		.amdhsa_group_segment_fixed_size 0
		.amdhsa_private_segment_fixed_size 0
		.amdhsa_kernarg_size 128
		.amdhsa_user_sgpr_count 6
		.amdhsa_user_sgpr_private_segment_buffer 1
		.amdhsa_user_sgpr_dispatch_ptr 0
		.amdhsa_user_sgpr_queue_ptr 0
		.amdhsa_user_sgpr_kernarg_segment_ptr 1
		.amdhsa_user_sgpr_dispatch_id 0
		.amdhsa_user_sgpr_flat_scratch_init 0
		.amdhsa_user_sgpr_kernarg_preload_length 0
		.amdhsa_user_sgpr_kernarg_preload_offset 0
		.amdhsa_user_sgpr_private_segment_size 0
		.amdhsa_uses_dynamic_stack 0
		.amdhsa_system_sgpr_private_segment_wavefront_offset 0
		.amdhsa_system_sgpr_workgroup_id_x 1
		.amdhsa_system_sgpr_workgroup_id_y 0
		.amdhsa_system_sgpr_workgroup_id_z 0
		.amdhsa_system_sgpr_workgroup_info 0
		.amdhsa_system_vgpr_workitem_id 0
		.amdhsa_next_free_vgpr 1
		.amdhsa_next_free_sgpr 0
		.amdhsa_accum_offset 4
		.amdhsa_reserve_vcc 0
		.amdhsa_reserve_flat_scratch 0
		.amdhsa_float_round_mode_32 0
		.amdhsa_float_round_mode_16_64 0
		.amdhsa_float_denorm_mode_32 3
		.amdhsa_float_denorm_mode_16_64 3
		.amdhsa_dx10_clamp 1
		.amdhsa_ieee_mode 1
		.amdhsa_fp16_overflow 0
		.amdhsa_tg_split 0
		.amdhsa_exception_fp_ieee_invalid_op 0
		.amdhsa_exception_fp_denorm_src 0
		.amdhsa_exception_fp_ieee_div_zero 0
		.amdhsa_exception_fp_ieee_overflow 0
		.amdhsa_exception_fp_ieee_underflow 0
		.amdhsa_exception_fp_ieee_inexact 0
		.amdhsa_exception_int_div_zero 0
	.end_amdhsa_kernel
	.section	.text._ZN7rocprim17ROCPRIM_400000_NS6detail17trampoline_kernelINS0_14default_configENS1_29reduce_by_key_config_selectorIjsN6thrust23THRUST_200600_302600_NS4plusIsEEEEZZNS1_33reduce_by_key_impl_wrapped_configILNS1_25lookback_scan_determinismE0ES3_S9_NS6_6detail15normal_iteratorINS6_10device_ptrIjEEEENSD_INSE_IsEEEENS6_16discard_iteratorINS6_11use_defaultEEESI_PmS8_NS6_8equal_toIjEEEE10hipError_tPvRmT2_T3_mT4_T5_T6_T7_T8_P12ihipStream_tbENKUlT_T0_E_clISt17integral_constantIbLb1EES15_IbLb0EEEEDaS11_S12_EUlS11_E_NS1_11comp_targetILNS1_3genE5ELNS1_11target_archE942ELNS1_3gpuE9ELNS1_3repE0EEENS1_30default_config_static_selectorELNS0_4arch9wavefront6targetE1EEEvT1_,"axG",@progbits,_ZN7rocprim17ROCPRIM_400000_NS6detail17trampoline_kernelINS0_14default_configENS1_29reduce_by_key_config_selectorIjsN6thrust23THRUST_200600_302600_NS4plusIsEEEEZZNS1_33reduce_by_key_impl_wrapped_configILNS1_25lookback_scan_determinismE0ES3_S9_NS6_6detail15normal_iteratorINS6_10device_ptrIjEEEENSD_INSE_IsEEEENS6_16discard_iteratorINS6_11use_defaultEEESI_PmS8_NS6_8equal_toIjEEEE10hipError_tPvRmT2_T3_mT4_T5_T6_T7_T8_P12ihipStream_tbENKUlT_T0_E_clISt17integral_constantIbLb1EES15_IbLb0EEEEDaS11_S12_EUlS11_E_NS1_11comp_targetILNS1_3genE5ELNS1_11target_archE942ELNS1_3gpuE9ELNS1_3repE0EEENS1_30default_config_static_selectorELNS0_4arch9wavefront6targetE1EEEvT1_,comdat
.Lfunc_end1076:
	.size	_ZN7rocprim17ROCPRIM_400000_NS6detail17trampoline_kernelINS0_14default_configENS1_29reduce_by_key_config_selectorIjsN6thrust23THRUST_200600_302600_NS4plusIsEEEEZZNS1_33reduce_by_key_impl_wrapped_configILNS1_25lookback_scan_determinismE0ES3_S9_NS6_6detail15normal_iteratorINS6_10device_ptrIjEEEENSD_INSE_IsEEEENS6_16discard_iteratorINS6_11use_defaultEEESI_PmS8_NS6_8equal_toIjEEEE10hipError_tPvRmT2_T3_mT4_T5_T6_T7_T8_P12ihipStream_tbENKUlT_T0_E_clISt17integral_constantIbLb1EES15_IbLb0EEEEDaS11_S12_EUlS11_E_NS1_11comp_targetILNS1_3genE5ELNS1_11target_archE942ELNS1_3gpuE9ELNS1_3repE0EEENS1_30default_config_static_selectorELNS0_4arch9wavefront6targetE1EEEvT1_, .Lfunc_end1076-_ZN7rocprim17ROCPRIM_400000_NS6detail17trampoline_kernelINS0_14default_configENS1_29reduce_by_key_config_selectorIjsN6thrust23THRUST_200600_302600_NS4plusIsEEEEZZNS1_33reduce_by_key_impl_wrapped_configILNS1_25lookback_scan_determinismE0ES3_S9_NS6_6detail15normal_iteratorINS6_10device_ptrIjEEEENSD_INSE_IsEEEENS6_16discard_iteratorINS6_11use_defaultEEESI_PmS8_NS6_8equal_toIjEEEE10hipError_tPvRmT2_T3_mT4_T5_T6_T7_T8_P12ihipStream_tbENKUlT_T0_E_clISt17integral_constantIbLb1EES15_IbLb0EEEEDaS11_S12_EUlS11_E_NS1_11comp_targetILNS1_3genE5ELNS1_11target_archE942ELNS1_3gpuE9ELNS1_3repE0EEENS1_30default_config_static_selectorELNS0_4arch9wavefront6targetE1EEEvT1_
                                        ; -- End function
	.section	.AMDGPU.csdata,"",@progbits
; Kernel info:
; codeLenInByte = 0
; NumSgprs: 4
; NumVgprs: 0
; NumAgprs: 0
; TotalNumVgprs: 0
; ScratchSize: 0
; MemoryBound: 0
; FloatMode: 240
; IeeeMode: 1
; LDSByteSize: 0 bytes/workgroup (compile time only)
; SGPRBlocks: 0
; VGPRBlocks: 0
; NumSGPRsForWavesPerEU: 4
; NumVGPRsForWavesPerEU: 1
; AccumOffset: 4
; Occupancy: 8
; WaveLimiterHint : 0
; COMPUTE_PGM_RSRC2:SCRATCH_EN: 0
; COMPUTE_PGM_RSRC2:USER_SGPR: 6
; COMPUTE_PGM_RSRC2:TRAP_HANDLER: 0
; COMPUTE_PGM_RSRC2:TGID_X_EN: 1
; COMPUTE_PGM_RSRC2:TGID_Y_EN: 0
; COMPUTE_PGM_RSRC2:TGID_Z_EN: 0
; COMPUTE_PGM_RSRC2:TIDIG_COMP_CNT: 0
; COMPUTE_PGM_RSRC3_GFX90A:ACCUM_OFFSET: 0
; COMPUTE_PGM_RSRC3_GFX90A:TG_SPLIT: 0
	.section	.text._ZN7rocprim17ROCPRIM_400000_NS6detail17trampoline_kernelINS0_14default_configENS1_29reduce_by_key_config_selectorIjsN6thrust23THRUST_200600_302600_NS4plusIsEEEEZZNS1_33reduce_by_key_impl_wrapped_configILNS1_25lookback_scan_determinismE0ES3_S9_NS6_6detail15normal_iteratorINS6_10device_ptrIjEEEENSD_INSE_IsEEEENS6_16discard_iteratorINS6_11use_defaultEEESI_PmS8_NS6_8equal_toIjEEEE10hipError_tPvRmT2_T3_mT4_T5_T6_T7_T8_P12ihipStream_tbENKUlT_T0_E_clISt17integral_constantIbLb1EES15_IbLb0EEEEDaS11_S12_EUlS11_E_NS1_11comp_targetILNS1_3genE4ELNS1_11target_archE910ELNS1_3gpuE8ELNS1_3repE0EEENS1_30default_config_static_selectorELNS0_4arch9wavefront6targetE1EEEvT1_,"axG",@progbits,_ZN7rocprim17ROCPRIM_400000_NS6detail17trampoline_kernelINS0_14default_configENS1_29reduce_by_key_config_selectorIjsN6thrust23THRUST_200600_302600_NS4plusIsEEEEZZNS1_33reduce_by_key_impl_wrapped_configILNS1_25lookback_scan_determinismE0ES3_S9_NS6_6detail15normal_iteratorINS6_10device_ptrIjEEEENSD_INSE_IsEEEENS6_16discard_iteratorINS6_11use_defaultEEESI_PmS8_NS6_8equal_toIjEEEE10hipError_tPvRmT2_T3_mT4_T5_T6_T7_T8_P12ihipStream_tbENKUlT_T0_E_clISt17integral_constantIbLb1EES15_IbLb0EEEEDaS11_S12_EUlS11_E_NS1_11comp_targetILNS1_3genE4ELNS1_11target_archE910ELNS1_3gpuE8ELNS1_3repE0EEENS1_30default_config_static_selectorELNS0_4arch9wavefront6targetE1EEEvT1_,comdat
	.protected	_ZN7rocprim17ROCPRIM_400000_NS6detail17trampoline_kernelINS0_14default_configENS1_29reduce_by_key_config_selectorIjsN6thrust23THRUST_200600_302600_NS4plusIsEEEEZZNS1_33reduce_by_key_impl_wrapped_configILNS1_25lookback_scan_determinismE0ES3_S9_NS6_6detail15normal_iteratorINS6_10device_ptrIjEEEENSD_INSE_IsEEEENS6_16discard_iteratorINS6_11use_defaultEEESI_PmS8_NS6_8equal_toIjEEEE10hipError_tPvRmT2_T3_mT4_T5_T6_T7_T8_P12ihipStream_tbENKUlT_T0_E_clISt17integral_constantIbLb1EES15_IbLb0EEEEDaS11_S12_EUlS11_E_NS1_11comp_targetILNS1_3genE4ELNS1_11target_archE910ELNS1_3gpuE8ELNS1_3repE0EEENS1_30default_config_static_selectorELNS0_4arch9wavefront6targetE1EEEvT1_ ; -- Begin function _ZN7rocprim17ROCPRIM_400000_NS6detail17trampoline_kernelINS0_14default_configENS1_29reduce_by_key_config_selectorIjsN6thrust23THRUST_200600_302600_NS4plusIsEEEEZZNS1_33reduce_by_key_impl_wrapped_configILNS1_25lookback_scan_determinismE0ES3_S9_NS6_6detail15normal_iteratorINS6_10device_ptrIjEEEENSD_INSE_IsEEEENS6_16discard_iteratorINS6_11use_defaultEEESI_PmS8_NS6_8equal_toIjEEEE10hipError_tPvRmT2_T3_mT4_T5_T6_T7_T8_P12ihipStream_tbENKUlT_T0_E_clISt17integral_constantIbLb1EES15_IbLb0EEEEDaS11_S12_EUlS11_E_NS1_11comp_targetILNS1_3genE4ELNS1_11target_archE910ELNS1_3gpuE8ELNS1_3repE0EEENS1_30default_config_static_selectorELNS0_4arch9wavefront6targetE1EEEvT1_
	.globl	_ZN7rocprim17ROCPRIM_400000_NS6detail17trampoline_kernelINS0_14default_configENS1_29reduce_by_key_config_selectorIjsN6thrust23THRUST_200600_302600_NS4plusIsEEEEZZNS1_33reduce_by_key_impl_wrapped_configILNS1_25lookback_scan_determinismE0ES3_S9_NS6_6detail15normal_iteratorINS6_10device_ptrIjEEEENSD_INSE_IsEEEENS6_16discard_iteratorINS6_11use_defaultEEESI_PmS8_NS6_8equal_toIjEEEE10hipError_tPvRmT2_T3_mT4_T5_T6_T7_T8_P12ihipStream_tbENKUlT_T0_E_clISt17integral_constantIbLb1EES15_IbLb0EEEEDaS11_S12_EUlS11_E_NS1_11comp_targetILNS1_3genE4ELNS1_11target_archE910ELNS1_3gpuE8ELNS1_3repE0EEENS1_30default_config_static_selectorELNS0_4arch9wavefront6targetE1EEEvT1_
	.p2align	8
	.type	_ZN7rocprim17ROCPRIM_400000_NS6detail17trampoline_kernelINS0_14default_configENS1_29reduce_by_key_config_selectorIjsN6thrust23THRUST_200600_302600_NS4plusIsEEEEZZNS1_33reduce_by_key_impl_wrapped_configILNS1_25lookback_scan_determinismE0ES3_S9_NS6_6detail15normal_iteratorINS6_10device_ptrIjEEEENSD_INSE_IsEEEENS6_16discard_iteratorINS6_11use_defaultEEESI_PmS8_NS6_8equal_toIjEEEE10hipError_tPvRmT2_T3_mT4_T5_T6_T7_T8_P12ihipStream_tbENKUlT_T0_E_clISt17integral_constantIbLb1EES15_IbLb0EEEEDaS11_S12_EUlS11_E_NS1_11comp_targetILNS1_3genE4ELNS1_11target_archE910ELNS1_3gpuE8ELNS1_3repE0EEENS1_30default_config_static_selectorELNS0_4arch9wavefront6targetE1EEEvT1_,@function
_ZN7rocprim17ROCPRIM_400000_NS6detail17trampoline_kernelINS0_14default_configENS1_29reduce_by_key_config_selectorIjsN6thrust23THRUST_200600_302600_NS4plusIsEEEEZZNS1_33reduce_by_key_impl_wrapped_configILNS1_25lookback_scan_determinismE0ES3_S9_NS6_6detail15normal_iteratorINS6_10device_ptrIjEEEENSD_INSE_IsEEEENS6_16discard_iteratorINS6_11use_defaultEEESI_PmS8_NS6_8equal_toIjEEEE10hipError_tPvRmT2_T3_mT4_T5_T6_T7_T8_P12ihipStream_tbENKUlT_T0_E_clISt17integral_constantIbLb1EES15_IbLb0EEEEDaS11_S12_EUlS11_E_NS1_11comp_targetILNS1_3genE4ELNS1_11target_archE910ELNS1_3gpuE8ELNS1_3repE0EEENS1_30default_config_static_selectorELNS0_4arch9wavefront6targetE1EEEvT1_: ; @_ZN7rocprim17ROCPRIM_400000_NS6detail17trampoline_kernelINS0_14default_configENS1_29reduce_by_key_config_selectorIjsN6thrust23THRUST_200600_302600_NS4plusIsEEEEZZNS1_33reduce_by_key_impl_wrapped_configILNS1_25lookback_scan_determinismE0ES3_S9_NS6_6detail15normal_iteratorINS6_10device_ptrIjEEEENSD_INSE_IsEEEENS6_16discard_iteratorINS6_11use_defaultEEESI_PmS8_NS6_8equal_toIjEEEE10hipError_tPvRmT2_T3_mT4_T5_T6_T7_T8_P12ihipStream_tbENKUlT_T0_E_clISt17integral_constantIbLb1EES15_IbLb0EEEEDaS11_S12_EUlS11_E_NS1_11comp_targetILNS1_3genE4ELNS1_11target_archE910ELNS1_3gpuE8ELNS1_3repE0EEENS1_30default_config_static_selectorELNS0_4arch9wavefront6targetE1EEEvT1_
; %bb.0:
	s_load_dwordx4 s[0:3], s[4:5], 0x0
	s_load_dwordx2 s[8:9], s[4:5], 0x10
	s_load_dwordx2 s[50:51], s[4:5], 0x70
	s_load_dwordx4 s[44:47], s[4:5], 0x60
	s_load_dwordx8 s[36:43], s[4:5], 0x40
	s_waitcnt lgkmcnt(0)
	s_lshl_b64 s[10:11], s[2:3], 2
	s_add_u32 s7, s0, s10
	s_addc_u32 s10, s1, s11
	s_lshl_b64 s[0:1], s[2:3], 1
	s_add_u32 s8, s8, s0
	s_addc_u32 s9, s9, s1
	s_mul_i32 s0, s40, s39
	s_mul_hi_u32 s1, s40, s38
	s_add_i32 s0, s1, s0
	s_mul_i32 s1, s41, s38
	s_add_i32 s11, s0, s1
	s_mul_i32 s0, s6, 0xf00
	s_mov_b32 s1, 0
	s_lshl_b64 s[2:3], s[0:1], 2
	s_add_u32 s7, s7, s2
	s_addc_u32 s56, s10, s3
	s_lshl_b64 s[0:1], s[0:1], 1
	s_add_u32 s57, s8, s0
	s_mul_i32 s12, s40, s38
	s_addc_u32 s58, s9, s1
	s_add_u32 s52, s12, s6
	s_addc_u32 s53, s11, 0
	s_add_u32 s2, s42, -1
	s_addc_u32 s3, s43, -1
	s_cmp_eq_u64 s[52:53], s[2:3]
	s_cselect_b64 s[48:49], -1, 0
	s_cmp_lg_u64 s[52:53], s[2:3]
	s_mov_b64 s[0:1], -1
	s_cselect_b64 s[54:55], -1, 0
	s_mul_i32 s33, s2, 0xfffff100
	s_and_b64 vcc, exec, s[48:49]
	s_cbranch_vccnz .LBB1077_2
; %bb.1:
	v_lshlrev_b32_e32 v1, 2, v0
	v_mov_b32_e32 v3, s56
	v_add_co_u32_e32 v2, vcc, s7, v1
	v_addc_co_u32_e32 v3, vcc, 0, v3, vcc
	v_add_co_u32_e32 v4, vcc, 0x1000, v2
	v_addc_co_u32_e32 v5, vcc, 0, v3, vcc
	flat_load_dword v6, v[2:3]
	flat_load_dword v7, v[2:3] offset:1024
	flat_load_dword v8, v[2:3] offset:2048
	flat_load_dword v9, v[2:3] offset:3072
	flat_load_dword v10, v[4:5]
	flat_load_dword v11, v[4:5] offset:1024
	flat_load_dword v12, v[4:5] offset:2048
	;; [unrolled: 1-line block ×3, first 2 shown]
	v_add_co_u32_e32 v4, vcc, 0x2000, v2
	v_addc_co_u32_e32 v5, vcc, 0, v3, vcc
	v_add_co_u32_e32 v2, vcc, 0x3000, v2
	v_addc_co_u32_e32 v3, vcc, 0, v3, vcc
	flat_load_dword v14, v[4:5]
	flat_load_dword v15, v[4:5] offset:1024
	flat_load_dword v16, v[4:5] offset:2048
	;; [unrolled: 1-line block ×3, first 2 shown]
	flat_load_dword v18, v[2:3]
	flat_load_dword v19, v[2:3] offset:1024
	flat_load_dword v20, v[2:3] offset:2048
	v_lshlrev_b32_e32 v2, 1, v0
	v_mov_b32_e32 v3, s58
	v_add_co_u32_e32 v2, vcc, s57, v2
	s_movk_i32 s0, 0x1000
	v_addc_co_u32_e32 v3, vcc, 0, v3, vcc
	v_mad_u32_u24 v39, v0, 56, v1
	v_add_co_u32_e32 v4, vcc, s0, v2
	v_addc_co_u32_e32 v5, vcc, 0, v3, vcc
	s_movk_i32 s0, 0xffc6
	v_mul_u32_u24_e32 v24, 15, v0
	v_mad_u32_u24 v38, v0, 15, 1
	v_mad_u32_u24 v34, v0, 15, 2
	;; [unrolled: 1-line block ×14, first 2 shown]
	s_waitcnt vmcnt(0) lgkmcnt(0)
	ds_write2st64_b32 v1, v6, v7 offset1:4
	ds_write2st64_b32 v1, v8, v9 offset0:8 offset1:12
	ds_write2st64_b32 v1, v10, v11 offset0:16 offset1:20
	;; [unrolled: 1-line block ×6, first 2 shown]
	ds_write_b32 v1, v20 offset:14336
	s_waitcnt lgkmcnt(0)
	s_barrier
	ds_read2_b32 v[22:23], v39 offset1:1
	ds_read2_b32 v[20:21], v39 offset0:2 offset1:3
	ds_read2_b32 v[18:19], v39 offset0:4 offset1:5
	;; [unrolled: 1-line block ×6, first 2 shown]
	ds_read_b32 v1, v39 offset:56
	s_waitcnt lgkmcnt(0)
	s_barrier
	flat_load_ushort v7, v[2:3]
	flat_load_ushort v40, v[2:3] offset:512
	flat_load_ushort v41, v[2:3] offset:1024
	;; [unrolled: 1-line block ×7, first 2 shown]
	flat_load_ushort v47, v[4:5]
	flat_load_ushort v48, v[4:5] offset:512
	flat_load_ushort v49, v[4:5] offset:1024
	;; [unrolled: 1-line block ×6, first 2 shown]
	v_mad_i32_i24 v39, v0, s0, v39
	v_mov_b32_e32 v8, v22
	v_mov_b32_e32 v9, v20
	;; [unrolled: 1-line block ×7, first 2 shown]
	s_waitcnt vmcnt(0) lgkmcnt(0)
	ds_write_b16 v39, v7
	ds_write_b16 v39, v40 offset:512
	ds_write_b16 v39, v41 offset:1024
	;; [unrolled: 1-line block ×14, first 2 shown]
	s_waitcnt lgkmcnt(0)
	s_barrier
	s_add_i32 s33, s33, s44
	s_cbranch_execz .LBB1077_3
	s_branch .LBB1077_64
.LBB1077_2:
                                        ; implicit-def: $vgpr1
                                        ; implicit-def: $vgpr10
                                        ; implicit-def: $vgpr12
                                        ; implicit-def: $vgpr14
                                        ; implicit-def: $vgpr16
                                        ; implicit-def: $vgpr18
                                        ; implicit-def: $vgpr20
                                        ; implicit-def: $vgpr22
                                        ; implicit-def: $vgpr25
                                        ; implicit-def: $vgpr29
                                        ; implicit-def: $vgpr26
                                        ; implicit-def: $vgpr30
                                        ; implicit-def: $vgpr27
                                        ; implicit-def: $vgpr31
                                        ; implicit-def: $vgpr28
                                        ; implicit-def: $vgpr35
                                        ; implicit-def: $vgpr32
                                        ; implicit-def: $vgpr36
                                        ; implicit-def: $vgpr33
                                        ; implicit-def: $vgpr37
                                        ; implicit-def: $vgpr34
                                        ; implicit-def: $vgpr38
                                        ; implicit-def: $vgpr24
                                        ; implicit-def: $vgpr2_vgpr3
                                        ; implicit-def: $vgpr4_vgpr5
                                        ; implicit-def: $vgpr8_vgpr9
                                        ; implicit-def: $vgpr6_vgpr7
	s_andn2_b64 vcc, exec, s[0:1]
	s_add_i32 s33, s33, s44
	s_cbranch_vccnz .LBB1077_64
.LBB1077_3:
	v_cmp_gt_u32_e32 vcc, s33, v0
                                        ; implicit-def: $vgpr1
	s_and_saveexec_b64 s[2:3], vcc
	s_cbranch_execz .LBB1077_5
; %bb.4:
	v_lshlrev_b32_e32 v1, 2, v0
	v_mov_b32_e32 v3, s56
	v_add_co_u32_e64 v2, s[0:1], s7, v1
	v_addc_co_u32_e64 v3, s[0:1], 0, v3, s[0:1]
	flat_load_dword v1, v[2:3]
.LBB1077_5:
	s_or_b64 exec, exec, s[2:3]
	v_or_b32_e32 v2, 0x100, v0
	v_cmp_gt_u32_e64 s[0:1], s33, v2
                                        ; implicit-def: $vgpr4
	s_and_saveexec_b64 s[8:9], s[0:1]
	s_cbranch_execz .LBB1077_7
; %bb.6:
	v_lshlrev_b32_e32 v2, 2, v0
	v_mov_b32_e32 v3, s56
	v_add_co_u32_e64 v2, s[2:3], s7, v2
	v_addc_co_u32_e64 v3, s[2:3], 0, v3, s[2:3]
	flat_load_dword v4, v[2:3] offset:1024
.LBB1077_7:
	s_or_b64 exec, exec, s[8:9]
	v_or_b32_e32 v2, 0x200, v0
	v_cmp_gt_u32_e64 s[2:3], s33, v2
                                        ; implicit-def: $vgpr10
	s_and_saveexec_b64 s[10:11], s[2:3]
	s_cbranch_execz .LBB1077_9
; %bb.8:
	v_lshlrev_b32_e32 v2, 2, v0
	v_mov_b32_e32 v3, s56
	v_add_co_u32_e64 v2, s[8:9], s7, v2
	v_addc_co_u32_e64 v3, s[8:9], 0, v3, s[8:9]
	flat_load_dword v10, v[2:3] offset:2048
.LBB1077_9:
	s_or_b64 exec, exec, s[10:11]
	v_or_b32_e32 v2, 0x300, v0
	v_cmp_gt_u32_e64 s[30:31], s33, v2
                                        ; implicit-def: $vgpr11
	s_and_saveexec_b64 s[10:11], s[30:31]
	s_cbranch_execz .LBB1077_11
; %bb.10:
	v_lshlrev_b32_e32 v2, 2, v0
	v_mov_b32_e32 v3, s56
	v_add_co_u32_e64 v2, s[8:9], s7, v2
	v_addc_co_u32_e64 v3, s[8:9], 0, v3, s[8:9]
	flat_load_dword v11, v[2:3] offset:3072
.LBB1077_11:
	s_or_b64 exec, exec, s[10:11]
	v_or_b32_e32 v2, 0x400, v0
	v_cmp_gt_u32_e64 s[8:9], s33, v2
                                        ; implicit-def: $vgpr12
	s_and_saveexec_b64 s[12:13], s[8:9]
	s_cbranch_execz .LBB1077_13
; %bb.12:
	v_lshlrev_b32_e32 v2, 2, v2
	v_mov_b32_e32 v3, s56
	v_add_co_u32_e64 v2, s[10:11], s7, v2
	v_addc_co_u32_e64 v3, s[10:11], 0, v3, s[10:11]
	flat_load_dword v12, v[2:3]
.LBB1077_13:
	s_or_b64 exec, exec, s[12:13]
	v_or_b32_e32 v2, 0x500, v0
	v_cmp_gt_u32_e64 s[10:11], s33, v2
                                        ; implicit-def: $vgpr13
	s_and_saveexec_b64 s[14:15], s[10:11]
	s_cbranch_execz .LBB1077_15
; %bb.14:
	v_lshlrev_b32_e32 v2, 2, v2
	v_mov_b32_e32 v3, s56
	v_add_co_u32_e64 v2, s[12:13], s7, v2
	v_addc_co_u32_e64 v3, s[12:13], 0, v3, s[12:13]
	flat_load_dword v13, v[2:3]
.LBB1077_15:
	s_or_b64 exec, exec, s[14:15]
	v_or_b32_e32 v2, 0x600, v0
	v_cmp_gt_u32_e64 s[12:13], s33, v2
                                        ; implicit-def: $vgpr14
	s_and_saveexec_b64 s[16:17], s[12:13]
	s_cbranch_execz .LBB1077_17
; %bb.16:
	v_lshlrev_b32_e32 v2, 2, v2
	v_mov_b32_e32 v3, s56
	v_add_co_u32_e64 v2, s[14:15], s7, v2
	v_addc_co_u32_e64 v3, s[14:15], 0, v3, s[14:15]
	flat_load_dword v14, v[2:3]
.LBB1077_17:
	s_or_b64 exec, exec, s[16:17]
	v_or_b32_e32 v2, 0x700, v0
	v_cmp_gt_u32_e64 s[14:15], s33, v2
                                        ; implicit-def: $vgpr15
	s_and_saveexec_b64 s[18:19], s[14:15]
	s_cbranch_execz .LBB1077_19
; %bb.18:
	v_lshlrev_b32_e32 v2, 2, v2
	v_mov_b32_e32 v3, s56
	v_add_co_u32_e64 v2, s[16:17], s7, v2
	v_addc_co_u32_e64 v3, s[16:17], 0, v3, s[16:17]
	flat_load_dword v15, v[2:3]
.LBB1077_19:
	s_or_b64 exec, exec, s[18:19]
	v_or_b32_e32 v2, 0x800, v0
	v_cmp_gt_u32_e64 s[16:17], s33, v2
                                        ; implicit-def: $vgpr16
	s_and_saveexec_b64 s[20:21], s[16:17]
	s_cbranch_execz .LBB1077_21
; %bb.20:
	v_lshlrev_b32_e32 v3, 2, v2
	v_mov_b32_e32 v5, s56
	v_add_co_u32_e64 v6, s[18:19], s7, v3
	v_addc_co_u32_e64 v7, s[18:19], 0, v5, s[18:19]
	flat_load_dword v16, v[6:7]
.LBB1077_21:
	s_or_b64 exec, exec, s[20:21]
	v_or_b32_e32 v3, 0x900, v0
	v_cmp_gt_u32_e64 s[18:19], s33, v3
                                        ; implicit-def: $vgpr17
	s_and_saveexec_b64 s[22:23], s[18:19]
	s_cbranch_execz .LBB1077_23
; %bb.22:
	v_lshlrev_b32_e32 v5, 2, v3
	v_mov_b32_e32 v7, s56
	v_add_co_u32_e64 v6, s[20:21], s7, v5
	v_addc_co_u32_e64 v7, s[20:21], 0, v7, s[20:21]
	flat_load_dword v17, v[6:7]
.LBB1077_23:
	s_or_b64 exec, exec, s[22:23]
	v_or_b32_e32 v5, 0xa00, v0
	v_cmp_gt_u32_e64 s[20:21], s33, v5
                                        ; implicit-def: $vgpr18
	s_and_saveexec_b64 s[24:25], s[20:21]
	s_cbranch_execz .LBB1077_25
; %bb.24:
	v_lshlrev_b32_e32 v6, 2, v5
	v_mov_b32_e32 v7, s56
	v_add_co_u32_e64 v6, s[22:23], s7, v6
	v_addc_co_u32_e64 v7, s[22:23], 0, v7, s[22:23]
	flat_load_dword v18, v[6:7]
.LBB1077_25:
	s_or_b64 exec, exec, s[24:25]
	v_or_b32_e32 v6, 0xb00, v0
	v_cmp_gt_u32_e64 s[22:23], s33, v6
                                        ; implicit-def: $vgpr19
	s_and_saveexec_b64 s[26:27], s[22:23]
	s_cbranch_execz .LBB1077_27
; %bb.26:
	v_lshlrev_b32_e32 v7, 2, v6
	v_mov_b32_e32 v9, s56
	v_add_co_u32_e64 v8, s[24:25], s7, v7
	v_addc_co_u32_e64 v9, s[24:25], 0, v9, s[24:25]
	flat_load_dword v19, v[8:9]
.LBB1077_27:
	s_or_b64 exec, exec, s[26:27]
	v_or_b32_e32 v7, 0xc00, v0
	v_cmp_gt_u32_e64 s[24:25], s33, v7
                                        ; implicit-def: $vgpr20
	s_and_saveexec_b64 s[28:29], s[24:25]
	s_cbranch_execz .LBB1077_29
; %bb.28:
	v_lshlrev_b32_e32 v8, 2, v7
	v_mov_b32_e32 v9, s56
	v_add_co_u32_e64 v8, s[26:27], s7, v8
	v_addc_co_u32_e64 v9, s[26:27], 0, v9, s[26:27]
	flat_load_dword v20, v[8:9]
.LBB1077_29:
	s_or_b64 exec, exec, s[28:29]
	v_or_b32_e32 v8, 0xd00, v0
	v_cmp_gt_u32_e64 s[26:27], s33, v8
                                        ; implicit-def: $vgpr21
	s_and_saveexec_b64 s[34:35], s[26:27]
	s_cbranch_execz .LBB1077_31
; %bb.30:
	v_lshlrev_b32_e32 v9, 2, v8
	v_mov_b32_e32 v21, s56
	v_add_co_u32_e64 v22, s[28:29], s7, v9
	v_addc_co_u32_e64 v23, s[28:29], 0, v21, s[28:29]
	flat_load_dword v21, v[22:23]
.LBB1077_31:
	s_or_b64 exec, exec, s[34:35]
	v_or_b32_e32 v9, 0xe00, v0
	v_cmp_gt_u32_e64 s[28:29], s33, v9
                                        ; implicit-def: $vgpr22
	s_and_saveexec_b64 s[40:41], s[28:29]
	s_cbranch_execz .LBB1077_33
; %bb.32:
	v_lshlrev_b32_e32 v22, 2, v9
	v_mov_b32_e32 v23, s56
	v_add_co_u32_e64 v22, s[34:35], s7, v22
	v_addc_co_u32_e64 v23, s[34:35], 0, v23, s[34:35]
	flat_load_dword v22, v[22:23]
.LBB1077_33:
	s_or_b64 exec, exec, s[40:41]
	v_lshlrev_b32_e32 v23, 2, v0
	s_waitcnt vmcnt(0) lgkmcnt(0)
	ds_write2st64_b32 v23, v1, v4 offset1:4
	ds_write2st64_b32 v23, v10, v11 offset0:8 offset1:12
	ds_write2st64_b32 v23, v12, v13 offset0:16 offset1:20
	;; [unrolled: 1-line block ×6, first 2 shown]
	ds_write_b32 v23, v22 offset:14336
	v_mad_u32_u24 v4, v0, 56, v23
	s_waitcnt lgkmcnt(0)
	s_barrier
	ds_read2_b32 v[22:23], v4 offset1:1
	ds_read2_b32 v[20:21], v4 offset0:2 offset1:3
	ds_read2_b32 v[18:19], v4 offset0:4 offset1:5
	;; [unrolled: 1-line block ×6, first 2 shown]
	ds_read_b32 v1, v4 offset:56
	s_waitcnt lgkmcnt(0)
	s_barrier
	s_waitcnt lgkmcnt(0)
                                        ; implicit-def: $vgpr39
	s_and_saveexec_b64 s[34:35], vcc
	s_cbranch_execz .LBB1077_47
; %bb.34:
	v_lshlrev_b32_e32 v24, 1, v0
	v_mov_b32_e32 v25, s58
	v_add_co_u32_e32 v24, vcc, s57, v24
	v_addc_co_u32_e32 v25, vcc, 0, v25, vcc
	flat_load_ushort v39, v[24:25]
	s_or_b64 exec, exec, s[34:35]
                                        ; implicit-def: $vgpr40
	s_and_saveexec_b64 s[34:35], s[0:1]
	s_cbranch_execnz .LBB1077_48
.LBB1077_35:
	s_or_b64 exec, exec, s[34:35]
                                        ; implicit-def: $vgpr41
	s_and_saveexec_b64 s[0:1], s[2:3]
	s_cbranch_execz .LBB1077_49
.LBB1077_36:
	v_lshlrev_b32_e32 v24, 1, v0
	v_mov_b32_e32 v25, s58
	v_add_co_u32_e32 v24, vcc, s57, v24
	v_addc_co_u32_e32 v25, vcc, 0, v25, vcc
	flat_load_ushort v41, v[24:25] offset:1024
	s_or_b64 exec, exec, s[0:1]
                                        ; implicit-def: $vgpr42
	s_and_saveexec_b64 s[0:1], s[30:31]
	s_cbranch_execnz .LBB1077_50
.LBB1077_37:
	s_or_b64 exec, exec, s[0:1]
                                        ; implicit-def: $vgpr43
	s_and_saveexec_b64 s[0:1], s[8:9]
	s_cbranch_execz .LBB1077_51
.LBB1077_38:
	v_lshlrev_b32_e32 v24, 1, v0
	v_mov_b32_e32 v25, s58
	v_add_co_u32_e32 v24, vcc, s57, v24
	v_addc_co_u32_e32 v25, vcc, 0, v25, vcc
	flat_load_ushort v43, v[24:25] offset:2048
	s_or_b64 exec, exec, s[0:1]
                                        ; implicit-def: $vgpr44
	s_and_saveexec_b64 s[0:1], s[10:11]
	s_cbranch_execnz .LBB1077_52
.LBB1077_39:
	s_or_b64 exec, exec, s[0:1]
                                        ; implicit-def: $vgpr45
	s_and_saveexec_b64 s[0:1], s[12:13]
	s_cbranch_execz .LBB1077_53
.LBB1077_40:
	v_lshlrev_b32_e32 v24, 1, v0
	v_mov_b32_e32 v25, s58
	v_add_co_u32_e32 v24, vcc, s57, v24
	v_addc_co_u32_e32 v25, vcc, 0, v25, vcc
	flat_load_ushort v45, v[24:25] offset:3072
	s_or_b64 exec, exec, s[0:1]
                                        ; implicit-def: $vgpr46
	s_and_saveexec_b64 s[0:1], s[14:15]
	s_cbranch_execnz .LBB1077_54
.LBB1077_41:
	s_or_b64 exec, exec, s[0:1]
                                        ; implicit-def: $vgpr47
	s_and_saveexec_b64 s[0:1], s[16:17]
	s_cbranch_execz .LBB1077_55
.LBB1077_42:
	v_lshlrev_b32_e32 v2, 1, v2
	v_mov_b32_e32 v25, s58
	v_add_co_u32_e32 v24, vcc, s57, v2
	v_addc_co_u32_e32 v25, vcc, 0, v25, vcc
	flat_load_ushort v47, v[24:25]
	s_or_b64 exec, exec, s[0:1]
                                        ; implicit-def: $vgpr2
	s_and_saveexec_b64 s[0:1], s[18:19]
	s_cbranch_execnz .LBB1077_56
.LBB1077_43:
	s_or_b64 exec, exec, s[0:1]
                                        ; implicit-def: $vgpr3
	s_and_saveexec_b64 s[0:1], s[20:21]
	s_cbranch_execz .LBB1077_57
.LBB1077_44:
	v_lshlrev_b32_e32 v3, 1, v5
	v_mov_b32_e32 v5, s58
	v_add_co_u32_e32 v24, vcc, s57, v3
	v_addc_co_u32_e32 v25, vcc, 0, v5, vcc
	flat_load_ushort v3, v[24:25]
	s_or_b64 exec, exec, s[0:1]
                                        ; implicit-def: $vgpr5
	s_and_saveexec_b64 s[0:1], s[22:23]
	s_cbranch_execnz .LBB1077_58
.LBB1077_45:
	s_or_b64 exec, exec, s[0:1]
                                        ; implicit-def: $vgpr6
	s_and_saveexec_b64 s[0:1], s[24:25]
	s_cbranch_execz .LBB1077_59
.LBB1077_46:
	v_lshlrev_b32_e32 v6, 1, v7
	v_mov_b32_e32 v7, s58
	v_add_co_u32_e32 v6, vcc, s57, v6
	v_addc_co_u32_e32 v7, vcc, 0, v7, vcc
	flat_load_ushort v6, v[6:7]
	s_or_b64 exec, exec, s[0:1]
                                        ; implicit-def: $vgpr7
	s_and_saveexec_b64 s[0:1], s[26:27]
	s_cbranch_execz .LBB1077_61
	s_branch .LBB1077_60
.LBB1077_47:
	s_or_b64 exec, exec, s[34:35]
                                        ; implicit-def: $vgpr40
	s_and_saveexec_b64 s[34:35], s[0:1]
	s_cbranch_execz .LBB1077_35
.LBB1077_48:
	v_lshlrev_b32_e32 v24, 1, v0
	v_mov_b32_e32 v25, s58
	v_add_co_u32_e32 v24, vcc, s57, v24
	v_addc_co_u32_e32 v25, vcc, 0, v25, vcc
	flat_load_ushort v40, v[24:25] offset:512
	s_or_b64 exec, exec, s[34:35]
                                        ; implicit-def: $vgpr41
	s_and_saveexec_b64 s[0:1], s[2:3]
	s_cbranch_execnz .LBB1077_36
.LBB1077_49:
	s_or_b64 exec, exec, s[0:1]
                                        ; implicit-def: $vgpr42
	s_and_saveexec_b64 s[0:1], s[30:31]
	s_cbranch_execz .LBB1077_37
.LBB1077_50:
	v_lshlrev_b32_e32 v24, 1, v0
	v_mov_b32_e32 v25, s58
	v_add_co_u32_e32 v24, vcc, s57, v24
	v_addc_co_u32_e32 v25, vcc, 0, v25, vcc
	flat_load_ushort v42, v[24:25] offset:1536
	s_or_b64 exec, exec, s[0:1]
                                        ; implicit-def: $vgpr43
	s_and_saveexec_b64 s[0:1], s[8:9]
	s_cbranch_execnz .LBB1077_38
.LBB1077_51:
	s_or_b64 exec, exec, s[0:1]
                                        ; implicit-def: $vgpr44
	s_and_saveexec_b64 s[0:1], s[10:11]
	s_cbranch_execz .LBB1077_39
.LBB1077_52:
	v_lshlrev_b32_e32 v24, 1, v0
	v_mov_b32_e32 v25, s58
	v_add_co_u32_e32 v24, vcc, s57, v24
	v_addc_co_u32_e32 v25, vcc, 0, v25, vcc
	flat_load_ushort v44, v[24:25] offset:2560
	s_or_b64 exec, exec, s[0:1]
                                        ; implicit-def: $vgpr45
	s_and_saveexec_b64 s[0:1], s[12:13]
	s_cbranch_execnz .LBB1077_40
.LBB1077_53:
	s_or_b64 exec, exec, s[0:1]
                                        ; implicit-def: $vgpr46
	s_and_saveexec_b64 s[0:1], s[14:15]
	s_cbranch_execz .LBB1077_41
.LBB1077_54:
	v_lshlrev_b32_e32 v24, 1, v0
	v_mov_b32_e32 v25, s58
	v_add_co_u32_e32 v24, vcc, s57, v24
	v_addc_co_u32_e32 v25, vcc, 0, v25, vcc
	flat_load_ushort v46, v[24:25] offset:3584
	s_or_b64 exec, exec, s[0:1]
                                        ; implicit-def: $vgpr47
	s_and_saveexec_b64 s[0:1], s[16:17]
	s_cbranch_execnz .LBB1077_42
.LBB1077_55:
	s_or_b64 exec, exec, s[0:1]
                                        ; implicit-def: $vgpr2
	s_and_saveexec_b64 s[0:1], s[18:19]
	s_cbranch_execz .LBB1077_43
.LBB1077_56:
	v_lshlrev_b32_e32 v2, 1, v3
	v_mov_b32_e32 v3, s58
	v_add_co_u32_e32 v2, vcc, s57, v2
	v_addc_co_u32_e32 v3, vcc, 0, v3, vcc
	flat_load_ushort v2, v[2:3]
	s_or_b64 exec, exec, s[0:1]
                                        ; implicit-def: $vgpr3
	s_and_saveexec_b64 s[0:1], s[20:21]
	s_cbranch_execnz .LBB1077_44
.LBB1077_57:
	s_or_b64 exec, exec, s[0:1]
                                        ; implicit-def: $vgpr5
	s_and_saveexec_b64 s[0:1], s[22:23]
	s_cbranch_execz .LBB1077_45
.LBB1077_58:
	v_lshlrev_b32_e32 v5, 1, v6
	v_mov_b32_e32 v6, s58
	v_add_co_u32_e32 v24, vcc, s57, v5
	v_addc_co_u32_e32 v25, vcc, 0, v6, vcc
	flat_load_ushort v5, v[24:25]
	s_or_b64 exec, exec, s[0:1]
                                        ; implicit-def: $vgpr6
	s_and_saveexec_b64 s[0:1], s[24:25]
	s_cbranch_execnz .LBB1077_46
.LBB1077_59:
	s_or_b64 exec, exec, s[0:1]
                                        ; implicit-def: $vgpr7
	s_and_saveexec_b64 s[0:1], s[26:27]
	s_cbranch_execz .LBB1077_61
.LBB1077_60:
	v_lshlrev_b32_e32 v7, 1, v8
	v_mov_b32_e32 v8, s58
	v_add_co_u32_e32 v24, vcc, s57, v7
	v_addc_co_u32_e32 v25, vcc, 0, v8, vcc
	flat_load_ushort v7, v[24:25]
.LBB1077_61:
	s_or_b64 exec, exec, s[0:1]
	v_mul_u32_u24_e32 v24, 15, v0
                                        ; implicit-def: $vgpr8
	s_and_saveexec_b64 s[0:1], s[28:29]
	s_cbranch_execz .LBB1077_63
; %bb.62:
	v_lshlrev_b32_e32 v8, 1, v9
	v_mov_b32_e32 v9, s58
	v_add_co_u32_e32 v8, vcc, s57, v8
	v_addc_co_u32_e32 v9, vcc, 0, v9, vcc
	flat_load_ushort v8, v[8:9]
.LBB1077_63:
	s_or_b64 exec, exec, s[0:1]
	s_movk_i32 s0, 0xffc6
	v_mad_i32_i24 v4, v0, s0, v4
	v_add_u32_e32 v38, 1, v24
	v_add_u32_e32 v34, 2, v24
	v_add_u32_e32 v37, 3, v24
	v_add_u32_e32 v33, 4, v24
	v_add_u32_e32 v36, 5, v24
	v_add_u32_e32 v32, 6, v24
	v_add_u32_e32 v35, 7, v24
	v_add_u32_e32 v28, 8, v24
	v_add_u32_e32 v31, 9, v24
	v_add_u32_e32 v27, 10, v24
	v_add_u32_e32 v30, 11, v24
	v_add_u32_e32 v26, 12, v24
	v_add_u32_e32 v29, 13, v24
	v_add_u32_e32 v25, 14, v24
	s_waitcnt vmcnt(0) lgkmcnt(0)
	ds_write_b16 v4, v39
	ds_write_b16 v4, v40 offset:512
	ds_write_b16 v4, v41 offset:1024
	;; [unrolled: 1-line block ×14, first 2 shown]
	v_mov_b32_e32 v8, v22
	v_mov_b32_e32 v9, v20
	;; [unrolled: 1-line block ×7, first 2 shown]
	s_waitcnt lgkmcnt(0)
	s_barrier
.LBB1077_64:
	v_lshlrev_b32_e32 v7, 1, v24
	v_lshlrev_b32_e32 v24, 1, v38
	;; [unrolled: 1-line block ×8, first 2 shown]
	ds_read_u16 v79, v7
	ds_read_u16 v78, v24
	;; [unrolled: 1-line block ×8, first 2 shown]
	v_lshlrev_b32_e32 v7, 1, v28
	v_lshlrev_b32_e32 v24, 1, v31
	;; [unrolled: 1-line block ×7, first 2 shown]
	ds_read_u16 v77, v7
	ds_read_u16 v75, v24
	;; [unrolled: 1-line block ×7, first 2 shown]
	s_load_dwordx4 s[40:43], s[4:5], 0x28
	s_cmp_eq_u64 s[52:53], 0
	s_cselect_b64 s[30:31], -1, 0
	s_cmp_lg_u64 s[52:53], 0
	s_mov_b64 s[2:3], 0
	s_cselect_b64 s[4:5], -1, 0
	s_and_b64 vcc, exec, s[54:55]
	s_waitcnt lgkmcnt(0)
	s_barrier
	s_cbranch_vccz .LBB1077_70
; %bb.65:
	s_and_b64 vcc, exec, s[4:5]
	s_cbranch_vccz .LBB1077_135
; %bb.66:
	v_mov_b32_e32 v7, s56
	v_add_co_u32_e64 v24, vcc, -4, s7
	v_addc_co_u32_e32 v25, vcc, -1, v7, vcc
	flat_load_dword v7, v[24:25]
	v_lshlrev_b32_e32 v24, 2, v0
	v_cmp_ne_u32_e32 vcc, 0, v0
	ds_write_b32 v24, v1
	s_waitcnt lgkmcnt(0)
	s_barrier
	s_and_saveexec_b64 s[0:1], vcc
	s_cbranch_execz .LBB1077_68
; %bb.67:
	s_waitcnt vmcnt(0)
	v_add_u32_e32 v7, -4, v24
	ds_read_b32 v7, v7
.LBB1077_68:
	s_or_b64 exec, exec, s[0:1]
	v_cmp_ne_u32_e32 vcc, v8, v23
	v_cndmask_b32_e64 v65, 0, 1, vcc
	v_cmp_ne_u32_e32 vcc, v9, v23
	v_cndmask_b32_e64 v64, 0, 1, vcc
	;; [unrolled: 2-line block ×14, first 2 shown]
	s_waitcnt vmcnt(0) lgkmcnt(0)
	v_cmp_ne_u32_e64 s[0:1], v7, v22
	s_mov_b64 s[2:3], -1
.LBB1077_69:
                                        ; implicit-def: $sgpr10
	s_branch .LBB1077_71
.LBB1077_70:
                                        ; implicit-def: $sgpr0_sgpr1
                                        ; implicit-def: $vgpr52
                                        ; implicit-def: $vgpr53
                                        ; implicit-def: $vgpr54
                                        ; implicit-def: $vgpr55
                                        ; implicit-def: $vgpr56
                                        ; implicit-def: $vgpr57
                                        ; implicit-def: $vgpr58
                                        ; implicit-def: $vgpr59
                                        ; implicit-def: $vgpr60
                                        ; implicit-def: $vgpr61
                                        ; implicit-def: $vgpr62
                                        ; implicit-def: $vgpr63
                                        ; implicit-def: $vgpr64
                                        ; implicit-def: $vgpr65
                                        ; implicit-def: $sgpr10
	s_cbranch_execnz .LBB1077_139
.LBB1077_71:
	v_mov_b32_e32 v82, s10
	s_and_saveexec_b64 s[4:5], s[2:3]
.LBB1077_72:
	v_cndmask_b32_e64 v82, 0, 1, s[0:1]
.LBB1077_73:
	s_or_b64 exec, exec, s[4:5]
	s_cmp_eq_u64 s[38:39], 0
	v_add3_u32 v2, v65, v82, v64
	s_cselect_b64 s[34:35], -1, 0
	s_cmp_lg_u32 s6, 0
	v_cmp_eq_u32_e64 s[24:25], 0, v65
	v_cmp_eq_u32_e64 s[22:23], 0, v64
	;; [unrolled: 1-line block ×3, first 2 shown]
	v_add3_u32 v86, v2, v63, v62
	v_cmp_eq_u32_e64 s[18:19], 0, v62
	v_cmp_eq_u32_e64 s[16:17], 0, v61
	v_cmp_eq_u32_e64 s[14:15], 0, v60
	v_cmp_eq_u32_e64 s[12:13], 0, v59
	v_cmp_eq_u32_e64 s[10:11], 0, v58
	v_cmp_eq_u32_e64 s[8:9], 0, v57
	v_cmp_eq_u32_e64 s[28:29], 0, v56
	v_cmp_eq_u32_e64 s[4:5], 0, v55
	v_cmp_eq_u32_e64 s[2:3], 0, v54
	v_cmp_eq_u32_e64 s[0:1], 0, v53
	v_cmp_eq_u32_e32 vcc, 0, v52
	v_mbcnt_lo_u32_b32 v85, -1, 0
	v_lshrrev_b32_e32 v83, 6, v0
	v_or_b32_e32 v84, 63, v0
	s_cbranch_scc0 .LBB1077_104
; %bb.74:
	v_cndmask_b32_e64 v2, 0, v79, s[24:25]
	v_add_u16_e32 v2, v2, v78
	v_cndmask_b32_e64 v2, 0, v2, s[22:23]
	v_add_u16_e32 v2, v2, v76
	v_cndmask_b32_e64 v2, 0, v2, s[20:21]
	v_add_u16_e32 v2, v2, v74
	v_cndmask_b32_e64 v2, 0, v2, s[18:19]
	v_add_u16_e32 v2, v2, v72
	v_cndmask_b32_e64 v2, 0, v2, s[16:17]
	v_add_u16_e32 v2, v2, v70
	v_cndmask_b32_e64 v2, 0, v2, s[14:15]
	v_add_u16_e32 v2, v2, v68
	v_cndmask_b32_e64 v2, 0, v2, s[12:13]
	v_add_u16_e32 v2, v2, v67
	v_cndmask_b32_e64 v2, 0, v2, s[10:11]
	v_add_u16_e32 v2, v2, v77
	v_cndmask_b32_e64 v2, 0, v2, s[8:9]
	v_add_u16_e32 v2, v2, v75
	v_cndmask_b32_e64 v2, 0, v2, s[28:29]
	v_add_u16_e32 v2, v2, v73
	v_cndmask_b32_e64 v2, 0, v2, s[4:5]
	v_add_u16_e32 v2, v2, v71
	v_cndmask_b32_e64 v2, 0, v2, s[2:3]
	v_add3_u32 v3, v86, v61, v60
	v_add_u16_e32 v2, v2, v69
	v_add3_u32 v3, v3, v59, v58
	v_cndmask_b32_e64 v2, 0, v2, s[0:1]
	v_add3_u32 v3, v3, v57, v56
	v_add_u16_e32 v2, v2, v66
	v_add3_u32 v3, v3, v55, v54
	v_cndmask_b32_e32 v2, 0, v2, vcc
	v_add3_u32 v3, v3, v53, v52
	v_add_u16_e32 v2, v2, v80
	v_mbcnt_hi_u32_b32 v25, -1, v85
	v_and_b32_e32 v4, 15, v25
	v_mov_b32_dpp v6, v2 row_shr:1 row_mask:0xf bank_mask:0xf
	v_cmp_eq_u32_e32 vcc, 0, v3
	v_mov_b32_dpp v5, v3 row_shr:1 row_mask:0xf bank_mask:0xf
	v_cndmask_b32_e32 v6, 0, v6, vcc
	v_cmp_eq_u32_e32 vcc, 0, v4
	v_add_u16_e32 v6, v6, v2
	v_cndmask_b32_e64 v5, v5, 0, vcc
	v_add_u32_e32 v3, v5, v3
	v_cndmask_b32_e32 v2, v6, v2, vcc
	v_cmp_eq_u32_e32 vcc, 0, v3
	v_mov_b32_dpp v5, v3 row_shr:2 row_mask:0xf bank_mask:0xf
	v_mov_b32_dpp v6, v2 row_shr:2 row_mask:0xf bank_mask:0xf
	v_cndmask_b32_e32 v6, 0, v6, vcc
	v_cmp_lt_u32_e32 vcc, 1, v4
	v_add_u16_e32 v6, v6, v2
	v_cndmask_b32_e32 v5, 0, v5, vcc
	v_cndmask_b32_e32 v2, v2, v6, vcc
	v_add_u32_e32 v3, v3, v5
	v_cmp_eq_u32_e32 vcc, 0, v3
	v_mov_b32_dpp v6, v2 row_shr:4 row_mask:0xf bank_mask:0xf
	v_mov_b32_dpp v5, v3 row_shr:4 row_mask:0xf bank_mask:0xf
	v_cndmask_b32_e32 v6, 0, v6, vcc
	v_cmp_lt_u32_e32 vcc, 3, v4
	v_add_u16_e32 v6, v6, v2
	v_cndmask_b32_e32 v5, 0, v5, vcc
	v_cndmask_b32_e32 v2, v2, v6, vcc
	v_add_u32_e32 v3, v5, v3
	;; [unrolled: 9-line block ×3, first 2 shown]
	v_bfe_i32 v6, v25, 4, 1
	v_mov_b32_dpp v5, v2 row_bcast:15 row_mask:0xf bank_mask:0xf
	v_mov_b32_dpp v4, v3 row_bcast:15 row_mask:0xf bank_mask:0xf
	v_cmp_eq_u32_e32 vcc, 0, v3
	v_and_b32_e32 v7, 16, v25
	v_cndmask_b32_e32 v5, 0, v5, vcc
	v_and_b32_e32 v4, v6, v4
	v_add_u16_e32 v5, v5, v2
	v_add_u32_e32 v3, v4, v3
	v_cmp_eq_u32_e32 vcc, 0, v7
	v_cndmask_b32_e32 v4, v5, v2, vcc
	v_mov_b32_dpp v2, v3 row_bcast:31 row_mask:0xf bank_mask:0xf
	v_cmp_eq_u32_e32 vcc, 0, v3
	v_cmp_lt_u32_e64 s[26:27], 31, v25
	v_mov_b32_dpp v5, v4 row_bcast:31 row_mask:0xf bank_mask:0xf
	v_cndmask_b32_e64 v2, 0, v2, s[26:27]
	s_and_b64 vcc, s[26:27], vcc
	v_add_u32_e32 v2, v2, v3
	v_cndmask_b32_e32 v3, 0, v5, vcc
	v_add_u16_e32 v3, v3, v4
	v_cmp_eq_u32_e32 vcc, v84, v0
	v_lshlrev_b32_e32 v4, 3, v83
	s_and_saveexec_b64 s[26:27], vcc
	s_cbranch_execz .LBB1077_76
; %bb.75:
	ds_write_b32 v4, v2 offset:2064
	ds_write_b16 v4, v3 offset:2068
.LBB1077_76:
	s_or_b64 exec, exec, s[26:27]
	v_cmp_gt_u32_e32 vcc, 4, v0
	s_waitcnt lgkmcnt(0)
	s_barrier
	s_and_saveexec_b64 s[38:39], vcc
	s_cbranch_execz .LBB1077_78
; %bb.77:
	v_lshlrev_b32_e32 v5, 3, v0
	ds_read_b64 v[6:7], v5 offset:2064
	v_and_b32_e32 v8, 3, v25
	s_mov_b32 s7, 0xffff0000
	v_cmp_lt_u32_e64 s[26:27], 1, v8
	s_waitcnt lgkmcnt(0)
	v_mov_b32_dpp v24, v7 row_shr:1 row_mask:0xf bank_mask:0xf
	v_cmp_eq_u32_e32 vcc, 0, v6
	v_mov_b32_dpp v9, v6 row_shr:1 row_mask:0xf bank_mask:0xf
	v_cndmask_b32_e32 v24, 0, v24, vcc
	v_cmp_eq_u32_e32 vcc, 0, v8
	v_add_u16_e32 v24, v24, v7
	v_cndmask_b32_e64 v9, v9, 0, vcc
	v_and_or_b32 v26, v7, s7, v24
	v_add_u32_e32 v6, v9, v6
	v_cndmask_b32_e32 v9, v24, v7, vcc
	v_cndmask_b32_e32 v7, v26, v7, vcc
	v_mov_b32_dpp v24, v6 row_shr:2 row_mask:0xf bank_mask:0xf
	v_cmp_eq_u32_e32 vcc, 0, v6
	v_mov_b32_dpp v7, v7 row_shr:2 row_mask:0xf bank_mask:0xf
	v_cndmask_b32_e64 v8, 0, v24, s[26:27]
	s_and_b64 vcc, s[26:27], vcc
	v_add_u32_e32 v6, v8, v6
	v_cndmask_b32_e32 v7, 0, v7, vcc
	v_add_u16_e32 v7, v9, v7
	ds_write_b32 v5, v6 offset:2064
	ds_write_b16 v5, v7 offset:2068
.LBB1077_78:
	s_or_b64 exec, exec, s[38:39]
	v_cmp_gt_u32_e32 vcc, 64, v0
	v_cmp_lt_u32_e64 s[26:27], 63, v0
	v_mov_b32_e32 v28, 0
	v_mov_b32_e32 v29, 0
	s_waitcnt lgkmcnt(0)
	s_barrier
	s_and_saveexec_b64 s[38:39], s[26:27]
	s_cbranch_execz .LBB1077_80
; %bb.79:
	ds_read_b32 v28, v4 offset:2056
	ds_read_u16 v29, v4 offset:2060
	v_cmp_eq_u32_e64 s[26:27], 0, v2
	s_waitcnt lgkmcnt(1)
	v_add_u32_e32 v4, v28, v2
	s_waitcnt lgkmcnt(0)
	v_cndmask_b32_e64 v2, 0, v29, s[26:27]
	v_add_u16_e32 v3, v2, v3
	v_mov_b32_e32 v2, v4
.LBB1077_80:
	s_or_b64 exec, exec, s[38:39]
	v_add_u32_e32 v4, -1, v25
	v_and_b32_e32 v5, 64, v25
	v_cmp_lt_i32_e64 s[26:27], v4, v5
	v_cndmask_b32_e64 v4, v4, v25, s[26:27]
	v_and_b32_e32 v3, 0xffff, v3
	v_lshlrev_b32_e32 v4, 2, v4
	ds_bpermute_b32 v30, v4, v2
	ds_bpermute_b32 v31, v4, v3
	v_cmp_eq_u32_e64 s[26:27], 0, v25
	s_and_saveexec_b64 s[38:39], vcc
	s_cbranch_execz .LBB1077_103
; %bb.81:
	v_mov_b32_e32 v5, 0
	ds_read_b64 v[2:3], v5 offset:2088
	s_waitcnt lgkmcnt(0)
	v_readfirstlane_b32 s7, v3
	s_and_saveexec_b64 s[44:45], s[26:27]
	s_cbranch_execz .LBB1077_83
; %bb.82:
	s_add_i32 s52, s6, 64
	s_mov_b32 s53, 0
	s_lshl_b64 s[54:55], s[52:53], 4
	s_add_u32 s54, s36, s54
	s_addc_u32 s55, s37, s55
	s_and_b32 s57, s7, 0xff000000
	s_mov_b32 s56, s53
	s_and_b32 s59, s7, 0xff0000
	s_mov_b32 s58, s53
	s_or_b64 s[56:57], s[58:59], s[56:57]
	s_and_b32 s59, s7, 0xff00
	s_or_b64 s[56:57], s[56:57], s[58:59]
	s_and_b32 s59, s7, 0xff
	s_or_b64 s[52:53], s[56:57], s[58:59]
	v_mov_b32_e32 v3, s53
	v_mov_b32_e32 v4, 1
	v_pk_mov_b32 v[6:7], s[54:55], s[54:55] op_sel:[0,1]
	;;#ASMSTART
	global_store_dwordx4 v[6:7], v[2:5] off	
s_waitcnt vmcnt(0)
	;;#ASMEND
.LBB1077_83:
	s_or_b64 exec, exec, s[44:45]
	v_xad_u32 v24, v25, -1, s6
	v_add_u32_e32 v4, 64, v24
	v_lshlrev_b64 v[6:7], 4, v[4:5]
	v_mov_b32_e32 v3, s37
	v_add_co_u32_e32 v26, vcc, s36, v6
	v_addc_co_u32_e32 v27, vcc, v3, v7, vcc
	;;#ASMSTART
	global_load_dwordx4 v[6:9], v[26:27] off glc	
s_waitcnt vmcnt(0)
	;;#ASMEND
	v_and_b32_e32 v3, 0xffffff, v6
	v_and_b32_e32 v4, 0xff000000, v6
	v_or_b32_e32 v3, v3, v4
	v_and_b32_e32 v4, 0xff, v7
	v_and_b32_e32 v6, 0xff00, v7
	v_or3_b32 v7, 0, v4, v6
	v_or3_b32 v6, v3, 0, 0
	v_cmp_eq_u16_sdwa s[52:53], v8, v5 src0_sel:BYTE_0 src1_sel:DWORD
	s_and_saveexec_b64 s[44:45], s[52:53]
	s_cbranch_execz .LBB1077_89
; %bb.84:
	s_mov_b32 s54, 1
	s_mov_b64 s[52:53], 0
	v_mov_b32_e32 v3, 0
.LBB1077_85:                            ; =>This Loop Header: Depth=1
                                        ;     Child Loop BB1077_86 Depth 2
	s_max_u32 s55, s54, 1
.LBB1077_86:                            ;   Parent Loop BB1077_85 Depth=1
                                        ; =>  This Inner Loop Header: Depth=2
	s_add_i32 s55, s55, -1
	s_cmp_eq_u32 s55, 0
	s_sleep 1
	s_cbranch_scc0 .LBB1077_86
; %bb.87:                               ;   in Loop: Header=BB1077_85 Depth=1
	s_cmp_lt_u32 s54, 32
	s_cselect_b64 s[56:57], -1, 0
	s_cmp_lg_u64 s[56:57], 0
	s_addc_u32 s54, s54, 0
	;;#ASMSTART
	global_load_dwordx4 v[6:9], v[26:27] off glc	
s_waitcnt vmcnt(0)
	;;#ASMEND
	v_cmp_ne_u16_sdwa s[56:57], v8, v3 src0_sel:BYTE_0 src1_sel:DWORD
	s_or_b64 s[52:53], s[56:57], s[52:53]
	s_andn2_b64 exec, exec, s[52:53]
	s_cbranch_execnz .LBB1077_85
; %bb.88:
	s_or_b64 exec, exec, s[52:53]
	v_and_b32_e32 v7, 0xffff, v7
.LBB1077_89:
	s_or_b64 exec, exec, s[44:45]
	v_mov_b32_e32 v3, 2
	v_and_b32_e32 v32, 63, v25
	v_cmp_eq_u16_sdwa s[44:45], v8, v3 src0_sel:BYTE_0 src1_sel:DWORD
	v_lshlrev_b64 v[4:5], v25, -1
	v_cmp_ne_u32_e32 vcc, 63, v32
	v_and_b32_e32 v9, s45, v5
	v_addc_co_u32_e32 v27, vcc, 0, v25, vcc
	v_or_b32_e32 v9, 0x80000000, v9
	v_lshlrev_b32_e32 v33, 2, v27
	v_and_b32_e32 v26, s44, v4
	v_ffbl_b32_e32 v9, v9
	ds_bpermute_b32 v27, v33, v7
	v_add_u32_e32 v9, 32, v9
	v_ffbl_b32_e32 v26, v26
	v_min_u32_e32 v9, v26, v9
	ds_bpermute_b32 v26, v33, v6
	v_cmp_eq_u32_e32 vcc, 0, v6
	s_waitcnt lgkmcnt(1)
	v_cndmask_b32_e32 v27, 0, v27, vcc
	v_add_u16_e32 v27, v27, v7
	v_cmp_lt_u32_e32 vcc, v32, v9
	v_cndmask_b32_e32 v7, v7, v27, vcc
	s_waitcnt lgkmcnt(0)
	v_cndmask_b32_e32 v26, 0, v26, vcc
	v_cmp_gt_u32_e32 vcc, 62, v32
	v_cndmask_b32_e64 v27, 0, 1, vcc
	v_lshlrev_b32_e32 v27, 1, v27
	v_add_lshl_u32 v34, v27, v25, 2
	ds_bpermute_b32 v27, v34, v7
	v_add_u32_e32 v6, v26, v6
	ds_bpermute_b32 v26, v34, v6
	v_cmp_eq_u32_e32 vcc, 0, v6
	v_add_u32_e32 v35, 2, v32
	s_waitcnt lgkmcnt(1)
	v_cndmask_b32_e32 v27, 0, v27, vcc
	v_add_u16_e32 v27, v27, v7
	v_cmp_gt_u32_e32 vcc, v35, v9
	v_cndmask_b32_e32 v7, v27, v7, vcc
	s_waitcnt lgkmcnt(0)
	v_cndmask_b32_e64 v26, v26, 0, vcc
	v_cmp_gt_u32_e32 vcc, 60, v32
	v_cndmask_b32_e64 v27, 0, 1, vcc
	v_lshlrev_b32_e32 v27, 2, v27
	v_add_lshl_u32 v36, v27, v25, 2
	ds_bpermute_b32 v27, v36, v7
	v_add_u32_e32 v6, v6, v26
	ds_bpermute_b32 v26, v36, v6
	v_cmp_eq_u32_e32 vcc, 0, v6
	v_add_u32_e32 v37, 4, v32
	s_waitcnt lgkmcnt(1)
	v_cndmask_b32_e32 v27, 0, v27, vcc
	v_add_u16_e32 v27, v7, v27
	v_cmp_gt_u32_e32 vcc, v37, v9
	v_cndmask_b32_e32 v7, v27, v7, vcc
	s_waitcnt lgkmcnt(0)
	v_cndmask_b32_e64 v26, v26, 0, vcc
	;; [unrolled: 16-line block ×4, first 2 shown]
	v_cmp_gt_u32_e32 vcc, 32, v32
	v_cndmask_b32_e64 v27, 0, 1, vcc
	v_lshlrev_b32_e32 v27, 5, v27
	v_add_lshl_u32 v44, v27, v25, 2
	ds_bpermute_b32 v25, v44, v7
	v_add_u32_e32 v6, v6, v26
	ds_bpermute_b32 v26, v44, v6
	v_add_u32_e32 v45, 32, v32
	v_cmp_eq_u32_e32 vcc, 0, v6
	s_waitcnt lgkmcnt(1)
	v_cndmask_b32_e32 v25, 0, v25, vcc
	v_cmp_gt_u32_e32 vcc, v45, v9
	v_cndmask_b32_e64 v9, v25, 0, vcc
	v_add_u16_e32 v7, v7, v9
	s_waitcnt lgkmcnt(0)
	v_cndmask_b32_e64 v9, v26, 0, vcc
	v_add_u32_e32 v6, v9, v6
	v_mov_b32_e32 v25, 0
	s_branch .LBB1077_91
.LBB1077_90:                            ;   in Loop: Header=BB1077_91 Depth=1
	s_or_b64 exec, exec, s[44:45]
	v_cmp_eq_u16_sdwa s[44:45], v8, v3 src0_sel:BYTE_0 src1_sel:DWORD
	ds_bpermute_b32 v27, v33, v7
	v_and_b32_e32 v9, s45, v5
	v_or_b32_e32 v9, 0x80000000, v9
	v_and_b32_e32 v26, s44, v4
	v_ffbl_b32_e32 v9, v9
	v_add_u32_e32 v9, 32, v9
	v_ffbl_b32_e32 v26, v26
	v_cmp_eq_u32_e32 vcc, 0, v6
	v_min_u32_e32 v9, v26, v9
	ds_bpermute_b32 v26, v33, v6
	s_waitcnt lgkmcnt(1)
	v_cndmask_b32_e32 v27, 0, v27, vcc
	v_add_u16_e32 v27, v27, v7
	v_cmp_lt_u32_e32 vcc, v32, v9
	v_cndmask_b32_e32 v7, v7, v27, vcc
	ds_bpermute_b32 v27, v34, v7
	s_waitcnt lgkmcnt(1)
	v_cndmask_b32_e32 v26, 0, v26, vcc
	v_add_u32_e32 v6, v26, v6
	v_cmp_eq_u32_e32 vcc, 0, v6
	ds_bpermute_b32 v26, v34, v6
	s_waitcnt lgkmcnt(1)
	v_cndmask_b32_e32 v27, 0, v27, vcc
	v_add_u16_e32 v27, v27, v7
	v_cmp_gt_u32_e32 vcc, v35, v9
	v_cndmask_b32_e32 v7, v27, v7, vcc
	ds_bpermute_b32 v27, v36, v7
	s_waitcnt lgkmcnt(1)
	v_cndmask_b32_e64 v26, v26, 0, vcc
	v_add_u32_e32 v6, v6, v26
	v_cmp_eq_u32_e32 vcc, 0, v6
	ds_bpermute_b32 v26, v36, v6
	s_waitcnt lgkmcnt(1)
	v_cndmask_b32_e32 v27, 0, v27, vcc
	v_add_u16_e32 v27, v7, v27
	v_cmp_gt_u32_e32 vcc, v37, v9
	v_cndmask_b32_e32 v7, v27, v7, vcc
	ds_bpermute_b32 v27, v38, v7
	s_waitcnt lgkmcnt(1)
	v_cndmask_b32_e64 v26, v26, 0, vcc
	v_add_u32_e32 v6, v6, v26
	ds_bpermute_b32 v26, v38, v6
	v_cmp_eq_u32_e32 vcc, 0, v6
	s_waitcnt lgkmcnt(1)
	v_cndmask_b32_e32 v27, 0, v27, vcc
	v_add_u16_e32 v27, v7, v27
	v_cmp_gt_u32_e32 vcc, v39, v9
	v_cndmask_b32_e32 v7, v27, v7, vcc
	ds_bpermute_b32 v27, v41, v7
	s_waitcnt lgkmcnt(1)
	v_cndmask_b32_e64 v26, v26, 0, vcc
	v_add_u32_e32 v6, v6, v26
	ds_bpermute_b32 v26, v41, v6
	v_cmp_eq_u32_e32 vcc, 0, v6
	;; [unrolled: 11-line block ×3, first 2 shown]
	s_waitcnt lgkmcnt(1)
	v_cndmask_b32_e32 v27, 0, v27, vcc
	v_cmp_gt_u32_e32 vcc, v45, v9
	v_cndmask_b32_e64 v9, v27, 0, vcc
	v_add_u16_e32 v7, v7, v9
	s_waitcnt lgkmcnt(0)
	v_cndmask_b32_e64 v9, v26, 0, vcc
	v_cmp_eq_u32_e32 vcc, 0, v42
	v_cndmask_b32_e32 v7, 0, v7, vcc
	v_subrev_u32_e32 v24, 64, v24
	v_add3_u32 v6, v6, v42, v9
	v_add_u16_e32 v7, v7, v40
.LBB1077_91:                            ; =>This Loop Header: Depth=1
                                        ;     Child Loop BB1077_94 Depth 2
                                        ;       Child Loop BB1077_95 Depth 3
	v_cmp_ne_u16_sdwa s[44:45], v8, v3 src0_sel:BYTE_0 src1_sel:DWORD
	v_mov_b32_e32 v40, v7
	v_cndmask_b32_e64 v7, 0, 1, s[44:45]
	;;#ASMSTART
	;;#ASMEND
	v_cmp_ne_u32_e32 vcc, 0, v7
	s_cmp_lg_u64 vcc, exec
	v_mov_b32_e32 v42, v6
	s_cbranch_scc1 .LBB1077_98
; %bb.92:                               ;   in Loop: Header=BB1077_91 Depth=1
	v_lshlrev_b64 v[6:7], 4, v[24:25]
	v_mov_b32_e32 v8, s37
	v_add_co_u32_e32 v26, vcc, s36, v6
	v_addc_co_u32_e32 v27, vcc, v8, v7, vcc
	;;#ASMSTART
	global_load_dwordx4 v[6:9], v[26:27] off glc	
s_waitcnt vmcnt(0)
	;;#ASMEND
	v_and_b32_e32 v9, 0xffffff, v6
	v_and_b32_e32 v6, 0xff000000, v6
	v_or_b32_e32 v6, v9, v6
	v_and_b32_e32 v9, 0xff, v7
	v_and_b32_e32 v7, 0xff00, v7
	v_or3_b32 v7, 0, v9, v7
	v_or3_b32 v6, v6, 0, 0
	v_cmp_eq_u16_sdwa s[52:53], v8, v25 src0_sel:BYTE_0 src1_sel:DWORD
	s_and_saveexec_b64 s[44:45], s[52:53]
	s_cbranch_execz .LBB1077_90
; %bb.93:                               ;   in Loop: Header=BB1077_91 Depth=1
	s_mov_b32 s54, 1
	s_mov_b64 s[52:53], 0
.LBB1077_94:                            ;   Parent Loop BB1077_91 Depth=1
                                        ; =>  This Loop Header: Depth=2
                                        ;       Child Loop BB1077_95 Depth 3
	s_max_u32 s55, s54, 1
.LBB1077_95:                            ;   Parent Loop BB1077_91 Depth=1
                                        ;     Parent Loop BB1077_94 Depth=2
                                        ; =>    This Inner Loop Header: Depth=3
	s_add_i32 s55, s55, -1
	s_cmp_eq_u32 s55, 0
	s_sleep 1
	s_cbranch_scc0 .LBB1077_95
; %bb.96:                               ;   in Loop: Header=BB1077_94 Depth=2
	s_cmp_lt_u32 s54, 32
	s_cselect_b64 s[56:57], -1, 0
	s_cmp_lg_u64 s[56:57], 0
	s_addc_u32 s54, s54, 0
	;;#ASMSTART
	global_load_dwordx4 v[6:9], v[26:27] off glc	
s_waitcnt vmcnt(0)
	;;#ASMEND
	v_cmp_ne_u16_sdwa s[56:57], v8, v25 src0_sel:BYTE_0 src1_sel:DWORD
	s_or_b64 s[52:53], s[56:57], s[52:53]
	s_andn2_b64 exec, exec, s[52:53]
	s_cbranch_execnz .LBB1077_94
; %bb.97:                               ;   in Loop: Header=BB1077_91 Depth=1
	s_or_b64 exec, exec, s[52:53]
	v_and_b32_e32 v7, 0xffff, v7
	s_branch .LBB1077_90
.LBB1077_98:                            ;   in Loop: Header=BB1077_91 Depth=1
                                        ; implicit-def: $vgpr7
                                        ; implicit-def: $vgpr6
                                        ; implicit-def: $vgpr8
	s_cbranch_execz .LBB1077_91
; %bb.99:
	s_and_saveexec_b64 s[44:45], s[26:27]
	s_cbranch_execz .LBB1077_101
; %bb.100:
	s_mov_b32 s53, 0
	v_cmp_eq_u32_e32 vcc, 0, v2
	s_add_i32 s52, s6, 64
	v_cndmask_b32_e32 v3, 0, v40, vcc
	s_lshl_b64 s[52:53], s[52:53], 4
	v_add_u16_e32 v3, s7, v3
	s_add_u32 s52, s36, s52
	s_addc_u32 s53, s37, s53
	v_and_b32_e32 v5, 0xff00, v3
	v_add_u32_e32 v4, v42, v2
	v_mov_b32_e32 v7, 0
	v_or_b32_sdwa v5, v5, v3 dst_sel:DWORD dst_unused:UNUSED_PAD src0_sel:DWORD src1_sel:BYTE_0
	v_mov_b32_e32 v6, 2
	v_pk_mov_b32 v[8:9], s[52:53], s[52:53] op_sel:[0,1]
	;;#ASMSTART
	global_store_dwordx4 v[8:9], v[4:7] off	
s_waitcnt vmcnt(0)
	;;#ASMEND
	v_mov_b32_e32 v3, s7
	s_movk_i32 s6, 0x800
	ds_write_b16 v7, v3 offset:2052
	v_add_u32_e64 v3, s6, 0
	ds_write2_b32 v3, v2, v42 offset1:2
	ds_write_b16 v7, v40 offset:2060
.LBB1077_101:
	s_or_b64 exec, exec, s[44:45]
	v_cmp_eq_u32_e32 vcc, 0, v0
	s_and_b64 exec, exec, vcc
	s_cbranch_execz .LBB1077_103
; %bb.102:
	v_mov_b32_e32 v2, 0
	ds_write_b32 v2, v42 offset:2088
	ds_write_b16 v2, v40 offset:2092
.LBB1077_103:
	s_or_b64 exec, exec, s[38:39]
	v_mov_b32_e32 v4, 0
	s_waitcnt lgkmcnt(0)
	s_barrier
	ds_read_b64 v[2:3], v4 offset:2088
	v_cndmask_b32_e64 v6, v30, v28, s[26:27]
	v_cmp_eq_u32_e32 vcc, 0, v6
	v_cndmask_b32_e64 v5, v31, v29, s[26:27]
	s_waitcnt lgkmcnt(0)
	v_cndmask_b32_e32 v7, 0, v3, vcc
	v_add_u16_e32 v5, v7, v5
	v_cmp_eq_u32_e32 vcc, 0, v0
	v_cndmask_b32_e32 v3, v5, v3, vcc
	v_cndmask_b32_e64 v5, v6, 0, vcc
	v_cmp_eq_u32_e32 vcc, 0, v82
	v_add_u32_e32 v50, v2, v5
	v_cndmask_b32_e32 v2, 0, v3, vcc
	v_add_u16_e32 v49, v2, v79
	v_cndmask_b32_e64 v2, 0, v49, s[24:25]
	v_add_u16_e32 v47, v2, v78
	v_cndmask_b32_e64 v2, 0, v47, s[22:23]
	;; [unrolled: 2-line block ×6, first 2 shown]
	v_add_u16_e32 v37, v2, v68
	v_add_u32_e32 v48, v50, v82
	v_cndmask_b32_e64 v2, 0, v37, s[12:13]
	v_add_u32_e32 v46, v48, v65
	v_add_u16_e32 v35, v2, v67
	v_add_u32_e32 v44, v46, v64
	v_cndmask_b32_e64 v2, 0, v35, s[10:11]
	v_add_u32_e32 v42, v44, v63
	;; [unrolled: 4-line block ×3, first 2 shown]
	v_add_u16_e32 v31, v2, v75
	v_add_u32_e32 v36, v38, v60
	v_cndmask_b32_e64 v2, 0, v31, s[28:29]
	s_barrier
	ds_read_b128 v[4:7], v4 offset:2048
	v_add_u32_e32 v34, v36, v59
	v_add_u16_e32 v29, v2, v73
	v_add_u32_e32 v32, v34, v58
	v_cndmask_b32_e64 v2, 0, v29, s[4:5]
	v_add_u32_e32 v30, v32, v57
	v_add_u16_e32 v27, v2, v71
	v_add_u32_e32 v28, v30, v56
	v_cndmask_b32_e64 v2, 0, v27, s[2:3]
	v_add_u32_e32 v26, v28, v55
	v_add_u16_e32 v9, v2, v69
	s_waitcnt lgkmcnt(0)
	v_cmp_eq_u32_e32 vcc, 0, v4
	v_and_b32_e32 v51, 0xffff, v3
	v_add_u32_e32 v8, v26, v54
	v_cndmask_b32_e64 v3, 0, v9, s[0:1]
	v_cndmask_b32_e32 v7, 0, v7, vcc
	v_add_u32_e32 v2, v8, v53
	v_add_u16_e32 v3, v3, v66
	v_add_u32_e32 v81, v7, v5
	s_branch .LBB1077_116
.LBB1077_104:
                                        ; implicit-def: $vgpr4
                                        ; implicit-def: $vgpr81
                                        ; implicit-def: $vgpr50_vgpr51
                                        ; implicit-def: $vgpr48_vgpr49
                                        ; implicit-def: $vgpr46_vgpr47
                                        ; implicit-def: $vgpr44_vgpr45
                                        ; implicit-def: $vgpr42_vgpr43
                                        ; implicit-def: $vgpr40_vgpr41
                                        ; implicit-def: $vgpr38_vgpr39
                                        ; implicit-def: $vgpr36_vgpr37
                                        ; implicit-def: $vgpr34_vgpr35
                                        ; implicit-def: $vgpr32_vgpr33
                                        ; implicit-def: $vgpr30_vgpr31
                                        ; implicit-def: $vgpr28_vgpr29
                                        ; implicit-def: $vgpr26_vgpr27
                                        ; implicit-def: $vgpr8_vgpr9
                                        ; implicit-def: $vgpr2_vgpr3
	s_cbranch_execz .LBB1077_116
; %bb.105:
	s_and_b64 s[0:1], s[34:35], exec
	s_cselect_b32 s1, 0, s51
	s_cselect_b32 s0, 0, s50
	s_cmp_eq_u64 s[0:1], 0
	v_mov_b32_e32 v5, v79
	s_cbranch_scc1 .LBB1077_107
; %bb.106:
	v_mov_b32_e32 v2, 0
	global_load_ushort v5, v2, s[0:1]
.LBB1077_107:
	v_cmp_eq_u32_e64 s[0:1], 0, v65
	v_cndmask_b32_e64 v2, 0, v79, s[0:1]
	v_add_u16_e32 v2, v2, v78
	v_cmp_eq_u32_e64 s[2:3], 0, v64
	v_cndmask_b32_e64 v2, 0, v2, s[2:3]
	v_add_u16_e32 v2, v2, v76
	v_cmp_eq_u32_e64 s[4:5], 0, v63
	v_cndmask_b32_e64 v2, 0, v2, s[4:5]
	v_add_u16_e32 v2, v2, v74
	v_cmp_eq_u32_e64 s[6:7], 0, v62
	v_cndmask_b32_e64 v2, 0, v2, s[6:7]
	v_add_u16_e32 v2, v2, v72
	v_cmp_eq_u32_e64 s[8:9], 0, v61
	v_cndmask_b32_e64 v2, 0, v2, s[8:9]
	v_add_u16_e32 v2, v2, v70
	v_cmp_eq_u32_e64 s[10:11], 0, v60
	v_cndmask_b32_e64 v2, 0, v2, s[10:11]
	v_add_u16_e32 v2, v2, v68
	v_cmp_eq_u32_e64 s[12:13], 0, v59
	v_cndmask_b32_e64 v2, 0, v2, s[12:13]
	v_add_u16_e32 v2, v2, v67
	v_cmp_eq_u32_e64 s[14:15], 0, v58
	v_cndmask_b32_e64 v2, 0, v2, s[14:15]
	v_add_u16_e32 v2, v2, v77
	v_cmp_eq_u32_e64 s[16:17], 0, v57
	v_cndmask_b32_e64 v2, 0, v2, s[16:17]
	v_add_u16_e32 v2, v2, v75
	v_cmp_eq_u32_e64 s[18:19], 0, v56
	v_cndmask_b32_e64 v2, 0, v2, s[18:19]
	v_add_u16_e32 v2, v2, v73
	v_cmp_eq_u32_e64 s[20:21], 0, v55
	v_cndmask_b32_e64 v2, 0, v2, s[20:21]
	v_add_u16_e32 v2, v2, v71
	v_cmp_eq_u32_e64 s[22:23], 0, v54
	v_cndmask_b32_e64 v2, 0, v2, s[22:23]
	v_add3_u32 v3, v86, v61, v60
	v_add_u16_e32 v2, v2, v69
	v_cmp_eq_u32_e32 vcc, 0, v53
	v_add3_u32 v3, v3, v59, v58
	v_cndmask_b32_e32 v2, 0, v2, vcc
	v_add3_u32 v3, v3, v57, v56
	v_add_u16_e32 v2, v2, v66
	v_cmp_eq_u32_e64 s[24:25], 0, v52
	v_add3_u32 v3, v3, v55, v54
	v_cndmask_b32_e64 v2, 0, v2, s[24:25]
	v_add3_u32 v3, v3, v53, v52
	v_add_u16_e32 v4, v2, v80
	v_mbcnt_hi_u32_b32 v2, -1, v85
	v_and_b32_e32 v6, 15, v2
	v_mov_b32_dpp v8, v4 row_shr:1 row_mask:0xf bank_mask:0xf
	v_cmp_eq_u32_e64 s[24:25], 0, v3
	v_mov_b32_dpp v7, v3 row_shr:1 row_mask:0xf bank_mask:0xf
	v_cndmask_b32_e64 v8, 0, v8, s[24:25]
	v_cmp_eq_u32_e64 s[24:25], 0, v6
	v_add_u16_e32 v8, v8, v4
	v_cndmask_b32_e64 v7, v7, 0, s[24:25]
	v_add_u32_e32 v3, v7, v3
	v_cndmask_b32_e64 v4, v8, v4, s[24:25]
	v_cmp_eq_u32_e64 s[24:25], 0, v3
	v_mov_b32_dpp v7, v3 row_shr:2 row_mask:0xf bank_mask:0xf
	v_mov_b32_dpp v8, v4 row_shr:2 row_mask:0xf bank_mask:0xf
	v_cndmask_b32_e64 v8, 0, v8, s[24:25]
	v_cmp_lt_u32_e64 s[24:25], 1, v6
	v_add_u16_e32 v8, v8, v4
	v_cndmask_b32_e64 v7, 0, v7, s[24:25]
	v_cndmask_b32_e64 v4, v4, v8, s[24:25]
	v_add_u32_e32 v3, v3, v7
	v_cmp_eq_u32_e64 s[24:25], 0, v3
	v_mov_b32_dpp v8, v4 row_shr:4 row_mask:0xf bank_mask:0xf
	v_mov_b32_dpp v7, v3 row_shr:4 row_mask:0xf bank_mask:0xf
	v_cndmask_b32_e64 v8, 0, v8, s[24:25]
	v_cmp_lt_u32_e64 s[24:25], 3, v6
	v_add_u16_e32 v8, v8, v4
	v_cndmask_b32_e64 v7, 0, v7, s[24:25]
	v_cndmask_b32_e64 v4, v4, v8, s[24:25]
	v_add_u32_e32 v3, v7, v3
	;; [unrolled: 9-line block ×3, first 2 shown]
	v_bfe_i32 v8, v2, 4, 1
	v_mov_b32_dpp v7, v4 row_bcast:15 row_mask:0xf bank_mask:0xf
	v_mov_b32_dpp v6, v3 row_bcast:15 row_mask:0xf bank_mask:0xf
	v_cmp_eq_u32_e64 s[24:25], 0, v3
	v_and_b32_e32 v9, 16, v2
	v_cndmask_b32_e64 v7, 0, v7, s[24:25]
	v_and_b32_e32 v6, v8, v6
	v_add_u16_e32 v7, v7, v4
	v_add_u32_e32 v3, v6, v3
	v_cmp_eq_u32_e64 s[24:25], 0, v9
	v_cndmask_b32_e64 v4, v7, v4, s[24:25]
	v_mov_b32_dpp v6, v3 row_bcast:31 row_mask:0xf bank_mask:0xf
	v_cmp_eq_u32_e64 s[24:25], 0, v3
	v_cmp_lt_u32_e64 s[26:27], 31, v2
	v_mov_b32_dpp v7, v4 row_bcast:31 row_mask:0xf bank_mask:0xf
	v_cndmask_b32_e64 v6, 0, v6, s[26:27]
	s_and_b64 s[24:25], s[26:27], s[24:25]
	v_add_u32_e32 v3, v6, v3
	v_cndmask_b32_e64 v6, 0, v7, s[24:25]
	v_add_u16_e32 v4, v6, v4
	v_cmp_eq_u32_e64 s[24:25], v84, v0
	s_and_saveexec_b64 s[26:27], s[24:25]
	s_cbranch_execz .LBB1077_109
; %bb.108:
	v_lshlrev_b32_e32 v6, 3, v83
	ds_write_b32 v6, v3 offset:2064
	ds_write_b16 v6, v4 offset:2068
.LBB1077_109:
	s_or_b64 exec, exec, s[26:27]
	v_cmp_gt_u32_e64 s[24:25], 4, v0
	s_waitcnt lgkmcnt(0)
	s_barrier
	s_and_saveexec_b64 s[28:29], s[24:25]
	s_cbranch_execz .LBB1077_111
; %bb.110:
	v_lshlrev_b32_e32 v8, 3, v0
	ds_read_b64 v[6:7], v8 offset:2064
	v_and_b32_e32 v9, 3, v2
	s_mov_b32 s26, 0xffff0000
	s_waitcnt lgkmcnt(0)
	v_mov_b32_dpp v25, v7 row_shr:1 row_mask:0xf bank_mask:0xf
	v_cmp_eq_u32_e64 s[24:25], 0, v6
	v_mov_b32_dpp v24, v6 row_shr:1 row_mask:0xf bank_mask:0xf
	v_cndmask_b32_e64 v25, 0, v25, s[24:25]
	v_cmp_eq_u32_e64 s[24:25], 0, v9
	v_add_u16_e32 v25, v25, v7
	v_cndmask_b32_e64 v24, v24, 0, s[24:25]
	v_and_or_b32 v26, v7, s26, v25
	v_add_u32_e32 v6, v24, v6
	v_cndmask_b32_e64 v24, v25, v7, s[24:25]
	v_cndmask_b32_e64 v7, v26, v7, s[24:25]
	v_mov_b32_dpp v25, v6 row_shr:2 row_mask:0xf bank_mask:0xf
	v_cmp_eq_u32_e64 s[24:25], 0, v6
	v_cmp_lt_u32_e64 s[26:27], 1, v9
	v_mov_b32_dpp v7, v7 row_shr:2 row_mask:0xf bank_mask:0xf
	v_cndmask_b32_e64 v9, 0, v25, s[26:27]
	s_and_b64 s[24:25], s[26:27], s[24:25]
	v_add_u32_e32 v6, v9, v6
	v_cndmask_b32_e64 v7, 0, v7, s[24:25]
	v_add_u16_e32 v7, v24, v7
	ds_write_b32 v8, v6 offset:2064
	ds_write_b16 v8, v7 offset:2068
.LBB1077_111:
	s_or_b64 exec, exec, s[28:29]
	v_cmp_lt_u32_e64 s[24:25], 63, v0
	v_mov_b32_e32 v6, 0
	v_mov_b32_e32 v7, 0
	s_waitcnt vmcnt(0)
	v_mov_b32_e32 v8, v5
	s_waitcnt lgkmcnt(0)
	s_barrier
	s_and_saveexec_b64 s[26:27], s[24:25]
	s_cbranch_execz .LBB1077_113
; %bb.112:
	v_lshlrev_b32_e32 v8, 3, v83
	ds_read_b32 v7, v8 offset:2056
	ds_read_u16 v8, v8 offset:2060
	s_waitcnt lgkmcnt(1)
	v_cmp_eq_u32_e64 s[24:25], 0, v7
	v_cndmask_b32_e64 v9, 0, v5, s[24:25]
	s_waitcnt lgkmcnt(0)
	v_add_u16_e32 v8, v9, v8
.LBB1077_113:
	s_or_b64 exec, exec, s[26:27]
	v_cmp_eq_u32_e64 s[24:25], 0, v3
	v_add_u32_e32 v9, v7, v3
	v_cndmask_b32_e64 v3, 0, v8, s[24:25]
	v_add_u16_e32 v3, v3, v4
	v_add_u32_e32 v4, -1, v2
	v_and_b32_e32 v24, 64, v2
	v_cmp_lt_i32_e64 s[24:25], v4, v24
	v_cndmask_b32_e64 v4, v4, v2, s[24:25]
	v_lshlrev_b32_e32 v4, 2, v4
	ds_bpermute_b32 v9, v4, v9
	ds_bpermute_b32 v3, v4, v3
	v_cmp_eq_u32_e64 s[24:25], 0, v2
	v_cmp_eq_u32_e64 s[26:27], 0, v82
	ds_read_b32 v4, v6 offset:2088
	s_waitcnt lgkmcnt(2)
	v_cndmask_b32_e64 v2, v9, v7, s[24:25]
	s_waitcnt lgkmcnt(1)
	v_cndmask_b32_e64 v3, v3, v8, s[24:25]
	v_cmp_eq_u32_e64 s[24:25], 0, v0
	v_cndmask_b32_e64 v3, v3, v5, s[24:25]
	v_cndmask_b32_e64 v50, v2, 0, s[24:25]
	;; [unrolled: 1-line block ×3, first 2 shown]
	v_add_u16_e32 v49, v2, v79
	v_cndmask_b32_e64 v2, 0, v49, s[0:1]
	v_add_u16_e32 v47, v2, v78
	v_cndmask_b32_e64 v2, 0, v47, s[2:3]
	v_add_u16_e32 v45, v2, v76
	v_cndmask_b32_e64 v2, 0, v45, s[4:5]
	v_add_u16_e32 v43, v2, v74
	v_cndmask_b32_e64 v2, 0, v43, s[6:7]
	v_add_u16_e32 v41, v2, v72
	v_cndmask_b32_e64 v2, 0, v41, s[8:9]
	v_add_u16_e32 v39, v2, v70
	v_cndmask_b32_e64 v2, 0, v39, s[10:11]
	v_add_u16_e32 v37, v2, v68
	v_cndmask_b32_e64 v2, 0, v37, s[12:13]
	v_add_u32_e32 v48, v50, v82
	v_add_u16_e32 v35, v2, v67
	v_add_u32_e32 v46, v48, v65
	v_cndmask_b32_e64 v2, 0, v35, s[14:15]
	v_add_u32_e32 v44, v46, v64
	v_add_u16_e32 v33, v2, v77
	v_add_u32_e32 v42, v44, v63
	v_cndmask_b32_e64 v2, 0, v33, s[16:17]
	;; [unrolled: 4-line block ×4, first 2 shown]
	v_add_u32_e32 v32, v34, v58
	v_add_u16_e32 v27, v2, v71
	ds_read_u16 v6, v6 offset:2092
	v_add_u32_e32 v30, v32, v57
	v_cndmask_b32_e64 v2, 0, v27, s[22:23]
	v_add_u32_e32 v28, v30, v56
	v_add_u16_e32 v9, v2, v69
	v_and_b32_e32 v51, 0xffff, v3
	v_add_u32_e32 v26, v28, v55
	v_cndmask_b32_e32 v3, 0, v9, vcc
	s_waitcnt lgkmcnt(1)
	v_cmp_eq_u32_e32 vcc, 0, v4
	v_add_u32_e32 v8, v26, v54
	v_cndmask_b32_e32 v5, 0, v5, vcc
	v_add_u32_e32 v2, v8, v53
	v_add_u16_e32 v3, v3, v66
	s_waitcnt lgkmcnt(0)
	v_add_u16_e32 v81, v5, v6
	s_and_saveexec_b64 s[0:1], s[24:25]
	s_cbranch_execz .LBB1077_115
; %bb.114:
	s_add_u32 s2, s36, 0x400
	s_addc_u32 s3, s37, 0
	v_and_b32_e32 v5, 0xff00, v81
	v_mov_b32_e32 v7, 0
	v_or_b32_sdwa v5, v5, v81 dst_sel:DWORD dst_unused:UNUSED_PAD src0_sel:DWORD src1_sel:BYTE_0
	v_mov_b32_e32 v6, 2
	v_pk_mov_b32 v[24:25], s[2:3], s[2:3] op_sel:[0,1]
	;;#ASMSTART
	global_store_dwordx4 v[24:25], v[4:7] off	
s_waitcnt vmcnt(0)
	;;#ASMEND
.LBB1077_115:
	s_or_b64 exec, exec, s[0:1]
	v_mov_b32_e32 v6, 0
.LBB1077_116:
	s_and_b64 s[0:1], s[34:35], exec
	s_cselect_b32 s1, 0, s47
	s_cselect_b32 s0, 0, s46
	s_cmp_eq_u64 s[0:1], 0
	v_pk_mov_b32 v[24:25], 0, 0
	s_barrier
	s_cbranch_scc1 .LBB1077_118
; %bb.117:
	v_mov_b32_e32 v5, 0
	global_load_dwordx2 v[24:25], v5, s[0:1]
.LBB1077_118:
	s_movk_i32 s36, 0x100
	v_cmp_gt_u32_e32 vcc, s36, v4
	s_cbranch_vccnz .LBB1077_167
; %bb.119:
	v_cmp_eq_u32_e64 s[26:27], 0, v65
	v_cndmask_b32_e64 v77, 1, 2, s[26:27]
	v_cmp_eq_u32_e64 s[26:27], 0, v82
	v_cmp_eq_u32_e64 s[24:25], 0, v64
	v_cndmask_b32_e64 v78, 1, 2, s[26:27]
	v_cmp_eq_u32_e64 s[22:23], 0, v63
	v_cndmask_b32_e64 v76, 1, 2, s[24:25]
	v_and_b32_e32 v77, v77, v78
	v_cmp_eq_u32_e64 s[20:21], 0, v62
	v_cndmask_b32_e64 v75, 1, 2, s[22:23]
	v_and_b32_e32 v76, v77, v76
	;; [unrolled: 3-line block ×11, first 2 shown]
	v_cmp_eq_u32_e32 vcc, 0, v52
	v_cndmask_b32_e64 v7, 1, 2, s[0:1]
	v_and_b32_e32 v66, v67, v66
	v_cndmask_b32_e64 v5, 1, 2, vcc
	v_and_b32_e32 v7, v66, v7
	v_and_b32_e32 v5, v7, v5
	v_cmp_ne_u32_e64 s[18:19], 0, v82
	v_cmp_ne_u32_e32 vcc, 0, v53
	v_cmp_ne_u32_e64 s[0:1], 0, v54
	v_cmp_ne_u32_e64 s[2:3], 0, v55
	;; [unrolled: 1-line block ×12, first 2 shown]
	v_cmp_gt_i16_e64 s[26:27], 2, v5
	s_and_saveexec_b64 s[28:29], s[26:27]
	s_cbranch_execz .LBB1077_166
; %bb.120:
	v_cmp_ne_u16_e64 s[26:27], 1, v5
	s_mov_b64 s[34:35], 0
	s_and_saveexec_b64 s[38:39], s[26:27]
	s_xor_b64 s[26:27], exec, s[38:39]
	s_cbranch_execz .LBB1077_144
; %bb.121:
	s_and_saveexec_b64 s[34:35], s[18:19]
	s_cbranch_execz .LBB1077_149
; %bb.122:
	v_sub_u32_e32 v5, v50, v6
	v_lshlrev_b32_e32 v5, 2, v5
	ds_write_b32 v5, v22
	s_or_b64 exec, exec, s[34:35]
	s_and_saveexec_b64 s[18:19], s[24:25]
	s_cbranch_execnz .LBB1077_150
.LBB1077_123:
	s_or_b64 exec, exec, s[18:19]
	s_and_saveexec_b64 s[18:19], s[22:23]
	s_cbranch_execz .LBB1077_151
.LBB1077_124:
	v_sub_u32_e32 v5, v46, v6
	v_lshlrev_b32_e32 v5, 2, v5
	ds_write_b32 v5, v20
	s_or_b64 exec, exec, s[18:19]
	s_and_saveexec_b64 s[18:19], s[20:21]
	s_cbranch_execnz .LBB1077_152
.LBB1077_125:
	s_or_b64 exec, exec, s[18:19]
	s_and_saveexec_b64 s[18:19], s[16:17]
	s_cbranch_execz .LBB1077_153
.LBB1077_126:
	v_sub_u32_e32 v5, v42, v6
	v_lshlrev_b32_e32 v5, 2, v5
	ds_write_b32 v5, v18
	s_or_b64 exec, exec, s[18:19]
	s_and_saveexec_b64 s[16:17], s[14:15]
	s_cbranch_execnz .LBB1077_154
.LBB1077_127:
	s_or_b64 exec, exec, s[16:17]
	s_and_saveexec_b64 s[14:15], s[12:13]
	s_cbranch_execz .LBB1077_155
.LBB1077_128:
	v_sub_u32_e32 v5, v38, v6
	v_lshlrev_b32_e32 v5, 2, v5
	ds_write_b32 v5, v16
	s_or_b64 exec, exec, s[14:15]
	s_and_saveexec_b64 s[12:13], s[10:11]
	s_cbranch_execnz .LBB1077_156
.LBB1077_129:
	s_or_b64 exec, exec, s[12:13]
	s_and_saveexec_b64 s[10:11], s[8:9]
	s_cbranch_execz .LBB1077_157
.LBB1077_130:
	v_sub_u32_e32 v5, v34, v6
	v_lshlrev_b32_e32 v5, 2, v5
	ds_write_b32 v5, v14
	s_or_b64 exec, exec, s[10:11]
	s_and_saveexec_b64 s[8:9], s[6:7]
	s_cbranch_execnz .LBB1077_158
.LBB1077_131:
	s_or_b64 exec, exec, s[8:9]
	s_and_saveexec_b64 s[6:7], s[4:5]
	s_cbranch_execz .LBB1077_159
.LBB1077_132:
	v_sub_u32_e32 v5, v30, v6
	v_lshlrev_b32_e32 v5, 2, v5
	ds_write_b32 v5, v12
	s_or_b64 exec, exec, s[6:7]
	s_and_saveexec_b64 s[4:5], s[2:3]
	s_cbranch_execnz .LBB1077_160
.LBB1077_133:
	s_or_b64 exec, exec, s[4:5]
	s_and_saveexec_b64 s[2:3], s[0:1]
	s_cbranch_execz .LBB1077_161
.LBB1077_134:
	v_sub_u32_e32 v5, v26, v6
	v_lshlrev_b32_e32 v5, 2, v5
	ds_write_b32 v5, v10
	s_or_b64 exec, exec, s[2:3]
	v_cmp_ne_u32_e64 s[0:1], 0, v52
	s_and_saveexec_b64 s[2:3], vcc
	s_cbranch_execnz .LBB1077_162
	s_branch .LBB1077_163
.LBB1077_135:
                                        ; implicit-def: $sgpr0_sgpr1
                                        ; implicit-def: $vgpr52
                                        ; implicit-def: $vgpr53
                                        ; implicit-def: $vgpr54
                                        ; implicit-def: $vgpr55
                                        ; implicit-def: $vgpr56
                                        ; implicit-def: $vgpr57
                                        ; implicit-def: $vgpr58
                                        ; implicit-def: $vgpr59
                                        ; implicit-def: $vgpr60
                                        ; implicit-def: $vgpr61
                                        ; implicit-def: $vgpr62
                                        ; implicit-def: $vgpr63
                                        ; implicit-def: $vgpr64
                                        ; implicit-def: $vgpr65
	s_cbranch_execz .LBB1077_69
; %bb.136:
	v_cmp_ne_u32_e32 vcc, v23, v8
	v_cndmask_b32_e64 v65, 0, 1, vcc
	v_cmp_ne_u32_e32 vcc, v23, v9
	v_cndmask_b32_e64 v64, 0, 1, vcc
	;; [unrolled: 2-line block ×13, first 2 shown]
	v_cmp_ne_u32_e32 vcc, v11, v1
	v_lshlrev_b32_e32 v7, 2, v0
	v_cndmask_b32_e64 v52, 0, 1, vcc
	v_cmp_ne_u32_e32 vcc, 0, v0
	ds_write_b32 v7, v1
	s_waitcnt lgkmcnt(0)
	s_barrier
	s_waitcnt lgkmcnt(0)
                                        ; implicit-def: $sgpr0_sgpr1
	s_and_saveexec_b64 s[8:9], vcc
	s_xor_b64 s[8:9], exec, s[8:9]
	s_cbranch_execz .LBB1077_138
; %bb.137:
	v_add_u32_e32 v2, -4, v7
	ds_read_b32 v2, v2
	s_or_b64 s[2:3], s[2:3], exec
	s_waitcnt lgkmcnt(0)
	v_cmp_ne_u32_e32 vcc, v2, v22
	s_and_b64 s[0:1], vcc, exec
.LBB1077_138:
	s_or_b64 exec, exec, s[8:9]
	s_mov_b32 s10, 1
	s_branch .LBB1077_71
.LBB1077_139:
	s_mul_hi_u32 s1, s52, 0xfffff100
	s_mul_i32 s0, s53, 0xfffff100
	s_sub_i32 s1, s1, s52
	s_add_i32 s1, s1, s0
	s_mul_i32 s0, s52, 0xfffff100
	s_add_u32 s8, s0, s44
	s_addc_u32 s9, s1, s45
	s_and_b64 vcc, exec, s[4:5]
	s_cbranch_vccz .LBB1077_146
; %bb.140:
	v_mov_b32_e32 v3, s56
	v_add_co_u32_e64 v2, vcc, -4, s7
	v_addc_co_u32_e32 v3, vcc, -1, v3, vcc
	flat_load_dword v6, v[2:3]
	v_mad_u32_u24 v4, v0, 15, 14
	v_mov_b32_e32 v5, 0
	v_cmp_gt_u64_e32 vcc, s[8:9], v[4:5]
	v_cmp_ne_u32_e64 s[0:1], v11, v1
	v_mad_u32_u24 v4, v0, 15, 13
	s_and_b64 s[2:3], vcc, s[0:1]
	v_cmp_gt_u64_e32 vcc, s[8:9], v[4:5]
	v_cmp_ne_u32_e64 s[0:1], v10, v11
	v_mad_u32_u24 v4, v0, 15, 12
	s_and_b64 s[4:5], vcc, s[0:1]
	v_cmp_gt_u64_e32 vcc, s[8:9], v[4:5]
	v_cmp_ne_u32_e64 s[0:1], v13, v10
	v_mad_u32_u24 v4, v0, 15, 11
	s_and_b64 s[10:11], vcc, s[0:1]
	v_cmp_gt_u64_e32 vcc, s[8:9], v[4:5]
	v_cmp_ne_u32_e64 s[0:1], v12, v13
	v_mad_u32_u24 v4, v0, 15, 10
	s_and_b64 s[12:13], vcc, s[0:1]
	v_cmp_gt_u64_e32 vcc, s[8:9], v[4:5]
	v_cmp_ne_u32_e64 s[0:1], v15, v12
	v_mad_u32_u24 v4, v0, 15, 9
	s_and_b64 s[14:15], vcc, s[0:1]
	v_cmp_gt_u64_e32 vcc, s[8:9], v[4:5]
	v_cmp_ne_u32_e64 s[0:1], v14, v15
	v_mad_u32_u24 v4, v0, 15, 8
	s_and_b64 s[16:17], vcc, s[0:1]
	v_cmp_gt_u64_e32 vcc, s[8:9], v[4:5]
	v_cmp_ne_u32_e64 s[0:1], v17, v14
	v_mad_u32_u24 v4, v0, 15, 7
	s_and_b64 s[18:19], vcc, s[0:1]
	v_cmp_gt_u64_e32 vcc, s[8:9], v[4:5]
	v_cmp_ne_u32_e64 s[0:1], v16, v17
	v_mad_u32_u24 v4, v0, 15, 6
	s_and_b64 s[20:21], vcc, s[0:1]
	v_cmp_gt_u64_e32 vcc, s[8:9], v[4:5]
	v_cmp_ne_u32_e64 s[0:1], v19, v16
	v_mad_u32_u24 v4, v0, 15, 5
	s_and_b64 s[22:23], vcc, s[0:1]
	v_cmp_gt_u64_e32 vcc, s[8:9], v[4:5]
	v_cmp_ne_u32_e64 s[0:1], v18, v19
	v_mad_u32_u24 v4, v0, 15, 4
	s_and_b64 s[24:25], vcc, s[0:1]
	v_cmp_gt_u64_e32 vcc, s[8:9], v[4:5]
	v_cmp_ne_u32_e64 s[0:1], v21, v18
	v_mad_u32_u24 v4, v0, 15, 3
	s_and_b64 s[26:27], vcc, s[0:1]
	v_cmp_gt_u64_e32 vcc, s[8:9], v[4:5]
	v_cmp_ne_u32_e64 s[0:1], v20, v21
	v_mad_u32_u24 v4, v0, 15, 2
	s_and_b64 s[28:29], vcc, s[0:1]
	v_cmp_gt_u64_e32 vcc, s[8:9], v[4:5]
	v_cmp_ne_u32_e64 s[0:1], v23, v20
	v_mad_u32_u24 v4, v0, 15, 1
	s_and_b64 s[34:35], vcc, s[0:1]
	v_cmp_gt_u64_e32 vcc, s[8:9], v[4:5]
	v_cmp_ne_u32_e64 s[0:1], v22, v23
	v_lshlrev_b32_e32 v3, 2, v0
	v_mul_u32_u24_e32 v2, 15, v0
	s_and_b64 s[0:1], vcc, s[0:1]
	v_cmp_ne_u32_e32 vcc, 0, v0
	ds_write_b32 v3, v1
	s_waitcnt lgkmcnt(0)
	s_barrier
	s_and_saveexec_b64 s[44:45], vcc
	s_cbranch_execz .LBB1077_142
; %bb.141:
	v_add_u32_e32 v3, -4, v3
	s_waitcnt vmcnt(0)
	ds_read_b32 v6, v3
.LBB1077_142:
	s_or_b64 exec, exec, s[44:45]
	v_mov_b32_e32 v3, v5
	v_cndmask_b32_e64 v65, 0, 1, s[0:1]
	v_cmp_gt_u64_e32 vcc, s[8:9], v[2:3]
	s_waitcnt vmcnt(0) lgkmcnt(0)
	v_cmp_ne_u32_e64 s[0:1], v6, v22
	v_cndmask_b32_e64 v52, 0, 1, s[2:3]
	v_cndmask_b32_e64 v53, 0, 1, s[4:5]
	;; [unrolled: 1-line block ×13, first 2 shown]
	s_and_b64 s[0:1], vcc, s[0:1]
	s_mov_b64 s[2:3], -1
.LBB1077_143:
                                        ; implicit-def: $sgpr10
	v_mov_b32_e32 v82, s10
	s_and_saveexec_b64 s[4:5], s[2:3]
	s_cbranch_execnz .LBB1077_72
	s_branch .LBB1077_73
.LBB1077_144:
	s_andn2_saveexec_b64 s[0:1], s[26:27]
	s_cbranch_execz .LBB1077_164
.LBB1077_145:
	v_sub_u32_e32 v5, v50, v6
	v_lshlrev_b32_e32 v5, 2, v5
	ds_write_b32 v5, v22
	v_sub_u32_e32 v5, v48, v6
	v_lshlrev_b32_e32 v5, 2, v5
	ds_write_b32 v5, v23
	;; [unrolled: 3-line block ×13, first 2 shown]
	v_sub_u32_e32 v5, v8, v6
	v_lshlrev_b32_e32 v5, 2, v5
	s_or_b64 s[34:35], s[34:35], exec
	ds_write_b32 v5, v11
	s_or_b64 exec, exec, s[0:1]
	s_and_b64 exec, exec, s[34:35]
	s_cbranch_execnz .LBB1077_165
	s_branch .LBB1077_166
.LBB1077_146:
                                        ; implicit-def: $sgpr0_sgpr1
                                        ; implicit-def: $vgpr52
                                        ; implicit-def: $vgpr53
                                        ; implicit-def: $vgpr54
                                        ; implicit-def: $vgpr55
                                        ; implicit-def: $vgpr56
                                        ; implicit-def: $vgpr57
                                        ; implicit-def: $vgpr58
                                        ; implicit-def: $vgpr59
                                        ; implicit-def: $vgpr60
                                        ; implicit-def: $vgpr61
                                        ; implicit-def: $vgpr62
                                        ; implicit-def: $vgpr63
                                        ; implicit-def: $vgpr64
                                        ; implicit-def: $vgpr65
	s_cbranch_execz .LBB1077_143
; %bb.147:
	v_mad_u32_u24 v2, v0, 15, 14
	v_mov_b32_e32 v3, 0
	v_cmp_gt_u64_e32 vcc, s[8:9], v[2:3]
	v_cmp_ne_u32_e64 s[0:1], v11, v1
	s_and_b64 s[0:1], vcc, s[0:1]
	v_mad_u32_u24 v2, v0, 15, 13
	v_cndmask_b32_e64 v52, 0, 1, s[0:1]
	v_cmp_gt_u64_e32 vcc, s[8:9], v[2:3]
	v_cmp_ne_u32_e64 s[0:1], v10, v11
	s_and_b64 s[0:1], vcc, s[0:1]
	v_mad_u32_u24 v2, v0, 15, 12
	v_cndmask_b32_e64 v53, 0, 1, s[0:1]
	;; [unrolled: 5-line block ×13, first 2 shown]
	v_cmp_gt_u64_e32 vcc, s[8:9], v[2:3]
	v_cmp_ne_u32_e64 s[0:1], v22, v23
	s_and_b64 s[0:1], vcc, s[0:1]
	v_lshlrev_b32_e32 v4, 2, v0
	s_mov_b32 s10, 1
	v_cndmask_b32_e64 v65, 0, 1, s[0:1]
	v_cmp_ne_u32_e32 vcc, 0, v0
	ds_write_b32 v4, v1
	s_waitcnt lgkmcnt(0)
	s_barrier
	s_waitcnt lgkmcnt(0)
                                        ; implicit-def: $sgpr0_sgpr1
	s_and_saveexec_b64 s[4:5], vcc
	s_cbranch_execz .LBB1077_186
; %bb.148:
	v_add_u32_e32 v2, -4, v4
	ds_read_b32 v4, v2
	v_mul_u32_u24_e32 v2, 15, v0
	v_cmp_gt_u64_e32 vcc, s[8:9], v[2:3]
	s_or_b64 s[2:3], s[2:3], exec
	s_waitcnt lgkmcnt(0)
	v_cmp_ne_u32_e64 s[0:1], v4, v22
	s_and_b64 s[0:1], vcc, s[0:1]
	s_and_b64 s[0:1], s[0:1], exec
	s_or_b64 exec, exec, s[4:5]
	v_mov_b32_e32 v82, s10
	s_and_saveexec_b64 s[4:5], s[2:3]
	s_cbranch_execz .LBB1077_73
	s_branch .LBB1077_72
.LBB1077_149:
	s_or_b64 exec, exec, s[34:35]
	s_and_saveexec_b64 s[18:19], s[24:25]
	s_cbranch_execz .LBB1077_123
.LBB1077_150:
	v_sub_u32_e32 v5, v48, v6
	v_lshlrev_b32_e32 v5, 2, v5
	ds_write_b32 v5, v23
	s_or_b64 exec, exec, s[18:19]
	s_and_saveexec_b64 s[18:19], s[22:23]
	s_cbranch_execnz .LBB1077_124
.LBB1077_151:
	s_or_b64 exec, exec, s[18:19]
	s_and_saveexec_b64 s[18:19], s[20:21]
	s_cbranch_execz .LBB1077_125
.LBB1077_152:
	v_sub_u32_e32 v5, v44, v6
	v_lshlrev_b32_e32 v5, 2, v5
	ds_write_b32 v5, v21
	s_or_b64 exec, exec, s[18:19]
	s_and_saveexec_b64 s[18:19], s[16:17]
	s_cbranch_execnz .LBB1077_126
.LBB1077_153:
	s_or_b64 exec, exec, s[18:19]
	s_and_saveexec_b64 s[16:17], s[14:15]
	s_cbranch_execz .LBB1077_127
.LBB1077_154:
	v_sub_u32_e32 v5, v40, v6
	v_lshlrev_b32_e32 v5, 2, v5
	ds_write_b32 v5, v19
	s_or_b64 exec, exec, s[16:17]
	s_and_saveexec_b64 s[14:15], s[12:13]
	s_cbranch_execnz .LBB1077_128
.LBB1077_155:
	s_or_b64 exec, exec, s[14:15]
	s_and_saveexec_b64 s[12:13], s[10:11]
	s_cbranch_execz .LBB1077_129
.LBB1077_156:
	v_sub_u32_e32 v5, v36, v6
	v_lshlrev_b32_e32 v5, 2, v5
	ds_write_b32 v5, v17
	s_or_b64 exec, exec, s[12:13]
	s_and_saveexec_b64 s[10:11], s[8:9]
	s_cbranch_execnz .LBB1077_130
.LBB1077_157:
	s_or_b64 exec, exec, s[10:11]
	s_and_saveexec_b64 s[8:9], s[6:7]
	s_cbranch_execz .LBB1077_131
.LBB1077_158:
	v_sub_u32_e32 v5, v32, v6
	v_lshlrev_b32_e32 v5, 2, v5
	ds_write_b32 v5, v15
	s_or_b64 exec, exec, s[8:9]
	s_and_saveexec_b64 s[6:7], s[4:5]
	s_cbranch_execnz .LBB1077_132
.LBB1077_159:
	s_or_b64 exec, exec, s[6:7]
	s_and_saveexec_b64 s[4:5], s[2:3]
	s_cbranch_execz .LBB1077_133
.LBB1077_160:
	v_sub_u32_e32 v5, v28, v6
	v_lshlrev_b32_e32 v5, 2, v5
	ds_write_b32 v5, v13
	s_or_b64 exec, exec, s[4:5]
	s_and_saveexec_b64 s[2:3], s[0:1]
	s_cbranch_execnz .LBB1077_134
.LBB1077_161:
	s_or_b64 exec, exec, s[2:3]
	v_cmp_ne_u32_e64 s[0:1], 0, v52
	s_and_saveexec_b64 s[2:3], vcc
	s_cbranch_execz .LBB1077_163
.LBB1077_162:
	v_sub_u32_e32 v5, v8, v6
	v_lshlrev_b32_e32 v5, 2, v5
	ds_write_b32 v5, v11
.LBB1077_163:
	s_or_b64 exec, exec, s[2:3]
	s_and_b64 s[34:35], s[0:1], exec
                                        ; implicit-def: $vgpr10
                                        ; implicit-def: $vgpr12
                                        ; implicit-def: $vgpr14
                                        ; implicit-def: $vgpr16
                                        ; implicit-def: $vgpr18
                                        ; implicit-def: $vgpr20
                                        ; implicit-def: $vgpr22
	s_andn2_saveexec_b64 s[0:1], s[26:27]
	s_cbranch_execnz .LBB1077_145
.LBB1077_164:
	s_or_b64 exec, exec, s[0:1]
	s_and_b64 exec, exec, s[34:35]
	s_cbranch_execz .LBB1077_166
.LBB1077_165:
	v_sub_u32_e32 v5, v2, v6
	v_lshlrev_b32_e32 v5, 2, v5
	ds_write_b32 v5, v1
.LBB1077_166:
	s_or_b64 exec, exec, s[28:29]
	s_waitcnt lgkmcnt(0)
	s_barrier
.LBB1077_167:
	s_cmpk_lg_i32 s33, 0xf00
	s_cselect_b64 s[0:1], -1, 0
	s_and_b64 s[0:1], s[48:49], s[0:1]
	v_cmp_eq_u32_e32 vcc, 0, v0
	v_cndmask_b32_e64 v10, 0, 1, s[0:1]
	s_and_b64 s[0:1], vcc, s[30:31]
	v_cndmask_b32_e64 v11, v82, 0, s[0:1]
	s_mul_hi_u32 s0, s33, 0x88888889
	s_lshr_b32 s0, s0, 3
	v_mad_i32_i24 v12, v0, -15, s33
	v_cmp_eq_u32_e32 vcc, s0, v0
	v_cmp_ne_u32_e64 s[0:1], 0, v12
	v_cndmask_b32_e64 v13, 1, v11, s[0:1]
	v_cmp_ne_u32_e64 s[0:1], 1, v12
	v_cndmask_b32_e64 v14, 1, v65, s[0:1]
	;; [unrolled: 2-line block ×15, first 2 shown]
	s_and_b64 vcc, s[48:49], vcc
	v_cndmask_b32_e32 v52, v52, v12, vcc
	v_cndmask_b32_e32 v20, v59, v20, vcc
	;; [unrolled: 1-line block ×3, first 2 shown]
	s_waitcnt vmcnt(0)
	v_lshlrev_b64 v[12:13], 1, v[24:25]
	v_mov_b32_e32 v7, 0
	v_cndmask_b32_e32 v53, v53, v68, vcc
	v_cndmask_b32_e32 v54, v54, v67, vcc
	;; [unrolled: 1-line block ×12, first 2 shown]
	v_mov_b32_e32 v11, s41
	v_add_co_u32_e32 v14, vcc, s40, v12
	v_addc_co_u32_e32 v11, vcc, v11, v13, vcc
	v_lshlrev_b64 v[12:13], 1, v[6:7]
	v_cndmask_b32_e64 v1, 0, 1, s[30:31]
	v_add_co_u32_e32 v7, vcc, v14, v12
	v_addc_co_u32_e32 v14, vcc, v11, v13, vcc
	v_lshlrev_b32_e32 v11, 1, v1
	v_add_co_u32_e32 v11, vcc, v11, v7
	v_addc_co_u32_e32 v12, vcc, 0, v14, vcc
	v_add_co_u32_e32 v15, vcc, -2, v11
	v_addc_co_u32_e32 v16, vcc, -1, v12, vcc
	v_cmp_eq_u32_e32 vcc, 0, v59
	v_cndmask_b32_e64 v12, 1, 2, vcc
	v_cmp_eq_u32_e32 vcc, 0, v58
	v_cndmask_b32_e64 v13, 1, 2, vcc
	v_cmp_eq_u32_e32 vcc, 0, v57
	v_and_b32_e32 v12, v13, v12
	v_cndmask_b32_e64 v13, 1, 2, vcc
	v_cmp_eq_u32_e32 vcc, 0, v56
	v_and_b32_e32 v12, v12, v13
	;; [unrolled: 3-line block ×11, first 2 shown]
	v_cndmask_b32_e64 v13, 1, 2, vcc
	v_cmp_eq_u32_e32 vcc, 0, v53
	v_sub_u32_e32 v5, v4, v1
	v_and_b32_e32 v12, v12, v13
	v_cndmask_b32_e64 v13, 1, 2, vcc
	v_cmp_eq_u32_e32 vcc, 0, v52
	v_add_u32_e32 v5, v5, v10
	v_and_b32_e32 v12, v12, v13
	v_cndmask_b32_e64 v13, 1, 2, vcc
	v_and_b32_e32 v12, v12, v13
	v_cmp_gt_u32_e32 vcc, s36, v5
	v_add_u32_e32 v11, v6, v1
	v_cmp_ne_u32_e64 s[28:29], 0, v59
	v_cmp_ne_u32_e64 s[26:27], 0, v58
	;; [unrolled: 1-line block ×15, first 2 shown]
	s_mov_b64 s[34:35], -1
	v_cmp_gt_i16_e64 s[30:31], 2, v12
	s_barrier
	s_cbranch_vccz .LBB1077_205
; %bb.168:
	s_and_saveexec_b64 s[34:35], s[30:31]
	s_cbranch_execz .LBB1077_204
; %bb.169:
	v_cmp_ne_u16_e32 vcc, 1, v12
	s_mov_b64 s[36:37], 0
	s_and_saveexec_b64 s[30:31], vcc
	s_xor_b64 s[30:31], exec, s[30:31]
	s_cbranch_execz .LBB1077_184
; %bb.170:
	s_and_saveexec_b64 s[36:37], s[28:29]
	s_cbranch_execz .LBB1077_187
; %bb.171:
	v_sub_u32_e32 v18, v50, v11
	v_mov_b32_e32 v19, 0
	v_lshlrev_b64 v[18:19], 1, v[18:19]
	v_add_co_u32_e32 v18, vcc, v15, v18
	v_addc_co_u32_e32 v19, vcc, v16, v19, vcc
	global_store_short v[18:19], v51, off
	s_or_b64 exec, exec, s[36:37]
	s_and_saveexec_b64 s[36:37], s[26:27]
	s_cbranch_execnz .LBB1077_188
.LBB1077_172:
	s_or_b64 exec, exec, s[36:37]
	s_and_saveexec_b64 s[36:37], s[24:25]
	s_cbranch_execz .LBB1077_189
.LBB1077_173:
	v_sub_u32_e32 v18, v46, v11
	v_mov_b32_e32 v19, 0
	v_lshlrev_b64 v[18:19], 1, v[18:19]
	v_add_co_u32_e32 v18, vcc, v15, v18
	v_addc_co_u32_e32 v19, vcc, v16, v19, vcc
	global_store_short v[18:19], v47, off
	s_or_b64 exec, exec, s[36:37]
	s_and_saveexec_b64 s[36:37], s[22:23]
	s_cbranch_execnz .LBB1077_190
.LBB1077_174:
	s_or_b64 exec, exec, s[36:37]
	s_and_saveexec_b64 s[36:37], s[20:21]
	s_cbranch_execz .LBB1077_191
.LBB1077_175:
	v_sub_u32_e32 v18, v42, v11
	v_mov_b32_e32 v19, 0
	v_lshlrev_b64 v[18:19], 1, v[18:19]
	v_add_co_u32_e32 v18, vcc, v15, v18
	v_addc_co_u32_e32 v19, vcc, v16, v19, vcc
	global_store_short v[18:19], v43, off
	s_or_b64 exec, exec, s[36:37]
	s_and_saveexec_b64 s[36:37], s[18:19]
	s_cbranch_execnz .LBB1077_192
.LBB1077_176:
	s_or_b64 exec, exec, s[36:37]
	s_and_saveexec_b64 s[36:37], s[16:17]
	s_cbranch_execz .LBB1077_193
.LBB1077_177:
	v_sub_u32_e32 v18, v38, v11
	v_mov_b32_e32 v19, 0
	v_lshlrev_b64 v[18:19], 1, v[18:19]
	v_add_co_u32_e32 v18, vcc, v15, v18
	v_addc_co_u32_e32 v19, vcc, v16, v19, vcc
	global_store_short v[18:19], v39, off
	s_or_b64 exec, exec, s[36:37]
	s_and_saveexec_b64 s[36:37], s[14:15]
	s_cbranch_execnz .LBB1077_194
.LBB1077_178:
	s_or_b64 exec, exec, s[36:37]
	s_and_saveexec_b64 s[36:37], s[12:13]
	s_cbranch_execz .LBB1077_195
.LBB1077_179:
	v_sub_u32_e32 v18, v34, v11
	v_mov_b32_e32 v19, 0
	v_lshlrev_b64 v[18:19], 1, v[18:19]
	v_add_co_u32_e32 v18, vcc, v15, v18
	v_addc_co_u32_e32 v19, vcc, v16, v19, vcc
	global_store_short v[18:19], v35, off
	s_or_b64 exec, exec, s[36:37]
	s_and_saveexec_b64 s[36:37], s[10:11]
	s_cbranch_execnz .LBB1077_196
.LBB1077_180:
	s_or_b64 exec, exec, s[36:37]
	s_and_saveexec_b64 s[36:37], s[8:9]
	s_cbranch_execz .LBB1077_197
.LBB1077_181:
	v_sub_u32_e32 v18, v30, v11
	v_mov_b32_e32 v19, 0
	v_lshlrev_b64 v[18:19], 1, v[18:19]
	v_add_co_u32_e32 v18, vcc, v15, v18
	v_addc_co_u32_e32 v19, vcc, v16, v19, vcc
	global_store_short v[18:19], v31, off
	s_or_b64 exec, exec, s[36:37]
	s_and_saveexec_b64 s[36:37], s[6:7]
	s_cbranch_execnz .LBB1077_198
.LBB1077_182:
	s_or_b64 exec, exec, s[36:37]
	s_and_saveexec_b64 s[36:37], s[4:5]
	s_cbranch_execz .LBB1077_199
.LBB1077_183:
	v_sub_u32_e32 v18, v26, v11
	v_mov_b32_e32 v19, 0
	v_lshlrev_b64 v[18:19], 1, v[18:19]
	v_add_co_u32_e32 v18, vcc, v15, v18
	v_addc_co_u32_e32 v19, vcc, v16, v19, vcc
	global_store_short v[18:19], v27, off
	s_or_b64 exec, exec, s[36:37]
	s_and_saveexec_b64 s[36:37], s[2:3]
	s_cbranch_execnz .LBB1077_200
	s_branch .LBB1077_201
.LBB1077_184:
	s_andn2_saveexec_b64 s[30:31], s[30:31]
	s_cbranch_execz .LBB1077_202
.LBB1077_185:
	v_sub_u32_e32 v18, v50, v11
	v_mov_b32_e32 v19, 0
	v_lshlrev_b64 v[20:21], 1, v[18:19]
	v_add_co_u32_e32 v20, vcc, v15, v20
	v_addc_co_u32_e32 v21, vcc, v16, v21, vcc
	v_sub_u32_e32 v18, v48, v11
	global_store_short v[20:21], v51, off
	v_lshlrev_b64 v[20:21], 1, v[18:19]
	v_add_co_u32_e32 v20, vcc, v15, v20
	v_addc_co_u32_e32 v21, vcc, v16, v21, vcc
	v_sub_u32_e32 v18, v46, v11
	global_store_short v[20:21], v49, off
	;; [unrolled: 5-line block ×12, first 2 shown]
	v_lshlrev_b64 v[20:21], 1, v[18:19]
	v_add_co_u32_e32 v20, vcc, v15, v20
	v_sub_u32_e32 v18, v8, v11
	v_addc_co_u32_e32 v21, vcc, v16, v21, vcc
	v_lshlrev_b64 v[18:19], 1, v[18:19]
	v_add_co_u32_e32 v18, vcc, v15, v18
	v_addc_co_u32_e32 v19, vcc, v16, v19, vcc
	s_or_b64 s[36:37], s[36:37], exec
	global_store_short v[20:21], v27, off
	global_store_short v[18:19], v9, off
	s_or_b64 exec, exec, s[30:31]
	s_and_b64 exec, exec, s[36:37]
	s_cbranch_execnz .LBB1077_203
	s_branch .LBB1077_204
.LBB1077_186:
	s_or_b64 exec, exec, s[4:5]
	v_mov_b32_e32 v82, s10
	s_and_saveexec_b64 s[4:5], s[2:3]
	s_cbranch_execnz .LBB1077_72
	s_branch .LBB1077_73
.LBB1077_187:
	s_or_b64 exec, exec, s[36:37]
	s_and_saveexec_b64 s[36:37], s[26:27]
	s_cbranch_execz .LBB1077_172
.LBB1077_188:
	v_sub_u32_e32 v18, v48, v11
	v_mov_b32_e32 v19, 0
	v_lshlrev_b64 v[18:19], 1, v[18:19]
	v_add_co_u32_e32 v18, vcc, v15, v18
	v_addc_co_u32_e32 v19, vcc, v16, v19, vcc
	global_store_short v[18:19], v49, off
	s_or_b64 exec, exec, s[36:37]
	s_and_saveexec_b64 s[36:37], s[24:25]
	s_cbranch_execnz .LBB1077_173
.LBB1077_189:
	s_or_b64 exec, exec, s[36:37]
	s_and_saveexec_b64 s[36:37], s[22:23]
	s_cbranch_execz .LBB1077_174
.LBB1077_190:
	v_sub_u32_e32 v18, v44, v11
	v_mov_b32_e32 v19, 0
	v_lshlrev_b64 v[18:19], 1, v[18:19]
	v_add_co_u32_e32 v18, vcc, v15, v18
	v_addc_co_u32_e32 v19, vcc, v16, v19, vcc
	global_store_short v[18:19], v45, off
	s_or_b64 exec, exec, s[36:37]
	s_and_saveexec_b64 s[36:37], s[20:21]
	s_cbranch_execnz .LBB1077_175
.LBB1077_191:
	s_or_b64 exec, exec, s[36:37]
	s_and_saveexec_b64 s[36:37], s[18:19]
	s_cbranch_execz .LBB1077_176
.LBB1077_192:
	v_sub_u32_e32 v18, v40, v11
	v_mov_b32_e32 v19, 0
	v_lshlrev_b64 v[18:19], 1, v[18:19]
	v_add_co_u32_e32 v18, vcc, v15, v18
	v_addc_co_u32_e32 v19, vcc, v16, v19, vcc
	global_store_short v[18:19], v41, off
	s_or_b64 exec, exec, s[36:37]
	s_and_saveexec_b64 s[36:37], s[16:17]
	s_cbranch_execnz .LBB1077_177
.LBB1077_193:
	s_or_b64 exec, exec, s[36:37]
	s_and_saveexec_b64 s[36:37], s[14:15]
	s_cbranch_execz .LBB1077_178
.LBB1077_194:
	v_sub_u32_e32 v18, v36, v11
	v_mov_b32_e32 v19, 0
	v_lshlrev_b64 v[18:19], 1, v[18:19]
	v_add_co_u32_e32 v18, vcc, v15, v18
	v_addc_co_u32_e32 v19, vcc, v16, v19, vcc
	global_store_short v[18:19], v37, off
	s_or_b64 exec, exec, s[36:37]
	s_and_saveexec_b64 s[36:37], s[12:13]
	s_cbranch_execnz .LBB1077_179
.LBB1077_195:
	s_or_b64 exec, exec, s[36:37]
	s_and_saveexec_b64 s[36:37], s[10:11]
	s_cbranch_execz .LBB1077_180
.LBB1077_196:
	v_sub_u32_e32 v18, v32, v11
	v_mov_b32_e32 v19, 0
	v_lshlrev_b64 v[18:19], 1, v[18:19]
	v_add_co_u32_e32 v18, vcc, v15, v18
	v_addc_co_u32_e32 v19, vcc, v16, v19, vcc
	global_store_short v[18:19], v33, off
	s_or_b64 exec, exec, s[36:37]
	s_and_saveexec_b64 s[36:37], s[8:9]
	s_cbranch_execnz .LBB1077_181
.LBB1077_197:
	s_or_b64 exec, exec, s[36:37]
	s_and_saveexec_b64 s[36:37], s[6:7]
	s_cbranch_execz .LBB1077_182
.LBB1077_198:
	v_sub_u32_e32 v18, v28, v11
	v_mov_b32_e32 v19, 0
	v_lshlrev_b64 v[18:19], 1, v[18:19]
	v_add_co_u32_e32 v18, vcc, v15, v18
	v_addc_co_u32_e32 v19, vcc, v16, v19, vcc
	global_store_short v[18:19], v29, off
	s_or_b64 exec, exec, s[36:37]
	s_and_saveexec_b64 s[36:37], s[4:5]
	s_cbranch_execnz .LBB1077_183
.LBB1077_199:
	s_or_b64 exec, exec, s[36:37]
	s_and_saveexec_b64 s[36:37], s[2:3]
	s_cbranch_execz .LBB1077_201
.LBB1077_200:
	v_sub_u32_e32 v18, v8, v11
	v_mov_b32_e32 v19, 0
	v_lshlrev_b64 v[18:19], 1, v[18:19]
	v_add_co_u32_e32 v18, vcc, v15, v18
	v_addc_co_u32_e32 v19, vcc, v16, v19, vcc
	global_store_short v[18:19], v9, off
.LBB1077_201:
	s_or_b64 exec, exec, s[36:37]
	s_and_b64 s[36:37], s[0:1], exec
	s_andn2_saveexec_b64 s[30:31], s[30:31]
	s_cbranch_execnz .LBB1077_185
.LBB1077_202:
	s_or_b64 exec, exec, s[30:31]
	s_and_b64 exec, exec, s[36:37]
	s_cbranch_execz .LBB1077_204
.LBB1077_203:
	v_sub_u32_e32 v18, v2, v11
	v_mov_b32_e32 v19, 0
	v_lshlrev_b64 v[18:19], 1, v[18:19]
	v_add_co_u32_e32 v18, vcc, v15, v18
	v_addc_co_u32_e32 v19, vcc, v16, v19, vcc
	global_store_short v[18:19], v3, off
.LBB1077_204:
	s_or_b64 exec, exec, s[34:35]
	s_mov_b64 s[34:35], 0
.LBB1077_205:
	s_and_b64 vcc, exec, s[34:35]
	s_cbranch_vccz .LBB1077_257
; %bb.206:
	v_cmp_gt_i16_e32 vcc, 2, v12
	s_and_saveexec_b64 s[30:31], vcc
	s_cbranch_execz .LBB1077_241
; %bb.207:
	v_cmp_ne_u16_e32 vcc, 1, v12
	s_mov_b64 s[36:37], 0
	s_and_saveexec_b64 s[34:35], vcc
	s_xor_b64 s[34:35], exec, s[34:35]
	s_cbranch_execz .LBB1077_222
; %bb.208:
	s_and_saveexec_b64 s[36:37], s[28:29]
	s_cbranch_execz .LBB1077_224
; %bb.209:
	v_sub_u32_e32 v12, v50, v11
	v_lshlrev_b32_e32 v12, 1, v12
	ds_write_b16 v12, v51
	s_or_b64 exec, exec, s[36:37]
	s_and_saveexec_b64 s[28:29], s[26:27]
	s_cbranch_execnz .LBB1077_225
.LBB1077_210:
	s_or_b64 exec, exec, s[28:29]
	s_and_saveexec_b64 s[26:27], s[24:25]
	s_cbranch_execz .LBB1077_226
.LBB1077_211:
	v_sub_u32_e32 v12, v46, v11
	v_lshlrev_b32_e32 v12, 1, v12
	ds_write_b16 v12, v47
	s_or_b64 exec, exec, s[26:27]
	s_and_saveexec_b64 s[24:25], s[22:23]
	s_cbranch_execnz .LBB1077_227
.LBB1077_212:
	s_or_b64 exec, exec, s[24:25]
	s_and_saveexec_b64 s[22:23], s[20:21]
	s_cbranch_execz .LBB1077_228
.LBB1077_213:
	v_sub_u32_e32 v12, v42, v11
	v_lshlrev_b32_e32 v12, 1, v12
	ds_write_b16 v12, v43
	s_or_b64 exec, exec, s[22:23]
	s_and_saveexec_b64 s[20:21], s[18:19]
	s_cbranch_execnz .LBB1077_229
.LBB1077_214:
	s_or_b64 exec, exec, s[20:21]
	s_and_saveexec_b64 s[18:19], s[16:17]
	s_cbranch_execz .LBB1077_230
.LBB1077_215:
	v_sub_u32_e32 v12, v38, v11
	v_lshlrev_b32_e32 v12, 1, v12
	ds_write_b16 v12, v39
	s_or_b64 exec, exec, s[18:19]
	s_and_saveexec_b64 s[16:17], s[14:15]
	s_cbranch_execnz .LBB1077_231
.LBB1077_216:
	s_or_b64 exec, exec, s[16:17]
	s_and_saveexec_b64 s[14:15], s[12:13]
	s_cbranch_execz .LBB1077_232
.LBB1077_217:
	v_sub_u32_e32 v12, v34, v11
	v_lshlrev_b32_e32 v12, 1, v12
	ds_write_b16 v12, v35
	s_or_b64 exec, exec, s[14:15]
	s_and_saveexec_b64 s[12:13], s[10:11]
	s_cbranch_execnz .LBB1077_233
.LBB1077_218:
	s_or_b64 exec, exec, s[12:13]
	s_and_saveexec_b64 s[10:11], s[8:9]
	s_cbranch_execz .LBB1077_234
.LBB1077_219:
	v_sub_u32_e32 v12, v30, v11
	v_lshlrev_b32_e32 v12, 1, v12
	ds_write_b16 v12, v31
	s_or_b64 exec, exec, s[10:11]
	s_and_saveexec_b64 s[8:9], s[6:7]
	s_cbranch_execnz .LBB1077_235
.LBB1077_220:
	s_or_b64 exec, exec, s[8:9]
	s_and_saveexec_b64 s[6:7], s[4:5]
	s_cbranch_execz .LBB1077_236
.LBB1077_221:
	v_sub_u32_e32 v12, v26, v11
	v_lshlrev_b32_e32 v12, 1, v12
	ds_write_b16 v12, v27
	s_or_b64 exec, exec, s[6:7]
	s_and_saveexec_b64 s[4:5], s[2:3]
	s_cbranch_execnz .LBB1077_237
	s_branch .LBB1077_238
.LBB1077_222:
	s_andn2_saveexec_b64 s[0:1], s[34:35]
	s_cbranch_execz .LBB1077_239
.LBB1077_223:
	v_sub_u32_e32 v12, v50, v11
	v_lshlrev_b32_e32 v12, 1, v12
	ds_write_b16 v12, v51
	v_sub_u32_e32 v12, v48, v11
	v_lshlrev_b32_e32 v12, 1, v12
	ds_write_b16 v12, v49
	;; [unrolled: 3-line block ×12, first 2 shown]
	v_sub_u32_e32 v12, v26, v11
	v_sub_u32_e32 v8, v8, v11
	v_lshlrev_b32_e32 v12, 1, v12
	v_lshlrev_b32_e32 v8, 1, v8
	s_or_b64 s[36:37], s[36:37], exec
	ds_write_b16 v12, v27
	ds_write_b16 v8, v9
	s_or_b64 exec, exec, s[0:1]
	s_and_b64 exec, exec, s[36:37]
	s_cbranch_execnz .LBB1077_240
	s_branch .LBB1077_241
.LBB1077_224:
	s_or_b64 exec, exec, s[36:37]
	s_and_saveexec_b64 s[28:29], s[26:27]
	s_cbranch_execz .LBB1077_210
.LBB1077_225:
	v_sub_u32_e32 v12, v48, v11
	v_lshlrev_b32_e32 v12, 1, v12
	ds_write_b16 v12, v49
	s_or_b64 exec, exec, s[28:29]
	s_and_saveexec_b64 s[26:27], s[24:25]
	s_cbranch_execnz .LBB1077_211
.LBB1077_226:
	s_or_b64 exec, exec, s[26:27]
	s_and_saveexec_b64 s[24:25], s[22:23]
	s_cbranch_execz .LBB1077_212
.LBB1077_227:
	v_sub_u32_e32 v12, v44, v11
	v_lshlrev_b32_e32 v12, 1, v12
	ds_write_b16 v12, v45
	s_or_b64 exec, exec, s[24:25]
	s_and_saveexec_b64 s[22:23], s[20:21]
	s_cbranch_execnz .LBB1077_213
.LBB1077_228:
	s_or_b64 exec, exec, s[22:23]
	s_and_saveexec_b64 s[20:21], s[18:19]
	s_cbranch_execz .LBB1077_214
.LBB1077_229:
	v_sub_u32_e32 v12, v40, v11
	v_lshlrev_b32_e32 v12, 1, v12
	ds_write_b16 v12, v41
	s_or_b64 exec, exec, s[20:21]
	s_and_saveexec_b64 s[18:19], s[16:17]
	s_cbranch_execnz .LBB1077_215
.LBB1077_230:
	s_or_b64 exec, exec, s[18:19]
	s_and_saveexec_b64 s[16:17], s[14:15]
	s_cbranch_execz .LBB1077_216
.LBB1077_231:
	v_sub_u32_e32 v12, v36, v11
	v_lshlrev_b32_e32 v12, 1, v12
	ds_write_b16 v12, v37
	s_or_b64 exec, exec, s[16:17]
	s_and_saveexec_b64 s[14:15], s[12:13]
	s_cbranch_execnz .LBB1077_217
.LBB1077_232:
	s_or_b64 exec, exec, s[14:15]
	s_and_saveexec_b64 s[12:13], s[10:11]
	s_cbranch_execz .LBB1077_218
.LBB1077_233:
	v_sub_u32_e32 v12, v32, v11
	v_lshlrev_b32_e32 v12, 1, v12
	ds_write_b16 v12, v33
	s_or_b64 exec, exec, s[12:13]
	s_and_saveexec_b64 s[10:11], s[8:9]
	s_cbranch_execnz .LBB1077_219
.LBB1077_234:
	s_or_b64 exec, exec, s[10:11]
	s_and_saveexec_b64 s[8:9], s[6:7]
	s_cbranch_execz .LBB1077_220
.LBB1077_235:
	v_sub_u32_e32 v12, v28, v11
	v_lshlrev_b32_e32 v12, 1, v12
	ds_write_b16 v12, v29
	s_or_b64 exec, exec, s[8:9]
	s_and_saveexec_b64 s[6:7], s[4:5]
	s_cbranch_execnz .LBB1077_221
.LBB1077_236:
	s_or_b64 exec, exec, s[6:7]
	s_and_saveexec_b64 s[4:5], s[2:3]
	s_cbranch_execz .LBB1077_238
.LBB1077_237:
	v_sub_u32_e32 v8, v8, v11
	v_lshlrev_b32_e32 v8, 1, v8
	ds_write_b16 v8, v9
.LBB1077_238:
	s_or_b64 exec, exec, s[4:5]
	s_and_b64 s[36:37], s[0:1], exec
                                        ; implicit-def: $vgpr50_vgpr51
                                        ; implicit-def: $vgpr48_vgpr49
                                        ; implicit-def: $vgpr46_vgpr47
                                        ; implicit-def: $vgpr44_vgpr45
                                        ; implicit-def: $vgpr42_vgpr43
                                        ; implicit-def: $vgpr40_vgpr41
                                        ; implicit-def: $vgpr38_vgpr39
                                        ; implicit-def: $vgpr36_vgpr37
                                        ; implicit-def: $vgpr34_vgpr35
                                        ; implicit-def: $vgpr32_vgpr33
                                        ; implicit-def: $vgpr30_vgpr31
                                        ; implicit-def: $vgpr28_vgpr29
                                        ; implicit-def: $vgpr26_vgpr27
                                        ; implicit-def: $vgpr8_vgpr9
	s_andn2_saveexec_b64 s[0:1], s[34:35]
	s_cbranch_execnz .LBB1077_223
.LBB1077_239:
	s_or_b64 exec, exec, s[0:1]
	s_and_b64 exec, exec, s[36:37]
	s_cbranch_execz .LBB1077_241
.LBB1077_240:
	v_sub_u32_e32 v2, v2, v11
	v_lshlrev_b32_e32 v2, 1, v2
	ds_write_b16 v2, v3
.LBB1077_241:
	s_or_b64 exec, exec, s[30:31]
	v_cmp_lt_u32_e32 vcc, v0, v5
	s_waitcnt lgkmcnt(0)
	s_barrier
	s_and_saveexec_b64 s[2:3], vcc
	s_cbranch_execz .LBB1077_256
; %bb.242:
	v_add_u32_e32 v8, v4, v10
	v_xad_u32 v2, v0, -1, v8
	v_sub_u32_e32 v3, v2, v1
	s_movk_i32 s0, 0x1b00
	v_cmp_gt_u32_e64 s[4:5], s0, v3
	s_movk_i32 s0, 0x1aff
	v_cmp_lt_u32_e32 vcc, s0, v3
	v_mov_b32_e32 v2, v0
	s_and_saveexec_b64 s[6:7], vcc
	s_cbranch_execz .LBB1077_253
; %bb.243:
	v_sub_u32_e32 v2, v0, v8
	v_add_u32_e32 v1, v2, v1
	v_or_b32_e32 v1, 0xff, v1
	v_cmp_ge_u32_e32 vcc, v1, v0
	s_mov_b64 s[0:1], -1
	v_mov_b32_e32 v2, v0
	s_and_saveexec_b64 s[8:9], vcc
	s_cbranch_execz .LBB1077_252
; %bb.244:
	v_lshrrev_b32_e32 v17, 8, v3
	v_add_u32_e32 v8, -3, v17
	v_or_b32_e32 v3, 0x300, v0
	v_or_b32_e32 v2, 0x200, v0
	v_lshrrev_b32_e32 v9, 2, v8
	v_or_b32_e32 v1, 0x100, v0
	v_add_u32_e32 v19, 1, v9
	v_cmp_lt_u32_e32 vcc, 11, v8
	v_pk_mov_b32 v[10:11], v[2:3], v[2:3] op_sel:[0,1]
	v_mov_b32_e32 v22, 0
	v_lshlrev_b32_e32 v18, 1, v0
	v_pk_mov_b32 v[8:9], v[0:1], v[0:1] op_sel:[0,1]
	s_and_saveexec_b64 s[10:11], vcc
	s_cbranch_execz .LBB1077_248
; %bb.245:
	v_pk_mov_b32 v[10:11], v[2:3], v[2:3] op_sel:[0,1]
	v_and_b32_e32 v20, 0x7ffffffc, v19
	s_mov_b32 s14, 0
	s_mov_b64 s[12:13], 0
	v_mov_b32_e32 v13, 0
	v_mov_b32_e32 v21, v18
	v_pk_mov_b32 v[8:9], v[0:1], v[0:1] op_sel:[0,1]
.LBB1077_246:                           ; =>This Inner Loop Header: Depth=1
	v_mov_b32_e32 v12, v8
	v_lshlrev_b64 v[40:41], 1, v[12:13]
	v_add_u32_e32 v26, 0x400, v9
	v_mov_b32_e32 v27, v13
	v_add_co_u32_e64 v40, s[0:1], v15, v40
	v_lshlrev_b64 v[26:27], 1, v[26:27]
	v_addc_co_u32_e64 v41, s[0:1], v16, v41, s[0:1]
	v_add_u32_e32 v22, 0x400, v10
	v_mov_b32_e32 v23, v13
	v_add_co_u32_e64 v26, s[0:1], v15, v26
	v_lshlrev_b64 v[42:43], 1, v[22:23]
	v_addc_co_u32_e64 v27, s[0:1], v16, v27, s[0:1]
	v_add_u32_e32 v2, 0x400, v11
	v_mov_b32_e32 v3, v13
	v_add_co_u32_e64 v42, s[0:1], v15, v42
	v_add_u32_e32 v20, -4, v20
	v_mov_b32_e32 v12, v9
	v_lshlrev_b64 v[2:3], 1, v[2:3]
	v_addc_co_u32_e64 v43, s[0:1], v16, v43, s[0:1]
	v_add_u32_e32 v32, 0x800, v9
	v_mov_b32_e32 v33, v13
	s_add_i32 s14, s14, 16
	v_cmp_eq_u32_e32 vcc, 0, v20
	v_lshlrev_b64 v[44:45], 1, v[12:13]
	v_add_co_u32_e64 v2, s[0:1], v15, v2
	v_lshlrev_b64 v[32:33], 1, v[32:33]
	v_mov_b32_e32 v12, v10
	v_addc_co_u32_e64 v3, s[0:1], v16, v3, s[0:1]
	s_or_b64 s[12:13], vcc, s[12:13]
	v_add_co_u32_e32 v44, vcc, v15, v44
	v_add_u32_e32 v30, 0x800, v10
	v_mov_b32_e32 v31, v13
	v_add_co_u32_e64 v32, s[0:1], v15, v32
	v_addc_co_u32_e32 v45, vcc, v16, v45, vcc
	v_lshlrev_b64 v[46:47], 1, v[12:13]
	v_lshlrev_b64 v[30:31], 1, v[30:31]
	v_addc_co_u32_e64 v33, s[0:1], v16, v33, s[0:1]
	v_mov_b32_e32 v12, v11
	v_add_co_u32_e32 v46, vcc, v15, v46
	ds_read_u16 v1, v21
	ds_read_u16 v50, v21 offset:512
	ds_read_u16 v51, v21 offset:1024
	;; [unrolled: 1-line block ×7, first 2 shown]
	v_add_u32_e32 v28, 0x800, v11
	v_mov_b32_e32 v29, v13
	v_add_co_u32_e64 v30, s[0:1], v15, v30
	v_addc_co_u32_e32 v47, vcc, v16, v47, vcc
	v_lshlrev_b64 v[48:49], 1, v[12:13]
	v_lshlrev_b64 v[28:29], 1, v[28:29]
	v_addc_co_u32_e64 v31, s[0:1], v16, v31, s[0:1]
	v_add_u32_e32 v12, 0x400, v8
	v_add_co_u32_e32 v48, vcc, v15, v48
	v_add_u32_e32 v38, 0xc00, v9
	v_mov_b32_e32 v39, v13
	ds_read_u16 v57, v21 offset:4096
	ds_read_u16 v58, v21 offset:4608
	;; [unrolled: 1-line block ×8, first 2 shown]
	v_add_co_u32_e64 v28, s[0:1], v15, v28
	v_addc_co_u32_e32 v49, vcc, v16, v49, vcc
	s_waitcnt lgkmcnt(14)
	global_store_short v[40:41], v1, off
	global_store_short v[44:45], v50, off
	s_waitcnt lgkmcnt(13)
	global_store_short v[46:47], v51, off
	v_lshlrev_b64 v[40:41], 1, v[12:13]
	v_lshlrev_b64 v[38:39], 1, v[38:39]
	v_addc_co_u32_e64 v29, s[0:1], v16, v29, s[0:1]
	v_add_u32_e32 v12, 0x800, v8
	v_add_co_u32_e32 v40, vcc, v15, v40
	v_add_u32_e32 v36, 0xc00, v10
	v_mov_b32_e32 v37, v13
	v_add_co_u32_e64 v38, s[0:1], v15, v38
	v_addc_co_u32_e32 v41, vcc, v16, v41, vcc
	v_lshlrev_b64 v[44:45], 1, v[12:13]
	v_lshlrev_b64 v[36:37], 1, v[36:37]
	v_addc_co_u32_e64 v39, s[0:1], v16, v39, s[0:1]
	s_waitcnt lgkmcnt(12)
	global_store_short v[48:49], v52, off
	v_add_u32_e32 v12, 0xc00, v8
	s_waitcnt lgkmcnt(11)
	global_store_short v[40:41], v53, off
	s_waitcnt lgkmcnt(10)
	global_store_short v[26:27], v54, off
	;; [unrolled: 2-line block ×4, first 2 shown]
	v_add_co_u32_e32 v2, vcc, v15, v44
	v_add_u32_e32 v34, 0xc00, v11
	v_mov_b32_e32 v35, v13
	v_add_co_u32_e64 v36, s[0:1], v15, v36
	v_addc_co_u32_e32 v3, vcc, v16, v45, vcc
	v_lshlrev_b64 v[26:27], 1, v[12:13]
	v_lshlrev_b64 v[34:35], 1, v[34:35]
	v_addc_co_u32_e64 v37, s[0:1], v16, v37, s[0:1]
	s_waitcnt lgkmcnt(7)
	global_store_short v[2:3], v57, off
	s_waitcnt lgkmcnt(6)
	global_store_short v[32:33], v58, off
	;; [unrolled: 2-line block ×4, first 2 shown]
	v_add_co_u32_e32 v2, vcc, v15, v26
	v_add_u32_e32 v21, 0x2000, v21
	v_add_u32_e32 v9, 0x1000, v9
	v_mov_b32_e32 v22, s14
	v_add_co_u32_e64 v34, s[0:1], v15, v34
	v_add_u32_e32 v10, 0x1000, v10
	v_add_u32_e32 v11, 0x1000, v11
	;; [unrolled: 1-line block ×3, first 2 shown]
	v_addc_co_u32_e32 v3, vcc, v16, v27, vcc
	v_addc_co_u32_e64 v35, s[0:1], v16, v35, s[0:1]
	s_waitcnt lgkmcnt(3)
	global_store_short v[2:3], v61, off
	s_waitcnt lgkmcnt(2)
	global_store_short v[38:39], v62, off
	;; [unrolled: 2-line block ×4, first 2 shown]
	s_andn2_b64 exec, exec, s[12:13]
	s_cbranch_execnz .LBB1077_246
; %bb.247:
	s_or_b64 exec, exec, s[12:13]
.LBB1077_248:
	s_or_b64 exec, exec, s[10:11]
	v_and_b32_e32 v1, 3, v19
	v_cmp_ne_u32_e32 vcc, 0, v1
	s_and_saveexec_b64 s[10:11], vcc
	s_cbranch_execz .LBB1077_251
; %bb.249:
	v_lshl_or_b32 v12, v22, 9, v18
	s_mov_b64 s[12:13], 0
	v_mov_b32_e32 v3, 0
.LBB1077_250:                           ; =>This Inner Loop Header: Depth=1
	v_mov_b32_e32 v2, v8
	v_add_u32_e32 v1, -1, v1
	v_lshlrev_b64 v[18:19], 1, v[2:3]
	v_mov_b32_e32 v2, v9
	v_cmp_eq_u32_e32 vcc, 0, v1
	v_lshlrev_b64 v[20:21], 1, v[2:3]
	ds_read_u16 v13, v12
	ds_read_u16 v28, v12 offset:512
	ds_read_u16 v29, v12 offset:1024
	;; [unrolled: 1-line block ×3, first 2 shown]
	v_mov_b32_e32 v2, v10
	s_or_b64 s[12:13], vcc, s[12:13]
	v_add_co_u32_e32 v20, vcc, v15, v20
	v_addc_co_u32_e32 v21, vcc, v16, v21, vcc
	v_lshlrev_b64 v[22:23], 1, v[2:3]
	v_mov_b32_e32 v2, v11
	v_add_co_u32_e32 v22, vcc, v15, v22
	v_add_co_u32_e64 v18, s[0:1], v15, v18
	v_addc_co_u32_e32 v23, vcc, v16, v23, vcc
	v_lshlrev_b64 v[26:27], 1, v[2:3]
	v_add_u32_e32 v8, 0x400, v8
	v_add_u32_e32 v12, 0x800, v12
	;; [unrolled: 1-line block ×3, first 2 shown]
	v_addc_co_u32_e64 v19, s[0:1], v16, v19, s[0:1]
	v_add_u32_e32 v10, 0x400, v10
	v_add_u32_e32 v11, 0x400, v11
	v_add_co_u32_e32 v26, vcc, v15, v26
	v_addc_co_u32_e32 v27, vcc, v16, v27, vcc
	s_waitcnt lgkmcnt(3)
	global_store_short v[18:19], v13, off
	s_waitcnt lgkmcnt(2)
	global_store_short v[20:21], v28, off
	;; [unrolled: 2-line block ×4, first 2 shown]
	s_andn2_b64 exec, exec, s[12:13]
	s_cbranch_execnz .LBB1077_250
.LBB1077_251:
	s_or_b64 exec, exec, s[10:11]
	v_add_u32_e32 v1, 1, v17
	v_and_b32_e32 v3, 0x1fffffc, v1
	v_cmp_ne_u32_e32 vcc, v1, v3
	v_lshl_or_b32 v2, v3, 8, v0
	s_orn2_b64 s[0:1], vcc, exec
.LBB1077_252:
	s_or_b64 exec, exec, s[8:9]
	s_andn2_b64 s[4:5], s[4:5], exec
	s_and_b64 s[0:1], s[0:1], exec
	s_or_b64 s[4:5], s[4:5], s[0:1]
.LBB1077_253:
	s_or_b64 exec, exec, s[6:7]
	s_and_b64 exec, exec, s[4:5]
	s_cbranch_execz .LBB1077_256
; %bb.254:
	v_lshlrev_b32_e32 v1, 1, v2
	s_mov_b64 s[0:1], 0
	v_mov_b32_e32 v3, 0
.LBB1077_255:                           ; =>This Inner Loop Header: Depth=1
	v_lshlrev_b64 v[8:9], 1, v[2:3]
	ds_read_u16 v10, v1
	v_add_co_u32_e32 v8, vcc, v15, v8
	v_add_u32_e32 v2, 0x100, v2
	v_addc_co_u32_e32 v9, vcc, v16, v9, vcc
	v_cmp_ge_u32_e32 vcc, v2, v5
	v_add_u32_e32 v1, 0x200, v1
	s_or_b64 s[0:1], vcc, s[0:1]
	s_waitcnt lgkmcnt(0)
	global_store_short v[8:9], v10, off
	s_andn2_b64 exec, exec, s[0:1]
	s_cbranch_execnz .LBB1077_255
.LBB1077_256:
	s_or_b64 exec, exec, s[2:3]
.LBB1077_257:
	s_movk_i32 s0, 0xff
	v_cmp_eq_u32_e32 vcc, s0, v0
	s_and_b64 s[0:1], vcc, s[48:49]
	s_and_saveexec_b64 s[2:3], s[0:1]
	s_cbranch_execz .LBB1077_260
; %bb.258:
	v_add_co_u32_e32 v0, vcc, v4, v6
	v_addc_co_u32_e64 v1, s[0:1], 0, 0, vcc
	v_add_co_u32_e32 v0, vcc, v0, v24
	v_mov_b32_e32 v5, 0
	v_addc_co_u32_e32 v1, vcc, v1, v25, vcc
	s_cmpk_lg_i32 s33, 0xf00
	global_store_dwordx2 v5, v[0:1], s[42:43]
	s_cbranch_scc1 .LBB1077_260
; %bb.259:
	v_lshlrev_b64 v[0:1], 1, v[4:5]
	v_add_co_u32_e32 v0, vcc, v7, v0
	v_addc_co_u32_e32 v1, vcc, v14, v1, vcc
	global_store_short v[0:1], v81, off offset:-2
.LBB1077_260:
	s_endpgm
	.section	.rodata,"a",@progbits
	.p2align	6, 0x0
	.amdhsa_kernel _ZN7rocprim17ROCPRIM_400000_NS6detail17trampoline_kernelINS0_14default_configENS1_29reduce_by_key_config_selectorIjsN6thrust23THRUST_200600_302600_NS4plusIsEEEEZZNS1_33reduce_by_key_impl_wrapped_configILNS1_25lookback_scan_determinismE0ES3_S9_NS6_6detail15normal_iteratorINS6_10device_ptrIjEEEENSD_INSE_IsEEEENS6_16discard_iteratorINS6_11use_defaultEEESI_PmS8_NS6_8equal_toIjEEEE10hipError_tPvRmT2_T3_mT4_T5_T6_T7_T8_P12ihipStream_tbENKUlT_T0_E_clISt17integral_constantIbLb1EES15_IbLb0EEEEDaS11_S12_EUlS11_E_NS1_11comp_targetILNS1_3genE4ELNS1_11target_archE910ELNS1_3gpuE8ELNS1_3repE0EEENS1_30default_config_static_selectorELNS0_4arch9wavefront6targetE1EEEvT1_
		.amdhsa_group_segment_fixed_size 15360
		.amdhsa_private_segment_fixed_size 0
		.amdhsa_kernarg_size 128
		.amdhsa_user_sgpr_count 6
		.amdhsa_user_sgpr_private_segment_buffer 1
		.amdhsa_user_sgpr_dispatch_ptr 0
		.amdhsa_user_sgpr_queue_ptr 0
		.amdhsa_user_sgpr_kernarg_segment_ptr 1
		.amdhsa_user_sgpr_dispatch_id 0
		.amdhsa_user_sgpr_flat_scratch_init 0
		.amdhsa_user_sgpr_kernarg_preload_length 0
		.amdhsa_user_sgpr_kernarg_preload_offset 0
		.amdhsa_user_sgpr_private_segment_size 0
		.amdhsa_uses_dynamic_stack 0
		.amdhsa_system_sgpr_private_segment_wavefront_offset 0
		.amdhsa_system_sgpr_workgroup_id_x 1
		.amdhsa_system_sgpr_workgroup_id_y 0
		.amdhsa_system_sgpr_workgroup_id_z 0
		.amdhsa_system_sgpr_workgroup_info 0
		.amdhsa_system_vgpr_workitem_id 0
		.amdhsa_next_free_vgpr 87
		.amdhsa_next_free_sgpr 60
		.amdhsa_accum_offset 88
		.amdhsa_reserve_vcc 1
		.amdhsa_reserve_flat_scratch 0
		.amdhsa_float_round_mode_32 0
		.amdhsa_float_round_mode_16_64 0
		.amdhsa_float_denorm_mode_32 3
		.amdhsa_float_denorm_mode_16_64 3
		.amdhsa_dx10_clamp 1
		.amdhsa_ieee_mode 1
		.amdhsa_fp16_overflow 0
		.amdhsa_tg_split 0
		.amdhsa_exception_fp_ieee_invalid_op 0
		.amdhsa_exception_fp_denorm_src 0
		.amdhsa_exception_fp_ieee_div_zero 0
		.amdhsa_exception_fp_ieee_overflow 0
		.amdhsa_exception_fp_ieee_underflow 0
		.amdhsa_exception_fp_ieee_inexact 0
		.amdhsa_exception_int_div_zero 0
	.end_amdhsa_kernel
	.section	.text._ZN7rocprim17ROCPRIM_400000_NS6detail17trampoline_kernelINS0_14default_configENS1_29reduce_by_key_config_selectorIjsN6thrust23THRUST_200600_302600_NS4plusIsEEEEZZNS1_33reduce_by_key_impl_wrapped_configILNS1_25lookback_scan_determinismE0ES3_S9_NS6_6detail15normal_iteratorINS6_10device_ptrIjEEEENSD_INSE_IsEEEENS6_16discard_iteratorINS6_11use_defaultEEESI_PmS8_NS6_8equal_toIjEEEE10hipError_tPvRmT2_T3_mT4_T5_T6_T7_T8_P12ihipStream_tbENKUlT_T0_E_clISt17integral_constantIbLb1EES15_IbLb0EEEEDaS11_S12_EUlS11_E_NS1_11comp_targetILNS1_3genE4ELNS1_11target_archE910ELNS1_3gpuE8ELNS1_3repE0EEENS1_30default_config_static_selectorELNS0_4arch9wavefront6targetE1EEEvT1_,"axG",@progbits,_ZN7rocprim17ROCPRIM_400000_NS6detail17trampoline_kernelINS0_14default_configENS1_29reduce_by_key_config_selectorIjsN6thrust23THRUST_200600_302600_NS4plusIsEEEEZZNS1_33reduce_by_key_impl_wrapped_configILNS1_25lookback_scan_determinismE0ES3_S9_NS6_6detail15normal_iteratorINS6_10device_ptrIjEEEENSD_INSE_IsEEEENS6_16discard_iteratorINS6_11use_defaultEEESI_PmS8_NS6_8equal_toIjEEEE10hipError_tPvRmT2_T3_mT4_T5_T6_T7_T8_P12ihipStream_tbENKUlT_T0_E_clISt17integral_constantIbLb1EES15_IbLb0EEEEDaS11_S12_EUlS11_E_NS1_11comp_targetILNS1_3genE4ELNS1_11target_archE910ELNS1_3gpuE8ELNS1_3repE0EEENS1_30default_config_static_selectorELNS0_4arch9wavefront6targetE1EEEvT1_,comdat
.Lfunc_end1077:
	.size	_ZN7rocprim17ROCPRIM_400000_NS6detail17trampoline_kernelINS0_14default_configENS1_29reduce_by_key_config_selectorIjsN6thrust23THRUST_200600_302600_NS4plusIsEEEEZZNS1_33reduce_by_key_impl_wrapped_configILNS1_25lookback_scan_determinismE0ES3_S9_NS6_6detail15normal_iteratorINS6_10device_ptrIjEEEENSD_INSE_IsEEEENS6_16discard_iteratorINS6_11use_defaultEEESI_PmS8_NS6_8equal_toIjEEEE10hipError_tPvRmT2_T3_mT4_T5_T6_T7_T8_P12ihipStream_tbENKUlT_T0_E_clISt17integral_constantIbLb1EES15_IbLb0EEEEDaS11_S12_EUlS11_E_NS1_11comp_targetILNS1_3genE4ELNS1_11target_archE910ELNS1_3gpuE8ELNS1_3repE0EEENS1_30default_config_static_selectorELNS0_4arch9wavefront6targetE1EEEvT1_, .Lfunc_end1077-_ZN7rocprim17ROCPRIM_400000_NS6detail17trampoline_kernelINS0_14default_configENS1_29reduce_by_key_config_selectorIjsN6thrust23THRUST_200600_302600_NS4plusIsEEEEZZNS1_33reduce_by_key_impl_wrapped_configILNS1_25lookback_scan_determinismE0ES3_S9_NS6_6detail15normal_iteratorINS6_10device_ptrIjEEEENSD_INSE_IsEEEENS6_16discard_iteratorINS6_11use_defaultEEESI_PmS8_NS6_8equal_toIjEEEE10hipError_tPvRmT2_T3_mT4_T5_T6_T7_T8_P12ihipStream_tbENKUlT_T0_E_clISt17integral_constantIbLb1EES15_IbLb0EEEEDaS11_S12_EUlS11_E_NS1_11comp_targetILNS1_3genE4ELNS1_11target_archE910ELNS1_3gpuE8ELNS1_3repE0EEENS1_30default_config_static_selectorELNS0_4arch9wavefront6targetE1EEEvT1_
                                        ; -- End function
	.section	.AMDGPU.csdata,"",@progbits
; Kernel info:
; codeLenInByte = 15548
; NumSgprs: 64
; NumVgprs: 87
; NumAgprs: 0
; TotalNumVgprs: 87
; ScratchSize: 0
; MemoryBound: 0
; FloatMode: 240
; IeeeMode: 1
; LDSByteSize: 15360 bytes/workgroup (compile time only)
; SGPRBlocks: 7
; VGPRBlocks: 10
; NumSGPRsForWavesPerEU: 64
; NumVGPRsForWavesPerEU: 87
; AccumOffset: 88
; Occupancy: 4
; WaveLimiterHint : 1
; COMPUTE_PGM_RSRC2:SCRATCH_EN: 0
; COMPUTE_PGM_RSRC2:USER_SGPR: 6
; COMPUTE_PGM_RSRC2:TRAP_HANDLER: 0
; COMPUTE_PGM_RSRC2:TGID_X_EN: 1
; COMPUTE_PGM_RSRC2:TGID_Y_EN: 0
; COMPUTE_PGM_RSRC2:TGID_Z_EN: 0
; COMPUTE_PGM_RSRC2:TIDIG_COMP_CNT: 0
; COMPUTE_PGM_RSRC3_GFX90A:ACCUM_OFFSET: 21
; COMPUTE_PGM_RSRC3_GFX90A:TG_SPLIT: 0
	.section	.text._ZN7rocprim17ROCPRIM_400000_NS6detail17trampoline_kernelINS0_14default_configENS1_29reduce_by_key_config_selectorIjsN6thrust23THRUST_200600_302600_NS4plusIsEEEEZZNS1_33reduce_by_key_impl_wrapped_configILNS1_25lookback_scan_determinismE0ES3_S9_NS6_6detail15normal_iteratorINS6_10device_ptrIjEEEENSD_INSE_IsEEEENS6_16discard_iteratorINS6_11use_defaultEEESI_PmS8_NS6_8equal_toIjEEEE10hipError_tPvRmT2_T3_mT4_T5_T6_T7_T8_P12ihipStream_tbENKUlT_T0_E_clISt17integral_constantIbLb1EES15_IbLb0EEEEDaS11_S12_EUlS11_E_NS1_11comp_targetILNS1_3genE3ELNS1_11target_archE908ELNS1_3gpuE7ELNS1_3repE0EEENS1_30default_config_static_selectorELNS0_4arch9wavefront6targetE1EEEvT1_,"axG",@progbits,_ZN7rocprim17ROCPRIM_400000_NS6detail17trampoline_kernelINS0_14default_configENS1_29reduce_by_key_config_selectorIjsN6thrust23THRUST_200600_302600_NS4plusIsEEEEZZNS1_33reduce_by_key_impl_wrapped_configILNS1_25lookback_scan_determinismE0ES3_S9_NS6_6detail15normal_iteratorINS6_10device_ptrIjEEEENSD_INSE_IsEEEENS6_16discard_iteratorINS6_11use_defaultEEESI_PmS8_NS6_8equal_toIjEEEE10hipError_tPvRmT2_T3_mT4_T5_T6_T7_T8_P12ihipStream_tbENKUlT_T0_E_clISt17integral_constantIbLb1EES15_IbLb0EEEEDaS11_S12_EUlS11_E_NS1_11comp_targetILNS1_3genE3ELNS1_11target_archE908ELNS1_3gpuE7ELNS1_3repE0EEENS1_30default_config_static_selectorELNS0_4arch9wavefront6targetE1EEEvT1_,comdat
	.protected	_ZN7rocprim17ROCPRIM_400000_NS6detail17trampoline_kernelINS0_14default_configENS1_29reduce_by_key_config_selectorIjsN6thrust23THRUST_200600_302600_NS4plusIsEEEEZZNS1_33reduce_by_key_impl_wrapped_configILNS1_25lookback_scan_determinismE0ES3_S9_NS6_6detail15normal_iteratorINS6_10device_ptrIjEEEENSD_INSE_IsEEEENS6_16discard_iteratorINS6_11use_defaultEEESI_PmS8_NS6_8equal_toIjEEEE10hipError_tPvRmT2_T3_mT4_T5_T6_T7_T8_P12ihipStream_tbENKUlT_T0_E_clISt17integral_constantIbLb1EES15_IbLb0EEEEDaS11_S12_EUlS11_E_NS1_11comp_targetILNS1_3genE3ELNS1_11target_archE908ELNS1_3gpuE7ELNS1_3repE0EEENS1_30default_config_static_selectorELNS0_4arch9wavefront6targetE1EEEvT1_ ; -- Begin function _ZN7rocprim17ROCPRIM_400000_NS6detail17trampoline_kernelINS0_14default_configENS1_29reduce_by_key_config_selectorIjsN6thrust23THRUST_200600_302600_NS4plusIsEEEEZZNS1_33reduce_by_key_impl_wrapped_configILNS1_25lookback_scan_determinismE0ES3_S9_NS6_6detail15normal_iteratorINS6_10device_ptrIjEEEENSD_INSE_IsEEEENS6_16discard_iteratorINS6_11use_defaultEEESI_PmS8_NS6_8equal_toIjEEEE10hipError_tPvRmT2_T3_mT4_T5_T6_T7_T8_P12ihipStream_tbENKUlT_T0_E_clISt17integral_constantIbLb1EES15_IbLb0EEEEDaS11_S12_EUlS11_E_NS1_11comp_targetILNS1_3genE3ELNS1_11target_archE908ELNS1_3gpuE7ELNS1_3repE0EEENS1_30default_config_static_selectorELNS0_4arch9wavefront6targetE1EEEvT1_
	.globl	_ZN7rocprim17ROCPRIM_400000_NS6detail17trampoline_kernelINS0_14default_configENS1_29reduce_by_key_config_selectorIjsN6thrust23THRUST_200600_302600_NS4plusIsEEEEZZNS1_33reduce_by_key_impl_wrapped_configILNS1_25lookback_scan_determinismE0ES3_S9_NS6_6detail15normal_iteratorINS6_10device_ptrIjEEEENSD_INSE_IsEEEENS6_16discard_iteratorINS6_11use_defaultEEESI_PmS8_NS6_8equal_toIjEEEE10hipError_tPvRmT2_T3_mT4_T5_T6_T7_T8_P12ihipStream_tbENKUlT_T0_E_clISt17integral_constantIbLb1EES15_IbLb0EEEEDaS11_S12_EUlS11_E_NS1_11comp_targetILNS1_3genE3ELNS1_11target_archE908ELNS1_3gpuE7ELNS1_3repE0EEENS1_30default_config_static_selectorELNS0_4arch9wavefront6targetE1EEEvT1_
	.p2align	8
	.type	_ZN7rocprim17ROCPRIM_400000_NS6detail17trampoline_kernelINS0_14default_configENS1_29reduce_by_key_config_selectorIjsN6thrust23THRUST_200600_302600_NS4plusIsEEEEZZNS1_33reduce_by_key_impl_wrapped_configILNS1_25lookback_scan_determinismE0ES3_S9_NS6_6detail15normal_iteratorINS6_10device_ptrIjEEEENSD_INSE_IsEEEENS6_16discard_iteratorINS6_11use_defaultEEESI_PmS8_NS6_8equal_toIjEEEE10hipError_tPvRmT2_T3_mT4_T5_T6_T7_T8_P12ihipStream_tbENKUlT_T0_E_clISt17integral_constantIbLb1EES15_IbLb0EEEEDaS11_S12_EUlS11_E_NS1_11comp_targetILNS1_3genE3ELNS1_11target_archE908ELNS1_3gpuE7ELNS1_3repE0EEENS1_30default_config_static_selectorELNS0_4arch9wavefront6targetE1EEEvT1_,@function
_ZN7rocprim17ROCPRIM_400000_NS6detail17trampoline_kernelINS0_14default_configENS1_29reduce_by_key_config_selectorIjsN6thrust23THRUST_200600_302600_NS4plusIsEEEEZZNS1_33reduce_by_key_impl_wrapped_configILNS1_25lookback_scan_determinismE0ES3_S9_NS6_6detail15normal_iteratorINS6_10device_ptrIjEEEENSD_INSE_IsEEEENS6_16discard_iteratorINS6_11use_defaultEEESI_PmS8_NS6_8equal_toIjEEEE10hipError_tPvRmT2_T3_mT4_T5_T6_T7_T8_P12ihipStream_tbENKUlT_T0_E_clISt17integral_constantIbLb1EES15_IbLb0EEEEDaS11_S12_EUlS11_E_NS1_11comp_targetILNS1_3genE3ELNS1_11target_archE908ELNS1_3gpuE7ELNS1_3repE0EEENS1_30default_config_static_selectorELNS0_4arch9wavefront6targetE1EEEvT1_: ; @_ZN7rocprim17ROCPRIM_400000_NS6detail17trampoline_kernelINS0_14default_configENS1_29reduce_by_key_config_selectorIjsN6thrust23THRUST_200600_302600_NS4plusIsEEEEZZNS1_33reduce_by_key_impl_wrapped_configILNS1_25lookback_scan_determinismE0ES3_S9_NS6_6detail15normal_iteratorINS6_10device_ptrIjEEEENSD_INSE_IsEEEENS6_16discard_iteratorINS6_11use_defaultEEESI_PmS8_NS6_8equal_toIjEEEE10hipError_tPvRmT2_T3_mT4_T5_T6_T7_T8_P12ihipStream_tbENKUlT_T0_E_clISt17integral_constantIbLb1EES15_IbLb0EEEEDaS11_S12_EUlS11_E_NS1_11comp_targetILNS1_3genE3ELNS1_11target_archE908ELNS1_3gpuE7ELNS1_3repE0EEENS1_30default_config_static_selectorELNS0_4arch9wavefront6targetE1EEEvT1_
; %bb.0:
	.section	.rodata,"a",@progbits
	.p2align	6, 0x0
	.amdhsa_kernel _ZN7rocprim17ROCPRIM_400000_NS6detail17trampoline_kernelINS0_14default_configENS1_29reduce_by_key_config_selectorIjsN6thrust23THRUST_200600_302600_NS4plusIsEEEEZZNS1_33reduce_by_key_impl_wrapped_configILNS1_25lookback_scan_determinismE0ES3_S9_NS6_6detail15normal_iteratorINS6_10device_ptrIjEEEENSD_INSE_IsEEEENS6_16discard_iteratorINS6_11use_defaultEEESI_PmS8_NS6_8equal_toIjEEEE10hipError_tPvRmT2_T3_mT4_T5_T6_T7_T8_P12ihipStream_tbENKUlT_T0_E_clISt17integral_constantIbLb1EES15_IbLb0EEEEDaS11_S12_EUlS11_E_NS1_11comp_targetILNS1_3genE3ELNS1_11target_archE908ELNS1_3gpuE7ELNS1_3repE0EEENS1_30default_config_static_selectorELNS0_4arch9wavefront6targetE1EEEvT1_
		.amdhsa_group_segment_fixed_size 0
		.amdhsa_private_segment_fixed_size 0
		.amdhsa_kernarg_size 128
		.amdhsa_user_sgpr_count 6
		.amdhsa_user_sgpr_private_segment_buffer 1
		.amdhsa_user_sgpr_dispatch_ptr 0
		.amdhsa_user_sgpr_queue_ptr 0
		.amdhsa_user_sgpr_kernarg_segment_ptr 1
		.amdhsa_user_sgpr_dispatch_id 0
		.amdhsa_user_sgpr_flat_scratch_init 0
		.amdhsa_user_sgpr_kernarg_preload_length 0
		.amdhsa_user_sgpr_kernarg_preload_offset 0
		.amdhsa_user_sgpr_private_segment_size 0
		.amdhsa_uses_dynamic_stack 0
		.amdhsa_system_sgpr_private_segment_wavefront_offset 0
		.amdhsa_system_sgpr_workgroup_id_x 1
		.amdhsa_system_sgpr_workgroup_id_y 0
		.amdhsa_system_sgpr_workgroup_id_z 0
		.amdhsa_system_sgpr_workgroup_info 0
		.amdhsa_system_vgpr_workitem_id 0
		.amdhsa_next_free_vgpr 1
		.amdhsa_next_free_sgpr 0
		.amdhsa_accum_offset 4
		.amdhsa_reserve_vcc 0
		.amdhsa_reserve_flat_scratch 0
		.amdhsa_float_round_mode_32 0
		.amdhsa_float_round_mode_16_64 0
		.amdhsa_float_denorm_mode_32 3
		.amdhsa_float_denorm_mode_16_64 3
		.amdhsa_dx10_clamp 1
		.amdhsa_ieee_mode 1
		.amdhsa_fp16_overflow 0
		.amdhsa_tg_split 0
		.amdhsa_exception_fp_ieee_invalid_op 0
		.amdhsa_exception_fp_denorm_src 0
		.amdhsa_exception_fp_ieee_div_zero 0
		.amdhsa_exception_fp_ieee_overflow 0
		.amdhsa_exception_fp_ieee_underflow 0
		.amdhsa_exception_fp_ieee_inexact 0
		.amdhsa_exception_int_div_zero 0
	.end_amdhsa_kernel
	.section	.text._ZN7rocprim17ROCPRIM_400000_NS6detail17trampoline_kernelINS0_14default_configENS1_29reduce_by_key_config_selectorIjsN6thrust23THRUST_200600_302600_NS4plusIsEEEEZZNS1_33reduce_by_key_impl_wrapped_configILNS1_25lookback_scan_determinismE0ES3_S9_NS6_6detail15normal_iteratorINS6_10device_ptrIjEEEENSD_INSE_IsEEEENS6_16discard_iteratorINS6_11use_defaultEEESI_PmS8_NS6_8equal_toIjEEEE10hipError_tPvRmT2_T3_mT4_T5_T6_T7_T8_P12ihipStream_tbENKUlT_T0_E_clISt17integral_constantIbLb1EES15_IbLb0EEEEDaS11_S12_EUlS11_E_NS1_11comp_targetILNS1_3genE3ELNS1_11target_archE908ELNS1_3gpuE7ELNS1_3repE0EEENS1_30default_config_static_selectorELNS0_4arch9wavefront6targetE1EEEvT1_,"axG",@progbits,_ZN7rocprim17ROCPRIM_400000_NS6detail17trampoline_kernelINS0_14default_configENS1_29reduce_by_key_config_selectorIjsN6thrust23THRUST_200600_302600_NS4plusIsEEEEZZNS1_33reduce_by_key_impl_wrapped_configILNS1_25lookback_scan_determinismE0ES3_S9_NS6_6detail15normal_iteratorINS6_10device_ptrIjEEEENSD_INSE_IsEEEENS6_16discard_iteratorINS6_11use_defaultEEESI_PmS8_NS6_8equal_toIjEEEE10hipError_tPvRmT2_T3_mT4_T5_T6_T7_T8_P12ihipStream_tbENKUlT_T0_E_clISt17integral_constantIbLb1EES15_IbLb0EEEEDaS11_S12_EUlS11_E_NS1_11comp_targetILNS1_3genE3ELNS1_11target_archE908ELNS1_3gpuE7ELNS1_3repE0EEENS1_30default_config_static_selectorELNS0_4arch9wavefront6targetE1EEEvT1_,comdat
.Lfunc_end1078:
	.size	_ZN7rocprim17ROCPRIM_400000_NS6detail17trampoline_kernelINS0_14default_configENS1_29reduce_by_key_config_selectorIjsN6thrust23THRUST_200600_302600_NS4plusIsEEEEZZNS1_33reduce_by_key_impl_wrapped_configILNS1_25lookback_scan_determinismE0ES3_S9_NS6_6detail15normal_iteratorINS6_10device_ptrIjEEEENSD_INSE_IsEEEENS6_16discard_iteratorINS6_11use_defaultEEESI_PmS8_NS6_8equal_toIjEEEE10hipError_tPvRmT2_T3_mT4_T5_T6_T7_T8_P12ihipStream_tbENKUlT_T0_E_clISt17integral_constantIbLb1EES15_IbLb0EEEEDaS11_S12_EUlS11_E_NS1_11comp_targetILNS1_3genE3ELNS1_11target_archE908ELNS1_3gpuE7ELNS1_3repE0EEENS1_30default_config_static_selectorELNS0_4arch9wavefront6targetE1EEEvT1_, .Lfunc_end1078-_ZN7rocprim17ROCPRIM_400000_NS6detail17trampoline_kernelINS0_14default_configENS1_29reduce_by_key_config_selectorIjsN6thrust23THRUST_200600_302600_NS4plusIsEEEEZZNS1_33reduce_by_key_impl_wrapped_configILNS1_25lookback_scan_determinismE0ES3_S9_NS6_6detail15normal_iteratorINS6_10device_ptrIjEEEENSD_INSE_IsEEEENS6_16discard_iteratorINS6_11use_defaultEEESI_PmS8_NS6_8equal_toIjEEEE10hipError_tPvRmT2_T3_mT4_T5_T6_T7_T8_P12ihipStream_tbENKUlT_T0_E_clISt17integral_constantIbLb1EES15_IbLb0EEEEDaS11_S12_EUlS11_E_NS1_11comp_targetILNS1_3genE3ELNS1_11target_archE908ELNS1_3gpuE7ELNS1_3repE0EEENS1_30default_config_static_selectorELNS0_4arch9wavefront6targetE1EEEvT1_
                                        ; -- End function
	.section	.AMDGPU.csdata,"",@progbits
; Kernel info:
; codeLenInByte = 0
; NumSgprs: 4
; NumVgprs: 0
; NumAgprs: 0
; TotalNumVgprs: 0
; ScratchSize: 0
; MemoryBound: 0
; FloatMode: 240
; IeeeMode: 1
; LDSByteSize: 0 bytes/workgroup (compile time only)
; SGPRBlocks: 0
; VGPRBlocks: 0
; NumSGPRsForWavesPerEU: 4
; NumVGPRsForWavesPerEU: 1
; AccumOffset: 4
; Occupancy: 8
; WaveLimiterHint : 0
; COMPUTE_PGM_RSRC2:SCRATCH_EN: 0
; COMPUTE_PGM_RSRC2:USER_SGPR: 6
; COMPUTE_PGM_RSRC2:TRAP_HANDLER: 0
; COMPUTE_PGM_RSRC2:TGID_X_EN: 1
; COMPUTE_PGM_RSRC2:TGID_Y_EN: 0
; COMPUTE_PGM_RSRC2:TGID_Z_EN: 0
; COMPUTE_PGM_RSRC2:TIDIG_COMP_CNT: 0
; COMPUTE_PGM_RSRC3_GFX90A:ACCUM_OFFSET: 0
; COMPUTE_PGM_RSRC3_GFX90A:TG_SPLIT: 0
	.section	.text._ZN7rocprim17ROCPRIM_400000_NS6detail17trampoline_kernelINS0_14default_configENS1_29reduce_by_key_config_selectorIjsN6thrust23THRUST_200600_302600_NS4plusIsEEEEZZNS1_33reduce_by_key_impl_wrapped_configILNS1_25lookback_scan_determinismE0ES3_S9_NS6_6detail15normal_iteratorINS6_10device_ptrIjEEEENSD_INSE_IsEEEENS6_16discard_iteratorINS6_11use_defaultEEESI_PmS8_NS6_8equal_toIjEEEE10hipError_tPvRmT2_T3_mT4_T5_T6_T7_T8_P12ihipStream_tbENKUlT_T0_E_clISt17integral_constantIbLb1EES15_IbLb0EEEEDaS11_S12_EUlS11_E_NS1_11comp_targetILNS1_3genE2ELNS1_11target_archE906ELNS1_3gpuE6ELNS1_3repE0EEENS1_30default_config_static_selectorELNS0_4arch9wavefront6targetE1EEEvT1_,"axG",@progbits,_ZN7rocprim17ROCPRIM_400000_NS6detail17trampoline_kernelINS0_14default_configENS1_29reduce_by_key_config_selectorIjsN6thrust23THRUST_200600_302600_NS4plusIsEEEEZZNS1_33reduce_by_key_impl_wrapped_configILNS1_25lookback_scan_determinismE0ES3_S9_NS6_6detail15normal_iteratorINS6_10device_ptrIjEEEENSD_INSE_IsEEEENS6_16discard_iteratorINS6_11use_defaultEEESI_PmS8_NS6_8equal_toIjEEEE10hipError_tPvRmT2_T3_mT4_T5_T6_T7_T8_P12ihipStream_tbENKUlT_T0_E_clISt17integral_constantIbLb1EES15_IbLb0EEEEDaS11_S12_EUlS11_E_NS1_11comp_targetILNS1_3genE2ELNS1_11target_archE906ELNS1_3gpuE6ELNS1_3repE0EEENS1_30default_config_static_selectorELNS0_4arch9wavefront6targetE1EEEvT1_,comdat
	.protected	_ZN7rocprim17ROCPRIM_400000_NS6detail17trampoline_kernelINS0_14default_configENS1_29reduce_by_key_config_selectorIjsN6thrust23THRUST_200600_302600_NS4plusIsEEEEZZNS1_33reduce_by_key_impl_wrapped_configILNS1_25lookback_scan_determinismE0ES3_S9_NS6_6detail15normal_iteratorINS6_10device_ptrIjEEEENSD_INSE_IsEEEENS6_16discard_iteratorINS6_11use_defaultEEESI_PmS8_NS6_8equal_toIjEEEE10hipError_tPvRmT2_T3_mT4_T5_T6_T7_T8_P12ihipStream_tbENKUlT_T0_E_clISt17integral_constantIbLb1EES15_IbLb0EEEEDaS11_S12_EUlS11_E_NS1_11comp_targetILNS1_3genE2ELNS1_11target_archE906ELNS1_3gpuE6ELNS1_3repE0EEENS1_30default_config_static_selectorELNS0_4arch9wavefront6targetE1EEEvT1_ ; -- Begin function _ZN7rocprim17ROCPRIM_400000_NS6detail17trampoline_kernelINS0_14default_configENS1_29reduce_by_key_config_selectorIjsN6thrust23THRUST_200600_302600_NS4plusIsEEEEZZNS1_33reduce_by_key_impl_wrapped_configILNS1_25lookback_scan_determinismE0ES3_S9_NS6_6detail15normal_iteratorINS6_10device_ptrIjEEEENSD_INSE_IsEEEENS6_16discard_iteratorINS6_11use_defaultEEESI_PmS8_NS6_8equal_toIjEEEE10hipError_tPvRmT2_T3_mT4_T5_T6_T7_T8_P12ihipStream_tbENKUlT_T0_E_clISt17integral_constantIbLb1EES15_IbLb0EEEEDaS11_S12_EUlS11_E_NS1_11comp_targetILNS1_3genE2ELNS1_11target_archE906ELNS1_3gpuE6ELNS1_3repE0EEENS1_30default_config_static_selectorELNS0_4arch9wavefront6targetE1EEEvT1_
	.globl	_ZN7rocprim17ROCPRIM_400000_NS6detail17trampoline_kernelINS0_14default_configENS1_29reduce_by_key_config_selectorIjsN6thrust23THRUST_200600_302600_NS4plusIsEEEEZZNS1_33reduce_by_key_impl_wrapped_configILNS1_25lookback_scan_determinismE0ES3_S9_NS6_6detail15normal_iteratorINS6_10device_ptrIjEEEENSD_INSE_IsEEEENS6_16discard_iteratorINS6_11use_defaultEEESI_PmS8_NS6_8equal_toIjEEEE10hipError_tPvRmT2_T3_mT4_T5_T6_T7_T8_P12ihipStream_tbENKUlT_T0_E_clISt17integral_constantIbLb1EES15_IbLb0EEEEDaS11_S12_EUlS11_E_NS1_11comp_targetILNS1_3genE2ELNS1_11target_archE906ELNS1_3gpuE6ELNS1_3repE0EEENS1_30default_config_static_selectorELNS0_4arch9wavefront6targetE1EEEvT1_
	.p2align	8
	.type	_ZN7rocprim17ROCPRIM_400000_NS6detail17trampoline_kernelINS0_14default_configENS1_29reduce_by_key_config_selectorIjsN6thrust23THRUST_200600_302600_NS4plusIsEEEEZZNS1_33reduce_by_key_impl_wrapped_configILNS1_25lookback_scan_determinismE0ES3_S9_NS6_6detail15normal_iteratorINS6_10device_ptrIjEEEENSD_INSE_IsEEEENS6_16discard_iteratorINS6_11use_defaultEEESI_PmS8_NS6_8equal_toIjEEEE10hipError_tPvRmT2_T3_mT4_T5_T6_T7_T8_P12ihipStream_tbENKUlT_T0_E_clISt17integral_constantIbLb1EES15_IbLb0EEEEDaS11_S12_EUlS11_E_NS1_11comp_targetILNS1_3genE2ELNS1_11target_archE906ELNS1_3gpuE6ELNS1_3repE0EEENS1_30default_config_static_selectorELNS0_4arch9wavefront6targetE1EEEvT1_,@function
_ZN7rocprim17ROCPRIM_400000_NS6detail17trampoline_kernelINS0_14default_configENS1_29reduce_by_key_config_selectorIjsN6thrust23THRUST_200600_302600_NS4plusIsEEEEZZNS1_33reduce_by_key_impl_wrapped_configILNS1_25lookback_scan_determinismE0ES3_S9_NS6_6detail15normal_iteratorINS6_10device_ptrIjEEEENSD_INSE_IsEEEENS6_16discard_iteratorINS6_11use_defaultEEESI_PmS8_NS6_8equal_toIjEEEE10hipError_tPvRmT2_T3_mT4_T5_T6_T7_T8_P12ihipStream_tbENKUlT_T0_E_clISt17integral_constantIbLb1EES15_IbLb0EEEEDaS11_S12_EUlS11_E_NS1_11comp_targetILNS1_3genE2ELNS1_11target_archE906ELNS1_3gpuE6ELNS1_3repE0EEENS1_30default_config_static_selectorELNS0_4arch9wavefront6targetE1EEEvT1_: ; @_ZN7rocprim17ROCPRIM_400000_NS6detail17trampoline_kernelINS0_14default_configENS1_29reduce_by_key_config_selectorIjsN6thrust23THRUST_200600_302600_NS4plusIsEEEEZZNS1_33reduce_by_key_impl_wrapped_configILNS1_25lookback_scan_determinismE0ES3_S9_NS6_6detail15normal_iteratorINS6_10device_ptrIjEEEENSD_INSE_IsEEEENS6_16discard_iteratorINS6_11use_defaultEEESI_PmS8_NS6_8equal_toIjEEEE10hipError_tPvRmT2_T3_mT4_T5_T6_T7_T8_P12ihipStream_tbENKUlT_T0_E_clISt17integral_constantIbLb1EES15_IbLb0EEEEDaS11_S12_EUlS11_E_NS1_11comp_targetILNS1_3genE2ELNS1_11target_archE906ELNS1_3gpuE6ELNS1_3repE0EEENS1_30default_config_static_selectorELNS0_4arch9wavefront6targetE1EEEvT1_
; %bb.0:
	.section	.rodata,"a",@progbits
	.p2align	6, 0x0
	.amdhsa_kernel _ZN7rocprim17ROCPRIM_400000_NS6detail17trampoline_kernelINS0_14default_configENS1_29reduce_by_key_config_selectorIjsN6thrust23THRUST_200600_302600_NS4plusIsEEEEZZNS1_33reduce_by_key_impl_wrapped_configILNS1_25lookback_scan_determinismE0ES3_S9_NS6_6detail15normal_iteratorINS6_10device_ptrIjEEEENSD_INSE_IsEEEENS6_16discard_iteratorINS6_11use_defaultEEESI_PmS8_NS6_8equal_toIjEEEE10hipError_tPvRmT2_T3_mT4_T5_T6_T7_T8_P12ihipStream_tbENKUlT_T0_E_clISt17integral_constantIbLb1EES15_IbLb0EEEEDaS11_S12_EUlS11_E_NS1_11comp_targetILNS1_3genE2ELNS1_11target_archE906ELNS1_3gpuE6ELNS1_3repE0EEENS1_30default_config_static_selectorELNS0_4arch9wavefront6targetE1EEEvT1_
		.amdhsa_group_segment_fixed_size 0
		.amdhsa_private_segment_fixed_size 0
		.amdhsa_kernarg_size 128
		.amdhsa_user_sgpr_count 6
		.amdhsa_user_sgpr_private_segment_buffer 1
		.amdhsa_user_sgpr_dispatch_ptr 0
		.amdhsa_user_sgpr_queue_ptr 0
		.amdhsa_user_sgpr_kernarg_segment_ptr 1
		.amdhsa_user_sgpr_dispatch_id 0
		.amdhsa_user_sgpr_flat_scratch_init 0
		.amdhsa_user_sgpr_kernarg_preload_length 0
		.amdhsa_user_sgpr_kernarg_preload_offset 0
		.amdhsa_user_sgpr_private_segment_size 0
		.amdhsa_uses_dynamic_stack 0
		.amdhsa_system_sgpr_private_segment_wavefront_offset 0
		.amdhsa_system_sgpr_workgroup_id_x 1
		.amdhsa_system_sgpr_workgroup_id_y 0
		.amdhsa_system_sgpr_workgroup_id_z 0
		.amdhsa_system_sgpr_workgroup_info 0
		.amdhsa_system_vgpr_workitem_id 0
		.amdhsa_next_free_vgpr 1
		.amdhsa_next_free_sgpr 0
		.amdhsa_accum_offset 4
		.amdhsa_reserve_vcc 0
		.amdhsa_reserve_flat_scratch 0
		.amdhsa_float_round_mode_32 0
		.amdhsa_float_round_mode_16_64 0
		.amdhsa_float_denorm_mode_32 3
		.amdhsa_float_denorm_mode_16_64 3
		.amdhsa_dx10_clamp 1
		.amdhsa_ieee_mode 1
		.amdhsa_fp16_overflow 0
		.amdhsa_tg_split 0
		.amdhsa_exception_fp_ieee_invalid_op 0
		.amdhsa_exception_fp_denorm_src 0
		.amdhsa_exception_fp_ieee_div_zero 0
		.amdhsa_exception_fp_ieee_overflow 0
		.amdhsa_exception_fp_ieee_underflow 0
		.amdhsa_exception_fp_ieee_inexact 0
		.amdhsa_exception_int_div_zero 0
	.end_amdhsa_kernel
	.section	.text._ZN7rocprim17ROCPRIM_400000_NS6detail17trampoline_kernelINS0_14default_configENS1_29reduce_by_key_config_selectorIjsN6thrust23THRUST_200600_302600_NS4plusIsEEEEZZNS1_33reduce_by_key_impl_wrapped_configILNS1_25lookback_scan_determinismE0ES3_S9_NS6_6detail15normal_iteratorINS6_10device_ptrIjEEEENSD_INSE_IsEEEENS6_16discard_iteratorINS6_11use_defaultEEESI_PmS8_NS6_8equal_toIjEEEE10hipError_tPvRmT2_T3_mT4_T5_T6_T7_T8_P12ihipStream_tbENKUlT_T0_E_clISt17integral_constantIbLb1EES15_IbLb0EEEEDaS11_S12_EUlS11_E_NS1_11comp_targetILNS1_3genE2ELNS1_11target_archE906ELNS1_3gpuE6ELNS1_3repE0EEENS1_30default_config_static_selectorELNS0_4arch9wavefront6targetE1EEEvT1_,"axG",@progbits,_ZN7rocprim17ROCPRIM_400000_NS6detail17trampoline_kernelINS0_14default_configENS1_29reduce_by_key_config_selectorIjsN6thrust23THRUST_200600_302600_NS4plusIsEEEEZZNS1_33reduce_by_key_impl_wrapped_configILNS1_25lookback_scan_determinismE0ES3_S9_NS6_6detail15normal_iteratorINS6_10device_ptrIjEEEENSD_INSE_IsEEEENS6_16discard_iteratorINS6_11use_defaultEEESI_PmS8_NS6_8equal_toIjEEEE10hipError_tPvRmT2_T3_mT4_T5_T6_T7_T8_P12ihipStream_tbENKUlT_T0_E_clISt17integral_constantIbLb1EES15_IbLb0EEEEDaS11_S12_EUlS11_E_NS1_11comp_targetILNS1_3genE2ELNS1_11target_archE906ELNS1_3gpuE6ELNS1_3repE0EEENS1_30default_config_static_selectorELNS0_4arch9wavefront6targetE1EEEvT1_,comdat
.Lfunc_end1079:
	.size	_ZN7rocprim17ROCPRIM_400000_NS6detail17trampoline_kernelINS0_14default_configENS1_29reduce_by_key_config_selectorIjsN6thrust23THRUST_200600_302600_NS4plusIsEEEEZZNS1_33reduce_by_key_impl_wrapped_configILNS1_25lookback_scan_determinismE0ES3_S9_NS6_6detail15normal_iteratorINS6_10device_ptrIjEEEENSD_INSE_IsEEEENS6_16discard_iteratorINS6_11use_defaultEEESI_PmS8_NS6_8equal_toIjEEEE10hipError_tPvRmT2_T3_mT4_T5_T6_T7_T8_P12ihipStream_tbENKUlT_T0_E_clISt17integral_constantIbLb1EES15_IbLb0EEEEDaS11_S12_EUlS11_E_NS1_11comp_targetILNS1_3genE2ELNS1_11target_archE906ELNS1_3gpuE6ELNS1_3repE0EEENS1_30default_config_static_selectorELNS0_4arch9wavefront6targetE1EEEvT1_, .Lfunc_end1079-_ZN7rocprim17ROCPRIM_400000_NS6detail17trampoline_kernelINS0_14default_configENS1_29reduce_by_key_config_selectorIjsN6thrust23THRUST_200600_302600_NS4plusIsEEEEZZNS1_33reduce_by_key_impl_wrapped_configILNS1_25lookback_scan_determinismE0ES3_S9_NS6_6detail15normal_iteratorINS6_10device_ptrIjEEEENSD_INSE_IsEEEENS6_16discard_iteratorINS6_11use_defaultEEESI_PmS8_NS6_8equal_toIjEEEE10hipError_tPvRmT2_T3_mT4_T5_T6_T7_T8_P12ihipStream_tbENKUlT_T0_E_clISt17integral_constantIbLb1EES15_IbLb0EEEEDaS11_S12_EUlS11_E_NS1_11comp_targetILNS1_3genE2ELNS1_11target_archE906ELNS1_3gpuE6ELNS1_3repE0EEENS1_30default_config_static_selectorELNS0_4arch9wavefront6targetE1EEEvT1_
                                        ; -- End function
	.section	.AMDGPU.csdata,"",@progbits
; Kernel info:
; codeLenInByte = 0
; NumSgprs: 4
; NumVgprs: 0
; NumAgprs: 0
; TotalNumVgprs: 0
; ScratchSize: 0
; MemoryBound: 0
; FloatMode: 240
; IeeeMode: 1
; LDSByteSize: 0 bytes/workgroup (compile time only)
; SGPRBlocks: 0
; VGPRBlocks: 0
; NumSGPRsForWavesPerEU: 4
; NumVGPRsForWavesPerEU: 1
; AccumOffset: 4
; Occupancy: 8
; WaveLimiterHint : 0
; COMPUTE_PGM_RSRC2:SCRATCH_EN: 0
; COMPUTE_PGM_RSRC2:USER_SGPR: 6
; COMPUTE_PGM_RSRC2:TRAP_HANDLER: 0
; COMPUTE_PGM_RSRC2:TGID_X_EN: 1
; COMPUTE_PGM_RSRC2:TGID_Y_EN: 0
; COMPUTE_PGM_RSRC2:TGID_Z_EN: 0
; COMPUTE_PGM_RSRC2:TIDIG_COMP_CNT: 0
; COMPUTE_PGM_RSRC3_GFX90A:ACCUM_OFFSET: 0
; COMPUTE_PGM_RSRC3_GFX90A:TG_SPLIT: 0
	.section	.text._ZN7rocprim17ROCPRIM_400000_NS6detail17trampoline_kernelINS0_14default_configENS1_29reduce_by_key_config_selectorIjsN6thrust23THRUST_200600_302600_NS4plusIsEEEEZZNS1_33reduce_by_key_impl_wrapped_configILNS1_25lookback_scan_determinismE0ES3_S9_NS6_6detail15normal_iteratorINS6_10device_ptrIjEEEENSD_INSE_IsEEEENS6_16discard_iteratorINS6_11use_defaultEEESI_PmS8_NS6_8equal_toIjEEEE10hipError_tPvRmT2_T3_mT4_T5_T6_T7_T8_P12ihipStream_tbENKUlT_T0_E_clISt17integral_constantIbLb1EES15_IbLb0EEEEDaS11_S12_EUlS11_E_NS1_11comp_targetILNS1_3genE10ELNS1_11target_archE1201ELNS1_3gpuE5ELNS1_3repE0EEENS1_30default_config_static_selectorELNS0_4arch9wavefront6targetE1EEEvT1_,"axG",@progbits,_ZN7rocprim17ROCPRIM_400000_NS6detail17trampoline_kernelINS0_14default_configENS1_29reduce_by_key_config_selectorIjsN6thrust23THRUST_200600_302600_NS4plusIsEEEEZZNS1_33reduce_by_key_impl_wrapped_configILNS1_25lookback_scan_determinismE0ES3_S9_NS6_6detail15normal_iteratorINS6_10device_ptrIjEEEENSD_INSE_IsEEEENS6_16discard_iteratorINS6_11use_defaultEEESI_PmS8_NS6_8equal_toIjEEEE10hipError_tPvRmT2_T3_mT4_T5_T6_T7_T8_P12ihipStream_tbENKUlT_T0_E_clISt17integral_constantIbLb1EES15_IbLb0EEEEDaS11_S12_EUlS11_E_NS1_11comp_targetILNS1_3genE10ELNS1_11target_archE1201ELNS1_3gpuE5ELNS1_3repE0EEENS1_30default_config_static_selectorELNS0_4arch9wavefront6targetE1EEEvT1_,comdat
	.protected	_ZN7rocprim17ROCPRIM_400000_NS6detail17trampoline_kernelINS0_14default_configENS1_29reduce_by_key_config_selectorIjsN6thrust23THRUST_200600_302600_NS4plusIsEEEEZZNS1_33reduce_by_key_impl_wrapped_configILNS1_25lookback_scan_determinismE0ES3_S9_NS6_6detail15normal_iteratorINS6_10device_ptrIjEEEENSD_INSE_IsEEEENS6_16discard_iteratorINS6_11use_defaultEEESI_PmS8_NS6_8equal_toIjEEEE10hipError_tPvRmT2_T3_mT4_T5_T6_T7_T8_P12ihipStream_tbENKUlT_T0_E_clISt17integral_constantIbLb1EES15_IbLb0EEEEDaS11_S12_EUlS11_E_NS1_11comp_targetILNS1_3genE10ELNS1_11target_archE1201ELNS1_3gpuE5ELNS1_3repE0EEENS1_30default_config_static_selectorELNS0_4arch9wavefront6targetE1EEEvT1_ ; -- Begin function _ZN7rocprim17ROCPRIM_400000_NS6detail17trampoline_kernelINS0_14default_configENS1_29reduce_by_key_config_selectorIjsN6thrust23THRUST_200600_302600_NS4plusIsEEEEZZNS1_33reduce_by_key_impl_wrapped_configILNS1_25lookback_scan_determinismE0ES3_S9_NS6_6detail15normal_iteratorINS6_10device_ptrIjEEEENSD_INSE_IsEEEENS6_16discard_iteratorINS6_11use_defaultEEESI_PmS8_NS6_8equal_toIjEEEE10hipError_tPvRmT2_T3_mT4_T5_T6_T7_T8_P12ihipStream_tbENKUlT_T0_E_clISt17integral_constantIbLb1EES15_IbLb0EEEEDaS11_S12_EUlS11_E_NS1_11comp_targetILNS1_3genE10ELNS1_11target_archE1201ELNS1_3gpuE5ELNS1_3repE0EEENS1_30default_config_static_selectorELNS0_4arch9wavefront6targetE1EEEvT1_
	.globl	_ZN7rocprim17ROCPRIM_400000_NS6detail17trampoline_kernelINS0_14default_configENS1_29reduce_by_key_config_selectorIjsN6thrust23THRUST_200600_302600_NS4plusIsEEEEZZNS1_33reduce_by_key_impl_wrapped_configILNS1_25lookback_scan_determinismE0ES3_S9_NS6_6detail15normal_iteratorINS6_10device_ptrIjEEEENSD_INSE_IsEEEENS6_16discard_iteratorINS6_11use_defaultEEESI_PmS8_NS6_8equal_toIjEEEE10hipError_tPvRmT2_T3_mT4_T5_T6_T7_T8_P12ihipStream_tbENKUlT_T0_E_clISt17integral_constantIbLb1EES15_IbLb0EEEEDaS11_S12_EUlS11_E_NS1_11comp_targetILNS1_3genE10ELNS1_11target_archE1201ELNS1_3gpuE5ELNS1_3repE0EEENS1_30default_config_static_selectorELNS0_4arch9wavefront6targetE1EEEvT1_
	.p2align	8
	.type	_ZN7rocprim17ROCPRIM_400000_NS6detail17trampoline_kernelINS0_14default_configENS1_29reduce_by_key_config_selectorIjsN6thrust23THRUST_200600_302600_NS4plusIsEEEEZZNS1_33reduce_by_key_impl_wrapped_configILNS1_25lookback_scan_determinismE0ES3_S9_NS6_6detail15normal_iteratorINS6_10device_ptrIjEEEENSD_INSE_IsEEEENS6_16discard_iteratorINS6_11use_defaultEEESI_PmS8_NS6_8equal_toIjEEEE10hipError_tPvRmT2_T3_mT4_T5_T6_T7_T8_P12ihipStream_tbENKUlT_T0_E_clISt17integral_constantIbLb1EES15_IbLb0EEEEDaS11_S12_EUlS11_E_NS1_11comp_targetILNS1_3genE10ELNS1_11target_archE1201ELNS1_3gpuE5ELNS1_3repE0EEENS1_30default_config_static_selectorELNS0_4arch9wavefront6targetE1EEEvT1_,@function
_ZN7rocprim17ROCPRIM_400000_NS6detail17trampoline_kernelINS0_14default_configENS1_29reduce_by_key_config_selectorIjsN6thrust23THRUST_200600_302600_NS4plusIsEEEEZZNS1_33reduce_by_key_impl_wrapped_configILNS1_25lookback_scan_determinismE0ES3_S9_NS6_6detail15normal_iteratorINS6_10device_ptrIjEEEENSD_INSE_IsEEEENS6_16discard_iteratorINS6_11use_defaultEEESI_PmS8_NS6_8equal_toIjEEEE10hipError_tPvRmT2_T3_mT4_T5_T6_T7_T8_P12ihipStream_tbENKUlT_T0_E_clISt17integral_constantIbLb1EES15_IbLb0EEEEDaS11_S12_EUlS11_E_NS1_11comp_targetILNS1_3genE10ELNS1_11target_archE1201ELNS1_3gpuE5ELNS1_3repE0EEENS1_30default_config_static_selectorELNS0_4arch9wavefront6targetE1EEEvT1_: ; @_ZN7rocprim17ROCPRIM_400000_NS6detail17trampoline_kernelINS0_14default_configENS1_29reduce_by_key_config_selectorIjsN6thrust23THRUST_200600_302600_NS4plusIsEEEEZZNS1_33reduce_by_key_impl_wrapped_configILNS1_25lookback_scan_determinismE0ES3_S9_NS6_6detail15normal_iteratorINS6_10device_ptrIjEEEENSD_INSE_IsEEEENS6_16discard_iteratorINS6_11use_defaultEEESI_PmS8_NS6_8equal_toIjEEEE10hipError_tPvRmT2_T3_mT4_T5_T6_T7_T8_P12ihipStream_tbENKUlT_T0_E_clISt17integral_constantIbLb1EES15_IbLb0EEEEDaS11_S12_EUlS11_E_NS1_11comp_targetILNS1_3genE10ELNS1_11target_archE1201ELNS1_3gpuE5ELNS1_3repE0EEENS1_30default_config_static_selectorELNS0_4arch9wavefront6targetE1EEEvT1_
; %bb.0:
	.section	.rodata,"a",@progbits
	.p2align	6, 0x0
	.amdhsa_kernel _ZN7rocprim17ROCPRIM_400000_NS6detail17trampoline_kernelINS0_14default_configENS1_29reduce_by_key_config_selectorIjsN6thrust23THRUST_200600_302600_NS4plusIsEEEEZZNS1_33reduce_by_key_impl_wrapped_configILNS1_25lookback_scan_determinismE0ES3_S9_NS6_6detail15normal_iteratorINS6_10device_ptrIjEEEENSD_INSE_IsEEEENS6_16discard_iteratorINS6_11use_defaultEEESI_PmS8_NS6_8equal_toIjEEEE10hipError_tPvRmT2_T3_mT4_T5_T6_T7_T8_P12ihipStream_tbENKUlT_T0_E_clISt17integral_constantIbLb1EES15_IbLb0EEEEDaS11_S12_EUlS11_E_NS1_11comp_targetILNS1_3genE10ELNS1_11target_archE1201ELNS1_3gpuE5ELNS1_3repE0EEENS1_30default_config_static_selectorELNS0_4arch9wavefront6targetE1EEEvT1_
		.amdhsa_group_segment_fixed_size 0
		.amdhsa_private_segment_fixed_size 0
		.amdhsa_kernarg_size 128
		.amdhsa_user_sgpr_count 6
		.amdhsa_user_sgpr_private_segment_buffer 1
		.amdhsa_user_sgpr_dispatch_ptr 0
		.amdhsa_user_sgpr_queue_ptr 0
		.amdhsa_user_sgpr_kernarg_segment_ptr 1
		.amdhsa_user_sgpr_dispatch_id 0
		.amdhsa_user_sgpr_flat_scratch_init 0
		.amdhsa_user_sgpr_kernarg_preload_length 0
		.amdhsa_user_sgpr_kernarg_preload_offset 0
		.amdhsa_user_sgpr_private_segment_size 0
		.amdhsa_uses_dynamic_stack 0
		.amdhsa_system_sgpr_private_segment_wavefront_offset 0
		.amdhsa_system_sgpr_workgroup_id_x 1
		.amdhsa_system_sgpr_workgroup_id_y 0
		.amdhsa_system_sgpr_workgroup_id_z 0
		.amdhsa_system_sgpr_workgroup_info 0
		.amdhsa_system_vgpr_workitem_id 0
		.amdhsa_next_free_vgpr 1
		.amdhsa_next_free_sgpr 0
		.amdhsa_accum_offset 4
		.amdhsa_reserve_vcc 0
		.amdhsa_reserve_flat_scratch 0
		.amdhsa_float_round_mode_32 0
		.amdhsa_float_round_mode_16_64 0
		.amdhsa_float_denorm_mode_32 3
		.amdhsa_float_denorm_mode_16_64 3
		.amdhsa_dx10_clamp 1
		.amdhsa_ieee_mode 1
		.amdhsa_fp16_overflow 0
		.amdhsa_tg_split 0
		.amdhsa_exception_fp_ieee_invalid_op 0
		.amdhsa_exception_fp_denorm_src 0
		.amdhsa_exception_fp_ieee_div_zero 0
		.amdhsa_exception_fp_ieee_overflow 0
		.amdhsa_exception_fp_ieee_underflow 0
		.amdhsa_exception_fp_ieee_inexact 0
		.amdhsa_exception_int_div_zero 0
	.end_amdhsa_kernel
	.section	.text._ZN7rocprim17ROCPRIM_400000_NS6detail17trampoline_kernelINS0_14default_configENS1_29reduce_by_key_config_selectorIjsN6thrust23THRUST_200600_302600_NS4plusIsEEEEZZNS1_33reduce_by_key_impl_wrapped_configILNS1_25lookback_scan_determinismE0ES3_S9_NS6_6detail15normal_iteratorINS6_10device_ptrIjEEEENSD_INSE_IsEEEENS6_16discard_iteratorINS6_11use_defaultEEESI_PmS8_NS6_8equal_toIjEEEE10hipError_tPvRmT2_T3_mT4_T5_T6_T7_T8_P12ihipStream_tbENKUlT_T0_E_clISt17integral_constantIbLb1EES15_IbLb0EEEEDaS11_S12_EUlS11_E_NS1_11comp_targetILNS1_3genE10ELNS1_11target_archE1201ELNS1_3gpuE5ELNS1_3repE0EEENS1_30default_config_static_selectorELNS0_4arch9wavefront6targetE1EEEvT1_,"axG",@progbits,_ZN7rocprim17ROCPRIM_400000_NS6detail17trampoline_kernelINS0_14default_configENS1_29reduce_by_key_config_selectorIjsN6thrust23THRUST_200600_302600_NS4plusIsEEEEZZNS1_33reduce_by_key_impl_wrapped_configILNS1_25lookback_scan_determinismE0ES3_S9_NS6_6detail15normal_iteratorINS6_10device_ptrIjEEEENSD_INSE_IsEEEENS6_16discard_iteratorINS6_11use_defaultEEESI_PmS8_NS6_8equal_toIjEEEE10hipError_tPvRmT2_T3_mT4_T5_T6_T7_T8_P12ihipStream_tbENKUlT_T0_E_clISt17integral_constantIbLb1EES15_IbLb0EEEEDaS11_S12_EUlS11_E_NS1_11comp_targetILNS1_3genE10ELNS1_11target_archE1201ELNS1_3gpuE5ELNS1_3repE0EEENS1_30default_config_static_selectorELNS0_4arch9wavefront6targetE1EEEvT1_,comdat
.Lfunc_end1080:
	.size	_ZN7rocprim17ROCPRIM_400000_NS6detail17trampoline_kernelINS0_14default_configENS1_29reduce_by_key_config_selectorIjsN6thrust23THRUST_200600_302600_NS4plusIsEEEEZZNS1_33reduce_by_key_impl_wrapped_configILNS1_25lookback_scan_determinismE0ES3_S9_NS6_6detail15normal_iteratorINS6_10device_ptrIjEEEENSD_INSE_IsEEEENS6_16discard_iteratorINS6_11use_defaultEEESI_PmS8_NS6_8equal_toIjEEEE10hipError_tPvRmT2_T3_mT4_T5_T6_T7_T8_P12ihipStream_tbENKUlT_T0_E_clISt17integral_constantIbLb1EES15_IbLb0EEEEDaS11_S12_EUlS11_E_NS1_11comp_targetILNS1_3genE10ELNS1_11target_archE1201ELNS1_3gpuE5ELNS1_3repE0EEENS1_30default_config_static_selectorELNS0_4arch9wavefront6targetE1EEEvT1_, .Lfunc_end1080-_ZN7rocprim17ROCPRIM_400000_NS6detail17trampoline_kernelINS0_14default_configENS1_29reduce_by_key_config_selectorIjsN6thrust23THRUST_200600_302600_NS4plusIsEEEEZZNS1_33reduce_by_key_impl_wrapped_configILNS1_25lookback_scan_determinismE0ES3_S9_NS6_6detail15normal_iteratorINS6_10device_ptrIjEEEENSD_INSE_IsEEEENS6_16discard_iteratorINS6_11use_defaultEEESI_PmS8_NS6_8equal_toIjEEEE10hipError_tPvRmT2_T3_mT4_T5_T6_T7_T8_P12ihipStream_tbENKUlT_T0_E_clISt17integral_constantIbLb1EES15_IbLb0EEEEDaS11_S12_EUlS11_E_NS1_11comp_targetILNS1_3genE10ELNS1_11target_archE1201ELNS1_3gpuE5ELNS1_3repE0EEENS1_30default_config_static_selectorELNS0_4arch9wavefront6targetE1EEEvT1_
                                        ; -- End function
	.section	.AMDGPU.csdata,"",@progbits
; Kernel info:
; codeLenInByte = 0
; NumSgprs: 4
; NumVgprs: 0
; NumAgprs: 0
; TotalNumVgprs: 0
; ScratchSize: 0
; MemoryBound: 0
; FloatMode: 240
; IeeeMode: 1
; LDSByteSize: 0 bytes/workgroup (compile time only)
; SGPRBlocks: 0
; VGPRBlocks: 0
; NumSGPRsForWavesPerEU: 4
; NumVGPRsForWavesPerEU: 1
; AccumOffset: 4
; Occupancy: 8
; WaveLimiterHint : 0
; COMPUTE_PGM_RSRC2:SCRATCH_EN: 0
; COMPUTE_PGM_RSRC2:USER_SGPR: 6
; COMPUTE_PGM_RSRC2:TRAP_HANDLER: 0
; COMPUTE_PGM_RSRC2:TGID_X_EN: 1
; COMPUTE_PGM_RSRC2:TGID_Y_EN: 0
; COMPUTE_PGM_RSRC2:TGID_Z_EN: 0
; COMPUTE_PGM_RSRC2:TIDIG_COMP_CNT: 0
; COMPUTE_PGM_RSRC3_GFX90A:ACCUM_OFFSET: 0
; COMPUTE_PGM_RSRC3_GFX90A:TG_SPLIT: 0
	.section	.text._ZN7rocprim17ROCPRIM_400000_NS6detail17trampoline_kernelINS0_14default_configENS1_29reduce_by_key_config_selectorIjsN6thrust23THRUST_200600_302600_NS4plusIsEEEEZZNS1_33reduce_by_key_impl_wrapped_configILNS1_25lookback_scan_determinismE0ES3_S9_NS6_6detail15normal_iteratorINS6_10device_ptrIjEEEENSD_INSE_IsEEEENS6_16discard_iteratorINS6_11use_defaultEEESI_PmS8_NS6_8equal_toIjEEEE10hipError_tPvRmT2_T3_mT4_T5_T6_T7_T8_P12ihipStream_tbENKUlT_T0_E_clISt17integral_constantIbLb1EES15_IbLb0EEEEDaS11_S12_EUlS11_E_NS1_11comp_targetILNS1_3genE10ELNS1_11target_archE1200ELNS1_3gpuE4ELNS1_3repE0EEENS1_30default_config_static_selectorELNS0_4arch9wavefront6targetE1EEEvT1_,"axG",@progbits,_ZN7rocprim17ROCPRIM_400000_NS6detail17trampoline_kernelINS0_14default_configENS1_29reduce_by_key_config_selectorIjsN6thrust23THRUST_200600_302600_NS4plusIsEEEEZZNS1_33reduce_by_key_impl_wrapped_configILNS1_25lookback_scan_determinismE0ES3_S9_NS6_6detail15normal_iteratorINS6_10device_ptrIjEEEENSD_INSE_IsEEEENS6_16discard_iteratorINS6_11use_defaultEEESI_PmS8_NS6_8equal_toIjEEEE10hipError_tPvRmT2_T3_mT4_T5_T6_T7_T8_P12ihipStream_tbENKUlT_T0_E_clISt17integral_constantIbLb1EES15_IbLb0EEEEDaS11_S12_EUlS11_E_NS1_11comp_targetILNS1_3genE10ELNS1_11target_archE1200ELNS1_3gpuE4ELNS1_3repE0EEENS1_30default_config_static_selectorELNS0_4arch9wavefront6targetE1EEEvT1_,comdat
	.protected	_ZN7rocprim17ROCPRIM_400000_NS6detail17trampoline_kernelINS0_14default_configENS1_29reduce_by_key_config_selectorIjsN6thrust23THRUST_200600_302600_NS4plusIsEEEEZZNS1_33reduce_by_key_impl_wrapped_configILNS1_25lookback_scan_determinismE0ES3_S9_NS6_6detail15normal_iteratorINS6_10device_ptrIjEEEENSD_INSE_IsEEEENS6_16discard_iteratorINS6_11use_defaultEEESI_PmS8_NS6_8equal_toIjEEEE10hipError_tPvRmT2_T3_mT4_T5_T6_T7_T8_P12ihipStream_tbENKUlT_T0_E_clISt17integral_constantIbLb1EES15_IbLb0EEEEDaS11_S12_EUlS11_E_NS1_11comp_targetILNS1_3genE10ELNS1_11target_archE1200ELNS1_3gpuE4ELNS1_3repE0EEENS1_30default_config_static_selectorELNS0_4arch9wavefront6targetE1EEEvT1_ ; -- Begin function _ZN7rocprim17ROCPRIM_400000_NS6detail17trampoline_kernelINS0_14default_configENS1_29reduce_by_key_config_selectorIjsN6thrust23THRUST_200600_302600_NS4plusIsEEEEZZNS1_33reduce_by_key_impl_wrapped_configILNS1_25lookback_scan_determinismE0ES3_S9_NS6_6detail15normal_iteratorINS6_10device_ptrIjEEEENSD_INSE_IsEEEENS6_16discard_iteratorINS6_11use_defaultEEESI_PmS8_NS6_8equal_toIjEEEE10hipError_tPvRmT2_T3_mT4_T5_T6_T7_T8_P12ihipStream_tbENKUlT_T0_E_clISt17integral_constantIbLb1EES15_IbLb0EEEEDaS11_S12_EUlS11_E_NS1_11comp_targetILNS1_3genE10ELNS1_11target_archE1200ELNS1_3gpuE4ELNS1_3repE0EEENS1_30default_config_static_selectorELNS0_4arch9wavefront6targetE1EEEvT1_
	.globl	_ZN7rocprim17ROCPRIM_400000_NS6detail17trampoline_kernelINS0_14default_configENS1_29reduce_by_key_config_selectorIjsN6thrust23THRUST_200600_302600_NS4plusIsEEEEZZNS1_33reduce_by_key_impl_wrapped_configILNS1_25lookback_scan_determinismE0ES3_S9_NS6_6detail15normal_iteratorINS6_10device_ptrIjEEEENSD_INSE_IsEEEENS6_16discard_iteratorINS6_11use_defaultEEESI_PmS8_NS6_8equal_toIjEEEE10hipError_tPvRmT2_T3_mT4_T5_T6_T7_T8_P12ihipStream_tbENKUlT_T0_E_clISt17integral_constantIbLb1EES15_IbLb0EEEEDaS11_S12_EUlS11_E_NS1_11comp_targetILNS1_3genE10ELNS1_11target_archE1200ELNS1_3gpuE4ELNS1_3repE0EEENS1_30default_config_static_selectorELNS0_4arch9wavefront6targetE1EEEvT1_
	.p2align	8
	.type	_ZN7rocprim17ROCPRIM_400000_NS6detail17trampoline_kernelINS0_14default_configENS1_29reduce_by_key_config_selectorIjsN6thrust23THRUST_200600_302600_NS4plusIsEEEEZZNS1_33reduce_by_key_impl_wrapped_configILNS1_25lookback_scan_determinismE0ES3_S9_NS6_6detail15normal_iteratorINS6_10device_ptrIjEEEENSD_INSE_IsEEEENS6_16discard_iteratorINS6_11use_defaultEEESI_PmS8_NS6_8equal_toIjEEEE10hipError_tPvRmT2_T3_mT4_T5_T6_T7_T8_P12ihipStream_tbENKUlT_T0_E_clISt17integral_constantIbLb1EES15_IbLb0EEEEDaS11_S12_EUlS11_E_NS1_11comp_targetILNS1_3genE10ELNS1_11target_archE1200ELNS1_3gpuE4ELNS1_3repE0EEENS1_30default_config_static_selectorELNS0_4arch9wavefront6targetE1EEEvT1_,@function
_ZN7rocprim17ROCPRIM_400000_NS6detail17trampoline_kernelINS0_14default_configENS1_29reduce_by_key_config_selectorIjsN6thrust23THRUST_200600_302600_NS4plusIsEEEEZZNS1_33reduce_by_key_impl_wrapped_configILNS1_25lookback_scan_determinismE0ES3_S9_NS6_6detail15normal_iteratorINS6_10device_ptrIjEEEENSD_INSE_IsEEEENS6_16discard_iteratorINS6_11use_defaultEEESI_PmS8_NS6_8equal_toIjEEEE10hipError_tPvRmT2_T3_mT4_T5_T6_T7_T8_P12ihipStream_tbENKUlT_T0_E_clISt17integral_constantIbLb1EES15_IbLb0EEEEDaS11_S12_EUlS11_E_NS1_11comp_targetILNS1_3genE10ELNS1_11target_archE1200ELNS1_3gpuE4ELNS1_3repE0EEENS1_30default_config_static_selectorELNS0_4arch9wavefront6targetE1EEEvT1_: ; @_ZN7rocprim17ROCPRIM_400000_NS6detail17trampoline_kernelINS0_14default_configENS1_29reduce_by_key_config_selectorIjsN6thrust23THRUST_200600_302600_NS4plusIsEEEEZZNS1_33reduce_by_key_impl_wrapped_configILNS1_25lookback_scan_determinismE0ES3_S9_NS6_6detail15normal_iteratorINS6_10device_ptrIjEEEENSD_INSE_IsEEEENS6_16discard_iteratorINS6_11use_defaultEEESI_PmS8_NS6_8equal_toIjEEEE10hipError_tPvRmT2_T3_mT4_T5_T6_T7_T8_P12ihipStream_tbENKUlT_T0_E_clISt17integral_constantIbLb1EES15_IbLb0EEEEDaS11_S12_EUlS11_E_NS1_11comp_targetILNS1_3genE10ELNS1_11target_archE1200ELNS1_3gpuE4ELNS1_3repE0EEENS1_30default_config_static_selectorELNS0_4arch9wavefront6targetE1EEEvT1_
; %bb.0:
	.section	.rodata,"a",@progbits
	.p2align	6, 0x0
	.amdhsa_kernel _ZN7rocprim17ROCPRIM_400000_NS6detail17trampoline_kernelINS0_14default_configENS1_29reduce_by_key_config_selectorIjsN6thrust23THRUST_200600_302600_NS4plusIsEEEEZZNS1_33reduce_by_key_impl_wrapped_configILNS1_25lookback_scan_determinismE0ES3_S9_NS6_6detail15normal_iteratorINS6_10device_ptrIjEEEENSD_INSE_IsEEEENS6_16discard_iteratorINS6_11use_defaultEEESI_PmS8_NS6_8equal_toIjEEEE10hipError_tPvRmT2_T3_mT4_T5_T6_T7_T8_P12ihipStream_tbENKUlT_T0_E_clISt17integral_constantIbLb1EES15_IbLb0EEEEDaS11_S12_EUlS11_E_NS1_11comp_targetILNS1_3genE10ELNS1_11target_archE1200ELNS1_3gpuE4ELNS1_3repE0EEENS1_30default_config_static_selectorELNS0_4arch9wavefront6targetE1EEEvT1_
		.amdhsa_group_segment_fixed_size 0
		.amdhsa_private_segment_fixed_size 0
		.amdhsa_kernarg_size 128
		.amdhsa_user_sgpr_count 6
		.amdhsa_user_sgpr_private_segment_buffer 1
		.amdhsa_user_sgpr_dispatch_ptr 0
		.amdhsa_user_sgpr_queue_ptr 0
		.amdhsa_user_sgpr_kernarg_segment_ptr 1
		.amdhsa_user_sgpr_dispatch_id 0
		.amdhsa_user_sgpr_flat_scratch_init 0
		.amdhsa_user_sgpr_kernarg_preload_length 0
		.amdhsa_user_sgpr_kernarg_preload_offset 0
		.amdhsa_user_sgpr_private_segment_size 0
		.amdhsa_uses_dynamic_stack 0
		.amdhsa_system_sgpr_private_segment_wavefront_offset 0
		.amdhsa_system_sgpr_workgroup_id_x 1
		.amdhsa_system_sgpr_workgroup_id_y 0
		.amdhsa_system_sgpr_workgroup_id_z 0
		.amdhsa_system_sgpr_workgroup_info 0
		.amdhsa_system_vgpr_workitem_id 0
		.amdhsa_next_free_vgpr 1
		.amdhsa_next_free_sgpr 0
		.amdhsa_accum_offset 4
		.amdhsa_reserve_vcc 0
		.amdhsa_reserve_flat_scratch 0
		.amdhsa_float_round_mode_32 0
		.amdhsa_float_round_mode_16_64 0
		.amdhsa_float_denorm_mode_32 3
		.amdhsa_float_denorm_mode_16_64 3
		.amdhsa_dx10_clamp 1
		.amdhsa_ieee_mode 1
		.amdhsa_fp16_overflow 0
		.amdhsa_tg_split 0
		.amdhsa_exception_fp_ieee_invalid_op 0
		.amdhsa_exception_fp_denorm_src 0
		.amdhsa_exception_fp_ieee_div_zero 0
		.amdhsa_exception_fp_ieee_overflow 0
		.amdhsa_exception_fp_ieee_underflow 0
		.amdhsa_exception_fp_ieee_inexact 0
		.amdhsa_exception_int_div_zero 0
	.end_amdhsa_kernel
	.section	.text._ZN7rocprim17ROCPRIM_400000_NS6detail17trampoline_kernelINS0_14default_configENS1_29reduce_by_key_config_selectorIjsN6thrust23THRUST_200600_302600_NS4plusIsEEEEZZNS1_33reduce_by_key_impl_wrapped_configILNS1_25lookback_scan_determinismE0ES3_S9_NS6_6detail15normal_iteratorINS6_10device_ptrIjEEEENSD_INSE_IsEEEENS6_16discard_iteratorINS6_11use_defaultEEESI_PmS8_NS6_8equal_toIjEEEE10hipError_tPvRmT2_T3_mT4_T5_T6_T7_T8_P12ihipStream_tbENKUlT_T0_E_clISt17integral_constantIbLb1EES15_IbLb0EEEEDaS11_S12_EUlS11_E_NS1_11comp_targetILNS1_3genE10ELNS1_11target_archE1200ELNS1_3gpuE4ELNS1_3repE0EEENS1_30default_config_static_selectorELNS0_4arch9wavefront6targetE1EEEvT1_,"axG",@progbits,_ZN7rocprim17ROCPRIM_400000_NS6detail17trampoline_kernelINS0_14default_configENS1_29reduce_by_key_config_selectorIjsN6thrust23THRUST_200600_302600_NS4plusIsEEEEZZNS1_33reduce_by_key_impl_wrapped_configILNS1_25lookback_scan_determinismE0ES3_S9_NS6_6detail15normal_iteratorINS6_10device_ptrIjEEEENSD_INSE_IsEEEENS6_16discard_iteratorINS6_11use_defaultEEESI_PmS8_NS6_8equal_toIjEEEE10hipError_tPvRmT2_T3_mT4_T5_T6_T7_T8_P12ihipStream_tbENKUlT_T0_E_clISt17integral_constantIbLb1EES15_IbLb0EEEEDaS11_S12_EUlS11_E_NS1_11comp_targetILNS1_3genE10ELNS1_11target_archE1200ELNS1_3gpuE4ELNS1_3repE0EEENS1_30default_config_static_selectorELNS0_4arch9wavefront6targetE1EEEvT1_,comdat
.Lfunc_end1081:
	.size	_ZN7rocprim17ROCPRIM_400000_NS6detail17trampoline_kernelINS0_14default_configENS1_29reduce_by_key_config_selectorIjsN6thrust23THRUST_200600_302600_NS4plusIsEEEEZZNS1_33reduce_by_key_impl_wrapped_configILNS1_25lookback_scan_determinismE0ES3_S9_NS6_6detail15normal_iteratorINS6_10device_ptrIjEEEENSD_INSE_IsEEEENS6_16discard_iteratorINS6_11use_defaultEEESI_PmS8_NS6_8equal_toIjEEEE10hipError_tPvRmT2_T3_mT4_T5_T6_T7_T8_P12ihipStream_tbENKUlT_T0_E_clISt17integral_constantIbLb1EES15_IbLb0EEEEDaS11_S12_EUlS11_E_NS1_11comp_targetILNS1_3genE10ELNS1_11target_archE1200ELNS1_3gpuE4ELNS1_3repE0EEENS1_30default_config_static_selectorELNS0_4arch9wavefront6targetE1EEEvT1_, .Lfunc_end1081-_ZN7rocprim17ROCPRIM_400000_NS6detail17trampoline_kernelINS0_14default_configENS1_29reduce_by_key_config_selectorIjsN6thrust23THRUST_200600_302600_NS4plusIsEEEEZZNS1_33reduce_by_key_impl_wrapped_configILNS1_25lookback_scan_determinismE0ES3_S9_NS6_6detail15normal_iteratorINS6_10device_ptrIjEEEENSD_INSE_IsEEEENS6_16discard_iteratorINS6_11use_defaultEEESI_PmS8_NS6_8equal_toIjEEEE10hipError_tPvRmT2_T3_mT4_T5_T6_T7_T8_P12ihipStream_tbENKUlT_T0_E_clISt17integral_constantIbLb1EES15_IbLb0EEEEDaS11_S12_EUlS11_E_NS1_11comp_targetILNS1_3genE10ELNS1_11target_archE1200ELNS1_3gpuE4ELNS1_3repE0EEENS1_30default_config_static_selectorELNS0_4arch9wavefront6targetE1EEEvT1_
                                        ; -- End function
	.section	.AMDGPU.csdata,"",@progbits
; Kernel info:
; codeLenInByte = 0
; NumSgprs: 4
; NumVgprs: 0
; NumAgprs: 0
; TotalNumVgprs: 0
; ScratchSize: 0
; MemoryBound: 0
; FloatMode: 240
; IeeeMode: 1
; LDSByteSize: 0 bytes/workgroup (compile time only)
; SGPRBlocks: 0
; VGPRBlocks: 0
; NumSGPRsForWavesPerEU: 4
; NumVGPRsForWavesPerEU: 1
; AccumOffset: 4
; Occupancy: 8
; WaveLimiterHint : 0
; COMPUTE_PGM_RSRC2:SCRATCH_EN: 0
; COMPUTE_PGM_RSRC2:USER_SGPR: 6
; COMPUTE_PGM_RSRC2:TRAP_HANDLER: 0
; COMPUTE_PGM_RSRC2:TGID_X_EN: 1
; COMPUTE_PGM_RSRC2:TGID_Y_EN: 0
; COMPUTE_PGM_RSRC2:TGID_Z_EN: 0
; COMPUTE_PGM_RSRC2:TIDIG_COMP_CNT: 0
; COMPUTE_PGM_RSRC3_GFX90A:ACCUM_OFFSET: 0
; COMPUTE_PGM_RSRC3_GFX90A:TG_SPLIT: 0
	.section	.text._ZN7rocprim17ROCPRIM_400000_NS6detail17trampoline_kernelINS0_14default_configENS1_29reduce_by_key_config_selectorIjsN6thrust23THRUST_200600_302600_NS4plusIsEEEEZZNS1_33reduce_by_key_impl_wrapped_configILNS1_25lookback_scan_determinismE0ES3_S9_NS6_6detail15normal_iteratorINS6_10device_ptrIjEEEENSD_INSE_IsEEEENS6_16discard_iteratorINS6_11use_defaultEEESI_PmS8_NS6_8equal_toIjEEEE10hipError_tPvRmT2_T3_mT4_T5_T6_T7_T8_P12ihipStream_tbENKUlT_T0_E_clISt17integral_constantIbLb1EES15_IbLb0EEEEDaS11_S12_EUlS11_E_NS1_11comp_targetILNS1_3genE9ELNS1_11target_archE1100ELNS1_3gpuE3ELNS1_3repE0EEENS1_30default_config_static_selectorELNS0_4arch9wavefront6targetE1EEEvT1_,"axG",@progbits,_ZN7rocprim17ROCPRIM_400000_NS6detail17trampoline_kernelINS0_14default_configENS1_29reduce_by_key_config_selectorIjsN6thrust23THRUST_200600_302600_NS4plusIsEEEEZZNS1_33reduce_by_key_impl_wrapped_configILNS1_25lookback_scan_determinismE0ES3_S9_NS6_6detail15normal_iteratorINS6_10device_ptrIjEEEENSD_INSE_IsEEEENS6_16discard_iteratorINS6_11use_defaultEEESI_PmS8_NS6_8equal_toIjEEEE10hipError_tPvRmT2_T3_mT4_T5_T6_T7_T8_P12ihipStream_tbENKUlT_T0_E_clISt17integral_constantIbLb1EES15_IbLb0EEEEDaS11_S12_EUlS11_E_NS1_11comp_targetILNS1_3genE9ELNS1_11target_archE1100ELNS1_3gpuE3ELNS1_3repE0EEENS1_30default_config_static_selectorELNS0_4arch9wavefront6targetE1EEEvT1_,comdat
	.protected	_ZN7rocprim17ROCPRIM_400000_NS6detail17trampoline_kernelINS0_14default_configENS1_29reduce_by_key_config_selectorIjsN6thrust23THRUST_200600_302600_NS4plusIsEEEEZZNS1_33reduce_by_key_impl_wrapped_configILNS1_25lookback_scan_determinismE0ES3_S9_NS6_6detail15normal_iteratorINS6_10device_ptrIjEEEENSD_INSE_IsEEEENS6_16discard_iteratorINS6_11use_defaultEEESI_PmS8_NS6_8equal_toIjEEEE10hipError_tPvRmT2_T3_mT4_T5_T6_T7_T8_P12ihipStream_tbENKUlT_T0_E_clISt17integral_constantIbLb1EES15_IbLb0EEEEDaS11_S12_EUlS11_E_NS1_11comp_targetILNS1_3genE9ELNS1_11target_archE1100ELNS1_3gpuE3ELNS1_3repE0EEENS1_30default_config_static_selectorELNS0_4arch9wavefront6targetE1EEEvT1_ ; -- Begin function _ZN7rocprim17ROCPRIM_400000_NS6detail17trampoline_kernelINS0_14default_configENS1_29reduce_by_key_config_selectorIjsN6thrust23THRUST_200600_302600_NS4plusIsEEEEZZNS1_33reduce_by_key_impl_wrapped_configILNS1_25lookback_scan_determinismE0ES3_S9_NS6_6detail15normal_iteratorINS6_10device_ptrIjEEEENSD_INSE_IsEEEENS6_16discard_iteratorINS6_11use_defaultEEESI_PmS8_NS6_8equal_toIjEEEE10hipError_tPvRmT2_T3_mT4_T5_T6_T7_T8_P12ihipStream_tbENKUlT_T0_E_clISt17integral_constantIbLb1EES15_IbLb0EEEEDaS11_S12_EUlS11_E_NS1_11comp_targetILNS1_3genE9ELNS1_11target_archE1100ELNS1_3gpuE3ELNS1_3repE0EEENS1_30default_config_static_selectorELNS0_4arch9wavefront6targetE1EEEvT1_
	.globl	_ZN7rocprim17ROCPRIM_400000_NS6detail17trampoline_kernelINS0_14default_configENS1_29reduce_by_key_config_selectorIjsN6thrust23THRUST_200600_302600_NS4plusIsEEEEZZNS1_33reduce_by_key_impl_wrapped_configILNS1_25lookback_scan_determinismE0ES3_S9_NS6_6detail15normal_iteratorINS6_10device_ptrIjEEEENSD_INSE_IsEEEENS6_16discard_iteratorINS6_11use_defaultEEESI_PmS8_NS6_8equal_toIjEEEE10hipError_tPvRmT2_T3_mT4_T5_T6_T7_T8_P12ihipStream_tbENKUlT_T0_E_clISt17integral_constantIbLb1EES15_IbLb0EEEEDaS11_S12_EUlS11_E_NS1_11comp_targetILNS1_3genE9ELNS1_11target_archE1100ELNS1_3gpuE3ELNS1_3repE0EEENS1_30default_config_static_selectorELNS0_4arch9wavefront6targetE1EEEvT1_
	.p2align	8
	.type	_ZN7rocprim17ROCPRIM_400000_NS6detail17trampoline_kernelINS0_14default_configENS1_29reduce_by_key_config_selectorIjsN6thrust23THRUST_200600_302600_NS4plusIsEEEEZZNS1_33reduce_by_key_impl_wrapped_configILNS1_25lookback_scan_determinismE0ES3_S9_NS6_6detail15normal_iteratorINS6_10device_ptrIjEEEENSD_INSE_IsEEEENS6_16discard_iteratorINS6_11use_defaultEEESI_PmS8_NS6_8equal_toIjEEEE10hipError_tPvRmT2_T3_mT4_T5_T6_T7_T8_P12ihipStream_tbENKUlT_T0_E_clISt17integral_constantIbLb1EES15_IbLb0EEEEDaS11_S12_EUlS11_E_NS1_11comp_targetILNS1_3genE9ELNS1_11target_archE1100ELNS1_3gpuE3ELNS1_3repE0EEENS1_30default_config_static_selectorELNS0_4arch9wavefront6targetE1EEEvT1_,@function
_ZN7rocprim17ROCPRIM_400000_NS6detail17trampoline_kernelINS0_14default_configENS1_29reduce_by_key_config_selectorIjsN6thrust23THRUST_200600_302600_NS4plusIsEEEEZZNS1_33reduce_by_key_impl_wrapped_configILNS1_25lookback_scan_determinismE0ES3_S9_NS6_6detail15normal_iteratorINS6_10device_ptrIjEEEENSD_INSE_IsEEEENS6_16discard_iteratorINS6_11use_defaultEEESI_PmS8_NS6_8equal_toIjEEEE10hipError_tPvRmT2_T3_mT4_T5_T6_T7_T8_P12ihipStream_tbENKUlT_T0_E_clISt17integral_constantIbLb1EES15_IbLb0EEEEDaS11_S12_EUlS11_E_NS1_11comp_targetILNS1_3genE9ELNS1_11target_archE1100ELNS1_3gpuE3ELNS1_3repE0EEENS1_30default_config_static_selectorELNS0_4arch9wavefront6targetE1EEEvT1_: ; @_ZN7rocprim17ROCPRIM_400000_NS6detail17trampoline_kernelINS0_14default_configENS1_29reduce_by_key_config_selectorIjsN6thrust23THRUST_200600_302600_NS4plusIsEEEEZZNS1_33reduce_by_key_impl_wrapped_configILNS1_25lookback_scan_determinismE0ES3_S9_NS6_6detail15normal_iteratorINS6_10device_ptrIjEEEENSD_INSE_IsEEEENS6_16discard_iteratorINS6_11use_defaultEEESI_PmS8_NS6_8equal_toIjEEEE10hipError_tPvRmT2_T3_mT4_T5_T6_T7_T8_P12ihipStream_tbENKUlT_T0_E_clISt17integral_constantIbLb1EES15_IbLb0EEEEDaS11_S12_EUlS11_E_NS1_11comp_targetILNS1_3genE9ELNS1_11target_archE1100ELNS1_3gpuE3ELNS1_3repE0EEENS1_30default_config_static_selectorELNS0_4arch9wavefront6targetE1EEEvT1_
; %bb.0:
	.section	.rodata,"a",@progbits
	.p2align	6, 0x0
	.amdhsa_kernel _ZN7rocprim17ROCPRIM_400000_NS6detail17trampoline_kernelINS0_14default_configENS1_29reduce_by_key_config_selectorIjsN6thrust23THRUST_200600_302600_NS4plusIsEEEEZZNS1_33reduce_by_key_impl_wrapped_configILNS1_25lookback_scan_determinismE0ES3_S9_NS6_6detail15normal_iteratorINS6_10device_ptrIjEEEENSD_INSE_IsEEEENS6_16discard_iteratorINS6_11use_defaultEEESI_PmS8_NS6_8equal_toIjEEEE10hipError_tPvRmT2_T3_mT4_T5_T6_T7_T8_P12ihipStream_tbENKUlT_T0_E_clISt17integral_constantIbLb1EES15_IbLb0EEEEDaS11_S12_EUlS11_E_NS1_11comp_targetILNS1_3genE9ELNS1_11target_archE1100ELNS1_3gpuE3ELNS1_3repE0EEENS1_30default_config_static_selectorELNS0_4arch9wavefront6targetE1EEEvT1_
		.amdhsa_group_segment_fixed_size 0
		.amdhsa_private_segment_fixed_size 0
		.amdhsa_kernarg_size 128
		.amdhsa_user_sgpr_count 6
		.amdhsa_user_sgpr_private_segment_buffer 1
		.amdhsa_user_sgpr_dispatch_ptr 0
		.amdhsa_user_sgpr_queue_ptr 0
		.amdhsa_user_sgpr_kernarg_segment_ptr 1
		.amdhsa_user_sgpr_dispatch_id 0
		.amdhsa_user_sgpr_flat_scratch_init 0
		.amdhsa_user_sgpr_kernarg_preload_length 0
		.amdhsa_user_sgpr_kernarg_preload_offset 0
		.amdhsa_user_sgpr_private_segment_size 0
		.amdhsa_uses_dynamic_stack 0
		.amdhsa_system_sgpr_private_segment_wavefront_offset 0
		.amdhsa_system_sgpr_workgroup_id_x 1
		.amdhsa_system_sgpr_workgroup_id_y 0
		.amdhsa_system_sgpr_workgroup_id_z 0
		.amdhsa_system_sgpr_workgroup_info 0
		.amdhsa_system_vgpr_workitem_id 0
		.amdhsa_next_free_vgpr 1
		.amdhsa_next_free_sgpr 0
		.amdhsa_accum_offset 4
		.amdhsa_reserve_vcc 0
		.amdhsa_reserve_flat_scratch 0
		.amdhsa_float_round_mode_32 0
		.amdhsa_float_round_mode_16_64 0
		.amdhsa_float_denorm_mode_32 3
		.amdhsa_float_denorm_mode_16_64 3
		.amdhsa_dx10_clamp 1
		.amdhsa_ieee_mode 1
		.amdhsa_fp16_overflow 0
		.amdhsa_tg_split 0
		.amdhsa_exception_fp_ieee_invalid_op 0
		.amdhsa_exception_fp_denorm_src 0
		.amdhsa_exception_fp_ieee_div_zero 0
		.amdhsa_exception_fp_ieee_overflow 0
		.amdhsa_exception_fp_ieee_underflow 0
		.amdhsa_exception_fp_ieee_inexact 0
		.amdhsa_exception_int_div_zero 0
	.end_amdhsa_kernel
	.section	.text._ZN7rocprim17ROCPRIM_400000_NS6detail17trampoline_kernelINS0_14default_configENS1_29reduce_by_key_config_selectorIjsN6thrust23THRUST_200600_302600_NS4plusIsEEEEZZNS1_33reduce_by_key_impl_wrapped_configILNS1_25lookback_scan_determinismE0ES3_S9_NS6_6detail15normal_iteratorINS6_10device_ptrIjEEEENSD_INSE_IsEEEENS6_16discard_iteratorINS6_11use_defaultEEESI_PmS8_NS6_8equal_toIjEEEE10hipError_tPvRmT2_T3_mT4_T5_T6_T7_T8_P12ihipStream_tbENKUlT_T0_E_clISt17integral_constantIbLb1EES15_IbLb0EEEEDaS11_S12_EUlS11_E_NS1_11comp_targetILNS1_3genE9ELNS1_11target_archE1100ELNS1_3gpuE3ELNS1_3repE0EEENS1_30default_config_static_selectorELNS0_4arch9wavefront6targetE1EEEvT1_,"axG",@progbits,_ZN7rocprim17ROCPRIM_400000_NS6detail17trampoline_kernelINS0_14default_configENS1_29reduce_by_key_config_selectorIjsN6thrust23THRUST_200600_302600_NS4plusIsEEEEZZNS1_33reduce_by_key_impl_wrapped_configILNS1_25lookback_scan_determinismE0ES3_S9_NS6_6detail15normal_iteratorINS6_10device_ptrIjEEEENSD_INSE_IsEEEENS6_16discard_iteratorINS6_11use_defaultEEESI_PmS8_NS6_8equal_toIjEEEE10hipError_tPvRmT2_T3_mT4_T5_T6_T7_T8_P12ihipStream_tbENKUlT_T0_E_clISt17integral_constantIbLb1EES15_IbLb0EEEEDaS11_S12_EUlS11_E_NS1_11comp_targetILNS1_3genE9ELNS1_11target_archE1100ELNS1_3gpuE3ELNS1_3repE0EEENS1_30default_config_static_selectorELNS0_4arch9wavefront6targetE1EEEvT1_,comdat
.Lfunc_end1082:
	.size	_ZN7rocprim17ROCPRIM_400000_NS6detail17trampoline_kernelINS0_14default_configENS1_29reduce_by_key_config_selectorIjsN6thrust23THRUST_200600_302600_NS4plusIsEEEEZZNS1_33reduce_by_key_impl_wrapped_configILNS1_25lookback_scan_determinismE0ES3_S9_NS6_6detail15normal_iteratorINS6_10device_ptrIjEEEENSD_INSE_IsEEEENS6_16discard_iteratorINS6_11use_defaultEEESI_PmS8_NS6_8equal_toIjEEEE10hipError_tPvRmT2_T3_mT4_T5_T6_T7_T8_P12ihipStream_tbENKUlT_T0_E_clISt17integral_constantIbLb1EES15_IbLb0EEEEDaS11_S12_EUlS11_E_NS1_11comp_targetILNS1_3genE9ELNS1_11target_archE1100ELNS1_3gpuE3ELNS1_3repE0EEENS1_30default_config_static_selectorELNS0_4arch9wavefront6targetE1EEEvT1_, .Lfunc_end1082-_ZN7rocprim17ROCPRIM_400000_NS6detail17trampoline_kernelINS0_14default_configENS1_29reduce_by_key_config_selectorIjsN6thrust23THRUST_200600_302600_NS4plusIsEEEEZZNS1_33reduce_by_key_impl_wrapped_configILNS1_25lookback_scan_determinismE0ES3_S9_NS6_6detail15normal_iteratorINS6_10device_ptrIjEEEENSD_INSE_IsEEEENS6_16discard_iteratorINS6_11use_defaultEEESI_PmS8_NS6_8equal_toIjEEEE10hipError_tPvRmT2_T3_mT4_T5_T6_T7_T8_P12ihipStream_tbENKUlT_T0_E_clISt17integral_constantIbLb1EES15_IbLb0EEEEDaS11_S12_EUlS11_E_NS1_11comp_targetILNS1_3genE9ELNS1_11target_archE1100ELNS1_3gpuE3ELNS1_3repE0EEENS1_30default_config_static_selectorELNS0_4arch9wavefront6targetE1EEEvT1_
                                        ; -- End function
	.section	.AMDGPU.csdata,"",@progbits
; Kernel info:
; codeLenInByte = 0
; NumSgprs: 4
; NumVgprs: 0
; NumAgprs: 0
; TotalNumVgprs: 0
; ScratchSize: 0
; MemoryBound: 0
; FloatMode: 240
; IeeeMode: 1
; LDSByteSize: 0 bytes/workgroup (compile time only)
; SGPRBlocks: 0
; VGPRBlocks: 0
; NumSGPRsForWavesPerEU: 4
; NumVGPRsForWavesPerEU: 1
; AccumOffset: 4
; Occupancy: 8
; WaveLimiterHint : 0
; COMPUTE_PGM_RSRC2:SCRATCH_EN: 0
; COMPUTE_PGM_RSRC2:USER_SGPR: 6
; COMPUTE_PGM_RSRC2:TRAP_HANDLER: 0
; COMPUTE_PGM_RSRC2:TGID_X_EN: 1
; COMPUTE_PGM_RSRC2:TGID_Y_EN: 0
; COMPUTE_PGM_RSRC2:TGID_Z_EN: 0
; COMPUTE_PGM_RSRC2:TIDIG_COMP_CNT: 0
; COMPUTE_PGM_RSRC3_GFX90A:ACCUM_OFFSET: 0
; COMPUTE_PGM_RSRC3_GFX90A:TG_SPLIT: 0
	.section	.text._ZN7rocprim17ROCPRIM_400000_NS6detail17trampoline_kernelINS0_14default_configENS1_29reduce_by_key_config_selectorIjsN6thrust23THRUST_200600_302600_NS4plusIsEEEEZZNS1_33reduce_by_key_impl_wrapped_configILNS1_25lookback_scan_determinismE0ES3_S9_NS6_6detail15normal_iteratorINS6_10device_ptrIjEEEENSD_INSE_IsEEEENS6_16discard_iteratorINS6_11use_defaultEEESI_PmS8_NS6_8equal_toIjEEEE10hipError_tPvRmT2_T3_mT4_T5_T6_T7_T8_P12ihipStream_tbENKUlT_T0_E_clISt17integral_constantIbLb1EES15_IbLb0EEEEDaS11_S12_EUlS11_E_NS1_11comp_targetILNS1_3genE8ELNS1_11target_archE1030ELNS1_3gpuE2ELNS1_3repE0EEENS1_30default_config_static_selectorELNS0_4arch9wavefront6targetE1EEEvT1_,"axG",@progbits,_ZN7rocprim17ROCPRIM_400000_NS6detail17trampoline_kernelINS0_14default_configENS1_29reduce_by_key_config_selectorIjsN6thrust23THRUST_200600_302600_NS4plusIsEEEEZZNS1_33reduce_by_key_impl_wrapped_configILNS1_25lookback_scan_determinismE0ES3_S9_NS6_6detail15normal_iteratorINS6_10device_ptrIjEEEENSD_INSE_IsEEEENS6_16discard_iteratorINS6_11use_defaultEEESI_PmS8_NS6_8equal_toIjEEEE10hipError_tPvRmT2_T3_mT4_T5_T6_T7_T8_P12ihipStream_tbENKUlT_T0_E_clISt17integral_constantIbLb1EES15_IbLb0EEEEDaS11_S12_EUlS11_E_NS1_11comp_targetILNS1_3genE8ELNS1_11target_archE1030ELNS1_3gpuE2ELNS1_3repE0EEENS1_30default_config_static_selectorELNS0_4arch9wavefront6targetE1EEEvT1_,comdat
	.protected	_ZN7rocprim17ROCPRIM_400000_NS6detail17trampoline_kernelINS0_14default_configENS1_29reduce_by_key_config_selectorIjsN6thrust23THRUST_200600_302600_NS4plusIsEEEEZZNS1_33reduce_by_key_impl_wrapped_configILNS1_25lookback_scan_determinismE0ES3_S9_NS6_6detail15normal_iteratorINS6_10device_ptrIjEEEENSD_INSE_IsEEEENS6_16discard_iteratorINS6_11use_defaultEEESI_PmS8_NS6_8equal_toIjEEEE10hipError_tPvRmT2_T3_mT4_T5_T6_T7_T8_P12ihipStream_tbENKUlT_T0_E_clISt17integral_constantIbLb1EES15_IbLb0EEEEDaS11_S12_EUlS11_E_NS1_11comp_targetILNS1_3genE8ELNS1_11target_archE1030ELNS1_3gpuE2ELNS1_3repE0EEENS1_30default_config_static_selectorELNS0_4arch9wavefront6targetE1EEEvT1_ ; -- Begin function _ZN7rocprim17ROCPRIM_400000_NS6detail17trampoline_kernelINS0_14default_configENS1_29reduce_by_key_config_selectorIjsN6thrust23THRUST_200600_302600_NS4plusIsEEEEZZNS1_33reduce_by_key_impl_wrapped_configILNS1_25lookback_scan_determinismE0ES3_S9_NS6_6detail15normal_iteratorINS6_10device_ptrIjEEEENSD_INSE_IsEEEENS6_16discard_iteratorINS6_11use_defaultEEESI_PmS8_NS6_8equal_toIjEEEE10hipError_tPvRmT2_T3_mT4_T5_T6_T7_T8_P12ihipStream_tbENKUlT_T0_E_clISt17integral_constantIbLb1EES15_IbLb0EEEEDaS11_S12_EUlS11_E_NS1_11comp_targetILNS1_3genE8ELNS1_11target_archE1030ELNS1_3gpuE2ELNS1_3repE0EEENS1_30default_config_static_selectorELNS0_4arch9wavefront6targetE1EEEvT1_
	.globl	_ZN7rocprim17ROCPRIM_400000_NS6detail17trampoline_kernelINS0_14default_configENS1_29reduce_by_key_config_selectorIjsN6thrust23THRUST_200600_302600_NS4plusIsEEEEZZNS1_33reduce_by_key_impl_wrapped_configILNS1_25lookback_scan_determinismE0ES3_S9_NS6_6detail15normal_iteratorINS6_10device_ptrIjEEEENSD_INSE_IsEEEENS6_16discard_iteratorINS6_11use_defaultEEESI_PmS8_NS6_8equal_toIjEEEE10hipError_tPvRmT2_T3_mT4_T5_T6_T7_T8_P12ihipStream_tbENKUlT_T0_E_clISt17integral_constantIbLb1EES15_IbLb0EEEEDaS11_S12_EUlS11_E_NS1_11comp_targetILNS1_3genE8ELNS1_11target_archE1030ELNS1_3gpuE2ELNS1_3repE0EEENS1_30default_config_static_selectorELNS0_4arch9wavefront6targetE1EEEvT1_
	.p2align	8
	.type	_ZN7rocprim17ROCPRIM_400000_NS6detail17trampoline_kernelINS0_14default_configENS1_29reduce_by_key_config_selectorIjsN6thrust23THRUST_200600_302600_NS4plusIsEEEEZZNS1_33reduce_by_key_impl_wrapped_configILNS1_25lookback_scan_determinismE0ES3_S9_NS6_6detail15normal_iteratorINS6_10device_ptrIjEEEENSD_INSE_IsEEEENS6_16discard_iteratorINS6_11use_defaultEEESI_PmS8_NS6_8equal_toIjEEEE10hipError_tPvRmT2_T3_mT4_T5_T6_T7_T8_P12ihipStream_tbENKUlT_T0_E_clISt17integral_constantIbLb1EES15_IbLb0EEEEDaS11_S12_EUlS11_E_NS1_11comp_targetILNS1_3genE8ELNS1_11target_archE1030ELNS1_3gpuE2ELNS1_3repE0EEENS1_30default_config_static_selectorELNS0_4arch9wavefront6targetE1EEEvT1_,@function
_ZN7rocprim17ROCPRIM_400000_NS6detail17trampoline_kernelINS0_14default_configENS1_29reduce_by_key_config_selectorIjsN6thrust23THRUST_200600_302600_NS4plusIsEEEEZZNS1_33reduce_by_key_impl_wrapped_configILNS1_25lookback_scan_determinismE0ES3_S9_NS6_6detail15normal_iteratorINS6_10device_ptrIjEEEENSD_INSE_IsEEEENS6_16discard_iteratorINS6_11use_defaultEEESI_PmS8_NS6_8equal_toIjEEEE10hipError_tPvRmT2_T3_mT4_T5_T6_T7_T8_P12ihipStream_tbENKUlT_T0_E_clISt17integral_constantIbLb1EES15_IbLb0EEEEDaS11_S12_EUlS11_E_NS1_11comp_targetILNS1_3genE8ELNS1_11target_archE1030ELNS1_3gpuE2ELNS1_3repE0EEENS1_30default_config_static_selectorELNS0_4arch9wavefront6targetE1EEEvT1_: ; @_ZN7rocprim17ROCPRIM_400000_NS6detail17trampoline_kernelINS0_14default_configENS1_29reduce_by_key_config_selectorIjsN6thrust23THRUST_200600_302600_NS4plusIsEEEEZZNS1_33reduce_by_key_impl_wrapped_configILNS1_25lookback_scan_determinismE0ES3_S9_NS6_6detail15normal_iteratorINS6_10device_ptrIjEEEENSD_INSE_IsEEEENS6_16discard_iteratorINS6_11use_defaultEEESI_PmS8_NS6_8equal_toIjEEEE10hipError_tPvRmT2_T3_mT4_T5_T6_T7_T8_P12ihipStream_tbENKUlT_T0_E_clISt17integral_constantIbLb1EES15_IbLb0EEEEDaS11_S12_EUlS11_E_NS1_11comp_targetILNS1_3genE8ELNS1_11target_archE1030ELNS1_3gpuE2ELNS1_3repE0EEENS1_30default_config_static_selectorELNS0_4arch9wavefront6targetE1EEEvT1_
; %bb.0:
	.section	.rodata,"a",@progbits
	.p2align	6, 0x0
	.amdhsa_kernel _ZN7rocprim17ROCPRIM_400000_NS6detail17trampoline_kernelINS0_14default_configENS1_29reduce_by_key_config_selectorIjsN6thrust23THRUST_200600_302600_NS4plusIsEEEEZZNS1_33reduce_by_key_impl_wrapped_configILNS1_25lookback_scan_determinismE0ES3_S9_NS6_6detail15normal_iteratorINS6_10device_ptrIjEEEENSD_INSE_IsEEEENS6_16discard_iteratorINS6_11use_defaultEEESI_PmS8_NS6_8equal_toIjEEEE10hipError_tPvRmT2_T3_mT4_T5_T6_T7_T8_P12ihipStream_tbENKUlT_T0_E_clISt17integral_constantIbLb1EES15_IbLb0EEEEDaS11_S12_EUlS11_E_NS1_11comp_targetILNS1_3genE8ELNS1_11target_archE1030ELNS1_3gpuE2ELNS1_3repE0EEENS1_30default_config_static_selectorELNS0_4arch9wavefront6targetE1EEEvT1_
		.amdhsa_group_segment_fixed_size 0
		.amdhsa_private_segment_fixed_size 0
		.amdhsa_kernarg_size 128
		.amdhsa_user_sgpr_count 6
		.amdhsa_user_sgpr_private_segment_buffer 1
		.amdhsa_user_sgpr_dispatch_ptr 0
		.amdhsa_user_sgpr_queue_ptr 0
		.amdhsa_user_sgpr_kernarg_segment_ptr 1
		.amdhsa_user_sgpr_dispatch_id 0
		.amdhsa_user_sgpr_flat_scratch_init 0
		.amdhsa_user_sgpr_kernarg_preload_length 0
		.amdhsa_user_sgpr_kernarg_preload_offset 0
		.amdhsa_user_sgpr_private_segment_size 0
		.amdhsa_uses_dynamic_stack 0
		.amdhsa_system_sgpr_private_segment_wavefront_offset 0
		.amdhsa_system_sgpr_workgroup_id_x 1
		.amdhsa_system_sgpr_workgroup_id_y 0
		.amdhsa_system_sgpr_workgroup_id_z 0
		.amdhsa_system_sgpr_workgroup_info 0
		.amdhsa_system_vgpr_workitem_id 0
		.amdhsa_next_free_vgpr 1
		.amdhsa_next_free_sgpr 0
		.amdhsa_accum_offset 4
		.amdhsa_reserve_vcc 0
		.amdhsa_reserve_flat_scratch 0
		.amdhsa_float_round_mode_32 0
		.amdhsa_float_round_mode_16_64 0
		.amdhsa_float_denorm_mode_32 3
		.amdhsa_float_denorm_mode_16_64 3
		.amdhsa_dx10_clamp 1
		.amdhsa_ieee_mode 1
		.amdhsa_fp16_overflow 0
		.amdhsa_tg_split 0
		.amdhsa_exception_fp_ieee_invalid_op 0
		.amdhsa_exception_fp_denorm_src 0
		.amdhsa_exception_fp_ieee_div_zero 0
		.amdhsa_exception_fp_ieee_overflow 0
		.amdhsa_exception_fp_ieee_underflow 0
		.amdhsa_exception_fp_ieee_inexact 0
		.amdhsa_exception_int_div_zero 0
	.end_amdhsa_kernel
	.section	.text._ZN7rocprim17ROCPRIM_400000_NS6detail17trampoline_kernelINS0_14default_configENS1_29reduce_by_key_config_selectorIjsN6thrust23THRUST_200600_302600_NS4plusIsEEEEZZNS1_33reduce_by_key_impl_wrapped_configILNS1_25lookback_scan_determinismE0ES3_S9_NS6_6detail15normal_iteratorINS6_10device_ptrIjEEEENSD_INSE_IsEEEENS6_16discard_iteratorINS6_11use_defaultEEESI_PmS8_NS6_8equal_toIjEEEE10hipError_tPvRmT2_T3_mT4_T5_T6_T7_T8_P12ihipStream_tbENKUlT_T0_E_clISt17integral_constantIbLb1EES15_IbLb0EEEEDaS11_S12_EUlS11_E_NS1_11comp_targetILNS1_3genE8ELNS1_11target_archE1030ELNS1_3gpuE2ELNS1_3repE0EEENS1_30default_config_static_selectorELNS0_4arch9wavefront6targetE1EEEvT1_,"axG",@progbits,_ZN7rocprim17ROCPRIM_400000_NS6detail17trampoline_kernelINS0_14default_configENS1_29reduce_by_key_config_selectorIjsN6thrust23THRUST_200600_302600_NS4plusIsEEEEZZNS1_33reduce_by_key_impl_wrapped_configILNS1_25lookback_scan_determinismE0ES3_S9_NS6_6detail15normal_iteratorINS6_10device_ptrIjEEEENSD_INSE_IsEEEENS6_16discard_iteratorINS6_11use_defaultEEESI_PmS8_NS6_8equal_toIjEEEE10hipError_tPvRmT2_T3_mT4_T5_T6_T7_T8_P12ihipStream_tbENKUlT_T0_E_clISt17integral_constantIbLb1EES15_IbLb0EEEEDaS11_S12_EUlS11_E_NS1_11comp_targetILNS1_3genE8ELNS1_11target_archE1030ELNS1_3gpuE2ELNS1_3repE0EEENS1_30default_config_static_selectorELNS0_4arch9wavefront6targetE1EEEvT1_,comdat
.Lfunc_end1083:
	.size	_ZN7rocprim17ROCPRIM_400000_NS6detail17trampoline_kernelINS0_14default_configENS1_29reduce_by_key_config_selectorIjsN6thrust23THRUST_200600_302600_NS4plusIsEEEEZZNS1_33reduce_by_key_impl_wrapped_configILNS1_25lookback_scan_determinismE0ES3_S9_NS6_6detail15normal_iteratorINS6_10device_ptrIjEEEENSD_INSE_IsEEEENS6_16discard_iteratorINS6_11use_defaultEEESI_PmS8_NS6_8equal_toIjEEEE10hipError_tPvRmT2_T3_mT4_T5_T6_T7_T8_P12ihipStream_tbENKUlT_T0_E_clISt17integral_constantIbLb1EES15_IbLb0EEEEDaS11_S12_EUlS11_E_NS1_11comp_targetILNS1_3genE8ELNS1_11target_archE1030ELNS1_3gpuE2ELNS1_3repE0EEENS1_30default_config_static_selectorELNS0_4arch9wavefront6targetE1EEEvT1_, .Lfunc_end1083-_ZN7rocprim17ROCPRIM_400000_NS6detail17trampoline_kernelINS0_14default_configENS1_29reduce_by_key_config_selectorIjsN6thrust23THRUST_200600_302600_NS4plusIsEEEEZZNS1_33reduce_by_key_impl_wrapped_configILNS1_25lookback_scan_determinismE0ES3_S9_NS6_6detail15normal_iteratorINS6_10device_ptrIjEEEENSD_INSE_IsEEEENS6_16discard_iteratorINS6_11use_defaultEEESI_PmS8_NS6_8equal_toIjEEEE10hipError_tPvRmT2_T3_mT4_T5_T6_T7_T8_P12ihipStream_tbENKUlT_T0_E_clISt17integral_constantIbLb1EES15_IbLb0EEEEDaS11_S12_EUlS11_E_NS1_11comp_targetILNS1_3genE8ELNS1_11target_archE1030ELNS1_3gpuE2ELNS1_3repE0EEENS1_30default_config_static_selectorELNS0_4arch9wavefront6targetE1EEEvT1_
                                        ; -- End function
	.section	.AMDGPU.csdata,"",@progbits
; Kernel info:
; codeLenInByte = 0
; NumSgprs: 4
; NumVgprs: 0
; NumAgprs: 0
; TotalNumVgprs: 0
; ScratchSize: 0
; MemoryBound: 0
; FloatMode: 240
; IeeeMode: 1
; LDSByteSize: 0 bytes/workgroup (compile time only)
; SGPRBlocks: 0
; VGPRBlocks: 0
; NumSGPRsForWavesPerEU: 4
; NumVGPRsForWavesPerEU: 1
; AccumOffset: 4
; Occupancy: 8
; WaveLimiterHint : 0
; COMPUTE_PGM_RSRC2:SCRATCH_EN: 0
; COMPUTE_PGM_RSRC2:USER_SGPR: 6
; COMPUTE_PGM_RSRC2:TRAP_HANDLER: 0
; COMPUTE_PGM_RSRC2:TGID_X_EN: 1
; COMPUTE_PGM_RSRC2:TGID_Y_EN: 0
; COMPUTE_PGM_RSRC2:TGID_Z_EN: 0
; COMPUTE_PGM_RSRC2:TIDIG_COMP_CNT: 0
; COMPUTE_PGM_RSRC3_GFX90A:ACCUM_OFFSET: 0
; COMPUTE_PGM_RSRC3_GFX90A:TG_SPLIT: 0
	.section	.text._ZN7rocprim17ROCPRIM_400000_NS6detail17trampoline_kernelINS0_14default_configENS1_29reduce_by_key_config_selectorIjsN6thrust23THRUST_200600_302600_NS4plusIsEEEEZZNS1_33reduce_by_key_impl_wrapped_configILNS1_25lookback_scan_determinismE0ES3_S9_NS6_6detail15normal_iteratorINS6_10device_ptrIjEEEENSD_INSE_IsEEEENS6_16discard_iteratorINS6_11use_defaultEEESI_PmS8_NS6_8equal_toIjEEEE10hipError_tPvRmT2_T3_mT4_T5_T6_T7_T8_P12ihipStream_tbENKUlT_T0_E_clISt17integral_constantIbLb0EES15_IbLb1EEEEDaS11_S12_EUlS11_E_NS1_11comp_targetILNS1_3genE0ELNS1_11target_archE4294967295ELNS1_3gpuE0ELNS1_3repE0EEENS1_30default_config_static_selectorELNS0_4arch9wavefront6targetE1EEEvT1_,"axG",@progbits,_ZN7rocprim17ROCPRIM_400000_NS6detail17trampoline_kernelINS0_14default_configENS1_29reduce_by_key_config_selectorIjsN6thrust23THRUST_200600_302600_NS4plusIsEEEEZZNS1_33reduce_by_key_impl_wrapped_configILNS1_25lookback_scan_determinismE0ES3_S9_NS6_6detail15normal_iteratorINS6_10device_ptrIjEEEENSD_INSE_IsEEEENS6_16discard_iteratorINS6_11use_defaultEEESI_PmS8_NS6_8equal_toIjEEEE10hipError_tPvRmT2_T3_mT4_T5_T6_T7_T8_P12ihipStream_tbENKUlT_T0_E_clISt17integral_constantIbLb0EES15_IbLb1EEEEDaS11_S12_EUlS11_E_NS1_11comp_targetILNS1_3genE0ELNS1_11target_archE4294967295ELNS1_3gpuE0ELNS1_3repE0EEENS1_30default_config_static_selectorELNS0_4arch9wavefront6targetE1EEEvT1_,comdat
	.protected	_ZN7rocprim17ROCPRIM_400000_NS6detail17trampoline_kernelINS0_14default_configENS1_29reduce_by_key_config_selectorIjsN6thrust23THRUST_200600_302600_NS4plusIsEEEEZZNS1_33reduce_by_key_impl_wrapped_configILNS1_25lookback_scan_determinismE0ES3_S9_NS6_6detail15normal_iteratorINS6_10device_ptrIjEEEENSD_INSE_IsEEEENS6_16discard_iteratorINS6_11use_defaultEEESI_PmS8_NS6_8equal_toIjEEEE10hipError_tPvRmT2_T3_mT4_T5_T6_T7_T8_P12ihipStream_tbENKUlT_T0_E_clISt17integral_constantIbLb0EES15_IbLb1EEEEDaS11_S12_EUlS11_E_NS1_11comp_targetILNS1_3genE0ELNS1_11target_archE4294967295ELNS1_3gpuE0ELNS1_3repE0EEENS1_30default_config_static_selectorELNS0_4arch9wavefront6targetE1EEEvT1_ ; -- Begin function _ZN7rocprim17ROCPRIM_400000_NS6detail17trampoline_kernelINS0_14default_configENS1_29reduce_by_key_config_selectorIjsN6thrust23THRUST_200600_302600_NS4plusIsEEEEZZNS1_33reduce_by_key_impl_wrapped_configILNS1_25lookback_scan_determinismE0ES3_S9_NS6_6detail15normal_iteratorINS6_10device_ptrIjEEEENSD_INSE_IsEEEENS6_16discard_iteratorINS6_11use_defaultEEESI_PmS8_NS6_8equal_toIjEEEE10hipError_tPvRmT2_T3_mT4_T5_T6_T7_T8_P12ihipStream_tbENKUlT_T0_E_clISt17integral_constantIbLb0EES15_IbLb1EEEEDaS11_S12_EUlS11_E_NS1_11comp_targetILNS1_3genE0ELNS1_11target_archE4294967295ELNS1_3gpuE0ELNS1_3repE0EEENS1_30default_config_static_selectorELNS0_4arch9wavefront6targetE1EEEvT1_
	.globl	_ZN7rocprim17ROCPRIM_400000_NS6detail17trampoline_kernelINS0_14default_configENS1_29reduce_by_key_config_selectorIjsN6thrust23THRUST_200600_302600_NS4plusIsEEEEZZNS1_33reduce_by_key_impl_wrapped_configILNS1_25lookback_scan_determinismE0ES3_S9_NS6_6detail15normal_iteratorINS6_10device_ptrIjEEEENSD_INSE_IsEEEENS6_16discard_iteratorINS6_11use_defaultEEESI_PmS8_NS6_8equal_toIjEEEE10hipError_tPvRmT2_T3_mT4_T5_T6_T7_T8_P12ihipStream_tbENKUlT_T0_E_clISt17integral_constantIbLb0EES15_IbLb1EEEEDaS11_S12_EUlS11_E_NS1_11comp_targetILNS1_3genE0ELNS1_11target_archE4294967295ELNS1_3gpuE0ELNS1_3repE0EEENS1_30default_config_static_selectorELNS0_4arch9wavefront6targetE1EEEvT1_
	.p2align	8
	.type	_ZN7rocprim17ROCPRIM_400000_NS6detail17trampoline_kernelINS0_14default_configENS1_29reduce_by_key_config_selectorIjsN6thrust23THRUST_200600_302600_NS4plusIsEEEEZZNS1_33reduce_by_key_impl_wrapped_configILNS1_25lookback_scan_determinismE0ES3_S9_NS6_6detail15normal_iteratorINS6_10device_ptrIjEEEENSD_INSE_IsEEEENS6_16discard_iteratorINS6_11use_defaultEEESI_PmS8_NS6_8equal_toIjEEEE10hipError_tPvRmT2_T3_mT4_T5_T6_T7_T8_P12ihipStream_tbENKUlT_T0_E_clISt17integral_constantIbLb0EES15_IbLb1EEEEDaS11_S12_EUlS11_E_NS1_11comp_targetILNS1_3genE0ELNS1_11target_archE4294967295ELNS1_3gpuE0ELNS1_3repE0EEENS1_30default_config_static_selectorELNS0_4arch9wavefront6targetE1EEEvT1_,@function
_ZN7rocprim17ROCPRIM_400000_NS6detail17trampoline_kernelINS0_14default_configENS1_29reduce_by_key_config_selectorIjsN6thrust23THRUST_200600_302600_NS4plusIsEEEEZZNS1_33reduce_by_key_impl_wrapped_configILNS1_25lookback_scan_determinismE0ES3_S9_NS6_6detail15normal_iteratorINS6_10device_ptrIjEEEENSD_INSE_IsEEEENS6_16discard_iteratorINS6_11use_defaultEEESI_PmS8_NS6_8equal_toIjEEEE10hipError_tPvRmT2_T3_mT4_T5_T6_T7_T8_P12ihipStream_tbENKUlT_T0_E_clISt17integral_constantIbLb0EES15_IbLb1EEEEDaS11_S12_EUlS11_E_NS1_11comp_targetILNS1_3genE0ELNS1_11target_archE4294967295ELNS1_3gpuE0ELNS1_3repE0EEENS1_30default_config_static_selectorELNS0_4arch9wavefront6targetE1EEEvT1_: ; @_ZN7rocprim17ROCPRIM_400000_NS6detail17trampoline_kernelINS0_14default_configENS1_29reduce_by_key_config_selectorIjsN6thrust23THRUST_200600_302600_NS4plusIsEEEEZZNS1_33reduce_by_key_impl_wrapped_configILNS1_25lookback_scan_determinismE0ES3_S9_NS6_6detail15normal_iteratorINS6_10device_ptrIjEEEENSD_INSE_IsEEEENS6_16discard_iteratorINS6_11use_defaultEEESI_PmS8_NS6_8equal_toIjEEEE10hipError_tPvRmT2_T3_mT4_T5_T6_T7_T8_P12ihipStream_tbENKUlT_T0_E_clISt17integral_constantIbLb0EES15_IbLb1EEEEDaS11_S12_EUlS11_E_NS1_11comp_targetILNS1_3genE0ELNS1_11target_archE4294967295ELNS1_3gpuE0ELNS1_3repE0EEENS1_30default_config_static_selectorELNS0_4arch9wavefront6targetE1EEEvT1_
; %bb.0:
	.section	.rodata,"a",@progbits
	.p2align	6, 0x0
	.amdhsa_kernel _ZN7rocprim17ROCPRIM_400000_NS6detail17trampoline_kernelINS0_14default_configENS1_29reduce_by_key_config_selectorIjsN6thrust23THRUST_200600_302600_NS4plusIsEEEEZZNS1_33reduce_by_key_impl_wrapped_configILNS1_25lookback_scan_determinismE0ES3_S9_NS6_6detail15normal_iteratorINS6_10device_ptrIjEEEENSD_INSE_IsEEEENS6_16discard_iteratorINS6_11use_defaultEEESI_PmS8_NS6_8equal_toIjEEEE10hipError_tPvRmT2_T3_mT4_T5_T6_T7_T8_P12ihipStream_tbENKUlT_T0_E_clISt17integral_constantIbLb0EES15_IbLb1EEEEDaS11_S12_EUlS11_E_NS1_11comp_targetILNS1_3genE0ELNS1_11target_archE4294967295ELNS1_3gpuE0ELNS1_3repE0EEENS1_30default_config_static_selectorELNS0_4arch9wavefront6targetE1EEEvT1_
		.amdhsa_group_segment_fixed_size 0
		.amdhsa_private_segment_fixed_size 0
		.amdhsa_kernarg_size 128
		.amdhsa_user_sgpr_count 6
		.amdhsa_user_sgpr_private_segment_buffer 1
		.amdhsa_user_sgpr_dispatch_ptr 0
		.amdhsa_user_sgpr_queue_ptr 0
		.amdhsa_user_sgpr_kernarg_segment_ptr 1
		.amdhsa_user_sgpr_dispatch_id 0
		.amdhsa_user_sgpr_flat_scratch_init 0
		.amdhsa_user_sgpr_kernarg_preload_length 0
		.amdhsa_user_sgpr_kernarg_preload_offset 0
		.amdhsa_user_sgpr_private_segment_size 0
		.amdhsa_uses_dynamic_stack 0
		.amdhsa_system_sgpr_private_segment_wavefront_offset 0
		.amdhsa_system_sgpr_workgroup_id_x 1
		.amdhsa_system_sgpr_workgroup_id_y 0
		.amdhsa_system_sgpr_workgroup_id_z 0
		.amdhsa_system_sgpr_workgroup_info 0
		.amdhsa_system_vgpr_workitem_id 0
		.amdhsa_next_free_vgpr 1
		.amdhsa_next_free_sgpr 0
		.amdhsa_accum_offset 4
		.amdhsa_reserve_vcc 0
		.amdhsa_reserve_flat_scratch 0
		.amdhsa_float_round_mode_32 0
		.amdhsa_float_round_mode_16_64 0
		.amdhsa_float_denorm_mode_32 3
		.amdhsa_float_denorm_mode_16_64 3
		.amdhsa_dx10_clamp 1
		.amdhsa_ieee_mode 1
		.amdhsa_fp16_overflow 0
		.amdhsa_tg_split 0
		.amdhsa_exception_fp_ieee_invalid_op 0
		.amdhsa_exception_fp_denorm_src 0
		.amdhsa_exception_fp_ieee_div_zero 0
		.amdhsa_exception_fp_ieee_overflow 0
		.amdhsa_exception_fp_ieee_underflow 0
		.amdhsa_exception_fp_ieee_inexact 0
		.amdhsa_exception_int_div_zero 0
	.end_amdhsa_kernel
	.section	.text._ZN7rocprim17ROCPRIM_400000_NS6detail17trampoline_kernelINS0_14default_configENS1_29reduce_by_key_config_selectorIjsN6thrust23THRUST_200600_302600_NS4plusIsEEEEZZNS1_33reduce_by_key_impl_wrapped_configILNS1_25lookback_scan_determinismE0ES3_S9_NS6_6detail15normal_iteratorINS6_10device_ptrIjEEEENSD_INSE_IsEEEENS6_16discard_iteratorINS6_11use_defaultEEESI_PmS8_NS6_8equal_toIjEEEE10hipError_tPvRmT2_T3_mT4_T5_T6_T7_T8_P12ihipStream_tbENKUlT_T0_E_clISt17integral_constantIbLb0EES15_IbLb1EEEEDaS11_S12_EUlS11_E_NS1_11comp_targetILNS1_3genE0ELNS1_11target_archE4294967295ELNS1_3gpuE0ELNS1_3repE0EEENS1_30default_config_static_selectorELNS0_4arch9wavefront6targetE1EEEvT1_,"axG",@progbits,_ZN7rocprim17ROCPRIM_400000_NS6detail17trampoline_kernelINS0_14default_configENS1_29reduce_by_key_config_selectorIjsN6thrust23THRUST_200600_302600_NS4plusIsEEEEZZNS1_33reduce_by_key_impl_wrapped_configILNS1_25lookback_scan_determinismE0ES3_S9_NS6_6detail15normal_iteratorINS6_10device_ptrIjEEEENSD_INSE_IsEEEENS6_16discard_iteratorINS6_11use_defaultEEESI_PmS8_NS6_8equal_toIjEEEE10hipError_tPvRmT2_T3_mT4_T5_T6_T7_T8_P12ihipStream_tbENKUlT_T0_E_clISt17integral_constantIbLb0EES15_IbLb1EEEEDaS11_S12_EUlS11_E_NS1_11comp_targetILNS1_3genE0ELNS1_11target_archE4294967295ELNS1_3gpuE0ELNS1_3repE0EEENS1_30default_config_static_selectorELNS0_4arch9wavefront6targetE1EEEvT1_,comdat
.Lfunc_end1084:
	.size	_ZN7rocprim17ROCPRIM_400000_NS6detail17trampoline_kernelINS0_14default_configENS1_29reduce_by_key_config_selectorIjsN6thrust23THRUST_200600_302600_NS4plusIsEEEEZZNS1_33reduce_by_key_impl_wrapped_configILNS1_25lookback_scan_determinismE0ES3_S9_NS6_6detail15normal_iteratorINS6_10device_ptrIjEEEENSD_INSE_IsEEEENS6_16discard_iteratorINS6_11use_defaultEEESI_PmS8_NS6_8equal_toIjEEEE10hipError_tPvRmT2_T3_mT4_T5_T6_T7_T8_P12ihipStream_tbENKUlT_T0_E_clISt17integral_constantIbLb0EES15_IbLb1EEEEDaS11_S12_EUlS11_E_NS1_11comp_targetILNS1_3genE0ELNS1_11target_archE4294967295ELNS1_3gpuE0ELNS1_3repE0EEENS1_30default_config_static_selectorELNS0_4arch9wavefront6targetE1EEEvT1_, .Lfunc_end1084-_ZN7rocprim17ROCPRIM_400000_NS6detail17trampoline_kernelINS0_14default_configENS1_29reduce_by_key_config_selectorIjsN6thrust23THRUST_200600_302600_NS4plusIsEEEEZZNS1_33reduce_by_key_impl_wrapped_configILNS1_25lookback_scan_determinismE0ES3_S9_NS6_6detail15normal_iteratorINS6_10device_ptrIjEEEENSD_INSE_IsEEEENS6_16discard_iteratorINS6_11use_defaultEEESI_PmS8_NS6_8equal_toIjEEEE10hipError_tPvRmT2_T3_mT4_T5_T6_T7_T8_P12ihipStream_tbENKUlT_T0_E_clISt17integral_constantIbLb0EES15_IbLb1EEEEDaS11_S12_EUlS11_E_NS1_11comp_targetILNS1_3genE0ELNS1_11target_archE4294967295ELNS1_3gpuE0ELNS1_3repE0EEENS1_30default_config_static_selectorELNS0_4arch9wavefront6targetE1EEEvT1_
                                        ; -- End function
	.section	.AMDGPU.csdata,"",@progbits
; Kernel info:
; codeLenInByte = 0
; NumSgprs: 4
; NumVgprs: 0
; NumAgprs: 0
; TotalNumVgprs: 0
; ScratchSize: 0
; MemoryBound: 0
; FloatMode: 240
; IeeeMode: 1
; LDSByteSize: 0 bytes/workgroup (compile time only)
; SGPRBlocks: 0
; VGPRBlocks: 0
; NumSGPRsForWavesPerEU: 4
; NumVGPRsForWavesPerEU: 1
; AccumOffset: 4
; Occupancy: 8
; WaveLimiterHint : 0
; COMPUTE_PGM_RSRC2:SCRATCH_EN: 0
; COMPUTE_PGM_RSRC2:USER_SGPR: 6
; COMPUTE_PGM_RSRC2:TRAP_HANDLER: 0
; COMPUTE_PGM_RSRC2:TGID_X_EN: 1
; COMPUTE_PGM_RSRC2:TGID_Y_EN: 0
; COMPUTE_PGM_RSRC2:TGID_Z_EN: 0
; COMPUTE_PGM_RSRC2:TIDIG_COMP_CNT: 0
; COMPUTE_PGM_RSRC3_GFX90A:ACCUM_OFFSET: 0
; COMPUTE_PGM_RSRC3_GFX90A:TG_SPLIT: 0
	.section	.text._ZN7rocprim17ROCPRIM_400000_NS6detail17trampoline_kernelINS0_14default_configENS1_29reduce_by_key_config_selectorIjsN6thrust23THRUST_200600_302600_NS4plusIsEEEEZZNS1_33reduce_by_key_impl_wrapped_configILNS1_25lookback_scan_determinismE0ES3_S9_NS6_6detail15normal_iteratorINS6_10device_ptrIjEEEENSD_INSE_IsEEEENS6_16discard_iteratorINS6_11use_defaultEEESI_PmS8_NS6_8equal_toIjEEEE10hipError_tPvRmT2_T3_mT4_T5_T6_T7_T8_P12ihipStream_tbENKUlT_T0_E_clISt17integral_constantIbLb0EES15_IbLb1EEEEDaS11_S12_EUlS11_E_NS1_11comp_targetILNS1_3genE5ELNS1_11target_archE942ELNS1_3gpuE9ELNS1_3repE0EEENS1_30default_config_static_selectorELNS0_4arch9wavefront6targetE1EEEvT1_,"axG",@progbits,_ZN7rocprim17ROCPRIM_400000_NS6detail17trampoline_kernelINS0_14default_configENS1_29reduce_by_key_config_selectorIjsN6thrust23THRUST_200600_302600_NS4plusIsEEEEZZNS1_33reduce_by_key_impl_wrapped_configILNS1_25lookback_scan_determinismE0ES3_S9_NS6_6detail15normal_iteratorINS6_10device_ptrIjEEEENSD_INSE_IsEEEENS6_16discard_iteratorINS6_11use_defaultEEESI_PmS8_NS6_8equal_toIjEEEE10hipError_tPvRmT2_T3_mT4_T5_T6_T7_T8_P12ihipStream_tbENKUlT_T0_E_clISt17integral_constantIbLb0EES15_IbLb1EEEEDaS11_S12_EUlS11_E_NS1_11comp_targetILNS1_3genE5ELNS1_11target_archE942ELNS1_3gpuE9ELNS1_3repE0EEENS1_30default_config_static_selectorELNS0_4arch9wavefront6targetE1EEEvT1_,comdat
	.protected	_ZN7rocprim17ROCPRIM_400000_NS6detail17trampoline_kernelINS0_14default_configENS1_29reduce_by_key_config_selectorIjsN6thrust23THRUST_200600_302600_NS4plusIsEEEEZZNS1_33reduce_by_key_impl_wrapped_configILNS1_25lookback_scan_determinismE0ES3_S9_NS6_6detail15normal_iteratorINS6_10device_ptrIjEEEENSD_INSE_IsEEEENS6_16discard_iteratorINS6_11use_defaultEEESI_PmS8_NS6_8equal_toIjEEEE10hipError_tPvRmT2_T3_mT4_T5_T6_T7_T8_P12ihipStream_tbENKUlT_T0_E_clISt17integral_constantIbLb0EES15_IbLb1EEEEDaS11_S12_EUlS11_E_NS1_11comp_targetILNS1_3genE5ELNS1_11target_archE942ELNS1_3gpuE9ELNS1_3repE0EEENS1_30default_config_static_selectorELNS0_4arch9wavefront6targetE1EEEvT1_ ; -- Begin function _ZN7rocprim17ROCPRIM_400000_NS6detail17trampoline_kernelINS0_14default_configENS1_29reduce_by_key_config_selectorIjsN6thrust23THRUST_200600_302600_NS4plusIsEEEEZZNS1_33reduce_by_key_impl_wrapped_configILNS1_25lookback_scan_determinismE0ES3_S9_NS6_6detail15normal_iteratorINS6_10device_ptrIjEEEENSD_INSE_IsEEEENS6_16discard_iteratorINS6_11use_defaultEEESI_PmS8_NS6_8equal_toIjEEEE10hipError_tPvRmT2_T3_mT4_T5_T6_T7_T8_P12ihipStream_tbENKUlT_T0_E_clISt17integral_constantIbLb0EES15_IbLb1EEEEDaS11_S12_EUlS11_E_NS1_11comp_targetILNS1_3genE5ELNS1_11target_archE942ELNS1_3gpuE9ELNS1_3repE0EEENS1_30default_config_static_selectorELNS0_4arch9wavefront6targetE1EEEvT1_
	.globl	_ZN7rocprim17ROCPRIM_400000_NS6detail17trampoline_kernelINS0_14default_configENS1_29reduce_by_key_config_selectorIjsN6thrust23THRUST_200600_302600_NS4plusIsEEEEZZNS1_33reduce_by_key_impl_wrapped_configILNS1_25lookback_scan_determinismE0ES3_S9_NS6_6detail15normal_iteratorINS6_10device_ptrIjEEEENSD_INSE_IsEEEENS6_16discard_iteratorINS6_11use_defaultEEESI_PmS8_NS6_8equal_toIjEEEE10hipError_tPvRmT2_T3_mT4_T5_T6_T7_T8_P12ihipStream_tbENKUlT_T0_E_clISt17integral_constantIbLb0EES15_IbLb1EEEEDaS11_S12_EUlS11_E_NS1_11comp_targetILNS1_3genE5ELNS1_11target_archE942ELNS1_3gpuE9ELNS1_3repE0EEENS1_30default_config_static_selectorELNS0_4arch9wavefront6targetE1EEEvT1_
	.p2align	8
	.type	_ZN7rocprim17ROCPRIM_400000_NS6detail17trampoline_kernelINS0_14default_configENS1_29reduce_by_key_config_selectorIjsN6thrust23THRUST_200600_302600_NS4plusIsEEEEZZNS1_33reduce_by_key_impl_wrapped_configILNS1_25lookback_scan_determinismE0ES3_S9_NS6_6detail15normal_iteratorINS6_10device_ptrIjEEEENSD_INSE_IsEEEENS6_16discard_iteratorINS6_11use_defaultEEESI_PmS8_NS6_8equal_toIjEEEE10hipError_tPvRmT2_T3_mT4_T5_T6_T7_T8_P12ihipStream_tbENKUlT_T0_E_clISt17integral_constantIbLb0EES15_IbLb1EEEEDaS11_S12_EUlS11_E_NS1_11comp_targetILNS1_3genE5ELNS1_11target_archE942ELNS1_3gpuE9ELNS1_3repE0EEENS1_30default_config_static_selectorELNS0_4arch9wavefront6targetE1EEEvT1_,@function
_ZN7rocprim17ROCPRIM_400000_NS6detail17trampoline_kernelINS0_14default_configENS1_29reduce_by_key_config_selectorIjsN6thrust23THRUST_200600_302600_NS4plusIsEEEEZZNS1_33reduce_by_key_impl_wrapped_configILNS1_25lookback_scan_determinismE0ES3_S9_NS6_6detail15normal_iteratorINS6_10device_ptrIjEEEENSD_INSE_IsEEEENS6_16discard_iteratorINS6_11use_defaultEEESI_PmS8_NS6_8equal_toIjEEEE10hipError_tPvRmT2_T3_mT4_T5_T6_T7_T8_P12ihipStream_tbENKUlT_T0_E_clISt17integral_constantIbLb0EES15_IbLb1EEEEDaS11_S12_EUlS11_E_NS1_11comp_targetILNS1_3genE5ELNS1_11target_archE942ELNS1_3gpuE9ELNS1_3repE0EEENS1_30default_config_static_selectorELNS0_4arch9wavefront6targetE1EEEvT1_: ; @_ZN7rocprim17ROCPRIM_400000_NS6detail17trampoline_kernelINS0_14default_configENS1_29reduce_by_key_config_selectorIjsN6thrust23THRUST_200600_302600_NS4plusIsEEEEZZNS1_33reduce_by_key_impl_wrapped_configILNS1_25lookback_scan_determinismE0ES3_S9_NS6_6detail15normal_iteratorINS6_10device_ptrIjEEEENSD_INSE_IsEEEENS6_16discard_iteratorINS6_11use_defaultEEESI_PmS8_NS6_8equal_toIjEEEE10hipError_tPvRmT2_T3_mT4_T5_T6_T7_T8_P12ihipStream_tbENKUlT_T0_E_clISt17integral_constantIbLb0EES15_IbLb1EEEEDaS11_S12_EUlS11_E_NS1_11comp_targetILNS1_3genE5ELNS1_11target_archE942ELNS1_3gpuE9ELNS1_3repE0EEENS1_30default_config_static_selectorELNS0_4arch9wavefront6targetE1EEEvT1_
; %bb.0:
	.section	.rodata,"a",@progbits
	.p2align	6, 0x0
	.amdhsa_kernel _ZN7rocprim17ROCPRIM_400000_NS6detail17trampoline_kernelINS0_14default_configENS1_29reduce_by_key_config_selectorIjsN6thrust23THRUST_200600_302600_NS4plusIsEEEEZZNS1_33reduce_by_key_impl_wrapped_configILNS1_25lookback_scan_determinismE0ES3_S9_NS6_6detail15normal_iteratorINS6_10device_ptrIjEEEENSD_INSE_IsEEEENS6_16discard_iteratorINS6_11use_defaultEEESI_PmS8_NS6_8equal_toIjEEEE10hipError_tPvRmT2_T3_mT4_T5_T6_T7_T8_P12ihipStream_tbENKUlT_T0_E_clISt17integral_constantIbLb0EES15_IbLb1EEEEDaS11_S12_EUlS11_E_NS1_11comp_targetILNS1_3genE5ELNS1_11target_archE942ELNS1_3gpuE9ELNS1_3repE0EEENS1_30default_config_static_selectorELNS0_4arch9wavefront6targetE1EEEvT1_
		.amdhsa_group_segment_fixed_size 0
		.amdhsa_private_segment_fixed_size 0
		.amdhsa_kernarg_size 128
		.amdhsa_user_sgpr_count 6
		.amdhsa_user_sgpr_private_segment_buffer 1
		.amdhsa_user_sgpr_dispatch_ptr 0
		.amdhsa_user_sgpr_queue_ptr 0
		.amdhsa_user_sgpr_kernarg_segment_ptr 1
		.amdhsa_user_sgpr_dispatch_id 0
		.amdhsa_user_sgpr_flat_scratch_init 0
		.amdhsa_user_sgpr_kernarg_preload_length 0
		.amdhsa_user_sgpr_kernarg_preload_offset 0
		.amdhsa_user_sgpr_private_segment_size 0
		.amdhsa_uses_dynamic_stack 0
		.amdhsa_system_sgpr_private_segment_wavefront_offset 0
		.amdhsa_system_sgpr_workgroup_id_x 1
		.amdhsa_system_sgpr_workgroup_id_y 0
		.amdhsa_system_sgpr_workgroup_id_z 0
		.amdhsa_system_sgpr_workgroup_info 0
		.amdhsa_system_vgpr_workitem_id 0
		.amdhsa_next_free_vgpr 1
		.amdhsa_next_free_sgpr 0
		.amdhsa_accum_offset 4
		.amdhsa_reserve_vcc 0
		.amdhsa_reserve_flat_scratch 0
		.amdhsa_float_round_mode_32 0
		.amdhsa_float_round_mode_16_64 0
		.amdhsa_float_denorm_mode_32 3
		.amdhsa_float_denorm_mode_16_64 3
		.amdhsa_dx10_clamp 1
		.amdhsa_ieee_mode 1
		.amdhsa_fp16_overflow 0
		.amdhsa_tg_split 0
		.amdhsa_exception_fp_ieee_invalid_op 0
		.amdhsa_exception_fp_denorm_src 0
		.amdhsa_exception_fp_ieee_div_zero 0
		.amdhsa_exception_fp_ieee_overflow 0
		.amdhsa_exception_fp_ieee_underflow 0
		.amdhsa_exception_fp_ieee_inexact 0
		.amdhsa_exception_int_div_zero 0
	.end_amdhsa_kernel
	.section	.text._ZN7rocprim17ROCPRIM_400000_NS6detail17trampoline_kernelINS0_14default_configENS1_29reduce_by_key_config_selectorIjsN6thrust23THRUST_200600_302600_NS4plusIsEEEEZZNS1_33reduce_by_key_impl_wrapped_configILNS1_25lookback_scan_determinismE0ES3_S9_NS6_6detail15normal_iteratorINS6_10device_ptrIjEEEENSD_INSE_IsEEEENS6_16discard_iteratorINS6_11use_defaultEEESI_PmS8_NS6_8equal_toIjEEEE10hipError_tPvRmT2_T3_mT4_T5_T6_T7_T8_P12ihipStream_tbENKUlT_T0_E_clISt17integral_constantIbLb0EES15_IbLb1EEEEDaS11_S12_EUlS11_E_NS1_11comp_targetILNS1_3genE5ELNS1_11target_archE942ELNS1_3gpuE9ELNS1_3repE0EEENS1_30default_config_static_selectorELNS0_4arch9wavefront6targetE1EEEvT1_,"axG",@progbits,_ZN7rocprim17ROCPRIM_400000_NS6detail17trampoline_kernelINS0_14default_configENS1_29reduce_by_key_config_selectorIjsN6thrust23THRUST_200600_302600_NS4plusIsEEEEZZNS1_33reduce_by_key_impl_wrapped_configILNS1_25lookback_scan_determinismE0ES3_S9_NS6_6detail15normal_iteratorINS6_10device_ptrIjEEEENSD_INSE_IsEEEENS6_16discard_iteratorINS6_11use_defaultEEESI_PmS8_NS6_8equal_toIjEEEE10hipError_tPvRmT2_T3_mT4_T5_T6_T7_T8_P12ihipStream_tbENKUlT_T0_E_clISt17integral_constantIbLb0EES15_IbLb1EEEEDaS11_S12_EUlS11_E_NS1_11comp_targetILNS1_3genE5ELNS1_11target_archE942ELNS1_3gpuE9ELNS1_3repE0EEENS1_30default_config_static_selectorELNS0_4arch9wavefront6targetE1EEEvT1_,comdat
.Lfunc_end1085:
	.size	_ZN7rocprim17ROCPRIM_400000_NS6detail17trampoline_kernelINS0_14default_configENS1_29reduce_by_key_config_selectorIjsN6thrust23THRUST_200600_302600_NS4plusIsEEEEZZNS1_33reduce_by_key_impl_wrapped_configILNS1_25lookback_scan_determinismE0ES3_S9_NS6_6detail15normal_iteratorINS6_10device_ptrIjEEEENSD_INSE_IsEEEENS6_16discard_iteratorINS6_11use_defaultEEESI_PmS8_NS6_8equal_toIjEEEE10hipError_tPvRmT2_T3_mT4_T5_T6_T7_T8_P12ihipStream_tbENKUlT_T0_E_clISt17integral_constantIbLb0EES15_IbLb1EEEEDaS11_S12_EUlS11_E_NS1_11comp_targetILNS1_3genE5ELNS1_11target_archE942ELNS1_3gpuE9ELNS1_3repE0EEENS1_30default_config_static_selectorELNS0_4arch9wavefront6targetE1EEEvT1_, .Lfunc_end1085-_ZN7rocprim17ROCPRIM_400000_NS6detail17trampoline_kernelINS0_14default_configENS1_29reduce_by_key_config_selectorIjsN6thrust23THRUST_200600_302600_NS4plusIsEEEEZZNS1_33reduce_by_key_impl_wrapped_configILNS1_25lookback_scan_determinismE0ES3_S9_NS6_6detail15normal_iteratorINS6_10device_ptrIjEEEENSD_INSE_IsEEEENS6_16discard_iteratorINS6_11use_defaultEEESI_PmS8_NS6_8equal_toIjEEEE10hipError_tPvRmT2_T3_mT4_T5_T6_T7_T8_P12ihipStream_tbENKUlT_T0_E_clISt17integral_constantIbLb0EES15_IbLb1EEEEDaS11_S12_EUlS11_E_NS1_11comp_targetILNS1_3genE5ELNS1_11target_archE942ELNS1_3gpuE9ELNS1_3repE0EEENS1_30default_config_static_selectorELNS0_4arch9wavefront6targetE1EEEvT1_
                                        ; -- End function
	.section	.AMDGPU.csdata,"",@progbits
; Kernel info:
; codeLenInByte = 0
; NumSgprs: 4
; NumVgprs: 0
; NumAgprs: 0
; TotalNumVgprs: 0
; ScratchSize: 0
; MemoryBound: 0
; FloatMode: 240
; IeeeMode: 1
; LDSByteSize: 0 bytes/workgroup (compile time only)
; SGPRBlocks: 0
; VGPRBlocks: 0
; NumSGPRsForWavesPerEU: 4
; NumVGPRsForWavesPerEU: 1
; AccumOffset: 4
; Occupancy: 8
; WaveLimiterHint : 0
; COMPUTE_PGM_RSRC2:SCRATCH_EN: 0
; COMPUTE_PGM_RSRC2:USER_SGPR: 6
; COMPUTE_PGM_RSRC2:TRAP_HANDLER: 0
; COMPUTE_PGM_RSRC2:TGID_X_EN: 1
; COMPUTE_PGM_RSRC2:TGID_Y_EN: 0
; COMPUTE_PGM_RSRC2:TGID_Z_EN: 0
; COMPUTE_PGM_RSRC2:TIDIG_COMP_CNT: 0
; COMPUTE_PGM_RSRC3_GFX90A:ACCUM_OFFSET: 0
; COMPUTE_PGM_RSRC3_GFX90A:TG_SPLIT: 0
	.section	.text._ZN7rocprim17ROCPRIM_400000_NS6detail17trampoline_kernelINS0_14default_configENS1_29reduce_by_key_config_selectorIjsN6thrust23THRUST_200600_302600_NS4plusIsEEEEZZNS1_33reduce_by_key_impl_wrapped_configILNS1_25lookback_scan_determinismE0ES3_S9_NS6_6detail15normal_iteratorINS6_10device_ptrIjEEEENSD_INSE_IsEEEENS6_16discard_iteratorINS6_11use_defaultEEESI_PmS8_NS6_8equal_toIjEEEE10hipError_tPvRmT2_T3_mT4_T5_T6_T7_T8_P12ihipStream_tbENKUlT_T0_E_clISt17integral_constantIbLb0EES15_IbLb1EEEEDaS11_S12_EUlS11_E_NS1_11comp_targetILNS1_3genE4ELNS1_11target_archE910ELNS1_3gpuE8ELNS1_3repE0EEENS1_30default_config_static_selectorELNS0_4arch9wavefront6targetE1EEEvT1_,"axG",@progbits,_ZN7rocprim17ROCPRIM_400000_NS6detail17trampoline_kernelINS0_14default_configENS1_29reduce_by_key_config_selectorIjsN6thrust23THRUST_200600_302600_NS4plusIsEEEEZZNS1_33reduce_by_key_impl_wrapped_configILNS1_25lookback_scan_determinismE0ES3_S9_NS6_6detail15normal_iteratorINS6_10device_ptrIjEEEENSD_INSE_IsEEEENS6_16discard_iteratorINS6_11use_defaultEEESI_PmS8_NS6_8equal_toIjEEEE10hipError_tPvRmT2_T3_mT4_T5_T6_T7_T8_P12ihipStream_tbENKUlT_T0_E_clISt17integral_constantIbLb0EES15_IbLb1EEEEDaS11_S12_EUlS11_E_NS1_11comp_targetILNS1_3genE4ELNS1_11target_archE910ELNS1_3gpuE8ELNS1_3repE0EEENS1_30default_config_static_selectorELNS0_4arch9wavefront6targetE1EEEvT1_,comdat
	.protected	_ZN7rocprim17ROCPRIM_400000_NS6detail17trampoline_kernelINS0_14default_configENS1_29reduce_by_key_config_selectorIjsN6thrust23THRUST_200600_302600_NS4plusIsEEEEZZNS1_33reduce_by_key_impl_wrapped_configILNS1_25lookback_scan_determinismE0ES3_S9_NS6_6detail15normal_iteratorINS6_10device_ptrIjEEEENSD_INSE_IsEEEENS6_16discard_iteratorINS6_11use_defaultEEESI_PmS8_NS6_8equal_toIjEEEE10hipError_tPvRmT2_T3_mT4_T5_T6_T7_T8_P12ihipStream_tbENKUlT_T0_E_clISt17integral_constantIbLb0EES15_IbLb1EEEEDaS11_S12_EUlS11_E_NS1_11comp_targetILNS1_3genE4ELNS1_11target_archE910ELNS1_3gpuE8ELNS1_3repE0EEENS1_30default_config_static_selectorELNS0_4arch9wavefront6targetE1EEEvT1_ ; -- Begin function _ZN7rocprim17ROCPRIM_400000_NS6detail17trampoline_kernelINS0_14default_configENS1_29reduce_by_key_config_selectorIjsN6thrust23THRUST_200600_302600_NS4plusIsEEEEZZNS1_33reduce_by_key_impl_wrapped_configILNS1_25lookback_scan_determinismE0ES3_S9_NS6_6detail15normal_iteratorINS6_10device_ptrIjEEEENSD_INSE_IsEEEENS6_16discard_iteratorINS6_11use_defaultEEESI_PmS8_NS6_8equal_toIjEEEE10hipError_tPvRmT2_T3_mT4_T5_T6_T7_T8_P12ihipStream_tbENKUlT_T0_E_clISt17integral_constantIbLb0EES15_IbLb1EEEEDaS11_S12_EUlS11_E_NS1_11comp_targetILNS1_3genE4ELNS1_11target_archE910ELNS1_3gpuE8ELNS1_3repE0EEENS1_30default_config_static_selectorELNS0_4arch9wavefront6targetE1EEEvT1_
	.globl	_ZN7rocprim17ROCPRIM_400000_NS6detail17trampoline_kernelINS0_14default_configENS1_29reduce_by_key_config_selectorIjsN6thrust23THRUST_200600_302600_NS4plusIsEEEEZZNS1_33reduce_by_key_impl_wrapped_configILNS1_25lookback_scan_determinismE0ES3_S9_NS6_6detail15normal_iteratorINS6_10device_ptrIjEEEENSD_INSE_IsEEEENS6_16discard_iteratorINS6_11use_defaultEEESI_PmS8_NS6_8equal_toIjEEEE10hipError_tPvRmT2_T3_mT4_T5_T6_T7_T8_P12ihipStream_tbENKUlT_T0_E_clISt17integral_constantIbLb0EES15_IbLb1EEEEDaS11_S12_EUlS11_E_NS1_11comp_targetILNS1_3genE4ELNS1_11target_archE910ELNS1_3gpuE8ELNS1_3repE0EEENS1_30default_config_static_selectorELNS0_4arch9wavefront6targetE1EEEvT1_
	.p2align	8
	.type	_ZN7rocprim17ROCPRIM_400000_NS6detail17trampoline_kernelINS0_14default_configENS1_29reduce_by_key_config_selectorIjsN6thrust23THRUST_200600_302600_NS4plusIsEEEEZZNS1_33reduce_by_key_impl_wrapped_configILNS1_25lookback_scan_determinismE0ES3_S9_NS6_6detail15normal_iteratorINS6_10device_ptrIjEEEENSD_INSE_IsEEEENS6_16discard_iteratorINS6_11use_defaultEEESI_PmS8_NS6_8equal_toIjEEEE10hipError_tPvRmT2_T3_mT4_T5_T6_T7_T8_P12ihipStream_tbENKUlT_T0_E_clISt17integral_constantIbLb0EES15_IbLb1EEEEDaS11_S12_EUlS11_E_NS1_11comp_targetILNS1_3genE4ELNS1_11target_archE910ELNS1_3gpuE8ELNS1_3repE0EEENS1_30default_config_static_selectorELNS0_4arch9wavefront6targetE1EEEvT1_,@function
_ZN7rocprim17ROCPRIM_400000_NS6detail17trampoline_kernelINS0_14default_configENS1_29reduce_by_key_config_selectorIjsN6thrust23THRUST_200600_302600_NS4plusIsEEEEZZNS1_33reduce_by_key_impl_wrapped_configILNS1_25lookback_scan_determinismE0ES3_S9_NS6_6detail15normal_iteratorINS6_10device_ptrIjEEEENSD_INSE_IsEEEENS6_16discard_iteratorINS6_11use_defaultEEESI_PmS8_NS6_8equal_toIjEEEE10hipError_tPvRmT2_T3_mT4_T5_T6_T7_T8_P12ihipStream_tbENKUlT_T0_E_clISt17integral_constantIbLb0EES15_IbLb1EEEEDaS11_S12_EUlS11_E_NS1_11comp_targetILNS1_3genE4ELNS1_11target_archE910ELNS1_3gpuE8ELNS1_3repE0EEENS1_30default_config_static_selectorELNS0_4arch9wavefront6targetE1EEEvT1_: ; @_ZN7rocprim17ROCPRIM_400000_NS6detail17trampoline_kernelINS0_14default_configENS1_29reduce_by_key_config_selectorIjsN6thrust23THRUST_200600_302600_NS4plusIsEEEEZZNS1_33reduce_by_key_impl_wrapped_configILNS1_25lookback_scan_determinismE0ES3_S9_NS6_6detail15normal_iteratorINS6_10device_ptrIjEEEENSD_INSE_IsEEEENS6_16discard_iteratorINS6_11use_defaultEEESI_PmS8_NS6_8equal_toIjEEEE10hipError_tPvRmT2_T3_mT4_T5_T6_T7_T8_P12ihipStream_tbENKUlT_T0_E_clISt17integral_constantIbLb0EES15_IbLb1EEEEDaS11_S12_EUlS11_E_NS1_11comp_targetILNS1_3genE4ELNS1_11target_archE910ELNS1_3gpuE8ELNS1_3repE0EEENS1_30default_config_static_selectorELNS0_4arch9wavefront6targetE1EEEvT1_
; %bb.0:
	s_load_dwordx4 s[8:11], s[4:5], 0x0
	s_load_dwordx2 s[6:7], s[4:5], 0x10
	s_load_dwordx2 s[52:53], s[4:5], 0x70
	s_load_dwordx4 s[48:51], s[4:5], 0x60
	s_load_dwordx8 s[36:43], s[4:5], 0x40
	v_cmp_ne_u32_e64 s[2:3], 0, v0
	v_cmp_eq_u32_e64 s[0:1], 0, v0
	s_and_saveexec_b64 s[12:13], s[0:1]
	s_cbranch_execz .LBB1086_4
; %bb.1:
	s_mov_b64 s[16:17], exec
	v_mbcnt_lo_u32_b32 v1, s16, 0
	v_mbcnt_hi_u32_b32 v1, s17, v1
	v_cmp_eq_u32_e32 vcc, 0, v1
                                        ; implicit-def: $vgpr2
	s_and_saveexec_b64 s[14:15], vcc
	s_cbranch_execz .LBB1086_3
; %bb.2:
	s_load_dwordx2 s[18:19], s[4:5], 0x78
	s_bcnt1_i32_b64 s16, s[16:17]
	v_mov_b32_e32 v2, 0
	v_mov_b32_e32 v3, s16
	s_waitcnt lgkmcnt(0)
	global_atomic_add v2, v2, v3, s[18:19] glc
.LBB1086_3:
	s_or_b64 exec, exec, s[14:15]
	s_waitcnt vmcnt(0)
	v_readfirstlane_b32 s14, v2
	v_add_u32_e32 v1, s14, v1
	v_mov_b32_e32 v2, 0
	ds_write_b32 v2, v1
.LBB1086_4:
	s_or_b64 exec, exec, s[12:13]
	s_load_dwordx4 s[44:47], s[4:5], 0x28
	s_waitcnt lgkmcnt(0)
	s_lshl_b64 s[4:5], s[10:11], 2
	v_mov_b32_e32 v7, 0
	s_add_u32 s8, s8, s4
	s_barrier
	ds_read_b32 v1, v7
	s_addc_u32 s9, s9, s5
	s_lshl_b64 s[4:5], s[10:11], 1
	s_add_u32 s4, s6, s4
	s_addc_u32 s5, s7, s5
	s_mul_i32 s6, s40, s39
	s_mul_hi_u32 s7, s40, s38
	s_add_i32 s6, s7, s6
	s_mul_i32 s7, s41, s38
	s_add_i32 s6, s6, s7
	s_mul_i32 s7, s40, s38
	s_waitcnt lgkmcnt(0)
	v_readfirstlane_b32 s58, v1
	s_movk_i32 s10, 0xf00
	v_mul_lo_u32 v6, v1, s10
	s_add_u32 s54, s7, s58
	v_lshlrev_b64 v[4:5], 2, v[6:7]
	s_addc_u32 s55, s6, 0
	v_mov_b32_e32 v1, s9
	v_add_co_u32_e32 v3, vcc, s8, v4
	s_add_u32 s6, s42, -1
	v_addc_co_u32_e32 v5, vcc, v1, v5, vcc
	v_lshlrev_b64 v[8:9], 1, v[6:7]
	s_addc_u32 s7, s43, -1
	v_mov_b32_e32 v1, s5
	v_add_co_u32_e32 v7, vcc, s4, v8
	s_cmp_eq_u64 s[54:55], s[6:7]
	v_addc_co_u32_e32 v9, vcc, v1, v9, vcc
	s_cselect_b64 s[40:41], -1, 0
	s_cmp_lg_u64 s[54:55], s[6:7]
	s_mov_b64 s[4:5], -1
	s_cselect_b64 s[42:43], -1, 0
	s_mul_i32 s33, s6, 0xfffff100
	s_and_b64 vcc, exec, s[40:41]
	v_lshlrev_b32_e32 v81, 2, v0
	v_mad_u32_u24 v4, v0, 15, 1
	v_mad_u32_u24 v6, v0, 15, 2
	;; [unrolled: 1-line block ×14, first 2 shown]
	s_barrier
	s_cbranch_vccnz .LBB1086_6
; %bb.5:
	v_add_co_u32_e32 v10, vcc, v3, v81
	v_addc_co_u32_e32 v11, vcc, 0, v5, vcc
	v_add_co_u32_e32 v12, vcc, 0x1000, v10
	v_addc_co_u32_e32 v13, vcc, 0, v11, vcc
	flat_load_dword v1, v[10:11]
	flat_load_dword v14, v[10:11] offset:1024
	flat_load_dword v15, v[10:11] offset:2048
	;; [unrolled: 1-line block ×3, first 2 shown]
	flat_load_dword v17, v[12:13]
	flat_load_dword v18, v[12:13] offset:1024
	flat_load_dword v19, v[12:13] offset:2048
	;; [unrolled: 1-line block ×3, first 2 shown]
	v_add_co_u32_e32 v12, vcc, 0x2000, v10
	v_addc_co_u32_e32 v13, vcc, 0, v11, vcc
	v_add_co_u32_e32 v10, vcc, 0x3000, v10
	v_addc_co_u32_e32 v11, vcc, 0, v11, vcc
	flat_load_dword v21, v[12:13]
	flat_load_dword v22, v[12:13] offset:1024
	flat_load_dword v23, v[12:13] offset:2048
	;; [unrolled: 1-line block ×3, first 2 shown]
	flat_load_dword v27, v[10:11]
	flat_load_dword v29, v[10:11] offset:1024
	flat_load_dword v31, v[10:11] offset:2048
	v_lshlrev_b32_e32 v10, 1, v0
	v_add_co_u32_e32 v44, vcc, v7, v10
	s_movk_i32 s4, 0x1000
	v_addc_co_u32_e32 v45, vcc, 0, v9, vcc
	v_mad_u32_u24 v33, v0, 56, v81
	v_add_co_u32_e32 v46, vcc, s4, v44
	v_addc_co_u32_e32 v47, vcc, 0, v45, vcc
	s_movk_i32 s4, 0xffc6
	s_waitcnt vmcnt(0) lgkmcnt(0)
	ds_write2st64_b32 v81, v1, v14 offset1:4
	ds_write2st64_b32 v81, v15, v16 offset0:8 offset1:12
	ds_write2st64_b32 v81, v17, v18 offset0:16 offset1:20
	;; [unrolled: 1-line block ×6, first 2 shown]
	ds_write_b32 v81, v31 offset:14336
	s_waitcnt lgkmcnt(0)
	s_barrier
	ds_read2_b32 v[22:23], v33 offset1:1
	ds_read2_b32 v[20:21], v33 offset0:2 offset1:3
	ds_read2_b32 v[18:19], v33 offset0:4 offset1:5
	;; [unrolled: 1-line block ×6, first 2 shown]
	ds_read_b32 v1, v33 offset:56
	s_waitcnt lgkmcnt(0)
	s_barrier
	flat_load_ushort v27, v[44:45]
	flat_load_ushort v29, v[44:45] offset:512
	flat_load_ushort v31, v[44:45] offset:1024
	;; [unrolled: 1-line block ×7, first 2 shown]
	flat_load_ushort v49, v[46:47]
	flat_load_ushort v52, v[46:47] offset:512
	flat_load_ushort v53, v[46:47] offset:1024
	flat_load_ushort v54, v[46:47] offset:1536
	flat_load_ushort v55, v[46:47] offset:2048
	flat_load_ushort v56, v[46:47] offset:2560
	flat_load_ushort v57, v[46:47] offset:3072
	v_mul_u32_u24_e32 v25, 15, v0
	v_mad_i32_i24 v33, v0, s4, v33
	v_mov_b32_e32 v50, v22
	v_mov_b32_e32 v51, v20
	;; [unrolled: 1-line block ×7, first 2 shown]
	s_mov_b64 s[4:5], 0
	s_waitcnt vmcnt(0) lgkmcnt(0)
	ds_write_b16 v33, v27
	ds_write_b16 v33, v29 offset:512
	ds_write_b16 v33, v31 offset:1024
	;; [unrolled: 1-line block ×14, first 2 shown]
	s_waitcnt lgkmcnt(0)
	s_barrier
	s_branch .LBB1086_7
.LBB1086_6:
                                        ; implicit-def: $vgpr1
                                        ; implicit-def: $vgpr10
                                        ; implicit-def: $vgpr12
                                        ; implicit-def: $vgpr14
                                        ; implicit-def: $vgpr16
                                        ; implicit-def: $vgpr18
                                        ; implicit-def: $vgpr20
                                        ; implicit-def: $vgpr22
                                        ; implicit-def: $vgpr25
                                        ; implicit-def: $vgpr44_vgpr45
                                        ; implicit-def: $vgpr46_vgpr47
                                        ; implicit-def: $vgpr50_vgpr51
                                        ; implicit-def: $vgpr48_vgpr49
.LBB1086_7:
	s_add_i32 s33, s33, s48
	s_andn2_b64 vcc, exec, s[4:5]
	v_mov_b32_e32 v27, v2
	v_mov_b32_e32 v31, v42
	;; [unrolled: 1-line block ×14, first 2 shown]
	s_cbranch_vccnz .LBB1086_69
; %bb.8:
	v_cmp_gt_u32_e32 vcc, s33, v0
                                        ; implicit-def: $vgpr1
	s_and_saveexec_b64 s[6:7], vcc
	s_cbranch_execz .LBB1086_10
; %bb.9:
	v_add_co_u32_e64 v10, s[4:5], v3, v81
	v_addc_co_u32_e64 v11, s[4:5], 0, v5, s[4:5]
	flat_load_dword v1, v[10:11]
.LBB1086_10:
	s_or_b64 exec, exec, s[6:7]
	v_or_b32_e32 v10, 0x100, v0
	v_cmp_gt_u32_e64 s[4:5], s33, v10
                                        ; implicit-def: $vgpr10
	s_and_saveexec_b64 s[8:9], s[4:5]
	s_cbranch_execz .LBB1086_12
; %bb.11:
	v_add_co_u32_e64 v10, s[6:7], v3, v81
	v_addc_co_u32_e64 v11, s[6:7], 0, v5, s[6:7]
	flat_load_dword v10, v[10:11] offset:1024
.LBB1086_12:
	s_or_b64 exec, exec, s[8:9]
	v_or_b32_e32 v11, 0x200, v0
	v_cmp_gt_u32_e64 s[6:7], s33, v11
                                        ; implicit-def: $vgpr11
	s_and_saveexec_b64 s[10:11], s[6:7]
	s_cbranch_execz .LBB1086_14
; %bb.13:
	v_add_co_u32_e64 v12, s[8:9], v3, v81
	v_addc_co_u32_e64 v13, s[8:9], 0, v5, s[8:9]
	flat_load_dword v11, v[12:13] offset:2048
.LBB1086_14:
	s_or_b64 exec, exec, s[10:11]
	v_or_b32_e32 v12, 0x300, v0
	v_cmp_gt_u32_e64 s[8:9], s33, v12
                                        ; implicit-def: $vgpr12
	s_and_saveexec_b64 s[12:13], s[8:9]
	s_cbranch_execz .LBB1086_16
; %bb.15:
	v_add_co_u32_e64 v12, s[10:11], v3, v81
	v_addc_co_u32_e64 v13, s[10:11], 0, v5, s[10:11]
	flat_load_dword v12, v[12:13] offset:3072
.LBB1086_16:
	s_or_b64 exec, exec, s[12:13]
	v_or_b32_e32 v14, 0x400, v0
	v_cmp_gt_u32_e64 s[10:11], s33, v14
                                        ; implicit-def: $vgpr13
	s_and_saveexec_b64 s[14:15], s[10:11]
	s_cbranch_execz .LBB1086_18
; %bb.17:
	v_lshlrev_b32_e32 v13, 2, v14
	v_add_co_u32_e64 v14, s[12:13], v3, v13
	v_addc_co_u32_e64 v15, s[12:13], 0, v5, s[12:13]
	flat_load_dword v13, v[14:15]
.LBB1086_18:
	s_or_b64 exec, exec, s[14:15]
	v_or_b32_e32 v15, 0x500, v0
	v_cmp_gt_u32_e64 s[12:13], s33, v15
                                        ; implicit-def: $vgpr14
	s_and_saveexec_b64 s[16:17], s[12:13]
	s_cbranch_execz .LBB1086_20
; %bb.19:
	v_lshlrev_b32_e32 v14, 2, v15
	v_add_co_u32_e64 v14, s[14:15], v3, v14
	v_addc_co_u32_e64 v15, s[14:15], 0, v5, s[14:15]
	flat_load_dword v14, v[14:15]
.LBB1086_20:
	s_or_b64 exec, exec, s[16:17]
	v_or_b32_e32 v16, 0x600, v0
	v_cmp_gt_u32_e64 s[14:15], s33, v16
                                        ; implicit-def: $vgpr15
	s_and_saveexec_b64 s[18:19], s[14:15]
	s_cbranch_execz .LBB1086_22
; %bb.21:
	v_lshlrev_b32_e32 v15, 2, v16
	v_add_co_u32_e64 v16, s[16:17], v3, v15
	v_addc_co_u32_e64 v17, s[16:17], 0, v5, s[16:17]
	flat_load_dword v15, v[16:17]
.LBB1086_22:
	s_or_b64 exec, exec, s[18:19]
	v_or_b32_e32 v17, 0x700, v0
	v_cmp_gt_u32_e64 s[16:17], s33, v17
                                        ; implicit-def: $vgpr16
	s_and_saveexec_b64 s[20:21], s[16:17]
	s_cbranch_execz .LBB1086_24
; %bb.23:
	v_lshlrev_b32_e32 v16, 2, v17
	v_add_co_u32_e64 v16, s[18:19], v3, v16
	v_addc_co_u32_e64 v17, s[18:19], 0, v5, s[18:19]
	flat_load_dword v16, v[16:17]
.LBB1086_24:
	s_or_b64 exec, exec, s[20:21]
	v_or_b32_e32 v25, 0x800, v0
	v_cmp_gt_u32_e64 s[18:19], s33, v25
                                        ; implicit-def: $vgpr17
	s_and_saveexec_b64 s[22:23], s[18:19]
	s_cbranch_execz .LBB1086_26
; %bb.25:
	v_lshlrev_b32_e32 v17, 2, v25
	v_add_co_u32_e64 v18, s[20:21], v3, v17
	v_addc_co_u32_e64 v19, s[20:21], 0, v5, s[20:21]
	flat_load_dword v17, v[18:19]
.LBB1086_26:
	s_or_b64 exec, exec, s[22:23]
	v_or_b32_e32 v27, 0x900, v0
	v_cmp_gt_u32_e64 s[20:21], s33, v27
                                        ; implicit-def: $vgpr18
	s_and_saveexec_b64 s[24:25], s[20:21]
	s_cbranch_execz .LBB1086_28
; %bb.27:
	v_lshlrev_b32_e32 v18, 2, v27
	v_add_co_u32_e64 v18, s[22:23], v3, v18
	v_addc_co_u32_e64 v19, s[22:23], 0, v5, s[22:23]
	flat_load_dword v18, v[18:19]
.LBB1086_28:
	s_or_b64 exec, exec, s[24:25]
	v_or_b32_e32 v31, 0xa00, v0
	v_cmp_gt_u32_e64 s[22:23], s33, v31
                                        ; implicit-def: $vgpr19
	s_and_saveexec_b64 s[26:27], s[22:23]
	s_cbranch_execz .LBB1086_30
; %bb.29:
	v_lshlrev_b32_e32 v19, 2, v31
	v_add_co_u32_e64 v20, s[24:25], v3, v19
	v_addc_co_u32_e64 v21, s[24:25], 0, v5, s[24:25]
	flat_load_dword v19, v[20:21]
.LBB1086_30:
	s_or_b64 exec, exec, s[26:27]
	v_or_b32_e32 v33, 0xb00, v0
	v_cmp_gt_u32_e64 s[24:25], s33, v33
                                        ; implicit-def: $vgpr20
	s_and_saveexec_b64 s[28:29], s[24:25]
	s_cbranch_execz .LBB1086_32
; %bb.31:
	v_lshlrev_b32_e32 v20, 2, v33
	v_add_co_u32_e64 v20, s[26:27], v3, v20
	v_addc_co_u32_e64 v21, s[26:27], 0, v5, s[26:27]
	flat_load_dword v20, v[20:21]
.LBB1086_32:
	s_or_b64 exec, exec, s[28:29]
	v_or_b32_e32 v35, 0xc00, v0
	v_cmp_gt_u32_e64 s[26:27], s33, v35
                                        ; implicit-def: $vgpr21
	s_and_saveexec_b64 s[30:31], s[26:27]
	s_cbranch_execz .LBB1086_34
; %bb.33:
	v_lshlrev_b32_e32 v21, 2, v35
	v_add_co_u32_e64 v22, s[28:29], v3, v21
	v_addc_co_u32_e64 v23, s[28:29], 0, v5, s[28:29]
	flat_load_dword v21, v[22:23]
.LBB1086_34:
	s_or_b64 exec, exec, s[30:31]
	v_or_b32_e32 v37, 0xd00, v0
	v_cmp_gt_u32_e64 s[28:29], s33, v37
                                        ; implicit-def: $vgpr22
	s_and_saveexec_b64 s[34:35], s[28:29]
	s_cbranch_execz .LBB1086_36
; %bb.35:
	v_lshlrev_b32_e32 v22, 2, v37
	v_add_co_u32_e64 v22, s[30:31], v3, v22
	v_addc_co_u32_e64 v23, s[30:31], 0, v5, s[30:31]
	flat_load_dword v22, v[22:23]
.LBB1086_36:
	s_or_b64 exec, exec, s[34:35]
	v_or_b32_e32 v39, 0xe00, v0
	v_cmp_gt_u32_e64 s[30:31], s33, v39
                                        ; implicit-def: $vgpr23
	s_and_saveexec_b64 s[56:57], s[30:31]
	s_cbranch_execz .LBB1086_38
; %bb.37:
	v_lshlrev_b32_e32 v23, 2, v39
	v_add_co_u32_e64 v44, s[34:35], v3, v23
	v_addc_co_u32_e64 v45, s[34:35], 0, v5, s[34:35]
	flat_load_dword v23, v[44:45]
.LBB1086_38:
	s_or_b64 exec, exec, s[56:57]
	v_mad_u32_u24 v29, v0, 56, v81
	s_waitcnt vmcnt(0) lgkmcnt(0)
	ds_write2st64_b32 v81, v1, v10 offset1:4
	ds_write2st64_b32 v81, v11, v12 offset0:8 offset1:12
	ds_write2st64_b32 v81, v13, v14 offset0:16 offset1:20
	;; [unrolled: 1-line block ×6, first 2 shown]
	ds_write_b32 v81, v23 offset:14336
	s_waitcnt lgkmcnt(0)
	s_barrier
	ds_read2_b32 v[22:23], v29 offset1:1
	ds_read2_b32 v[20:21], v29 offset0:2 offset1:3
	ds_read2_b32 v[18:19], v29 offset0:4 offset1:5
	;; [unrolled: 1-line block ×6, first 2 shown]
	ds_read_b32 v1, v29 offset:56
	s_waitcnt lgkmcnt(0)
	s_barrier
	s_waitcnt lgkmcnt(0)
                                        ; implicit-def: $vgpr41
	s_and_saveexec_b64 s[34:35], vcc
	s_cbranch_execz .LBB1086_52
; %bb.39:
	v_lshlrev_b32_e32 v41, 1, v0
	v_add_co_u32_e32 v44, vcc, v7, v41
	v_addc_co_u32_e32 v45, vcc, 0, v9, vcc
	flat_load_ushort v41, v[44:45]
	s_or_b64 exec, exec, s[34:35]
                                        ; implicit-def: $vgpr43
	s_and_saveexec_b64 s[34:35], s[4:5]
	s_cbranch_execnz .LBB1086_53
.LBB1086_40:
	s_or_b64 exec, exec, s[34:35]
                                        ; implicit-def: $vgpr44
	s_and_saveexec_b64 s[4:5], s[6:7]
	s_cbranch_execz .LBB1086_54
.LBB1086_41:
	v_lshlrev_b32_e32 v44, 1, v0
	v_add_co_u32_e32 v44, vcc, v7, v44
	v_addc_co_u32_e32 v45, vcc, 0, v9, vcc
	flat_load_ushort v44, v[44:45] offset:1024
	s_or_b64 exec, exec, s[4:5]
                                        ; implicit-def: $vgpr45
	s_and_saveexec_b64 s[4:5], s[8:9]
	s_cbranch_execnz .LBB1086_55
.LBB1086_42:
	s_or_b64 exec, exec, s[4:5]
                                        ; implicit-def: $vgpr46
	s_and_saveexec_b64 s[4:5], s[10:11]
	s_cbranch_execz .LBB1086_56
.LBB1086_43:
	v_lshlrev_b32_e32 v46, 1, v0
	v_add_co_u32_e32 v46, vcc, v7, v46
	v_addc_co_u32_e32 v47, vcc, 0, v9, vcc
	flat_load_ushort v46, v[46:47] offset:2048
	s_or_b64 exec, exec, s[4:5]
                                        ; implicit-def: $vgpr47
	s_and_saveexec_b64 s[4:5], s[12:13]
	s_cbranch_execnz .LBB1086_57
.LBB1086_44:
	s_or_b64 exec, exec, s[4:5]
                                        ; implicit-def: $vgpr48
	s_and_saveexec_b64 s[4:5], s[14:15]
	s_cbranch_execz .LBB1086_58
.LBB1086_45:
	v_lshlrev_b32_e32 v48, 1, v0
	v_add_co_u32_e32 v48, vcc, v7, v48
	v_addc_co_u32_e32 v49, vcc, 0, v9, vcc
	flat_load_ushort v48, v[48:49] offset:3072
	s_or_b64 exec, exec, s[4:5]
                                        ; implicit-def: $vgpr50
	s_and_saveexec_b64 s[4:5], s[16:17]
	s_cbranch_execnz .LBB1086_59
.LBB1086_46:
	s_or_b64 exec, exec, s[4:5]
                                        ; implicit-def: $vgpr51
	s_and_saveexec_b64 s[4:5], s[18:19]
	s_cbranch_execz .LBB1086_60
.LBB1086_47:
	v_lshlrev_b32_e32 v25, 1, v25
	v_add_co_u32_e32 v52, vcc, v7, v25
	v_addc_co_u32_e32 v53, vcc, 0, v9, vcc
	flat_load_ushort v51, v[52:53]
	s_or_b64 exec, exec, s[4:5]
                                        ; implicit-def: $vgpr59
	s_and_saveexec_b64 s[4:5], s[20:21]
	s_cbranch_execnz .LBB1086_61
.LBB1086_48:
	s_or_b64 exec, exec, s[4:5]
                                        ; implicit-def: $vgpr60
	s_and_saveexec_b64 s[4:5], s[22:23]
	s_cbranch_execz .LBB1086_62
.LBB1086_49:
	v_lshlrev_b32_e32 v25, 1, v31
	v_add_co_u32_e32 v52, vcc, v7, v25
	v_addc_co_u32_e32 v53, vcc, 0, v9, vcc
	flat_load_ushort v60, v[52:53]
	s_or_b64 exec, exec, s[4:5]
                                        ; implicit-def: $vgpr61
	s_and_saveexec_b64 s[4:5], s[24:25]
	s_cbranch_execnz .LBB1086_63
.LBB1086_50:
	s_or_b64 exec, exec, s[4:5]
                                        ; implicit-def: $vgpr62
	s_and_saveexec_b64 s[4:5], s[26:27]
	s_cbranch_execz .LBB1086_64
.LBB1086_51:
	v_lshlrev_b32_e32 v25, 1, v35
	v_add_co_u32_e32 v52, vcc, v7, v25
	v_addc_co_u32_e32 v53, vcc, 0, v9, vcc
	flat_load_ushort v62, v[52:53]
	s_or_b64 exec, exec, s[4:5]
                                        ; implicit-def: $vgpr63
	s_and_saveexec_b64 s[4:5], s[28:29]
	s_cbranch_execz .LBB1086_66
	s_branch .LBB1086_65
.LBB1086_52:
	s_or_b64 exec, exec, s[34:35]
                                        ; implicit-def: $vgpr43
	s_and_saveexec_b64 s[34:35], s[4:5]
	s_cbranch_execz .LBB1086_40
.LBB1086_53:
	v_lshlrev_b32_e32 v43, 1, v0
	v_add_co_u32_e32 v44, vcc, v7, v43
	v_addc_co_u32_e32 v45, vcc, 0, v9, vcc
	flat_load_ushort v43, v[44:45] offset:512
	s_or_b64 exec, exec, s[34:35]
                                        ; implicit-def: $vgpr44
	s_and_saveexec_b64 s[4:5], s[6:7]
	s_cbranch_execnz .LBB1086_41
.LBB1086_54:
	s_or_b64 exec, exec, s[4:5]
                                        ; implicit-def: $vgpr45
	s_and_saveexec_b64 s[4:5], s[8:9]
	s_cbranch_execz .LBB1086_42
.LBB1086_55:
	v_lshlrev_b32_e32 v45, 1, v0
	v_add_co_u32_e32 v46, vcc, v7, v45
	v_addc_co_u32_e32 v47, vcc, 0, v9, vcc
	flat_load_ushort v45, v[46:47] offset:1536
	s_or_b64 exec, exec, s[4:5]
                                        ; implicit-def: $vgpr46
	s_and_saveexec_b64 s[4:5], s[10:11]
	s_cbranch_execnz .LBB1086_43
.LBB1086_56:
	s_or_b64 exec, exec, s[4:5]
                                        ; implicit-def: $vgpr47
	s_and_saveexec_b64 s[4:5], s[12:13]
	s_cbranch_execz .LBB1086_44
.LBB1086_57:
	v_lshlrev_b32_e32 v47, 1, v0
	v_add_co_u32_e32 v48, vcc, v7, v47
	v_addc_co_u32_e32 v49, vcc, 0, v9, vcc
	flat_load_ushort v47, v[48:49] offset:2560
	s_or_b64 exec, exec, s[4:5]
                                        ; implicit-def: $vgpr48
	s_and_saveexec_b64 s[4:5], s[14:15]
	s_cbranch_execnz .LBB1086_45
.LBB1086_58:
	s_or_b64 exec, exec, s[4:5]
                                        ; implicit-def: $vgpr50
	s_and_saveexec_b64 s[4:5], s[16:17]
	s_cbranch_execz .LBB1086_46
.LBB1086_59:
	v_lshlrev_b32_e32 v49, 1, v0
	v_add_co_u32_e32 v50, vcc, v7, v49
	v_addc_co_u32_e32 v51, vcc, 0, v9, vcc
	flat_load_ushort v50, v[50:51] offset:3584
	s_or_b64 exec, exec, s[4:5]
                                        ; implicit-def: $vgpr51
	s_and_saveexec_b64 s[4:5], s[18:19]
	s_cbranch_execnz .LBB1086_47
.LBB1086_60:
	s_or_b64 exec, exec, s[4:5]
                                        ; implicit-def: $vgpr59
	s_and_saveexec_b64 s[4:5], s[20:21]
	s_cbranch_execz .LBB1086_48
.LBB1086_61:
	v_lshlrev_b32_e32 v25, 1, v27
	v_add_co_u32_e32 v52, vcc, v7, v25
	v_addc_co_u32_e32 v53, vcc, 0, v9, vcc
	flat_load_ushort v59, v[52:53]
	s_or_b64 exec, exec, s[4:5]
                                        ; implicit-def: $vgpr60
	s_and_saveexec_b64 s[4:5], s[22:23]
	s_cbranch_execnz .LBB1086_49
.LBB1086_62:
	s_or_b64 exec, exec, s[4:5]
                                        ; implicit-def: $vgpr61
	s_and_saveexec_b64 s[4:5], s[24:25]
	s_cbranch_execz .LBB1086_50
.LBB1086_63:
	v_lshlrev_b32_e32 v25, 1, v33
	v_add_co_u32_e32 v52, vcc, v7, v25
	v_addc_co_u32_e32 v53, vcc, 0, v9, vcc
	flat_load_ushort v61, v[52:53]
	s_or_b64 exec, exec, s[4:5]
                                        ; implicit-def: $vgpr62
	s_and_saveexec_b64 s[4:5], s[26:27]
	s_cbranch_execnz .LBB1086_51
.LBB1086_64:
	s_or_b64 exec, exec, s[4:5]
                                        ; implicit-def: $vgpr63
	s_and_saveexec_b64 s[4:5], s[28:29]
	s_cbranch_execz .LBB1086_66
.LBB1086_65:
	v_lshlrev_b32_e32 v25, 1, v37
	v_add_co_u32_e32 v52, vcc, v7, v25
	v_addc_co_u32_e32 v53, vcc, 0, v9, vcc
	flat_load_ushort v63, v[52:53]
.LBB1086_66:
	s_or_b64 exec, exec, s[4:5]
	v_mul_u32_u24_e32 v25, 15, v0
                                        ; implicit-def: $vgpr64
	s_and_saveexec_b64 s[4:5], s[30:31]
	s_cbranch_execz .LBB1086_68
; %bb.67:
	v_lshlrev_b32_e32 v27, 1, v39
	v_add_co_u32_e32 v52, vcc, v7, v27
	v_addc_co_u32_e32 v53, vcc, 0, v9, vcc
	flat_load_ushort v64, v[52:53]
.LBB1086_68:
	s_or_b64 exec, exec, s[4:5]
	s_movk_i32 s4, 0xffc6
	v_mad_i32_i24 v7, v0, s4, v29
	v_add_u32_e32 v58, 1, v25
	v_add_u32_e32 v57, 2, v25
	;; [unrolled: 1-line block ×14, first 2 shown]
	s_waitcnt vmcnt(0) lgkmcnt(0)
	ds_write_b16 v7, v41
	ds_write_b16 v7, v43 offset:512
	ds_write_b16 v7, v44 offset:1024
	;; [unrolled: 1-line block ×14, first 2 shown]
	v_mov_b32_e32 v50, v22
	v_mov_b32_e32 v51, v20
	;; [unrolled: 1-line block ×7, first 2 shown]
	s_waitcnt lgkmcnt(0)
	s_barrier
.LBB1086_69:
	v_lshlrev_b32_e32 v7, 1, v25
	v_lshlrev_b32_e32 v9, 1, v58
	;; [unrolled: 1-line block ×8, first 2 shown]
	ds_read_u16 v79, v7
	ds_read_u16 v78, v9
	;; [unrolled: 1-line block ×8, first 2 shown]
	v_lshlrev_b32_e32 v7, 1, v49
	v_lshlrev_b32_e32 v9, 1, v39
	;; [unrolled: 1-line block ×7, first 2 shown]
	ds_read_u16 v77, v7
	ds_read_u16 v75, v9
	ds_read_u16 v73, v25
	ds_read_u16 v71, v29
	ds_read_u16 v69, v33
	ds_read_u16 v66, v31
	ds_read_u16 v80, v27
	s_cmp_eq_u64 s[54:55], 0
	s_cselect_b64 s[34:35], -1, 0
	s_cmp_lg_u64 s[54:55], 0
	s_mov_b64 s[56:57], 0
	s_cselect_b64 s[6:7], -1, 0
	s_and_b64 vcc, exec, s[42:43]
	s_waitcnt lgkmcnt(0)
	s_barrier
	s_cbranch_vccz .LBB1086_75
; %bb.70:
	s_and_b64 vcc, exec, s[6:7]
	s_cbranch_vccz .LBB1086_136
; %bb.71:
	v_add_co_u32_e32 v52, vcc, -4, v3
	v_addc_co_u32_e32 v53, vcc, -1, v5, vcc
	flat_load_dword v7, v[52:53]
	ds_write_b32 v81, v1
	s_waitcnt lgkmcnt(0)
	s_barrier
	s_and_saveexec_b64 s[4:5], s[2:3]
	s_cbranch_execz .LBB1086_73
; %bb.72:
	s_waitcnt vmcnt(0)
	v_add_u32_e32 v7, -4, v81
	ds_read_b32 v7, v7
.LBB1086_73:
	s_or_b64 exec, exec, s[4:5]
	v_cmp_ne_u32_e32 vcc, v50, v23
	v_cndmask_b32_e64 v65, 0, 1, vcc
	v_cmp_ne_u32_e32 vcc, v51, v23
	v_cndmask_b32_e64 v64, 0, 1, vcc
	;; [unrolled: 2-line block ×14, first 2 shown]
	s_waitcnt vmcnt(0) lgkmcnt(0)
	v_cmp_ne_u32_e64 s[4:5], v7, v22
	s_mov_b64 s[56:57], -1
.LBB1086_74:
                                        ; implicit-def: $sgpr10
	s_branch .LBB1086_76
.LBB1086_75:
                                        ; implicit-def: $sgpr4_sgpr5
                                        ; implicit-def: $vgpr52
                                        ; implicit-def: $vgpr53
                                        ; implicit-def: $vgpr54
                                        ; implicit-def: $vgpr55
                                        ; implicit-def: $vgpr56
                                        ; implicit-def: $vgpr57
                                        ; implicit-def: $vgpr58
                                        ; implicit-def: $vgpr59
                                        ; implicit-def: $vgpr60
                                        ; implicit-def: $vgpr61
                                        ; implicit-def: $vgpr62
                                        ; implicit-def: $vgpr63
                                        ; implicit-def: $vgpr64
                                        ; implicit-def: $vgpr65
                                        ; implicit-def: $sgpr10
	s_cbranch_execnz .LBB1086_140
.LBB1086_76:
	v_mov_b32_e32 v82, s10
	s_and_saveexec_b64 s[2:3], s[56:57]
.LBB1086_77:
	v_cndmask_b32_e64 v82, 0, 1, s[4:5]
.LBB1086_78:
	s_or_b64 exec, exec, s[2:3]
	s_cmp_eq_u64 s[38:39], 0
	v_add3_u32 v2, v65, v82, v64
	s_cselect_b64 s[30:31], -1, 0
	s_cmp_lg_u32 s58, 0
	v_cmp_eq_u32_e64 s[26:27], 0, v65
	v_cmp_eq_u32_e64 s[24:25], 0, v64
	;; [unrolled: 1-line block ×3, first 2 shown]
	v_add3_u32 v86, v2, v63, v62
	v_cmp_eq_u32_e64 s[20:21], 0, v62
	v_cmp_eq_u32_e64 s[18:19], 0, v61
	;; [unrolled: 1-line block ×10, first 2 shown]
	v_cmp_eq_u32_e32 vcc, 0, v52
	v_mbcnt_lo_u32_b32 v85, -1, 0
	v_lshrrev_b32_e32 v83, 6, v0
	v_or_b32_e32 v84, 63, v0
	s_cbranch_scc0 .LBB1086_105
; %bb.79:
	v_cndmask_b32_e64 v2, 0, v79, s[26:27]
	v_add_u16_e32 v2, v2, v78
	v_cndmask_b32_e64 v2, 0, v2, s[24:25]
	v_add_u16_e32 v2, v2, v76
	;; [unrolled: 2-line block ×11, first 2 shown]
	v_cndmask_b32_e64 v2, 0, v2, s[4:5]
	v_add3_u32 v3, v86, v61, v60
	v_add_u16_e32 v2, v2, v69
	v_add3_u32 v3, v3, v59, v58
	v_cndmask_b32_e64 v2, 0, v2, s[2:3]
	v_add3_u32 v3, v3, v57, v56
	v_add_u16_e32 v2, v2, v66
	v_add3_u32 v3, v3, v55, v54
	v_cndmask_b32_e32 v2, 0, v2, vcc
	v_add3_u32 v3, v3, v53, v52
	v_add_u16_e32 v2, v2, v80
	v_mbcnt_hi_u32_b32 v25, -1, v85
	v_and_b32_e32 v4, 15, v25
	v_mov_b32_dpp v6, v2 row_shr:1 row_mask:0xf bank_mask:0xf
	v_cmp_eq_u32_e32 vcc, 0, v3
	v_mov_b32_dpp v5, v3 row_shr:1 row_mask:0xf bank_mask:0xf
	v_cndmask_b32_e32 v6, 0, v6, vcc
	v_cmp_eq_u32_e32 vcc, 0, v4
	v_add_u16_e32 v6, v6, v2
	v_cndmask_b32_e64 v5, v5, 0, vcc
	v_add_u32_e32 v3, v5, v3
	v_cndmask_b32_e32 v2, v6, v2, vcc
	v_cmp_eq_u32_e32 vcc, 0, v3
	v_mov_b32_dpp v5, v3 row_shr:2 row_mask:0xf bank_mask:0xf
	v_mov_b32_dpp v6, v2 row_shr:2 row_mask:0xf bank_mask:0xf
	v_cndmask_b32_e32 v6, 0, v6, vcc
	v_cmp_lt_u32_e32 vcc, 1, v4
	v_add_u16_e32 v6, v6, v2
	v_cndmask_b32_e32 v5, 0, v5, vcc
	v_cndmask_b32_e32 v2, v2, v6, vcc
	v_add_u32_e32 v3, v3, v5
	v_cmp_eq_u32_e32 vcc, 0, v3
	v_mov_b32_dpp v6, v2 row_shr:4 row_mask:0xf bank_mask:0xf
	v_mov_b32_dpp v5, v3 row_shr:4 row_mask:0xf bank_mask:0xf
	v_cndmask_b32_e32 v6, 0, v6, vcc
	v_cmp_lt_u32_e32 vcc, 3, v4
	v_add_u16_e32 v6, v6, v2
	v_cndmask_b32_e32 v5, 0, v5, vcc
	v_cndmask_b32_e32 v2, v2, v6, vcc
	v_add_u32_e32 v3, v5, v3
	;; [unrolled: 9-line block ×3, first 2 shown]
	v_bfe_i32 v6, v25, 4, 1
	v_mov_b32_dpp v5, v2 row_bcast:15 row_mask:0xf bank_mask:0xf
	v_mov_b32_dpp v4, v3 row_bcast:15 row_mask:0xf bank_mask:0xf
	v_cmp_eq_u32_e32 vcc, 0, v3
	v_and_b32_e32 v7, 16, v25
	v_cndmask_b32_e32 v5, 0, v5, vcc
	v_and_b32_e32 v4, v6, v4
	v_add_u16_e32 v5, v5, v2
	v_add_u32_e32 v3, v4, v3
	v_cmp_eq_u32_e32 vcc, 0, v7
	v_cndmask_b32_e32 v4, v5, v2, vcc
	v_mov_b32_dpp v2, v3 row_bcast:31 row_mask:0xf bank_mask:0xf
	v_cmp_eq_u32_e32 vcc, 0, v3
	v_cmp_lt_u32_e64 s[28:29], 31, v25
	v_mov_b32_dpp v5, v4 row_bcast:31 row_mask:0xf bank_mask:0xf
	v_cndmask_b32_e64 v2, 0, v2, s[28:29]
	s_and_b64 vcc, s[28:29], vcc
	v_add_u32_e32 v2, v2, v3
	v_cndmask_b32_e32 v3, 0, v5, vcc
	v_add_u16_e32 v3, v3, v4
	v_cmp_eq_u32_e32 vcc, v84, v0
	v_lshlrev_b32_e32 v4, 3, v83
	s_and_saveexec_b64 s[28:29], vcc
	s_cbranch_execz .LBB1086_81
; %bb.80:
	ds_write_b32 v4, v2 offset:2064
	ds_write_b16 v4, v3 offset:2068
.LBB1086_81:
	s_or_b64 exec, exec, s[28:29]
	v_cmp_gt_u32_e32 vcc, 4, v0
	s_waitcnt lgkmcnt(0)
	s_barrier
	s_and_saveexec_b64 s[38:39], vcc
	s_cbranch_execz .LBB1086_83
; %bb.82:
	v_lshlrev_b32_e32 v5, 3, v0
	ds_read_b64 v[6:7], v5 offset:2064
	v_and_b32_e32 v8, 3, v25
	s_mov_b32 s28, 0xffff0000
	s_waitcnt lgkmcnt(0)
	v_mov_b32_dpp v24, v7 row_shr:1 row_mask:0xf bank_mask:0xf
	v_cmp_eq_u32_e32 vcc, 0, v6
	v_mov_b32_dpp v9, v6 row_shr:1 row_mask:0xf bank_mask:0xf
	v_cndmask_b32_e32 v24, 0, v24, vcc
	v_cmp_eq_u32_e32 vcc, 0, v8
	v_add_u16_e32 v24, v24, v7
	v_cndmask_b32_e64 v9, v9, 0, vcc
	v_and_or_b32 v26, v7, s28, v24
	v_add_u32_e32 v6, v9, v6
	v_cndmask_b32_e32 v9, v24, v7, vcc
	v_cndmask_b32_e32 v7, v26, v7, vcc
	v_mov_b32_dpp v24, v6 row_shr:2 row_mask:0xf bank_mask:0xf
	v_cmp_eq_u32_e32 vcc, 0, v6
	v_cmp_lt_u32_e64 s[28:29], 1, v8
	v_mov_b32_dpp v7, v7 row_shr:2 row_mask:0xf bank_mask:0xf
	v_cndmask_b32_e64 v8, 0, v24, s[28:29]
	s_and_b64 vcc, s[28:29], vcc
	v_add_u32_e32 v6, v8, v6
	v_cndmask_b32_e32 v7, 0, v7, vcc
	v_add_u16_e32 v7, v9, v7
	ds_write_b32 v5, v6 offset:2064
	ds_write_b16 v5, v7 offset:2068
.LBB1086_83:
	s_or_b64 exec, exec, s[38:39]
	v_cmp_gt_u32_e32 vcc, 64, v0
	v_cmp_lt_u32_e64 s[28:29], 63, v0
	v_mov_b32_e32 v28, 0
	v_mov_b32_e32 v29, 0
	s_waitcnt lgkmcnt(0)
	s_barrier
	s_and_saveexec_b64 s[38:39], s[28:29]
	s_cbranch_execz .LBB1086_85
; %bb.84:
	ds_read_b32 v28, v4 offset:2056
	ds_read_u16 v29, v4 offset:2060
	v_cmp_eq_u32_e64 s[28:29], 0, v2
	s_waitcnt lgkmcnt(1)
	v_add_u32_e32 v4, v28, v2
	s_waitcnt lgkmcnt(0)
	v_cndmask_b32_e64 v2, 0, v29, s[28:29]
	v_add_u16_e32 v3, v2, v3
	v_mov_b32_e32 v2, v4
.LBB1086_85:
	s_or_b64 exec, exec, s[38:39]
	v_add_u32_e32 v4, -1, v25
	v_and_b32_e32 v5, 64, v25
	v_cmp_lt_i32_e64 s[28:29], v4, v5
	v_cndmask_b32_e64 v4, v4, v25, s[28:29]
	v_and_b32_e32 v3, 0xffff, v3
	v_lshlrev_b32_e32 v4, 2, v4
	ds_bpermute_b32 v30, v4, v2
	ds_bpermute_b32 v31, v4, v3
	v_cmp_eq_u32_e64 s[28:29], 0, v25
	s_and_saveexec_b64 s[38:39], vcc
	s_cbranch_execz .LBB1086_104
; %bb.86:
	v_mov_b32_e32 v5, 0
	ds_read_b64 v[2:3], v5 offset:2088
	s_waitcnt lgkmcnt(0)
	v_readfirstlane_b32 s54, v3
	s_and_saveexec_b64 s[42:43], s[28:29]
	s_cbranch_execz .LBB1086_88
; %bb.87:
	s_add_i32 s48, s58, 64
	s_mov_b32 s49, 0
	s_lshl_b64 s[56:57], s[48:49], 4
	s_add_u32 s56, s36, s56
	s_addc_u32 s57, s37, s57
	s_and_b32 s61, s54, 0xff000000
	s_mov_b32 s60, s49
	s_and_b32 s63, s54, 0xff0000
	s_mov_b32 s62, s49
	s_or_b64 s[60:61], s[62:63], s[60:61]
	s_and_b32 s63, s54, 0xff00
	s_or_b64 s[60:61], s[60:61], s[62:63]
	s_and_b32 s63, s54, 0xff
	s_or_b64 s[48:49], s[60:61], s[62:63]
	v_mov_b32_e32 v3, s49
	v_mov_b32_e32 v4, 1
	v_pk_mov_b32 v[6:7], s[56:57], s[56:57] op_sel:[0,1]
	;;#ASMSTART
	global_store_dwordx4 v[6:7], v[2:5] off	
s_waitcnt vmcnt(0)
	;;#ASMEND
.LBB1086_88:
	s_or_b64 exec, exec, s[42:43]
	v_xad_u32 v24, v25, -1, s58
	v_add_u32_e32 v4, 64, v24
	v_lshlrev_b64 v[6:7], 4, v[4:5]
	v_mov_b32_e32 v3, s37
	v_add_co_u32_e32 v26, vcc, s36, v6
	v_addc_co_u32_e32 v27, vcc, v3, v7, vcc
	;;#ASMSTART
	global_load_dwordx4 v[6:9], v[26:27] off glc	
s_waitcnt vmcnt(0)
	;;#ASMEND
	v_and_b32_e32 v3, 0xffffff, v6
	v_and_b32_e32 v4, 0xff000000, v6
	v_or_b32_e32 v3, v3, v4
	v_and_b32_e32 v4, 0xff, v7
	v_and_b32_e32 v6, 0xff00, v7
	v_or3_b32 v7, 0, v4, v6
	v_or3_b32 v6, v3, 0, 0
	v_cmp_eq_u16_sdwa s[48:49], v8, v5 src0_sel:BYTE_0 src1_sel:DWORD
	s_and_saveexec_b64 s[42:43], s[48:49]
	s_cbranch_execz .LBB1086_92
; %bb.89:
	s_mov_b64 s[48:49], 0
	v_mov_b32_e32 v3, 0
.LBB1086_90:                            ; =>This Inner Loop Header: Depth=1
	;;#ASMSTART
	global_load_dwordx4 v[6:9], v[26:27] off glc	
s_waitcnt vmcnt(0)
	;;#ASMEND
	v_cmp_ne_u16_sdwa s[56:57], v8, v3 src0_sel:BYTE_0 src1_sel:DWORD
	s_or_b64 s[48:49], s[56:57], s[48:49]
	s_andn2_b64 exec, exec, s[48:49]
	s_cbranch_execnz .LBB1086_90
; %bb.91:
	s_or_b64 exec, exec, s[48:49]
	v_and_b32_e32 v7, 0xffff, v7
.LBB1086_92:
	s_or_b64 exec, exec, s[42:43]
	v_mov_b32_e32 v3, 2
	v_and_b32_e32 v32, 63, v25
	v_cmp_eq_u16_sdwa s[42:43], v8, v3 src0_sel:BYTE_0 src1_sel:DWORD
	v_lshlrev_b64 v[4:5], v25, -1
	v_cmp_ne_u32_e32 vcc, 63, v32
	v_and_b32_e32 v9, s43, v5
	v_addc_co_u32_e32 v27, vcc, 0, v25, vcc
	v_or_b32_e32 v9, 0x80000000, v9
	v_lshlrev_b32_e32 v33, 2, v27
	v_and_b32_e32 v26, s42, v4
	v_ffbl_b32_e32 v9, v9
	ds_bpermute_b32 v27, v33, v7
	v_add_u32_e32 v9, 32, v9
	v_ffbl_b32_e32 v26, v26
	v_min_u32_e32 v9, v26, v9
	ds_bpermute_b32 v26, v33, v6
	v_cmp_eq_u32_e32 vcc, 0, v6
	s_waitcnt lgkmcnt(1)
	v_cndmask_b32_e32 v27, 0, v27, vcc
	v_add_u16_e32 v27, v27, v7
	v_cmp_lt_u32_e32 vcc, v32, v9
	v_cndmask_b32_e32 v7, v7, v27, vcc
	s_waitcnt lgkmcnt(0)
	v_cndmask_b32_e32 v26, 0, v26, vcc
	v_cmp_gt_u32_e32 vcc, 62, v32
	v_cndmask_b32_e64 v27, 0, 1, vcc
	v_lshlrev_b32_e32 v27, 1, v27
	v_add_lshl_u32 v34, v27, v25, 2
	ds_bpermute_b32 v27, v34, v7
	v_add_u32_e32 v6, v26, v6
	ds_bpermute_b32 v26, v34, v6
	v_cmp_eq_u32_e32 vcc, 0, v6
	v_add_u32_e32 v35, 2, v32
	s_waitcnt lgkmcnt(1)
	v_cndmask_b32_e32 v27, 0, v27, vcc
	v_add_u16_e32 v27, v27, v7
	v_cmp_gt_u32_e32 vcc, v35, v9
	v_cndmask_b32_e32 v7, v27, v7, vcc
	s_waitcnt lgkmcnt(0)
	v_cndmask_b32_e64 v26, v26, 0, vcc
	v_cmp_gt_u32_e32 vcc, 60, v32
	v_cndmask_b32_e64 v27, 0, 1, vcc
	v_lshlrev_b32_e32 v27, 2, v27
	v_add_lshl_u32 v36, v27, v25, 2
	ds_bpermute_b32 v27, v36, v7
	v_add_u32_e32 v6, v6, v26
	ds_bpermute_b32 v26, v36, v6
	v_cmp_eq_u32_e32 vcc, 0, v6
	v_add_u32_e32 v37, 4, v32
	s_waitcnt lgkmcnt(1)
	v_cndmask_b32_e32 v27, 0, v27, vcc
	v_add_u16_e32 v27, v7, v27
	v_cmp_gt_u32_e32 vcc, v37, v9
	v_cndmask_b32_e32 v7, v27, v7, vcc
	s_waitcnt lgkmcnt(0)
	v_cndmask_b32_e64 v26, v26, 0, vcc
	;; [unrolled: 16-line block ×4, first 2 shown]
	v_cmp_gt_u32_e32 vcc, 32, v32
	v_cndmask_b32_e64 v27, 0, 1, vcc
	v_lshlrev_b32_e32 v27, 5, v27
	v_add_lshl_u32 v44, v27, v25, 2
	ds_bpermute_b32 v25, v44, v7
	v_add_u32_e32 v6, v6, v26
	ds_bpermute_b32 v26, v44, v6
	v_add_u32_e32 v45, 32, v32
	v_cmp_eq_u32_e32 vcc, 0, v6
	s_waitcnt lgkmcnt(1)
	v_cndmask_b32_e32 v25, 0, v25, vcc
	v_cmp_gt_u32_e32 vcc, v45, v9
	v_cndmask_b32_e64 v9, v25, 0, vcc
	v_add_u16_e32 v7, v7, v9
	s_waitcnt lgkmcnt(0)
	v_cndmask_b32_e64 v9, v26, 0, vcc
	v_add_u32_e32 v6, v9, v6
	v_mov_b32_e32 v25, 0
	s_branch .LBB1086_94
.LBB1086_93:                            ;   in Loop: Header=BB1086_94 Depth=1
	s_or_b64 exec, exec, s[42:43]
	v_cmp_eq_u16_sdwa s[42:43], v8, v3 src0_sel:BYTE_0 src1_sel:DWORD
	ds_bpermute_b32 v27, v33, v7
	v_and_b32_e32 v9, s43, v5
	v_or_b32_e32 v9, 0x80000000, v9
	v_and_b32_e32 v26, s42, v4
	v_ffbl_b32_e32 v9, v9
	v_add_u32_e32 v9, 32, v9
	v_ffbl_b32_e32 v26, v26
	v_cmp_eq_u32_e32 vcc, 0, v6
	v_min_u32_e32 v9, v26, v9
	ds_bpermute_b32 v26, v33, v6
	s_waitcnt lgkmcnt(1)
	v_cndmask_b32_e32 v27, 0, v27, vcc
	v_add_u16_e32 v27, v27, v7
	v_cmp_lt_u32_e32 vcc, v32, v9
	v_cndmask_b32_e32 v7, v7, v27, vcc
	ds_bpermute_b32 v27, v34, v7
	s_waitcnt lgkmcnt(1)
	v_cndmask_b32_e32 v26, 0, v26, vcc
	v_add_u32_e32 v6, v26, v6
	v_cmp_eq_u32_e32 vcc, 0, v6
	ds_bpermute_b32 v26, v34, v6
	s_waitcnt lgkmcnt(1)
	v_cndmask_b32_e32 v27, 0, v27, vcc
	v_add_u16_e32 v27, v27, v7
	v_cmp_gt_u32_e32 vcc, v35, v9
	v_cndmask_b32_e32 v7, v27, v7, vcc
	ds_bpermute_b32 v27, v36, v7
	s_waitcnt lgkmcnt(1)
	v_cndmask_b32_e64 v26, v26, 0, vcc
	v_add_u32_e32 v6, v6, v26
	v_cmp_eq_u32_e32 vcc, 0, v6
	ds_bpermute_b32 v26, v36, v6
	s_waitcnt lgkmcnt(1)
	v_cndmask_b32_e32 v27, 0, v27, vcc
	v_add_u16_e32 v27, v7, v27
	v_cmp_gt_u32_e32 vcc, v37, v9
	v_cndmask_b32_e32 v7, v27, v7, vcc
	ds_bpermute_b32 v27, v38, v7
	s_waitcnt lgkmcnt(1)
	v_cndmask_b32_e64 v26, v26, 0, vcc
	v_add_u32_e32 v6, v6, v26
	ds_bpermute_b32 v26, v38, v6
	v_cmp_eq_u32_e32 vcc, 0, v6
	s_waitcnt lgkmcnt(1)
	v_cndmask_b32_e32 v27, 0, v27, vcc
	v_add_u16_e32 v27, v7, v27
	v_cmp_gt_u32_e32 vcc, v39, v9
	v_cndmask_b32_e32 v7, v27, v7, vcc
	ds_bpermute_b32 v27, v41, v7
	s_waitcnt lgkmcnt(1)
	v_cndmask_b32_e64 v26, v26, 0, vcc
	v_add_u32_e32 v6, v6, v26
	ds_bpermute_b32 v26, v41, v6
	v_cmp_eq_u32_e32 vcc, 0, v6
	s_waitcnt lgkmcnt(1)
	v_cndmask_b32_e32 v27, 0, v27, vcc
	v_add_u16_e32 v27, v7, v27
	v_cmp_gt_u32_e32 vcc, v43, v9
	v_cndmask_b32_e32 v7, v27, v7, vcc
	ds_bpermute_b32 v27, v44, v7
	s_waitcnt lgkmcnt(1)
	v_cndmask_b32_e64 v26, v26, 0, vcc
	v_add_u32_e32 v6, v6, v26
	ds_bpermute_b32 v26, v44, v6
	v_cmp_eq_u32_e32 vcc, 0, v6
	s_waitcnt lgkmcnt(1)
	v_cndmask_b32_e32 v27, 0, v27, vcc
	v_cmp_gt_u32_e32 vcc, v45, v9
	v_cndmask_b32_e64 v9, v27, 0, vcc
	v_add_u16_e32 v7, v7, v9
	s_waitcnt lgkmcnt(0)
	v_cndmask_b32_e64 v9, v26, 0, vcc
	v_cmp_eq_u32_e32 vcc, 0, v42
	v_cndmask_b32_e32 v7, 0, v7, vcc
	v_subrev_u32_e32 v24, 64, v24
	v_add3_u32 v6, v6, v42, v9
	v_add_u16_e32 v7, v7, v40
.LBB1086_94:                            ; =>This Loop Header: Depth=1
                                        ;     Child Loop BB1086_97 Depth 2
	v_cmp_ne_u16_sdwa s[42:43], v8, v3 src0_sel:BYTE_0 src1_sel:DWORD
	v_mov_b32_e32 v40, v7
	v_cndmask_b32_e64 v7, 0, 1, s[42:43]
	;;#ASMSTART
	;;#ASMEND
	v_cmp_ne_u32_e32 vcc, 0, v7
	s_cmp_lg_u64 vcc, exec
	v_mov_b32_e32 v42, v6
	s_cbranch_scc1 .LBB1086_99
; %bb.95:                               ;   in Loop: Header=BB1086_94 Depth=1
	v_lshlrev_b64 v[6:7], 4, v[24:25]
	v_mov_b32_e32 v8, s37
	v_add_co_u32_e32 v26, vcc, s36, v6
	v_addc_co_u32_e32 v27, vcc, v8, v7, vcc
	;;#ASMSTART
	global_load_dwordx4 v[6:9], v[26:27] off glc	
s_waitcnt vmcnt(0)
	;;#ASMEND
	v_and_b32_e32 v9, 0xffffff, v6
	v_and_b32_e32 v6, 0xff000000, v6
	v_or_b32_e32 v6, v9, v6
	v_and_b32_e32 v9, 0xff, v7
	v_and_b32_e32 v7, 0xff00, v7
	v_or3_b32 v7, 0, v9, v7
	v_or3_b32 v6, v6, 0, 0
	v_cmp_eq_u16_sdwa s[48:49], v8, v25 src0_sel:BYTE_0 src1_sel:DWORD
	s_and_saveexec_b64 s[42:43], s[48:49]
	s_cbranch_execz .LBB1086_93
; %bb.96:                               ;   in Loop: Header=BB1086_94 Depth=1
	s_mov_b64 s[48:49], 0
.LBB1086_97:                            ;   Parent Loop BB1086_94 Depth=1
                                        ; =>  This Inner Loop Header: Depth=2
	;;#ASMSTART
	global_load_dwordx4 v[6:9], v[26:27] off glc	
s_waitcnt vmcnt(0)
	;;#ASMEND
	v_cmp_ne_u16_sdwa s[56:57], v8, v25 src0_sel:BYTE_0 src1_sel:DWORD
	s_or_b64 s[48:49], s[56:57], s[48:49]
	s_andn2_b64 exec, exec, s[48:49]
	s_cbranch_execnz .LBB1086_97
; %bb.98:                               ;   in Loop: Header=BB1086_94 Depth=1
	s_or_b64 exec, exec, s[48:49]
	v_and_b32_e32 v7, 0xffff, v7
	s_branch .LBB1086_93
.LBB1086_99:                            ;   in Loop: Header=BB1086_94 Depth=1
                                        ; implicit-def: $vgpr7
                                        ; implicit-def: $vgpr6
                                        ; implicit-def: $vgpr8
	s_cbranch_execz .LBB1086_94
; %bb.100:
	s_and_saveexec_b64 s[42:43], s[28:29]
	s_cbranch_execz .LBB1086_102
; %bb.101:
	s_mov_b32 s49, 0
	v_cmp_eq_u32_e32 vcc, 0, v2
	s_add_i32 s48, s58, 64
	v_cndmask_b32_e32 v3, 0, v40, vcc
	s_lshl_b64 s[48:49], s[48:49], 4
	v_add_u16_e32 v3, s54, v3
	s_add_u32 s48, s36, s48
	s_addc_u32 s49, s37, s49
	v_and_b32_e32 v5, 0xff00, v3
	v_add_u32_e32 v4, v42, v2
	v_mov_b32_e32 v7, 0
	v_or_b32_sdwa v5, v5, v3 dst_sel:DWORD dst_unused:UNUSED_PAD src0_sel:DWORD src1_sel:BYTE_0
	v_mov_b32_e32 v6, 2
	v_pk_mov_b32 v[8:9], s[48:49], s[48:49] op_sel:[0,1]
	;;#ASMSTART
	global_store_dwordx4 v[8:9], v[4:7] off	
s_waitcnt vmcnt(0)
	;;#ASMEND
	v_mov_b32_e32 v3, s54
	s_movk_i32 s48, 0x800
	ds_write_b16 v7, v3 offset:2052
	v_add_u32_e64 v3, s48, 0
	ds_write2_b32 v3, v2, v42 offset1:2
	ds_write_b16 v7, v40 offset:2060
.LBB1086_102:
	s_or_b64 exec, exec, s[42:43]
	s_and_b64 exec, exec, s[0:1]
	s_cbranch_execz .LBB1086_104
; %bb.103:
	v_mov_b32_e32 v2, 0
	ds_write_b32 v2, v42 offset:2088
	ds_write_b16 v2, v40 offset:2092
.LBB1086_104:
	s_or_b64 exec, exec, s[38:39]
	v_mov_b32_e32 v4, 0
	s_waitcnt lgkmcnt(0)
	s_barrier
	ds_read_b64 v[2:3], v4 offset:2088
	v_cndmask_b32_e64 v6, v30, v28, s[28:29]
	v_cmp_eq_u32_e32 vcc, 0, v6
	v_cndmask_b32_e64 v5, v31, v29, s[28:29]
	s_waitcnt lgkmcnt(0)
	v_cndmask_b32_e32 v7, 0, v3, vcc
	v_add_u16_e32 v5, v7, v5
	v_cndmask_b32_e64 v3, v5, v3, s[0:1]
	v_cndmask_b32_e64 v5, v6, 0, s[0:1]
	v_cmp_eq_u32_e32 vcc, 0, v82
	v_add_u32_e32 v50, v2, v5
	v_cndmask_b32_e32 v2, 0, v3, vcc
	v_add_u16_e32 v49, v2, v79
	v_cndmask_b32_e64 v2, 0, v49, s[26:27]
	v_add_u16_e32 v47, v2, v78
	v_cndmask_b32_e64 v2, 0, v47, s[24:25]
	;; [unrolled: 2-line block ×6, first 2 shown]
	v_add_u16_e32 v37, v2, v68
	v_add_u32_e32 v48, v50, v82
	v_cndmask_b32_e64 v2, 0, v37, s[14:15]
	v_add_u32_e32 v46, v48, v65
	v_add_u16_e32 v35, v2, v67
	v_add_u32_e32 v44, v46, v64
	v_cndmask_b32_e64 v2, 0, v35, s[12:13]
	v_add_u32_e32 v42, v44, v63
	;; [unrolled: 4-line block ×3, first 2 shown]
	v_add_u16_e32 v31, v2, v75
	v_add_u32_e32 v36, v38, v60
	v_cndmask_b32_e64 v2, 0, v31, s[8:9]
	s_barrier
	ds_read_b128 v[4:7], v4 offset:2048
	v_add_u32_e32 v34, v36, v59
	v_add_u16_e32 v29, v2, v73
	v_add_u32_e32 v32, v34, v58
	v_cndmask_b32_e64 v2, 0, v29, s[6:7]
	v_add_u32_e32 v30, v32, v57
	v_add_u16_e32 v27, v2, v71
	v_add_u32_e32 v28, v30, v56
	v_cndmask_b32_e64 v2, 0, v27, s[4:5]
	v_add_u32_e32 v26, v28, v55
	v_add_u16_e32 v9, v2, v69
	s_waitcnt lgkmcnt(0)
	v_cmp_eq_u32_e32 vcc, 0, v4
	v_and_b32_e32 v51, 0xffff, v3
	v_add_u32_e32 v8, v26, v54
	v_cndmask_b32_e64 v3, 0, v9, s[2:3]
	v_cndmask_b32_e32 v7, 0, v7, vcc
	v_add_u32_e32 v2, v8, v53
	v_add_u16_e32 v3, v3, v66
	v_add_u32_e32 v81, v7, v5
	s_branch .LBB1086_117
.LBB1086_105:
                                        ; implicit-def: $vgpr4
                                        ; implicit-def: $vgpr81
                                        ; implicit-def: $vgpr50_vgpr51
                                        ; implicit-def: $vgpr48_vgpr49
                                        ; implicit-def: $vgpr46_vgpr47
                                        ; implicit-def: $vgpr44_vgpr45
                                        ; implicit-def: $vgpr42_vgpr43
                                        ; implicit-def: $vgpr40_vgpr41
                                        ; implicit-def: $vgpr38_vgpr39
                                        ; implicit-def: $vgpr36_vgpr37
                                        ; implicit-def: $vgpr34_vgpr35
                                        ; implicit-def: $vgpr32_vgpr33
                                        ; implicit-def: $vgpr30_vgpr31
                                        ; implicit-def: $vgpr28_vgpr29
                                        ; implicit-def: $vgpr26_vgpr27
                                        ; implicit-def: $vgpr8_vgpr9
                                        ; implicit-def: $vgpr2_vgpr3
	s_cbranch_execz .LBB1086_117
; %bb.106:
	s_and_b64 s[2:3], s[30:31], exec
	s_cselect_b32 s3, 0, s53
	s_cselect_b32 s2, 0, s52
	s_cmp_eq_u64 s[2:3], 0
	v_mov_b32_e32 v5, v79
	s_cbranch_scc1 .LBB1086_108
; %bb.107:
	v_mov_b32_e32 v2, 0
	global_load_ushort v5, v2, s[2:3]
.LBB1086_108:
	v_cmp_eq_u32_e64 s[2:3], 0, v65
	v_cndmask_b32_e64 v2, 0, v79, s[2:3]
	v_add_u16_e32 v2, v2, v78
	v_cmp_eq_u32_e64 s[4:5], 0, v64
	v_cndmask_b32_e64 v2, 0, v2, s[4:5]
	v_add_u16_e32 v2, v2, v76
	;; [unrolled: 3-line block ×11, first 2 shown]
	v_cmp_eq_u32_e64 s[24:25], 0, v54
	v_cndmask_b32_e64 v2, 0, v2, s[24:25]
	v_add3_u32 v3, v86, v61, v60
	v_add_u16_e32 v2, v2, v69
	v_cmp_eq_u32_e32 vcc, 0, v53
	v_add3_u32 v3, v3, v59, v58
	v_cndmask_b32_e32 v2, 0, v2, vcc
	v_add3_u32 v3, v3, v57, v56
	v_add_u16_e32 v2, v2, v66
	v_cmp_eq_u32_e64 s[26:27], 0, v52
	v_add3_u32 v3, v3, v55, v54
	v_cndmask_b32_e64 v2, 0, v2, s[26:27]
	v_add3_u32 v3, v3, v53, v52
	v_add_u16_e32 v4, v2, v80
	v_mbcnt_hi_u32_b32 v2, -1, v85
	v_and_b32_e32 v6, 15, v2
	v_mov_b32_dpp v8, v4 row_shr:1 row_mask:0xf bank_mask:0xf
	v_cmp_eq_u32_e64 s[26:27], 0, v3
	v_mov_b32_dpp v7, v3 row_shr:1 row_mask:0xf bank_mask:0xf
	v_cndmask_b32_e64 v8, 0, v8, s[26:27]
	v_cmp_eq_u32_e64 s[26:27], 0, v6
	v_add_u16_e32 v8, v8, v4
	v_cndmask_b32_e64 v7, v7, 0, s[26:27]
	v_add_u32_e32 v3, v7, v3
	v_cndmask_b32_e64 v4, v8, v4, s[26:27]
	v_cmp_eq_u32_e64 s[26:27], 0, v3
	v_mov_b32_dpp v7, v3 row_shr:2 row_mask:0xf bank_mask:0xf
	v_mov_b32_dpp v8, v4 row_shr:2 row_mask:0xf bank_mask:0xf
	v_cndmask_b32_e64 v8, 0, v8, s[26:27]
	v_cmp_lt_u32_e64 s[26:27], 1, v6
	v_add_u16_e32 v8, v8, v4
	v_cndmask_b32_e64 v7, 0, v7, s[26:27]
	v_cndmask_b32_e64 v4, v4, v8, s[26:27]
	v_add_u32_e32 v3, v3, v7
	v_cmp_eq_u32_e64 s[26:27], 0, v3
	v_mov_b32_dpp v8, v4 row_shr:4 row_mask:0xf bank_mask:0xf
	v_mov_b32_dpp v7, v3 row_shr:4 row_mask:0xf bank_mask:0xf
	v_cndmask_b32_e64 v8, 0, v8, s[26:27]
	v_cmp_lt_u32_e64 s[26:27], 3, v6
	v_add_u16_e32 v8, v8, v4
	v_cndmask_b32_e64 v7, 0, v7, s[26:27]
	v_cndmask_b32_e64 v4, v4, v8, s[26:27]
	v_add_u32_e32 v3, v7, v3
	;; [unrolled: 9-line block ×3, first 2 shown]
	v_bfe_i32 v8, v2, 4, 1
	v_mov_b32_dpp v7, v4 row_bcast:15 row_mask:0xf bank_mask:0xf
	v_mov_b32_dpp v6, v3 row_bcast:15 row_mask:0xf bank_mask:0xf
	v_cmp_eq_u32_e64 s[26:27], 0, v3
	v_and_b32_e32 v9, 16, v2
	v_cndmask_b32_e64 v7, 0, v7, s[26:27]
	v_and_b32_e32 v6, v8, v6
	v_add_u16_e32 v7, v7, v4
	v_add_u32_e32 v3, v6, v3
	v_cmp_eq_u32_e64 s[26:27], 0, v9
	v_cndmask_b32_e64 v4, v7, v4, s[26:27]
	v_mov_b32_dpp v6, v3 row_bcast:31 row_mask:0xf bank_mask:0xf
	v_cmp_eq_u32_e64 s[26:27], 0, v3
	v_cmp_lt_u32_e64 s[28:29], 31, v2
	v_mov_b32_dpp v7, v4 row_bcast:31 row_mask:0xf bank_mask:0xf
	v_cndmask_b32_e64 v6, 0, v6, s[28:29]
	s_and_b64 s[26:27], s[28:29], s[26:27]
	v_add_u32_e32 v3, v6, v3
	v_cndmask_b32_e64 v6, 0, v7, s[26:27]
	v_add_u16_e32 v4, v6, v4
	v_cmp_eq_u32_e64 s[26:27], v84, v0
	v_lshlrev_b32_e32 v7, 3, v83
	s_and_saveexec_b64 s[28:29], s[26:27]
	s_cbranch_execz .LBB1086_110
; %bb.109:
	ds_write_b32 v7, v3 offset:2064
	ds_write_b16 v7, v4 offset:2068
.LBB1086_110:
	s_or_b64 exec, exec, s[28:29]
	v_cmp_gt_u32_e64 s[26:27], 4, v0
	s_waitcnt lgkmcnt(0)
	s_barrier
	s_and_saveexec_b64 s[38:39], s[26:27]
	s_cbranch_execz .LBB1086_112
; %bb.111:
	v_lshlrev_b32_e32 v6, 3, v0
	ds_read_b64 v[8:9], v6 offset:2064
	v_and_b32_e32 v24, 3, v2
	s_mov_b32 s28, 0xffff0000
	s_waitcnt lgkmcnt(0)
	v_mov_b32_dpp v26, v9 row_shr:1 row_mask:0xf bank_mask:0xf
	v_cmp_eq_u32_e64 s[26:27], 0, v8
	v_mov_b32_dpp v25, v8 row_shr:1 row_mask:0xf bank_mask:0xf
	v_cndmask_b32_e64 v26, 0, v26, s[26:27]
	v_cmp_eq_u32_e64 s[26:27], 0, v24
	v_add_u16_e32 v26, v26, v9
	v_cndmask_b32_e64 v25, v25, 0, s[26:27]
	v_and_or_b32 v27, v9, s28, v26
	v_add_u32_e32 v8, v25, v8
	v_cndmask_b32_e64 v25, v26, v9, s[26:27]
	v_cndmask_b32_e64 v9, v27, v9, s[26:27]
	v_mov_b32_dpp v26, v8 row_shr:2 row_mask:0xf bank_mask:0xf
	v_cmp_eq_u32_e64 s[26:27], 0, v8
	v_cmp_lt_u32_e64 s[28:29], 1, v24
	v_mov_b32_dpp v9, v9 row_shr:2 row_mask:0xf bank_mask:0xf
	v_cndmask_b32_e64 v24, 0, v26, s[28:29]
	s_and_b64 s[26:27], s[28:29], s[26:27]
	v_add_u32_e32 v8, v24, v8
	v_cndmask_b32_e64 v9, 0, v9, s[26:27]
	v_add_u16_e32 v9, v25, v9
	ds_write_b32 v6, v8 offset:2064
	ds_write_b16 v6, v9 offset:2068
.LBB1086_112:
	s_or_b64 exec, exec, s[38:39]
	v_cmp_lt_u32_e64 s[26:27], 63, v0
	v_mov_b32_e32 v6, 0
	v_mov_b32_e32 v8, 0
	s_waitcnt vmcnt(0)
	v_mov_b32_e32 v9, v5
	s_waitcnt lgkmcnt(0)
	s_barrier
	s_and_saveexec_b64 s[28:29], s[26:27]
	s_cbranch_execz .LBB1086_114
; %bb.113:
	ds_read_b32 v8, v7 offset:2056
	ds_read_u16 v7, v7 offset:2060
	s_waitcnt lgkmcnt(1)
	v_cmp_eq_u32_e64 s[26:27], 0, v8
	v_cndmask_b32_e64 v9, 0, v5, s[26:27]
	s_waitcnt lgkmcnt(0)
	v_add_u16_e32 v9, v9, v7
.LBB1086_114:
	s_or_b64 exec, exec, s[28:29]
	v_cmp_eq_u32_e64 s[26:27], 0, v3
	v_add_u32_e32 v7, v8, v3
	v_cndmask_b32_e64 v3, 0, v9, s[26:27]
	v_add_u16_e32 v3, v3, v4
	v_add_u32_e32 v4, -1, v2
	v_and_b32_e32 v24, 64, v2
	v_cmp_lt_i32_e64 s[26:27], v4, v24
	v_cndmask_b32_e64 v4, v4, v2, s[26:27]
	v_lshlrev_b32_e32 v4, 2, v4
	ds_bpermute_b32 v3, v4, v3
	ds_bpermute_b32 v7, v4, v7
	v_cmp_eq_u32_e64 s[26:27], 0, v2
	ds_read_b32 v4, v6 offset:2088
	ds_read_u16 v6, v6 offset:2092
	s_waitcnt lgkmcnt(3)
	v_cndmask_b32_e64 v3, v3, v9, s[26:27]
	s_waitcnt lgkmcnt(2)
	v_cndmask_b32_e64 v2, v7, v8, s[26:27]
	v_cndmask_b32_e64 v3, v3, v5, s[0:1]
	v_cmp_eq_u32_e64 s[26:27], 0, v82
	v_cndmask_b32_e64 v50, v2, 0, s[0:1]
	v_cndmask_b32_e64 v2, 0, v3, s[26:27]
	v_add_u16_e32 v49, v2, v79
	v_cndmask_b32_e64 v2, 0, v49, s[2:3]
	v_add_u16_e32 v47, v2, v78
	;; [unrolled: 2-line block ×7, first 2 shown]
	v_cndmask_b32_e64 v2, 0, v37, s[14:15]
	v_add_u32_e32 v48, v50, v82
	v_add_u16_e32 v35, v2, v67
	v_add_u32_e32 v46, v48, v65
	v_cndmask_b32_e64 v2, 0, v35, s[16:17]
	v_add_u32_e32 v44, v46, v64
	v_add_u16_e32 v33, v2, v77
	v_add_u32_e32 v42, v44, v63
	;; [unrolled: 4-line block ×5, first 2 shown]
	v_cndmask_b32_e64 v2, 0, v27, s[24:25]
	v_add_u32_e32 v28, v30, v56
	v_add_u16_e32 v9, v2, v69
	v_and_b32_e32 v51, 0xffff, v3
	v_add_u32_e32 v26, v28, v55
	v_cndmask_b32_e32 v3, 0, v9, vcc
	s_waitcnt lgkmcnt(1)
	v_cmp_eq_u32_e32 vcc, 0, v4
	v_add_u32_e32 v8, v26, v54
	v_cndmask_b32_e32 v5, 0, v5, vcc
	v_add_u32_e32 v2, v8, v53
	v_add_u16_e32 v3, v3, v66
	s_waitcnt lgkmcnt(0)
	v_add_u16_e32 v81, v5, v6
	s_and_saveexec_b64 s[2:3], s[0:1]
	s_cbranch_execz .LBB1086_116
; %bb.115:
	s_add_u32 s4, s36, 0x400
	s_addc_u32 s5, s37, 0
	v_and_b32_e32 v5, 0xff00, v81
	v_mov_b32_e32 v7, 0
	v_or_b32_sdwa v5, v5, v81 dst_sel:DWORD dst_unused:UNUSED_PAD src0_sel:DWORD src1_sel:BYTE_0
	v_mov_b32_e32 v6, 2
	v_pk_mov_b32 v[24:25], s[4:5], s[4:5] op_sel:[0,1]
	;;#ASMSTART
	global_store_dwordx4 v[24:25], v[4:7] off	
s_waitcnt vmcnt(0)
	;;#ASMEND
.LBB1086_116:
	s_or_b64 exec, exec, s[2:3]
	v_mov_b32_e32 v6, 0
.LBB1086_117:
	s_and_b64 s[2:3], s[30:31], exec
	s_cselect_b32 s3, 0, s51
	s_cselect_b32 s2, 0, s50
	s_cmp_eq_u64 s[2:3], 0
	v_pk_mov_b32 v[24:25], 0, 0
	s_barrier
	s_cbranch_scc1 .LBB1086_119
; %bb.118:
	v_mov_b32_e32 v5, 0
	global_load_dwordx2 v[24:25], v5, s[2:3]
.LBB1086_119:
	s_movk_i32 s38, 0x100
	v_cmp_gt_u32_e32 vcc, s38, v4
	s_cbranch_vccnz .LBB1086_168
; %bb.120:
	v_cmp_eq_u32_e64 s[28:29], 0, v65
	v_cndmask_b32_e64 v77, 1, 2, s[28:29]
	v_cmp_eq_u32_e64 s[28:29], 0, v82
	v_cmp_eq_u32_e64 s[26:27], 0, v64
	v_cndmask_b32_e64 v78, 1, 2, s[28:29]
	v_cmp_eq_u32_e64 s[24:25], 0, v63
	v_cndmask_b32_e64 v76, 1, 2, s[26:27]
	v_and_b32_e32 v77, v77, v78
	v_cmp_eq_u32_e64 s[22:23], 0, v62
	v_cndmask_b32_e64 v75, 1, 2, s[24:25]
	v_and_b32_e32 v76, v77, v76
	;; [unrolled: 3-line block ×11, first 2 shown]
	v_cmp_eq_u32_e32 vcc, 0, v52
	v_cndmask_b32_e64 v7, 1, 2, s[2:3]
	v_and_b32_e32 v66, v67, v66
	v_cndmask_b32_e64 v5, 1, 2, vcc
	v_and_b32_e32 v7, v66, v7
	v_and_b32_e32 v5, v7, v5
	v_cmp_ne_u32_e64 s[20:21], 0, v82
	v_cmp_ne_u32_e32 vcc, 0, v53
	v_cmp_ne_u32_e64 s[2:3], 0, v54
	v_cmp_ne_u32_e64 s[4:5], 0, v55
	;; [unrolled: 1-line block ×12, first 2 shown]
	v_cmp_gt_i16_e64 s[28:29], 2, v5
	s_and_saveexec_b64 s[30:31], s[28:29]
	s_cbranch_execz .LBB1086_167
; %bb.121:
	v_cmp_ne_u16_e64 s[28:29], 1, v5
	s_mov_b64 s[36:37], 0
	s_and_saveexec_b64 s[42:43], s[28:29]
	s_xor_b64 s[28:29], exec, s[42:43]
	s_cbranch_execz .LBB1086_145
; %bb.122:
	s_and_saveexec_b64 s[36:37], s[20:21]
	s_cbranch_execz .LBB1086_150
; %bb.123:
	v_sub_u32_e32 v5, v50, v6
	v_lshlrev_b32_e32 v5, 2, v5
	ds_write_b32 v5, v22
	s_or_b64 exec, exec, s[36:37]
	s_and_saveexec_b64 s[20:21], s[26:27]
	s_cbranch_execnz .LBB1086_151
.LBB1086_124:
	s_or_b64 exec, exec, s[20:21]
	s_and_saveexec_b64 s[20:21], s[24:25]
	s_cbranch_execz .LBB1086_152
.LBB1086_125:
	v_sub_u32_e32 v5, v46, v6
	v_lshlrev_b32_e32 v5, 2, v5
	ds_write_b32 v5, v20
	s_or_b64 exec, exec, s[20:21]
	s_and_saveexec_b64 s[20:21], s[22:23]
	s_cbranch_execnz .LBB1086_153
.LBB1086_126:
	s_or_b64 exec, exec, s[20:21]
	s_and_saveexec_b64 s[20:21], s[18:19]
	s_cbranch_execz .LBB1086_154
.LBB1086_127:
	v_sub_u32_e32 v5, v42, v6
	v_lshlrev_b32_e32 v5, 2, v5
	ds_write_b32 v5, v18
	s_or_b64 exec, exec, s[20:21]
	s_and_saveexec_b64 s[18:19], s[16:17]
	s_cbranch_execnz .LBB1086_155
.LBB1086_128:
	s_or_b64 exec, exec, s[18:19]
	s_and_saveexec_b64 s[16:17], s[14:15]
	s_cbranch_execz .LBB1086_156
.LBB1086_129:
	v_sub_u32_e32 v5, v38, v6
	v_lshlrev_b32_e32 v5, 2, v5
	ds_write_b32 v5, v16
	s_or_b64 exec, exec, s[16:17]
	s_and_saveexec_b64 s[14:15], s[12:13]
	s_cbranch_execnz .LBB1086_157
.LBB1086_130:
	s_or_b64 exec, exec, s[14:15]
	s_and_saveexec_b64 s[12:13], s[10:11]
	s_cbranch_execz .LBB1086_158
.LBB1086_131:
	v_sub_u32_e32 v5, v34, v6
	v_lshlrev_b32_e32 v5, 2, v5
	ds_write_b32 v5, v14
	s_or_b64 exec, exec, s[12:13]
	s_and_saveexec_b64 s[10:11], s[8:9]
	s_cbranch_execnz .LBB1086_159
.LBB1086_132:
	s_or_b64 exec, exec, s[10:11]
	s_and_saveexec_b64 s[8:9], s[6:7]
	s_cbranch_execz .LBB1086_160
.LBB1086_133:
	v_sub_u32_e32 v5, v30, v6
	v_lshlrev_b32_e32 v5, 2, v5
	ds_write_b32 v5, v12
	s_or_b64 exec, exec, s[8:9]
	s_and_saveexec_b64 s[6:7], s[4:5]
	s_cbranch_execnz .LBB1086_161
.LBB1086_134:
	s_or_b64 exec, exec, s[6:7]
	s_and_saveexec_b64 s[4:5], s[2:3]
	s_cbranch_execz .LBB1086_162
.LBB1086_135:
	v_sub_u32_e32 v5, v26, v6
	v_lshlrev_b32_e32 v5, 2, v5
	ds_write_b32 v5, v10
	s_or_b64 exec, exec, s[4:5]
	v_cmp_ne_u32_e64 s[2:3], 0, v52
	s_and_saveexec_b64 s[4:5], vcc
	s_cbranch_execnz .LBB1086_163
	s_branch .LBB1086_164
.LBB1086_136:
                                        ; implicit-def: $sgpr4_sgpr5
                                        ; implicit-def: $vgpr52
                                        ; implicit-def: $vgpr53
                                        ; implicit-def: $vgpr54
                                        ; implicit-def: $vgpr55
                                        ; implicit-def: $vgpr56
                                        ; implicit-def: $vgpr57
                                        ; implicit-def: $vgpr58
                                        ; implicit-def: $vgpr59
                                        ; implicit-def: $vgpr60
                                        ; implicit-def: $vgpr61
                                        ; implicit-def: $vgpr62
                                        ; implicit-def: $vgpr63
                                        ; implicit-def: $vgpr64
                                        ; implicit-def: $vgpr65
	s_cbranch_execz .LBB1086_74
; %bb.137:
	v_cmp_ne_u32_e32 vcc, v23, v50
	v_cndmask_b32_e64 v65, 0, 1, vcc
	v_cmp_ne_u32_e32 vcc, v23, v51
	v_cndmask_b32_e64 v64, 0, 1, vcc
	;; [unrolled: 2-line block ×14, first 2 shown]
	ds_write_b32 v81, v1
	s_waitcnt lgkmcnt(0)
	s_barrier
	s_waitcnt lgkmcnt(0)
                                        ; implicit-def: $sgpr4_sgpr5
	s_and_saveexec_b64 s[8:9], s[2:3]
	s_xor_b64 s[8:9], exec, s[8:9]
	s_cbranch_execz .LBB1086_139
; %bb.138:
	v_add_u32_e32 v7, -4, v81
	ds_read_b32 v7, v7
	s_or_b64 s[56:57], s[56:57], exec
	s_waitcnt lgkmcnt(0)
	v_cmp_ne_u32_e32 vcc, v7, v22
	s_and_b64 s[4:5], vcc, exec
.LBB1086_139:
	s_or_b64 exec, exec, s[8:9]
	s_mov_b32 s10, 1
	s_branch .LBB1086_76
.LBB1086_140:
	s_mul_hi_u32 s5, s54, 0xfffff100
	s_mul_i32 s4, s55, 0xfffff100
	s_sub_i32 s5, s5, s54
	s_add_i32 s5, s5, s4
	s_mul_i32 s4, s54, 0xfffff100
	s_add_u32 s42, s4, s48
	s_addc_u32 s43, s5, s49
	s_and_b64 vcc, exec, s[6:7]
	v_cmp_ne_u32_e64 s[30:31], v11, v1
	v_cmp_ne_u32_e64 s[28:29], v10, v11
	;; [unrolled: 1-line block ×14, first 2 shown]
	s_cbranch_vccz .LBB1086_147
; %bb.141:
	v_add_co_u32_e32 v44, vcc, -4, v3
	v_addc_co_u32_e32 v45, vcc, -1, v5, vcc
	flat_load_dword v46, v[44:45]
	v_mov_b32_e32 v3, 0
	v_cmp_gt_u64_e32 vcc, s[42:43], v[2:3]
	v_mov_b32_e32 v43, v3
	s_and_b64 s[30:31], vcc, s[30:31]
	v_cmp_gt_u64_e32 vcc, s[42:43], v[42:43]
	v_mov_b32_e32 v41, v3
	s_and_b64 s[28:29], vcc, s[28:29]
	v_cmp_gt_u64_e32 vcc, s[42:43], v[40:41]
	v_mov_b32_e32 v39, v3
	s_and_b64 s[26:27], vcc, s[26:27]
	v_cmp_gt_u64_e32 vcc, s[42:43], v[38:39]
	v_mov_b32_e32 v37, v3
	s_and_b64 s[24:25], vcc, s[24:25]
	v_cmp_gt_u64_e32 vcc, s[42:43], v[36:37]
	v_mov_b32_e32 v35, v3
	s_and_b64 s[22:23], vcc, s[22:23]
	v_cmp_gt_u64_e32 vcc, s[42:43], v[34:35]
	v_mov_b32_e32 v33, v3
	s_and_b64 s[20:21], vcc, s[20:21]
	v_cmp_gt_u64_e32 vcc, s[42:43], v[32:33]
	v_mov_b32_e32 v31, v3
	s_and_b64 s[18:19], vcc, s[18:19]
	v_cmp_gt_u64_e32 vcc, s[42:43], v[30:31]
	v_mov_b32_e32 v29, v3
	s_and_b64 s[16:17], vcc, s[16:17]
	v_cmp_gt_u64_e32 vcc, s[42:43], v[28:29]
	v_mov_b32_e32 v27, v3
	s_and_b64 s[14:15], vcc, s[14:15]
	v_cmp_gt_u64_e32 vcc, s[42:43], v[26:27]
	v_mov_b32_e32 v25, v3
	s_and_b64 s[12:13], vcc, s[12:13]
	v_cmp_gt_u64_e32 vcc, s[42:43], v[24:25]
	v_mov_b32_e32 v9, v3
	s_and_b64 s[10:11], vcc, s[10:11]
	v_cmp_gt_u64_e32 vcc, s[42:43], v[8:9]
	v_mov_b32_e32 v7, v3
	s_and_b64 s[8:9], vcc, s[8:9]
	v_cmp_gt_u64_e32 vcc, s[42:43], v[6:7]
	v_mov_b32_e32 v5, v3
	s_and_b64 s[6:7], vcc, s[6:7]
	v_cmp_gt_u64_e32 vcc, s[42:43], v[4:5]
	v_mul_u32_u24_e32 v44, 15, v0
	s_and_b64 s[4:5], vcc, s[4:5]
	ds_write_b32 v81, v1
	s_waitcnt lgkmcnt(0)
	s_barrier
	s_and_saveexec_b64 s[48:49], s[2:3]
	s_cbranch_execz .LBB1086_143
; %bb.142:
	v_add_u32_e32 v5, -4, v81
	s_waitcnt vmcnt(0)
	ds_read_b32 v46, v5
.LBB1086_143:
	s_or_b64 exec, exec, s[48:49]
	v_mov_b32_e32 v45, v3
	v_cndmask_b32_e64 v65, 0, 1, s[4:5]
	v_cmp_gt_u64_e32 vcc, s[42:43], v[44:45]
	s_waitcnt vmcnt(0) lgkmcnt(0)
	v_cmp_ne_u32_e64 s[4:5], v46, v22
	v_cndmask_b32_e64 v52, 0, 1, s[30:31]
	v_cndmask_b32_e64 v53, 0, 1, s[28:29]
	v_cndmask_b32_e64 v54, 0, 1, s[26:27]
	v_cndmask_b32_e64 v55, 0, 1, s[24:25]
	v_cndmask_b32_e64 v56, 0, 1, s[22:23]
	v_cndmask_b32_e64 v57, 0, 1, s[20:21]
	v_cndmask_b32_e64 v58, 0, 1, s[18:19]
	v_cndmask_b32_e64 v59, 0, 1, s[16:17]
	v_cndmask_b32_e64 v60, 0, 1, s[14:15]
	v_cndmask_b32_e64 v61, 0, 1, s[12:13]
	v_cndmask_b32_e64 v62, 0, 1, s[10:11]
	v_cndmask_b32_e64 v63, 0, 1, s[8:9]
	v_cndmask_b32_e64 v64, 0, 1, s[6:7]
	s_and_b64 s[4:5], vcc, s[4:5]
	s_mov_b64 s[56:57], -1
.LBB1086_144:
                                        ; implicit-def: $sgpr10
	v_mov_b32_e32 v82, s10
	s_and_saveexec_b64 s[2:3], s[56:57]
	s_cbranch_execnz .LBB1086_77
	s_branch .LBB1086_78
.LBB1086_145:
	s_andn2_saveexec_b64 s[2:3], s[28:29]
	s_cbranch_execz .LBB1086_165
.LBB1086_146:
	v_sub_u32_e32 v5, v50, v6
	v_lshlrev_b32_e32 v5, 2, v5
	ds_write_b32 v5, v22
	v_sub_u32_e32 v5, v48, v6
	v_lshlrev_b32_e32 v5, 2, v5
	ds_write_b32 v5, v23
	;; [unrolled: 3-line block ×13, first 2 shown]
	v_sub_u32_e32 v5, v8, v6
	v_lshlrev_b32_e32 v5, 2, v5
	s_or_b64 s[36:37], s[36:37], exec
	ds_write_b32 v5, v11
	s_or_b64 exec, exec, s[2:3]
	s_and_b64 exec, exec, s[36:37]
	s_cbranch_execnz .LBB1086_166
	s_branch .LBB1086_167
.LBB1086_147:
                                        ; implicit-def: $sgpr4_sgpr5
                                        ; implicit-def: $vgpr52
                                        ; implicit-def: $vgpr53
                                        ; implicit-def: $vgpr54
                                        ; implicit-def: $vgpr55
                                        ; implicit-def: $vgpr56
                                        ; implicit-def: $vgpr57
                                        ; implicit-def: $vgpr58
                                        ; implicit-def: $vgpr59
                                        ; implicit-def: $vgpr60
                                        ; implicit-def: $vgpr61
                                        ; implicit-def: $vgpr62
                                        ; implicit-def: $vgpr63
                                        ; implicit-def: $vgpr64
                                        ; implicit-def: $vgpr65
	s_cbranch_execz .LBB1086_144
; %bb.148:
	v_mov_b32_e32 v3, 0
	v_cmp_gt_u64_e32 vcc, s[42:43], v[2:3]
	v_cmp_ne_u32_e64 s[4:5], v11, v1
	s_and_b64 s[4:5], vcc, s[4:5]
	v_mov_b32_e32 v43, v3
	v_cndmask_b32_e64 v52, 0, 1, s[4:5]
	v_cmp_gt_u64_e32 vcc, s[42:43], v[42:43]
	v_cmp_ne_u32_e64 s[4:5], v10, v11
	s_and_b64 s[4:5], vcc, s[4:5]
	v_mov_b32_e32 v41, v3
	v_cndmask_b32_e64 v53, 0, 1, s[4:5]
	;; [unrolled: 5-line block ×13, first 2 shown]
	v_cmp_gt_u64_e32 vcc, s[42:43], v[4:5]
	v_cmp_ne_u32_e64 s[4:5], v22, v23
	s_and_b64 s[4:5], vcc, s[4:5]
	s_mov_b32 s10, 1
	v_cndmask_b32_e64 v65, 0, 1, s[4:5]
	ds_write_b32 v81, v1
	s_waitcnt lgkmcnt(0)
	s_barrier
	s_waitcnt lgkmcnt(0)
                                        ; implicit-def: $sgpr4_sgpr5
	s_and_saveexec_b64 s[6:7], s[2:3]
	s_cbranch_execz .LBB1086_187
; %bb.149:
	v_add_u32_e32 v2, -4, v81
	ds_read_b32 v4, v2
	v_mul_u32_u24_e32 v2, 15, v0
	v_cmp_gt_u64_e32 vcc, s[42:43], v[2:3]
	s_or_b64 s[56:57], s[56:57], exec
	s_waitcnt lgkmcnt(0)
	v_cmp_ne_u32_e64 s[2:3], v4, v22
	s_and_b64 s[2:3], vcc, s[2:3]
	s_and_b64 s[4:5], s[2:3], exec
	s_or_b64 exec, exec, s[6:7]
	v_mov_b32_e32 v82, s10
	s_and_saveexec_b64 s[2:3], s[56:57]
	s_cbranch_execz .LBB1086_78
	s_branch .LBB1086_77
.LBB1086_150:
	s_or_b64 exec, exec, s[36:37]
	s_and_saveexec_b64 s[20:21], s[26:27]
	s_cbranch_execz .LBB1086_124
.LBB1086_151:
	v_sub_u32_e32 v5, v48, v6
	v_lshlrev_b32_e32 v5, 2, v5
	ds_write_b32 v5, v23
	s_or_b64 exec, exec, s[20:21]
	s_and_saveexec_b64 s[20:21], s[24:25]
	s_cbranch_execnz .LBB1086_125
.LBB1086_152:
	s_or_b64 exec, exec, s[20:21]
	s_and_saveexec_b64 s[20:21], s[22:23]
	s_cbranch_execz .LBB1086_126
.LBB1086_153:
	v_sub_u32_e32 v5, v44, v6
	v_lshlrev_b32_e32 v5, 2, v5
	ds_write_b32 v5, v21
	s_or_b64 exec, exec, s[20:21]
	s_and_saveexec_b64 s[20:21], s[18:19]
	s_cbranch_execnz .LBB1086_127
.LBB1086_154:
	s_or_b64 exec, exec, s[20:21]
	s_and_saveexec_b64 s[18:19], s[16:17]
	s_cbranch_execz .LBB1086_128
.LBB1086_155:
	v_sub_u32_e32 v5, v40, v6
	v_lshlrev_b32_e32 v5, 2, v5
	ds_write_b32 v5, v19
	s_or_b64 exec, exec, s[18:19]
	s_and_saveexec_b64 s[16:17], s[14:15]
	s_cbranch_execnz .LBB1086_129
.LBB1086_156:
	s_or_b64 exec, exec, s[16:17]
	s_and_saveexec_b64 s[14:15], s[12:13]
	s_cbranch_execz .LBB1086_130
.LBB1086_157:
	v_sub_u32_e32 v5, v36, v6
	v_lshlrev_b32_e32 v5, 2, v5
	ds_write_b32 v5, v17
	s_or_b64 exec, exec, s[14:15]
	s_and_saveexec_b64 s[12:13], s[10:11]
	s_cbranch_execnz .LBB1086_131
.LBB1086_158:
	s_or_b64 exec, exec, s[12:13]
	s_and_saveexec_b64 s[10:11], s[8:9]
	s_cbranch_execz .LBB1086_132
.LBB1086_159:
	v_sub_u32_e32 v5, v32, v6
	v_lshlrev_b32_e32 v5, 2, v5
	ds_write_b32 v5, v15
	s_or_b64 exec, exec, s[10:11]
	s_and_saveexec_b64 s[8:9], s[6:7]
	s_cbranch_execnz .LBB1086_133
.LBB1086_160:
	s_or_b64 exec, exec, s[8:9]
	s_and_saveexec_b64 s[6:7], s[4:5]
	s_cbranch_execz .LBB1086_134
.LBB1086_161:
	v_sub_u32_e32 v5, v28, v6
	v_lshlrev_b32_e32 v5, 2, v5
	ds_write_b32 v5, v13
	s_or_b64 exec, exec, s[6:7]
	s_and_saveexec_b64 s[4:5], s[2:3]
	s_cbranch_execnz .LBB1086_135
.LBB1086_162:
	s_or_b64 exec, exec, s[4:5]
	v_cmp_ne_u32_e64 s[2:3], 0, v52
	s_and_saveexec_b64 s[4:5], vcc
	s_cbranch_execz .LBB1086_164
.LBB1086_163:
	v_sub_u32_e32 v5, v8, v6
	v_lshlrev_b32_e32 v5, 2, v5
	ds_write_b32 v5, v11
.LBB1086_164:
	s_or_b64 exec, exec, s[4:5]
	s_and_b64 s[36:37], s[2:3], exec
                                        ; implicit-def: $vgpr10
                                        ; implicit-def: $vgpr12
                                        ; implicit-def: $vgpr14
                                        ; implicit-def: $vgpr16
                                        ; implicit-def: $vgpr18
                                        ; implicit-def: $vgpr20
                                        ; implicit-def: $vgpr22
	s_andn2_saveexec_b64 s[2:3], s[28:29]
	s_cbranch_execnz .LBB1086_146
.LBB1086_165:
	s_or_b64 exec, exec, s[2:3]
	s_and_b64 exec, exec, s[36:37]
	s_cbranch_execz .LBB1086_167
.LBB1086_166:
	v_sub_u32_e32 v5, v2, v6
	v_lshlrev_b32_e32 v5, 2, v5
	ds_write_b32 v5, v1
.LBB1086_167:
	s_or_b64 exec, exec, s[30:31]
	s_waitcnt lgkmcnt(0)
	s_barrier
.LBB1086_168:
	s_cmpk_lg_i32 s33, 0xf00
	s_cselect_b64 s[2:3], -1, 0
	s_and_b64 s[0:1], s[0:1], s[34:35]
	v_cndmask_b32_e64 v11, v82, 0, s[0:1]
	s_mul_hi_u32 s0, s33, 0x88888889
	s_lshr_b32 s0, s0, 3
	v_mad_i32_i24 v12, v0, -15, s33
	v_cmp_eq_u32_e32 vcc, s0, v0
	v_cmp_ne_u32_e64 s[0:1], 0, v12
	v_cndmask_b32_e64 v13, 1, v11, s[0:1]
	v_cmp_ne_u32_e64 s[0:1], 1, v12
	v_cndmask_b32_e64 v14, 1, v65, s[0:1]
	;; [unrolled: 2-line block ×15, first 2 shown]
	s_and_b64 vcc, vcc, s[40:41]
	v_cndmask_b32_e32 v52, v52, v12, vcc
	v_cndmask_b32_e32 v20, v59, v20, vcc
	;; [unrolled: 1-line block ×3, first 2 shown]
	s_waitcnt vmcnt(0)
	v_lshlrev_b64 v[12:13], 1, v[24:25]
	v_mov_b32_e32 v7, 0
	v_cndmask_b32_e32 v53, v53, v68, vcc
	v_cndmask_b32_e32 v54, v54, v67, vcc
	v_cndmask_b32_e32 v55, v55, v66, vcc
	v_cndmask_b32_e32 v23, v56, v23, vcc
	v_cndmask_b32_e32 v22, v57, v22, vcc
	v_cndmask_b32_e32 v21, v58, v21, vcc
	v_cndmask_b32_e32 v19, v60, v19, vcc
	v_cndmask_b32_e32 v18, v61, v18, vcc
	v_cndmask_b32_e32 v17, v62, v17, vcc
	v_cndmask_b32_e32 v56, v63, v16, vcc
	v_cndmask_b32_e32 v57, v64, v15, vcc
	v_cndmask_b32_e32 v58, v65, v14, vcc
	v_mov_b32_e32 v11, s45
	v_add_co_u32_e32 v14, vcc, s44, v12
	v_addc_co_u32_e32 v11, vcc, v11, v13, vcc
	v_lshlrev_b64 v[12:13], 1, v[6:7]
	v_cndmask_b32_e64 v1, 0, 1, s[34:35]
	v_add_co_u32_e32 v7, vcc, v14, v12
	v_addc_co_u32_e32 v14, vcc, v11, v13, vcc
	v_lshlrev_b32_e32 v11, 1, v1
	v_add_co_u32_e32 v11, vcc, v11, v7
	v_addc_co_u32_e32 v12, vcc, 0, v14, vcc
	v_add_co_u32_e32 v15, vcc, -2, v11
	v_addc_co_u32_e32 v16, vcc, -1, v12, vcc
	v_cmp_eq_u32_e32 vcc, 0, v59
	v_cndmask_b32_e64 v12, 1, 2, vcc
	v_cmp_eq_u32_e32 vcc, 0, v58
	v_cndmask_b32_e64 v13, 1, 2, vcc
	v_cmp_eq_u32_e32 vcc, 0, v57
	v_and_b32_e32 v12, v13, v12
	v_cndmask_b32_e64 v13, 1, 2, vcc
	v_cmp_eq_u32_e32 vcc, 0, v56
	v_and_b32_e32 v12, v12, v13
	;; [unrolled: 3-line block ×10, first 2 shown]
	v_cndmask_b32_e64 v13, 1, 2, vcc
	v_cmp_eq_u32_e32 vcc, 0, v54
	s_and_b64 s[2:3], s[2:3], s[40:41]
	v_and_b32_e32 v12, v12, v13
	v_cndmask_b32_e64 v13, 1, 2, vcc
	v_cmp_eq_u32_e32 vcc, 0, v53
	v_sub_u32_e32 v5, v4, v1
	v_cndmask_b32_e64 v10, 0, 1, s[2:3]
	v_and_b32_e32 v12, v12, v13
	v_cndmask_b32_e64 v13, 1, 2, vcc
	v_cmp_eq_u32_e32 vcc, 0, v52
	v_add_u32_e32 v5, v5, v10
	v_and_b32_e32 v12, v12, v13
	v_cndmask_b32_e64 v13, 1, 2, vcc
	v_and_b32_e32 v12, v12, v13
	v_cmp_gt_u32_e32 vcc, s38, v5
	v_add_u32_e32 v11, v6, v1
	v_cmp_ne_u32_e64 s[28:29], 0, v59
	v_cmp_ne_u32_e64 s[26:27], 0, v58
	;; [unrolled: 1-line block ×15, first 2 shown]
	s_mov_b64 s[34:35], -1
	v_cmp_gt_i16_e64 s[30:31], 2, v12
	s_barrier
	s_cbranch_vccz .LBB1086_206
; %bb.169:
	s_and_saveexec_b64 s[34:35], s[30:31]
	s_cbranch_execz .LBB1086_205
; %bb.170:
	v_cmp_ne_u16_e32 vcc, 1, v12
	s_mov_b64 s[36:37], 0
	s_and_saveexec_b64 s[30:31], vcc
	s_xor_b64 s[30:31], exec, s[30:31]
	s_cbranch_execz .LBB1086_185
; %bb.171:
	s_and_saveexec_b64 s[36:37], s[28:29]
	s_cbranch_execz .LBB1086_188
; %bb.172:
	v_sub_u32_e32 v18, v50, v11
	v_mov_b32_e32 v19, 0
	v_lshlrev_b64 v[18:19], 1, v[18:19]
	v_add_co_u32_e32 v18, vcc, v15, v18
	v_addc_co_u32_e32 v19, vcc, v16, v19, vcc
	global_store_short v[18:19], v51, off
	s_or_b64 exec, exec, s[36:37]
	s_and_saveexec_b64 s[36:37], s[26:27]
	s_cbranch_execnz .LBB1086_189
.LBB1086_173:
	s_or_b64 exec, exec, s[36:37]
	s_and_saveexec_b64 s[36:37], s[24:25]
	s_cbranch_execz .LBB1086_190
.LBB1086_174:
	v_sub_u32_e32 v18, v46, v11
	v_mov_b32_e32 v19, 0
	v_lshlrev_b64 v[18:19], 1, v[18:19]
	v_add_co_u32_e32 v18, vcc, v15, v18
	v_addc_co_u32_e32 v19, vcc, v16, v19, vcc
	global_store_short v[18:19], v47, off
	s_or_b64 exec, exec, s[36:37]
	s_and_saveexec_b64 s[36:37], s[22:23]
	s_cbranch_execnz .LBB1086_191
.LBB1086_175:
	s_or_b64 exec, exec, s[36:37]
	s_and_saveexec_b64 s[36:37], s[20:21]
	s_cbranch_execz .LBB1086_192
.LBB1086_176:
	v_sub_u32_e32 v18, v42, v11
	v_mov_b32_e32 v19, 0
	v_lshlrev_b64 v[18:19], 1, v[18:19]
	v_add_co_u32_e32 v18, vcc, v15, v18
	v_addc_co_u32_e32 v19, vcc, v16, v19, vcc
	global_store_short v[18:19], v43, off
	s_or_b64 exec, exec, s[36:37]
	s_and_saveexec_b64 s[36:37], s[18:19]
	s_cbranch_execnz .LBB1086_193
.LBB1086_177:
	s_or_b64 exec, exec, s[36:37]
	s_and_saveexec_b64 s[36:37], s[16:17]
	s_cbranch_execz .LBB1086_194
.LBB1086_178:
	v_sub_u32_e32 v18, v38, v11
	v_mov_b32_e32 v19, 0
	v_lshlrev_b64 v[18:19], 1, v[18:19]
	v_add_co_u32_e32 v18, vcc, v15, v18
	v_addc_co_u32_e32 v19, vcc, v16, v19, vcc
	global_store_short v[18:19], v39, off
	s_or_b64 exec, exec, s[36:37]
	s_and_saveexec_b64 s[36:37], s[14:15]
	s_cbranch_execnz .LBB1086_195
.LBB1086_179:
	s_or_b64 exec, exec, s[36:37]
	s_and_saveexec_b64 s[36:37], s[12:13]
	s_cbranch_execz .LBB1086_196
.LBB1086_180:
	v_sub_u32_e32 v18, v34, v11
	v_mov_b32_e32 v19, 0
	v_lshlrev_b64 v[18:19], 1, v[18:19]
	v_add_co_u32_e32 v18, vcc, v15, v18
	v_addc_co_u32_e32 v19, vcc, v16, v19, vcc
	global_store_short v[18:19], v35, off
	s_or_b64 exec, exec, s[36:37]
	s_and_saveexec_b64 s[36:37], s[10:11]
	s_cbranch_execnz .LBB1086_197
.LBB1086_181:
	s_or_b64 exec, exec, s[36:37]
	s_and_saveexec_b64 s[36:37], s[8:9]
	s_cbranch_execz .LBB1086_198
.LBB1086_182:
	v_sub_u32_e32 v18, v30, v11
	v_mov_b32_e32 v19, 0
	v_lshlrev_b64 v[18:19], 1, v[18:19]
	v_add_co_u32_e32 v18, vcc, v15, v18
	v_addc_co_u32_e32 v19, vcc, v16, v19, vcc
	global_store_short v[18:19], v31, off
	s_or_b64 exec, exec, s[36:37]
	s_and_saveexec_b64 s[36:37], s[6:7]
	s_cbranch_execnz .LBB1086_199
.LBB1086_183:
	s_or_b64 exec, exec, s[36:37]
	s_and_saveexec_b64 s[36:37], s[4:5]
	s_cbranch_execz .LBB1086_200
.LBB1086_184:
	v_sub_u32_e32 v18, v26, v11
	v_mov_b32_e32 v19, 0
	v_lshlrev_b64 v[18:19], 1, v[18:19]
	v_add_co_u32_e32 v18, vcc, v15, v18
	v_addc_co_u32_e32 v19, vcc, v16, v19, vcc
	global_store_short v[18:19], v27, off
	s_or_b64 exec, exec, s[36:37]
	s_and_saveexec_b64 s[36:37], s[2:3]
	s_cbranch_execnz .LBB1086_201
	s_branch .LBB1086_202
.LBB1086_185:
	s_andn2_saveexec_b64 s[30:31], s[30:31]
	s_cbranch_execz .LBB1086_203
.LBB1086_186:
	v_sub_u32_e32 v18, v50, v11
	v_mov_b32_e32 v19, 0
	v_lshlrev_b64 v[20:21], 1, v[18:19]
	v_add_co_u32_e32 v20, vcc, v15, v20
	v_addc_co_u32_e32 v21, vcc, v16, v21, vcc
	v_sub_u32_e32 v18, v48, v11
	global_store_short v[20:21], v51, off
	v_lshlrev_b64 v[20:21], 1, v[18:19]
	v_add_co_u32_e32 v20, vcc, v15, v20
	v_addc_co_u32_e32 v21, vcc, v16, v21, vcc
	v_sub_u32_e32 v18, v46, v11
	global_store_short v[20:21], v49, off
	;; [unrolled: 5-line block ×12, first 2 shown]
	v_lshlrev_b64 v[20:21], 1, v[18:19]
	v_add_co_u32_e32 v20, vcc, v15, v20
	v_sub_u32_e32 v18, v8, v11
	v_addc_co_u32_e32 v21, vcc, v16, v21, vcc
	v_lshlrev_b64 v[18:19], 1, v[18:19]
	v_add_co_u32_e32 v18, vcc, v15, v18
	v_addc_co_u32_e32 v19, vcc, v16, v19, vcc
	s_or_b64 s[36:37], s[36:37], exec
	global_store_short v[20:21], v27, off
	global_store_short v[18:19], v9, off
	s_or_b64 exec, exec, s[30:31]
	s_and_b64 exec, exec, s[36:37]
	s_cbranch_execnz .LBB1086_204
	s_branch .LBB1086_205
.LBB1086_187:
	s_or_b64 exec, exec, s[6:7]
	v_mov_b32_e32 v82, s10
	s_and_saveexec_b64 s[2:3], s[56:57]
	s_cbranch_execnz .LBB1086_77
	s_branch .LBB1086_78
.LBB1086_188:
	s_or_b64 exec, exec, s[36:37]
	s_and_saveexec_b64 s[36:37], s[26:27]
	s_cbranch_execz .LBB1086_173
.LBB1086_189:
	v_sub_u32_e32 v18, v48, v11
	v_mov_b32_e32 v19, 0
	v_lshlrev_b64 v[18:19], 1, v[18:19]
	v_add_co_u32_e32 v18, vcc, v15, v18
	v_addc_co_u32_e32 v19, vcc, v16, v19, vcc
	global_store_short v[18:19], v49, off
	s_or_b64 exec, exec, s[36:37]
	s_and_saveexec_b64 s[36:37], s[24:25]
	s_cbranch_execnz .LBB1086_174
.LBB1086_190:
	s_or_b64 exec, exec, s[36:37]
	s_and_saveexec_b64 s[36:37], s[22:23]
	s_cbranch_execz .LBB1086_175
.LBB1086_191:
	v_sub_u32_e32 v18, v44, v11
	v_mov_b32_e32 v19, 0
	v_lshlrev_b64 v[18:19], 1, v[18:19]
	v_add_co_u32_e32 v18, vcc, v15, v18
	v_addc_co_u32_e32 v19, vcc, v16, v19, vcc
	global_store_short v[18:19], v45, off
	s_or_b64 exec, exec, s[36:37]
	s_and_saveexec_b64 s[36:37], s[20:21]
	s_cbranch_execnz .LBB1086_176
.LBB1086_192:
	s_or_b64 exec, exec, s[36:37]
	s_and_saveexec_b64 s[36:37], s[18:19]
	s_cbranch_execz .LBB1086_177
.LBB1086_193:
	v_sub_u32_e32 v18, v40, v11
	v_mov_b32_e32 v19, 0
	v_lshlrev_b64 v[18:19], 1, v[18:19]
	v_add_co_u32_e32 v18, vcc, v15, v18
	v_addc_co_u32_e32 v19, vcc, v16, v19, vcc
	global_store_short v[18:19], v41, off
	s_or_b64 exec, exec, s[36:37]
	s_and_saveexec_b64 s[36:37], s[16:17]
	s_cbranch_execnz .LBB1086_178
.LBB1086_194:
	s_or_b64 exec, exec, s[36:37]
	s_and_saveexec_b64 s[36:37], s[14:15]
	s_cbranch_execz .LBB1086_179
.LBB1086_195:
	v_sub_u32_e32 v18, v36, v11
	v_mov_b32_e32 v19, 0
	v_lshlrev_b64 v[18:19], 1, v[18:19]
	v_add_co_u32_e32 v18, vcc, v15, v18
	v_addc_co_u32_e32 v19, vcc, v16, v19, vcc
	global_store_short v[18:19], v37, off
	s_or_b64 exec, exec, s[36:37]
	s_and_saveexec_b64 s[36:37], s[12:13]
	s_cbranch_execnz .LBB1086_180
.LBB1086_196:
	s_or_b64 exec, exec, s[36:37]
	s_and_saveexec_b64 s[36:37], s[10:11]
	s_cbranch_execz .LBB1086_181
.LBB1086_197:
	v_sub_u32_e32 v18, v32, v11
	v_mov_b32_e32 v19, 0
	v_lshlrev_b64 v[18:19], 1, v[18:19]
	v_add_co_u32_e32 v18, vcc, v15, v18
	v_addc_co_u32_e32 v19, vcc, v16, v19, vcc
	global_store_short v[18:19], v33, off
	s_or_b64 exec, exec, s[36:37]
	s_and_saveexec_b64 s[36:37], s[8:9]
	s_cbranch_execnz .LBB1086_182
.LBB1086_198:
	s_or_b64 exec, exec, s[36:37]
	s_and_saveexec_b64 s[36:37], s[6:7]
	s_cbranch_execz .LBB1086_183
.LBB1086_199:
	v_sub_u32_e32 v18, v28, v11
	v_mov_b32_e32 v19, 0
	v_lshlrev_b64 v[18:19], 1, v[18:19]
	v_add_co_u32_e32 v18, vcc, v15, v18
	v_addc_co_u32_e32 v19, vcc, v16, v19, vcc
	global_store_short v[18:19], v29, off
	s_or_b64 exec, exec, s[36:37]
	s_and_saveexec_b64 s[36:37], s[4:5]
	s_cbranch_execnz .LBB1086_184
.LBB1086_200:
	s_or_b64 exec, exec, s[36:37]
	s_and_saveexec_b64 s[36:37], s[2:3]
	s_cbranch_execz .LBB1086_202
.LBB1086_201:
	v_sub_u32_e32 v18, v8, v11
	v_mov_b32_e32 v19, 0
	v_lshlrev_b64 v[18:19], 1, v[18:19]
	v_add_co_u32_e32 v18, vcc, v15, v18
	v_addc_co_u32_e32 v19, vcc, v16, v19, vcc
	global_store_short v[18:19], v9, off
.LBB1086_202:
	s_or_b64 exec, exec, s[36:37]
	s_and_b64 s[36:37], s[0:1], exec
	s_andn2_saveexec_b64 s[30:31], s[30:31]
	s_cbranch_execnz .LBB1086_186
.LBB1086_203:
	s_or_b64 exec, exec, s[30:31]
	s_and_b64 exec, exec, s[36:37]
	s_cbranch_execz .LBB1086_205
.LBB1086_204:
	v_sub_u32_e32 v18, v2, v11
	v_mov_b32_e32 v19, 0
	v_lshlrev_b64 v[18:19], 1, v[18:19]
	v_add_co_u32_e32 v18, vcc, v15, v18
	v_addc_co_u32_e32 v19, vcc, v16, v19, vcc
	global_store_short v[18:19], v3, off
.LBB1086_205:
	s_or_b64 exec, exec, s[34:35]
	s_mov_b64 s[34:35], 0
.LBB1086_206:
	s_and_b64 vcc, exec, s[34:35]
	s_cbranch_vccz .LBB1086_258
; %bb.207:
	v_cmp_gt_i16_e32 vcc, 2, v12
	s_and_saveexec_b64 s[30:31], vcc
	s_cbranch_execz .LBB1086_242
; %bb.208:
	v_cmp_ne_u16_e32 vcc, 1, v12
	s_mov_b64 s[36:37], 0
	s_and_saveexec_b64 s[34:35], vcc
	s_xor_b64 s[34:35], exec, s[34:35]
	s_cbranch_execz .LBB1086_223
; %bb.209:
	s_and_saveexec_b64 s[36:37], s[28:29]
	s_cbranch_execz .LBB1086_225
; %bb.210:
	v_sub_u32_e32 v12, v50, v11
	v_lshlrev_b32_e32 v12, 1, v12
	ds_write_b16 v12, v51
	s_or_b64 exec, exec, s[36:37]
	s_and_saveexec_b64 s[28:29], s[26:27]
	s_cbranch_execnz .LBB1086_226
.LBB1086_211:
	s_or_b64 exec, exec, s[28:29]
	s_and_saveexec_b64 s[26:27], s[24:25]
	s_cbranch_execz .LBB1086_227
.LBB1086_212:
	v_sub_u32_e32 v12, v46, v11
	v_lshlrev_b32_e32 v12, 1, v12
	ds_write_b16 v12, v47
	s_or_b64 exec, exec, s[26:27]
	s_and_saveexec_b64 s[24:25], s[22:23]
	s_cbranch_execnz .LBB1086_228
.LBB1086_213:
	s_or_b64 exec, exec, s[24:25]
	s_and_saveexec_b64 s[22:23], s[20:21]
	s_cbranch_execz .LBB1086_229
.LBB1086_214:
	v_sub_u32_e32 v12, v42, v11
	v_lshlrev_b32_e32 v12, 1, v12
	ds_write_b16 v12, v43
	s_or_b64 exec, exec, s[22:23]
	s_and_saveexec_b64 s[20:21], s[18:19]
	s_cbranch_execnz .LBB1086_230
.LBB1086_215:
	s_or_b64 exec, exec, s[20:21]
	s_and_saveexec_b64 s[18:19], s[16:17]
	s_cbranch_execz .LBB1086_231
.LBB1086_216:
	v_sub_u32_e32 v12, v38, v11
	v_lshlrev_b32_e32 v12, 1, v12
	ds_write_b16 v12, v39
	s_or_b64 exec, exec, s[18:19]
	s_and_saveexec_b64 s[16:17], s[14:15]
	s_cbranch_execnz .LBB1086_232
.LBB1086_217:
	s_or_b64 exec, exec, s[16:17]
	s_and_saveexec_b64 s[14:15], s[12:13]
	s_cbranch_execz .LBB1086_233
.LBB1086_218:
	v_sub_u32_e32 v12, v34, v11
	v_lshlrev_b32_e32 v12, 1, v12
	ds_write_b16 v12, v35
	s_or_b64 exec, exec, s[14:15]
	s_and_saveexec_b64 s[12:13], s[10:11]
	s_cbranch_execnz .LBB1086_234
.LBB1086_219:
	s_or_b64 exec, exec, s[12:13]
	s_and_saveexec_b64 s[10:11], s[8:9]
	s_cbranch_execz .LBB1086_235
.LBB1086_220:
	v_sub_u32_e32 v12, v30, v11
	v_lshlrev_b32_e32 v12, 1, v12
	ds_write_b16 v12, v31
	s_or_b64 exec, exec, s[10:11]
	s_and_saveexec_b64 s[8:9], s[6:7]
	s_cbranch_execnz .LBB1086_236
.LBB1086_221:
	s_or_b64 exec, exec, s[8:9]
	s_and_saveexec_b64 s[6:7], s[4:5]
	s_cbranch_execz .LBB1086_237
.LBB1086_222:
	v_sub_u32_e32 v12, v26, v11
	v_lshlrev_b32_e32 v12, 1, v12
	ds_write_b16 v12, v27
	s_or_b64 exec, exec, s[6:7]
	s_and_saveexec_b64 s[4:5], s[2:3]
	s_cbranch_execnz .LBB1086_238
	s_branch .LBB1086_239
.LBB1086_223:
	s_andn2_saveexec_b64 s[0:1], s[34:35]
	s_cbranch_execz .LBB1086_240
.LBB1086_224:
	v_sub_u32_e32 v12, v50, v11
	v_lshlrev_b32_e32 v12, 1, v12
	ds_write_b16 v12, v51
	v_sub_u32_e32 v12, v48, v11
	v_lshlrev_b32_e32 v12, 1, v12
	ds_write_b16 v12, v49
	;; [unrolled: 3-line block ×12, first 2 shown]
	v_sub_u32_e32 v12, v26, v11
	v_sub_u32_e32 v8, v8, v11
	v_lshlrev_b32_e32 v12, 1, v12
	v_lshlrev_b32_e32 v8, 1, v8
	s_or_b64 s[36:37], s[36:37], exec
	ds_write_b16 v12, v27
	ds_write_b16 v8, v9
	s_or_b64 exec, exec, s[0:1]
	s_and_b64 exec, exec, s[36:37]
	s_cbranch_execnz .LBB1086_241
	s_branch .LBB1086_242
.LBB1086_225:
	s_or_b64 exec, exec, s[36:37]
	s_and_saveexec_b64 s[28:29], s[26:27]
	s_cbranch_execz .LBB1086_211
.LBB1086_226:
	v_sub_u32_e32 v12, v48, v11
	v_lshlrev_b32_e32 v12, 1, v12
	ds_write_b16 v12, v49
	s_or_b64 exec, exec, s[28:29]
	s_and_saveexec_b64 s[26:27], s[24:25]
	s_cbranch_execnz .LBB1086_212
.LBB1086_227:
	s_or_b64 exec, exec, s[26:27]
	s_and_saveexec_b64 s[24:25], s[22:23]
	s_cbranch_execz .LBB1086_213
.LBB1086_228:
	v_sub_u32_e32 v12, v44, v11
	v_lshlrev_b32_e32 v12, 1, v12
	ds_write_b16 v12, v45
	s_or_b64 exec, exec, s[24:25]
	s_and_saveexec_b64 s[22:23], s[20:21]
	s_cbranch_execnz .LBB1086_214
.LBB1086_229:
	s_or_b64 exec, exec, s[22:23]
	s_and_saveexec_b64 s[20:21], s[18:19]
	s_cbranch_execz .LBB1086_215
.LBB1086_230:
	v_sub_u32_e32 v12, v40, v11
	v_lshlrev_b32_e32 v12, 1, v12
	ds_write_b16 v12, v41
	s_or_b64 exec, exec, s[20:21]
	s_and_saveexec_b64 s[18:19], s[16:17]
	s_cbranch_execnz .LBB1086_216
.LBB1086_231:
	s_or_b64 exec, exec, s[18:19]
	s_and_saveexec_b64 s[16:17], s[14:15]
	s_cbranch_execz .LBB1086_217
.LBB1086_232:
	v_sub_u32_e32 v12, v36, v11
	v_lshlrev_b32_e32 v12, 1, v12
	ds_write_b16 v12, v37
	s_or_b64 exec, exec, s[16:17]
	s_and_saveexec_b64 s[14:15], s[12:13]
	s_cbranch_execnz .LBB1086_218
.LBB1086_233:
	s_or_b64 exec, exec, s[14:15]
	s_and_saveexec_b64 s[12:13], s[10:11]
	s_cbranch_execz .LBB1086_219
.LBB1086_234:
	v_sub_u32_e32 v12, v32, v11
	v_lshlrev_b32_e32 v12, 1, v12
	ds_write_b16 v12, v33
	s_or_b64 exec, exec, s[12:13]
	s_and_saveexec_b64 s[10:11], s[8:9]
	s_cbranch_execnz .LBB1086_220
.LBB1086_235:
	s_or_b64 exec, exec, s[10:11]
	s_and_saveexec_b64 s[8:9], s[6:7]
	s_cbranch_execz .LBB1086_221
.LBB1086_236:
	v_sub_u32_e32 v12, v28, v11
	v_lshlrev_b32_e32 v12, 1, v12
	ds_write_b16 v12, v29
	s_or_b64 exec, exec, s[8:9]
	s_and_saveexec_b64 s[6:7], s[4:5]
	s_cbranch_execnz .LBB1086_222
.LBB1086_237:
	s_or_b64 exec, exec, s[6:7]
	s_and_saveexec_b64 s[4:5], s[2:3]
	s_cbranch_execz .LBB1086_239
.LBB1086_238:
	v_sub_u32_e32 v8, v8, v11
	v_lshlrev_b32_e32 v8, 1, v8
	ds_write_b16 v8, v9
.LBB1086_239:
	s_or_b64 exec, exec, s[4:5]
	s_and_b64 s[36:37], s[0:1], exec
                                        ; implicit-def: $vgpr50_vgpr51
                                        ; implicit-def: $vgpr48_vgpr49
                                        ; implicit-def: $vgpr46_vgpr47
                                        ; implicit-def: $vgpr44_vgpr45
                                        ; implicit-def: $vgpr42_vgpr43
                                        ; implicit-def: $vgpr40_vgpr41
                                        ; implicit-def: $vgpr38_vgpr39
                                        ; implicit-def: $vgpr36_vgpr37
                                        ; implicit-def: $vgpr34_vgpr35
                                        ; implicit-def: $vgpr32_vgpr33
                                        ; implicit-def: $vgpr30_vgpr31
                                        ; implicit-def: $vgpr28_vgpr29
                                        ; implicit-def: $vgpr26_vgpr27
                                        ; implicit-def: $vgpr8_vgpr9
	s_andn2_saveexec_b64 s[0:1], s[34:35]
	s_cbranch_execnz .LBB1086_224
.LBB1086_240:
	s_or_b64 exec, exec, s[0:1]
	s_and_b64 exec, exec, s[36:37]
	s_cbranch_execz .LBB1086_242
.LBB1086_241:
	v_sub_u32_e32 v2, v2, v11
	v_lshlrev_b32_e32 v2, 1, v2
	ds_write_b16 v2, v3
.LBB1086_242:
	s_or_b64 exec, exec, s[30:31]
	v_cmp_lt_u32_e32 vcc, v0, v5
	s_waitcnt lgkmcnt(0)
	s_barrier
	s_and_saveexec_b64 s[2:3], vcc
	s_cbranch_execz .LBB1086_257
; %bb.243:
	v_add_u32_e32 v8, v4, v10
	v_xad_u32 v2, v0, -1, v8
	v_sub_u32_e32 v3, v2, v1
	s_movk_i32 s0, 0x1b00
	v_cmp_gt_u32_e64 s[4:5], s0, v3
	s_movk_i32 s0, 0x1aff
	v_cmp_lt_u32_e32 vcc, s0, v3
	v_mov_b32_e32 v2, v0
	s_and_saveexec_b64 s[6:7], vcc
	s_cbranch_execz .LBB1086_254
; %bb.244:
	v_sub_u32_e32 v2, v0, v8
	v_add_u32_e32 v1, v2, v1
	v_or_b32_e32 v1, 0xff, v1
	v_cmp_ge_u32_e32 vcc, v1, v0
	s_mov_b64 s[0:1], -1
	v_mov_b32_e32 v2, v0
	s_and_saveexec_b64 s[8:9], vcc
	s_cbranch_execz .LBB1086_253
; %bb.245:
	v_lshrrev_b32_e32 v17, 8, v3
	v_add_u32_e32 v8, -3, v17
	v_or_b32_e32 v3, 0x300, v0
	v_or_b32_e32 v2, 0x200, v0
	v_lshrrev_b32_e32 v9, 2, v8
	v_or_b32_e32 v1, 0x100, v0
	v_add_u32_e32 v19, 1, v9
	v_cmp_lt_u32_e32 vcc, 11, v8
	v_pk_mov_b32 v[10:11], v[2:3], v[2:3] op_sel:[0,1]
	v_mov_b32_e32 v22, 0
	v_lshlrev_b32_e32 v18, 1, v0
	v_pk_mov_b32 v[8:9], v[0:1], v[0:1] op_sel:[0,1]
	s_and_saveexec_b64 s[10:11], vcc
	s_cbranch_execz .LBB1086_249
; %bb.246:
	v_pk_mov_b32 v[10:11], v[2:3], v[2:3] op_sel:[0,1]
	v_and_b32_e32 v20, 0x7ffffffc, v19
	s_mov_b32 s14, 0
	s_mov_b64 s[12:13], 0
	v_mov_b32_e32 v13, 0
	v_mov_b32_e32 v21, v18
	v_pk_mov_b32 v[8:9], v[0:1], v[0:1] op_sel:[0,1]
.LBB1086_247:                           ; =>This Inner Loop Header: Depth=1
	v_mov_b32_e32 v12, v8
	v_lshlrev_b64 v[40:41], 1, v[12:13]
	v_add_u32_e32 v26, 0x400, v9
	v_mov_b32_e32 v27, v13
	v_add_co_u32_e64 v40, s[0:1], v15, v40
	v_lshlrev_b64 v[26:27], 1, v[26:27]
	v_addc_co_u32_e64 v41, s[0:1], v16, v41, s[0:1]
	v_add_u32_e32 v22, 0x400, v10
	v_mov_b32_e32 v23, v13
	v_add_co_u32_e64 v26, s[0:1], v15, v26
	v_lshlrev_b64 v[42:43], 1, v[22:23]
	v_addc_co_u32_e64 v27, s[0:1], v16, v27, s[0:1]
	v_add_u32_e32 v2, 0x400, v11
	v_mov_b32_e32 v3, v13
	v_add_co_u32_e64 v42, s[0:1], v15, v42
	v_add_u32_e32 v20, -4, v20
	v_mov_b32_e32 v12, v9
	v_lshlrev_b64 v[2:3], 1, v[2:3]
	v_addc_co_u32_e64 v43, s[0:1], v16, v43, s[0:1]
	v_add_u32_e32 v32, 0x800, v9
	v_mov_b32_e32 v33, v13
	s_add_i32 s14, s14, 16
	v_cmp_eq_u32_e32 vcc, 0, v20
	v_lshlrev_b64 v[44:45], 1, v[12:13]
	v_add_co_u32_e64 v2, s[0:1], v15, v2
	v_lshlrev_b64 v[32:33], 1, v[32:33]
	v_mov_b32_e32 v12, v10
	v_addc_co_u32_e64 v3, s[0:1], v16, v3, s[0:1]
	s_or_b64 s[12:13], vcc, s[12:13]
	v_add_co_u32_e32 v44, vcc, v15, v44
	v_add_u32_e32 v30, 0x800, v10
	v_mov_b32_e32 v31, v13
	v_add_co_u32_e64 v32, s[0:1], v15, v32
	v_addc_co_u32_e32 v45, vcc, v16, v45, vcc
	v_lshlrev_b64 v[46:47], 1, v[12:13]
	v_lshlrev_b64 v[30:31], 1, v[30:31]
	v_addc_co_u32_e64 v33, s[0:1], v16, v33, s[0:1]
	v_mov_b32_e32 v12, v11
	v_add_co_u32_e32 v46, vcc, v15, v46
	ds_read_u16 v1, v21
	ds_read_u16 v50, v21 offset:512
	ds_read_u16 v51, v21 offset:1024
	;; [unrolled: 1-line block ×7, first 2 shown]
	v_add_u32_e32 v28, 0x800, v11
	v_mov_b32_e32 v29, v13
	v_add_co_u32_e64 v30, s[0:1], v15, v30
	v_addc_co_u32_e32 v47, vcc, v16, v47, vcc
	v_lshlrev_b64 v[48:49], 1, v[12:13]
	v_lshlrev_b64 v[28:29], 1, v[28:29]
	v_addc_co_u32_e64 v31, s[0:1], v16, v31, s[0:1]
	v_add_u32_e32 v12, 0x400, v8
	v_add_co_u32_e32 v48, vcc, v15, v48
	v_add_u32_e32 v38, 0xc00, v9
	v_mov_b32_e32 v39, v13
	ds_read_u16 v57, v21 offset:4096
	ds_read_u16 v58, v21 offset:4608
	;; [unrolled: 1-line block ×8, first 2 shown]
	v_add_co_u32_e64 v28, s[0:1], v15, v28
	v_addc_co_u32_e32 v49, vcc, v16, v49, vcc
	s_waitcnt lgkmcnt(14)
	global_store_short v[40:41], v1, off
	global_store_short v[44:45], v50, off
	s_waitcnt lgkmcnt(13)
	global_store_short v[46:47], v51, off
	v_lshlrev_b64 v[40:41], 1, v[12:13]
	v_lshlrev_b64 v[38:39], 1, v[38:39]
	v_addc_co_u32_e64 v29, s[0:1], v16, v29, s[0:1]
	v_add_u32_e32 v12, 0x800, v8
	v_add_co_u32_e32 v40, vcc, v15, v40
	v_add_u32_e32 v36, 0xc00, v10
	v_mov_b32_e32 v37, v13
	v_add_co_u32_e64 v38, s[0:1], v15, v38
	v_addc_co_u32_e32 v41, vcc, v16, v41, vcc
	v_lshlrev_b64 v[44:45], 1, v[12:13]
	v_lshlrev_b64 v[36:37], 1, v[36:37]
	v_addc_co_u32_e64 v39, s[0:1], v16, v39, s[0:1]
	s_waitcnt lgkmcnt(12)
	global_store_short v[48:49], v52, off
	v_add_u32_e32 v12, 0xc00, v8
	s_waitcnt lgkmcnt(11)
	global_store_short v[40:41], v53, off
	s_waitcnt lgkmcnt(10)
	global_store_short v[26:27], v54, off
	;; [unrolled: 2-line block ×4, first 2 shown]
	v_add_co_u32_e32 v2, vcc, v15, v44
	v_add_u32_e32 v34, 0xc00, v11
	v_mov_b32_e32 v35, v13
	v_add_co_u32_e64 v36, s[0:1], v15, v36
	v_addc_co_u32_e32 v3, vcc, v16, v45, vcc
	v_lshlrev_b64 v[26:27], 1, v[12:13]
	v_lshlrev_b64 v[34:35], 1, v[34:35]
	v_addc_co_u32_e64 v37, s[0:1], v16, v37, s[0:1]
	s_waitcnt lgkmcnt(7)
	global_store_short v[2:3], v57, off
	s_waitcnt lgkmcnt(6)
	global_store_short v[32:33], v58, off
	;; [unrolled: 2-line block ×4, first 2 shown]
	v_add_co_u32_e32 v2, vcc, v15, v26
	v_add_u32_e32 v21, 0x2000, v21
	v_add_u32_e32 v9, 0x1000, v9
	v_mov_b32_e32 v22, s14
	v_add_co_u32_e64 v34, s[0:1], v15, v34
	v_add_u32_e32 v10, 0x1000, v10
	v_add_u32_e32 v11, 0x1000, v11
	;; [unrolled: 1-line block ×3, first 2 shown]
	v_addc_co_u32_e32 v3, vcc, v16, v27, vcc
	v_addc_co_u32_e64 v35, s[0:1], v16, v35, s[0:1]
	s_waitcnt lgkmcnt(3)
	global_store_short v[2:3], v61, off
	s_waitcnt lgkmcnt(2)
	global_store_short v[38:39], v62, off
	;; [unrolled: 2-line block ×4, first 2 shown]
	s_andn2_b64 exec, exec, s[12:13]
	s_cbranch_execnz .LBB1086_247
; %bb.248:
	s_or_b64 exec, exec, s[12:13]
.LBB1086_249:
	s_or_b64 exec, exec, s[10:11]
	v_and_b32_e32 v1, 3, v19
	v_cmp_ne_u32_e32 vcc, 0, v1
	s_and_saveexec_b64 s[10:11], vcc
	s_cbranch_execz .LBB1086_252
; %bb.250:
	v_lshl_or_b32 v12, v22, 9, v18
	s_mov_b64 s[12:13], 0
	v_mov_b32_e32 v3, 0
.LBB1086_251:                           ; =>This Inner Loop Header: Depth=1
	v_mov_b32_e32 v2, v8
	v_add_u32_e32 v1, -1, v1
	v_lshlrev_b64 v[18:19], 1, v[2:3]
	v_mov_b32_e32 v2, v9
	v_cmp_eq_u32_e32 vcc, 0, v1
	v_lshlrev_b64 v[20:21], 1, v[2:3]
	ds_read_u16 v13, v12
	ds_read_u16 v28, v12 offset:512
	ds_read_u16 v29, v12 offset:1024
	;; [unrolled: 1-line block ×3, first 2 shown]
	v_mov_b32_e32 v2, v10
	s_or_b64 s[12:13], vcc, s[12:13]
	v_add_co_u32_e32 v20, vcc, v15, v20
	v_addc_co_u32_e32 v21, vcc, v16, v21, vcc
	v_lshlrev_b64 v[22:23], 1, v[2:3]
	v_mov_b32_e32 v2, v11
	v_add_co_u32_e32 v22, vcc, v15, v22
	v_add_co_u32_e64 v18, s[0:1], v15, v18
	v_addc_co_u32_e32 v23, vcc, v16, v23, vcc
	v_lshlrev_b64 v[26:27], 1, v[2:3]
	v_add_u32_e32 v8, 0x400, v8
	v_add_u32_e32 v12, 0x800, v12
	;; [unrolled: 1-line block ×3, first 2 shown]
	v_addc_co_u32_e64 v19, s[0:1], v16, v19, s[0:1]
	v_add_u32_e32 v10, 0x400, v10
	v_add_u32_e32 v11, 0x400, v11
	v_add_co_u32_e32 v26, vcc, v15, v26
	v_addc_co_u32_e32 v27, vcc, v16, v27, vcc
	s_waitcnt lgkmcnt(3)
	global_store_short v[18:19], v13, off
	s_waitcnt lgkmcnt(2)
	global_store_short v[20:21], v28, off
	;; [unrolled: 2-line block ×4, first 2 shown]
	s_andn2_b64 exec, exec, s[12:13]
	s_cbranch_execnz .LBB1086_251
.LBB1086_252:
	s_or_b64 exec, exec, s[10:11]
	v_add_u32_e32 v1, 1, v17
	v_and_b32_e32 v3, 0x1fffffc, v1
	v_cmp_ne_u32_e32 vcc, v1, v3
	v_lshl_or_b32 v2, v3, 8, v0
	s_orn2_b64 s[0:1], vcc, exec
.LBB1086_253:
	s_or_b64 exec, exec, s[8:9]
	s_andn2_b64 s[4:5], s[4:5], exec
	s_and_b64 s[0:1], s[0:1], exec
	s_or_b64 s[4:5], s[4:5], s[0:1]
.LBB1086_254:
	s_or_b64 exec, exec, s[6:7]
	s_and_b64 exec, exec, s[4:5]
	s_cbranch_execz .LBB1086_257
; %bb.255:
	v_lshlrev_b32_e32 v1, 1, v2
	s_mov_b64 s[0:1], 0
	v_mov_b32_e32 v3, 0
.LBB1086_256:                           ; =>This Inner Loop Header: Depth=1
	v_lshlrev_b64 v[8:9], 1, v[2:3]
	ds_read_u16 v10, v1
	v_add_co_u32_e32 v8, vcc, v15, v8
	v_add_u32_e32 v2, 0x100, v2
	v_addc_co_u32_e32 v9, vcc, v16, v9, vcc
	v_cmp_ge_u32_e32 vcc, v2, v5
	v_add_u32_e32 v1, 0x200, v1
	s_or_b64 s[0:1], vcc, s[0:1]
	s_waitcnt lgkmcnt(0)
	global_store_short v[8:9], v10, off
	s_andn2_b64 exec, exec, s[0:1]
	s_cbranch_execnz .LBB1086_256
.LBB1086_257:
	s_or_b64 exec, exec, s[2:3]
.LBB1086_258:
	s_movk_i32 s0, 0xff
	v_cmp_eq_u32_e32 vcc, s0, v0
	s_and_b64 s[0:1], vcc, s[40:41]
	s_and_saveexec_b64 s[2:3], s[0:1]
	s_cbranch_execz .LBB1086_261
; %bb.259:
	v_add_co_u32_e32 v0, vcc, v4, v6
	v_addc_co_u32_e64 v1, s[0:1], 0, 0, vcc
	v_add_co_u32_e32 v0, vcc, v0, v24
	v_mov_b32_e32 v5, 0
	v_addc_co_u32_e32 v1, vcc, v1, v25, vcc
	s_cmpk_lg_i32 s33, 0xf00
	global_store_dwordx2 v5, v[0:1], s[46:47]
	s_cbranch_scc1 .LBB1086_261
; %bb.260:
	v_lshlrev_b64 v[0:1], 1, v[4:5]
	v_add_co_u32_e32 v0, vcc, v7, v0
	v_addc_co_u32_e32 v1, vcc, v14, v1, vcc
	global_store_short v[0:1], v81, off offset:-2
.LBB1086_261:
	s_endpgm
	.section	.rodata,"a",@progbits
	.p2align	6, 0x0
	.amdhsa_kernel _ZN7rocprim17ROCPRIM_400000_NS6detail17trampoline_kernelINS0_14default_configENS1_29reduce_by_key_config_selectorIjsN6thrust23THRUST_200600_302600_NS4plusIsEEEEZZNS1_33reduce_by_key_impl_wrapped_configILNS1_25lookback_scan_determinismE0ES3_S9_NS6_6detail15normal_iteratorINS6_10device_ptrIjEEEENSD_INSE_IsEEEENS6_16discard_iteratorINS6_11use_defaultEEESI_PmS8_NS6_8equal_toIjEEEE10hipError_tPvRmT2_T3_mT4_T5_T6_T7_T8_P12ihipStream_tbENKUlT_T0_E_clISt17integral_constantIbLb0EES15_IbLb1EEEEDaS11_S12_EUlS11_E_NS1_11comp_targetILNS1_3genE4ELNS1_11target_archE910ELNS1_3gpuE8ELNS1_3repE0EEENS1_30default_config_static_selectorELNS0_4arch9wavefront6targetE1EEEvT1_
		.amdhsa_group_segment_fixed_size 15360
		.amdhsa_private_segment_fixed_size 0
		.amdhsa_kernarg_size 128
		.amdhsa_user_sgpr_count 6
		.amdhsa_user_sgpr_private_segment_buffer 1
		.amdhsa_user_sgpr_dispatch_ptr 0
		.amdhsa_user_sgpr_queue_ptr 0
		.amdhsa_user_sgpr_kernarg_segment_ptr 1
		.amdhsa_user_sgpr_dispatch_id 0
		.amdhsa_user_sgpr_flat_scratch_init 0
		.amdhsa_user_sgpr_kernarg_preload_length 0
		.amdhsa_user_sgpr_kernarg_preload_offset 0
		.amdhsa_user_sgpr_private_segment_size 0
		.amdhsa_uses_dynamic_stack 0
		.amdhsa_system_sgpr_private_segment_wavefront_offset 0
		.amdhsa_system_sgpr_workgroup_id_x 1
		.amdhsa_system_sgpr_workgroup_id_y 0
		.amdhsa_system_sgpr_workgroup_id_z 0
		.amdhsa_system_sgpr_workgroup_info 0
		.amdhsa_system_vgpr_workitem_id 0
		.amdhsa_next_free_vgpr 87
		.amdhsa_next_free_sgpr 64
		.amdhsa_accum_offset 88
		.amdhsa_reserve_vcc 1
		.amdhsa_reserve_flat_scratch 0
		.amdhsa_float_round_mode_32 0
		.amdhsa_float_round_mode_16_64 0
		.amdhsa_float_denorm_mode_32 3
		.amdhsa_float_denorm_mode_16_64 3
		.amdhsa_dx10_clamp 1
		.amdhsa_ieee_mode 1
		.amdhsa_fp16_overflow 0
		.amdhsa_tg_split 0
		.amdhsa_exception_fp_ieee_invalid_op 0
		.amdhsa_exception_fp_denorm_src 0
		.amdhsa_exception_fp_ieee_div_zero 0
		.amdhsa_exception_fp_ieee_overflow 0
		.amdhsa_exception_fp_ieee_underflow 0
		.amdhsa_exception_fp_ieee_inexact 0
		.amdhsa_exception_int_div_zero 0
	.end_amdhsa_kernel
	.section	.text._ZN7rocprim17ROCPRIM_400000_NS6detail17trampoline_kernelINS0_14default_configENS1_29reduce_by_key_config_selectorIjsN6thrust23THRUST_200600_302600_NS4plusIsEEEEZZNS1_33reduce_by_key_impl_wrapped_configILNS1_25lookback_scan_determinismE0ES3_S9_NS6_6detail15normal_iteratorINS6_10device_ptrIjEEEENSD_INSE_IsEEEENS6_16discard_iteratorINS6_11use_defaultEEESI_PmS8_NS6_8equal_toIjEEEE10hipError_tPvRmT2_T3_mT4_T5_T6_T7_T8_P12ihipStream_tbENKUlT_T0_E_clISt17integral_constantIbLb0EES15_IbLb1EEEEDaS11_S12_EUlS11_E_NS1_11comp_targetILNS1_3genE4ELNS1_11target_archE910ELNS1_3gpuE8ELNS1_3repE0EEENS1_30default_config_static_selectorELNS0_4arch9wavefront6targetE1EEEvT1_,"axG",@progbits,_ZN7rocprim17ROCPRIM_400000_NS6detail17trampoline_kernelINS0_14default_configENS1_29reduce_by_key_config_selectorIjsN6thrust23THRUST_200600_302600_NS4plusIsEEEEZZNS1_33reduce_by_key_impl_wrapped_configILNS1_25lookback_scan_determinismE0ES3_S9_NS6_6detail15normal_iteratorINS6_10device_ptrIjEEEENSD_INSE_IsEEEENS6_16discard_iteratorINS6_11use_defaultEEESI_PmS8_NS6_8equal_toIjEEEE10hipError_tPvRmT2_T3_mT4_T5_T6_T7_T8_P12ihipStream_tbENKUlT_T0_E_clISt17integral_constantIbLb0EES15_IbLb1EEEEDaS11_S12_EUlS11_E_NS1_11comp_targetILNS1_3genE4ELNS1_11target_archE910ELNS1_3gpuE8ELNS1_3repE0EEENS1_30default_config_static_selectorELNS0_4arch9wavefront6targetE1EEEvT1_,comdat
.Lfunc_end1086:
	.size	_ZN7rocprim17ROCPRIM_400000_NS6detail17trampoline_kernelINS0_14default_configENS1_29reduce_by_key_config_selectorIjsN6thrust23THRUST_200600_302600_NS4plusIsEEEEZZNS1_33reduce_by_key_impl_wrapped_configILNS1_25lookback_scan_determinismE0ES3_S9_NS6_6detail15normal_iteratorINS6_10device_ptrIjEEEENSD_INSE_IsEEEENS6_16discard_iteratorINS6_11use_defaultEEESI_PmS8_NS6_8equal_toIjEEEE10hipError_tPvRmT2_T3_mT4_T5_T6_T7_T8_P12ihipStream_tbENKUlT_T0_E_clISt17integral_constantIbLb0EES15_IbLb1EEEEDaS11_S12_EUlS11_E_NS1_11comp_targetILNS1_3genE4ELNS1_11target_archE910ELNS1_3gpuE8ELNS1_3repE0EEENS1_30default_config_static_selectorELNS0_4arch9wavefront6targetE1EEEvT1_, .Lfunc_end1086-_ZN7rocprim17ROCPRIM_400000_NS6detail17trampoline_kernelINS0_14default_configENS1_29reduce_by_key_config_selectorIjsN6thrust23THRUST_200600_302600_NS4plusIsEEEEZZNS1_33reduce_by_key_impl_wrapped_configILNS1_25lookback_scan_determinismE0ES3_S9_NS6_6detail15normal_iteratorINS6_10device_ptrIjEEEENSD_INSE_IsEEEENS6_16discard_iteratorINS6_11use_defaultEEESI_PmS8_NS6_8equal_toIjEEEE10hipError_tPvRmT2_T3_mT4_T5_T6_T7_T8_P12ihipStream_tbENKUlT_T0_E_clISt17integral_constantIbLb0EES15_IbLb1EEEEDaS11_S12_EUlS11_E_NS1_11comp_targetILNS1_3genE4ELNS1_11target_archE910ELNS1_3gpuE8ELNS1_3repE0EEENS1_30default_config_static_selectorELNS0_4arch9wavefront6targetE1EEEvT1_
                                        ; -- End function
	.section	.AMDGPU.csdata,"",@progbits
; Kernel info:
; codeLenInByte = 15348
; NumSgprs: 68
; NumVgprs: 87
; NumAgprs: 0
; TotalNumVgprs: 87
; ScratchSize: 0
; MemoryBound: 0
; FloatMode: 240
; IeeeMode: 1
; LDSByteSize: 15360 bytes/workgroup (compile time only)
; SGPRBlocks: 8
; VGPRBlocks: 10
; NumSGPRsForWavesPerEU: 68
; NumVGPRsForWavesPerEU: 87
; AccumOffset: 88
; Occupancy: 4
; WaveLimiterHint : 1
; COMPUTE_PGM_RSRC2:SCRATCH_EN: 0
; COMPUTE_PGM_RSRC2:USER_SGPR: 6
; COMPUTE_PGM_RSRC2:TRAP_HANDLER: 0
; COMPUTE_PGM_RSRC2:TGID_X_EN: 1
; COMPUTE_PGM_RSRC2:TGID_Y_EN: 0
; COMPUTE_PGM_RSRC2:TGID_Z_EN: 0
; COMPUTE_PGM_RSRC2:TIDIG_COMP_CNT: 0
; COMPUTE_PGM_RSRC3_GFX90A:ACCUM_OFFSET: 21
; COMPUTE_PGM_RSRC3_GFX90A:TG_SPLIT: 0
	.section	.text._ZN7rocprim17ROCPRIM_400000_NS6detail17trampoline_kernelINS0_14default_configENS1_29reduce_by_key_config_selectorIjsN6thrust23THRUST_200600_302600_NS4plusIsEEEEZZNS1_33reduce_by_key_impl_wrapped_configILNS1_25lookback_scan_determinismE0ES3_S9_NS6_6detail15normal_iteratorINS6_10device_ptrIjEEEENSD_INSE_IsEEEENS6_16discard_iteratorINS6_11use_defaultEEESI_PmS8_NS6_8equal_toIjEEEE10hipError_tPvRmT2_T3_mT4_T5_T6_T7_T8_P12ihipStream_tbENKUlT_T0_E_clISt17integral_constantIbLb0EES15_IbLb1EEEEDaS11_S12_EUlS11_E_NS1_11comp_targetILNS1_3genE3ELNS1_11target_archE908ELNS1_3gpuE7ELNS1_3repE0EEENS1_30default_config_static_selectorELNS0_4arch9wavefront6targetE1EEEvT1_,"axG",@progbits,_ZN7rocprim17ROCPRIM_400000_NS6detail17trampoline_kernelINS0_14default_configENS1_29reduce_by_key_config_selectorIjsN6thrust23THRUST_200600_302600_NS4plusIsEEEEZZNS1_33reduce_by_key_impl_wrapped_configILNS1_25lookback_scan_determinismE0ES3_S9_NS6_6detail15normal_iteratorINS6_10device_ptrIjEEEENSD_INSE_IsEEEENS6_16discard_iteratorINS6_11use_defaultEEESI_PmS8_NS6_8equal_toIjEEEE10hipError_tPvRmT2_T3_mT4_T5_T6_T7_T8_P12ihipStream_tbENKUlT_T0_E_clISt17integral_constantIbLb0EES15_IbLb1EEEEDaS11_S12_EUlS11_E_NS1_11comp_targetILNS1_3genE3ELNS1_11target_archE908ELNS1_3gpuE7ELNS1_3repE0EEENS1_30default_config_static_selectorELNS0_4arch9wavefront6targetE1EEEvT1_,comdat
	.protected	_ZN7rocprim17ROCPRIM_400000_NS6detail17trampoline_kernelINS0_14default_configENS1_29reduce_by_key_config_selectorIjsN6thrust23THRUST_200600_302600_NS4plusIsEEEEZZNS1_33reduce_by_key_impl_wrapped_configILNS1_25lookback_scan_determinismE0ES3_S9_NS6_6detail15normal_iteratorINS6_10device_ptrIjEEEENSD_INSE_IsEEEENS6_16discard_iteratorINS6_11use_defaultEEESI_PmS8_NS6_8equal_toIjEEEE10hipError_tPvRmT2_T3_mT4_T5_T6_T7_T8_P12ihipStream_tbENKUlT_T0_E_clISt17integral_constantIbLb0EES15_IbLb1EEEEDaS11_S12_EUlS11_E_NS1_11comp_targetILNS1_3genE3ELNS1_11target_archE908ELNS1_3gpuE7ELNS1_3repE0EEENS1_30default_config_static_selectorELNS0_4arch9wavefront6targetE1EEEvT1_ ; -- Begin function _ZN7rocprim17ROCPRIM_400000_NS6detail17trampoline_kernelINS0_14default_configENS1_29reduce_by_key_config_selectorIjsN6thrust23THRUST_200600_302600_NS4plusIsEEEEZZNS1_33reduce_by_key_impl_wrapped_configILNS1_25lookback_scan_determinismE0ES3_S9_NS6_6detail15normal_iteratorINS6_10device_ptrIjEEEENSD_INSE_IsEEEENS6_16discard_iteratorINS6_11use_defaultEEESI_PmS8_NS6_8equal_toIjEEEE10hipError_tPvRmT2_T3_mT4_T5_T6_T7_T8_P12ihipStream_tbENKUlT_T0_E_clISt17integral_constantIbLb0EES15_IbLb1EEEEDaS11_S12_EUlS11_E_NS1_11comp_targetILNS1_3genE3ELNS1_11target_archE908ELNS1_3gpuE7ELNS1_3repE0EEENS1_30default_config_static_selectorELNS0_4arch9wavefront6targetE1EEEvT1_
	.globl	_ZN7rocprim17ROCPRIM_400000_NS6detail17trampoline_kernelINS0_14default_configENS1_29reduce_by_key_config_selectorIjsN6thrust23THRUST_200600_302600_NS4plusIsEEEEZZNS1_33reduce_by_key_impl_wrapped_configILNS1_25lookback_scan_determinismE0ES3_S9_NS6_6detail15normal_iteratorINS6_10device_ptrIjEEEENSD_INSE_IsEEEENS6_16discard_iteratorINS6_11use_defaultEEESI_PmS8_NS6_8equal_toIjEEEE10hipError_tPvRmT2_T3_mT4_T5_T6_T7_T8_P12ihipStream_tbENKUlT_T0_E_clISt17integral_constantIbLb0EES15_IbLb1EEEEDaS11_S12_EUlS11_E_NS1_11comp_targetILNS1_3genE3ELNS1_11target_archE908ELNS1_3gpuE7ELNS1_3repE0EEENS1_30default_config_static_selectorELNS0_4arch9wavefront6targetE1EEEvT1_
	.p2align	8
	.type	_ZN7rocprim17ROCPRIM_400000_NS6detail17trampoline_kernelINS0_14default_configENS1_29reduce_by_key_config_selectorIjsN6thrust23THRUST_200600_302600_NS4plusIsEEEEZZNS1_33reduce_by_key_impl_wrapped_configILNS1_25lookback_scan_determinismE0ES3_S9_NS6_6detail15normal_iteratorINS6_10device_ptrIjEEEENSD_INSE_IsEEEENS6_16discard_iteratorINS6_11use_defaultEEESI_PmS8_NS6_8equal_toIjEEEE10hipError_tPvRmT2_T3_mT4_T5_T6_T7_T8_P12ihipStream_tbENKUlT_T0_E_clISt17integral_constantIbLb0EES15_IbLb1EEEEDaS11_S12_EUlS11_E_NS1_11comp_targetILNS1_3genE3ELNS1_11target_archE908ELNS1_3gpuE7ELNS1_3repE0EEENS1_30default_config_static_selectorELNS0_4arch9wavefront6targetE1EEEvT1_,@function
_ZN7rocprim17ROCPRIM_400000_NS6detail17trampoline_kernelINS0_14default_configENS1_29reduce_by_key_config_selectorIjsN6thrust23THRUST_200600_302600_NS4plusIsEEEEZZNS1_33reduce_by_key_impl_wrapped_configILNS1_25lookback_scan_determinismE0ES3_S9_NS6_6detail15normal_iteratorINS6_10device_ptrIjEEEENSD_INSE_IsEEEENS6_16discard_iteratorINS6_11use_defaultEEESI_PmS8_NS6_8equal_toIjEEEE10hipError_tPvRmT2_T3_mT4_T5_T6_T7_T8_P12ihipStream_tbENKUlT_T0_E_clISt17integral_constantIbLb0EES15_IbLb1EEEEDaS11_S12_EUlS11_E_NS1_11comp_targetILNS1_3genE3ELNS1_11target_archE908ELNS1_3gpuE7ELNS1_3repE0EEENS1_30default_config_static_selectorELNS0_4arch9wavefront6targetE1EEEvT1_: ; @_ZN7rocprim17ROCPRIM_400000_NS6detail17trampoline_kernelINS0_14default_configENS1_29reduce_by_key_config_selectorIjsN6thrust23THRUST_200600_302600_NS4plusIsEEEEZZNS1_33reduce_by_key_impl_wrapped_configILNS1_25lookback_scan_determinismE0ES3_S9_NS6_6detail15normal_iteratorINS6_10device_ptrIjEEEENSD_INSE_IsEEEENS6_16discard_iteratorINS6_11use_defaultEEESI_PmS8_NS6_8equal_toIjEEEE10hipError_tPvRmT2_T3_mT4_T5_T6_T7_T8_P12ihipStream_tbENKUlT_T0_E_clISt17integral_constantIbLb0EES15_IbLb1EEEEDaS11_S12_EUlS11_E_NS1_11comp_targetILNS1_3genE3ELNS1_11target_archE908ELNS1_3gpuE7ELNS1_3repE0EEENS1_30default_config_static_selectorELNS0_4arch9wavefront6targetE1EEEvT1_
; %bb.0:
	.section	.rodata,"a",@progbits
	.p2align	6, 0x0
	.amdhsa_kernel _ZN7rocprim17ROCPRIM_400000_NS6detail17trampoline_kernelINS0_14default_configENS1_29reduce_by_key_config_selectorIjsN6thrust23THRUST_200600_302600_NS4plusIsEEEEZZNS1_33reduce_by_key_impl_wrapped_configILNS1_25lookback_scan_determinismE0ES3_S9_NS6_6detail15normal_iteratorINS6_10device_ptrIjEEEENSD_INSE_IsEEEENS6_16discard_iteratorINS6_11use_defaultEEESI_PmS8_NS6_8equal_toIjEEEE10hipError_tPvRmT2_T3_mT4_T5_T6_T7_T8_P12ihipStream_tbENKUlT_T0_E_clISt17integral_constantIbLb0EES15_IbLb1EEEEDaS11_S12_EUlS11_E_NS1_11comp_targetILNS1_3genE3ELNS1_11target_archE908ELNS1_3gpuE7ELNS1_3repE0EEENS1_30default_config_static_selectorELNS0_4arch9wavefront6targetE1EEEvT1_
		.amdhsa_group_segment_fixed_size 0
		.amdhsa_private_segment_fixed_size 0
		.amdhsa_kernarg_size 128
		.amdhsa_user_sgpr_count 6
		.amdhsa_user_sgpr_private_segment_buffer 1
		.amdhsa_user_sgpr_dispatch_ptr 0
		.amdhsa_user_sgpr_queue_ptr 0
		.amdhsa_user_sgpr_kernarg_segment_ptr 1
		.amdhsa_user_sgpr_dispatch_id 0
		.amdhsa_user_sgpr_flat_scratch_init 0
		.amdhsa_user_sgpr_kernarg_preload_length 0
		.amdhsa_user_sgpr_kernarg_preload_offset 0
		.amdhsa_user_sgpr_private_segment_size 0
		.amdhsa_uses_dynamic_stack 0
		.amdhsa_system_sgpr_private_segment_wavefront_offset 0
		.amdhsa_system_sgpr_workgroup_id_x 1
		.amdhsa_system_sgpr_workgroup_id_y 0
		.amdhsa_system_sgpr_workgroup_id_z 0
		.amdhsa_system_sgpr_workgroup_info 0
		.amdhsa_system_vgpr_workitem_id 0
		.amdhsa_next_free_vgpr 1
		.amdhsa_next_free_sgpr 0
		.amdhsa_accum_offset 4
		.amdhsa_reserve_vcc 0
		.amdhsa_reserve_flat_scratch 0
		.amdhsa_float_round_mode_32 0
		.amdhsa_float_round_mode_16_64 0
		.amdhsa_float_denorm_mode_32 3
		.amdhsa_float_denorm_mode_16_64 3
		.amdhsa_dx10_clamp 1
		.amdhsa_ieee_mode 1
		.amdhsa_fp16_overflow 0
		.amdhsa_tg_split 0
		.amdhsa_exception_fp_ieee_invalid_op 0
		.amdhsa_exception_fp_denorm_src 0
		.amdhsa_exception_fp_ieee_div_zero 0
		.amdhsa_exception_fp_ieee_overflow 0
		.amdhsa_exception_fp_ieee_underflow 0
		.amdhsa_exception_fp_ieee_inexact 0
		.amdhsa_exception_int_div_zero 0
	.end_amdhsa_kernel
	.section	.text._ZN7rocprim17ROCPRIM_400000_NS6detail17trampoline_kernelINS0_14default_configENS1_29reduce_by_key_config_selectorIjsN6thrust23THRUST_200600_302600_NS4plusIsEEEEZZNS1_33reduce_by_key_impl_wrapped_configILNS1_25lookback_scan_determinismE0ES3_S9_NS6_6detail15normal_iteratorINS6_10device_ptrIjEEEENSD_INSE_IsEEEENS6_16discard_iteratorINS6_11use_defaultEEESI_PmS8_NS6_8equal_toIjEEEE10hipError_tPvRmT2_T3_mT4_T5_T6_T7_T8_P12ihipStream_tbENKUlT_T0_E_clISt17integral_constantIbLb0EES15_IbLb1EEEEDaS11_S12_EUlS11_E_NS1_11comp_targetILNS1_3genE3ELNS1_11target_archE908ELNS1_3gpuE7ELNS1_3repE0EEENS1_30default_config_static_selectorELNS0_4arch9wavefront6targetE1EEEvT1_,"axG",@progbits,_ZN7rocprim17ROCPRIM_400000_NS6detail17trampoline_kernelINS0_14default_configENS1_29reduce_by_key_config_selectorIjsN6thrust23THRUST_200600_302600_NS4plusIsEEEEZZNS1_33reduce_by_key_impl_wrapped_configILNS1_25lookback_scan_determinismE0ES3_S9_NS6_6detail15normal_iteratorINS6_10device_ptrIjEEEENSD_INSE_IsEEEENS6_16discard_iteratorINS6_11use_defaultEEESI_PmS8_NS6_8equal_toIjEEEE10hipError_tPvRmT2_T3_mT4_T5_T6_T7_T8_P12ihipStream_tbENKUlT_T0_E_clISt17integral_constantIbLb0EES15_IbLb1EEEEDaS11_S12_EUlS11_E_NS1_11comp_targetILNS1_3genE3ELNS1_11target_archE908ELNS1_3gpuE7ELNS1_3repE0EEENS1_30default_config_static_selectorELNS0_4arch9wavefront6targetE1EEEvT1_,comdat
.Lfunc_end1087:
	.size	_ZN7rocprim17ROCPRIM_400000_NS6detail17trampoline_kernelINS0_14default_configENS1_29reduce_by_key_config_selectorIjsN6thrust23THRUST_200600_302600_NS4plusIsEEEEZZNS1_33reduce_by_key_impl_wrapped_configILNS1_25lookback_scan_determinismE0ES3_S9_NS6_6detail15normal_iteratorINS6_10device_ptrIjEEEENSD_INSE_IsEEEENS6_16discard_iteratorINS6_11use_defaultEEESI_PmS8_NS6_8equal_toIjEEEE10hipError_tPvRmT2_T3_mT4_T5_T6_T7_T8_P12ihipStream_tbENKUlT_T0_E_clISt17integral_constantIbLb0EES15_IbLb1EEEEDaS11_S12_EUlS11_E_NS1_11comp_targetILNS1_3genE3ELNS1_11target_archE908ELNS1_3gpuE7ELNS1_3repE0EEENS1_30default_config_static_selectorELNS0_4arch9wavefront6targetE1EEEvT1_, .Lfunc_end1087-_ZN7rocprim17ROCPRIM_400000_NS6detail17trampoline_kernelINS0_14default_configENS1_29reduce_by_key_config_selectorIjsN6thrust23THRUST_200600_302600_NS4plusIsEEEEZZNS1_33reduce_by_key_impl_wrapped_configILNS1_25lookback_scan_determinismE0ES3_S9_NS6_6detail15normal_iteratorINS6_10device_ptrIjEEEENSD_INSE_IsEEEENS6_16discard_iteratorINS6_11use_defaultEEESI_PmS8_NS6_8equal_toIjEEEE10hipError_tPvRmT2_T3_mT4_T5_T6_T7_T8_P12ihipStream_tbENKUlT_T0_E_clISt17integral_constantIbLb0EES15_IbLb1EEEEDaS11_S12_EUlS11_E_NS1_11comp_targetILNS1_3genE3ELNS1_11target_archE908ELNS1_3gpuE7ELNS1_3repE0EEENS1_30default_config_static_selectorELNS0_4arch9wavefront6targetE1EEEvT1_
                                        ; -- End function
	.section	.AMDGPU.csdata,"",@progbits
; Kernel info:
; codeLenInByte = 0
; NumSgprs: 4
; NumVgprs: 0
; NumAgprs: 0
; TotalNumVgprs: 0
; ScratchSize: 0
; MemoryBound: 0
; FloatMode: 240
; IeeeMode: 1
; LDSByteSize: 0 bytes/workgroup (compile time only)
; SGPRBlocks: 0
; VGPRBlocks: 0
; NumSGPRsForWavesPerEU: 4
; NumVGPRsForWavesPerEU: 1
; AccumOffset: 4
; Occupancy: 8
; WaveLimiterHint : 0
; COMPUTE_PGM_RSRC2:SCRATCH_EN: 0
; COMPUTE_PGM_RSRC2:USER_SGPR: 6
; COMPUTE_PGM_RSRC2:TRAP_HANDLER: 0
; COMPUTE_PGM_RSRC2:TGID_X_EN: 1
; COMPUTE_PGM_RSRC2:TGID_Y_EN: 0
; COMPUTE_PGM_RSRC2:TGID_Z_EN: 0
; COMPUTE_PGM_RSRC2:TIDIG_COMP_CNT: 0
; COMPUTE_PGM_RSRC3_GFX90A:ACCUM_OFFSET: 0
; COMPUTE_PGM_RSRC3_GFX90A:TG_SPLIT: 0
	.section	.text._ZN7rocprim17ROCPRIM_400000_NS6detail17trampoline_kernelINS0_14default_configENS1_29reduce_by_key_config_selectorIjsN6thrust23THRUST_200600_302600_NS4plusIsEEEEZZNS1_33reduce_by_key_impl_wrapped_configILNS1_25lookback_scan_determinismE0ES3_S9_NS6_6detail15normal_iteratorINS6_10device_ptrIjEEEENSD_INSE_IsEEEENS6_16discard_iteratorINS6_11use_defaultEEESI_PmS8_NS6_8equal_toIjEEEE10hipError_tPvRmT2_T3_mT4_T5_T6_T7_T8_P12ihipStream_tbENKUlT_T0_E_clISt17integral_constantIbLb0EES15_IbLb1EEEEDaS11_S12_EUlS11_E_NS1_11comp_targetILNS1_3genE2ELNS1_11target_archE906ELNS1_3gpuE6ELNS1_3repE0EEENS1_30default_config_static_selectorELNS0_4arch9wavefront6targetE1EEEvT1_,"axG",@progbits,_ZN7rocprim17ROCPRIM_400000_NS6detail17trampoline_kernelINS0_14default_configENS1_29reduce_by_key_config_selectorIjsN6thrust23THRUST_200600_302600_NS4plusIsEEEEZZNS1_33reduce_by_key_impl_wrapped_configILNS1_25lookback_scan_determinismE0ES3_S9_NS6_6detail15normal_iteratorINS6_10device_ptrIjEEEENSD_INSE_IsEEEENS6_16discard_iteratorINS6_11use_defaultEEESI_PmS8_NS6_8equal_toIjEEEE10hipError_tPvRmT2_T3_mT4_T5_T6_T7_T8_P12ihipStream_tbENKUlT_T0_E_clISt17integral_constantIbLb0EES15_IbLb1EEEEDaS11_S12_EUlS11_E_NS1_11comp_targetILNS1_3genE2ELNS1_11target_archE906ELNS1_3gpuE6ELNS1_3repE0EEENS1_30default_config_static_selectorELNS0_4arch9wavefront6targetE1EEEvT1_,comdat
	.protected	_ZN7rocprim17ROCPRIM_400000_NS6detail17trampoline_kernelINS0_14default_configENS1_29reduce_by_key_config_selectorIjsN6thrust23THRUST_200600_302600_NS4plusIsEEEEZZNS1_33reduce_by_key_impl_wrapped_configILNS1_25lookback_scan_determinismE0ES3_S9_NS6_6detail15normal_iteratorINS6_10device_ptrIjEEEENSD_INSE_IsEEEENS6_16discard_iteratorINS6_11use_defaultEEESI_PmS8_NS6_8equal_toIjEEEE10hipError_tPvRmT2_T3_mT4_T5_T6_T7_T8_P12ihipStream_tbENKUlT_T0_E_clISt17integral_constantIbLb0EES15_IbLb1EEEEDaS11_S12_EUlS11_E_NS1_11comp_targetILNS1_3genE2ELNS1_11target_archE906ELNS1_3gpuE6ELNS1_3repE0EEENS1_30default_config_static_selectorELNS0_4arch9wavefront6targetE1EEEvT1_ ; -- Begin function _ZN7rocprim17ROCPRIM_400000_NS6detail17trampoline_kernelINS0_14default_configENS1_29reduce_by_key_config_selectorIjsN6thrust23THRUST_200600_302600_NS4plusIsEEEEZZNS1_33reduce_by_key_impl_wrapped_configILNS1_25lookback_scan_determinismE0ES3_S9_NS6_6detail15normal_iteratorINS6_10device_ptrIjEEEENSD_INSE_IsEEEENS6_16discard_iteratorINS6_11use_defaultEEESI_PmS8_NS6_8equal_toIjEEEE10hipError_tPvRmT2_T3_mT4_T5_T6_T7_T8_P12ihipStream_tbENKUlT_T0_E_clISt17integral_constantIbLb0EES15_IbLb1EEEEDaS11_S12_EUlS11_E_NS1_11comp_targetILNS1_3genE2ELNS1_11target_archE906ELNS1_3gpuE6ELNS1_3repE0EEENS1_30default_config_static_selectorELNS0_4arch9wavefront6targetE1EEEvT1_
	.globl	_ZN7rocprim17ROCPRIM_400000_NS6detail17trampoline_kernelINS0_14default_configENS1_29reduce_by_key_config_selectorIjsN6thrust23THRUST_200600_302600_NS4plusIsEEEEZZNS1_33reduce_by_key_impl_wrapped_configILNS1_25lookback_scan_determinismE0ES3_S9_NS6_6detail15normal_iteratorINS6_10device_ptrIjEEEENSD_INSE_IsEEEENS6_16discard_iteratorINS6_11use_defaultEEESI_PmS8_NS6_8equal_toIjEEEE10hipError_tPvRmT2_T3_mT4_T5_T6_T7_T8_P12ihipStream_tbENKUlT_T0_E_clISt17integral_constantIbLb0EES15_IbLb1EEEEDaS11_S12_EUlS11_E_NS1_11comp_targetILNS1_3genE2ELNS1_11target_archE906ELNS1_3gpuE6ELNS1_3repE0EEENS1_30default_config_static_selectorELNS0_4arch9wavefront6targetE1EEEvT1_
	.p2align	8
	.type	_ZN7rocprim17ROCPRIM_400000_NS6detail17trampoline_kernelINS0_14default_configENS1_29reduce_by_key_config_selectorIjsN6thrust23THRUST_200600_302600_NS4plusIsEEEEZZNS1_33reduce_by_key_impl_wrapped_configILNS1_25lookback_scan_determinismE0ES3_S9_NS6_6detail15normal_iteratorINS6_10device_ptrIjEEEENSD_INSE_IsEEEENS6_16discard_iteratorINS6_11use_defaultEEESI_PmS8_NS6_8equal_toIjEEEE10hipError_tPvRmT2_T3_mT4_T5_T6_T7_T8_P12ihipStream_tbENKUlT_T0_E_clISt17integral_constantIbLb0EES15_IbLb1EEEEDaS11_S12_EUlS11_E_NS1_11comp_targetILNS1_3genE2ELNS1_11target_archE906ELNS1_3gpuE6ELNS1_3repE0EEENS1_30default_config_static_selectorELNS0_4arch9wavefront6targetE1EEEvT1_,@function
_ZN7rocprim17ROCPRIM_400000_NS6detail17trampoline_kernelINS0_14default_configENS1_29reduce_by_key_config_selectorIjsN6thrust23THRUST_200600_302600_NS4plusIsEEEEZZNS1_33reduce_by_key_impl_wrapped_configILNS1_25lookback_scan_determinismE0ES3_S9_NS6_6detail15normal_iteratorINS6_10device_ptrIjEEEENSD_INSE_IsEEEENS6_16discard_iteratorINS6_11use_defaultEEESI_PmS8_NS6_8equal_toIjEEEE10hipError_tPvRmT2_T3_mT4_T5_T6_T7_T8_P12ihipStream_tbENKUlT_T0_E_clISt17integral_constantIbLb0EES15_IbLb1EEEEDaS11_S12_EUlS11_E_NS1_11comp_targetILNS1_3genE2ELNS1_11target_archE906ELNS1_3gpuE6ELNS1_3repE0EEENS1_30default_config_static_selectorELNS0_4arch9wavefront6targetE1EEEvT1_: ; @_ZN7rocprim17ROCPRIM_400000_NS6detail17trampoline_kernelINS0_14default_configENS1_29reduce_by_key_config_selectorIjsN6thrust23THRUST_200600_302600_NS4plusIsEEEEZZNS1_33reduce_by_key_impl_wrapped_configILNS1_25lookback_scan_determinismE0ES3_S9_NS6_6detail15normal_iteratorINS6_10device_ptrIjEEEENSD_INSE_IsEEEENS6_16discard_iteratorINS6_11use_defaultEEESI_PmS8_NS6_8equal_toIjEEEE10hipError_tPvRmT2_T3_mT4_T5_T6_T7_T8_P12ihipStream_tbENKUlT_T0_E_clISt17integral_constantIbLb0EES15_IbLb1EEEEDaS11_S12_EUlS11_E_NS1_11comp_targetILNS1_3genE2ELNS1_11target_archE906ELNS1_3gpuE6ELNS1_3repE0EEENS1_30default_config_static_selectorELNS0_4arch9wavefront6targetE1EEEvT1_
; %bb.0:
	.section	.rodata,"a",@progbits
	.p2align	6, 0x0
	.amdhsa_kernel _ZN7rocprim17ROCPRIM_400000_NS6detail17trampoline_kernelINS0_14default_configENS1_29reduce_by_key_config_selectorIjsN6thrust23THRUST_200600_302600_NS4plusIsEEEEZZNS1_33reduce_by_key_impl_wrapped_configILNS1_25lookback_scan_determinismE0ES3_S9_NS6_6detail15normal_iteratorINS6_10device_ptrIjEEEENSD_INSE_IsEEEENS6_16discard_iteratorINS6_11use_defaultEEESI_PmS8_NS6_8equal_toIjEEEE10hipError_tPvRmT2_T3_mT4_T5_T6_T7_T8_P12ihipStream_tbENKUlT_T0_E_clISt17integral_constantIbLb0EES15_IbLb1EEEEDaS11_S12_EUlS11_E_NS1_11comp_targetILNS1_3genE2ELNS1_11target_archE906ELNS1_3gpuE6ELNS1_3repE0EEENS1_30default_config_static_selectorELNS0_4arch9wavefront6targetE1EEEvT1_
		.amdhsa_group_segment_fixed_size 0
		.amdhsa_private_segment_fixed_size 0
		.amdhsa_kernarg_size 128
		.amdhsa_user_sgpr_count 6
		.amdhsa_user_sgpr_private_segment_buffer 1
		.amdhsa_user_sgpr_dispatch_ptr 0
		.amdhsa_user_sgpr_queue_ptr 0
		.amdhsa_user_sgpr_kernarg_segment_ptr 1
		.amdhsa_user_sgpr_dispatch_id 0
		.amdhsa_user_sgpr_flat_scratch_init 0
		.amdhsa_user_sgpr_kernarg_preload_length 0
		.amdhsa_user_sgpr_kernarg_preload_offset 0
		.amdhsa_user_sgpr_private_segment_size 0
		.amdhsa_uses_dynamic_stack 0
		.amdhsa_system_sgpr_private_segment_wavefront_offset 0
		.amdhsa_system_sgpr_workgroup_id_x 1
		.amdhsa_system_sgpr_workgroup_id_y 0
		.amdhsa_system_sgpr_workgroup_id_z 0
		.amdhsa_system_sgpr_workgroup_info 0
		.amdhsa_system_vgpr_workitem_id 0
		.amdhsa_next_free_vgpr 1
		.amdhsa_next_free_sgpr 0
		.amdhsa_accum_offset 4
		.amdhsa_reserve_vcc 0
		.amdhsa_reserve_flat_scratch 0
		.amdhsa_float_round_mode_32 0
		.amdhsa_float_round_mode_16_64 0
		.amdhsa_float_denorm_mode_32 3
		.amdhsa_float_denorm_mode_16_64 3
		.amdhsa_dx10_clamp 1
		.amdhsa_ieee_mode 1
		.amdhsa_fp16_overflow 0
		.amdhsa_tg_split 0
		.amdhsa_exception_fp_ieee_invalid_op 0
		.amdhsa_exception_fp_denorm_src 0
		.amdhsa_exception_fp_ieee_div_zero 0
		.amdhsa_exception_fp_ieee_overflow 0
		.amdhsa_exception_fp_ieee_underflow 0
		.amdhsa_exception_fp_ieee_inexact 0
		.amdhsa_exception_int_div_zero 0
	.end_amdhsa_kernel
	.section	.text._ZN7rocprim17ROCPRIM_400000_NS6detail17trampoline_kernelINS0_14default_configENS1_29reduce_by_key_config_selectorIjsN6thrust23THRUST_200600_302600_NS4plusIsEEEEZZNS1_33reduce_by_key_impl_wrapped_configILNS1_25lookback_scan_determinismE0ES3_S9_NS6_6detail15normal_iteratorINS6_10device_ptrIjEEEENSD_INSE_IsEEEENS6_16discard_iteratorINS6_11use_defaultEEESI_PmS8_NS6_8equal_toIjEEEE10hipError_tPvRmT2_T3_mT4_T5_T6_T7_T8_P12ihipStream_tbENKUlT_T0_E_clISt17integral_constantIbLb0EES15_IbLb1EEEEDaS11_S12_EUlS11_E_NS1_11comp_targetILNS1_3genE2ELNS1_11target_archE906ELNS1_3gpuE6ELNS1_3repE0EEENS1_30default_config_static_selectorELNS0_4arch9wavefront6targetE1EEEvT1_,"axG",@progbits,_ZN7rocprim17ROCPRIM_400000_NS6detail17trampoline_kernelINS0_14default_configENS1_29reduce_by_key_config_selectorIjsN6thrust23THRUST_200600_302600_NS4plusIsEEEEZZNS1_33reduce_by_key_impl_wrapped_configILNS1_25lookback_scan_determinismE0ES3_S9_NS6_6detail15normal_iteratorINS6_10device_ptrIjEEEENSD_INSE_IsEEEENS6_16discard_iteratorINS6_11use_defaultEEESI_PmS8_NS6_8equal_toIjEEEE10hipError_tPvRmT2_T3_mT4_T5_T6_T7_T8_P12ihipStream_tbENKUlT_T0_E_clISt17integral_constantIbLb0EES15_IbLb1EEEEDaS11_S12_EUlS11_E_NS1_11comp_targetILNS1_3genE2ELNS1_11target_archE906ELNS1_3gpuE6ELNS1_3repE0EEENS1_30default_config_static_selectorELNS0_4arch9wavefront6targetE1EEEvT1_,comdat
.Lfunc_end1088:
	.size	_ZN7rocprim17ROCPRIM_400000_NS6detail17trampoline_kernelINS0_14default_configENS1_29reduce_by_key_config_selectorIjsN6thrust23THRUST_200600_302600_NS4plusIsEEEEZZNS1_33reduce_by_key_impl_wrapped_configILNS1_25lookback_scan_determinismE0ES3_S9_NS6_6detail15normal_iteratorINS6_10device_ptrIjEEEENSD_INSE_IsEEEENS6_16discard_iteratorINS6_11use_defaultEEESI_PmS8_NS6_8equal_toIjEEEE10hipError_tPvRmT2_T3_mT4_T5_T6_T7_T8_P12ihipStream_tbENKUlT_T0_E_clISt17integral_constantIbLb0EES15_IbLb1EEEEDaS11_S12_EUlS11_E_NS1_11comp_targetILNS1_3genE2ELNS1_11target_archE906ELNS1_3gpuE6ELNS1_3repE0EEENS1_30default_config_static_selectorELNS0_4arch9wavefront6targetE1EEEvT1_, .Lfunc_end1088-_ZN7rocprim17ROCPRIM_400000_NS6detail17trampoline_kernelINS0_14default_configENS1_29reduce_by_key_config_selectorIjsN6thrust23THRUST_200600_302600_NS4plusIsEEEEZZNS1_33reduce_by_key_impl_wrapped_configILNS1_25lookback_scan_determinismE0ES3_S9_NS6_6detail15normal_iteratorINS6_10device_ptrIjEEEENSD_INSE_IsEEEENS6_16discard_iteratorINS6_11use_defaultEEESI_PmS8_NS6_8equal_toIjEEEE10hipError_tPvRmT2_T3_mT4_T5_T6_T7_T8_P12ihipStream_tbENKUlT_T0_E_clISt17integral_constantIbLb0EES15_IbLb1EEEEDaS11_S12_EUlS11_E_NS1_11comp_targetILNS1_3genE2ELNS1_11target_archE906ELNS1_3gpuE6ELNS1_3repE0EEENS1_30default_config_static_selectorELNS0_4arch9wavefront6targetE1EEEvT1_
                                        ; -- End function
	.section	.AMDGPU.csdata,"",@progbits
; Kernel info:
; codeLenInByte = 0
; NumSgprs: 4
; NumVgprs: 0
; NumAgprs: 0
; TotalNumVgprs: 0
; ScratchSize: 0
; MemoryBound: 0
; FloatMode: 240
; IeeeMode: 1
; LDSByteSize: 0 bytes/workgroup (compile time only)
; SGPRBlocks: 0
; VGPRBlocks: 0
; NumSGPRsForWavesPerEU: 4
; NumVGPRsForWavesPerEU: 1
; AccumOffset: 4
; Occupancy: 8
; WaveLimiterHint : 0
; COMPUTE_PGM_RSRC2:SCRATCH_EN: 0
; COMPUTE_PGM_RSRC2:USER_SGPR: 6
; COMPUTE_PGM_RSRC2:TRAP_HANDLER: 0
; COMPUTE_PGM_RSRC2:TGID_X_EN: 1
; COMPUTE_PGM_RSRC2:TGID_Y_EN: 0
; COMPUTE_PGM_RSRC2:TGID_Z_EN: 0
; COMPUTE_PGM_RSRC2:TIDIG_COMP_CNT: 0
; COMPUTE_PGM_RSRC3_GFX90A:ACCUM_OFFSET: 0
; COMPUTE_PGM_RSRC3_GFX90A:TG_SPLIT: 0
	.section	.text._ZN7rocprim17ROCPRIM_400000_NS6detail17trampoline_kernelINS0_14default_configENS1_29reduce_by_key_config_selectorIjsN6thrust23THRUST_200600_302600_NS4plusIsEEEEZZNS1_33reduce_by_key_impl_wrapped_configILNS1_25lookback_scan_determinismE0ES3_S9_NS6_6detail15normal_iteratorINS6_10device_ptrIjEEEENSD_INSE_IsEEEENS6_16discard_iteratorINS6_11use_defaultEEESI_PmS8_NS6_8equal_toIjEEEE10hipError_tPvRmT2_T3_mT4_T5_T6_T7_T8_P12ihipStream_tbENKUlT_T0_E_clISt17integral_constantIbLb0EES15_IbLb1EEEEDaS11_S12_EUlS11_E_NS1_11comp_targetILNS1_3genE10ELNS1_11target_archE1201ELNS1_3gpuE5ELNS1_3repE0EEENS1_30default_config_static_selectorELNS0_4arch9wavefront6targetE1EEEvT1_,"axG",@progbits,_ZN7rocprim17ROCPRIM_400000_NS6detail17trampoline_kernelINS0_14default_configENS1_29reduce_by_key_config_selectorIjsN6thrust23THRUST_200600_302600_NS4plusIsEEEEZZNS1_33reduce_by_key_impl_wrapped_configILNS1_25lookback_scan_determinismE0ES3_S9_NS6_6detail15normal_iteratorINS6_10device_ptrIjEEEENSD_INSE_IsEEEENS6_16discard_iteratorINS6_11use_defaultEEESI_PmS8_NS6_8equal_toIjEEEE10hipError_tPvRmT2_T3_mT4_T5_T6_T7_T8_P12ihipStream_tbENKUlT_T0_E_clISt17integral_constantIbLb0EES15_IbLb1EEEEDaS11_S12_EUlS11_E_NS1_11comp_targetILNS1_3genE10ELNS1_11target_archE1201ELNS1_3gpuE5ELNS1_3repE0EEENS1_30default_config_static_selectorELNS0_4arch9wavefront6targetE1EEEvT1_,comdat
	.protected	_ZN7rocprim17ROCPRIM_400000_NS6detail17trampoline_kernelINS0_14default_configENS1_29reduce_by_key_config_selectorIjsN6thrust23THRUST_200600_302600_NS4plusIsEEEEZZNS1_33reduce_by_key_impl_wrapped_configILNS1_25lookback_scan_determinismE0ES3_S9_NS6_6detail15normal_iteratorINS6_10device_ptrIjEEEENSD_INSE_IsEEEENS6_16discard_iteratorINS6_11use_defaultEEESI_PmS8_NS6_8equal_toIjEEEE10hipError_tPvRmT2_T3_mT4_T5_T6_T7_T8_P12ihipStream_tbENKUlT_T0_E_clISt17integral_constantIbLb0EES15_IbLb1EEEEDaS11_S12_EUlS11_E_NS1_11comp_targetILNS1_3genE10ELNS1_11target_archE1201ELNS1_3gpuE5ELNS1_3repE0EEENS1_30default_config_static_selectorELNS0_4arch9wavefront6targetE1EEEvT1_ ; -- Begin function _ZN7rocprim17ROCPRIM_400000_NS6detail17trampoline_kernelINS0_14default_configENS1_29reduce_by_key_config_selectorIjsN6thrust23THRUST_200600_302600_NS4plusIsEEEEZZNS1_33reduce_by_key_impl_wrapped_configILNS1_25lookback_scan_determinismE0ES3_S9_NS6_6detail15normal_iteratorINS6_10device_ptrIjEEEENSD_INSE_IsEEEENS6_16discard_iteratorINS6_11use_defaultEEESI_PmS8_NS6_8equal_toIjEEEE10hipError_tPvRmT2_T3_mT4_T5_T6_T7_T8_P12ihipStream_tbENKUlT_T0_E_clISt17integral_constantIbLb0EES15_IbLb1EEEEDaS11_S12_EUlS11_E_NS1_11comp_targetILNS1_3genE10ELNS1_11target_archE1201ELNS1_3gpuE5ELNS1_3repE0EEENS1_30default_config_static_selectorELNS0_4arch9wavefront6targetE1EEEvT1_
	.globl	_ZN7rocprim17ROCPRIM_400000_NS6detail17trampoline_kernelINS0_14default_configENS1_29reduce_by_key_config_selectorIjsN6thrust23THRUST_200600_302600_NS4plusIsEEEEZZNS1_33reduce_by_key_impl_wrapped_configILNS1_25lookback_scan_determinismE0ES3_S9_NS6_6detail15normal_iteratorINS6_10device_ptrIjEEEENSD_INSE_IsEEEENS6_16discard_iteratorINS6_11use_defaultEEESI_PmS8_NS6_8equal_toIjEEEE10hipError_tPvRmT2_T3_mT4_T5_T6_T7_T8_P12ihipStream_tbENKUlT_T0_E_clISt17integral_constantIbLb0EES15_IbLb1EEEEDaS11_S12_EUlS11_E_NS1_11comp_targetILNS1_3genE10ELNS1_11target_archE1201ELNS1_3gpuE5ELNS1_3repE0EEENS1_30default_config_static_selectorELNS0_4arch9wavefront6targetE1EEEvT1_
	.p2align	8
	.type	_ZN7rocprim17ROCPRIM_400000_NS6detail17trampoline_kernelINS0_14default_configENS1_29reduce_by_key_config_selectorIjsN6thrust23THRUST_200600_302600_NS4plusIsEEEEZZNS1_33reduce_by_key_impl_wrapped_configILNS1_25lookback_scan_determinismE0ES3_S9_NS6_6detail15normal_iteratorINS6_10device_ptrIjEEEENSD_INSE_IsEEEENS6_16discard_iteratorINS6_11use_defaultEEESI_PmS8_NS6_8equal_toIjEEEE10hipError_tPvRmT2_T3_mT4_T5_T6_T7_T8_P12ihipStream_tbENKUlT_T0_E_clISt17integral_constantIbLb0EES15_IbLb1EEEEDaS11_S12_EUlS11_E_NS1_11comp_targetILNS1_3genE10ELNS1_11target_archE1201ELNS1_3gpuE5ELNS1_3repE0EEENS1_30default_config_static_selectorELNS0_4arch9wavefront6targetE1EEEvT1_,@function
_ZN7rocprim17ROCPRIM_400000_NS6detail17trampoline_kernelINS0_14default_configENS1_29reduce_by_key_config_selectorIjsN6thrust23THRUST_200600_302600_NS4plusIsEEEEZZNS1_33reduce_by_key_impl_wrapped_configILNS1_25lookback_scan_determinismE0ES3_S9_NS6_6detail15normal_iteratorINS6_10device_ptrIjEEEENSD_INSE_IsEEEENS6_16discard_iteratorINS6_11use_defaultEEESI_PmS8_NS6_8equal_toIjEEEE10hipError_tPvRmT2_T3_mT4_T5_T6_T7_T8_P12ihipStream_tbENKUlT_T0_E_clISt17integral_constantIbLb0EES15_IbLb1EEEEDaS11_S12_EUlS11_E_NS1_11comp_targetILNS1_3genE10ELNS1_11target_archE1201ELNS1_3gpuE5ELNS1_3repE0EEENS1_30default_config_static_selectorELNS0_4arch9wavefront6targetE1EEEvT1_: ; @_ZN7rocprim17ROCPRIM_400000_NS6detail17trampoline_kernelINS0_14default_configENS1_29reduce_by_key_config_selectorIjsN6thrust23THRUST_200600_302600_NS4plusIsEEEEZZNS1_33reduce_by_key_impl_wrapped_configILNS1_25lookback_scan_determinismE0ES3_S9_NS6_6detail15normal_iteratorINS6_10device_ptrIjEEEENSD_INSE_IsEEEENS6_16discard_iteratorINS6_11use_defaultEEESI_PmS8_NS6_8equal_toIjEEEE10hipError_tPvRmT2_T3_mT4_T5_T6_T7_T8_P12ihipStream_tbENKUlT_T0_E_clISt17integral_constantIbLb0EES15_IbLb1EEEEDaS11_S12_EUlS11_E_NS1_11comp_targetILNS1_3genE10ELNS1_11target_archE1201ELNS1_3gpuE5ELNS1_3repE0EEENS1_30default_config_static_selectorELNS0_4arch9wavefront6targetE1EEEvT1_
; %bb.0:
	.section	.rodata,"a",@progbits
	.p2align	6, 0x0
	.amdhsa_kernel _ZN7rocprim17ROCPRIM_400000_NS6detail17trampoline_kernelINS0_14default_configENS1_29reduce_by_key_config_selectorIjsN6thrust23THRUST_200600_302600_NS4plusIsEEEEZZNS1_33reduce_by_key_impl_wrapped_configILNS1_25lookback_scan_determinismE0ES3_S9_NS6_6detail15normal_iteratorINS6_10device_ptrIjEEEENSD_INSE_IsEEEENS6_16discard_iteratorINS6_11use_defaultEEESI_PmS8_NS6_8equal_toIjEEEE10hipError_tPvRmT2_T3_mT4_T5_T6_T7_T8_P12ihipStream_tbENKUlT_T0_E_clISt17integral_constantIbLb0EES15_IbLb1EEEEDaS11_S12_EUlS11_E_NS1_11comp_targetILNS1_3genE10ELNS1_11target_archE1201ELNS1_3gpuE5ELNS1_3repE0EEENS1_30default_config_static_selectorELNS0_4arch9wavefront6targetE1EEEvT1_
		.amdhsa_group_segment_fixed_size 0
		.amdhsa_private_segment_fixed_size 0
		.amdhsa_kernarg_size 128
		.amdhsa_user_sgpr_count 6
		.amdhsa_user_sgpr_private_segment_buffer 1
		.amdhsa_user_sgpr_dispatch_ptr 0
		.amdhsa_user_sgpr_queue_ptr 0
		.amdhsa_user_sgpr_kernarg_segment_ptr 1
		.amdhsa_user_sgpr_dispatch_id 0
		.amdhsa_user_sgpr_flat_scratch_init 0
		.amdhsa_user_sgpr_kernarg_preload_length 0
		.amdhsa_user_sgpr_kernarg_preload_offset 0
		.amdhsa_user_sgpr_private_segment_size 0
		.amdhsa_uses_dynamic_stack 0
		.amdhsa_system_sgpr_private_segment_wavefront_offset 0
		.amdhsa_system_sgpr_workgroup_id_x 1
		.amdhsa_system_sgpr_workgroup_id_y 0
		.amdhsa_system_sgpr_workgroup_id_z 0
		.amdhsa_system_sgpr_workgroup_info 0
		.amdhsa_system_vgpr_workitem_id 0
		.amdhsa_next_free_vgpr 1
		.amdhsa_next_free_sgpr 0
		.amdhsa_accum_offset 4
		.amdhsa_reserve_vcc 0
		.amdhsa_reserve_flat_scratch 0
		.amdhsa_float_round_mode_32 0
		.amdhsa_float_round_mode_16_64 0
		.amdhsa_float_denorm_mode_32 3
		.amdhsa_float_denorm_mode_16_64 3
		.amdhsa_dx10_clamp 1
		.amdhsa_ieee_mode 1
		.amdhsa_fp16_overflow 0
		.amdhsa_tg_split 0
		.amdhsa_exception_fp_ieee_invalid_op 0
		.amdhsa_exception_fp_denorm_src 0
		.amdhsa_exception_fp_ieee_div_zero 0
		.amdhsa_exception_fp_ieee_overflow 0
		.amdhsa_exception_fp_ieee_underflow 0
		.amdhsa_exception_fp_ieee_inexact 0
		.amdhsa_exception_int_div_zero 0
	.end_amdhsa_kernel
	.section	.text._ZN7rocprim17ROCPRIM_400000_NS6detail17trampoline_kernelINS0_14default_configENS1_29reduce_by_key_config_selectorIjsN6thrust23THRUST_200600_302600_NS4plusIsEEEEZZNS1_33reduce_by_key_impl_wrapped_configILNS1_25lookback_scan_determinismE0ES3_S9_NS6_6detail15normal_iteratorINS6_10device_ptrIjEEEENSD_INSE_IsEEEENS6_16discard_iteratorINS6_11use_defaultEEESI_PmS8_NS6_8equal_toIjEEEE10hipError_tPvRmT2_T3_mT4_T5_T6_T7_T8_P12ihipStream_tbENKUlT_T0_E_clISt17integral_constantIbLb0EES15_IbLb1EEEEDaS11_S12_EUlS11_E_NS1_11comp_targetILNS1_3genE10ELNS1_11target_archE1201ELNS1_3gpuE5ELNS1_3repE0EEENS1_30default_config_static_selectorELNS0_4arch9wavefront6targetE1EEEvT1_,"axG",@progbits,_ZN7rocprim17ROCPRIM_400000_NS6detail17trampoline_kernelINS0_14default_configENS1_29reduce_by_key_config_selectorIjsN6thrust23THRUST_200600_302600_NS4plusIsEEEEZZNS1_33reduce_by_key_impl_wrapped_configILNS1_25lookback_scan_determinismE0ES3_S9_NS6_6detail15normal_iteratorINS6_10device_ptrIjEEEENSD_INSE_IsEEEENS6_16discard_iteratorINS6_11use_defaultEEESI_PmS8_NS6_8equal_toIjEEEE10hipError_tPvRmT2_T3_mT4_T5_T6_T7_T8_P12ihipStream_tbENKUlT_T0_E_clISt17integral_constantIbLb0EES15_IbLb1EEEEDaS11_S12_EUlS11_E_NS1_11comp_targetILNS1_3genE10ELNS1_11target_archE1201ELNS1_3gpuE5ELNS1_3repE0EEENS1_30default_config_static_selectorELNS0_4arch9wavefront6targetE1EEEvT1_,comdat
.Lfunc_end1089:
	.size	_ZN7rocprim17ROCPRIM_400000_NS6detail17trampoline_kernelINS0_14default_configENS1_29reduce_by_key_config_selectorIjsN6thrust23THRUST_200600_302600_NS4plusIsEEEEZZNS1_33reduce_by_key_impl_wrapped_configILNS1_25lookback_scan_determinismE0ES3_S9_NS6_6detail15normal_iteratorINS6_10device_ptrIjEEEENSD_INSE_IsEEEENS6_16discard_iteratorINS6_11use_defaultEEESI_PmS8_NS6_8equal_toIjEEEE10hipError_tPvRmT2_T3_mT4_T5_T6_T7_T8_P12ihipStream_tbENKUlT_T0_E_clISt17integral_constantIbLb0EES15_IbLb1EEEEDaS11_S12_EUlS11_E_NS1_11comp_targetILNS1_3genE10ELNS1_11target_archE1201ELNS1_3gpuE5ELNS1_3repE0EEENS1_30default_config_static_selectorELNS0_4arch9wavefront6targetE1EEEvT1_, .Lfunc_end1089-_ZN7rocprim17ROCPRIM_400000_NS6detail17trampoline_kernelINS0_14default_configENS1_29reduce_by_key_config_selectorIjsN6thrust23THRUST_200600_302600_NS4plusIsEEEEZZNS1_33reduce_by_key_impl_wrapped_configILNS1_25lookback_scan_determinismE0ES3_S9_NS6_6detail15normal_iteratorINS6_10device_ptrIjEEEENSD_INSE_IsEEEENS6_16discard_iteratorINS6_11use_defaultEEESI_PmS8_NS6_8equal_toIjEEEE10hipError_tPvRmT2_T3_mT4_T5_T6_T7_T8_P12ihipStream_tbENKUlT_T0_E_clISt17integral_constantIbLb0EES15_IbLb1EEEEDaS11_S12_EUlS11_E_NS1_11comp_targetILNS1_3genE10ELNS1_11target_archE1201ELNS1_3gpuE5ELNS1_3repE0EEENS1_30default_config_static_selectorELNS0_4arch9wavefront6targetE1EEEvT1_
                                        ; -- End function
	.section	.AMDGPU.csdata,"",@progbits
; Kernel info:
; codeLenInByte = 0
; NumSgprs: 4
; NumVgprs: 0
; NumAgprs: 0
; TotalNumVgprs: 0
; ScratchSize: 0
; MemoryBound: 0
; FloatMode: 240
; IeeeMode: 1
; LDSByteSize: 0 bytes/workgroup (compile time only)
; SGPRBlocks: 0
; VGPRBlocks: 0
; NumSGPRsForWavesPerEU: 4
; NumVGPRsForWavesPerEU: 1
; AccumOffset: 4
; Occupancy: 8
; WaveLimiterHint : 0
; COMPUTE_PGM_RSRC2:SCRATCH_EN: 0
; COMPUTE_PGM_RSRC2:USER_SGPR: 6
; COMPUTE_PGM_RSRC2:TRAP_HANDLER: 0
; COMPUTE_PGM_RSRC2:TGID_X_EN: 1
; COMPUTE_PGM_RSRC2:TGID_Y_EN: 0
; COMPUTE_PGM_RSRC2:TGID_Z_EN: 0
; COMPUTE_PGM_RSRC2:TIDIG_COMP_CNT: 0
; COMPUTE_PGM_RSRC3_GFX90A:ACCUM_OFFSET: 0
; COMPUTE_PGM_RSRC3_GFX90A:TG_SPLIT: 0
	.section	.text._ZN7rocprim17ROCPRIM_400000_NS6detail17trampoline_kernelINS0_14default_configENS1_29reduce_by_key_config_selectorIjsN6thrust23THRUST_200600_302600_NS4plusIsEEEEZZNS1_33reduce_by_key_impl_wrapped_configILNS1_25lookback_scan_determinismE0ES3_S9_NS6_6detail15normal_iteratorINS6_10device_ptrIjEEEENSD_INSE_IsEEEENS6_16discard_iteratorINS6_11use_defaultEEESI_PmS8_NS6_8equal_toIjEEEE10hipError_tPvRmT2_T3_mT4_T5_T6_T7_T8_P12ihipStream_tbENKUlT_T0_E_clISt17integral_constantIbLb0EES15_IbLb1EEEEDaS11_S12_EUlS11_E_NS1_11comp_targetILNS1_3genE10ELNS1_11target_archE1200ELNS1_3gpuE4ELNS1_3repE0EEENS1_30default_config_static_selectorELNS0_4arch9wavefront6targetE1EEEvT1_,"axG",@progbits,_ZN7rocprim17ROCPRIM_400000_NS6detail17trampoline_kernelINS0_14default_configENS1_29reduce_by_key_config_selectorIjsN6thrust23THRUST_200600_302600_NS4plusIsEEEEZZNS1_33reduce_by_key_impl_wrapped_configILNS1_25lookback_scan_determinismE0ES3_S9_NS6_6detail15normal_iteratorINS6_10device_ptrIjEEEENSD_INSE_IsEEEENS6_16discard_iteratorINS6_11use_defaultEEESI_PmS8_NS6_8equal_toIjEEEE10hipError_tPvRmT2_T3_mT4_T5_T6_T7_T8_P12ihipStream_tbENKUlT_T0_E_clISt17integral_constantIbLb0EES15_IbLb1EEEEDaS11_S12_EUlS11_E_NS1_11comp_targetILNS1_3genE10ELNS1_11target_archE1200ELNS1_3gpuE4ELNS1_3repE0EEENS1_30default_config_static_selectorELNS0_4arch9wavefront6targetE1EEEvT1_,comdat
	.protected	_ZN7rocprim17ROCPRIM_400000_NS6detail17trampoline_kernelINS0_14default_configENS1_29reduce_by_key_config_selectorIjsN6thrust23THRUST_200600_302600_NS4plusIsEEEEZZNS1_33reduce_by_key_impl_wrapped_configILNS1_25lookback_scan_determinismE0ES3_S9_NS6_6detail15normal_iteratorINS6_10device_ptrIjEEEENSD_INSE_IsEEEENS6_16discard_iteratorINS6_11use_defaultEEESI_PmS8_NS6_8equal_toIjEEEE10hipError_tPvRmT2_T3_mT4_T5_T6_T7_T8_P12ihipStream_tbENKUlT_T0_E_clISt17integral_constantIbLb0EES15_IbLb1EEEEDaS11_S12_EUlS11_E_NS1_11comp_targetILNS1_3genE10ELNS1_11target_archE1200ELNS1_3gpuE4ELNS1_3repE0EEENS1_30default_config_static_selectorELNS0_4arch9wavefront6targetE1EEEvT1_ ; -- Begin function _ZN7rocprim17ROCPRIM_400000_NS6detail17trampoline_kernelINS0_14default_configENS1_29reduce_by_key_config_selectorIjsN6thrust23THRUST_200600_302600_NS4plusIsEEEEZZNS1_33reduce_by_key_impl_wrapped_configILNS1_25lookback_scan_determinismE0ES3_S9_NS6_6detail15normal_iteratorINS6_10device_ptrIjEEEENSD_INSE_IsEEEENS6_16discard_iteratorINS6_11use_defaultEEESI_PmS8_NS6_8equal_toIjEEEE10hipError_tPvRmT2_T3_mT4_T5_T6_T7_T8_P12ihipStream_tbENKUlT_T0_E_clISt17integral_constantIbLb0EES15_IbLb1EEEEDaS11_S12_EUlS11_E_NS1_11comp_targetILNS1_3genE10ELNS1_11target_archE1200ELNS1_3gpuE4ELNS1_3repE0EEENS1_30default_config_static_selectorELNS0_4arch9wavefront6targetE1EEEvT1_
	.globl	_ZN7rocprim17ROCPRIM_400000_NS6detail17trampoline_kernelINS0_14default_configENS1_29reduce_by_key_config_selectorIjsN6thrust23THRUST_200600_302600_NS4plusIsEEEEZZNS1_33reduce_by_key_impl_wrapped_configILNS1_25lookback_scan_determinismE0ES3_S9_NS6_6detail15normal_iteratorINS6_10device_ptrIjEEEENSD_INSE_IsEEEENS6_16discard_iteratorINS6_11use_defaultEEESI_PmS8_NS6_8equal_toIjEEEE10hipError_tPvRmT2_T3_mT4_T5_T6_T7_T8_P12ihipStream_tbENKUlT_T0_E_clISt17integral_constantIbLb0EES15_IbLb1EEEEDaS11_S12_EUlS11_E_NS1_11comp_targetILNS1_3genE10ELNS1_11target_archE1200ELNS1_3gpuE4ELNS1_3repE0EEENS1_30default_config_static_selectorELNS0_4arch9wavefront6targetE1EEEvT1_
	.p2align	8
	.type	_ZN7rocprim17ROCPRIM_400000_NS6detail17trampoline_kernelINS0_14default_configENS1_29reduce_by_key_config_selectorIjsN6thrust23THRUST_200600_302600_NS4plusIsEEEEZZNS1_33reduce_by_key_impl_wrapped_configILNS1_25lookback_scan_determinismE0ES3_S9_NS6_6detail15normal_iteratorINS6_10device_ptrIjEEEENSD_INSE_IsEEEENS6_16discard_iteratorINS6_11use_defaultEEESI_PmS8_NS6_8equal_toIjEEEE10hipError_tPvRmT2_T3_mT4_T5_T6_T7_T8_P12ihipStream_tbENKUlT_T0_E_clISt17integral_constantIbLb0EES15_IbLb1EEEEDaS11_S12_EUlS11_E_NS1_11comp_targetILNS1_3genE10ELNS1_11target_archE1200ELNS1_3gpuE4ELNS1_3repE0EEENS1_30default_config_static_selectorELNS0_4arch9wavefront6targetE1EEEvT1_,@function
_ZN7rocprim17ROCPRIM_400000_NS6detail17trampoline_kernelINS0_14default_configENS1_29reduce_by_key_config_selectorIjsN6thrust23THRUST_200600_302600_NS4plusIsEEEEZZNS1_33reduce_by_key_impl_wrapped_configILNS1_25lookback_scan_determinismE0ES3_S9_NS6_6detail15normal_iteratorINS6_10device_ptrIjEEEENSD_INSE_IsEEEENS6_16discard_iteratorINS6_11use_defaultEEESI_PmS8_NS6_8equal_toIjEEEE10hipError_tPvRmT2_T3_mT4_T5_T6_T7_T8_P12ihipStream_tbENKUlT_T0_E_clISt17integral_constantIbLb0EES15_IbLb1EEEEDaS11_S12_EUlS11_E_NS1_11comp_targetILNS1_3genE10ELNS1_11target_archE1200ELNS1_3gpuE4ELNS1_3repE0EEENS1_30default_config_static_selectorELNS0_4arch9wavefront6targetE1EEEvT1_: ; @_ZN7rocprim17ROCPRIM_400000_NS6detail17trampoline_kernelINS0_14default_configENS1_29reduce_by_key_config_selectorIjsN6thrust23THRUST_200600_302600_NS4plusIsEEEEZZNS1_33reduce_by_key_impl_wrapped_configILNS1_25lookback_scan_determinismE0ES3_S9_NS6_6detail15normal_iteratorINS6_10device_ptrIjEEEENSD_INSE_IsEEEENS6_16discard_iteratorINS6_11use_defaultEEESI_PmS8_NS6_8equal_toIjEEEE10hipError_tPvRmT2_T3_mT4_T5_T6_T7_T8_P12ihipStream_tbENKUlT_T0_E_clISt17integral_constantIbLb0EES15_IbLb1EEEEDaS11_S12_EUlS11_E_NS1_11comp_targetILNS1_3genE10ELNS1_11target_archE1200ELNS1_3gpuE4ELNS1_3repE0EEENS1_30default_config_static_selectorELNS0_4arch9wavefront6targetE1EEEvT1_
; %bb.0:
	.section	.rodata,"a",@progbits
	.p2align	6, 0x0
	.amdhsa_kernel _ZN7rocprim17ROCPRIM_400000_NS6detail17trampoline_kernelINS0_14default_configENS1_29reduce_by_key_config_selectorIjsN6thrust23THRUST_200600_302600_NS4plusIsEEEEZZNS1_33reduce_by_key_impl_wrapped_configILNS1_25lookback_scan_determinismE0ES3_S9_NS6_6detail15normal_iteratorINS6_10device_ptrIjEEEENSD_INSE_IsEEEENS6_16discard_iteratorINS6_11use_defaultEEESI_PmS8_NS6_8equal_toIjEEEE10hipError_tPvRmT2_T3_mT4_T5_T6_T7_T8_P12ihipStream_tbENKUlT_T0_E_clISt17integral_constantIbLb0EES15_IbLb1EEEEDaS11_S12_EUlS11_E_NS1_11comp_targetILNS1_3genE10ELNS1_11target_archE1200ELNS1_3gpuE4ELNS1_3repE0EEENS1_30default_config_static_selectorELNS0_4arch9wavefront6targetE1EEEvT1_
		.amdhsa_group_segment_fixed_size 0
		.amdhsa_private_segment_fixed_size 0
		.amdhsa_kernarg_size 128
		.amdhsa_user_sgpr_count 6
		.amdhsa_user_sgpr_private_segment_buffer 1
		.amdhsa_user_sgpr_dispatch_ptr 0
		.amdhsa_user_sgpr_queue_ptr 0
		.amdhsa_user_sgpr_kernarg_segment_ptr 1
		.amdhsa_user_sgpr_dispatch_id 0
		.amdhsa_user_sgpr_flat_scratch_init 0
		.amdhsa_user_sgpr_kernarg_preload_length 0
		.amdhsa_user_sgpr_kernarg_preload_offset 0
		.amdhsa_user_sgpr_private_segment_size 0
		.amdhsa_uses_dynamic_stack 0
		.amdhsa_system_sgpr_private_segment_wavefront_offset 0
		.amdhsa_system_sgpr_workgroup_id_x 1
		.amdhsa_system_sgpr_workgroup_id_y 0
		.amdhsa_system_sgpr_workgroup_id_z 0
		.amdhsa_system_sgpr_workgroup_info 0
		.amdhsa_system_vgpr_workitem_id 0
		.amdhsa_next_free_vgpr 1
		.amdhsa_next_free_sgpr 0
		.amdhsa_accum_offset 4
		.amdhsa_reserve_vcc 0
		.amdhsa_reserve_flat_scratch 0
		.amdhsa_float_round_mode_32 0
		.amdhsa_float_round_mode_16_64 0
		.amdhsa_float_denorm_mode_32 3
		.amdhsa_float_denorm_mode_16_64 3
		.amdhsa_dx10_clamp 1
		.amdhsa_ieee_mode 1
		.amdhsa_fp16_overflow 0
		.amdhsa_tg_split 0
		.amdhsa_exception_fp_ieee_invalid_op 0
		.amdhsa_exception_fp_denorm_src 0
		.amdhsa_exception_fp_ieee_div_zero 0
		.amdhsa_exception_fp_ieee_overflow 0
		.amdhsa_exception_fp_ieee_underflow 0
		.amdhsa_exception_fp_ieee_inexact 0
		.amdhsa_exception_int_div_zero 0
	.end_amdhsa_kernel
	.section	.text._ZN7rocprim17ROCPRIM_400000_NS6detail17trampoline_kernelINS0_14default_configENS1_29reduce_by_key_config_selectorIjsN6thrust23THRUST_200600_302600_NS4plusIsEEEEZZNS1_33reduce_by_key_impl_wrapped_configILNS1_25lookback_scan_determinismE0ES3_S9_NS6_6detail15normal_iteratorINS6_10device_ptrIjEEEENSD_INSE_IsEEEENS6_16discard_iteratorINS6_11use_defaultEEESI_PmS8_NS6_8equal_toIjEEEE10hipError_tPvRmT2_T3_mT4_T5_T6_T7_T8_P12ihipStream_tbENKUlT_T0_E_clISt17integral_constantIbLb0EES15_IbLb1EEEEDaS11_S12_EUlS11_E_NS1_11comp_targetILNS1_3genE10ELNS1_11target_archE1200ELNS1_3gpuE4ELNS1_3repE0EEENS1_30default_config_static_selectorELNS0_4arch9wavefront6targetE1EEEvT1_,"axG",@progbits,_ZN7rocprim17ROCPRIM_400000_NS6detail17trampoline_kernelINS0_14default_configENS1_29reduce_by_key_config_selectorIjsN6thrust23THRUST_200600_302600_NS4plusIsEEEEZZNS1_33reduce_by_key_impl_wrapped_configILNS1_25lookback_scan_determinismE0ES3_S9_NS6_6detail15normal_iteratorINS6_10device_ptrIjEEEENSD_INSE_IsEEEENS6_16discard_iteratorINS6_11use_defaultEEESI_PmS8_NS6_8equal_toIjEEEE10hipError_tPvRmT2_T3_mT4_T5_T6_T7_T8_P12ihipStream_tbENKUlT_T0_E_clISt17integral_constantIbLb0EES15_IbLb1EEEEDaS11_S12_EUlS11_E_NS1_11comp_targetILNS1_3genE10ELNS1_11target_archE1200ELNS1_3gpuE4ELNS1_3repE0EEENS1_30default_config_static_selectorELNS0_4arch9wavefront6targetE1EEEvT1_,comdat
.Lfunc_end1090:
	.size	_ZN7rocprim17ROCPRIM_400000_NS6detail17trampoline_kernelINS0_14default_configENS1_29reduce_by_key_config_selectorIjsN6thrust23THRUST_200600_302600_NS4plusIsEEEEZZNS1_33reduce_by_key_impl_wrapped_configILNS1_25lookback_scan_determinismE0ES3_S9_NS6_6detail15normal_iteratorINS6_10device_ptrIjEEEENSD_INSE_IsEEEENS6_16discard_iteratorINS6_11use_defaultEEESI_PmS8_NS6_8equal_toIjEEEE10hipError_tPvRmT2_T3_mT4_T5_T6_T7_T8_P12ihipStream_tbENKUlT_T0_E_clISt17integral_constantIbLb0EES15_IbLb1EEEEDaS11_S12_EUlS11_E_NS1_11comp_targetILNS1_3genE10ELNS1_11target_archE1200ELNS1_3gpuE4ELNS1_3repE0EEENS1_30default_config_static_selectorELNS0_4arch9wavefront6targetE1EEEvT1_, .Lfunc_end1090-_ZN7rocprim17ROCPRIM_400000_NS6detail17trampoline_kernelINS0_14default_configENS1_29reduce_by_key_config_selectorIjsN6thrust23THRUST_200600_302600_NS4plusIsEEEEZZNS1_33reduce_by_key_impl_wrapped_configILNS1_25lookback_scan_determinismE0ES3_S9_NS6_6detail15normal_iteratorINS6_10device_ptrIjEEEENSD_INSE_IsEEEENS6_16discard_iteratorINS6_11use_defaultEEESI_PmS8_NS6_8equal_toIjEEEE10hipError_tPvRmT2_T3_mT4_T5_T6_T7_T8_P12ihipStream_tbENKUlT_T0_E_clISt17integral_constantIbLb0EES15_IbLb1EEEEDaS11_S12_EUlS11_E_NS1_11comp_targetILNS1_3genE10ELNS1_11target_archE1200ELNS1_3gpuE4ELNS1_3repE0EEENS1_30default_config_static_selectorELNS0_4arch9wavefront6targetE1EEEvT1_
                                        ; -- End function
	.section	.AMDGPU.csdata,"",@progbits
; Kernel info:
; codeLenInByte = 0
; NumSgprs: 4
; NumVgprs: 0
; NumAgprs: 0
; TotalNumVgprs: 0
; ScratchSize: 0
; MemoryBound: 0
; FloatMode: 240
; IeeeMode: 1
; LDSByteSize: 0 bytes/workgroup (compile time only)
; SGPRBlocks: 0
; VGPRBlocks: 0
; NumSGPRsForWavesPerEU: 4
; NumVGPRsForWavesPerEU: 1
; AccumOffset: 4
; Occupancy: 8
; WaveLimiterHint : 0
; COMPUTE_PGM_RSRC2:SCRATCH_EN: 0
; COMPUTE_PGM_RSRC2:USER_SGPR: 6
; COMPUTE_PGM_RSRC2:TRAP_HANDLER: 0
; COMPUTE_PGM_RSRC2:TGID_X_EN: 1
; COMPUTE_PGM_RSRC2:TGID_Y_EN: 0
; COMPUTE_PGM_RSRC2:TGID_Z_EN: 0
; COMPUTE_PGM_RSRC2:TIDIG_COMP_CNT: 0
; COMPUTE_PGM_RSRC3_GFX90A:ACCUM_OFFSET: 0
; COMPUTE_PGM_RSRC3_GFX90A:TG_SPLIT: 0
	.section	.text._ZN7rocprim17ROCPRIM_400000_NS6detail17trampoline_kernelINS0_14default_configENS1_29reduce_by_key_config_selectorIjsN6thrust23THRUST_200600_302600_NS4plusIsEEEEZZNS1_33reduce_by_key_impl_wrapped_configILNS1_25lookback_scan_determinismE0ES3_S9_NS6_6detail15normal_iteratorINS6_10device_ptrIjEEEENSD_INSE_IsEEEENS6_16discard_iteratorINS6_11use_defaultEEESI_PmS8_NS6_8equal_toIjEEEE10hipError_tPvRmT2_T3_mT4_T5_T6_T7_T8_P12ihipStream_tbENKUlT_T0_E_clISt17integral_constantIbLb0EES15_IbLb1EEEEDaS11_S12_EUlS11_E_NS1_11comp_targetILNS1_3genE9ELNS1_11target_archE1100ELNS1_3gpuE3ELNS1_3repE0EEENS1_30default_config_static_selectorELNS0_4arch9wavefront6targetE1EEEvT1_,"axG",@progbits,_ZN7rocprim17ROCPRIM_400000_NS6detail17trampoline_kernelINS0_14default_configENS1_29reduce_by_key_config_selectorIjsN6thrust23THRUST_200600_302600_NS4plusIsEEEEZZNS1_33reduce_by_key_impl_wrapped_configILNS1_25lookback_scan_determinismE0ES3_S9_NS6_6detail15normal_iteratorINS6_10device_ptrIjEEEENSD_INSE_IsEEEENS6_16discard_iteratorINS6_11use_defaultEEESI_PmS8_NS6_8equal_toIjEEEE10hipError_tPvRmT2_T3_mT4_T5_T6_T7_T8_P12ihipStream_tbENKUlT_T0_E_clISt17integral_constantIbLb0EES15_IbLb1EEEEDaS11_S12_EUlS11_E_NS1_11comp_targetILNS1_3genE9ELNS1_11target_archE1100ELNS1_3gpuE3ELNS1_3repE0EEENS1_30default_config_static_selectorELNS0_4arch9wavefront6targetE1EEEvT1_,comdat
	.protected	_ZN7rocprim17ROCPRIM_400000_NS6detail17trampoline_kernelINS0_14default_configENS1_29reduce_by_key_config_selectorIjsN6thrust23THRUST_200600_302600_NS4plusIsEEEEZZNS1_33reduce_by_key_impl_wrapped_configILNS1_25lookback_scan_determinismE0ES3_S9_NS6_6detail15normal_iteratorINS6_10device_ptrIjEEEENSD_INSE_IsEEEENS6_16discard_iteratorINS6_11use_defaultEEESI_PmS8_NS6_8equal_toIjEEEE10hipError_tPvRmT2_T3_mT4_T5_T6_T7_T8_P12ihipStream_tbENKUlT_T0_E_clISt17integral_constantIbLb0EES15_IbLb1EEEEDaS11_S12_EUlS11_E_NS1_11comp_targetILNS1_3genE9ELNS1_11target_archE1100ELNS1_3gpuE3ELNS1_3repE0EEENS1_30default_config_static_selectorELNS0_4arch9wavefront6targetE1EEEvT1_ ; -- Begin function _ZN7rocprim17ROCPRIM_400000_NS6detail17trampoline_kernelINS0_14default_configENS1_29reduce_by_key_config_selectorIjsN6thrust23THRUST_200600_302600_NS4plusIsEEEEZZNS1_33reduce_by_key_impl_wrapped_configILNS1_25lookback_scan_determinismE0ES3_S9_NS6_6detail15normal_iteratorINS6_10device_ptrIjEEEENSD_INSE_IsEEEENS6_16discard_iteratorINS6_11use_defaultEEESI_PmS8_NS6_8equal_toIjEEEE10hipError_tPvRmT2_T3_mT4_T5_T6_T7_T8_P12ihipStream_tbENKUlT_T0_E_clISt17integral_constantIbLb0EES15_IbLb1EEEEDaS11_S12_EUlS11_E_NS1_11comp_targetILNS1_3genE9ELNS1_11target_archE1100ELNS1_3gpuE3ELNS1_3repE0EEENS1_30default_config_static_selectorELNS0_4arch9wavefront6targetE1EEEvT1_
	.globl	_ZN7rocprim17ROCPRIM_400000_NS6detail17trampoline_kernelINS0_14default_configENS1_29reduce_by_key_config_selectorIjsN6thrust23THRUST_200600_302600_NS4plusIsEEEEZZNS1_33reduce_by_key_impl_wrapped_configILNS1_25lookback_scan_determinismE0ES3_S9_NS6_6detail15normal_iteratorINS6_10device_ptrIjEEEENSD_INSE_IsEEEENS6_16discard_iteratorINS6_11use_defaultEEESI_PmS8_NS6_8equal_toIjEEEE10hipError_tPvRmT2_T3_mT4_T5_T6_T7_T8_P12ihipStream_tbENKUlT_T0_E_clISt17integral_constantIbLb0EES15_IbLb1EEEEDaS11_S12_EUlS11_E_NS1_11comp_targetILNS1_3genE9ELNS1_11target_archE1100ELNS1_3gpuE3ELNS1_3repE0EEENS1_30default_config_static_selectorELNS0_4arch9wavefront6targetE1EEEvT1_
	.p2align	8
	.type	_ZN7rocprim17ROCPRIM_400000_NS6detail17trampoline_kernelINS0_14default_configENS1_29reduce_by_key_config_selectorIjsN6thrust23THRUST_200600_302600_NS4plusIsEEEEZZNS1_33reduce_by_key_impl_wrapped_configILNS1_25lookback_scan_determinismE0ES3_S9_NS6_6detail15normal_iteratorINS6_10device_ptrIjEEEENSD_INSE_IsEEEENS6_16discard_iteratorINS6_11use_defaultEEESI_PmS8_NS6_8equal_toIjEEEE10hipError_tPvRmT2_T3_mT4_T5_T6_T7_T8_P12ihipStream_tbENKUlT_T0_E_clISt17integral_constantIbLb0EES15_IbLb1EEEEDaS11_S12_EUlS11_E_NS1_11comp_targetILNS1_3genE9ELNS1_11target_archE1100ELNS1_3gpuE3ELNS1_3repE0EEENS1_30default_config_static_selectorELNS0_4arch9wavefront6targetE1EEEvT1_,@function
_ZN7rocprim17ROCPRIM_400000_NS6detail17trampoline_kernelINS0_14default_configENS1_29reduce_by_key_config_selectorIjsN6thrust23THRUST_200600_302600_NS4plusIsEEEEZZNS1_33reduce_by_key_impl_wrapped_configILNS1_25lookback_scan_determinismE0ES3_S9_NS6_6detail15normal_iteratorINS6_10device_ptrIjEEEENSD_INSE_IsEEEENS6_16discard_iteratorINS6_11use_defaultEEESI_PmS8_NS6_8equal_toIjEEEE10hipError_tPvRmT2_T3_mT4_T5_T6_T7_T8_P12ihipStream_tbENKUlT_T0_E_clISt17integral_constantIbLb0EES15_IbLb1EEEEDaS11_S12_EUlS11_E_NS1_11comp_targetILNS1_3genE9ELNS1_11target_archE1100ELNS1_3gpuE3ELNS1_3repE0EEENS1_30default_config_static_selectorELNS0_4arch9wavefront6targetE1EEEvT1_: ; @_ZN7rocprim17ROCPRIM_400000_NS6detail17trampoline_kernelINS0_14default_configENS1_29reduce_by_key_config_selectorIjsN6thrust23THRUST_200600_302600_NS4plusIsEEEEZZNS1_33reduce_by_key_impl_wrapped_configILNS1_25lookback_scan_determinismE0ES3_S9_NS6_6detail15normal_iteratorINS6_10device_ptrIjEEEENSD_INSE_IsEEEENS6_16discard_iteratorINS6_11use_defaultEEESI_PmS8_NS6_8equal_toIjEEEE10hipError_tPvRmT2_T3_mT4_T5_T6_T7_T8_P12ihipStream_tbENKUlT_T0_E_clISt17integral_constantIbLb0EES15_IbLb1EEEEDaS11_S12_EUlS11_E_NS1_11comp_targetILNS1_3genE9ELNS1_11target_archE1100ELNS1_3gpuE3ELNS1_3repE0EEENS1_30default_config_static_selectorELNS0_4arch9wavefront6targetE1EEEvT1_
; %bb.0:
	.section	.rodata,"a",@progbits
	.p2align	6, 0x0
	.amdhsa_kernel _ZN7rocprim17ROCPRIM_400000_NS6detail17trampoline_kernelINS0_14default_configENS1_29reduce_by_key_config_selectorIjsN6thrust23THRUST_200600_302600_NS4plusIsEEEEZZNS1_33reduce_by_key_impl_wrapped_configILNS1_25lookback_scan_determinismE0ES3_S9_NS6_6detail15normal_iteratorINS6_10device_ptrIjEEEENSD_INSE_IsEEEENS6_16discard_iteratorINS6_11use_defaultEEESI_PmS8_NS6_8equal_toIjEEEE10hipError_tPvRmT2_T3_mT4_T5_T6_T7_T8_P12ihipStream_tbENKUlT_T0_E_clISt17integral_constantIbLb0EES15_IbLb1EEEEDaS11_S12_EUlS11_E_NS1_11comp_targetILNS1_3genE9ELNS1_11target_archE1100ELNS1_3gpuE3ELNS1_3repE0EEENS1_30default_config_static_selectorELNS0_4arch9wavefront6targetE1EEEvT1_
		.amdhsa_group_segment_fixed_size 0
		.amdhsa_private_segment_fixed_size 0
		.amdhsa_kernarg_size 128
		.amdhsa_user_sgpr_count 6
		.amdhsa_user_sgpr_private_segment_buffer 1
		.amdhsa_user_sgpr_dispatch_ptr 0
		.amdhsa_user_sgpr_queue_ptr 0
		.amdhsa_user_sgpr_kernarg_segment_ptr 1
		.amdhsa_user_sgpr_dispatch_id 0
		.amdhsa_user_sgpr_flat_scratch_init 0
		.amdhsa_user_sgpr_kernarg_preload_length 0
		.amdhsa_user_sgpr_kernarg_preload_offset 0
		.amdhsa_user_sgpr_private_segment_size 0
		.amdhsa_uses_dynamic_stack 0
		.amdhsa_system_sgpr_private_segment_wavefront_offset 0
		.amdhsa_system_sgpr_workgroup_id_x 1
		.amdhsa_system_sgpr_workgroup_id_y 0
		.amdhsa_system_sgpr_workgroup_id_z 0
		.amdhsa_system_sgpr_workgroup_info 0
		.amdhsa_system_vgpr_workitem_id 0
		.amdhsa_next_free_vgpr 1
		.amdhsa_next_free_sgpr 0
		.amdhsa_accum_offset 4
		.amdhsa_reserve_vcc 0
		.amdhsa_reserve_flat_scratch 0
		.amdhsa_float_round_mode_32 0
		.amdhsa_float_round_mode_16_64 0
		.amdhsa_float_denorm_mode_32 3
		.amdhsa_float_denorm_mode_16_64 3
		.amdhsa_dx10_clamp 1
		.amdhsa_ieee_mode 1
		.amdhsa_fp16_overflow 0
		.amdhsa_tg_split 0
		.amdhsa_exception_fp_ieee_invalid_op 0
		.amdhsa_exception_fp_denorm_src 0
		.amdhsa_exception_fp_ieee_div_zero 0
		.amdhsa_exception_fp_ieee_overflow 0
		.amdhsa_exception_fp_ieee_underflow 0
		.amdhsa_exception_fp_ieee_inexact 0
		.amdhsa_exception_int_div_zero 0
	.end_amdhsa_kernel
	.section	.text._ZN7rocprim17ROCPRIM_400000_NS6detail17trampoline_kernelINS0_14default_configENS1_29reduce_by_key_config_selectorIjsN6thrust23THRUST_200600_302600_NS4plusIsEEEEZZNS1_33reduce_by_key_impl_wrapped_configILNS1_25lookback_scan_determinismE0ES3_S9_NS6_6detail15normal_iteratorINS6_10device_ptrIjEEEENSD_INSE_IsEEEENS6_16discard_iteratorINS6_11use_defaultEEESI_PmS8_NS6_8equal_toIjEEEE10hipError_tPvRmT2_T3_mT4_T5_T6_T7_T8_P12ihipStream_tbENKUlT_T0_E_clISt17integral_constantIbLb0EES15_IbLb1EEEEDaS11_S12_EUlS11_E_NS1_11comp_targetILNS1_3genE9ELNS1_11target_archE1100ELNS1_3gpuE3ELNS1_3repE0EEENS1_30default_config_static_selectorELNS0_4arch9wavefront6targetE1EEEvT1_,"axG",@progbits,_ZN7rocprim17ROCPRIM_400000_NS6detail17trampoline_kernelINS0_14default_configENS1_29reduce_by_key_config_selectorIjsN6thrust23THRUST_200600_302600_NS4plusIsEEEEZZNS1_33reduce_by_key_impl_wrapped_configILNS1_25lookback_scan_determinismE0ES3_S9_NS6_6detail15normal_iteratorINS6_10device_ptrIjEEEENSD_INSE_IsEEEENS6_16discard_iteratorINS6_11use_defaultEEESI_PmS8_NS6_8equal_toIjEEEE10hipError_tPvRmT2_T3_mT4_T5_T6_T7_T8_P12ihipStream_tbENKUlT_T0_E_clISt17integral_constantIbLb0EES15_IbLb1EEEEDaS11_S12_EUlS11_E_NS1_11comp_targetILNS1_3genE9ELNS1_11target_archE1100ELNS1_3gpuE3ELNS1_3repE0EEENS1_30default_config_static_selectorELNS0_4arch9wavefront6targetE1EEEvT1_,comdat
.Lfunc_end1091:
	.size	_ZN7rocprim17ROCPRIM_400000_NS6detail17trampoline_kernelINS0_14default_configENS1_29reduce_by_key_config_selectorIjsN6thrust23THRUST_200600_302600_NS4plusIsEEEEZZNS1_33reduce_by_key_impl_wrapped_configILNS1_25lookback_scan_determinismE0ES3_S9_NS6_6detail15normal_iteratorINS6_10device_ptrIjEEEENSD_INSE_IsEEEENS6_16discard_iteratorINS6_11use_defaultEEESI_PmS8_NS6_8equal_toIjEEEE10hipError_tPvRmT2_T3_mT4_T5_T6_T7_T8_P12ihipStream_tbENKUlT_T0_E_clISt17integral_constantIbLb0EES15_IbLb1EEEEDaS11_S12_EUlS11_E_NS1_11comp_targetILNS1_3genE9ELNS1_11target_archE1100ELNS1_3gpuE3ELNS1_3repE0EEENS1_30default_config_static_selectorELNS0_4arch9wavefront6targetE1EEEvT1_, .Lfunc_end1091-_ZN7rocprim17ROCPRIM_400000_NS6detail17trampoline_kernelINS0_14default_configENS1_29reduce_by_key_config_selectorIjsN6thrust23THRUST_200600_302600_NS4plusIsEEEEZZNS1_33reduce_by_key_impl_wrapped_configILNS1_25lookback_scan_determinismE0ES3_S9_NS6_6detail15normal_iteratorINS6_10device_ptrIjEEEENSD_INSE_IsEEEENS6_16discard_iteratorINS6_11use_defaultEEESI_PmS8_NS6_8equal_toIjEEEE10hipError_tPvRmT2_T3_mT4_T5_T6_T7_T8_P12ihipStream_tbENKUlT_T0_E_clISt17integral_constantIbLb0EES15_IbLb1EEEEDaS11_S12_EUlS11_E_NS1_11comp_targetILNS1_3genE9ELNS1_11target_archE1100ELNS1_3gpuE3ELNS1_3repE0EEENS1_30default_config_static_selectorELNS0_4arch9wavefront6targetE1EEEvT1_
                                        ; -- End function
	.section	.AMDGPU.csdata,"",@progbits
; Kernel info:
; codeLenInByte = 0
; NumSgprs: 4
; NumVgprs: 0
; NumAgprs: 0
; TotalNumVgprs: 0
; ScratchSize: 0
; MemoryBound: 0
; FloatMode: 240
; IeeeMode: 1
; LDSByteSize: 0 bytes/workgroup (compile time only)
; SGPRBlocks: 0
; VGPRBlocks: 0
; NumSGPRsForWavesPerEU: 4
; NumVGPRsForWavesPerEU: 1
; AccumOffset: 4
; Occupancy: 8
; WaveLimiterHint : 0
; COMPUTE_PGM_RSRC2:SCRATCH_EN: 0
; COMPUTE_PGM_RSRC2:USER_SGPR: 6
; COMPUTE_PGM_RSRC2:TRAP_HANDLER: 0
; COMPUTE_PGM_RSRC2:TGID_X_EN: 1
; COMPUTE_PGM_RSRC2:TGID_Y_EN: 0
; COMPUTE_PGM_RSRC2:TGID_Z_EN: 0
; COMPUTE_PGM_RSRC2:TIDIG_COMP_CNT: 0
; COMPUTE_PGM_RSRC3_GFX90A:ACCUM_OFFSET: 0
; COMPUTE_PGM_RSRC3_GFX90A:TG_SPLIT: 0
	.section	.text._ZN7rocprim17ROCPRIM_400000_NS6detail17trampoline_kernelINS0_14default_configENS1_29reduce_by_key_config_selectorIjsN6thrust23THRUST_200600_302600_NS4plusIsEEEEZZNS1_33reduce_by_key_impl_wrapped_configILNS1_25lookback_scan_determinismE0ES3_S9_NS6_6detail15normal_iteratorINS6_10device_ptrIjEEEENSD_INSE_IsEEEENS6_16discard_iteratorINS6_11use_defaultEEESI_PmS8_NS6_8equal_toIjEEEE10hipError_tPvRmT2_T3_mT4_T5_T6_T7_T8_P12ihipStream_tbENKUlT_T0_E_clISt17integral_constantIbLb0EES15_IbLb1EEEEDaS11_S12_EUlS11_E_NS1_11comp_targetILNS1_3genE8ELNS1_11target_archE1030ELNS1_3gpuE2ELNS1_3repE0EEENS1_30default_config_static_selectorELNS0_4arch9wavefront6targetE1EEEvT1_,"axG",@progbits,_ZN7rocprim17ROCPRIM_400000_NS6detail17trampoline_kernelINS0_14default_configENS1_29reduce_by_key_config_selectorIjsN6thrust23THRUST_200600_302600_NS4plusIsEEEEZZNS1_33reduce_by_key_impl_wrapped_configILNS1_25lookback_scan_determinismE0ES3_S9_NS6_6detail15normal_iteratorINS6_10device_ptrIjEEEENSD_INSE_IsEEEENS6_16discard_iteratorINS6_11use_defaultEEESI_PmS8_NS6_8equal_toIjEEEE10hipError_tPvRmT2_T3_mT4_T5_T6_T7_T8_P12ihipStream_tbENKUlT_T0_E_clISt17integral_constantIbLb0EES15_IbLb1EEEEDaS11_S12_EUlS11_E_NS1_11comp_targetILNS1_3genE8ELNS1_11target_archE1030ELNS1_3gpuE2ELNS1_3repE0EEENS1_30default_config_static_selectorELNS0_4arch9wavefront6targetE1EEEvT1_,comdat
	.protected	_ZN7rocprim17ROCPRIM_400000_NS6detail17trampoline_kernelINS0_14default_configENS1_29reduce_by_key_config_selectorIjsN6thrust23THRUST_200600_302600_NS4plusIsEEEEZZNS1_33reduce_by_key_impl_wrapped_configILNS1_25lookback_scan_determinismE0ES3_S9_NS6_6detail15normal_iteratorINS6_10device_ptrIjEEEENSD_INSE_IsEEEENS6_16discard_iteratorINS6_11use_defaultEEESI_PmS8_NS6_8equal_toIjEEEE10hipError_tPvRmT2_T3_mT4_T5_T6_T7_T8_P12ihipStream_tbENKUlT_T0_E_clISt17integral_constantIbLb0EES15_IbLb1EEEEDaS11_S12_EUlS11_E_NS1_11comp_targetILNS1_3genE8ELNS1_11target_archE1030ELNS1_3gpuE2ELNS1_3repE0EEENS1_30default_config_static_selectorELNS0_4arch9wavefront6targetE1EEEvT1_ ; -- Begin function _ZN7rocprim17ROCPRIM_400000_NS6detail17trampoline_kernelINS0_14default_configENS1_29reduce_by_key_config_selectorIjsN6thrust23THRUST_200600_302600_NS4plusIsEEEEZZNS1_33reduce_by_key_impl_wrapped_configILNS1_25lookback_scan_determinismE0ES3_S9_NS6_6detail15normal_iteratorINS6_10device_ptrIjEEEENSD_INSE_IsEEEENS6_16discard_iteratorINS6_11use_defaultEEESI_PmS8_NS6_8equal_toIjEEEE10hipError_tPvRmT2_T3_mT4_T5_T6_T7_T8_P12ihipStream_tbENKUlT_T0_E_clISt17integral_constantIbLb0EES15_IbLb1EEEEDaS11_S12_EUlS11_E_NS1_11comp_targetILNS1_3genE8ELNS1_11target_archE1030ELNS1_3gpuE2ELNS1_3repE0EEENS1_30default_config_static_selectorELNS0_4arch9wavefront6targetE1EEEvT1_
	.globl	_ZN7rocprim17ROCPRIM_400000_NS6detail17trampoline_kernelINS0_14default_configENS1_29reduce_by_key_config_selectorIjsN6thrust23THRUST_200600_302600_NS4plusIsEEEEZZNS1_33reduce_by_key_impl_wrapped_configILNS1_25lookback_scan_determinismE0ES3_S9_NS6_6detail15normal_iteratorINS6_10device_ptrIjEEEENSD_INSE_IsEEEENS6_16discard_iteratorINS6_11use_defaultEEESI_PmS8_NS6_8equal_toIjEEEE10hipError_tPvRmT2_T3_mT4_T5_T6_T7_T8_P12ihipStream_tbENKUlT_T0_E_clISt17integral_constantIbLb0EES15_IbLb1EEEEDaS11_S12_EUlS11_E_NS1_11comp_targetILNS1_3genE8ELNS1_11target_archE1030ELNS1_3gpuE2ELNS1_3repE0EEENS1_30default_config_static_selectorELNS0_4arch9wavefront6targetE1EEEvT1_
	.p2align	8
	.type	_ZN7rocprim17ROCPRIM_400000_NS6detail17trampoline_kernelINS0_14default_configENS1_29reduce_by_key_config_selectorIjsN6thrust23THRUST_200600_302600_NS4plusIsEEEEZZNS1_33reduce_by_key_impl_wrapped_configILNS1_25lookback_scan_determinismE0ES3_S9_NS6_6detail15normal_iteratorINS6_10device_ptrIjEEEENSD_INSE_IsEEEENS6_16discard_iteratorINS6_11use_defaultEEESI_PmS8_NS6_8equal_toIjEEEE10hipError_tPvRmT2_T3_mT4_T5_T6_T7_T8_P12ihipStream_tbENKUlT_T0_E_clISt17integral_constantIbLb0EES15_IbLb1EEEEDaS11_S12_EUlS11_E_NS1_11comp_targetILNS1_3genE8ELNS1_11target_archE1030ELNS1_3gpuE2ELNS1_3repE0EEENS1_30default_config_static_selectorELNS0_4arch9wavefront6targetE1EEEvT1_,@function
_ZN7rocprim17ROCPRIM_400000_NS6detail17trampoline_kernelINS0_14default_configENS1_29reduce_by_key_config_selectorIjsN6thrust23THRUST_200600_302600_NS4plusIsEEEEZZNS1_33reduce_by_key_impl_wrapped_configILNS1_25lookback_scan_determinismE0ES3_S9_NS6_6detail15normal_iteratorINS6_10device_ptrIjEEEENSD_INSE_IsEEEENS6_16discard_iteratorINS6_11use_defaultEEESI_PmS8_NS6_8equal_toIjEEEE10hipError_tPvRmT2_T3_mT4_T5_T6_T7_T8_P12ihipStream_tbENKUlT_T0_E_clISt17integral_constantIbLb0EES15_IbLb1EEEEDaS11_S12_EUlS11_E_NS1_11comp_targetILNS1_3genE8ELNS1_11target_archE1030ELNS1_3gpuE2ELNS1_3repE0EEENS1_30default_config_static_selectorELNS0_4arch9wavefront6targetE1EEEvT1_: ; @_ZN7rocprim17ROCPRIM_400000_NS6detail17trampoline_kernelINS0_14default_configENS1_29reduce_by_key_config_selectorIjsN6thrust23THRUST_200600_302600_NS4plusIsEEEEZZNS1_33reduce_by_key_impl_wrapped_configILNS1_25lookback_scan_determinismE0ES3_S9_NS6_6detail15normal_iteratorINS6_10device_ptrIjEEEENSD_INSE_IsEEEENS6_16discard_iteratorINS6_11use_defaultEEESI_PmS8_NS6_8equal_toIjEEEE10hipError_tPvRmT2_T3_mT4_T5_T6_T7_T8_P12ihipStream_tbENKUlT_T0_E_clISt17integral_constantIbLb0EES15_IbLb1EEEEDaS11_S12_EUlS11_E_NS1_11comp_targetILNS1_3genE8ELNS1_11target_archE1030ELNS1_3gpuE2ELNS1_3repE0EEENS1_30default_config_static_selectorELNS0_4arch9wavefront6targetE1EEEvT1_
; %bb.0:
	.section	.rodata,"a",@progbits
	.p2align	6, 0x0
	.amdhsa_kernel _ZN7rocprim17ROCPRIM_400000_NS6detail17trampoline_kernelINS0_14default_configENS1_29reduce_by_key_config_selectorIjsN6thrust23THRUST_200600_302600_NS4plusIsEEEEZZNS1_33reduce_by_key_impl_wrapped_configILNS1_25lookback_scan_determinismE0ES3_S9_NS6_6detail15normal_iteratorINS6_10device_ptrIjEEEENSD_INSE_IsEEEENS6_16discard_iteratorINS6_11use_defaultEEESI_PmS8_NS6_8equal_toIjEEEE10hipError_tPvRmT2_T3_mT4_T5_T6_T7_T8_P12ihipStream_tbENKUlT_T0_E_clISt17integral_constantIbLb0EES15_IbLb1EEEEDaS11_S12_EUlS11_E_NS1_11comp_targetILNS1_3genE8ELNS1_11target_archE1030ELNS1_3gpuE2ELNS1_3repE0EEENS1_30default_config_static_selectorELNS0_4arch9wavefront6targetE1EEEvT1_
		.amdhsa_group_segment_fixed_size 0
		.amdhsa_private_segment_fixed_size 0
		.amdhsa_kernarg_size 128
		.amdhsa_user_sgpr_count 6
		.amdhsa_user_sgpr_private_segment_buffer 1
		.amdhsa_user_sgpr_dispatch_ptr 0
		.amdhsa_user_sgpr_queue_ptr 0
		.amdhsa_user_sgpr_kernarg_segment_ptr 1
		.amdhsa_user_sgpr_dispatch_id 0
		.amdhsa_user_sgpr_flat_scratch_init 0
		.amdhsa_user_sgpr_kernarg_preload_length 0
		.amdhsa_user_sgpr_kernarg_preload_offset 0
		.amdhsa_user_sgpr_private_segment_size 0
		.amdhsa_uses_dynamic_stack 0
		.amdhsa_system_sgpr_private_segment_wavefront_offset 0
		.amdhsa_system_sgpr_workgroup_id_x 1
		.amdhsa_system_sgpr_workgroup_id_y 0
		.amdhsa_system_sgpr_workgroup_id_z 0
		.amdhsa_system_sgpr_workgroup_info 0
		.amdhsa_system_vgpr_workitem_id 0
		.amdhsa_next_free_vgpr 1
		.amdhsa_next_free_sgpr 0
		.amdhsa_accum_offset 4
		.amdhsa_reserve_vcc 0
		.amdhsa_reserve_flat_scratch 0
		.amdhsa_float_round_mode_32 0
		.amdhsa_float_round_mode_16_64 0
		.amdhsa_float_denorm_mode_32 3
		.amdhsa_float_denorm_mode_16_64 3
		.amdhsa_dx10_clamp 1
		.amdhsa_ieee_mode 1
		.amdhsa_fp16_overflow 0
		.amdhsa_tg_split 0
		.amdhsa_exception_fp_ieee_invalid_op 0
		.amdhsa_exception_fp_denorm_src 0
		.amdhsa_exception_fp_ieee_div_zero 0
		.amdhsa_exception_fp_ieee_overflow 0
		.amdhsa_exception_fp_ieee_underflow 0
		.amdhsa_exception_fp_ieee_inexact 0
		.amdhsa_exception_int_div_zero 0
	.end_amdhsa_kernel
	.section	.text._ZN7rocprim17ROCPRIM_400000_NS6detail17trampoline_kernelINS0_14default_configENS1_29reduce_by_key_config_selectorIjsN6thrust23THRUST_200600_302600_NS4plusIsEEEEZZNS1_33reduce_by_key_impl_wrapped_configILNS1_25lookback_scan_determinismE0ES3_S9_NS6_6detail15normal_iteratorINS6_10device_ptrIjEEEENSD_INSE_IsEEEENS6_16discard_iteratorINS6_11use_defaultEEESI_PmS8_NS6_8equal_toIjEEEE10hipError_tPvRmT2_T3_mT4_T5_T6_T7_T8_P12ihipStream_tbENKUlT_T0_E_clISt17integral_constantIbLb0EES15_IbLb1EEEEDaS11_S12_EUlS11_E_NS1_11comp_targetILNS1_3genE8ELNS1_11target_archE1030ELNS1_3gpuE2ELNS1_3repE0EEENS1_30default_config_static_selectorELNS0_4arch9wavefront6targetE1EEEvT1_,"axG",@progbits,_ZN7rocprim17ROCPRIM_400000_NS6detail17trampoline_kernelINS0_14default_configENS1_29reduce_by_key_config_selectorIjsN6thrust23THRUST_200600_302600_NS4plusIsEEEEZZNS1_33reduce_by_key_impl_wrapped_configILNS1_25lookback_scan_determinismE0ES3_S9_NS6_6detail15normal_iteratorINS6_10device_ptrIjEEEENSD_INSE_IsEEEENS6_16discard_iteratorINS6_11use_defaultEEESI_PmS8_NS6_8equal_toIjEEEE10hipError_tPvRmT2_T3_mT4_T5_T6_T7_T8_P12ihipStream_tbENKUlT_T0_E_clISt17integral_constantIbLb0EES15_IbLb1EEEEDaS11_S12_EUlS11_E_NS1_11comp_targetILNS1_3genE8ELNS1_11target_archE1030ELNS1_3gpuE2ELNS1_3repE0EEENS1_30default_config_static_selectorELNS0_4arch9wavefront6targetE1EEEvT1_,comdat
.Lfunc_end1092:
	.size	_ZN7rocprim17ROCPRIM_400000_NS6detail17trampoline_kernelINS0_14default_configENS1_29reduce_by_key_config_selectorIjsN6thrust23THRUST_200600_302600_NS4plusIsEEEEZZNS1_33reduce_by_key_impl_wrapped_configILNS1_25lookback_scan_determinismE0ES3_S9_NS6_6detail15normal_iteratorINS6_10device_ptrIjEEEENSD_INSE_IsEEEENS6_16discard_iteratorINS6_11use_defaultEEESI_PmS8_NS6_8equal_toIjEEEE10hipError_tPvRmT2_T3_mT4_T5_T6_T7_T8_P12ihipStream_tbENKUlT_T0_E_clISt17integral_constantIbLb0EES15_IbLb1EEEEDaS11_S12_EUlS11_E_NS1_11comp_targetILNS1_3genE8ELNS1_11target_archE1030ELNS1_3gpuE2ELNS1_3repE0EEENS1_30default_config_static_selectorELNS0_4arch9wavefront6targetE1EEEvT1_, .Lfunc_end1092-_ZN7rocprim17ROCPRIM_400000_NS6detail17trampoline_kernelINS0_14default_configENS1_29reduce_by_key_config_selectorIjsN6thrust23THRUST_200600_302600_NS4plusIsEEEEZZNS1_33reduce_by_key_impl_wrapped_configILNS1_25lookback_scan_determinismE0ES3_S9_NS6_6detail15normal_iteratorINS6_10device_ptrIjEEEENSD_INSE_IsEEEENS6_16discard_iteratorINS6_11use_defaultEEESI_PmS8_NS6_8equal_toIjEEEE10hipError_tPvRmT2_T3_mT4_T5_T6_T7_T8_P12ihipStream_tbENKUlT_T0_E_clISt17integral_constantIbLb0EES15_IbLb1EEEEDaS11_S12_EUlS11_E_NS1_11comp_targetILNS1_3genE8ELNS1_11target_archE1030ELNS1_3gpuE2ELNS1_3repE0EEENS1_30default_config_static_selectorELNS0_4arch9wavefront6targetE1EEEvT1_
                                        ; -- End function
	.section	.AMDGPU.csdata,"",@progbits
; Kernel info:
; codeLenInByte = 0
; NumSgprs: 4
; NumVgprs: 0
; NumAgprs: 0
; TotalNumVgprs: 0
; ScratchSize: 0
; MemoryBound: 0
; FloatMode: 240
; IeeeMode: 1
; LDSByteSize: 0 bytes/workgroup (compile time only)
; SGPRBlocks: 0
; VGPRBlocks: 0
; NumSGPRsForWavesPerEU: 4
; NumVGPRsForWavesPerEU: 1
; AccumOffset: 4
; Occupancy: 8
; WaveLimiterHint : 0
; COMPUTE_PGM_RSRC2:SCRATCH_EN: 0
; COMPUTE_PGM_RSRC2:USER_SGPR: 6
; COMPUTE_PGM_RSRC2:TRAP_HANDLER: 0
; COMPUTE_PGM_RSRC2:TGID_X_EN: 1
; COMPUTE_PGM_RSRC2:TGID_Y_EN: 0
; COMPUTE_PGM_RSRC2:TGID_Z_EN: 0
; COMPUTE_PGM_RSRC2:TIDIG_COMP_CNT: 0
; COMPUTE_PGM_RSRC3_GFX90A:ACCUM_OFFSET: 0
; COMPUTE_PGM_RSRC3_GFX90A:TG_SPLIT: 0
	.section	.text._ZN6thrust23THRUST_200600_302600_NS11hip_rocprim14__parallel_for6kernelILj256ENS1_20__uninitialized_fill7functorINS0_10device_ptrIiEEiEEmLj1EEEvT0_T1_SA_,"axG",@progbits,_ZN6thrust23THRUST_200600_302600_NS11hip_rocprim14__parallel_for6kernelILj256ENS1_20__uninitialized_fill7functorINS0_10device_ptrIiEEiEEmLj1EEEvT0_T1_SA_,comdat
	.protected	_ZN6thrust23THRUST_200600_302600_NS11hip_rocprim14__parallel_for6kernelILj256ENS1_20__uninitialized_fill7functorINS0_10device_ptrIiEEiEEmLj1EEEvT0_T1_SA_ ; -- Begin function _ZN6thrust23THRUST_200600_302600_NS11hip_rocprim14__parallel_for6kernelILj256ENS1_20__uninitialized_fill7functorINS0_10device_ptrIiEEiEEmLj1EEEvT0_T1_SA_
	.globl	_ZN6thrust23THRUST_200600_302600_NS11hip_rocprim14__parallel_for6kernelILj256ENS1_20__uninitialized_fill7functorINS0_10device_ptrIiEEiEEmLj1EEEvT0_T1_SA_
	.p2align	8
	.type	_ZN6thrust23THRUST_200600_302600_NS11hip_rocprim14__parallel_for6kernelILj256ENS1_20__uninitialized_fill7functorINS0_10device_ptrIiEEiEEmLj1EEEvT0_T1_SA_,@function
_ZN6thrust23THRUST_200600_302600_NS11hip_rocprim14__parallel_for6kernelILj256ENS1_20__uninitialized_fill7functorINS0_10device_ptrIiEEiEEmLj1EEEvT0_T1_SA_: ; @_ZN6thrust23THRUST_200600_302600_NS11hip_rocprim14__parallel_for6kernelILj256ENS1_20__uninitialized_fill7functorINS0_10device_ptrIiEEiEEmLj1EEEvT0_T1_SA_
; %bb.0:
	s_load_dwordx4 s[8:11], s[4:5], 0x10
	s_lshl_b32 s0, s6, 8
	v_mov_b32_e32 v2, 0x100
	v_mov_b32_e32 v3, 0
	s_waitcnt lgkmcnt(0)
	s_add_u32 s0, s0, s10
	s_addc_u32 s1, 0, s11
	s_sub_u32 s2, s8, s0
	s_subb_u32 s3, s9, s1
	v_cmp_lt_u64_e32 vcc, s[2:3], v[2:3]
	s_cbranch_vccz .LBB1093_2
; %bb.1:
	v_cmp_gt_u32_e32 vcc, s2, v0
	s_and_b64 s[2:3], vcc, exec
	s_cbranch_execz .LBB1093_3
	s_branch .LBB1093_4
.LBB1093_2:
	s_mov_b64 s[2:3], 0
.LBB1093_3:
	s_or_b64 s[2:3], s[2:3], exec
.LBB1093_4:
	s_and_saveexec_b64 s[6:7], s[2:3]
	s_cbranch_execnz .LBB1093_6
; %bb.5:
	s_endpgm
.LBB1093_6:
	s_load_dwordx2 s[2:3], s[4:5], 0x0
	s_load_dword s6, s[4:5], 0x8
	s_lshl_b64 s[0:1], s[0:1], 2
	v_mov_b32_e32 v1, 0
	v_lshlrev_b64 v[0:1], 2, v[0:1]
	s_waitcnt lgkmcnt(0)
	s_add_u32 s0, s2, s0
	s_addc_u32 s1, s3, s1
	v_mov_b32_e32 v2, s1
	v_add_co_u32_e32 v0, vcc, s0, v0
	v_addc_co_u32_e32 v1, vcc, v2, v1, vcc
	v_mov_b32_e32 v2, s6
	flat_store_dword v[0:1], v2
	s_endpgm
	.section	.rodata,"a",@progbits
	.p2align	6, 0x0
	.amdhsa_kernel _ZN6thrust23THRUST_200600_302600_NS11hip_rocprim14__parallel_for6kernelILj256ENS1_20__uninitialized_fill7functorINS0_10device_ptrIiEEiEEmLj1EEEvT0_T1_SA_
		.amdhsa_group_segment_fixed_size 0
		.amdhsa_private_segment_fixed_size 0
		.amdhsa_kernarg_size 32
		.amdhsa_user_sgpr_count 6
		.amdhsa_user_sgpr_private_segment_buffer 1
		.amdhsa_user_sgpr_dispatch_ptr 0
		.amdhsa_user_sgpr_queue_ptr 0
		.amdhsa_user_sgpr_kernarg_segment_ptr 1
		.amdhsa_user_sgpr_dispatch_id 0
		.amdhsa_user_sgpr_flat_scratch_init 0
		.amdhsa_user_sgpr_kernarg_preload_length 0
		.amdhsa_user_sgpr_kernarg_preload_offset 0
		.amdhsa_user_sgpr_private_segment_size 0
		.amdhsa_uses_dynamic_stack 0
		.amdhsa_system_sgpr_private_segment_wavefront_offset 0
		.amdhsa_system_sgpr_workgroup_id_x 1
		.amdhsa_system_sgpr_workgroup_id_y 0
		.amdhsa_system_sgpr_workgroup_id_z 0
		.amdhsa_system_sgpr_workgroup_info 0
		.amdhsa_system_vgpr_workitem_id 0
		.amdhsa_next_free_vgpr 4
		.amdhsa_next_free_sgpr 12
		.amdhsa_accum_offset 4
		.amdhsa_reserve_vcc 1
		.amdhsa_reserve_flat_scratch 0
		.amdhsa_float_round_mode_32 0
		.amdhsa_float_round_mode_16_64 0
		.amdhsa_float_denorm_mode_32 3
		.amdhsa_float_denorm_mode_16_64 3
		.amdhsa_dx10_clamp 1
		.amdhsa_ieee_mode 1
		.amdhsa_fp16_overflow 0
		.amdhsa_tg_split 0
		.amdhsa_exception_fp_ieee_invalid_op 0
		.amdhsa_exception_fp_denorm_src 0
		.amdhsa_exception_fp_ieee_div_zero 0
		.amdhsa_exception_fp_ieee_overflow 0
		.amdhsa_exception_fp_ieee_underflow 0
		.amdhsa_exception_fp_ieee_inexact 0
		.amdhsa_exception_int_div_zero 0
	.end_amdhsa_kernel
	.section	.text._ZN6thrust23THRUST_200600_302600_NS11hip_rocprim14__parallel_for6kernelILj256ENS1_20__uninitialized_fill7functorINS0_10device_ptrIiEEiEEmLj1EEEvT0_T1_SA_,"axG",@progbits,_ZN6thrust23THRUST_200600_302600_NS11hip_rocprim14__parallel_for6kernelILj256ENS1_20__uninitialized_fill7functorINS0_10device_ptrIiEEiEEmLj1EEEvT0_T1_SA_,comdat
.Lfunc_end1093:
	.size	_ZN6thrust23THRUST_200600_302600_NS11hip_rocprim14__parallel_for6kernelILj256ENS1_20__uninitialized_fill7functorINS0_10device_ptrIiEEiEEmLj1EEEvT0_T1_SA_, .Lfunc_end1093-_ZN6thrust23THRUST_200600_302600_NS11hip_rocprim14__parallel_for6kernelILj256ENS1_20__uninitialized_fill7functorINS0_10device_ptrIiEEiEEmLj1EEEvT0_T1_SA_
                                        ; -- End function
	.section	.AMDGPU.csdata,"",@progbits
; Kernel info:
; codeLenInByte = 160
; NumSgprs: 16
; NumVgprs: 4
; NumAgprs: 0
; TotalNumVgprs: 4
; ScratchSize: 0
; MemoryBound: 0
; FloatMode: 240
; IeeeMode: 1
; LDSByteSize: 0 bytes/workgroup (compile time only)
; SGPRBlocks: 1
; VGPRBlocks: 0
; NumSGPRsForWavesPerEU: 16
; NumVGPRsForWavesPerEU: 4
; AccumOffset: 4
; Occupancy: 8
; WaveLimiterHint : 0
; COMPUTE_PGM_RSRC2:SCRATCH_EN: 0
; COMPUTE_PGM_RSRC2:USER_SGPR: 6
; COMPUTE_PGM_RSRC2:TRAP_HANDLER: 0
; COMPUTE_PGM_RSRC2:TGID_X_EN: 1
; COMPUTE_PGM_RSRC2:TGID_Y_EN: 0
; COMPUTE_PGM_RSRC2:TGID_Z_EN: 0
; COMPUTE_PGM_RSRC2:TIDIG_COMP_CNT: 0
; COMPUTE_PGM_RSRC3_GFX90A:ACCUM_OFFSET: 0
; COMPUTE_PGM_RSRC3_GFX90A:TG_SPLIT: 0
	.section	.text._ZN7rocprim17ROCPRIM_400000_NS6detail17trampoline_kernelINS0_14default_configENS1_29reduce_by_key_config_selectorIiiN6thrust23THRUST_200600_302600_NS4plusIiEEEEZZNS1_33reduce_by_key_impl_wrapped_configILNS1_25lookback_scan_determinismE0ES3_S9_NS6_10device_ptrIiEESD_SD_SD_PmS8_NS6_8equal_toIiEEEE10hipError_tPvRmT2_T3_mT4_T5_T6_T7_T8_P12ihipStream_tbENKUlT_T0_E_clISt17integral_constantIbLb0EESY_EEDaST_SU_EUlST_E_NS1_11comp_targetILNS1_3genE0ELNS1_11target_archE4294967295ELNS1_3gpuE0ELNS1_3repE0EEENS1_30default_config_static_selectorELNS0_4arch9wavefront6targetE1EEEvT1_,"axG",@progbits,_ZN7rocprim17ROCPRIM_400000_NS6detail17trampoline_kernelINS0_14default_configENS1_29reduce_by_key_config_selectorIiiN6thrust23THRUST_200600_302600_NS4plusIiEEEEZZNS1_33reduce_by_key_impl_wrapped_configILNS1_25lookback_scan_determinismE0ES3_S9_NS6_10device_ptrIiEESD_SD_SD_PmS8_NS6_8equal_toIiEEEE10hipError_tPvRmT2_T3_mT4_T5_T6_T7_T8_P12ihipStream_tbENKUlT_T0_E_clISt17integral_constantIbLb0EESY_EEDaST_SU_EUlST_E_NS1_11comp_targetILNS1_3genE0ELNS1_11target_archE4294967295ELNS1_3gpuE0ELNS1_3repE0EEENS1_30default_config_static_selectorELNS0_4arch9wavefront6targetE1EEEvT1_,comdat
	.protected	_ZN7rocprim17ROCPRIM_400000_NS6detail17trampoline_kernelINS0_14default_configENS1_29reduce_by_key_config_selectorIiiN6thrust23THRUST_200600_302600_NS4plusIiEEEEZZNS1_33reduce_by_key_impl_wrapped_configILNS1_25lookback_scan_determinismE0ES3_S9_NS6_10device_ptrIiEESD_SD_SD_PmS8_NS6_8equal_toIiEEEE10hipError_tPvRmT2_T3_mT4_T5_T6_T7_T8_P12ihipStream_tbENKUlT_T0_E_clISt17integral_constantIbLb0EESY_EEDaST_SU_EUlST_E_NS1_11comp_targetILNS1_3genE0ELNS1_11target_archE4294967295ELNS1_3gpuE0ELNS1_3repE0EEENS1_30default_config_static_selectorELNS0_4arch9wavefront6targetE1EEEvT1_ ; -- Begin function _ZN7rocprim17ROCPRIM_400000_NS6detail17trampoline_kernelINS0_14default_configENS1_29reduce_by_key_config_selectorIiiN6thrust23THRUST_200600_302600_NS4plusIiEEEEZZNS1_33reduce_by_key_impl_wrapped_configILNS1_25lookback_scan_determinismE0ES3_S9_NS6_10device_ptrIiEESD_SD_SD_PmS8_NS6_8equal_toIiEEEE10hipError_tPvRmT2_T3_mT4_T5_T6_T7_T8_P12ihipStream_tbENKUlT_T0_E_clISt17integral_constantIbLb0EESY_EEDaST_SU_EUlST_E_NS1_11comp_targetILNS1_3genE0ELNS1_11target_archE4294967295ELNS1_3gpuE0ELNS1_3repE0EEENS1_30default_config_static_selectorELNS0_4arch9wavefront6targetE1EEEvT1_
	.globl	_ZN7rocprim17ROCPRIM_400000_NS6detail17trampoline_kernelINS0_14default_configENS1_29reduce_by_key_config_selectorIiiN6thrust23THRUST_200600_302600_NS4plusIiEEEEZZNS1_33reduce_by_key_impl_wrapped_configILNS1_25lookback_scan_determinismE0ES3_S9_NS6_10device_ptrIiEESD_SD_SD_PmS8_NS6_8equal_toIiEEEE10hipError_tPvRmT2_T3_mT4_T5_T6_T7_T8_P12ihipStream_tbENKUlT_T0_E_clISt17integral_constantIbLb0EESY_EEDaST_SU_EUlST_E_NS1_11comp_targetILNS1_3genE0ELNS1_11target_archE4294967295ELNS1_3gpuE0ELNS1_3repE0EEENS1_30default_config_static_selectorELNS0_4arch9wavefront6targetE1EEEvT1_
	.p2align	8
	.type	_ZN7rocprim17ROCPRIM_400000_NS6detail17trampoline_kernelINS0_14default_configENS1_29reduce_by_key_config_selectorIiiN6thrust23THRUST_200600_302600_NS4plusIiEEEEZZNS1_33reduce_by_key_impl_wrapped_configILNS1_25lookback_scan_determinismE0ES3_S9_NS6_10device_ptrIiEESD_SD_SD_PmS8_NS6_8equal_toIiEEEE10hipError_tPvRmT2_T3_mT4_T5_T6_T7_T8_P12ihipStream_tbENKUlT_T0_E_clISt17integral_constantIbLb0EESY_EEDaST_SU_EUlST_E_NS1_11comp_targetILNS1_3genE0ELNS1_11target_archE4294967295ELNS1_3gpuE0ELNS1_3repE0EEENS1_30default_config_static_selectorELNS0_4arch9wavefront6targetE1EEEvT1_,@function
_ZN7rocprim17ROCPRIM_400000_NS6detail17trampoline_kernelINS0_14default_configENS1_29reduce_by_key_config_selectorIiiN6thrust23THRUST_200600_302600_NS4plusIiEEEEZZNS1_33reduce_by_key_impl_wrapped_configILNS1_25lookback_scan_determinismE0ES3_S9_NS6_10device_ptrIiEESD_SD_SD_PmS8_NS6_8equal_toIiEEEE10hipError_tPvRmT2_T3_mT4_T5_T6_T7_T8_P12ihipStream_tbENKUlT_T0_E_clISt17integral_constantIbLb0EESY_EEDaST_SU_EUlST_E_NS1_11comp_targetILNS1_3genE0ELNS1_11target_archE4294967295ELNS1_3gpuE0ELNS1_3repE0EEENS1_30default_config_static_selectorELNS0_4arch9wavefront6targetE1EEEvT1_: ; @_ZN7rocprim17ROCPRIM_400000_NS6detail17trampoline_kernelINS0_14default_configENS1_29reduce_by_key_config_selectorIiiN6thrust23THRUST_200600_302600_NS4plusIiEEEEZZNS1_33reduce_by_key_impl_wrapped_configILNS1_25lookback_scan_determinismE0ES3_S9_NS6_10device_ptrIiEESD_SD_SD_PmS8_NS6_8equal_toIiEEEE10hipError_tPvRmT2_T3_mT4_T5_T6_T7_T8_P12ihipStream_tbENKUlT_T0_E_clISt17integral_constantIbLb0EESY_EEDaST_SU_EUlST_E_NS1_11comp_targetILNS1_3genE0ELNS1_11target_archE4294967295ELNS1_3gpuE0ELNS1_3repE0EEENS1_30default_config_static_selectorELNS0_4arch9wavefront6targetE1EEEvT1_
; %bb.0:
	.section	.rodata,"a",@progbits
	.p2align	6, 0x0
	.amdhsa_kernel _ZN7rocprim17ROCPRIM_400000_NS6detail17trampoline_kernelINS0_14default_configENS1_29reduce_by_key_config_selectorIiiN6thrust23THRUST_200600_302600_NS4plusIiEEEEZZNS1_33reduce_by_key_impl_wrapped_configILNS1_25lookback_scan_determinismE0ES3_S9_NS6_10device_ptrIiEESD_SD_SD_PmS8_NS6_8equal_toIiEEEE10hipError_tPvRmT2_T3_mT4_T5_T6_T7_T8_P12ihipStream_tbENKUlT_T0_E_clISt17integral_constantIbLb0EESY_EEDaST_SU_EUlST_E_NS1_11comp_targetILNS1_3genE0ELNS1_11target_archE4294967295ELNS1_3gpuE0ELNS1_3repE0EEENS1_30default_config_static_selectorELNS0_4arch9wavefront6targetE1EEEvT1_
		.amdhsa_group_segment_fixed_size 0
		.amdhsa_private_segment_fixed_size 0
		.amdhsa_kernarg_size 120
		.amdhsa_user_sgpr_count 6
		.amdhsa_user_sgpr_private_segment_buffer 1
		.amdhsa_user_sgpr_dispatch_ptr 0
		.amdhsa_user_sgpr_queue_ptr 0
		.amdhsa_user_sgpr_kernarg_segment_ptr 1
		.amdhsa_user_sgpr_dispatch_id 0
		.amdhsa_user_sgpr_flat_scratch_init 0
		.amdhsa_user_sgpr_kernarg_preload_length 0
		.amdhsa_user_sgpr_kernarg_preload_offset 0
		.amdhsa_user_sgpr_private_segment_size 0
		.amdhsa_uses_dynamic_stack 0
		.amdhsa_system_sgpr_private_segment_wavefront_offset 0
		.amdhsa_system_sgpr_workgroup_id_x 1
		.amdhsa_system_sgpr_workgroup_id_y 0
		.amdhsa_system_sgpr_workgroup_id_z 0
		.amdhsa_system_sgpr_workgroup_info 0
		.amdhsa_system_vgpr_workitem_id 0
		.amdhsa_next_free_vgpr 1
		.amdhsa_next_free_sgpr 0
		.amdhsa_accum_offset 4
		.amdhsa_reserve_vcc 0
		.amdhsa_reserve_flat_scratch 0
		.amdhsa_float_round_mode_32 0
		.amdhsa_float_round_mode_16_64 0
		.amdhsa_float_denorm_mode_32 3
		.amdhsa_float_denorm_mode_16_64 3
		.amdhsa_dx10_clamp 1
		.amdhsa_ieee_mode 1
		.amdhsa_fp16_overflow 0
		.amdhsa_tg_split 0
		.amdhsa_exception_fp_ieee_invalid_op 0
		.amdhsa_exception_fp_denorm_src 0
		.amdhsa_exception_fp_ieee_div_zero 0
		.amdhsa_exception_fp_ieee_overflow 0
		.amdhsa_exception_fp_ieee_underflow 0
		.amdhsa_exception_fp_ieee_inexact 0
		.amdhsa_exception_int_div_zero 0
	.end_amdhsa_kernel
	.section	.text._ZN7rocprim17ROCPRIM_400000_NS6detail17trampoline_kernelINS0_14default_configENS1_29reduce_by_key_config_selectorIiiN6thrust23THRUST_200600_302600_NS4plusIiEEEEZZNS1_33reduce_by_key_impl_wrapped_configILNS1_25lookback_scan_determinismE0ES3_S9_NS6_10device_ptrIiEESD_SD_SD_PmS8_NS6_8equal_toIiEEEE10hipError_tPvRmT2_T3_mT4_T5_T6_T7_T8_P12ihipStream_tbENKUlT_T0_E_clISt17integral_constantIbLb0EESY_EEDaST_SU_EUlST_E_NS1_11comp_targetILNS1_3genE0ELNS1_11target_archE4294967295ELNS1_3gpuE0ELNS1_3repE0EEENS1_30default_config_static_selectorELNS0_4arch9wavefront6targetE1EEEvT1_,"axG",@progbits,_ZN7rocprim17ROCPRIM_400000_NS6detail17trampoline_kernelINS0_14default_configENS1_29reduce_by_key_config_selectorIiiN6thrust23THRUST_200600_302600_NS4plusIiEEEEZZNS1_33reduce_by_key_impl_wrapped_configILNS1_25lookback_scan_determinismE0ES3_S9_NS6_10device_ptrIiEESD_SD_SD_PmS8_NS6_8equal_toIiEEEE10hipError_tPvRmT2_T3_mT4_T5_T6_T7_T8_P12ihipStream_tbENKUlT_T0_E_clISt17integral_constantIbLb0EESY_EEDaST_SU_EUlST_E_NS1_11comp_targetILNS1_3genE0ELNS1_11target_archE4294967295ELNS1_3gpuE0ELNS1_3repE0EEENS1_30default_config_static_selectorELNS0_4arch9wavefront6targetE1EEEvT1_,comdat
.Lfunc_end1094:
	.size	_ZN7rocprim17ROCPRIM_400000_NS6detail17trampoline_kernelINS0_14default_configENS1_29reduce_by_key_config_selectorIiiN6thrust23THRUST_200600_302600_NS4plusIiEEEEZZNS1_33reduce_by_key_impl_wrapped_configILNS1_25lookback_scan_determinismE0ES3_S9_NS6_10device_ptrIiEESD_SD_SD_PmS8_NS6_8equal_toIiEEEE10hipError_tPvRmT2_T3_mT4_T5_T6_T7_T8_P12ihipStream_tbENKUlT_T0_E_clISt17integral_constantIbLb0EESY_EEDaST_SU_EUlST_E_NS1_11comp_targetILNS1_3genE0ELNS1_11target_archE4294967295ELNS1_3gpuE0ELNS1_3repE0EEENS1_30default_config_static_selectorELNS0_4arch9wavefront6targetE1EEEvT1_, .Lfunc_end1094-_ZN7rocprim17ROCPRIM_400000_NS6detail17trampoline_kernelINS0_14default_configENS1_29reduce_by_key_config_selectorIiiN6thrust23THRUST_200600_302600_NS4plusIiEEEEZZNS1_33reduce_by_key_impl_wrapped_configILNS1_25lookback_scan_determinismE0ES3_S9_NS6_10device_ptrIiEESD_SD_SD_PmS8_NS6_8equal_toIiEEEE10hipError_tPvRmT2_T3_mT4_T5_T6_T7_T8_P12ihipStream_tbENKUlT_T0_E_clISt17integral_constantIbLb0EESY_EEDaST_SU_EUlST_E_NS1_11comp_targetILNS1_3genE0ELNS1_11target_archE4294967295ELNS1_3gpuE0ELNS1_3repE0EEENS1_30default_config_static_selectorELNS0_4arch9wavefront6targetE1EEEvT1_
                                        ; -- End function
	.section	.AMDGPU.csdata,"",@progbits
; Kernel info:
; codeLenInByte = 0
; NumSgprs: 4
; NumVgprs: 0
; NumAgprs: 0
; TotalNumVgprs: 0
; ScratchSize: 0
; MemoryBound: 0
; FloatMode: 240
; IeeeMode: 1
; LDSByteSize: 0 bytes/workgroup (compile time only)
; SGPRBlocks: 0
; VGPRBlocks: 0
; NumSGPRsForWavesPerEU: 4
; NumVGPRsForWavesPerEU: 1
; AccumOffset: 4
; Occupancy: 8
; WaveLimiterHint : 0
; COMPUTE_PGM_RSRC2:SCRATCH_EN: 0
; COMPUTE_PGM_RSRC2:USER_SGPR: 6
; COMPUTE_PGM_RSRC2:TRAP_HANDLER: 0
; COMPUTE_PGM_RSRC2:TGID_X_EN: 1
; COMPUTE_PGM_RSRC2:TGID_Y_EN: 0
; COMPUTE_PGM_RSRC2:TGID_Z_EN: 0
; COMPUTE_PGM_RSRC2:TIDIG_COMP_CNT: 0
; COMPUTE_PGM_RSRC3_GFX90A:ACCUM_OFFSET: 0
; COMPUTE_PGM_RSRC3_GFX90A:TG_SPLIT: 0
	.section	.text._ZN7rocprim17ROCPRIM_400000_NS6detail17trampoline_kernelINS0_14default_configENS1_29reduce_by_key_config_selectorIiiN6thrust23THRUST_200600_302600_NS4plusIiEEEEZZNS1_33reduce_by_key_impl_wrapped_configILNS1_25lookback_scan_determinismE0ES3_S9_NS6_10device_ptrIiEESD_SD_SD_PmS8_NS6_8equal_toIiEEEE10hipError_tPvRmT2_T3_mT4_T5_T6_T7_T8_P12ihipStream_tbENKUlT_T0_E_clISt17integral_constantIbLb0EESY_EEDaST_SU_EUlST_E_NS1_11comp_targetILNS1_3genE5ELNS1_11target_archE942ELNS1_3gpuE9ELNS1_3repE0EEENS1_30default_config_static_selectorELNS0_4arch9wavefront6targetE1EEEvT1_,"axG",@progbits,_ZN7rocprim17ROCPRIM_400000_NS6detail17trampoline_kernelINS0_14default_configENS1_29reduce_by_key_config_selectorIiiN6thrust23THRUST_200600_302600_NS4plusIiEEEEZZNS1_33reduce_by_key_impl_wrapped_configILNS1_25lookback_scan_determinismE0ES3_S9_NS6_10device_ptrIiEESD_SD_SD_PmS8_NS6_8equal_toIiEEEE10hipError_tPvRmT2_T3_mT4_T5_T6_T7_T8_P12ihipStream_tbENKUlT_T0_E_clISt17integral_constantIbLb0EESY_EEDaST_SU_EUlST_E_NS1_11comp_targetILNS1_3genE5ELNS1_11target_archE942ELNS1_3gpuE9ELNS1_3repE0EEENS1_30default_config_static_selectorELNS0_4arch9wavefront6targetE1EEEvT1_,comdat
	.protected	_ZN7rocprim17ROCPRIM_400000_NS6detail17trampoline_kernelINS0_14default_configENS1_29reduce_by_key_config_selectorIiiN6thrust23THRUST_200600_302600_NS4plusIiEEEEZZNS1_33reduce_by_key_impl_wrapped_configILNS1_25lookback_scan_determinismE0ES3_S9_NS6_10device_ptrIiEESD_SD_SD_PmS8_NS6_8equal_toIiEEEE10hipError_tPvRmT2_T3_mT4_T5_T6_T7_T8_P12ihipStream_tbENKUlT_T0_E_clISt17integral_constantIbLb0EESY_EEDaST_SU_EUlST_E_NS1_11comp_targetILNS1_3genE5ELNS1_11target_archE942ELNS1_3gpuE9ELNS1_3repE0EEENS1_30default_config_static_selectorELNS0_4arch9wavefront6targetE1EEEvT1_ ; -- Begin function _ZN7rocprim17ROCPRIM_400000_NS6detail17trampoline_kernelINS0_14default_configENS1_29reduce_by_key_config_selectorIiiN6thrust23THRUST_200600_302600_NS4plusIiEEEEZZNS1_33reduce_by_key_impl_wrapped_configILNS1_25lookback_scan_determinismE0ES3_S9_NS6_10device_ptrIiEESD_SD_SD_PmS8_NS6_8equal_toIiEEEE10hipError_tPvRmT2_T3_mT4_T5_T6_T7_T8_P12ihipStream_tbENKUlT_T0_E_clISt17integral_constantIbLb0EESY_EEDaST_SU_EUlST_E_NS1_11comp_targetILNS1_3genE5ELNS1_11target_archE942ELNS1_3gpuE9ELNS1_3repE0EEENS1_30default_config_static_selectorELNS0_4arch9wavefront6targetE1EEEvT1_
	.globl	_ZN7rocprim17ROCPRIM_400000_NS6detail17trampoline_kernelINS0_14default_configENS1_29reduce_by_key_config_selectorIiiN6thrust23THRUST_200600_302600_NS4plusIiEEEEZZNS1_33reduce_by_key_impl_wrapped_configILNS1_25lookback_scan_determinismE0ES3_S9_NS6_10device_ptrIiEESD_SD_SD_PmS8_NS6_8equal_toIiEEEE10hipError_tPvRmT2_T3_mT4_T5_T6_T7_T8_P12ihipStream_tbENKUlT_T0_E_clISt17integral_constantIbLb0EESY_EEDaST_SU_EUlST_E_NS1_11comp_targetILNS1_3genE5ELNS1_11target_archE942ELNS1_3gpuE9ELNS1_3repE0EEENS1_30default_config_static_selectorELNS0_4arch9wavefront6targetE1EEEvT1_
	.p2align	8
	.type	_ZN7rocprim17ROCPRIM_400000_NS6detail17trampoline_kernelINS0_14default_configENS1_29reduce_by_key_config_selectorIiiN6thrust23THRUST_200600_302600_NS4plusIiEEEEZZNS1_33reduce_by_key_impl_wrapped_configILNS1_25lookback_scan_determinismE0ES3_S9_NS6_10device_ptrIiEESD_SD_SD_PmS8_NS6_8equal_toIiEEEE10hipError_tPvRmT2_T3_mT4_T5_T6_T7_T8_P12ihipStream_tbENKUlT_T0_E_clISt17integral_constantIbLb0EESY_EEDaST_SU_EUlST_E_NS1_11comp_targetILNS1_3genE5ELNS1_11target_archE942ELNS1_3gpuE9ELNS1_3repE0EEENS1_30default_config_static_selectorELNS0_4arch9wavefront6targetE1EEEvT1_,@function
_ZN7rocprim17ROCPRIM_400000_NS6detail17trampoline_kernelINS0_14default_configENS1_29reduce_by_key_config_selectorIiiN6thrust23THRUST_200600_302600_NS4plusIiEEEEZZNS1_33reduce_by_key_impl_wrapped_configILNS1_25lookback_scan_determinismE0ES3_S9_NS6_10device_ptrIiEESD_SD_SD_PmS8_NS6_8equal_toIiEEEE10hipError_tPvRmT2_T3_mT4_T5_T6_T7_T8_P12ihipStream_tbENKUlT_T0_E_clISt17integral_constantIbLb0EESY_EEDaST_SU_EUlST_E_NS1_11comp_targetILNS1_3genE5ELNS1_11target_archE942ELNS1_3gpuE9ELNS1_3repE0EEENS1_30default_config_static_selectorELNS0_4arch9wavefront6targetE1EEEvT1_: ; @_ZN7rocprim17ROCPRIM_400000_NS6detail17trampoline_kernelINS0_14default_configENS1_29reduce_by_key_config_selectorIiiN6thrust23THRUST_200600_302600_NS4plusIiEEEEZZNS1_33reduce_by_key_impl_wrapped_configILNS1_25lookback_scan_determinismE0ES3_S9_NS6_10device_ptrIiEESD_SD_SD_PmS8_NS6_8equal_toIiEEEE10hipError_tPvRmT2_T3_mT4_T5_T6_T7_T8_P12ihipStream_tbENKUlT_T0_E_clISt17integral_constantIbLb0EESY_EEDaST_SU_EUlST_E_NS1_11comp_targetILNS1_3genE5ELNS1_11target_archE942ELNS1_3gpuE9ELNS1_3repE0EEENS1_30default_config_static_selectorELNS0_4arch9wavefront6targetE1EEEvT1_
; %bb.0:
	.section	.rodata,"a",@progbits
	.p2align	6, 0x0
	.amdhsa_kernel _ZN7rocprim17ROCPRIM_400000_NS6detail17trampoline_kernelINS0_14default_configENS1_29reduce_by_key_config_selectorIiiN6thrust23THRUST_200600_302600_NS4plusIiEEEEZZNS1_33reduce_by_key_impl_wrapped_configILNS1_25lookback_scan_determinismE0ES3_S9_NS6_10device_ptrIiEESD_SD_SD_PmS8_NS6_8equal_toIiEEEE10hipError_tPvRmT2_T3_mT4_T5_T6_T7_T8_P12ihipStream_tbENKUlT_T0_E_clISt17integral_constantIbLb0EESY_EEDaST_SU_EUlST_E_NS1_11comp_targetILNS1_3genE5ELNS1_11target_archE942ELNS1_3gpuE9ELNS1_3repE0EEENS1_30default_config_static_selectorELNS0_4arch9wavefront6targetE1EEEvT1_
		.amdhsa_group_segment_fixed_size 0
		.amdhsa_private_segment_fixed_size 0
		.amdhsa_kernarg_size 120
		.amdhsa_user_sgpr_count 6
		.amdhsa_user_sgpr_private_segment_buffer 1
		.amdhsa_user_sgpr_dispatch_ptr 0
		.amdhsa_user_sgpr_queue_ptr 0
		.amdhsa_user_sgpr_kernarg_segment_ptr 1
		.amdhsa_user_sgpr_dispatch_id 0
		.amdhsa_user_sgpr_flat_scratch_init 0
		.amdhsa_user_sgpr_kernarg_preload_length 0
		.amdhsa_user_sgpr_kernarg_preload_offset 0
		.amdhsa_user_sgpr_private_segment_size 0
		.amdhsa_uses_dynamic_stack 0
		.amdhsa_system_sgpr_private_segment_wavefront_offset 0
		.amdhsa_system_sgpr_workgroup_id_x 1
		.amdhsa_system_sgpr_workgroup_id_y 0
		.amdhsa_system_sgpr_workgroup_id_z 0
		.amdhsa_system_sgpr_workgroup_info 0
		.amdhsa_system_vgpr_workitem_id 0
		.amdhsa_next_free_vgpr 1
		.amdhsa_next_free_sgpr 0
		.amdhsa_accum_offset 4
		.amdhsa_reserve_vcc 0
		.amdhsa_reserve_flat_scratch 0
		.amdhsa_float_round_mode_32 0
		.amdhsa_float_round_mode_16_64 0
		.amdhsa_float_denorm_mode_32 3
		.amdhsa_float_denorm_mode_16_64 3
		.amdhsa_dx10_clamp 1
		.amdhsa_ieee_mode 1
		.amdhsa_fp16_overflow 0
		.amdhsa_tg_split 0
		.amdhsa_exception_fp_ieee_invalid_op 0
		.amdhsa_exception_fp_denorm_src 0
		.amdhsa_exception_fp_ieee_div_zero 0
		.amdhsa_exception_fp_ieee_overflow 0
		.amdhsa_exception_fp_ieee_underflow 0
		.amdhsa_exception_fp_ieee_inexact 0
		.amdhsa_exception_int_div_zero 0
	.end_amdhsa_kernel
	.section	.text._ZN7rocprim17ROCPRIM_400000_NS6detail17trampoline_kernelINS0_14default_configENS1_29reduce_by_key_config_selectorIiiN6thrust23THRUST_200600_302600_NS4plusIiEEEEZZNS1_33reduce_by_key_impl_wrapped_configILNS1_25lookback_scan_determinismE0ES3_S9_NS6_10device_ptrIiEESD_SD_SD_PmS8_NS6_8equal_toIiEEEE10hipError_tPvRmT2_T3_mT4_T5_T6_T7_T8_P12ihipStream_tbENKUlT_T0_E_clISt17integral_constantIbLb0EESY_EEDaST_SU_EUlST_E_NS1_11comp_targetILNS1_3genE5ELNS1_11target_archE942ELNS1_3gpuE9ELNS1_3repE0EEENS1_30default_config_static_selectorELNS0_4arch9wavefront6targetE1EEEvT1_,"axG",@progbits,_ZN7rocprim17ROCPRIM_400000_NS6detail17trampoline_kernelINS0_14default_configENS1_29reduce_by_key_config_selectorIiiN6thrust23THRUST_200600_302600_NS4plusIiEEEEZZNS1_33reduce_by_key_impl_wrapped_configILNS1_25lookback_scan_determinismE0ES3_S9_NS6_10device_ptrIiEESD_SD_SD_PmS8_NS6_8equal_toIiEEEE10hipError_tPvRmT2_T3_mT4_T5_T6_T7_T8_P12ihipStream_tbENKUlT_T0_E_clISt17integral_constantIbLb0EESY_EEDaST_SU_EUlST_E_NS1_11comp_targetILNS1_3genE5ELNS1_11target_archE942ELNS1_3gpuE9ELNS1_3repE0EEENS1_30default_config_static_selectorELNS0_4arch9wavefront6targetE1EEEvT1_,comdat
.Lfunc_end1095:
	.size	_ZN7rocprim17ROCPRIM_400000_NS6detail17trampoline_kernelINS0_14default_configENS1_29reduce_by_key_config_selectorIiiN6thrust23THRUST_200600_302600_NS4plusIiEEEEZZNS1_33reduce_by_key_impl_wrapped_configILNS1_25lookback_scan_determinismE0ES3_S9_NS6_10device_ptrIiEESD_SD_SD_PmS8_NS6_8equal_toIiEEEE10hipError_tPvRmT2_T3_mT4_T5_T6_T7_T8_P12ihipStream_tbENKUlT_T0_E_clISt17integral_constantIbLb0EESY_EEDaST_SU_EUlST_E_NS1_11comp_targetILNS1_3genE5ELNS1_11target_archE942ELNS1_3gpuE9ELNS1_3repE0EEENS1_30default_config_static_selectorELNS0_4arch9wavefront6targetE1EEEvT1_, .Lfunc_end1095-_ZN7rocprim17ROCPRIM_400000_NS6detail17trampoline_kernelINS0_14default_configENS1_29reduce_by_key_config_selectorIiiN6thrust23THRUST_200600_302600_NS4plusIiEEEEZZNS1_33reduce_by_key_impl_wrapped_configILNS1_25lookback_scan_determinismE0ES3_S9_NS6_10device_ptrIiEESD_SD_SD_PmS8_NS6_8equal_toIiEEEE10hipError_tPvRmT2_T3_mT4_T5_T6_T7_T8_P12ihipStream_tbENKUlT_T0_E_clISt17integral_constantIbLb0EESY_EEDaST_SU_EUlST_E_NS1_11comp_targetILNS1_3genE5ELNS1_11target_archE942ELNS1_3gpuE9ELNS1_3repE0EEENS1_30default_config_static_selectorELNS0_4arch9wavefront6targetE1EEEvT1_
                                        ; -- End function
	.section	.AMDGPU.csdata,"",@progbits
; Kernel info:
; codeLenInByte = 0
; NumSgprs: 4
; NumVgprs: 0
; NumAgprs: 0
; TotalNumVgprs: 0
; ScratchSize: 0
; MemoryBound: 0
; FloatMode: 240
; IeeeMode: 1
; LDSByteSize: 0 bytes/workgroup (compile time only)
; SGPRBlocks: 0
; VGPRBlocks: 0
; NumSGPRsForWavesPerEU: 4
; NumVGPRsForWavesPerEU: 1
; AccumOffset: 4
; Occupancy: 8
; WaveLimiterHint : 0
; COMPUTE_PGM_RSRC2:SCRATCH_EN: 0
; COMPUTE_PGM_RSRC2:USER_SGPR: 6
; COMPUTE_PGM_RSRC2:TRAP_HANDLER: 0
; COMPUTE_PGM_RSRC2:TGID_X_EN: 1
; COMPUTE_PGM_RSRC2:TGID_Y_EN: 0
; COMPUTE_PGM_RSRC2:TGID_Z_EN: 0
; COMPUTE_PGM_RSRC2:TIDIG_COMP_CNT: 0
; COMPUTE_PGM_RSRC3_GFX90A:ACCUM_OFFSET: 0
; COMPUTE_PGM_RSRC3_GFX90A:TG_SPLIT: 0
	.section	.text._ZN7rocprim17ROCPRIM_400000_NS6detail17trampoline_kernelINS0_14default_configENS1_29reduce_by_key_config_selectorIiiN6thrust23THRUST_200600_302600_NS4plusIiEEEEZZNS1_33reduce_by_key_impl_wrapped_configILNS1_25lookback_scan_determinismE0ES3_S9_NS6_10device_ptrIiEESD_SD_SD_PmS8_NS6_8equal_toIiEEEE10hipError_tPvRmT2_T3_mT4_T5_T6_T7_T8_P12ihipStream_tbENKUlT_T0_E_clISt17integral_constantIbLb0EESY_EEDaST_SU_EUlST_E_NS1_11comp_targetILNS1_3genE4ELNS1_11target_archE910ELNS1_3gpuE8ELNS1_3repE0EEENS1_30default_config_static_selectorELNS0_4arch9wavefront6targetE1EEEvT1_,"axG",@progbits,_ZN7rocprim17ROCPRIM_400000_NS6detail17trampoline_kernelINS0_14default_configENS1_29reduce_by_key_config_selectorIiiN6thrust23THRUST_200600_302600_NS4plusIiEEEEZZNS1_33reduce_by_key_impl_wrapped_configILNS1_25lookback_scan_determinismE0ES3_S9_NS6_10device_ptrIiEESD_SD_SD_PmS8_NS6_8equal_toIiEEEE10hipError_tPvRmT2_T3_mT4_T5_T6_T7_T8_P12ihipStream_tbENKUlT_T0_E_clISt17integral_constantIbLb0EESY_EEDaST_SU_EUlST_E_NS1_11comp_targetILNS1_3genE4ELNS1_11target_archE910ELNS1_3gpuE8ELNS1_3repE0EEENS1_30default_config_static_selectorELNS0_4arch9wavefront6targetE1EEEvT1_,comdat
	.protected	_ZN7rocprim17ROCPRIM_400000_NS6detail17trampoline_kernelINS0_14default_configENS1_29reduce_by_key_config_selectorIiiN6thrust23THRUST_200600_302600_NS4plusIiEEEEZZNS1_33reduce_by_key_impl_wrapped_configILNS1_25lookback_scan_determinismE0ES3_S9_NS6_10device_ptrIiEESD_SD_SD_PmS8_NS6_8equal_toIiEEEE10hipError_tPvRmT2_T3_mT4_T5_T6_T7_T8_P12ihipStream_tbENKUlT_T0_E_clISt17integral_constantIbLb0EESY_EEDaST_SU_EUlST_E_NS1_11comp_targetILNS1_3genE4ELNS1_11target_archE910ELNS1_3gpuE8ELNS1_3repE0EEENS1_30default_config_static_selectorELNS0_4arch9wavefront6targetE1EEEvT1_ ; -- Begin function _ZN7rocprim17ROCPRIM_400000_NS6detail17trampoline_kernelINS0_14default_configENS1_29reduce_by_key_config_selectorIiiN6thrust23THRUST_200600_302600_NS4plusIiEEEEZZNS1_33reduce_by_key_impl_wrapped_configILNS1_25lookback_scan_determinismE0ES3_S9_NS6_10device_ptrIiEESD_SD_SD_PmS8_NS6_8equal_toIiEEEE10hipError_tPvRmT2_T3_mT4_T5_T6_T7_T8_P12ihipStream_tbENKUlT_T0_E_clISt17integral_constantIbLb0EESY_EEDaST_SU_EUlST_E_NS1_11comp_targetILNS1_3genE4ELNS1_11target_archE910ELNS1_3gpuE8ELNS1_3repE0EEENS1_30default_config_static_selectorELNS0_4arch9wavefront6targetE1EEEvT1_
	.globl	_ZN7rocprim17ROCPRIM_400000_NS6detail17trampoline_kernelINS0_14default_configENS1_29reduce_by_key_config_selectorIiiN6thrust23THRUST_200600_302600_NS4plusIiEEEEZZNS1_33reduce_by_key_impl_wrapped_configILNS1_25lookback_scan_determinismE0ES3_S9_NS6_10device_ptrIiEESD_SD_SD_PmS8_NS6_8equal_toIiEEEE10hipError_tPvRmT2_T3_mT4_T5_T6_T7_T8_P12ihipStream_tbENKUlT_T0_E_clISt17integral_constantIbLb0EESY_EEDaST_SU_EUlST_E_NS1_11comp_targetILNS1_3genE4ELNS1_11target_archE910ELNS1_3gpuE8ELNS1_3repE0EEENS1_30default_config_static_selectorELNS0_4arch9wavefront6targetE1EEEvT1_
	.p2align	8
	.type	_ZN7rocprim17ROCPRIM_400000_NS6detail17trampoline_kernelINS0_14default_configENS1_29reduce_by_key_config_selectorIiiN6thrust23THRUST_200600_302600_NS4plusIiEEEEZZNS1_33reduce_by_key_impl_wrapped_configILNS1_25lookback_scan_determinismE0ES3_S9_NS6_10device_ptrIiEESD_SD_SD_PmS8_NS6_8equal_toIiEEEE10hipError_tPvRmT2_T3_mT4_T5_T6_T7_T8_P12ihipStream_tbENKUlT_T0_E_clISt17integral_constantIbLb0EESY_EEDaST_SU_EUlST_E_NS1_11comp_targetILNS1_3genE4ELNS1_11target_archE910ELNS1_3gpuE8ELNS1_3repE0EEENS1_30default_config_static_selectorELNS0_4arch9wavefront6targetE1EEEvT1_,@function
_ZN7rocprim17ROCPRIM_400000_NS6detail17trampoline_kernelINS0_14default_configENS1_29reduce_by_key_config_selectorIiiN6thrust23THRUST_200600_302600_NS4plusIiEEEEZZNS1_33reduce_by_key_impl_wrapped_configILNS1_25lookback_scan_determinismE0ES3_S9_NS6_10device_ptrIiEESD_SD_SD_PmS8_NS6_8equal_toIiEEEE10hipError_tPvRmT2_T3_mT4_T5_T6_T7_T8_P12ihipStream_tbENKUlT_T0_E_clISt17integral_constantIbLb0EESY_EEDaST_SU_EUlST_E_NS1_11comp_targetILNS1_3genE4ELNS1_11target_archE910ELNS1_3gpuE8ELNS1_3repE0EEENS1_30default_config_static_selectorELNS0_4arch9wavefront6targetE1EEEvT1_: ; @_ZN7rocprim17ROCPRIM_400000_NS6detail17trampoline_kernelINS0_14default_configENS1_29reduce_by_key_config_selectorIiiN6thrust23THRUST_200600_302600_NS4plusIiEEEEZZNS1_33reduce_by_key_impl_wrapped_configILNS1_25lookback_scan_determinismE0ES3_S9_NS6_10device_ptrIiEESD_SD_SD_PmS8_NS6_8equal_toIiEEEE10hipError_tPvRmT2_T3_mT4_T5_T6_T7_T8_P12ihipStream_tbENKUlT_T0_E_clISt17integral_constantIbLb0EESY_EEDaST_SU_EUlST_E_NS1_11comp_targetILNS1_3genE4ELNS1_11target_archE910ELNS1_3gpuE8ELNS1_3repE0EEENS1_30default_config_static_selectorELNS0_4arch9wavefront6targetE1EEEvT1_
; %bb.0:
	s_load_dwordx8 s[36:43], s[4:5], 0x0
	s_load_dwordx4 s[52:55], s[4:5], 0x20
	s_load_dwordx8 s[44:51], s[4:5], 0x38
	s_load_dwordx2 s[60:61], s[4:5], 0x68
	s_load_dwordx4 s[56:59], s[4:5], 0x58
	s_waitcnt lgkmcnt(0)
	s_lshl_b64 s[0:1], s[38:39], 2
	s_add_u32 s2, s36, s0
	s_addc_u32 s3, s37, s1
	s_add_u32 s4, s40, s0
	s_addc_u32 s5, s41, s1
	s_mul_i32 s0, s48, s47
	s_mul_hi_u32 s1, s48, s46
	s_add_i32 s0, s1, s0
	s_mul_i32 s1, s49, s46
	s_add_i32 s8, s0, s1
	s_mul_i32 s0, s6, 0xf00
	s_mov_b32 s1, 0
	s_lshl_b64 s[0:1], s[0:1], 2
	s_add_u32 s7, s2, s0
	s_addc_u32 s62, s3, s1
	s_mul_i32 s9, s48, s46
	s_add_u32 s48, s4, s0
	s_addc_u32 s49, s5, s1
	s_add_u32 s38, s9, s6
	s_addc_u32 s39, s8, 0
	s_add_u32 s2, s50, -1
	s_addc_u32 s3, s51, -1
	s_cmp_eq_u64 s[38:39], s[2:3]
	s_cselect_b64 s[34:35], -1, 0
	s_cmp_lg_u64 s[38:39], s[2:3]
	s_mov_b64 s[0:1], -1
	s_cselect_b64 s[40:41], -1, 0
	s_mul_i32 s33, s2, 0xfffff100
	s_and_b64 vcc, exec, s[34:35]
	s_cbranch_vccnz .LBB1096_2
; %bb.1:
	v_lshlrev_b32_e32 v24, 2, v0
	v_mov_b32_e32 v1, s62
	v_add_co_u32_e32 v2, vcc, s7, v24
	v_addc_co_u32_e32 v3, vcc, 0, v1, vcc
	v_add_co_u32_e32 v4, vcc, 0x1000, v2
	v_addc_co_u32_e32 v5, vcc, 0, v3, vcc
	flat_load_dword v1, v[2:3]
	flat_load_dword v8, v[2:3] offset:1024
	flat_load_dword v9, v[2:3] offset:2048
	;; [unrolled: 1-line block ×3, first 2 shown]
	flat_load_dword v11, v[4:5]
	flat_load_dword v12, v[4:5] offset:1024
	flat_load_dword v13, v[4:5] offset:2048
	;; [unrolled: 1-line block ×3, first 2 shown]
	v_add_co_u32_e32 v4, vcc, 0x2000, v2
	v_addc_co_u32_e32 v5, vcc, 0, v3, vcc
	v_add_co_u32_e32 v2, vcc, 0x3000, v2
	v_addc_co_u32_e32 v3, vcc, 0, v3, vcc
	flat_load_dword v15, v[4:5]
	flat_load_dword v16, v[4:5] offset:1024
	flat_load_dword v17, v[4:5] offset:2048
	;; [unrolled: 1-line block ×3, first 2 shown]
	flat_load_dword v19, v[2:3]
	flat_load_dword v20, v[2:3] offset:1024
	flat_load_dword v21, v[2:3] offset:2048
	v_mov_b32_e32 v3, s49
	v_add_co_u32_e32 v2, vcc, s48, v24
	s_movk_i32 s0, 0x1000
	v_addc_co_u32_e32 v3, vcc, 0, v3, vcc
	v_add_co_u32_e32 v4, vcc, s0, v2
	s_movk_i32 s1, 0x2000
	v_addc_co_u32_e32 v5, vcc, 0, v3, vcc
	;; [unrolled: 3-line block ×3, first 2 shown]
	v_mad_u32_u24 v36, v0, 56, v24
	v_add_co_u32_e32 v22, vcc, s2, v2
	v_addc_co_u32_e32 v23, vcc, 0, v3, vcc
	s_waitcnt vmcnt(0) lgkmcnt(0)
	ds_write2st64_b32 v24, v1, v8 offset1:4
	ds_write2st64_b32 v24, v9, v10 offset0:8 offset1:12
	ds_write2st64_b32 v24, v11, v12 offset0:16 offset1:20
	;; [unrolled: 1-line block ×6, first 2 shown]
	ds_write_b32 v24, v21 offset:14336
	s_waitcnt lgkmcnt(0)
	s_barrier
	ds_read2_b32 v[20:21], v36 offset1:1
	ds_read2_b32 v[18:19], v36 offset0:2 offset1:3
	ds_read2_b32 v[16:17], v36 offset0:4 offset1:5
	ds_read2_b32 v[14:15], v36 offset0:6 offset1:7
	ds_read2_b32 v[12:13], v36 offset0:8 offset1:9
	ds_read2_b32 v[10:11], v36 offset0:10 offset1:11
	ds_read2_b32 v[8:9], v36 offset0:12 offset1:13
	ds_read_b32 v1, v36 offset:56
	s_waitcnt lgkmcnt(0)
	s_barrier
	flat_load_dword v25, v[2:3]
	flat_load_dword v26, v[2:3] offset:1024
	flat_load_dword v27, v[2:3] offset:2048
	flat_load_dword v28, v[2:3] offset:3072
	flat_load_dword v29, v[4:5]
	flat_load_dword v32, v[4:5] offset:1024
	flat_load_dword v33, v[4:5] offset:2048
	flat_load_dword v34, v[4:5] offset:3072
	flat_load_dword v35, v[6:7]
	flat_load_dword v37, v[6:7] offset:1024
	flat_load_dword v38, v[6:7] offset:2048
	flat_load_dword v39, v[6:7] offset:3072
	flat_load_dword v40, v[22:23]
	flat_load_dword v41, v[22:23] offset:1024
	flat_load_dword v42, v[22:23] offset:2048
	v_mov_b32_e32 v30, v20
	v_mov_b32_e32 v31, v18
	;; [unrolled: 1-line block ×7, first 2 shown]
	s_waitcnt vmcnt(0) lgkmcnt(0)
	ds_write2st64_b32 v24, v25, v26 offset1:4
	ds_write2st64_b32 v24, v27, v28 offset0:8 offset1:12
	ds_write2st64_b32 v24, v29, v32 offset0:16 offset1:20
	;; [unrolled: 1-line block ×6, first 2 shown]
	ds_write_b32 v24, v42 offset:14336
	s_waitcnt lgkmcnt(0)
	s_barrier
	s_add_i32 s33, s33, s56
	s_cbranch_execz .LBB1096_3
	s_branch .LBB1096_50
.LBB1096_2:
                                        ; implicit-def: $vgpr1
                                        ; implicit-def: $vgpr8
                                        ; implicit-def: $vgpr10
                                        ; implicit-def: $vgpr12
                                        ; implicit-def: $vgpr14
                                        ; implicit-def: $vgpr16
                                        ; implicit-def: $vgpr18
                                        ; implicit-def: $vgpr20
                                        ; implicit-def: $vgpr36
                                        ; implicit-def: $vgpr2_vgpr3
                                        ; implicit-def: $vgpr4_vgpr5
                                        ; implicit-def: $vgpr30_vgpr31
                                        ; implicit-def: $vgpr6_vgpr7
	s_andn2_b64 vcc, exec, s[0:1]
	s_add_i32 s33, s33, s56
	s_cbranch_vccnz .LBB1096_50
.LBB1096_3:
	v_cmp_gt_u32_e32 vcc, s33, v0
                                        ; implicit-def: $vgpr1
	s_and_saveexec_b64 s[2:3], vcc
	s_cbranch_execz .LBB1096_5
; %bb.4:
	v_lshlrev_b32_e32 v1, 2, v0
	v_mov_b32_e32 v3, s62
	v_add_co_u32_e64 v2, s[0:1], s7, v1
	v_addc_co_u32_e64 v3, s[0:1], 0, v3, s[0:1]
	flat_load_dword v1, v[2:3]
.LBB1096_5:
	s_or_b64 exec, exec, s[2:3]
	v_or_b32_e32 v2, 0x100, v0
	v_cmp_gt_u32_e64 s[0:1], s33, v2
                                        ; implicit-def: $vgpr8
	s_and_saveexec_b64 s[4:5], s[0:1]
	s_cbranch_execz .LBB1096_7
; %bb.6:
	v_lshlrev_b32_e32 v2, 2, v0
	v_mov_b32_e32 v3, s62
	v_add_co_u32_e64 v2, s[2:3], s7, v2
	v_addc_co_u32_e64 v3, s[2:3], 0, v3, s[2:3]
	flat_load_dword v8, v[2:3] offset:1024
.LBB1096_7:
	s_or_b64 exec, exec, s[4:5]
	v_or_b32_e32 v2, 0x200, v0
	v_cmp_gt_u32_e64 s[2:3], s33, v2
                                        ; implicit-def: $vgpr9
	s_and_saveexec_b64 s[8:9], s[2:3]
	s_cbranch_execz .LBB1096_9
; %bb.8:
	v_lshlrev_b32_e32 v2, 2, v0
	v_mov_b32_e32 v3, s62
	v_add_co_u32_e64 v2, s[4:5], s7, v2
	v_addc_co_u32_e64 v3, s[4:5], 0, v3, s[4:5]
	flat_load_dword v9, v[2:3] offset:2048
.LBB1096_9:
	s_or_b64 exec, exec, s[8:9]
	v_or_b32_e32 v2, 0x300, v0
	v_cmp_gt_u32_e64 s[4:5], s33, v2
                                        ; implicit-def: $vgpr10
	s_and_saveexec_b64 s[10:11], s[4:5]
	s_cbranch_execz .LBB1096_11
; %bb.10:
	v_lshlrev_b32_e32 v2, 2, v0
	v_mov_b32_e32 v3, s62
	v_add_co_u32_e64 v2, s[8:9], s7, v2
	v_addc_co_u32_e64 v3, s[8:9], 0, v3, s[8:9]
	flat_load_dword v10, v[2:3] offset:3072
.LBB1096_11:
	s_or_b64 exec, exec, s[10:11]
	v_or_b32_e32 v2, 0x400, v0
	v_cmp_gt_u32_e64 s[28:29], s33, v2
	v_lshlrev_b32_e32 v2, 2, v2
                                        ; implicit-def: $vgpr11
	s_and_saveexec_b64 s[10:11], s[28:29]
	s_cbranch_execz .LBB1096_13
; %bb.12:
	v_mov_b32_e32 v3, s62
	v_add_co_u32_e64 v4, s[8:9], s7, v2
	v_addc_co_u32_e64 v5, s[8:9], 0, v3, s[8:9]
	flat_load_dword v11, v[4:5]
.LBB1096_13:
	s_or_b64 exec, exec, s[10:11]
	v_or_b32_e32 v3, 0x500, v0
	v_cmp_gt_u32_e64 s[8:9], s33, v3
	v_lshlrev_b32_e32 v3, 2, v3
                                        ; implicit-def: $vgpr12
	s_and_saveexec_b64 s[12:13], s[8:9]
	s_cbranch_execz .LBB1096_15
; %bb.14:
	v_mov_b32_e32 v5, s62
	v_add_co_u32_e64 v4, s[10:11], s7, v3
	v_addc_co_u32_e64 v5, s[10:11], 0, v5, s[10:11]
	flat_load_dword v12, v[4:5]
.LBB1096_15:
	s_or_b64 exec, exec, s[12:13]
	v_or_b32_e32 v4, 0x600, v0
	v_cmp_gt_u32_e64 s[10:11], s33, v4
	v_lshlrev_b32_e32 v4, 2, v4
                                        ; implicit-def: $vgpr13
	s_and_saveexec_b64 s[14:15], s[10:11]
	s_cbranch_execz .LBB1096_17
; %bb.16:
	v_mov_b32_e32 v5, s62
	v_add_co_u32_e64 v6, s[12:13], s7, v4
	v_addc_co_u32_e64 v7, s[12:13], 0, v5, s[12:13]
	flat_load_dword v13, v[6:7]
.LBB1096_17:
	s_or_b64 exec, exec, s[14:15]
	v_or_b32_e32 v5, 0x700, v0
	v_cmp_gt_u32_e64 s[12:13], s33, v5
	v_lshlrev_b32_e32 v5, 2, v5
                                        ; implicit-def: $vgpr14
	s_and_saveexec_b64 s[16:17], s[12:13]
	s_cbranch_execz .LBB1096_19
; %bb.18:
	v_mov_b32_e32 v7, s62
	v_add_co_u32_e64 v6, s[14:15], s7, v5
	v_addc_co_u32_e64 v7, s[14:15], 0, v7, s[14:15]
	flat_load_dword v14, v[6:7]
.LBB1096_19:
	s_or_b64 exec, exec, s[16:17]
	v_or_b32_e32 v6, 0x800, v0
	v_cmp_gt_u32_e64 s[14:15], s33, v6
	v_lshlrev_b32_e32 v6, 2, v6
                                        ; implicit-def: $vgpr15
	s_and_saveexec_b64 s[18:19], s[14:15]
	s_cbranch_execz .LBB1096_21
; %bb.20:
	v_mov_b32_e32 v7, s62
	v_add_co_u32_e64 v16, s[16:17], s7, v6
	v_addc_co_u32_e64 v17, s[16:17], 0, v7, s[16:17]
	flat_load_dword v15, v[16:17]
.LBB1096_21:
	s_or_b64 exec, exec, s[18:19]
	v_or_b32_e32 v7, 0x900, v0
	v_cmp_gt_u32_e64 s[16:17], s33, v7
	v_lshlrev_b32_e32 v7, 2, v7
                                        ; implicit-def: $vgpr16
	s_and_saveexec_b64 s[20:21], s[16:17]
	s_cbranch_execz .LBB1096_23
; %bb.22:
	v_mov_b32_e32 v17, s62
	v_add_co_u32_e64 v16, s[18:19], s7, v7
	v_addc_co_u32_e64 v17, s[18:19], 0, v17, s[18:19]
	flat_load_dword v16, v[16:17]
.LBB1096_23:
	s_or_b64 exec, exec, s[20:21]
	v_or_b32_e32 v17, 0xa00, v0
	v_cmp_gt_u32_e64 s[18:19], s33, v17
	v_lshlrev_b32_e32 v22, 2, v17
                                        ; implicit-def: $vgpr17
	s_and_saveexec_b64 s[22:23], s[18:19]
	s_cbranch_execz .LBB1096_25
; %bb.24:
	v_mov_b32_e32 v17, s62
	v_add_co_u32_e64 v18, s[20:21], s7, v22
	v_addc_co_u32_e64 v19, s[20:21], 0, v17, s[20:21]
	flat_load_dword v17, v[18:19]
.LBB1096_25:
	s_or_b64 exec, exec, s[22:23]
	v_or_b32_e32 v18, 0xb00, v0
	v_cmp_gt_u32_e64 s[20:21], s33, v18
	v_lshlrev_b32_e32 v24, 2, v18
                                        ; implicit-def: $vgpr18
	s_and_saveexec_b64 s[24:25], s[20:21]
	s_cbranch_execz .LBB1096_27
; %bb.26:
	v_mov_b32_e32 v19, s62
	v_add_co_u32_e64 v18, s[22:23], s7, v24
	v_addc_co_u32_e64 v19, s[22:23], 0, v19, s[22:23]
	flat_load_dword v18, v[18:19]
.LBB1096_27:
	s_or_b64 exec, exec, s[24:25]
	v_or_b32_e32 v19, 0xc00, v0
	v_cmp_gt_u32_e64 s[22:23], s33, v19
	v_lshlrev_b32_e32 v25, 2, v19
                                        ; implicit-def: $vgpr19
	s_and_saveexec_b64 s[26:27], s[22:23]
	s_cbranch_execz .LBB1096_29
; %bb.28:
	v_mov_b32_e32 v19, s62
	v_add_co_u32_e64 v20, s[24:25], s7, v25
	v_addc_co_u32_e64 v21, s[24:25], 0, v19, s[24:25]
	flat_load_dword v19, v[20:21]
.LBB1096_29:
	s_or_b64 exec, exec, s[26:27]
	v_or_b32_e32 v20, 0xd00, v0
	v_cmp_gt_u32_e64 s[24:25], s33, v20
	v_lshlrev_b32_e32 v26, 2, v20
                                        ; implicit-def: $vgpr20
	s_and_saveexec_b64 s[30:31], s[24:25]
	s_cbranch_execz .LBB1096_31
; %bb.30:
	v_mov_b32_e32 v21, s62
	v_add_co_u32_e64 v20, s[26:27], s7, v26
	v_addc_co_u32_e64 v21, s[26:27], 0, v21, s[26:27]
	flat_load_dword v20, v[20:21]
.LBB1096_31:
	s_or_b64 exec, exec, s[30:31]
	v_or_b32_e32 v21, 0xe00, v0
	v_cmp_gt_u32_e64 s[26:27], s33, v21
	v_lshlrev_b32_e32 v27, 2, v21
                                        ; implicit-def: $vgpr21
	s_and_saveexec_b64 s[36:37], s[26:27]
	s_cbranch_execz .LBB1096_33
; %bb.32:
	v_mov_b32_e32 v21, s62
	v_add_co_u32_e64 v28, s[30:31], s7, v27
	v_addc_co_u32_e64 v29, s[30:31], 0, v21, s[30:31]
	flat_load_dword v21, v[28:29]
.LBB1096_33:
	s_or_b64 exec, exec, s[36:37]
	v_lshlrev_b32_e32 v23, 2, v0
	v_mad_u32_u24 v36, v0, 56, v23
	s_waitcnt vmcnt(0) lgkmcnt(0)
	ds_write2st64_b32 v23, v1, v8 offset1:4
	ds_write2st64_b32 v23, v9, v10 offset0:8 offset1:12
	ds_write2st64_b32 v23, v11, v12 offset0:16 offset1:20
	;; [unrolled: 1-line block ×6, first 2 shown]
	ds_write_b32 v23, v21 offset:14336
	s_waitcnt lgkmcnt(0)
	s_barrier
	ds_read2_b32 v[20:21], v36 offset1:1
	ds_read2_b32 v[18:19], v36 offset0:2 offset1:3
	ds_read2_b32 v[16:17], v36 offset0:4 offset1:5
	;; [unrolled: 1-line block ×6, first 2 shown]
	ds_read_b32 v1, v36 offset:56
	s_waitcnt lgkmcnt(0)
	s_barrier
	s_waitcnt lgkmcnt(0)
                                        ; implicit-def: $vgpr28
	s_and_saveexec_b64 s[30:31], vcc
	s_cbranch_execnz .LBB1096_57
; %bb.34:
	s_or_b64 exec, exec, s[30:31]
                                        ; implicit-def: $vgpr29
	s_and_saveexec_b64 s[30:31], s[0:1]
	s_cbranch_execnz .LBB1096_58
.LBB1096_35:
	s_or_b64 exec, exec, s[30:31]
                                        ; implicit-def: $vgpr30
	s_and_saveexec_b64 s[0:1], s[2:3]
	s_cbranch_execnz .LBB1096_59
.LBB1096_36:
	s_or_b64 exec, exec, s[0:1]
                                        ; implicit-def: $vgpr31
	s_and_saveexec_b64 s[0:1], s[4:5]
	s_cbranch_execnz .LBB1096_60
.LBB1096_37:
	s_or_b64 exec, exec, s[0:1]
                                        ; implicit-def: $vgpr32
	s_and_saveexec_b64 s[0:1], s[28:29]
	s_cbranch_execnz .LBB1096_61
.LBB1096_38:
	s_or_b64 exec, exec, s[0:1]
                                        ; implicit-def: $vgpr2
	s_and_saveexec_b64 s[0:1], s[8:9]
	s_cbranch_execnz .LBB1096_62
.LBB1096_39:
	s_or_b64 exec, exec, s[0:1]
                                        ; implicit-def: $vgpr3
	s_and_saveexec_b64 s[0:1], s[10:11]
	s_cbranch_execnz .LBB1096_63
.LBB1096_40:
	s_or_b64 exec, exec, s[0:1]
                                        ; implicit-def: $vgpr4
	s_and_saveexec_b64 s[0:1], s[12:13]
	s_cbranch_execnz .LBB1096_64
.LBB1096_41:
	s_or_b64 exec, exec, s[0:1]
                                        ; implicit-def: $vgpr5
	s_and_saveexec_b64 s[0:1], s[14:15]
	s_cbranch_execnz .LBB1096_65
.LBB1096_42:
	s_or_b64 exec, exec, s[0:1]
                                        ; implicit-def: $vgpr6
	s_and_saveexec_b64 s[0:1], s[16:17]
	s_cbranch_execnz .LBB1096_66
.LBB1096_43:
	s_or_b64 exec, exec, s[0:1]
                                        ; implicit-def: $vgpr7
	s_and_saveexec_b64 s[0:1], s[18:19]
	s_cbranch_execnz .LBB1096_67
.LBB1096_44:
	s_or_b64 exec, exec, s[0:1]
                                        ; implicit-def: $vgpr22
	s_and_saveexec_b64 s[0:1], s[20:21]
	s_cbranch_execnz .LBB1096_68
.LBB1096_45:
	s_or_b64 exec, exec, s[0:1]
                                        ; implicit-def: $vgpr24
	s_and_saveexec_b64 s[0:1], s[22:23]
	s_cbranch_execnz .LBB1096_69
.LBB1096_46:
	s_or_b64 exec, exec, s[0:1]
                                        ; implicit-def: $vgpr25
	s_and_saveexec_b64 s[0:1], s[24:25]
	s_cbranch_execnz .LBB1096_70
.LBB1096_47:
	s_or_b64 exec, exec, s[0:1]
                                        ; implicit-def: $vgpr26
	s_and_saveexec_b64 s[0:1], s[26:27]
	s_cbranch_execz .LBB1096_49
.LBB1096_48:
	v_mov_b32_e32 v33, s49
	v_add_co_u32_e32 v26, vcc, s48, v27
	v_addc_co_u32_e32 v27, vcc, 0, v33, vcc
	flat_load_dword v26, v[26:27]
.LBB1096_49:
	s_or_b64 exec, exec, s[0:1]
	s_waitcnt vmcnt(0) lgkmcnt(0)
	ds_write2st64_b32 v23, v28, v29 offset1:4
	ds_write2st64_b32 v23, v30, v31 offset0:8 offset1:12
	ds_write2st64_b32 v23, v32, v2 offset0:16 offset1:20
	;; [unrolled: 1-line block ×6, first 2 shown]
	ds_write_b32 v23, v26 offset:14336
	v_mov_b32_e32 v30, v20
	v_mov_b32_e32 v31, v18
	;; [unrolled: 1-line block ×7, first 2 shown]
	s_waitcnt lgkmcnt(0)
	s_barrier
.LBB1096_50:
	ds_read2_b32 v[40:41], v36 offset1:1
	ds_read2_b32 v[34:35], v36 offset0:2 offset1:3
	ds_read2_b32 v[32:33], v36 offset0:4 offset1:5
	;; [unrolled: 1-line block ×6, first 2 shown]
	ds_read_b32 v82, v36 offset:56
	s_cmp_eq_u64 s[38:39], 0
	s_cselect_b64 s[36:37], -1, 0
	s_cmp_lg_u64 s[38:39], 0
	s_mov_b64 s[48:49], 0
	s_cselect_b64 s[2:3], -1, 0
	s_and_b64 vcc, exec, s[40:41]
	s_waitcnt lgkmcnt(0)
	s_barrier
	s_cbranch_vccz .LBB1096_56
; %bb.51:
	s_and_b64 vcc, exec, s[2:3]
	s_cbranch_vccz .LBB1096_71
; %bb.52:
	v_mov_b32_e32 v7, s62
	v_add_co_u32_e64 v36, vcc, -4, s7
	v_addc_co_u32_e32 v37, vcc, -1, v7, vcc
	flat_load_dword v7, v[36:37]
	v_lshlrev_b32_e32 v36, 2, v0
	v_cmp_ne_u32_e32 vcc, 0, v0
	ds_write_b32 v36, v1
	s_waitcnt lgkmcnt(0)
	s_barrier
	s_and_saveexec_b64 s[0:1], vcc
	s_cbranch_execz .LBB1096_54
; %bb.53:
	s_waitcnt vmcnt(0)
	v_add_u32_e32 v7, -4, v36
	ds_read_b32 v7, v7
.LBB1096_54:
	s_or_b64 exec, exec, s[0:1]
	v_cmp_ne_u32_e32 vcc, v30, v21
	v_cndmask_b32_e64 v79, 0, 1, vcc
	v_cmp_ne_u32_e32 vcc, v31, v21
	v_cndmask_b32_e64 v78, 0, 1, vcc
	;; [unrolled: 2-line block ×14, first 2 shown]
	s_waitcnt vmcnt(0) lgkmcnt(0)
	v_cmp_ne_u32_e64 s[0:1], v7, v20
	s_mov_b64 s[48:49], -1
.LBB1096_55:
                                        ; implicit-def: $sgpr8
	s_branch .LBB1096_83
.LBB1096_56:
                                        ; implicit-def: $sgpr0_sgpr1
                                        ; implicit-def: $vgpr66
                                        ; implicit-def: $vgpr67
                                        ; implicit-def: $vgpr68
                                        ; implicit-def: $vgpr69
                                        ; implicit-def: $vgpr70
                                        ; implicit-def: $vgpr71
                                        ; implicit-def: $vgpr72
                                        ; implicit-def: $vgpr73
                                        ; implicit-def: $vgpr74
                                        ; implicit-def: $vgpr75
                                        ; implicit-def: $vgpr76
                                        ; implicit-def: $vgpr77
                                        ; implicit-def: $vgpr78
                                        ; implicit-def: $vgpr79
                                        ; implicit-def: $sgpr8
	s_cbranch_execnz .LBB1096_75
	s_branch .LBB1096_83
.LBB1096_57:
	v_mov_b32_e32 v29, s49
	v_add_co_u32_e32 v28, vcc, s48, v23
	v_addc_co_u32_e32 v29, vcc, 0, v29, vcc
	flat_load_dword v28, v[28:29]
	s_or_b64 exec, exec, s[30:31]
                                        ; implicit-def: $vgpr29
	s_and_saveexec_b64 s[30:31], s[0:1]
	s_cbranch_execz .LBB1096_35
.LBB1096_58:
	v_mov_b32_e32 v29, s49
	v_add_co_u32_e32 v30, vcc, s48, v23
	v_addc_co_u32_e32 v31, vcc, 0, v29, vcc
	flat_load_dword v29, v[30:31] offset:1024
	s_or_b64 exec, exec, s[30:31]
                                        ; implicit-def: $vgpr30
	s_and_saveexec_b64 s[0:1], s[2:3]
	s_cbranch_execz .LBB1096_36
.LBB1096_59:
	v_mov_b32_e32 v31, s49
	v_add_co_u32_e32 v30, vcc, s48, v23
	v_addc_co_u32_e32 v31, vcc, 0, v31, vcc
	flat_load_dword v30, v[30:31] offset:2048
	s_or_b64 exec, exec, s[0:1]
                                        ; implicit-def: $vgpr31
	s_and_saveexec_b64 s[0:1], s[4:5]
	s_cbranch_execz .LBB1096_37
.LBB1096_60:
	v_mov_b32_e32 v31, s49
	v_add_co_u32_e32 v32, vcc, s48, v23
	v_addc_co_u32_e32 v33, vcc, 0, v31, vcc
	flat_load_dword v31, v[32:33] offset:3072
	s_or_b64 exec, exec, s[0:1]
                                        ; implicit-def: $vgpr32
	s_and_saveexec_b64 s[0:1], s[28:29]
	s_cbranch_execz .LBB1096_38
.LBB1096_61:
	v_mov_b32_e32 v33, s49
	v_add_co_u32_e32 v32, vcc, s48, v2
	v_addc_co_u32_e32 v33, vcc, 0, v33, vcc
	flat_load_dword v32, v[32:33]
	s_or_b64 exec, exec, s[0:1]
                                        ; implicit-def: $vgpr2
	s_and_saveexec_b64 s[0:1], s[8:9]
	s_cbranch_execz .LBB1096_39
.LBB1096_62:
	v_mov_b32_e32 v33, s49
	v_add_co_u32_e32 v2, vcc, s48, v3
	v_addc_co_u32_e32 v3, vcc, 0, v33, vcc
	flat_load_dword v2, v[2:3]
	s_or_b64 exec, exec, s[0:1]
                                        ; implicit-def: $vgpr3
	s_and_saveexec_b64 s[0:1], s[10:11]
	s_cbranch_execz .LBB1096_40
.LBB1096_63:
	v_mov_b32_e32 v3, s49
	v_add_co_u32_e32 v34, vcc, s48, v4
	v_addc_co_u32_e32 v35, vcc, 0, v3, vcc
	flat_load_dword v3, v[34:35]
	s_or_b64 exec, exec, s[0:1]
                                        ; implicit-def: $vgpr4
	s_and_saveexec_b64 s[0:1], s[12:13]
	s_cbranch_execz .LBB1096_41
.LBB1096_64:
	v_mov_b32_e32 v33, s49
	v_add_co_u32_e32 v4, vcc, s48, v5
	v_addc_co_u32_e32 v5, vcc, 0, v33, vcc
	flat_load_dword v4, v[4:5]
	s_or_b64 exec, exec, s[0:1]
                                        ; implicit-def: $vgpr5
	s_and_saveexec_b64 s[0:1], s[14:15]
	s_cbranch_execz .LBB1096_42
.LBB1096_65:
	v_mov_b32_e32 v5, s49
	v_add_co_u32_e32 v34, vcc, s48, v6
	v_addc_co_u32_e32 v35, vcc, 0, v5, vcc
	flat_load_dword v5, v[34:35]
	s_or_b64 exec, exec, s[0:1]
                                        ; implicit-def: $vgpr6
	s_and_saveexec_b64 s[0:1], s[16:17]
	s_cbranch_execz .LBB1096_43
.LBB1096_66:
	v_mov_b32_e32 v33, s49
	v_add_co_u32_e32 v6, vcc, s48, v7
	v_addc_co_u32_e32 v7, vcc, 0, v33, vcc
	flat_load_dword v6, v[6:7]
	s_or_b64 exec, exec, s[0:1]
                                        ; implicit-def: $vgpr7
	s_and_saveexec_b64 s[0:1], s[18:19]
	s_cbranch_execz .LBB1096_44
.LBB1096_67:
	v_mov_b32_e32 v7, s49
	v_add_co_u32_e32 v34, vcc, s48, v22
	v_addc_co_u32_e32 v35, vcc, 0, v7, vcc
	flat_load_dword v7, v[34:35]
	s_or_b64 exec, exec, s[0:1]
                                        ; implicit-def: $vgpr22
	s_and_saveexec_b64 s[0:1], s[20:21]
	s_cbranch_execz .LBB1096_45
.LBB1096_68:
	v_mov_b32_e32 v22, s49
	v_add_co_u32_e32 v34, vcc, s48, v24
	v_addc_co_u32_e32 v35, vcc, 0, v22, vcc
	flat_load_dword v22, v[34:35]
	s_or_b64 exec, exec, s[0:1]
                                        ; implicit-def: $vgpr24
	s_and_saveexec_b64 s[0:1], s[22:23]
	s_cbranch_execz .LBB1096_46
.LBB1096_69:
	v_mov_b32_e32 v33, s49
	v_add_co_u32_e32 v24, vcc, s48, v25
	v_addc_co_u32_e32 v25, vcc, 0, v33, vcc
	flat_load_dword v24, v[24:25]
	s_or_b64 exec, exec, s[0:1]
                                        ; implicit-def: $vgpr25
	s_and_saveexec_b64 s[0:1], s[24:25]
	s_cbranch_execz .LBB1096_47
.LBB1096_70:
	v_mov_b32_e32 v25, s49
	v_add_co_u32_e32 v34, vcc, s48, v26
	v_addc_co_u32_e32 v35, vcc, 0, v25, vcc
	flat_load_dword v25, v[34:35]
	s_or_b64 exec, exec, s[0:1]
                                        ; implicit-def: $vgpr26
	s_and_saveexec_b64 s[0:1], s[26:27]
	s_cbranch_execnz .LBB1096_48
	s_branch .LBB1096_49
.LBB1096_71:
                                        ; implicit-def: $sgpr0_sgpr1
                                        ; implicit-def: $vgpr66
                                        ; implicit-def: $vgpr67
                                        ; implicit-def: $vgpr68
                                        ; implicit-def: $vgpr69
                                        ; implicit-def: $vgpr70
                                        ; implicit-def: $vgpr71
                                        ; implicit-def: $vgpr72
                                        ; implicit-def: $vgpr73
                                        ; implicit-def: $vgpr74
                                        ; implicit-def: $vgpr75
                                        ; implicit-def: $vgpr76
                                        ; implicit-def: $vgpr77
                                        ; implicit-def: $vgpr78
                                        ; implicit-def: $vgpr79
	s_cbranch_execz .LBB1096_55
; %bb.72:
	v_cmp_ne_u32_e32 vcc, v21, v30
	v_cndmask_b32_e64 v79, 0, 1, vcc
	v_cmp_ne_u32_e32 vcc, v21, v31
	v_cndmask_b32_e64 v78, 0, 1, vcc
	;; [unrolled: 2-line block ×13, first 2 shown]
	v_cmp_ne_u32_e32 vcc, v9, v1
	v_lshlrev_b32_e32 v7, 2, v0
	v_cndmask_b32_e64 v66, 0, 1, vcc
	v_cmp_ne_u32_e32 vcc, 0, v0
	ds_write_b32 v7, v1
	s_waitcnt lgkmcnt(0)
	s_barrier
	s_waitcnt lgkmcnt(0)
                                        ; implicit-def: $sgpr0_sgpr1
	s_and_saveexec_b64 s[4:5], vcc
	s_xor_b64 s[4:5], exec, s[4:5]
	s_cbranch_execz .LBB1096_74
; %bb.73:
	v_add_u32_e32 v2, -4, v7
	ds_read_b32 v2, v2
	s_or_b64 s[48:49], s[48:49], exec
	s_waitcnt lgkmcnt(0)
	v_cmp_ne_u32_e32 vcc, v2, v20
	s_and_b64 s[0:1], vcc, exec
.LBB1096_74:
	s_or_b64 exec, exec, s[4:5]
	s_mov_b32 s8, 1
	s_branch .LBB1096_83
.LBB1096_75:
	s_mul_hi_u32 s1, s38, 0xfffff100
	s_mul_i32 s0, s39, 0xfffff100
	s_sub_i32 s1, s1, s38
	s_add_i32 s1, s1, s0
	s_mul_i32 s0, s38, 0xfffff100
	s_add_u32 s38, s0, s56
	s_addc_u32 s39, s1, s57
	s_and_b64 vcc, exec, s[2:3]
	v_cmp_ne_u32_e64 s[28:29], v9, v1
	v_cmp_ne_u32_e64 s[26:27], v8, v9
	;; [unrolled: 1-line block ×14, first 2 shown]
	v_mad_u32_u24 v2, v0, 15, 14
	v_mad_u32_u24 v56, v0, 15, 13
	;; [unrolled: 1-line block ×14, first 2 shown]
	v_cmp_ne_u32_e64 s[8:9], 0, v0
	s_cbranch_vccz .LBB1096_80
; %bb.76:
	v_mov_b32_e32 v3, s62
	v_add_co_u32_e64 v58, vcc, -4, s7
	v_addc_co_u32_e32 v59, vcc, -1, v3, vcc
	flat_load_dword v60, v[58:59]
	v_mov_b32_e32 v3, 0
	v_cmp_gt_u64_e32 vcc, s[38:39], v[2:3]
	v_mov_b32_e32 v57, v3
	s_and_b64 s[28:29], vcc, s[28:29]
	v_cmp_gt_u64_e32 vcc, s[38:39], v[56:57]
	v_mov_b32_e32 v55, v3
	s_and_b64 s[26:27], vcc, s[26:27]
	;; [unrolled: 3-line block ×13, first 2 shown]
	v_cmp_gt_u64_e32 vcc, s[38:39], v[4:5]
	v_lshlrev_b32_e32 v59, 2, v0
	v_mul_u32_u24_e32 v58, 15, v0
	s_and_b64 s[0:1], vcc, s[0:1]
	ds_write_b32 v59, v1
	s_waitcnt lgkmcnt(0)
	s_barrier
	s_and_saveexec_b64 s[40:41], s[8:9]
	s_cbranch_execz .LBB1096_78
; %bb.77:
	v_add_u32_e32 v5, -4, v59
	s_waitcnt vmcnt(0)
	ds_read_b32 v60, v5
.LBB1096_78:
	s_or_b64 exec, exec, s[40:41]
	v_mov_b32_e32 v59, v3
	v_cndmask_b32_e64 v79, 0, 1, s[0:1]
	v_cmp_gt_u64_e32 vcc, s[38:39], v[58:59]
	s_waitcnt vmcnt(0) lgkmcnt(0)
	v_cmp_ne_u32_e64 s[0:1], v60, v20
	v_cndmask_b32_e64 v66, 0, 1, s[28:29]
	v_cndmask_b32_e64 v67, 0, 1, s[26:27]
	;; [unrolled: 1-line block ×13, first 2 shown]
	s_and_b64 s[0:1], vcc, s[0:1]
	s_mov_b64 s[48:49], -1
.LBB1096_79:
                                        ; implicit-def: $sgpr8
	v_mov_b32_e32 v81, s8
	s_and_saveexec_b64 s[2:3], s[48:49]
	s_cbranch_execnz .LBB1096_84
	s_branch .LBB1096_85
.LBB1096_80:
                                        ; implicit-def: $sgpr0_sgpr1
                                        ; implicit-def: $vgpr66
                                        ; implicit-def: $vgpr67
                                        ; implicit-def: $vgpr68
                                        ; implicit-def: $vgpr69
                                        ; implicit-def: $vgpr70
                                        ; implicit-def: $vgpr71
                                        ; implicit-def: $vgpr72
                                        ; implicit-def: $vgpr73
                                        ; implicit-def: $vgpr74
                                        ; implicit-def: $vgpr75
                                        ; implicit-def: $vgpr76
                                        ; implicit-def: $vgpr77
                                        ; implicit-def: $vgpr78
                                        ; implicit-def: $vgpr79
	s_cbranch_execz .LBB1096_79
; %bb.81:
	v_mov_b32_e32 v3, 0
	v_cmp_gt_u64_e32 vcc, s[38:39], v[2:3]
	v_cmp_ne_u32_e64 s[0:1], v9, v1
	s_and_b64 s[0:1], vcc, s[0:1]
	v_mov_b32_e32 v57, v3
	v_cndmask_b32_e64 v66, 0, 1, s[0:1]
	v_cmp_gt_u64_e32 vcc, s[38:39], v[56:57]
	v_cmp_ne_u32_e64 s[0:1], v8, v9
	s_and_b64 s[0:1], vcc, s[0:1]
	v_mov_b32_e32 v55, v3
	v_cndmask_b32_e64 v67, 0, 1, s[0:1]
	;; [unrolled: 5-line block ×13, first 2 shown]
	v_cmp_gt_u64_e32 vcc, s[38:39], v[4:5]
	v_cmp_ne_u32_e64 s[0:1], v20, v21
	s_and_b64 s[0:1], vcc, s[0:1]
	v_lshlrev_b32_e32 v58, 2, v0
	s_mov_b32 s8, 1
	v_cndmask_b32_e64 v79, 0, 1, s[0:1]
	v_cmp_ne_u32_e32 vcc, 0, v0
	ds_write_b32 v58, v1
	s_waitcnt lgkmcnt(0)
	s_barrier
	s_waitcnt lgkmcnt(0)
                                        ; implicit-def: $sgpr0_sgpr1
	s_and_saveexec_b64 s[2:3], vcc
	s_cbranch_execz .LBB1096_188
; %bb.82:
	v_add_u32_e32 v2, -4, v58
	ds_read_b32 v4, v2
	v_mul_u32_u24_e32 v2, 15, v0
	v_cmp_gt_u64_e32 vcc, s[38:39], v[2:3]
	s_or_b64 s[48:49], s[48:49], exec
	s_waitcnt lgkmcnt(0)
	v_cmp_ne_u32_e64 s[0:1], v4, v20
	s_and_b64 s[0:1], vcc, s[0:1]
	s_and_b64 s[0:1], s[0:1], exec
	s_or_b64 exec, exec, s[2:3]
.LBB1096_83:
	v_mov_b32_e32 v81, s8
	s_and_saveexec_b64 s[2:3], s[48:49]
.LBB1096_84:
	v_cndmask_b32_e64 v81, 0, 1, s[0:1]
.LBB1096_85:
	s_or_b64 exec, exec, s[2:3]
	s_cmp_eq_u64 s[46:47], 0
	v_add3_u32 v2, v79, v81, v78
	s_cselect_b64 s[38:39], -1, 0
	s_cmp_lg_u32 s6, 0
	v_cmp_eq_u32_e64 s[24:25], 0, v79
	v_cmp_eq_u32_e64 s[22:23], 0, v78
	;; [unrolled: 1-line block ×3, first 2 shown]
	v_add3_u32 v86, v2, v77, v76
	v_cmp_eq_u32_e64 s[18:19], 0, v76
	v_cmp_eq_u32_e64 s[16:17], 0, v75
	;; [unrolled: 1-line block ×10, first 2 shown]
	v_cmp_eq_u32_e32 vcc, 0, v66
	v_mbcnt_lo_u32_b32 v85, -1, 0
	v_lshrrev_b32_e32 v83, 6, v0
	v_or_b32_e32 v84, 63, v0
	s_cbranch_scc0 .LBB1096_112
; %bb.86:
	v_cndmask_b32_e64 v2, 0, v40, s[24:25]
	v_add_u32_e32 v2, v2, v41
	v_cndmask_b32_e64 v2, 0, v2, s[22:23]
	v_add_u32_e32 v2, v2, v34
	;; [unrolled: 2-line block ×11, first 2 shown]
	v_cndmask_b32_e64 v2, 0, v2, s[2:3]
	v_add3_u32 v3, v86, v75, v74
	v_add_u32_e32 v2, v2, v22
	v_add3_u32 v3, v3, v73, v72
	v_cndmask_b32_e64 v2, 0, v2, s[0:1]
	v_add3_u32 v3, v3, v71, v70
	v_add_u32_e32 v2, v2, v23
	v_add3_u32 v3, v3, v69, v68
	v_cndmask_b32_e32 v2, 0, v2, vcc
	v_add3_u32 v3, v3, v67, v66
	v_add_u32_e32 v2, v2, v82
	v_mbcnt_hi_u32_b32 v37, -1, v85
	v_and_b32_e32 v4, 15, v37
	v_mov_b32_dpp v6, v2 row_shr:1 row_mask:0xf bank_mask:0xf
	v_cmp_eq_u32_e32 vcc, 0, v3
	v_mov_b32_dpp v5, v3 row_shr:1 row_mask:0xf bank_mask:0xf
	v_cndmask_b32_e32 v6, 0, v6, vcc
	v_cmp_eq_u32_e32 vcc, 0, v4
	v_cndmask_b32_e64 v5, v5, 0, vcc
	v_add_u32_e32 v3, v5, v3
	v_cndmask_b32_e64 v5, v6, 0, vcc
	v_add_u32_e32 v2, v5, v2
	v_cmp_eq_u32_e32 vcc, 0, v3
	v_mov_b32_dpp v5, v3 row_shr:2 row_mask:0xf bank_mask:0xf
	v_cmp_lt_u32_e64 s[26:27], 1, v4
	v_mov_b32_dpp v6, v2 row_shr:2 row_mask:0xf bank_mask:0xf
	v_cndmask_b32_e64 v5, 0, v5, s[26:27]
	s_and_b64 vcc, s[26:27], vcc
	v_cndmask_b32_e32 v6, 0, v6, vcc
	v_add_u32_e32 v3, v3, v5
	v_add_u32_e32 v2, v6, v2
	v_cmp_eq_u32_e32 vcc, 0, v3
	v_mov_b32_dpp v5, v3 row_shr:4 row_mask:0xf bank_mask:0xf
	v_cmp_lt_u32_e64 s[26:27], 3, v4
	v_mov_b32_dpp v6, v2 row_shr:4 row_mask:0xf bank_mask:0xf
	v_cndmask_b32_e64 v5, 0, v5, s[26:27]
	s_and_b64 vcc, s[26:27], vcc
	v_cndmask_b32_e32 v6, 0, v6, vcc
	v_add_u32_e32 v3, v5, v3
	v_add_u32_e32 v2, v2, v6
	v_cmp_eq_u32_e32 vcc, 0, v3
	v_cmp_lt_u32_e64 s[26:27], 7, v4
	v_mov_b32_dpp v5, v3 row_shr:8 row_mask:0xf bank_mask:0xf
	v_mov_b32_dpp v6, v2 row_shr:8 row_mask:0xf bank_mask:0xf
	s_and_b64 vcc, s[26:27], vcc
	v_cndmask_b32_e64 v4, 0, v5, s[26:27]
	v_cndmask_b32_e32 v5, 0, v6, vcc
	v_add_u32_e32 v2, v5, v2
	v_add_u32_e32 v3, v4, v3
	v_bfe_i32 v6, v37, 4, 1
	v_mov_b32_dpp v5, v2 row_bcast:15 row_mask:0xf bank_mask:0xf
	v_mov_b32_dpp v4, v3 row_bcast:15 row_mask:0xf bank_mask:0xf
	v_cmp_eq_u32_e32 vcc, 0, v3
	v_cndmask_b32_e32 v5, 0, v5, vcc
	v_and_b32_e32 v4, v6, v4
	v_add_u32_e32 v3, v4, v3
	v_and_b32_e32 v4, v6, v5
	v_add_u32_e32 v4, v4, v2
	v_mov_b32_dpp v2, v3 row_bcast:31 row_mask:0xf bank_mask:0xf
	v_cmp_eq_u32_e32 vcc, 0, v3
	v_cmp_lt_u32_e64 s[26:27], 31, v37
	v_mov_b32_dpp v5, v4 row_bcast:31 row_mask:0xf bank_mask:0xf
	v_cndmask_b32_e64 v2, 0, v2, s[26:27]
	s_and_b64 vcc, s[26:27], vcc
	v_add_u32_e32 v2, v2, v3
	v_cndmask_b32_e32 v3, 0, v5, vcc
	v_add_u32_e32 v3, v3, v4
	v_cmp_eq_u32_e32 vcc, v84, v0
	v_lshlrev_b32_e32 v4, 3, v83
	s_and_saveexec_b64 s[26:27], vcc
	s_cbranch_execz .LBB1096_88
; %bb.87:
	ds_write_b64 v4, v[2:3] offset:2064
.LBB1096_88:
	s_or_b64 exec, exec, s[26:27]
	v_cmp_gt_u32_e32 vcc, 4, v0
	s_waitcnt lgkmcnt(0)
	s_barrier
	s_and_saveexec_b64 s[30:31], vcc
	s_cbranch_execz .LBB1096_90
; %bb.89:
	v_lshlrev_b32_e32 v5, 3, v0
	ds_read_b64 v[6:7], v5 offset:2064
	v_and_b32_e32 v30, 3, v37
	v_cmp_lt_u32_e64 s[26:27], 1, v30
	s_waitcnt lgkmcnt(0)
	v_mov_b32_dpp v36, v7 row_shr:1 row_mask:0xf bank_mask:0xf
	v_cmp_eq_u32_e32 vcc, 0, v6
	v_mov_b32_dpp v31, v6 row_shr:1 row_mask:0xf bank_mask:0xf
	v_cndmask_b32_e32 v36, 0, v36, vcc
	v_cmp_eq_u32_e32 vcc, 0, v30
	v_cndmask_b32_e64 v31, v31, 0, vcc
	v_add_u32_e32 v6, v31, v6
	v_cndmask_b32_e64 v31, v36, 0, vcc
	v_add_u32_e32 v7, v31, v7
	v_cmp_eq_u32_e32 vcc, 0, v6
	v_mov_b32_dpp v31, v6 row_shr:2 row_mask:0xf bank_mask:0xf
	v_mov_b32_dpp v36, v7 row_shr:2 row_mask:0xf bank_mask:0xf
	v_cndmask_b32_e64 v30, 0, v31, s[26:27]
	s_and_b64 vcc, s[26:27], vcc
	v_add_u32_e32 v6, v30, v6
	v_cndmask_b32_e32 v30, 0, v36, vcc
	v_add_u32_e32 v7, v30, v7
	ds_write_b64 v5, v[6:7] offset:2064
.LBB1096_90:
	s_or_b64 exec, exec, s[30:31]
	v_cmp_gt_u32_e32 vcc, 64, v0
	v_cmp_lt_u32_e64 s[26:27], 63, v0
	v_mov_b32_e32 v30, 0
	v_mov_b32_e32 v31, 0
	s_waitcnt lgkmcnt(0)
	s_barrier
	s_and_saveexec_b64 s[30:31], s[26:27]
	s_cbranch_execz .LBB1096_92
; %bb.91:
	ds_read_b64 v[30:31], v4 offset:2056
	v_cmp_eq_u32_e64 s[26:27], 0, v2
	s_waitcnt lgkmcnt(0)
	v_add_u32_e32 v4, v30, v2
	v_cndmask_b32_e64 v2, 0, v31, s[26:27]
	v_add_u32_e32 v3, v2, v3
	v_mov_b32_e32 v2, v4
.LBB1096_92:
	s_or_b64 exec, exec, s[30:31]
	v_add_u32_e32 v4, -1, v37
	v_and_b32_e32 v5, 64, v37
	v_cmp_lt_i32_e64 s[26:27], v4, v5
	v_cndmask_b32_e64 v4, v4, v37, s[26:27]
	v_lshlrev_b32_e32 v4, 2, v4
	ds_bpermute_b32 v44, v4, v2
	ds_bpermute_b32 v45, v4, v3
	v_cmp_eq_u32_e64 s[26:27], 0, v37
	s_and_saveexec_b64 s[40:41], vcc
	s_cbranch_execz .LBB1096_111
; %bb.93:
	v_mov_b32_e32 v7, 0
	ds_read_b64 v[2:3], v7 offset:2088
	s_waitcnt lgkmcnt(0)
	v_readfirstlane_b32 s7, v2
	v_readfirstlane_b32 s48, v3
	s_and_saveexec_b64 s[30:31], s[26:27]
	s_cbranch_execz .LBB1096_95
; %bb.94:
	s_add_i32 s46, s6, 64
	s_mov_b32 s47, 0
	s_lshl_b64 s[50:51], s[46:47], 4
	s_add_u32 s50, s44, s50
	s_addc_u32 s51, s45, s51
	s_and_b32 s57, s48, 0xff000000
	s_mov_b32 s56, s47
	s_and_b32 s63, s48, 0xff0000
	s_mov_b32 s62, s47
	s_or_b64 s[56:57], s[62:63], s[56:57]
	s_and_b32 s63, s48, 0xff00
	s_or_b64 s[56:57], s[56:57], s[62:63]
	s_and_b32 s63, s48, 0xff
	s_or_b64 s[46:47], s[56:57], s[62:63]
	v_mov_b32_e32 v4, s7
	v_mov_b32_e32 v5, s47
	;; [unrolled: 1-line block ×3, first 2 shown]
	v_pk_mov_b32 v[2:3], s[50:51], s[50:51] op_sel:[0,1]
	;;#ASMSTART
	global_store_dwordx4 v[2:3], v[4:7] off	
s_waitcnt vmcnt(0)
	;;#ASMEND
.LBB1096_95:
	s_or_b64 exec, exec, s[30:31]
	v_xad_u32 v36, v37, -1, s6
	v_add_u32_e32 v6, 64, v36
	v_lshlrev_b64 v[2:3], 4, v[6:7]
	v_mov_b32_e32 v4, s45
	v_add_co_u32_e32 v38, vcc, s44, v2
	v_addc_co_u32_e32 v39, vcc, v4, v3, vcc
	;;#ASMSTART
	global_load_dwordx4 v[2:5], v[38:39] off glc	
s_waitcnt vmcnt(0)
	;;#ASMEND
	v_and_b32_e32 v5, 0xff, v3
	v_and_b32_e32 v6, 0xff00, v3
	;; [unrolled: 1-line block ×3, first 2 shown]
	v_or3_b32 v5, 0, v5, v6
	v_or3_b32 v2, v2, 0, 0
	v_and_b32_e32 v3, 0xff000000, v3
	v_or3_b32 v3, v5, v42, v3
	v_or3_b32 v2, v2, 0, 0
	v_cmp_eq_u16_sdwa s[46:47], v4, v7 src0_sel:BYTE_0 src1_sel:DWORD
	s_and_saveexec_b64 s[30:31], s[46:47]
	s_cbranch_execz .LBB1096_99
; %bb.96:
	s_mov_b64 s[46:47], 0
	v_mov_b32_e32 v6, 0
.LBB1096_97:                            ; =>This Inner Loop Header: Depth=1
	;;#ASMSTART
	global_load_dwordx4 v[2:5], v[38:39] off glc	
s_waitcnt vmcnt(0)
	;;#ASMEND
	v_cmp_ne_u16_sdwa s[50:51], v4, v6 src0_sel:BYTE_0 src1_sel:DWORD
	s_or_b64 s[46:47], s[50:51], s[46:47]
	s_andn2_b64 exec, exec, s[46:47]
	s_cbranch_execnz .LBB1096_97
; %bb.98:
	s_or_b64 exec, exec, s[46:47]
.LBB1096_99:
	s_or_b64 exec, exec, s[30:31]
	v_mov_b32_e32 v46, 2
	v_cmp_eq_u16_sdwa s[30:31], v4, v46 src0_sel:BYTE_0 src1_sel:DWORD
	v_lshlrev_b64 v[38:39], v37, -1
	v_and_b32_e32 v5, s31, v39
	v_and_b32_e32 v47, 63, v37
	v_or_b32_e32 v5, 0x80000000, v5
	v_cmp_ne_u32_e32 vcc, 63, v47
	v_and_b32_e32 v6, s30, v38
	v_ffbl_b32_e32 v5, v5
	v_addc_co_u32_e32 v7, vcc, 0, v37, vcc
	v_add_u32_e32 v5, 32, v5
	v_ffbl_b32_e32 v6, v6
	v_lshlrev_b32_e32 v48, 2, v7
	v_min_u32_e32 v5, v6, v5
	ds_bpermute_b32 v6, v48, v3
	v_cmp_eq_u32_e32 vcc, 0, v2
	v_cmp_lt_u32_e64 s[30:31], v47, v5
	ds_bpermute_b32 v7, v48, v2
	s_and_b64 vcc, s[30:31], vcc
	s_waitcnt lgkmcnt(1)
	v_cndmask_b32_e32 v6, 0, v6, vcc
	v_cmp_gt_u32_e32 vcc, 62, v47
	v_add_u32_e32 v3, v6, v3
	v_cndmask_b32_e64 v6, 0, 1, vcc
	v_lshlrev_b32_e32 v6, 1, v6
	v_add_lshl_u32 v49, v6, v37, 2
	s_waitcnt lgkmcnt(0)
	v_cndmask_b32_e64 v7, 0, v7, s[30:31]
	ds_bpermute_b32 v6, v49, v3
	v_add_u32_e32 v2, v7, v2
	ds_bpermute_b32 v7, v49, v2
	v_add_u32_e32 v50, 2, v47
	v_cmp_eq_u32_e32 vcc, 0, v2
	s_waitcnt lgkmcnt(1)
	v_cndmask_b32_e32 v6, 0, v6, vcc
	v_cmp_gt_u32_e32 vcc, v50, v5
	v_cndmask_b32_e64 v6, v6, 0, vcc
	v_add_u32_e32 v3, v6, v3
	s_waitcnt lgkmcnt(0)
	v_cndmask_b32_e64 v6, v7, 0, vcc
	v_cmp_gt_u32_e32 vcc, 60, v47
	v_cndmask_b32_e64 v7, 0, 1, vcc
	v_lshlrev_b32_e32 v7, 2, v7
	v_add_lshl_u32 v51, v7, v37, 2
	ds_bpermute_b32 v7, v51, v3
	v_add_u32_e32 v2, v2, v6
	ds_bpermute_b32 v6, v51, v2
	v_add_u32_e32 v52, 4, v47
	v_cmp_eq_u32_e32 vcc, 0, v2
	s_waitcnt lgkmcnt(1)
	v_cndmask_b32_e32 v7, 0, v7, vcc
	v_cmp_gt_u32_e32 vcc, v52, v5
	v_cndmask_b32_e64 v7, v7, 0, vcc
	s_waitcnt lgkmcnt(0)
	v_cndmask_b32_e64 v6, v6, 0, vcc
	v_cmp_gt_u32_e32 vcc, 56, v47
	v_add_u32_e32 v3, v3, v7
	v_cndmask_b32_e64 v7, 0, 1, vcc
	v_lshlrev_b32_e32 v7, 3, v7
	v_add_lshl_u32 v53, v7, v37, 2
	ds_bpermute_b32 v7, v53, v3
	v_add_u32_e32 v2, v2, v6
	ds_bpermute_b32 v6, v53, v2
	v_add_u32_e32 v54, 8, v47
	v_cmp_eq_u32_e32 vcc, 0, v2
	s_waitcnt lgkmcnt(1)
	v_cndmask_b32_e32 v7, 0, v7, vcc
	v_cmp_gt_u32_e32 vcc, v54, v5
	v_cndmask_b32_e64 v7, v7, 0, vcc
	s_waitcnt lgkmcnt(0)
	v_cndmask_b32_e64 v6, v6, 0, vcc
	v_cmp_gt_u32_e32 vcc, 48, v47
	v_add_u32_e32 v3, v3, v7
	;; [unrolled: 16-line block ×3, first 2 shown]
	v_cndmask_b32_e64 v7, 0, 1, vcc
	v_lshlrev_b32_e32 v7, 5, v7
	v_add_lshl_u32 v57, v7, v37, 2
	ds_bpermute_b32 v7, v57, v3
	v_add_u32_e32 v2, v2, v6
	ds_bpermute_b32 v6, v57, v2
	v_add_u32_e32 v58, 32, v47
	v_cmp_eq_u32_e32 vcc, 0, v2
	s_waitcnt lgkmcnt(1)
	v_cndmask_b32_e32 v7, 0, v7, vcc
	v_cmp_gt_u32_e32 vcc, v58, v5
	v_cndmask_b32_e64 v5, v7, 0, vcc
	v_add_u32_e32 v3, v5, v3
	s_waitcnt lgkmcnt(0)
	v_cndmask_b32_e64 v5, v6, 0, vcc
	v_add_u32_e32 v2, v5, v2
	v_mov_b32_e32 v37, 0
	s_branch .LBB1096_101
.LBB1096_100:                           ;   in Loop: Header=BB1096_101 Depth=1
	s_or_b64 exec, exec, s[30:31]
	v_cmp_eq_u16_sdwa s[30:31], v4, v46 src0_sel:BYTE_0 src1_sel:DWORD
	v_and_b32_e32 v5, s31, v39
	v_or_b32_e32 v5, 0x80000000, v5
	v_and_b32_e32 v42, s30, v38
	v_ffbl_b32_e32 v5, v5
	v_add_u32_e32 v5, 32, v5
	v_ffbl_b32_e32 v42, v42
	v_min_u32_e32 v5, v42, v5
	ds_bpermute_b32 v42, v48, v3
	v_cmp_eq_u32_e32 vcc, 0, v2
	v_cmp_lt_u32_e64 s[30:31], v47, v5
	ds_bpermute_b32 v43, v48, v2
	s_and_b64 vcc, s[30:31], vcc
	s_waitcnt lgkmcnt(1)
	v_cndmask_b32_e32 v42, 0, v42, vcc
	v_add_u32_e32 v3, v42, v3
	ds_bpermute_b32 v42, v49, v3
	s_waitcnt lgkmcnt(1)
	v_cndmask_b32_e64 v43, 0, v43, s[30:31]
	v_add_u32_e32 v2, v43, v2
	v_cmp_eq_u32_e32 vcc, 0, v2
	ds_bpermute_b32 v43, v49, v2
	s_waitcnt lgkmcnt(1)
	v_cndmask_b32_e32 v42, 0, v42, vcc
	v_cmp_gt_u32_e32 vcc, v50, v5
	v_cndmask_b32_e64 v42, v42, 0, vcc
	v_add_u32_e32 v3, v42, v3
	ds_bpermute_b32 v42, v51, v3
	s_waitcnt lgkmcnt(1)
	v_cndmask_b32_e64 v43, v43, 0, vcc
	v_add_u32_e32 v2, v2, v43
	v_cmp_eq_u32_e32 vcc, 0, v2
	ds_bpermute_b32 v43, v51, v2
	s_waitcnt lgkmcnt(1)
	v_cndmask_b32_e32 v42, 0, v42, vcc
	v_cmp_gt_u32_e32 vcc, v52, v5
	v_cndmask_b32_e64 v42, v42, 0, vcc
	v_add_u32_e32 v3, v3, v42
	ds_bpermute_b32 v42, v53, v3
	s_waitcnt lgkmcnt(1)
	v_cndmask_b32_e64 v43, v43, 0, vcc
	v_add_u32_e32 v2, v2, v43
	ds_bpermute_b32 v43, v53, v2
	v_cmp_eq_u32_e32 vcc, 0, v2
	s_waitcnt lgkmcnt(1)
	v_cndmask_b32_e32 v42, 0, v42, vcc
	v_cmp_gt_u32_e32 vcc, v54, v5
	v_cndmask_b32_e64 v42, v42, 0, vcc
	v_add_u32_e32 v3, v3, v42
	ds_bpermute_b32 v42, v55, v3
	s_waitcnt lgkmcnt(1)
	v_cndmask_b32_e64 v43, v43, 0, vcc
	v_add_u32_e32 v2, v2, v43
	ds_bpermute_b32 v43, v55, v2
	v_cmp_eq_u32_e32 vcc, 0, v2
	;; [unrolled: 11-line block ×3, first 2 shown]
	s_waitcnt lgkmcnt(1)
	v_cndmask_b32_e32 v42, 0, v42, vcc
	v_cmp_gt_u32_e32 vcc, v58, v5
	v_cndmask_b32_e64 v5, v42, 0, vcc
	v_add_u32_e32 v3, v5, v3
	s_waitcnt lgkmcnt(0)
	v_cndmask_b32_e64 v5, v43, 0, vcc
	v_cmp_eq_u32_e32 vcc, 0, v6
	v_cndmask_b32_e32 v3, 0, v3, vcc
	v_subrev_u32_e32 v36, 64, v36
	v_add3_u32 v2, v2, v6, v5
	v_add_u32_e32 v3, v3, v7
.LBB1096_101:                           ; =>This Loop Header: Depth=1
                                        ;     Child Loop BB1096_104 Depth 2
	v_cmp_ne_u16_sdwa s[30:31], v4, v46 src0_sel:BYTE_0 src1_sel:DWORD
	v_mov_b32_e32 v7, v3
	v_cndmask_b32_e64 v3, 0, 1, s[30:31]
	;;#ASMSTART
	;;#ASMEND
	v_cmp_ne_u32_e32 vcc, 0, v3
	s_cmp_lg_u64 vcc, exec
	v_mov_b32_e32 v6, v2
	s_cbranch_scc1 .LBB1096_106
; %bb.102:                              ;   in Loop: Header=BB1096_101 Depth=1
	v_lshlrev_b64 v[2:3], 4, v[36:37]
	v_mov_b32_e32 v4, s45
	v_add_co_u32_e32 v42, vcc, s44, v2
	v_addc_co_u32_e32 v43, vcc, v4, v3, vcc
	;;#ASMSTART
	global_load_dwordx4 v[2:5], v[42:43] off glc	
s_waitcnt vmcnt(0)
	;;#ASMEND
	v_and_b32_e32 v5, 0xff, v3
	v_and_b32_e32 v59, 0xff00, v3
	;; [unrolled: 1-line block ×3, first 2 shown]
	v_or3_b32 v5, 0, v5, v59
	v_or3_b32 v2, v2, 0, 0
	v_and_b32_e32 v3, 0xff000000, v3
	v_or3_b32 v3, v5, v60, v3
	v_or3_b32 v2, v2, 0, 0
	v_cmp_eq_u16_sdwa s[46:47], v4, v37 src0_sel:BYTE_0 src1_sel:DWORD
	s_and_saveexec_b64 s[30:31], s[46:47]
	s_cbranch_execz .LBB1096_100
; %bb.103:                              ;   in Loop: Header=BB1096_101 Depth=1
	s_mov_b64 s[46:47], 0
.LBB1096_104:                           ;   Parent Loop BB1096_101 Depth=1
                                        ; =>  This Inner Loop Header: Depth=2
	;;#ASMSTART
	global_load_dwordx4 v[2:5], v[42:43] off glc	
s_waitcnt vmcnt(0)
	;;#ASMEND
	v_cmp_ne_u16_sdwa s[50:51], v4, v37 src0_sel:BYTE_0 src1_sel:DWORD
	s_or_b64 s[46:47], s[50:51], s[46:47]
	s_andn2_b64 exec, exec, s[46:47]
	s_cbranch_execnz .LBB1096_104
; %bb.105:                              ;   in Loop: Header=BB1096_101 Depth=1
	s_or_b64 exec, exec, s[46:47]
	s_branch .LBB1096_100
.LBB1096_106:                           ;   in Loop: Header=BB1096_101 Depth=1
                                        ; implicit-def: $vgpr3
                                        ; implicit-def: $vgpr2
                                        ; implicit-def: $vgpr4
	s_cbranch_execz .LBB1096_101
; %bb.107:
	s_and_saveexec_b64 s[30:31], s[26:27]
	s_cbranch_execz .LBB1096_109
; %bb.108:
	s_cmp_eq_u32 s7, 0
	s_cselect_b64 vcc, -1, 0
	s_mov_b32 s47, 0
	v_cndmask_b32_e32 v2, 0, v7, vcc
	s_add_i32 s46, s6, 64
	v_add_u32_e32 v2, s48, v2
	s_lshl_b64 s[46:47], s[46:47], 4
	s_add_u32 s46, s44, s46
	v_and_b32_e32 v3, 0xff000000, v2
	v_and_b32_e32 v4, 0xff0000, v2
	s_addc_u32 s47, s45, s47
	v_or_b32_e32 v3, v4, v3
	v_and_b32_e32 v4, 0xff00, v2
	v_and_b32_e32 v2, 0xff, v2
	v_add_u32_e32 v36, s7, v6
	v_mov_b32_e32 v39, 0
	v_or3_b32 v37, v3, v4, v2
	v_mov_b32_e32 v38, 2
	v_pk_mov_b32 v[2:3], s[46:47], s[46:47] op_sel:[0,1]
	;;#ASMSTART
	global_store_dwordx4 v[2:3], v[36:39] off	
s_waitcnt vmcnt(0)
	;;#ASMEND
	v_mov_b32_e32 v4, s7
	v_mov_b32_e32 v5, s48
	ds_write_b128 v39, v[4:7] offset:2048
.LBB1096_109:
	s_or_b64 exec, exec, s[30:31]
	v_cmp_eq_u32_e32 vcc, 0, v0
	s_and_b64 exec, exec, vcc
	s_cbranch_execz .LBB1096_111
; %bb.110:
	v_mov_b32_e32 v2, 0
	ds_write_b64 v2, v[6:7] offset:2088
.LBB1096_111:
	s_or_b64 exec, exec, s[40:41]
	v_mov_b32_e32 v4, 0
	s_waitcnt lgkmcnt(0)
	s_barrier
	ds_read_b64 v[2:3], v4 offset:2088
	v_cndmask_b32_e64 v6, v44, v30, s[26:27]
	v_cmp_eq_u32_e32 vcc, 0, v6
	v_cndmask_b32_e64 v5, v45, v31, s[26:27]
	s_waitcnt lgkmcnt(0)
	v_cndmask_b32_e32 v7, 0, v3, vcc
	v_add_u32_e32 v5, v7, v5
	v_cmp_eq_u32_e32 vcc, 0, v0
	v_cndmask_b32_e32 v65, v5, v3, vcc
	v_cndmask_b32_e64 v3, v6, 0, vcc
	v_cmp_eq_u32_e32 vcc, 0, v81
	v_add_u32_e32 v64, v2, v3
	v_cndmask_b32_e32 v2, 0, v65, vcc
	v_add_u32_e32 v63, v2, v40
	v_cndmask_b32_e64 v2, 0, v63, s[24:25]
	v_add_u32_e32 v61, v2, v41
	v_cndmask_b32_e64 v2, 0, v61, s[22:23]
	;; [unrolled: 2-line block ×8, first 2 shown]
	v_add_u32_e32 v62, v64, v81
	v_add_u32_e32 v47, v2, v26
	v_add_u32_e32 v60, v62, v79
	v_cndmask_b32_e64 v2, 0, v47, s[8:9]
	v_add_u32_e32 v58, v60, v78
	v_add_u32_e32 v45, v2, v27
	v_add_u32_e32 v56, v58, v77
	v_cndmask_b32_e64 v2, 0, v45, s[28:29]
	;; [unrolled: 4-line block ×3, first 2 shown]
	v_add_u32_e32 v50, v52, v74
	v_add_u32_e32 v39, v2, v25
	s_barrier
	ds_read_b128 v[2:5], v4 offset:2048
	v_add_u32_e32 v48, v50, v73
	v_add_u32_e32 v46, v48, v72
	;; [unrolled: 1-line block ×4, first 2 shown]
	v_cndmask_b32_e64 v6, 0, v39, s[2:3]
	v_add_u32_e32 v38, v42, v69
	v_add_u32_e32 v37, v6, v22
	s_waitcnt lgkmcnt(0)
	v_cmp_eq_u32_e32 vcc, 0, v2
	v_add_u32_e32 v36, v38, v68
	v_cndmask_b32_e64 v6, 0, v37, s[0:1]
	v_cndmask_b32_e32 v5, 0, v5, vcc
	v_add_u32_e32 v30, v36, v67
	v_add_u32_e32 v31, v6, v23
	v_add_u32_e32 v80, v5, v3
	s_branch .LBB1096_124
.LBB1096_112:
                                        ; implicit-def: $vgpr2
                                        ; implicit-def: $vgpr80
                                        ; implicit-def: $vgpr64_vgpr65
                                        ; implicit-def: $vgpr62_vgpr63
                                        ; implicit-def: $vgpr60_vgpr61
                                        ; implicit-def: $vgpr58_vgpr59
                                        ; implicit-def: $vgpr56_vgpr57
                                        ; implicit-def: $vgpr54_vgpr55
                                        ; implicit-def: $vgpr52_vgpr53
                                        ; implicit-def: $vgpr50_vgpr51
                                        ; implicit-def: $vgpr48_vgpr49
                                        ; implicit-def: $vgpr46_vgpr47
                                        ; implicit-def: $vgpr44_vgpr45
                                        ; implicit-def: $vgpr42_vgpr43
                                        ; implicit-def: $vgpr38_vgpr39
                                        ; implicit-def: $vgpr36_vgpr37
                                        ; implicit-def: $vgpr30_vgpr31
	s_cbranch_execz .LBB1096_124
; %bb.113:
	s_and_b64 s[0:1], s[38:39], exec
	s_cselect_b32 s1, 0, s61
	s_cselect_b32 s0, 0, s60
	s_cmp_eq_u64 s[0:1], 0
	v_mov_b32_e32 v6, v40
	s_cbranch_scc1 .LBB1096_115
; %bb.114:
	v_mov_b32_e32 v2, 0
	global_load_dword v6, v2, s[0:1]
.LBB1096_115:
	v_cmp_eq_u32_e64 s[0:1], 0, v79
	v_cndmask_b32_e64 v2, 0, v40, s[0:1]
	v_add_u32_e32 v2, v2, v41
	v_cmp_eq_u32_e64 s[2:3], 0, v78
	v_cndmask_b32_e64 v2, 0, v2, s[2:3]
	v_add_u32_e32 v2, v2, v34
	;; [unrolled: 3-line block ×11, first 2 shown]
	v_cmp_eq_u32_e64 s[22:23], 0, v68
	v_cndmask_b32_e64 v2, 0, v2, s[22:23]
	v_add3_u32 v3, v86, v75, v74
	v_add_u32_e32 v2, v2, v22
	v_cmp_eq_u32_e32 vcc, 0, v67
	v_add3_u32 v3, v3, v73, v72
	v_cndmask_b32_e32 v2, 0, v2, vcc
	v_add3_u32 v3, v3, v71, v70
	v_add_u32_e32 v2, v2, v23
	v_cmp_eq_u32_e64 s[24:25], 0, v66
	v_add3_u32 v3, v3, v69, v68
	v_cndmask_b32_e64 v2, 0, v2, s[24:25]
	v_add3_u32 v3, v3, v67, v66
	v_add_u32_e32 v2, v2, v82
	v_mbcnt_hi_u32_b32 v7, -1, v85
	v_and_b32_e32 v4, 15, v7
	v_mov_b32_dpp v30, v2 row_shr:1 row_mask:0xf bank_mask:0xf
	v_cmp_eq_u32_e64 s[24:25], 0, v3
	v_mov_b32_dpp v5, v3 row_shr:1 row_mask:0xf bank_mask:0xf
	v_cndmask_b32_e64 v30, 0, v30, s[24:25]
	v_cmp_eq_u32_e64 s[24:25], 0, v4
	v_cndmask_b32_e64 v5, v5, 0, s[24:25]
	v_add_u32_e32 v3, v5, v3
	v_cndmask_b32_e64 v5, v30, 0, s[24:25]
	v_add_u32_e32 v2, v5, v2
	v_cmp_eq_u32_e64 s[24:25], 0, v3
	v_mov_b32_dpp v5, v3 row_shr:2 row_mask:0xf bank_mask:0xf
	v_cmp_lt_u32_e64 s[26:27], 1, v4
	v_mov_b32_dpp v30, v2 row_shr:2 row_mask:0xf bank_mask:0xf
	v_cndmask_b32_e64 v5, 0, v5, s[26:27]
	s_and_b64 s[24:25], s[26:27], s[24:25]
	v_cndmask_b32_e64 v30, 0, v30, s[24:25]
	v_add_u32_e32 v3, v3, v5
	v_add_u32_e32 v2, v30, v2
	v_cmp_eq_u32_e64 s[24:25], 0, v3
	v_mov_b32_dpp v5, v3 row_shr:4 row_mask:0xf bank_mask:0xf
	v_cmp_lt_u32_e64 s[26:27], 3, v4
	v_mov_b32_dpp v30, v2 row_shr:4 row_mask:0xf bank_mask:0xf
	v_cndmask_b32_e64 v5, 0, v5, s[26:27]
	s_and_b64 s[24:25], s[26:27], s[24:25]
	v_cndmask_b32_e64 v30, 0, v30, s[24:25]
	v_add_u32_e32 v3, v5, v3
	v_add_u32_e32 v2, v2, v30
	v_cmp_eq_u32_e64 s[24:25], 0, v3
	v_cmp_lt_u32_e64 s[26:27], 7, v4
	v_mov_b32_dpp v5, v3 row_shr:8 row_mask:0xf bank_mask:0xf
	v_mov_b32_dpp v30, v2 row_shr:8 row_mask:0xf bank_mask:0xf
	s_and_b64 s[24:25], s[26:27], s[24:25]
	v_cndmask_b32_e64 v4, 0, v5, s[26:27]
	v_cndmask_b32_e64 v5, 0, v30, s[24:25]
	v_add_u32_e32 v2, v5, v2
	v_add_u32_e32 v3, v4, v3
	v_bfe_i32 v30, v7, 4, 1
	v_mov_b32_dpp v5, v2 row_bcast:15 row_mask:0xf bank_mask:0xf
	v_mov_b32_dpp v4, v3 row_bcast:15 row_mask:0xf bank_mask:0xf
	v_cmp_eq_u32_e64 s[24:25], 0, v3
	v_cndmask_b32_e64 v5, 0, v5, s[24:25]
	v_and_b32_e32 v4, v30, v4
	v_add_u32_e32 v3, v4, v3
	v_and_b32_e32 v4, v30, v5
	v_add_u32_e32 v4, v4, v2
	v_mov_b32_dpp v2, v3 row_bcast:31 row_mask:0xf bank_mask:0xf
	v_cmp_eq_u32_e64 s[24:25], 0, v3
	v_cmp_lt_u32_e64 s[26:27], 31, v7
	v_mov_b32_dpp v5, v4 row_bcast:31 row_mask:0xf bank_mask:0xf
	v_cndmask_b32_e64 v2, 0, v2, s[26:27]
	s_and_b64 s[24:25], s[26:27], s[24:25]
	v_add_u32_e32 v2, v2, v3
	v_cndmask_b32_e64 v3, 0, v5, s[24:25]
	v_add_u32_e32 v3, v3, v4
	v_cmp_eq_u32_e64 s[24:25], v84, v0
	v_lshlrev_b32_e32 v5, 3, v83
	s_and_saveexec_b64 s[26:27], s[24:25]
	s_cbranch_execz .LBB1096_117
; %bb.116:
	ds_write_b64 v5, v[2:3] offset:2064
.LBB1096_117:
	s_or_b64 exec, exec, s[26:27]
	v_cmp_gt_u32_e64 s[24:25], 4, v0
	s_waitcnt lgkmcnt(0)
	s_barrier
	s_and_saveexec_b64 s[28:29], s[24:25]
	s_cbranch_execz .LBB1096_119
; %bb.118:
	v_lshlrev_b32_e32 v4, 3, v0
	ds_read_b64 v[30:31], v4 offset:2064
	v_and_b32_e32 v36, 3, v7
	v_cmp_lt_u32_e64 s[26:27], 1, v36
	s_waitcnt lgkmcnt(0)
	v_mov_b32_dpp v38, v31 row_shr:1 row_mask:0xf bank_mask:0xf
	v_cmp_eq_u32_e64 s[24:25], 0, v30
	v_mov_b32_dpp v37, v30 row_shr:1 row_mask:0xf bank_mask:0xf
	v_cndmask_b32_e64 v38, 0, v38, s[24:25]
	v_cmp_eq_u32_e64 s[24:25], 0, v36
	v_cndmask_b32_e64 v37, v37, 0, s[24:25]
	v_add_u32_e32 v30, v37, v30
	v_cndmask_b32_e64 v37, v38, 0, s[24:25]
	v_add_u32_e32 v31, v37, v31
	v_cmp_eq_u32_e64 s[24:25], 0, v30
	v_mov_b32_dpp v37, v30 row_shr:2 row_mask:0xf bank_mask:0xf
	v_mov_b32_dpp v38, v31 row_shr:2 row_mask:0xf bank_mask:0xf
	v_cndmask_b32_e64 v36, 0, v37, s[26:27]
	s_and_b64 s[24:25], s[26:27], s[24:25]
	v_add_u32_e32 v30, v36, v30
	v_cndmask_b32_e64 v36, 0, v38, s[24:25]
	v_add_u32_e32 v31, v36, v31
	ds_write_b64 v4, v[30:31] offset:2064
.LBB1096_119:
	s_or_b64 exec, exec, s[28:29]
	v_cmp_lt_u32_e64 s[24:25], 63, v0
	v_mov_b32_e32 v30, 0
	v_mov_b32_e32 v4, 0
	s_waitcnt vmcnt(0)
	v_mov_b32_e32 v31, v6
	s_waitcnt lgkmcnt(0)
	s_barrier
	s_and_saveexec_b64 s[26:27], s[24:25]
	s_cbranch_execz .LBB1096_121
; %bb.120:
	ds_read_b64 v[4:5], v5 offset:2056
	s_waitcnt lgkmcnt(0)
	v_cmp_eq_u32_e64 s[24:25], 0, v4
	v_cndmask_b32_e64 v31, 0, v6, s[24:25]
	v_add_u32_e32 v31, v31, v5
.LBB1096_121:
	s_or_b64 exec, exec, s[26:27]
	v_cmp_eq_u32_e64 s[24:25], 0, v2
	v_add_u32_e32 v5, v4, v2
	v_cndmask_b32_e64 v2, 0, v31, s[24:25]
	v_add_u32_e32 v2, v2, v3
	v_add_u32_e32 v3, -1, v7
	v_and_b32_e32 v36, 64, v7
	v_cmp_lt_i32_e64 s[24:25], v3, v36
	v_cndmask_b32_e64 v3, v3, v7, s[24:25]
	v_lshlrev_b32_e32 v3, 2, v3
	ds_bpermute_b32 v5, v3, v5
	ds_bpermute_b32 v2, v3, v2
	v_cmp_eq_u32_e64 s[24:25], 0, v7
	v_cmp_eq_u32_e64 s[26:27], 0, v81
	s_waitcnt lgkmcnt(1)
	v_cndmask_b32_e64 v3, v5, v4, s[24:25]
	s_waitcnt lgkmcnt(0)
	v_cndmask_b32_e64 v2, v2, v31, s[24:25]
	v_cmp_eq_u32_e64 s[24:25], 0, v0
	v_cndmask_b32_e64 v65, v2, v6, s[24:25]
	v_cndmask_b32_e64 v2, 0, v65, s[26:27]
	v_add_u32_e32 v63, v2, v40
	v_cndmask_b32_e64 v2, 0, v63, s[0:1]
	v_add_u32_e32 v61, v2, v41
	;; [unrolled: 2-line block ×8, first 2 shown]
	v_cndmask_b32_e64 v64, v3, 0, s[24:25]
	v_cndmask_b32_e64 v2, 0, v49, s[14:15]
	v_add_u32_e32 v62, v64, v81
	v_add_u32_e32 v47, v2, v26
	v_add_u32_e32 v60, v62, v79
	v_cndmask_b32_e64 v2, 0, v47, s[16:17]
	v_add_u32_e32 v58, v60, v78
	v_add_u32_e32 v45, v2, v27
	v_add_u32_e32 v56, v58, v77
	;; [unrolled: 4-line block ×3, first 2 shown]
	v_cndmask_b32_e64 v2, 0, v43, s[20:21]
	v_add_u32_e32 v50, v52, v74
	v_add_u32_e32 v39, v2, v25
	ds_read_b64 v[2:3], v30 offset:2088
	v_add_u32_e32 v48, v50, v73
	v_add_u32_e32 v46, v48, v72
	;; [unrolled: 1-line block ×3, first 2 shown]
	v_cndmask_b32_e64 v4, 0, v39, s[22:23]
	v_add_u32_e32 v42, v44, v70
	v_add_u32_e32 v37, v4, v22
	v_add_u32_e32 v38, v42, v69
	v_cndmask_b32_e32 v4, 0, v37, vcc
	s_waitcnt lgkmcnt(0)
	v_cmp_eq_u32_e32 vcc, 0, v2
	v_add_u32_e32 v36, v38, v68
	v_add_u32_e32 v31, v4, v23
	v_cndmask_b32_e32 v4, 0, v6, vcc
	v_add_u32_e32 v30, v36, v67
	v_add_u32_e32 v80, v4, v3
	s_and_saveexec_b64 s[0:1], s[24:25]
	s_cbranch_execz .LBB1096_123
; %bb.122:
	s_add_u32 s2, s44, 0x400
	v_and_b32_e32 v3, 0xff000000, v80
	v_and_b32_e32 v4, 0xff0000, v80
	s_addc_u32 s3, s45, 0
	v_or_b32_e32 v3, v4, v3
	v_and_b32_e32 v4, 0xff00, v80
	v_and_b32_e32 v6, 0xff, v80
	v_mov_b32_e32 v5, 0
	v_or3_b32 v3, v3, v4, v6
	v_mov_b32_e32 v4, 2
	v_pk_mov_b32 v[6:7], s[2:3], s[2:3] op_sel:[0,1]
	;;#ASMSTART
	global_store_dwordx4 v[6:7], v[2:5] off	
s_waitcnt vmcnt(0)
	;;#ASMEND
.LBB1096_123:
	s_or_b64 exec, exec, s[0:1]
	v_mov_b32_e32 v4, 0
.LBB1096_124:
	s_and_b64 s[0:1], s[38:39], exec
	s_cselect_b32 s1, 0, s59
	s_cselect_b32 s0, 0, s58
	s_cmp_eq_u64 s[0:1], 0
	v_pk_mov_b32 v[6:7], 0, 0
	s_barrier
	s_cbranch_scc1 .LBB1096_126
; %bb.125:
	v_mov_b32_e32 v3, 0
	global_load_dwordx2 v[6:7], v3, s[0:1]
.LBB1096_126:
	s_waitcnt vmcnt(0)
	v_lshlrev_b64 v[22:23], 2, v[6:7]
	v_mov_b32_e32 v3, s43
	v_add_co_u32_e32 v26, vcc, s42, v22
	v_mov_b32_e32 v5, 0
	v_addc_co_u32_e32 v27, vcc, v3, v23, vcc
	v_lshlrev_b64 v[24:25], 2, v[4:5]
	v_add_co_u32_e32 v3, vcc, v26, v24
	v_addc_co_u32_e32 v5, vcc, v27, v25, vcc
	v_cmp_eq_u32_e32 vcc, 0, v81
	v_cndmask_b32_e64 v26, 1, 2, vcc
	v_cmp_eq_u32_e32 vcc, 0, v79
	v_cndmask_b32_e64 v27, 1, 2, vcc
	v_cmp_eq_u32_e32 vcc, 0, v78
	v_and_b32_e32 v26, v27, v26
	v_cndmask_b32_e64 v27, 1, 2, vcc
	v_cmp_eq_u32_e32 vcc, 0, v77
	v_and_b32_e32 v26, v26, v27
	;; [unrolled: 3-line block ×13, first 2 shown]
	v_cndmask_b32_e64 v27, 1, 2, vcc
	s_movk_i32 s30, 0x100
	v_and_b32_e32 v26, v26, v27
	v_cmp_gt_u32_e32 vcc, s30, v2
	v_cmp_ne_u32_e64 s[28:29], 0, v81
	v_cmp_ne_u32_e64 s[26:27], 0, v79
	;; [unrolled: 1-line block ×15, first 2 shown]
	s_mov_b64 s[38:39], -1
	v_cmp_gt_i16_e64 s[30:31], 2, v26
	s_cbranch_vccz .LBB1096_133
; %bb.127:
	s_and_saveexec_b64 s[38:39], s[30:31]
	s_cbranch_execz .LBB1096_132
; %bb.128:
	v_cmp_ne_u16_e32 vcc, 1, v26
	s_mov_b64 s[40:41], 0
	s_and_saveexec_b64 s[30:31], vcc
	s_xor_b64 s[30:31], exec, s[30:31]
	s_cbranch_execnz .LBB1096_189
; %bb.129:
	s_andn2_saveexec_b64 s[30:31], s[30:31]
	s_cbranch_execnz .LBB1096_205
.LBB1096_130:
	s_or_b64 exec, exec, s[30:31]
	s_and_b64 exec, exec, s[40:41]
	s_cbranch_execz .LBB1096_132
.LBB1096_131:
	v_sub_u32_e32 v28, v30, v4
	v_mov_b32_e32 v29, 0
	v_lshlrev_b64 v[28:29], 2, v[28:29]
	v_add_co_u32_e32 v28, vcc, v3, v28
	v_addc_co_u32_e32 v29, vcc, v5, v29, vcc
	global_store_dword v[28:29], v1, off
.LBB1096_132:
	s_or_b64 exec, exec, s[38:39]
	s_mov_b64 s[38:39], 0
.LBB1096_133:
	s_and_b64 vcc, exec, s[38:39]
	s_cbranch_vccz .LBB1096_155
; %bb.134:
	v_cmp_gt_i16_e32 vcc, 2, v26
	s_and_saveexec_b64 s[30:31], vcc
	s_cbranch_execz .LBB1096_139
; %bb.135:
	v_cmp_ne_u16_e32 vcc, 1, v26
	s_mov_b64 s[40:41], 0
	s_and_saveexec_b64 s[38:39], vcc
	s_xor_b64 s[38:39], exec, s[38:39]
	s_cbranch_execnz .LBB1096_206
; %bb.136:
	s_andn2_saveexec_b64 s[0:1], s[38:39]
	s_cbranch_execnz .LBB1096_222
.LBB1096_137:
	s_or_b64 exec, exec, s[0:1]
	s_and_b64 exec, exec, s[40:41]
	s_cbranch_execz .LBB1096_139
.LBB1096_138:
	v_sub_u32_e32 v8, v30, v4
	v_lshlrev_b32_e32 v8, 2, v8
	ds_write_b32 v8, v1
.LBB1096_139:
	s_or_b64 exec, exec, s[30:31]
	v_cmp_lt_u32_e32 vcc, v0, v2
	s_waitcnt lgkmcnt(0)
	s_barrier
	s_and_saveexec_b64 s[2:3], vcc
	s_cbranch_execz .LBB1096_154
; %bb.140:
	v_xad_u32 v1, v0, -1, v2
	s_movk_i32 s0, 0x1700
	v_cmp_gt_u32_e64 s[4:5], s0, v1
	s_movk_i32 s0, 0x16ff
	v_cmp_lt_u32_e32 vcc, s0, v1
	v_mov_b32_e32 v8, v0
	s_and_saveexec_b64 s[6:7], vcc
	s_cbranch_execz .LBB1096_151
; %bb.141:
	v_sub_u32_e32 v8, v0, v2
	v_or_b32_e32 v8, 0xff, v8
	v_cmp_ge_u32_e32 vcc, v8, v0
	s_mov_b64 s[0:1], -1
	v_mov_b32_e32 v8, v0
	s_and_saveexec_b64 s[8:9], vcc
	s_cbranch_execz .LBB1096_150
; %bb.142:
	v_lshrrev_b32_e32 v12, 8, v1
	v_add_u32_e32 v8, -1, v12
	v_or_b32_e32 v1, 0x100, v0
	v_lshrrev_b32_e32 v9, 1, v8
	v_add_u32_e32 v13, 1, v9
	v_cmp_lt_u32_e32 vcc, 13, v8
	v_mov_b32_e32 v16, 0
	v_pk_mov_b32 v[8:9], v[0:1], v[0:1] op_sel:[0,1]
	s_and_saveexec_b64 s[10:11], vcc
	s_cbranch_execz .LBB1096_146
; %bb.143:
	v_and_b32_e32 v14, -8, v13
	v_lshlrev_b32_e32 v15, 2, v0
	s_mov_b32 s14, 0
	s_mov_b64 s[12:13], 0
	v_mov_b32_e32 v11, 0
	v_pk_mov_b32 v[8:9], v[0:1], v[0:1] op_sel:[0,1]
.LBB1096_144:                           ; =>This Inner Loop Header: Depth=1
	v_mov_b32_e32 v10, v8
	v_add_u32_e32 v14, -8, v14
	v_lshlrev_b64 v[96:97], 2, v[10:11]
	v_mov_b32_e32 v10, v9
	ds_read2st64_b32 v[18:19], v15 offset1:4
	s_add_i32 s14, s14, 16
	v_cmp_eq_u32_e32 vcc, 0, v14
	v_lshlrev_b64 v[100:101], 2, v[10:11]
	v_add_u32_e32 v10, 0x200, v8
	s_or_b64 s[12:13], vcc, s[12:13]
	v_add_co_u32_e32 v100, vcc, v3, v100
	v_add_u32_e32 v16, 0x200, v9
	v_mov_b32_e32 v17, v11
	ds_read2st64_b32 v[20:21], v15 offset0:8 offset1:12
	ds_read2st64_b32 v[28:29], v15 offset0:16 offset1:20
	v_add_co_u32_e64 v96, s[0:1], v3, v96
	v_addc_co_u32_e32 v101, vcc, v5, v101, vcc
	v_lshlrev_b64 v[102:103], 2, v[10:11]
	v_lshlrev_b64 v[98:99], 2, v[16:17]
	v_addc_co_u32_e64 v97, s[0:1], v5, v97, s[0:1]
	v_add_u32_e32 v10, 0x400, v8
	v_add_co_u32_e32 v102, vcc, v3, v102
	v_add_u32_e32 v26, 0x400, v9
	v_mov_b32_e32 v27, v11
	ds_read2st64_b32 v[34:35], v15 offset0:24 offset1:28
	v_add_co_u32_e64 v98, s[0:1], v3, v98
	v_addc_co_u32_e32 v103, vcc, v5, v103, vcc
	v_lshlrev_b64 v[104:105], 2, v[10:11]
	ds_read2st64_b32 v[82:83], v15 offset0:32 offset1:36
	ds_read2st64_b32 v[86:87], v15 offset0:40 offset1:44
	;; [unrolled: 1-line block ×4, first 2 shown]
	v_lshlrev_b64 v[26:27], 2, v[26:27]
	v_addc_co_u32_e64 v99, s[0:1], v5, v99, s[0:1]
	v_add_u32_e32 v10, 0x600, v8
	s_waitcnt lgkmcnt(7)
	global_store_dword v[96:97], v18, off
	global_store_dword v[100:101], v19, off
	s_waitcnt lgkmcnt(6)
	global_store_dword v[102:103], v20, off
	global_store_dword v[98:99], v21, off
	v_add_co_u32_e32 v18, vcc, v3, v104
	v_add_u32_e32 v32, 0x600, v9
	v_mov_b32_e32 v33, v11
	v_add_co_u32_e64 v26, s[0:1], v3, v26
	v_addc_co_u32_e32 v19, vcc, v5, v105, vcc
	v_lshlrev_b64 v[20:21], 2, v[10:11]
	v_lshlrev_b64 v[32:33], 2, v[32:33]
	v_addc_co_u32_e64 v27, s[0:1], v5, v27, s[0:1]
	v_add_u32_e32 v10, 0x800, v8
	s_waitcnt lgkmcnt(5)
	global_store_dword v[18:19], v28, off
	global_store_dword v[26:27], v29, off
	v_add_co_u32_e32 v18, vcc, v3, v20
	v_add_u32_e32 v40, 0x800, v9
	v_mov_b32_e32 v41, v11
	v_add_co_u32_e64 v32, s[0:1], v3, v32
	v_addc_co_u32_e32 v19, vcc, v5, v21, vcc
	v_lshlrev_b64 v[20:21], 2, v[10:11]
	v_lshlrev_b64 v[40:41], 2, v[40:41]
	v_addc_co_u32_e64 v33, s[0:1], v5, v33, s[0:1]
	v_add_u32_e32 v10, 0xa00, v8
	;; [unrolled: 12-line block ×4, first 2 shown]
	s_waitcnt lgkmcnt(2)
	global_store_dword v[18:19], v86, off
	global_store_dword v[84:85], v87, off
	v_add_co_u32_e32 v18, vcc, v3, v20
	v_add_u32_e32 v92, 0xe00, v9
	v_mov_b32_e32 v93, v11
	v_add_co_u32_e64 v88, s[0:1], v3, v88
	v_addc_co_u32_e32 v19, vcc, v5, v21, vcc
	v_lshlrev_b64 v[20:21], 2, v[10:11]
	v_lshlrev_b64 v[92:93], 2, v[92:93]
	v_addc_co_u32_e64 v89, s[0:1], v5, v89, s[0:1]
	s_waitcnt lgkmcnt(1)
	global_store_dword v[18:19], v90, off
	global_store_dword v[88:89], v91, off
	v_add_co_u32_e32 v18, vcc, v3, v20
	v_add_u32_e32 v15, 0x4000, v15
	v_add_u32_e32 v9, 0x1000, v9
	v_mov_b32_e32 v16, s14
	v_add_co_u32_e64 v92, s[0:1], v3, v92
	v_add_u32_e32 v8, 0x1000, v8
	v_addc_co_u32_e32 v19, vcc, v5, v21, vcc
	v_addc_co_u32_e64 v93, s[0:1], v5, v93, s[0:1]
	s_waitcnt lgkmcnt(0)
	global_store_dword v[18:19], v94, off
	global_store_dword v[92:93], v95, off
	s_andn2_b64 exec, exec, s[12:13]
	s_cbranch_execnz .LBB1096_144
; %bb.145:
	s_or_b64 exec, exec, s[12:13]
.LBB1096_146:
	s_or_b64 exec, exec, s[10:11]
	v_and_b32_e32 v1, 7, v13
	v_cmp_ne_u32_e32 vcc, 0, v1
	s_and_saveexec_b64 s[10:11], vcc
	s_cbranch_execz .LBB1096_149
; %bb.147:
	v_lshlrev_b32_e32 v10, 2, v0
	v_lshl_or_b32 v13, v16, 10, v10
	s_mov_b64 s[12:13], 0
	v_mov_b32_e32 v11, 0
.LBB1096_148:                           ; =>This Inner Loop Header: Depth=1
	ds_read2st64_b32 v[14:15], v13 offset1:4
	v_mov_b32_e32 v10, v8
	v_add_u32_e32 v1, -1, v1
	v_lshlrev_b64 v[16:17], 2, v[10:11]
	v_mov_b32_e32 v10, v9
	v_cmp_eq_u32_e32 vcc, 0, v1
	v_add_co_u32_e64 v16, s[0:1], v3, v16
	v_lshlrev_b64 v[18:19], 2, v[10:11]
	v_add_u32_e32 v8, 0x200, v8
	v_add_u32_e32 v13, 0x800, v13
	;; [unrolled: 1-line block ×3, first 2 shown]
	v_addc_co_u32_e64 v17, s[0:1], v5, v17, s[0:1]
	s_or_b64 s[12:13], vcc, s[12:13]
	v_add_co_u32_e32 v18, vcc, v3, v18
	v_addc_co_u32_e32 v19, vcc, v5, v19, vcc
	s_waitcnt lgkmcnt(0)
	global_store_dword v[16:17], v14, off
	global_store_dword v[18:19], v15, off
	s_andn2_b64 exec, exec, s[12:13]
	s_cbranch_execnz .LBB1096_148
.LBB1096_149:
	s_or_b64 exec, exec, s[10:11]
	v_add_u32_e32 v1, 1, v12
	v_and_b32_e32 v9, 0x1fffffe, v1
	v_cmp_ne_u32_e32 vcc, v1, v9
	v_lshl_or_b32 v8, v9, 8, v0
	s_orn2_b64 s[0:1], vcc, exec
.LBB1096_150:
	s_or_b64 exec, exec, s[8:9]
	s_andn2_b64 s[4:5], s[4:5], exec
	s_and_b64 s[0:1], s[0:1], exec
	s_or_b64 s[4:5], s[4:5], s[0:1]
.LBB1096_151:
	s_or_b64 exec, exec, s[6:7]
	s_and_b64 exec, exec, s[4:5]
	s_cbranch_execz .LBB1096_154
; %bb.152:
	v_lshlrev_b32_e32 v1, 2, v8
	s_mov_b64 s[0:1], 0
	v_mov_b32_e32 v9, 0
.LBB1096_153:                           ; =>This Inner Loop Header: Depth=1
	v_lshlrev_b64 v[10:11], 2, v[8:9]
	ds_read_b32 v12, v1
	v_add_co_u32_e32 v10, vcc, v3, v10
	v_add_u32_e32 v8, 0x100, v8
	v_addc_co_u32_e32 v11, vcc, v5, v11, vcc
	v_cmp_ge_u32_e32 vcc, v8, v2
	v_add_u32_e32 v1, 0x400, v1
	s_or_b64 s[0:1], vcc, s[0:1]
	s_waitcnt lgkmcnt(0)
	global_store_dword v[10:11], v12, off
	s_andn2_b64 exec, exec, s[0:1]
	s_cbranch_execnz .LBB1096_153
.LBB1096_154:
	s_or_b64 exec, exec, s[2:3]
.LBB1096_155:
	s_cmpk_lg_i32 s33, 0xf00
	s_cselect_b64 s[0:1], -1, 0
	s_and_b64 s[0:1], s[34:35], s[0:1]
	v_cmp_eq_u32_e32 vcc, 0, v0
	v_cndmask_b32_e64 v8, 0, 1, s[0:1]
	s_and_b64 s[0:1], vcc, s[36:37]
	v_cndmask_b32_e64 v5, v81, 0, s[0:1]
	s_mul_hi_u32 s0, s33, 0x88888889
	s_lshr_b32 s0, s0, 3
	v_mad_i32_i24 v9, v0, -15, s33
	v_cmp_eq_u32_e32 vcc, s0, v0
	v_cmp_ne_u32_e64 s[0:1], 0, v9
	v_cndmask_b32_e64 v10, 1, v5, s[0:1]
	v_cmp_ne_u32_e64 s[0:1], 1, v9
	v_cndmask_b32_e64 v11, 1, v79, s[0:1]
	;; [unrolled: 2-line block ×15, first 2 shown]
	s_and_b64 vcc, s[34:35], vcc
	v_cndmask_b32_e32 v28, v66, v9, vcc
	v_cndmask_b32_e32 v27, v67, v27, vcc
	;; [unrolled: 1-line block ×15, first 2 shown]
	v_mov_b32_e32 v5, s53
	v_add_co_u32_e32 v9, vcc, s52, v22
	v_addc_co_u32_e32 v12, vcc, v5, v23, vcc
	v_cndmask_b32_e64 v1, 0, 1, s[36:37]
	v_add_co_u32_e32 v5, vcc, v9, v24
	v_addc_co_u32_e32 v12, vcc, v12, v25, vcc
	v_lshlrev_b32_e32 v9, 2, v1
	v_add_co_u32_e32 v9, vcc, v9, v5
	v_addc_co_u32_e32 v14, vcc, 0, v12, vcc
	v_add_co_u32_e32 v13, vcc, -4, v9
	v_addc_co_u32_e32 v14, vcc, -1, v14, vcc
	v_cmp_eq_u32_e32 vcc, 0, v10
	v_cmp_ne_u32_e64 s[28:29], 0, v10
	v_cndmask_b32_e64 v10, 1, 2, vcc
	v_cmp_eq_u32_e32 vcc, 0, v11
	v_cmp_ne_u32_e64 s[26:27], 0, v11
	v_cndmask_b32_e64 v11, 1, 2, vcc
	v_cmp_eq_u32_e32 vcc, 0, v33
	v_and_b32_e32 v10, v11, v10
	v_cndmask_b32_e64 v11, 1, 2, vcc
	v_cmp_eq_u32_e32 vcc, 0, v32
	v_and_b32_e32 v10, v10, v11
	;; [unrolled: 3-line block ×11, first 2 shown]
	v_cndmask_b32_e64 v11, 1, 2, vcc
	v_cmp_eq_u32_e32 vcc, 0, v27
	v_sub_u32_e32 v3, v2, v1
	v_and_b32_e32 v10, v10, v11
	v_cndmask_b32_e64 v11, 1, 2, vcc
	v_cmp_eq_u32_e32 vcc, 0, v28
	v_add_u32_e32 v3, v3, v8
	v_and_b32_e32 v10, v10, v11
	v_cndmask_b32_e64 v11, 1, 2, vcc
	s_movk_i32 s30, 0x100
	v_and_b32_e32 v10, v10, v11
	v_cmp_gt_u32_e32 vcc, s30, v3
	v_add_u32_e32 v9, v4, v1
	v_cmp_ne_u32_e64 s[24:25], 0, v33
	v_cmp_ne_u32_e64 s[22:23], 0, v32
	;; [unrolled: 1-line block ×13, first 2 shown]
	s_mov_b64 s[36:37], -1
	v_cmp_gt_i16_e64 s[30:31], 2, v10
	s_barrier
	s_cbranch_vccz .LBB1096_162
; %bb.156:
	s_and_saveexec_b64 s[36:37], s[30:31]
	s_cbranch_execz .LBB1096_161
; %bb.157:
	v_cmp_ne_u16_e32 vcc, 1, v10
	s_mov_b64 s[38:39], 0
	s_and_saveexec_b64 s[30:31], vcc
	s_xor_b64 s[30:31], exec, s[30:31]
	s_cbranch_execnz .LBB1096_223
; %bb.158:
	s_andn2_saveexec_b64 s[30:31], s[30:31]
	s_cbranch_execnz .LBB1096_239
.LBB1096_159:
	s_or_b64 exec, exec, s[30:31]
	s_and_b64 exec, exec, s[38:39]
	s_cbranch_execz .LBB1096_161
.LBB1096_160:
	v_sub_u32_e32 v16, v30, v9
	v_mov_b32_e32 v17, 0
	v_lshlrev_b64 v[16:17], 2, v[16:17]
	v_add_co_u32_e32 v16, vcc, v13, v16
	v_addc_co_u32_e32 v17, vcc, v14, v17, vcc
	global_store_dword v[16:17], v31, off
.LBB1096_161:
	s_or_b64 exec, exec, s[36:37]
	s_mov_b64 s[36:37], 0
.LBB1096_162:
	s_and_b64 vcc, exec, s[36:37]
	s_cbranch_vccz .LBB1096_184
; %bb.163:
	v_cmp_gt_i16_e32 vcc, 2, v10
	s_and_saveexec_b64 s[30:31], vcc
	s_cbranch_execz .LBB1096_168
; %bb.164:
	v_cmp_ne_u16_e32 vcc, 1, v10
	s_mov_b64 s[38:39], 0
	s_and_saveexec_b64 s[36:37], vcc
	s_xor_b64 s[36:37], exec, s[36:37]
	s_cbranch_execnz .LBB1096_240
; %bb.165:
	s_andn2_saveexec_b64 s[0:1], s[36:37]
	s_cbranch_execnz .LBB1096_256
.LBB1096_166:
	s_or_b64 exec, exec, s[0:1]
	s_and_b64 exec, exec, s[38:39]
	s_cbranch_execz .LBB1096_168
.LBB1096_167:
	v_sub_u32_e32 v9, v30, v9
	v_lshlrev_b32_e32 v9, 2, v9
	ds_write_b32 v9, v31
.LBB1096_168:
	s_or_b64 exec, exec, s[30:31]
	v_cmp_lt_u32_e32 vcc, v0, v3
	s_waitcnt lgkmcnt(0)
	s_barrier
	s_and_saveexec_b64 s[2:3], vcc
	s_cbranch_execz .LBB1096_183
; %bb.169:
	v_add_u32_e32 v10, v2, v8
	v_xad_u32 v8, v0, -1, v10
	v_sub_u32_e32 v9, v8, v1
	s_movk_i32 s0, 0x1900
	v_cmp_gt_u32_e64 s[4:5], s0, v9
	s_movk_i32 s0, 0x18ff
	v_cmp_lt_u32_e32 vcc, s0, v9
	v_mov_b32_e32 v8, v0
	s_and_saveexec_b64 s[6:7], vcc
	s_cbranch_execz .LBB1096_180
; %bb.170:
	v_sub_u32_e32 v8, v0, v10
	v_add_u32_e32 v1, v8, v1
	v_or_b32_e32 v1, 0xff, v1
	v_cmp_ge_u32_e32 vcc, v1, v0
	s_mov_b64 s[0:1], -1
	v_mov_b32_e32 v8, v0
	s_and_saveexec_b64 s[8:9], vcc
	s_cbranch_execz .LBB1096_179
; %bb.171:
	v_lshrrev_b32_e32 v15, 8, v9
	v_add_u32_e32 v8, -1, v15
	v_or_b32_e32 v1, 0x100, v0
	v_lshrrev_b32_e32 v9, 1, v8
	v_add_u32_e32 v17, 1, v9
	v_cmp_lt_u32_e32 vcc, 13, v8
	v_mov_b32_e32 v20, 0
	v_lshlrev_b32_e32 v16, 2, v0
	v_pk_mov_b32 v[8:9], v[0:1], v[0:1] op_sel:[0,1]
	s_and_saveexec_b64 s[10:11], vcc
	s_cbranch_execz .LBB1096_175
; %bb.172:
	v_and_b32_e32 v18, -8, v17
	s_mov_b32 s14, 0
	s_mov_b64 s[12:13], 0
	v_mov_b32_e32 v11, 0
	v_mov_b32_e32 v19, v16
	v_pk_mov_b32 v[8:9], v[0:1], v[0:1] op_sel:[0,1]
.LBB1096_173:                           ; =>This Inner Loop Header: Depth=1
	v_mov_b32_e32 v10, v8
	v_add_u32_e32 v18, -8, v18
	v_lshlrev_b64 v[50:51], 2, v[10:11]
	v_mov_b32_e32 v10, v9
	ds_read2st64_b32 v[22:23], v19 offset1:4
	s_add_i32 s14, s14, 16
	v_cmp_eq_u32_e32 vcc, 0, v18
	v_lshlrev_b64 v[54:55], 2, v[10:11]
	v_add_u32_e32 v10, 0x200, v8
	s_or_b64 s[12:13], vcc, s[12:13]
	v_add_co_u32_e32 v54, vcc, v13, v54
	v_add_u32_e32 v20, 0x200, v9
	v_mov_b32_e32 v21, v11
	ds_read2st64_b32 v[24:25], v19 offset0:8 offset1:12
	ds_read2st64_b32 v[28:29], v19 offset0:16 offset1:20
	v_add_co_u32_e64 v50, s[0:1], v13, v50
	v_addc_co_u32_e32 v55, vcc, v14, v55, vcc
	v_lshlrev_b64 v[56:57], 2, v[10:11]
	v_lshlrev_b64 v[52:53], 2, v[20:21]
	v_addc_co_u32_e64 v51, s[0:1], v14, v51, s[0:1]
	v_add_u32_e32 v10, 0x400, v8
	v_add_co_u32_e32 v56, vcc, v13, v56
	v_add_u32_e32 v26, 0x400, v9
	v_mov_b32_e32 v27, v11
	ds_read2st64_b32 v[32:33], v19 offset0:24 offset1:28
	v_add_co_u32_e64 v52, s[0:1], v13, v52
	v_addc_co_u32_e32 v57, vcc, v14, v57, vcc
	v_lshlrev_b64 v[58:59], 2, v[10:11]
	ds_read2st64_b32 v[36:37], v19 offset0:32 offset1:36
	ds_read2st64_b32 v[40:41], v19 offset0:40 offset1:44
	;; [unrolled: 1-line block ×4, first 2 shown]
	v_lshlrev_b64 v[26:27], 2, v[26:27]
	v_addc_co_u32_e64 v53, s[0:1], v14, v53, s[0:1]
	v_add_u32_e32 v10, 0x600, v8
	s_waitcnt lgkmcnt(7)
	global_store_dword v[50:51], v22, off
	global_store_dword v[54:55], v23, off
	s_waitcnt lgkmcnt(6)
	global_store_dword v[56:57], v24, off
	global_store_dword v[52:53], v25, off
	v_add_co_u32_e32 v22, vcc, v13, v58
	v_add_u32_e32 v30, 0x600, v9
	v_mov_b32_e32 v31, v11
	v_add_co_u32_e64 v26, s[0:1], v13, v26
	v_addc_co_u32_e32 v23, vcc, v14, v59, vcc
	v_lshlrev_b64 v[24:25], 2, v[10:11]
	v_lshlrev_b64 v[30:31], 2, v[30:31]
	v_addc_co_u32_e64 v27, s[0:1], v14, v27, s[0:1]
	v_add_u32_e32 v10, 0x800, v8
	s_waitcnt lgkmcnt(5)
	global_store_dword v[22:23], v28, off
	global_store_dword v[26:27], v29, off
	v_add_co_u32_e32 v22, vcc, v13, v24
	v_add_u32_e32 v34, 0x800, v9
	v_mov_b32_e32 v35, v11
	v_add_co_u32_e64 v30, s[0:1], v13, v30
	v_addc_co_u32_e32 v23, vcc, v14, v25, vcc
	v_lshlrev_b64 v[24:25], 2, v[10:11]
	v_lshlrev_b64 v[34:35], 2, v[34:35]
	v_addc_co_u32_e64 v31, s[0:1], v14, v31, s[0:1]
	v_add_u32_e32 v10, 0xa00, v8
	;; [unrolled: 12-line block ×4, first 2 shown]
	s_waitcnt lgkmcnt(2)
	global_store_dword v[22:23], v40, off
	global_store_dword v[38:39], v41, off
	v_add_co_u32_e32 v22, vcc, v13, v24
	v_add_u32_e32 v46, 0xe00, v9
	v_mov_b32_e32 v47, v11
	v_add_co_u32_e64 v42, s[0:1], v13, v42
	v_addc_co_u32_e32 v23, vcc, v14, v25, vcc
	v_lshlrev_b64 v[24:25], 2, v[10:11]
	v_lshlrev_b64 v[46:47], 2, v[46:47]
	v_addc_co_u32_e64 v43, s[0:1], v14, v43, s[0:1]
	s_waitcnt lgkmcnt(1)
	global_store_dword v[22:23], v44, off
	global_store_dword v[42:43], v45, off
	v_add_co_u32_e32 v22, vcc, v13, v24
	v_add_u32_e32 v19, 0x4000, v19
	v_add_u32_e32 v9, 0x1000, v9
	v_mov_b32_e32 v20, s14
	v_add_co_u32_e64 v46, s[0:1], v13, v46
	v_add_u32_e32 v8, 0x1000, v8
	v_addc_co_u32_e32 v23, vcc, v14, v25, vcc
	v_addc_co_u32_e64 v47, s[0:1], v14, v47, s[0:1]
	s_waitcnt lgkmcnt(0)
	global_store_dword v[22:23], v48, off
	global_store_dword v[46:47], v49, off
	s_andn2_b64 exec, exec, s[12:13]
	s_cbranch_execnz .LBB1096_173
; %bb.174:
	s_or_b64 exec, exec, s[12:13]
.LBB1096_175:
	s_or_b64 exec, exec, s[10:11]
	v_and_b32_e32 v1, 7, v17
	v_cmp_ne_u32_e32 vcc, 0, v1
	s_and_saveexec_b64 s[10:11], vcc
	s_cbranch_execz .LBB1096_178
; %bb.176:
	v_lshl_or_b32 v16, v20, 10, v16
	s_mov_b64 s[12:13], 0
	v_mov_b32_e32 v11, 0
.LBB1096_177:                           ; =>This Inner Loop Header: Depth=1
	ds_read2st64_b32 v[18:19], v16 offset1:4
	v_mov_b32_e32 v10, v8
	v_add_u32_e32 v1, -1, v1
	v_lshlrev_b64 v[20:21], 2, v[10:11]
	v_mov_b32_e32 v10, v9
	v_cmp_eq_u32_e32 vcc, 0, v1
	v_add_co_u32_e64 v20, s[0:1], v13, v20
	v_lshlrev_b64 v[22:23], 2, v[10:11]
	v_add_u32_e32 v8, 0x200, v8
	v_add_u32_e32 v16, 0x800, v16
	;; [unrolled: 1-line block ×3, first 2 shown]
	v_addc_co_u32_e64 v21, s[0:1], v14, v21, s[0:1]
	s_or_b64 s[12:13], vcc, s[12:13]
	v_add_co_u32_e32 v22, vcc, v13, v22
	v_addc_co_u32_e32 v23, vcc, v14, v23, vcc
	s_waitcnt lgkmcnt(0)
	global_store_dword v[20:21], v18, off
	global_store_dword v[22:23], v19, off
	s_andn2_b64 exec, exec, s[12:13]
	s_cbranch_execnz .LBB1096_177
.LBB1096_178:
	s_or_b64 exec, exec, s[10:11]
	v_add_u32_e32 v1, 1, v15
	v_and_b32_e32 v9, 0x1fffffe, v1
	v_cmp_ne_u32_e32 vcc, v1, v9
	v_lshl_or_b32 v8, v9, 8, v0
	s_orn2_b64 s[0:1], vcc, exec
.LBB1096_179:
	s_or_b64 exec, exec, s[8:9]
	s_andn2_b64 s[4:5], s[4:5], exec
	s_and_b64 s[0:1], s[0:1], exec
	s_or_b64 s[4:5], s[4:5], s[0:1]
.LBB1096_180:
	s_or_b64 exec, exec, s[6:7]
	s_and_b64 exec, exec, s[4:5]
	s_cbranch_execz .LBB1096_183
; %bb.181:
	v_lshlrev_b32_e32 v1, 2, v8
	s_mov_b64 s[0:1], 0
	v_mov_b32_e32 v9, 0
.LBB1096_182:                           ; =>This Inner Loop Header: Depth=1
	v_lshlrev_b64 v[10:11], 2, v[8:9]
	ds_read_b32 v15, v1
	v_add_co_u32_e32 v10, vcc, v13, v10
	v_add_u32_e32 v8, 0x100, v8
	v_addc_co_u32_e32 v11, vcc, v14, v11, vcc
	v_cmp_ge_u32_e32 vcc, v8, v3
	v_add_u32_e32 v1, 0x400, v1
	s_or_b64 s[0:1], vcc, s[0:1]
	s_waitcnt lgkmcnt(0)
	global_store_dword v[10:11], v15, off
	s_andn2_b64 exec, exec, s[0:1]
	s_cbranch_execnz .LBB1096_182
.LBB1096_183:
	s_or_b64 exec, exec, s[2:3]
.LBB1096_184:
	s_movk_i32 s0, 0xff
	v_cmp_eq_u32_e32 vcc, s0, v0
	s_and_b64 s[0:1], vcc, s[34:35]
	s_and_saveexec_b64 s[2:3], s[0:1]
	s_cbranch_execz .LBB1096_187
; %bb.185:
	v_add_co_u32_e32 v0, vcc, v2, v4
	v_addc_co_u32_e64 v1, s[0:1], 0, 0, vcc
	v_add_co_u32_e32 v0, vcc, v0, v6
	v_mov_b32_e32 v3, 0
	v_addc_co_u32_e32 v1, vcc, v1, v7, vcc
	s_cmpk_lg_i32 s33, 0xf00
	global_store_dwordx2 v3, v[0:1], s[54:55]
	s_cbranch_scc1 .LBB1096_187
; %bb.186:
	v_lshlrev_b64 v[0:1], 2, v[2:3]
	v_add_co_u32_e32 v0, vcc, v5, v0
	v_addc_co_u32_e32 v1, vcc, v12, v1, vcc
	global_store_dword v[0:1], v80, off offset:-4
.LBB1096_187:
	s_endpgm
.LBB1096_188:
	s_or_b64 exec, exec, s[2:3]
	v_mov_b32_e32 v81, s8
	s_and_saveexec_b64 s[2:3], s[48:49]
	s_cbranch_execnz .LBB1096_84
	s_branch .LBB1096_85
.LBB1096_189:
	s_and_saveexec_b64 s[40:41], s[28:29]
	s_cbranch_execnz .LBB1096_257
; %bb.190:
	s_or_b64 exec, exec, s[40:41]
	s_and_saveexec_b64 s[40:41], s[26:27]
	s_cbranch_execnz .LBB1096_258
.LBB1096_191:
	s_or_b64 exec, exec, s[40:41]
	s_and_saveexec_b64 s[40:41], s[24:25]
	s_cbranch_execnz .LBB1096_259
.LBB1096_192:
	s_or_b64 exec, exec, s[40:41]
	s_and_saveexec_b64 s[40:41], s[22:23]
	s_cbranch_execnz .LBB1096_260
.LBB1096_193:
	s_or_b64 exec, exec, s[40:41]
	s_and_saveexec_b64 s[40:41], s[20:21]
	s_cbranch_execnz .LBB1096_261
.LBB1096_194:
	s_or_b64 exec, exec, s[40:41]
	s_and_saveexec_b64 s[40:41], s[18:19]
	s_cbranch_execnz .LBB1096_262
.LBB1096_195:
	s_or_b64 exec, exec, s[40:41]
	s_and_saveexec_b64 s[40:41], s[16:17]
	s_cbranch_execnz .LBB1096_263
.LBB1096_196:
	s_or_b64 exec, exec, s[40:41]
	s_and_saveexec_b64 s[40:41], s[14:15]
	s_cbranch_execnz .LBB1096_264
.LBB1096_197:
	s_or_b64 exec, exec, s[40:41]
	s_and_saveexec_b64 s[40:41], s[12:13]
	s_cbranch_execnz .LBB1096_265
.LBB1096_198:
	s_or_b64 exec, exec, s[40:41]
	s_and_saveexec_b64 s[40:41], s[10:11]
	s_cbranch_execnz .LBB1096_266
.LBB1096_199:
	s_or_b64 exec, exec, s[40:41]
	s_and_saveexec_b64 s[40:41], s[8:9]
	s_cbranch_execnz .LBB1096_267
.LBB1096_200:
	s_or_b64 exec, exec, s[40:41]
	s_and_saveexec_b64 s[40:41], s[6:7]
	s_cbranch_execnz .LBB1096_268
.LBB1096_201:
	s_or_b64 exec, exec, s[40:41]
	s_and_saveexec_b64 s[40:41], s[4:5]
	s_cbranch_execnz .LBB1096_269
.LBB1096_202:
	s_or_b64 exec, exec, s[40:41]
	s_and_saveexec_b64 s[40:41], s[2:3]
	s_cbranch_execz .LBB1096_204
.LBB1096_203:
	v_sub_u32_e32 v28, v36, v4
	v_mov_b32_e32 v29, 0
	v_lshlrev_b64 v[28:29], 2, v[28:29]
	v_add_co_u32_e32 v28, vcc, v3, v28
	v_addc_co_u32_e32 v29, vcc, v5, v29, vcc
	global_store_dword v[28:29], v9, off
.LBB1096_204:
	s_or_b64 exec, exec, s[40:41]
	s_and_b64 s[40:41], s[0:1], exec
	s_andn2_saveexec_b64 s[30:31], s[30:31]
	s_cbranch_execz .LBB1096_130
.LBB1096_205:
	v_sub_u32_e32 v28, v64, v4
	v_mov_b32_e32 v29, 0
	v_lshlrev_b64 v[32:33], 2, v[28:29]
	v_add_co_u32_e32 v32, vcc, v3, v32
	v_addc_co_u32_e32 v33, vcc, v5, v33, vcc
	v_sub_u32_e32 v28, v62, v4
	global_store_dword v[32:33], v20, off
	v_lshlrev_b64 v[32:33], 2, v[28:29]
	v_add_co_u32_e32 v32, vcc, v3, v32
	v_addc_co_u32_e32 v33, vcc, v5, v33, vcc
	v_sub_u32_e32 v28, v60, v4
	global_store_dword v[32:33], v21, off
	;; [unrolled: 5-line block ×12, first 2 shown]
	v_lshlrev_b64 v[32:33], 2, v[28:29]
	v_add_co_u32_e32 v32, vcc, v3, v32
	v_sub_u32_e32 v28, v36, v4
	v_addc_co_u32_e32 v33, vcc, v5, v33, vcc
	v_lshlrev_b64 v[28:29], 2, v[28:29]
	v_add_co_u32_e32 v28, vcc, v3, v28
	v_addc_co_u32_e32 v29, vcc, v5, v29, vcc
	s_or_b64 s[40:41], s[40:41], exec
	global_store_dword v[32:33], v8, off
	global_store_dword v[28:29], v9, off
	s_or_b64 exec, exec, s[30:31]
	s_and_b64 exec, exec, s[40:41]
	s_cbranch_execnz .LBB1096_131
	s_branch .LBB1096_132
.LBB1096_206:
	s_and_saveexec_b64 s[40:41], s[28:29]
	s_cbranch_execnz .LBB1096_270
; %bb.207:
	s_or_b64 exec, exec, s[40:41]
	s_and_saveexec_b64 s[28:29], s[26:27]
	s_cbranch_execnz .LBB1096_271
.LBB1096_208:
	s_or_b64 exec, exec, s[28:29]
	s_and_saveexec_b64 s[26:27], s[24:25]
	s_cbranch_execnz .LBB1096_272
.LBB1096_209:
	s_or_b64 exec, exec, s[26:27]
	s_and_saveexec_b64 s[24:25], s[22:23]
	s_cbranch_execnz .LBB1096_273
.LBB1096_210:
	s_or_b64 exec, exec, s[24:25]
	s_and_saveexec_b64 s[22:23], s[20:21]
	s_cbranch_execnz .LBB1096_274
.LBB1096_211:
	s_or_b64 exec, exec, s[22:23]
	s_and_saveexec_b64 s[20:21], s[18:19]
	s_cbranch_execnz .LBB1096_275
.LBB1096_212:
	s_or_b64 exec, exec, s[20:21]
	s_and_saveexec_b64 s[18:19], s[16:17]
	s_cbranch_execnz .LBB1096_276
.LBB1096_213:
	s_or_b64 exec, exec, s[18:19]
	s_and_saveexec_b64 s[16:17], s[14:15]
	s_cbranch_execnz .LBB1096_277
.LBB1096_214:
	s_or_b64 exec, exec, s[16:17]
	s_and_saveexec_b64 s[14:15], s[12:13]
	s_cbranch_execnz .LBB1096_278
.LBB1096_215:
	s_or_b64 exec, exec, s[14:15]
	s_and_saveexec_b64 s[12:13], s[10:11]
	s_cbranch_execnz .LBB1096_279
.LBB1096_216:
	s_or_b64 exec, exec, s[12:13]
	s_and_saveexec_b64 s[10:11], s[8:9]
	s_cbranch_execnz .LBB1096_280
.LBB1096_217:
	s_or_b64 exec, exec, s[10:11]
	s_and_saveexec_b64 s[8:9], s[6:7]
	s_cbranch_execnz .LBB1096_281
.LBB1096_218:
	s_or_b64 exec, exec, s[8:9]
	s_and_saveexec_b64 s[6:7], s[4:5]
	s_cbranch_execnz .LBB1096_282
.LBB1096_219:
	s_or_b64 exec, exec, s[6:7]
	s_and_saveexec_b64 s[4:5], s[2:3]
	s_cbranch_execz .LBB1096_221
.LBB1096_220:
	v_sub_u32_e32 v8, v36, v4
	v_lshlrev_b32_e32 v8, 2, v8
	ds_write_b32 v8, v9
.LBB1096_221:
	s_or_b64 exec, exec, s[4:5]
	s_and_b64 s[40:41], s[0:1], exec
                                        ; implicit-def: $vgpr8
                                        ; implicit-def: $vgpr10
                                        ; implicit-def: $vgpr12
                                        ; implicit-def: $vgpr14
                                        ; implicit-def: $vgpr16
                                        ; implicit-def: $vgpr18
                                        ; implicit-def: $vgpr20
	s_andn2_saveexec_b64 s[0:1], s[38:39]
	s_cbranch_execz .LBB1096_137
.LBB1096_222:
	v_sub_u32_e32 v26, v64, v4
	v_lshlrev_b32_e32 v26, 2, v26
	ds_write_b32 v26, v20
	v_sub_u32_e32 v20, v62, v4
	v_lshlrev_b32_e32 v20, 2, v20
	ds_write_b32 v20, v21
	;; [unrolled: 3-line block ×13, first 2 shown]
	v_sub_u32_e32 v8, v36, v4
	v_lshlrev_b32_e32 v8, 2, v8
	s_or_b64 s[40:41], s[40:41], exec
	ds_write_b32 v8, v9
	s_or_b64 exec, exec, s[0:1]
	s_and_b64 exec, exec, s[40:41]
	s_cbranch_execnz .LBB1096_138
	s_branch .LBB1096_139
.LBB1096_223:
	s_and_saveexec_b64 s[38:39], s[28:29]
	s_cbranch_execnz .LBB1096_283
; %bb.224:
	s_or_b64 exec, exec, s[38:39]
	s_and_saveexec_b64 s[38:39], s[26:27]
	s_cbranch_execnz .LBB1096_284
.LBB1096_225:
	s_or_b64 exec, exec, s[38:39]
	s_and_saveexec_b64 s[38:39], s[24:25]
	s_cbranch_execnz .LBB1096_285
.LBB1096_226:
	s_or_b64 exec, exec, s[38:39]
	s_and_saveexec_b64 s[38:39], s[22:23]
	s_cbranch_execnz .LBB1096_286
.LBB1096_227:
	s_or_b64 exec, exec, s[38:39]
	s_and_saveexec_b64 s[38:39], s[20:21]
	s_cbranch_execnz .LBB1096_287
.LBB1096_228:
	s_or_b64 exec, exec, s[38:39]
	s_and_saveexec_b64 s[38:39], s[18:19]
	s_cbranch_execnz .LBB1096_288
.LBB1096_229:
	s_or_b64 exec, exec, s[38:39]
	s_and_saveexec_b64 s[38:39], s[16:17]
	s_cbranch_execnz .LBB1096_289
.LBB1096_230:
	s_or_b64 exec, exec, s[38:39]
	s_and_saveexec_b64 s[38:39], s[14:15]
	s_cbranch_execnz .LBB1096_290
.LBB1096_231:
	s_or_b64 exec, exec, s[38:39]
	s_and_saveexec_b64 s[38:39], s[12:13]
	s_cbranch_execnz .LBB1096_291
.LBB1096_232:
	s_or_b64 exec, exec, s[38:39]
	s_and_saveexec_b64 s[38:39], s[10:11]
	s_cbranch_execnz .LBB1096_292
.LBB1096_233:
	s_or_b64 exec, exec, s[38:39]
	s_and_saveexec_b64 s[38:39], s[8:9]
	s_cbranch_execnz .LBB1096_293
.LBB1096_234:
	s_or_b64 exec, exec, s[38:39]
	s_and_saveexec_b64 s[38:39], s[6:7]
	s_cbranch_execnz .LBB1096_294
.LBB1096_235:
	s_or_b64 exec, exec, s[38:39]
	s_and_saveexec_b64 s[38:39], s[4:5]
	s_cbranch_execnz .LBB1096_295
.LBB1096_236:
	s_or_b64 exec, exec, s[38:39]
	s_and_saveexec_b64 s[38:39], s[2:3]
	s_cbranch_execz .LBB1096_238
.LBB1096_237:
	v_sub_u32_e32 v16, v36, v9
	v_mov_b32_e32 v17, 0
	v_lshlrev_b64 v[16:17], 2, v[16:17]
	v_add_co_u32_e32 v16, vcc, v13, v16
	v_addc_co_u32_e32 v17, vcc, v14, v17, vcc
	global_store_dword v[16:17], v37, off
.LBB1096_238:
	s_or_b64 exec, exec, s[38:39]
	s_and_b64 s[38:39], s[0:1], exec
	s_andn2_saveexec_b64 s[30:31], s[30:31]
	s_cbranch_execz .LBB1096_159
.LBB1096_239:
	v_sub_u32_e32 v16, v64, v9
	v_mov_b32_e32 v17, 0
	v_lshlrev_b64 v[18:19], 2, v[16:17]
	v_add_co_u32_e32 v18, vcc, v13, v18
	v_addc_co_u32_e32 v19, vcc, v14, v19, vcc
	v_sub_u32_e32 v16, v62, v9
	global_store_dword v[18:19], v65, off
	v_lshlrev_b64 v[18:19], 2, v[16:17]
	v_add_co_u32_e32 v18, vcc, v13, v18
	v_addc_co_u32_e32 v19, vcc, v14, v19, vcc
	v_sub_u32_e32 v16, v60, v9
	global_store_dword v[18:19], v63, off
	;; [unrolled: 5-line block ×12, first 2 shown]
	v_lshlrev_b64 v[18:19], 2, v[16:17]
	v_add_co_u32_e32 v18, vcc, v13, v18
	v_sub_u32_e32 v16, v36, v9
	v_addc_co_u32_e32 v19, vcc, v14, v19, vcc
	v_lshlrev_b64 v[16:17], 2, v[16:17]
	v_add_co_u32_e32 v16, vcc, v13, v16
	v_addc_co_u32_e32 v17, vcc, v14, v17, vcc
	s_or_b64 s[38:39], s[38:39], exec
	global_store_dword v[18:19], v39, off
	global_store_dword v[16:17], v37, off
	s_or_b64 exec, exec, s[30:31]
	s_and_b64 exec, exec, s[38:39]
	s_cbranch_execnz .LBB1096_160
	s_branch .LBB1096_161
.LBB1096_240:
	s_and_saveexec_b64 s[38:39], s[28:29]
	s_cbranch_execnz .LBB1096_296
; %bb.241:
	s_or_b64 exec, exec, s[38:39]
	s_and_saveexec_b64 s[28:29], s[26:27]
	s_cbranch_execnz .LBB1096_297
.LBB1096_242:
	s_or_b64 exec, exec, s[28:29]
	s_and_saveexec_b64 s[26:27], s[24:25]
	s_cbranch_execnz .LBB1096_298
.LBB1096_243:
	s_or_b64 exec, exec, s[26:27]
	s_and_saveexec_b64 s[24:25], s[22:23]
	s_cbranch_execnz .LBB1096_299
.LBB1096_244:
	s_or_b64 exec, exec, s[24:25]
	s_and_saveexec_b64 s[22:23], s[20:21]
	s_cbranch_execnz .LBB1096_300
.LBB1096_245:
	s_or_b64 exec, exec, s[22:23]
	s_and_saveexec_b64 s[20:21], s[18:19]
	s_cbranch_execnz .LBB1096_301
.LBB1096_246:
	s_or_b64 exec, exec, s[20:21]
	s_and_saveexec_b64 s[18:19], s[16:17]
	s_cbranch_execnz .LBB1096_302
.LBB1096_247:
	s_or_b64 exec, exec, s[18:19]
	s_and_saveexec_b64 s[16:17], s[14:15]
	s_cbranch_execnz .LBB1096_303
.LBB1096_248:
	s_or_b64 exec, exec, s[16:17]
	s_and_saveexec_b64 s[14:15], s[12:13]
	s_cbranch_execnz .LBB1096_304
.LBB1096_249:
	s_or_b64 exec, exec, s[14:15]
	s_and_saveexec_b64 s[12:13], s[10:11]
	s_cbranch_execnz .LBB1096_305
.LBB1096_250:
	s_or_b64 exec, exec, s[12:13]
	s_and_saveexec_b64 s[10:11], s[8:9]
	s_cbranch_execnz .LBB1096_306
.LBB1096_251:
	s_or_b64 exec, exec, s[10:11]
	s_and_saveexec_b64 s[8:9], s[6:7]
	s_cbranch_execnz .LBB1096_307
.LBB1096_252:
	s_or_b64 exec, exec, s[8:9]
	s_and_saveexec_b64 s[6:7], s[4:5]
	s_cbranch_execnz .LBB1096_308
.LBB1096_253:
	s_or_b64 exec, exec, s[6:7]
	s_and_saveexec_b64 s[4:5], s[2:3]
	s_cbranch_execz .LBB1096_255
.LBB1096_254:
	v_sub_u32_e32 v10, v36, v9
	v_lshlrev_b32_e32 v10, 2, v10
	ds_write_b32 v10, v37
.LBB1096_255:
	s_or_b64 exec, exec, s[4:5]
	s_and_b64 s[38:39], s[0:1], exec
                                        ; implicit-def: $vgpr64_vgpr65
                                        ; implicit-def: $vgpr62_vgpr63
                                        ; implicit-def: $vgpr60_vgpr61
                                        ; implicit-def: $vgpr58_vgpr59
                                        ; implicit-def: $vgpr56_vgpr57
                                        ; implicit-def: $vgpr54_vgpr55
                                        ; implicit-def: $vgpr52_vgpr53
                                        ; implicit-def: $vgpr50_vgpr51
                                        ; implicit-def: $vgpr48_vgpr49
                                        ; implicit-def: $vgpr46_vgpr47
                                        ; implicit-def: $vgpr44_vgpr45
                                        ; implicit-def: $vgpr42_vgpr43
                                        ; implicit-def: $vgpr38_vgpr39
                                        ; implicit-def: $vgpr36_vgpr37
	s_andn2_saveexec_b64 s[0:1], s[36:37]
	s_cbranch_execz .LBB1096_166
.LBB1096_256:
	v_sub_u32_e32 v10, v64, v9
	v_lshlrev_b32_e32 v10, 2, v10
	ds_write_b32 v10, v65
	v_sub_u32_e32 v10, v62, v9
	v_lshlrev_b32_e32 v10, 2, v10
	ds_write_b32 v10, v63
	;; [unrolled: 3-line block ×13, first 2 shown]
	v_sub_u32_e32 v10, v36, v9
	v_lshlrev_b32_e32 v10, 2, v10
	s_or_b64 s[38:39], s[38:39], exec
	ds_write_b32 v10, v37
	s_or_b64 exec, exec, s[0:1]
	s_and_b64 exec, exec, s[38:39]
	s_cbranch_execnz .LBB1096_167
	s_branch .LBB1096_168
.LBB1096_257:
	v_sub_u32_e32 v28, v64, v4
	v_mov_b32_e32 v29, 0
	v_lshlrev_b64 v[28:29], 2, v[28:29]
	v_add_co_u32_e32 v28, vcc, v3, v28
	v_addc_co_u32_e32 v29, vcc, v5, v29, vcc
	global_store_dword v[28:29], v20, off
	s_or_b64 exec, exec, s[40:41]
	s_and_saveexec_b64 s[40:41], s[26:27]
	s_cbranch_execz .LBB1096_191
.LBB1096_258:
	v_sub_u32_e32 v28, v62, v4
	v_mov_b32_e32 v29, 0
	v_lshlrev_b64 v[28:29], 2, v[28:29]
	v_add_co_u32_e32 v28, vcc, v3, v28
	v_addc_co_u32_e32 v29, vcc, v5, v29, vcc
	global_store_dword v[28:29], v21, off
	s_or_b64 exec, exec, s[40:41]
	s_and_saveexec_b64 s[40:41], s[24:25]
	s_cbranch_execz .LBB1096_192
.LBB1096_259:
	v_sub_u32_e32 v28, v60, v4
	v_mov_b32_e32 v29, 0
	v_lshlrev_b64 v[28:29], 2, v[28:29]
	v_add_co_u32_e32 v28, vcc, v3, v28
	v_addc_co_u32_e32 v29, vcc, v5, v29, vcc
	global_store_dword v[28:29], v18, off
	s_or_b64 exec, exec, s[40:41]
	s_and_saveexec_b64 s[40:41], s[22:23]
	s_cbranch_execz .LBB1096_193
.LBB1096_260:
	v_sub_u32_e32 v28, v58, v4
	v_mov_b32_e32 v29, 0
	v_lshlrev_b64 v[28:29], 2, v[28:29]
	v_add_co_u32_e32 v28, vcc, v3, v28
	v_addc_co_u32_e32 v29, vcc, v5, v29, vcc
	global_store_dword v[28:29], v19, off
	s_or_b64 exec, exec, s[40:41]
	s_and_saveexec_b64 s[40:41], s[20:21]
	s_cbranch_execz .LBB1096_194
.LBB1096_261:
	v_sub_u32_e32 v28, v56, v4
	v_mov_b32_e32 v29, 0
	v_lshlrev_b64 v[28:29], 2, v[28:29]
	v_add_co_u32_e32 v28, vcc, v3, v28
	v_addc_co_u32_e32 v29, vcc, v5, v29, vcc
	global_store_dword v[28:29], v16, off
	s_or_b64 exec, exec, s[40:41]
	s_and_saveexec_b64 s[40:41], s[18:19]
	s_cbranch_execz .LBB1096_195
.LBB1096_262:
	v_sub_u32_e32 v28, v54, v4
	v_mov_b32_e32 v29, 0
	v_lshlrev_b64 v[28:29], 2, v[28:29]
	v_add_co_u32_e32 v28, vcc, v3, v28
	v_addc_co_u32_e32 v29, vcc, v5, v29, vcc
	global_store_dword v[28:29], v17, off
	s_or_b64 exec, exec, s[40:41]
	s_and_saveexec_b64 s[40:41], s[16:17]
	s_cbranch_execz .LBB1096_196
.LBB1096_263:
	v_sub_u32_e32 v28, v52, v4
	v_mov_b32_e32 v29, 0
	v_lshlrev_b64 v[28:29], 2, v[28:29]
	v_add_co_u32_e32 v28, vcc, v3, v28
	v_addc_co_u32_e32 v29, vcc, v5, v29, vcc
	global_store_dword v[28:29], v14, off
	s_or_b64 exec, exec, s[40:41]
	s_and_saveexec_b64 s[40:41], s[14:15]
	s_cbranch_execz .LBB1096_197
.LBB1096_264:
	v_sub_u32_e32 v28, v50, v4
	v_mov_b32_e32 v29, 0
	v_lshlrev_b64 v[28:29], 2, v[28:29]
	v_add_co_u32_e32 v28, vcc, v3, v28
	v_addc_co_u32_e32 v29, vcc, v5, v29, vcc
	global_store_dword v[28:29], v15, off
	s_or_b64 exec, exec, s[40:41]
	s_and_saveexec_b64 s[40:41], s[12:13]
	s_cbranch_execz .LBB1096_198
.LBB1096_265:
	v_sub_u32_e32 v28, v48, v4
	v_mov_b32_e32 v29, 0
	v_lshlrev_b64 v[28:29], 2, v[28:29]
	v_add_co_u32_e32 v28, vcc, v3, v28
	v_addc_co_u32_e32 v29, vcc, v5, v29, vcc
	global_store_dword v[28:29], v12, off
	s_or_b64 exec, exec, s[40:41]
	s_and_saveexec_b64 s[40:41], s[10:11]
	s_cbranch_execz .LBB1096_199
.LBB1096_266:
	v_sub_u32_e32 v28, v46, v4
	v_mov_b32_e32 v29, 0
	v_lshlrev_b64 v[28:29], 2, v[28:29]
	v_add_co_u32_e32 v28, vcc, v3, v28
	v_addc_co_u32_e32 v29, vcc, v5, v29, vcc
	global_store_dword v[28:29], v13, off
	s_or_b64 exec, exec, s[40:41]
	s_and_saveexec_b64 s[40:41], s[8:9]
	s_cbranch_execz .LBB1096_200
.LBB1096_267:
	v_sub_u32_e32 v28, v44, v4
	v_mov_b32_e32 v29, 0
	v_lshlrev_b64 v[28:29], 2, v[28:29]
	v_add_co_u32_e32 v28, vcc, v3, v28
	v_addc_co_u32_e32 v29, vcc, v5, v29, vcc
	global_store_dword v[28:29], v10, off
	s_or_b64 exec, exec, s[40:41]
	s_and_saveexec_b64 s[40:41], s[6:7]
	s_cbranch_execz .LBB1096_201
.LBB1096_268:
	v_sub_u32_e32 v28, v42, v4
	v_mov_b32_e32 v29, 0
	v_lshlrev_b64 v[28:29], 2, v[28:29]
	v_add_co_u32_e32 v28, vcc, v3, v28
	v_addc_co_u32_e32 v29, vcc, v5, v29, vcc
	global_store_dword v[28:29], v11, off
	s_or_b64 exec, exec, s[40:41]
	s_and_saveexec_b64 s[40:41], s[4:5]
	s_cbranch_execz .LBB1096_202
.LBB1096_269:
	v_sub_u32_e32 v28, v38, v4
	v_mov_b32_e32 v29, 0
	v_lshlrev_b64 v[28:29], 2, v[28:29]
	v_add_co_u32_e32 v28, vcc, v3, v28
	v_addc_co_u32_e32 v29, vcc, v5, v29, vcc
	global_store_dword v[28:29], v8, off
	s_or_b64 exec, exec, s[40:41]
	s_and_saveexec_b64 s[40:41], s[2:3]
	s_cbranch_execnz .LBB1096_203
	s_branch .LBB1096_204
.LBB1096_270:
	v_sub_u32_e32 v26, v64, v4
	v_lshlrev_b32_e32 v26, 2, v26
	ds_write_b32 v26, v20
	s_or_b64 exec, exec, s[40:41]
	s_and_saveexec_b64 s[28:29], s[26:27]
	s_cbranch_execz .LBB1096_208
.LBB1096_271:
	v_sub_u32_e32 v20, v62, v4
	v_lshlrev_b32_e32 v20, 2, v20
	ds_write_b32 v20, v21
	s_or_b64 exec, exec, s[28:29]
	s_and_saveexec_b64 s[26:27], s[24:25]
	s_cbranch_execz .LBB1096_209
.LBB1096_272:
	v_sub_u32_e32 v20, v60, v4
	v_lshlrev_b32_e32 v20, 2, v20
	ds_write_b32 v20, v18
	s_or_b64 exec, exec, s[26:27]
	s_and_saveexec_b64 s[24:25], s[22:23]
	s_cbranch_execz .LBB1096_210
.LBB1096_273:
	v_sub_u32_e32 v18, v58, v4
	v_lshlrev_b32_e32 v18, 2, v18
	ds_write_b32 v18, v19
	s_or_b64 exec, exec, s[24:25]
	s_and_saveexec_b64 s[22:23], s[20:21]
	s_cbranch_execz .LBB1096_211
.LBB1096_274:
	v_sub_u32_e32 v18, v56, v4
	v_lshlrev_b32_e32 v18, 2, v18
	ds_write_b32 v18, v16
	s_or_b64 exec, exec, s[22:23]
	s_and_saveexec_b64 s[20:21], s[18:19]
	s_cbranch_execz .LBB1096_212
.LBB1096_275:
	v_sub_u32_e32 v16, v54, v4
	v_lshlrev_b32_e32 v16, 2, v16
	ds_write_b32 v16, v17
	s_or_b64 exec, exec, s[20:21]
	s_and_saveexec_b64 s[18:19], s[16:17]
	s_cbranch_execz .LBB1096_213
.LBB1096_276:
	v_sub_u32_e32 v16, v52, v4
	v_lshlrev_b32_e32 v16, 2, v16
	ds_write_b32 v16, v14
	s_or_b64 exec, exec, s[18:19]
	s_and_saveexec_b64 s[16:17], s[14:15]
	s_cbranch_execz .LBB1096_214
.LBB1096_277:
	v_sub_u32_e32 v14, v50, v4
	v_lshlrev_b32_e32 v14, 2, v14
	ds_write_b32 v14, v15
	s_or_b64 exec, exec, s[16:17]
	s_and_saveexec_b64 s[14:15], s[12:13]
	s_cbranch_execz .LBB1096_215
.LBB1096_278:
	v_sub_u32_e32 v14, v48, v4
	v_lshlrev_b32_e32 v14, 2, v14
	ds_write_b32 v14, v12
	s_or_b64 exec, exec, s[14:15]
	s_and_saveexec_b64 s[12:13], s[10:11]
	s_cbranch_execz .LBB1096_216
.LBB1096_279:
	v_sub_u32_e32 v12, v46, v4
	v_lshlrev_b32_e32 v12, 2, v12
	ds_write_b32 v12, v13
	s_or_b64 exec, exec, s[12:13]
	s_and_saveexec_b64 s[10:11], s[8:9]
	s_cbranch_execz .LBB1096_217
.LBB1096_280:
	v_sub_u32_e32 v12, v44, v4
	v_lshlrev_b32_e32 v12, 2, v12
	ds_write_b32 v12, v10
	s_or_b64 exec, exec, s[10:11]
	s_and_saveexec_b64 s[8:9], s[6:7]
	s_cbranch_execz .LBB1096_218
.LBB1096_281:
	v_sub_u32_e32 v10, v42, v4
	v_lshlrev_b32_e32 v10, 2, v10
	ds_write_b32 v10, v11
	s_or_b64 exec, exec, s[8:9]
	s_and_saveexec_b64 s[6:7], s[4:5]
	s_cbranch_execz .LBB1096_219
.LBB1096_282:
	v_sub_u32_e32 v10, v38, v4
	v_lshlrev_b32_e32 v10, 2, v10
	ds_write_b32 v10, v8
	s_or_b64 exec, exec, s[6:7]
	s_and_saveexec_b64 s[4:5], s[2:3]
	s_cbranch_execnz .LBB1096_220
	s_branch .LBB1096_221
.LBB1096_283:
	v_sub_u32_e32 v16, v64, v9
	v_mov_b32_e32 v17, 0
	v_lshlrev_b64 v[16:17], 2, v[16:17]
	v_add_co_u32_e32 v16, vcc, v13, v16
	v_addc_co_u32_e32 v17, vcc, v14, v17, vcc
	global_store_dword v[16:17], v65, off
	s_or_b64 exec, exec, s[38:39]
	s_and_saveexec_b64 s[38:39], s[26:27]
	s_cbranch_execz .LBB1096_225
.LBB1096_284:
	v_sub_u32_e32 v16, v62, v9
	v_mov_b32_e32 v17, 0
	v_lshlrev_b64 v[16:17], 2, v[16:17]
	v_add_co_u32_e32 v16, vcc, v13, v16
	v_addc_co_u32_e32 v17, vcc, v14, v17, vcc
	global_store_dword v[16:17], v63, off
	s_or_b64 exec, exec, s[38:39]
	s_and_saveexec_b64 s[38:39], s[24:25]
	s_cbranch_execz .LBB1096_226
.LBB1096_285:
	v_sub_u32_e32 v16, v60, v9
	v_mov_b32_e32 v17, 0
	v_lshlrev_b64 v[16:17], 2, v[16:17]
	v_add_co_u32_e32 v16, vcc, v13, v16
	v_addc_co_u32_e32 v17, vcc, v14, v17, vcc
	global_store_dword v[16:17], v61, off
	s_or_b64 exec, exec, s[38:39]
	s_and_saveexec_b64 s[38:39], s[22:23]
	s_cbranch_execz .LBB1096_227
.LBB1096_286:
	v_sub_u32_e32 v16, v58, v9
	v_mov_b32_e32 v17, 0
	v_lshlrev_b64 v[16:17], 2, v[16:17]
	v_add_co_u32_e32 v16, vcc, v13, v16
	v_addc_co_u32_e32 v17, vcc, v14, v17, vcc
	global_store_dword v[16:17], v59, off
	s_or_b64 exec, exec, s[38:39]
	s_and_saveexec_b64 s[38:39], s[20:21]
	s_cbranch_execz .LBB1096_228
.LBB1096_287:
	v_sub_u32_e32 v16, v56, v9
	v_mov_b32_e32 v17, 0
	v_lshlrev_b64 v[16:17], 2, v[16:17]
	v_add_co_u32_e32 v16, vcc, v13, v16
	v_addc_co_u32_e32 v17, vcc, v14, v17, vcc
	global_store_dword v[16:17], v57, off
	s_or_b64 exec, exec, s[38:39]
	s_and_saveexec_b64 s[38:39], s[18:19]
	s_cbranch_execz .LBB1096_229
.LBB1096_288:
	v_sub_u32_e32 v16, v54, v9
	v_mov_b32_e32 v17, 0
	v_lshlrev_b64 v[16:17], 2, v[16:17]
	v_add_co_u32_e32 v16, vcc, v13, v16
	v_addc_co_u32_e32 v17, vcc, v14, v17, vcc
	global_store_dword v[16:17], v55, off
	s_or_b64 exec, exec, s[38:39]
	s_and_saveexec_b64 s[38:39], s[16:17]
	s_cbranch_execz .LBB1096_230
.LBB1096_289:
	v_sub_u32_e32 v16, v52, v9
	v_mov_b32_e32 v17, 0
	v_lshlrev_b64 v[16:17], 2, v[16:17]
	v_add_co_u32_e32 v16, vcc, v13, v16
	v_addc_co_u32_e32 v17, vcc, v14, v17, vcc
	global_store_dword v[16:17], v53, off
	s_or_b64 exec, exec, s[38:39]
	s_and_saveexec_b64 s[38:39], s[14:15]
	s_cbranch_execz .LBB1096_231
.LBB1096_290:
	v_sub_u32_e32 v16, v50, v9
	v_mov_b32_e32 v17, 0
	v_lshlrev_b64 v[16:17], 2, v[16:17]
	v_add_co_u32_e32 v16, vcc, v13, v16
	v_addc_co_u32_e32 v17, vcc, v14, v17, vcc
	global_store_dword v[16:17], v51, off
	s_or_b64 exec, exec, s[38:39]
	s_and_saveexec_b64 s[38:39], s[12:13]
	s_cbranch_execz .LBB1096_232
.LBB1096_291:
	v_sub_u32_e32 v16, v48, v9
	v_mov_b32_e32 v17, 0
	v_lshlrev_b64 v[16:17], 2, v[16:17]
	v_add_co_u32_e32 v16, vcc, v13, v16
	v_addc_co_u32_e32 v17, vcc, v14, v17, vcc
	global_store_dword v[16:17], v49, off
	s_or_b64 exec, exec, s[38:39]
	s_and_saveexec_b64 s[38:39], s[10:11]
	s_cbranch_execz .LBB1096_233
.LBB1096_292:
	v_sub_u32_e32 v16, v46, v9
	v_mov_b32_e32 v17, 0
	v_lshlrev_b64 v[16:17], 2, v[16:17]
	v_add_co_u32_e32 v16, vcc, v13, v16
	v_addc_co_u32_e32 v17, vcc, v14, v17, vcc
	global_store_dword v[16:17], v47, off
	s_or_b64 exec, exec, s[38:39]
	s_and_saveexec_b64 s[38:39], s[8:9]
	s_cbranch_execz .LBB1096_234
.LBB1096_293:
	v_sub_u32_e32 v16, v44, v9
	v_mov_b32_e32 v17, 0
	v_lshlrev_b64 v[16:17], 2, v[16:17]
	v_add_co_u32_e32 v16, vcc, v13, v16
	v_addc_co_u32_e32 v17, vcc, v14, v17, vcc
	global_store_dword v[16:17], v45, off
	s_or_b64 exec, exec, s[38:39]
	s_and_saveexec_b64 s[38:39], s[6:7]
	s_cbranch_execz .LBB1096_235
.LBB1096_294:
	v_sub_u32_e32 v16, v42, v9
	v_mov_b32_e32 v17, 0
	v_lshlrev_b64 v[16:17], 2, v[16:17]
	v_add_co_u32_e32 v16, vcc, v13, v16
	v_addc_co_u32_e32 v17, vcc, v14, v17, vcc
	global_store_dword v[16:17], v43, off
	s_or_b64 exec, exec, s[38:39]
	s_and_saveexec_b64 s[38:39], s[4:5]
	s_cbranch_execz .LBB1096_236
.LBB1096_295:
	v_sub_u32_e32 v16, v38, v9
	v_mov_b32_e32 v17, 0
	v_lshlrev_b64 v[16:17], 2, v[16:17]
	v_add_co_u32_e32 v16, vcc, v13, v16
	v_addc_co_u32_e32 v17, vcc, v14, v17, vcc
	global_store_dword v[16:17], v39, off
	s_or_b64 exec, exec, s[38:39]
	s_and_saveexec_b64 s[38:39], s[2:3]
	s_cbranch_execnz .LBB1096_237
	s_branch .LBB1096_238
.LBB1096_296:
	v_sub_u32_e32 v10, v64, v9
	v_lshlrev_b32_e32 v10, 2, v10
	ds_write_b32 v10, v65
	s_or_b64 exec, exec, s[38:39]
	s_and_saveexec_b64 s[28:29], s[26:27]
	s_cbranch_execz .LBB1096_242
.LBB1096_297:
	v_sub_u32_e32 v10, v62, v9
	v_lshlrev_b32_e32 v10, 2, v10
	ds_write_b32 v10, v63
	s_or_b64 exec, exec, s[28:29]
	s_and_saveexec_b64 s[26:27], s[24:25]
	s_cbranch_execz .LBB1096_243
.LBB1096_298:
	v_sub_u32_e32 v10, v60, v9
	v_lshlrev_b32_e32 v10, 2, v10
	ds_write_b32 v10, v61
	s_or_b64 exec, exec, s[26:27]
	s_and_saveexec_b64 s[24:25], s[22:23]
	s_cbranch_execz .LBB1096_244
.LBB1096_299:
	v_sub_u32_e32 v10, v58, v9
	v_lshlrev_b32_e32 v10, 2, v10
	ds_write_b32 v10, v59
	s_or_b64 exec, exec, s[24:25]
	s_and_saveexec_b64 s[22:23], s[20:21]
	s_cbranch_execz .LBB1096_245
.LBB1096_300:
	v_sub_u32_e32 v10, v56, v9
	v_lshlrev_b32_e32 v10, 2, v10
	ds_write_b32 v10, v57
	s_or_b64 exec, exec, s[22:23]
	s_and_saveexec_b64 s[20:21], s[18:19]
	s_cbranch_execz .LBB1096_246
.LBB1096_301:
	v_sub_u32_e32 v10, v54, v9
	v_lshlrev_b32_e32 v10, 2, v10
	ds_write_b32 v10, v55
	s_or_b64 exec, exec, s[20:21]
	s_and_saveexec_b64 s[18:19], s[16:17]
	s_cbranch_execz .LBB1096_247
.LBB1096_302:
	v_sub_u32_e32 v10, v52, v9
	v_lshlrev_b32_e32 v10, 2, v10
	ds_write_b32 v10, v53
	s_or_b64 exec, exec, s[18:19]
	s_and_saveexec_b64 s[16:17], s[14:15]
	s_cbranch_execz .LBB1096_248
.LBB1096_303:
	v_sub_u32_e32 v10, v50, v9
	v_lshlrev_b32_e32 v10, 2, v10
	ds_write_b32 v10, v51
	s_or_b64 exec, exec, s[16:17]
	s_and_saveexec_b64 s[14:15], s[12:13]
	s_cbranch_execz .LBB1096_249
.LBB1096_304:
	v_sub_u32_e32 v10, v48, v9
	v_lshlrev_b32_e32 v10, 2, v10
	ds_write_b32 v10, v49
	s_or_b64 exec, exec, s[14:15]
	s_and_saveexec_b64 s[12:13], s[10:11]
	s_cbranch_execz .LBB1096_250
.LBB1096_305:
	v_sub_u32_e32 v10, v46, v9
	v_lshlrev_b32_e32 v10, 2, v10
	ds_write_b32 v10, v47
	s_or_b64 exec, exec, s[12:13]
	s_and_saveexec_b64 s[10:11], s[8:9]
	s_cbranch_execz .LBB1096_251
.LBB1096_306:
	v_sub_u32_e32 v10, v44, v9
	v_lshlrev_b32_e32 v10, 2, v10
	ds_write_b32 v10, v45
	s_or_b64 exec, exec, s[10:11]
	s_and_saveexec_b64 s[8:9], s[6:7]
	s_cbranch_execz .LBB1096_252
.LBB1096_307:
	v_sub_u32_e32 v10, v42, v9
	v_lshlrev_b32_e32 v10, 2, v10
	ds_write_b32 v10, v43
	s_or_b64 exec, exec, s[8:9]
	s_and_saveexec_b64 s[6:7], s[4:5]
	s_cbranch_execz .LBB1096_253
.LBB1096_308:
	v_sub_u32_e32 v10, v38, v9
	v_lshlrev_b32_e32 v10, 2, v10
	ds_write_b32 v10, v39
	s_or_b64 exec, exec, s[6:7]
	s_and_saveexec_b64 s[4:5], s[2:3]
	s_cbranch_execnz .LBB1096_254
	s_branch .LBB1096_255
	.section	.rodata,"a",@progbits
	.p2align	6, 0x0
	.amdhsa_kernel _ZN7rocprim17ROCPRIM_400000_NS6detail17trampoline_kernelINS0_14default_configENS1_29reduce_by_key_config_selectorIiiN6thrust23THRUST_200600_302600_NS4plusIiEEEEZZNS1_33reduce_by_key_impl_wrapped_configILNS1_25lookback_scan_determinismE0ES3_S9_NS6_10device_ptrIiEESD_SD_SD_PmS8_NS6_8equal_toIiEEEE10hipError_tPvRmT2_T3_mT4_T5_T6_T7_T8_P12ihipStream_tbENKUlT_T0_E_clISt17integral_constantIbLb0EESY_EEDaST_SU_EUlST_E_NS1_11comp_targetILNS1_3genE4ELNS1_11target_archE910ELNS1_3gpuE8ELNS1_3repE0EEENS1_30default_config_static_selectorELNS0_4arch9wavefront6targetE1EEEvT1_
		.amdhsa_group_segment_fixed_size 15360
		.amdhsa_private_segment_fixed_size 0
		.amdhsa_kernarg_size 120
		.amdhsa_user_sgpr_count 6
		.amdhsa_user_sgpr_private_segment_buffer 1
		.amdhsa_user_sgpr_dispatch_ptr 0
		.amdhsa_user_sgpr_queue_ptr 0
		.amdhsa_user_sgpr_kernarg_segment_ptr 1
		.amdhsa_user_sgpr_dispatch_id 0
		.amdhsa_user_sgpr_flat_scratch_init 0
		.amdhsa_user_sgpr_kernarg_preload_length 0
		.amdhsa_user_sgpr_kernarg_preload_offset 0
		.amdhsa_user_sgpr_private_segment_size 0
		.amdhsa_uses_dynamic_stack 0
		.amdhsa_system_sgpr_private_segment_wavefront_offset 0
		.amdhsa_system_sgpr_workgroup_id_x 1
		.amdhsa_system_sgpr_workgroup_id_y 0
		.amdhsa_system_sgpr_workgroup_id_z 0
		.amdhsa_system_sgpr_workgroup_info 0
		.amdhsa_system_vgpr_workitem_id 0
		.amdhsa_next_free_vgpr 106
		.amdhsa_next_free_sgpr 64
		.amdhsa_accum_offset 108
		.amdhsa_reserve_vcc 1
		.amdhsa_reserve_flat_scratch 0
		.amdhsa_float_round_mode_32 0
		.amdhsa_float_round_mode_16_64 0
		.amdhsa_float_denorm_mode_32 3
		.amdhsa_float_denorm_mode_16_64 3
		.amdhsa_dx10_clamp 1
		.amdhsa_ieee_mode 1
		.amdhsa_fp16_overflow 0
		.amdhsa_tg_split 0
		.amdhsa_exception_fp_ieee_invalid_op 0
		.amdhsa_exception_fp_denorm_src 0
		.amdhsa_exception_fp_ieee_div_zero 0
		.amdhsa_exception_fp_ieee_overflow 0
		.amdhsa_exception_fp_ieee_underflow 0
		.amdhsa_exception_fp_ieee_inexact 0
		.amdhsa_exception_int_div_zero 0
	.end_amdhsa_kernel
	.section	.text._ZN7rocprim17ROCPRIM_400000_NS6detail17trampoline_kernelINS0_14default_configENS1_29reduce_by_key_config_selectorIiiN6thrust23THRUST_200600_302600_NS4plusIiEEEEZZNS1_33reduce_by_key_impl_wrapped_configILNS1_25lookback_scan_determinismE0ES3_S9_NS6_10device_ptrIiEESD_SD_SD_PmS8_NS6_8equal_toIiEEEE10hipError_tPvRmT2_T3_mT4_T5_T6_T7_T8_P12ihipStream_tbENKUlT_T0_E_clISt17integral_constantIbLb0EESY_EEDaST_SU_EUlST_E_NS1_11comp_targetILNS1_3genE4ELNS1_11target_archE910ELNS1_3gpuE8ELNS1_3repE0EEENS1_30default_config_static_selectorELNS0_4arch9wavefront6targetE1EEEvT1_,"axG",@progbits,_ZN7rocprim17ROCPRIM_400000_NS6detail17trampoline_kernelINS0_14default_configENS1_29reduce_by_key_config_selectorIiiN6thrust23THRUST_200600_302600_NS4plusIiEEEEZZNS1_33reduce_by_key_impl_wrapped_configILNS1_25lookback_scan_determinismE0ES3_S9_NS6_10device_ptrIiEESD_SD_SD_PmS8_NS6_8equal_toIiEEEE10hipError_tPvRmT2_T3_mT4_T5_T6_T7_T8_P12ihipStream_tbENKUlT_T0_E_clISt17integral_constantIbLb0EESY_EEDaST_SU_EUlST_E_NS1_11comp_targetILNS1_3genE4ELNS1_11target_archE910ELNS1_3gpuE8ELNS1_3repE0EEENS1_30default_config_static_selectorELNS0_4arch9wavefront6targetE1EEEvT1_,comdat
.Lfunc_end1096:
	.size	_ZN7rocprim17ROCPRIM_400000_NS6detail17trampoline_kernelINS0_14default_configENS1_29reduce_by_key_config_selectorIiiN6thrust23THRUST_200600_302600_NS4plusIiEEEEZZNS1_33reduce_by_key_impl_wrapped_configILNS1_25lookback_scan_determinismE0ES3_S9_NS6_10device_ptrIiEESD_SD_SD_PmS8_NS6_8equal_toIiEEEE10hipError_tPvRmT2_T3_mT4_T5_T6_T7_T8_P12ihipStream_tbENKUlT_T0_E_clISt17integral_constantIbLb0EESY_EEDaST_SU_EUlST_E_NS1_11comp_targetILNS1_3genE4ELNS1_11target_archE910ELNS1_3gpuE8ELNS1_3repE0EEENS1_30default_config_static_selectorELNS0_4arch9wavefront6targetE1EEEvT1_, .Lfunc_end1096-_ZN7rocprim17ROCPRIM_400000_NS6detail17trampoline_kernelINS0_14default_configENS1_29reduce_by_key_config_selectorIiiN6thrust23THRUST_200600_302600_NS4plusIiEEEEZZNS1_33reduce_by_key_impl_wrapped_configILNS1_25lookback_scan_determinismE0ES3_S9_NS6_10device_ptrIiEESD_SD_SD_PmS8_NS6_8equal_toIiEEEE10hipError_tPvRmT2_T3_mT4_T5_T6_T7_T8_P12ihipStream_tbENKUlT_T0_E_clISt17integral_constantIbLb0EESY_EEDaST_SU_EUlST_E_NS1_11comp_targetILNS1_3genE4ELNS1_11target_archE910ELNS1_3gpuE8ELNS1_3repE0EEENS1_30default_config_static_selectorELNS0_4arch9wavefront6targetE1EEEvT1_
                                        ; -- End function
	.section	.AMDGPU.csdata,"",@progbits
; Kernel info:
; codeLenInByte = 17140
; NumSgprs: 68
; NumVgprs: 106
; NumAgprs: 0
; TotalNumVgprs: 106
; ScratchSize: 0
; MemoryBound: 0
; FloatMode: 240
; IeeeMode: 1
; LDSByteSize: 15360 bytes/workgroup (compile time only)
; SGPRBlocks: 8
; VGPRBlocks: 13
; NumSGPRsForWavesPerEU: 68
; NumVGPRsForWavesPerEU: 106
; AccumOffset: 108
; Occupancy: 4
; WaveLimiterHint : 1
; COMPUTE_PGM_RSRC2:SCRATCH_EN: 0
; COMPUTE_PGM_RSRC2:USER_SGPR: 6
; COMPUTE_PGM_RSRC2:TRAP_HANDLER: 0
; COMPUTE_PGM_RSRC2:TGID_X_EN: 1
; COMPUTE_PGM_RSRC2:TGID_Y_EN: 0
; COMPUTE_PGM_RSRC2:TGID_Z_EN: 0
; COMPUTE_PGM_RSRC2:TIDIG_COMP_CNT: 0
; COMPUTE_PGM_RSRC3_GFX90A:ACCUM_OFFSET: 26
; COMPUTE_PGM_RSRC3_GFX90A:TG_SPLIT: 0
	.section	.text._ZN7rocprim17ROCPRIM_400000_NS6detail17trampoline_kernelINS0_14default_configENS1_29reduce_by_key_config_selectorIiiN6thrust23THRUST_200600_302600_NS4plusIiEEEEZZNS1_33reduce_by_key_impl_wrapped_configILNS1_25lookback_scan_determinismE0ES3_S9_NS6_10device_ptrIiEESD_SD_SD_PmS8_NS6_8equal_toIiEEEE10hipError_tPvRmT2_T3_mT4_T5_T6_T7_T8_P12ihipStream_tbENKUlT_T0_E_clISt17integral_constantIbLb0EESY_EEDaST_SU_EUlST_E_NS1_11comp_targetILNS1_3genE3ELNS1_11target_archE908ELNS1_3gpuE7ELNS1_3repE0EEENS1_30default_config_static_selectorELNS0_4arch9wavefront6targetE1EEEvT1_,"axG",@progbits,_ZN7rocprim17ROCPRIM_400000_NS6detail17trampoline_kernelINS0_14default_configENS1_29reduce_by_key_config_selectorIiiN6thrust23THRUST_200600_302600_NS4plusIiEEEEZZNS1_33reduce_by_key_impl_wrapped_configILNS1_25lookback_scan_determinismE0ES3_S9_NS6_10device_ptrIiEESD_SD_SD_PmS8_NS6_8equal_toIiEEEE10hipError_tPvRmT2_T3_mT4_T5_T6_T7_T8_P12ihipStream_tbENKUlT_T0_E_clISt17integral_constantIbLb0EESY_EEDaST_SU_EUlST_E_NS1_11comp_targetILNS1_3genE3ELNS1_11target_archE908ELNS1_3gpuE7ELNS1_3repE0EEENS1_30default_config_static_selectorELNS0_4arch9wavefront6targetE1EEEvT1_,comdat
	.protected	_ZN7rocprim17ROCPRIM_400000_NS6detail17trampoline_kernelINS0_14default_configENS1_29reduce_by_key_config_selectorIiiN6thrust23THRUST_200600_302600_NS4plusIiEEEEZZNS1_33reduce_by_key_impl_wrapped_configILNS1_25lookback_scan_determinismE0ES3_S9_NS6_10device_ptrIiEESD_SD_SD_PmS8_NS6_8equal_toIiEEEE10hipError_tPvRmT2_T3_mT4_T5_T6_T7_T8_P12ihipStream_tbENKUlT_T0_E_clISt17integral_constantIbLb0EESY_EEDaST_SU_EUlST_E_NS1_11comp_targetILNS1_3genE3ELNS1_11target_archE908ELNS1_3gpuE7ELNS1_3repE0EEENS1_30default_config_static_selectorELNS0_4arch9wavefront6targetE1EEEvT1_ ; -- Begin function _ZN7rocprim17ROCPRIM_400000_NS6detail17trampoline_kernelINS0_14default_configENS1_29reduce_by_key_config_selectorIiiN6thrust23THRUST_200600_302600_NS4plusIiEEEEZZNS1_33reduce_by_key_impl_wrapped_configILNS1_25lookback_scan_determinismE0ES3_S9_NS6_10device_ptrIiEESD_SD_SD_PmS8_NS6_8equal_toIiEEEE10hipError_tPvRmT2_T3_mT4_T5_T6_T7_T8_P12ihipStream_tbENKUlT_T0_E_clISt17integral_constantIbLb0EESY_EEDaST_SU_EUlST_E_NS1_11comp_targetILNS1_3genE3ELNS1_11target_archE908ELNS1_3gpuE7ELNS1_3repE0EEENS1_30default_config_static_selectorELNS0_4arch9wavefront6targetE1EEEvT1_
	.globl	_ZN7rocprim17ROCPRIM_400000_NS6detail17trampoline_kernelINS0_14default_configENS1_29reduce_by_key_config_selectorIiiN6thrust23THRUST_200600_302600_NS4plusIiEEEEZZNS1_33reduce_by_key_impl_wrapped_configILNS1_25lookback_scan_determinismE0ES3_S9_NS6_10device_ptrIiEESD_SD_SD_PmS8_NS6_8equal_toIiEEEE10hipError_tPvRmT2_T3_mT4_T5_T6_T7_T8_P12ihipStream_tbENKUlT_T0_E_clISt17integral_constantIbLb0EESY_EEDaST_SU_EUlST_E_NS1_11comp_targetILNS1_3genE3ELNS1_11target_archE908ELNS1_3gpuE7ELNS1_3repE0EEENS1_30default_config_static_selectorELNS0_4arch9wavefront6targetE1EEEvT1_
	.p2align	8
	.type	_ZN7rocprim17ROCPRIM_400000_NS6detail17trampoline_kernelINS0_14default_configENS1_29reduce_by_key_config_selectorIiiN6thrust23THRUST_200600_302600_NS4plusIiEEEEZZNS1_33reduce_by_key_impl_wrapped_configILNS1_25lookback_scan_determinismE0ES3_S9_NS6_10device_ptrIiEESD_SD_SD_PmS8_NS6_8equal_toIiEEEE10hipError_tPvRmT2_T3_mT4_T5_T6_T7_T8_P12ihipStream_tbENKUlT_T0_E_clISt17integral_constantIbLb0EESY_EEDaST_SU_EUlST_E_NS1_11comp_targetILNS1_3genE3ELNS1_11target_archE908ELNS1_3gpuE7ELNS1_3repE0EEENS1_30default_config_static_selectorELNS0_4arch9wavefront6targetE1EEEvT1_,@function
_ZN7rocprim17ROCPRIM_400000_NS6detail17trampoline_kernelINS0_14default_configENS1_29reduce_by_key_config_selectorIiiN6thrust23THRUST_200600_302600_NS4plusIiEEEEZZNS1_33reduce_by_key_impl_wrapped_configILNS1_25lookback_scan_determinismE0ES3_S9_NS6_10device_ptrIiEESD_SD_SD_PmS8_NS6_8equal_toIiEEEE10hipError_tPvRmT2_T3_mT4_T5_T6_T7_T8_P12ihipStream_tbENKUlT_T0_E_clISt17integral_constantIbLb0EESY_EEDaST_SU_EUlST_E_NS1_11comp_targetILNS1_3genE3ELNS1_11target_archE908ELNS1_3gpuE7ELNS1_3repE0EEENS1_30default_config_static_selectorELNS0_4arch9wavefront6targetE1EEEvT1_: ; @_ZN7rocprim17ROCPRIM_400000_NS6detail17trampoline_kernelINS0_14default_configENS1_29reduce_by_key_config_selectorIiiN6thrust23THRUST_200600_302600_NS4plusIiEEEEZZNS1_33reduce_by_key_impl_wrapped_configILNS1_25lookback_scan_determinismE0ES3_S9_NS6_10device_ptrIiEESD_SD_SD_PmS8_NS6_8equal_toIiEEEE10hipError_tPvRmT2_T3_mT4_T5_T6_T7_T8_P12ihipStream_tbENKUlT_T0_E_clISt17integral_constantIbLb0EESY_EEDaST_SU_EUlST_E_NS1_11comp_targetILNS1_3genE3ELNS1_11target_archE908ELNS1_3gpuE7ELNS1_3repE0EEENS1_30default_config_static_selectorELNS0_4arch9wavefront6targetE1EEEvT1_
; %bb.0:
	.section	.rodata,"a",@progbits
	.p2align	6, 0x0
	.amdhsa_kernel _ZN7rocprim17ROCPRIM_400000_NS6detail17trampoline_kernelINS0_14default_configENS1_29reduce_by_key_config_selectorIiiN6thrust23THRUST_200600_302600_NS4plusIiEEEEZZNS1_33reduce_by_key_impl_wrapped_configILNS1_25lookback_scan_determinismE0ES3_S9_NS6_10device_ptrIiEESD_SD_SD_PmS8_NS6_8equal_toIiEEEE10hipError_tPvRmT2_T3_mT4_T5_T6_T7_T8_P12ihipStream_tbENKUlT_T0_E_clISt17integral_constantIbLb0EESY_EEDaST_SU_EUlST_E_NS1_11comp_targetILNS1_3genE3ELNS1_11target_archE908ELNS1_3gpuE7ELNS1_3repE0EEENS1_30default_config_static_selectorELNS0_4arch9wavefront6targetE1EEEvT1_
		.amdhsa_group_segment_fixed_size 0
		.amdhsa_private_segment_fixed_size 0
		.amdhsa_kernarg_size 120
		.amdhsa_user_sgpr_count 6
		.amdhsa_user_sgpr_private_segment_buffer 1
		.amdhsa_user_sgpr_dispatch_ptr 0
		.amdhsa_user_sgpr_queue_ptr 0
		.amdhsa_user_sgpr_kernarg_segment_ptr 1
		.amdhsa_user_sgpr_dispatch_id 0
		.amdhsa_user_sgpr_flat_scratch_init 0
		.amdhsa_user_sgpr_kernarg_preload_length 0
		.amdhsa_user_sgpr_kernarg_preload_offset 0
		.amdhsa_user_sgpr_private_segment_size 0
		.amdhsa_uses_dynamic_stack 0
		.amdhsa_system_sgpr_private_segment_wavefront_offset 0
		.amdhsa_system_sgpr_workgroup_id_x 1
		.amdhsa_system_sgpr_workgroup_id_y 0
		.amdhsa_system_sgpr_workgroup_id_z 0
		.amdhsa_system_sgpr_workgroup_info 0
		.amdhsa_system_vgpr_workitem_id 0
		.amdhsa_next_free_vgpr 1
		.amdhsa_next_free_sgpr 0
		.amdhsa_accum_offset 4
		.amdhsa_reserve_vcc 0
		.amdhsa_reserve_flat_scratch 0
		.amdhsa_float_round_mode_32 0
		.amdhsa_float_round_mode_16_64 0
		.amdhsa_float_denorm_mode_32 3
		.amdhsa_float_denorm_mode_16_64 3
		.amdhsa_dx10_clamp 1
		.amdhsa_ieee_mode 1
		.amdhsa_fp16_overflow 0
		.amdhsa_tg_split 0
		.amdhsa_exception_fp_ieee_invalid_op 0
		.amdhsa_exception_fp_denorm_src 0
		.amdhsa_exception_fp_ieee_div_zero 0
		.amdhsa_exception_fp_ieee_overflow 0
		.amdhsa_exception_fp_ieee_underflow 0
		.amdhsa_exception_fp_ieee_inexact 0
		.amdhsa_exception_int_div_zero 0
	.end_amdhsa_kernel
	.section	.text._ZN7rocprim17ROCPRIM_400000_NS6detail17trampoline_kernelINS0_14default_configENS1_29reduce_by_key_config_selectorIiiN6thrust23THRUST_200600_302600_NS4plusIiEEEEZZNS1_33reduce_by_key_impl_wrapped_configILNS1_25lookback_scan_determinismE0ES3_S9_NS6_10device_ptrIiEESD_SD_SD_PmS8_NS6_8equal_toIiEEEE10hipError_tPvRmT2_T3_mT4_T5_T6_T7_T8_P12ihipStream_tbENKUlT_T0_E_clISt17integral_constantIbLb0EESY_EEDaST_SU_EUlST_E_NS1_11comp_targetILNS1_3genE3ELNS1_11target_archE908ELNS1_3gpuE7ELNS1_3repE0EEENS1_30default_config_static_selectorELNS0_4arch9wavefront6targetE1EEEvT1_,"axG",@progbits,_ZN7rocprim17ROCPRIM_400000_NS6detail17trampoline_kernelINS0_14default_configENS1_29reduce_by_key_config_selectorIiiN6thrust23THRUST_200600_302600_NS4plusIiEEEEZZNS1_33reduce_by_key_impl_wrapped_configILNS1_25lookback_scan_determinismE0ES3_S9_NS6_10device_ptrIiEESD_SD_SD_PmS8_NS6_8equal_toIiEEEE10hipError_tPvRmT2_T3_mT4_T5_T6_T7_T8_P12ihipStream_tbENKUlT_T0_E_clISt17integral_constantIbLb0EESY_EEDaST_SU_EUlST_E_NS1_11comp_targetILNS1_3genE3ELNS1_11target_archE908ELNS1_3gpuE7ELNS1_3repE0EEENS1_30default_config_static_selectorELNS0_4arch9wavefront6targetE1EEEvT1_,comdat
.Lfunc_end1097:
	.size	_ZN7rocprim17ROCPRIM_400000_NS6detail17trampoline_kernelINS0_14default_configENS1_29reduce_by_key_config_selectorIiiN6thrust23THRUST_200600_302600_NS4plusIiEEEEZZNS1_33reduce_by_key_impl_wrapped_configILNS1_25lookback_scan_determinismE0ES3_S9_NS6_10device_ptrIiEESD_SD_SD_PmS8_NS6_8equal_toIiEEEE10hipError_tPvRmT2_T3_mT4_T5_T6_T7_T8_P12ihipStream_tbENKUlT_T0_E_clISt17integral_constantIbLb0EESY_EEDaST_SU_EUlST_E_NS1_11comp_targetILNS1_3genE3ELNS1_11target_archE908ELNS1_3gpuE7ELNS1_3repE0EEENS1_30default_config_static_selectorELNS0_4arch9wavefront6targetE1EEEvT1_, .Lfunc_end1097-_ZN7rocprim17ROCPRIM_400000_NS6detail17trampoline_kernelINS0_14default_configENS1_29reduce_by_key_config_selectorIiiN6thrust23THRUST_200600_302600_NS4plusIiEEEEZZNS1_33reduce_by_key_impl_wrapped_configILNS1_25lookback_scan_determinismE0ES3_S9_NS6_10device_ptrIiEESD_SD_SD_PmS8_NS6_8equal_toIiEEEE10hipError_tPvRmT2_T3_mT4_T5_T6_T7_T8_P12ihipStream_tbENKUlT_T0_E_clISt17integral_constantIbLb0EESY_EEDaST_SU_EUlST_E_NS1_11comp_targetILNS1_3genE3ELNS1_11target_archE908ELNS1_3gpuE7ELNS1_3repE0EEENS1_30default_config_static_selectorELNS0_4arch9wavefront6targetE1EEEvT1_
                                        ; -- End function
	.section	.AMDGPU.csdata,"",@progbits
; Kernel info:
; codeLenInByte = 0
; NumSgprs: 4
; NumVgprs: 0
; NumAgprs: 0
; TotalNumVgprs: 0
; ScratchSize: 0
; MemoryBound: 0
; FloatMode: 240
; IeeeMode: 1
; LDSByteSize: 0 bytes/workgroup (compile time only)
; SGPRBlocks: 0
; VGPRBlocks: 0
; NumSGPRsForWavesPerEU: 4
; NumVGPRsForWavesPerEU: 1
; AccumOffset: 4
; Occupancy: 8
; WaveLimiterHint : 0
; COMPUTE_PGM_RSRC2:SCRATCH_EN: 0
; COMPUTE_PGM_RSRC2:USER_SGPR: 6
; COMPUTE_PGM_RSRC2:TRAP_HANDLER: 0
; COMPUTE_PGM_RSRC2:TGID_X_EN: 1
; COMPUTE_PGM_RSRC2:TGID_Y_EN: 0
; COMPUTE_PGM_RSRC2:TGID_Z_EN: 0
; COMPUTE_PGM_RSRC2:TIDIG_COMP_CNT: 0
; COMPUTE_PGM_RSRC3_GFX90A:ACCUM_OFFSET: 0
; COMPUTE_PGM_RSRC3_GFX90A:TG_SPLIT: 0
	.section	.text._ZN7rocprim17ROCPRIM_400000_NS6detail17trampoline_kernelINS0_14default_configENS1_29reduce_by_key_config_selectorIiiN6thrust23THRUST_200600_302600_NS4plusIiEEEEZZNS1_33reduce_by_key_impl_wrapped_configILNS1_25lookback_scan_determinismE0ES3_S9_NS6_10device_ptrIiEESD_SD_SD_PmS8_NS6_8equal_toIiEEEE10hipError_tPvRmT2_T3_mT4_T5_T6_T7_T8_P12ihipStream_tbENKUlT_T0_E_clISt17integral_constantIbLb0EESY_EEDaST_SU_EUlST_E_NS1_11comp_targetILNS1_3genE2ELNS1_11target_archE906ELNS1_3gpuE6ELNS1_3repE0EEENS1_30default_config_static_selectorELNS0_4arch9wavefront6targetE1EEEvT1_,"axG",@progbits,_ZN7rocprim17ROCPRIM_400000_NS6detail17trampoline_kernelINS0_14default_configENS1_29reduce_by_key_config_selectorIiiN6thrust23THRUST_200600_302600_NS4plusIiEEEEZZNS1_33reduce_by_key_impl_wrapped_configILNS1_25lookback_scan_determinismE0ES3_S9_NS6_10device_ptrIiEESD_SD_SD_PmS8_NS6_8equal_toIiEEEE10hipError_tPvRmT2_T3_mT4_T5_T6_T7_T8_P12ihipStream_tbENKUlT_T0_E_clISt17integral_constantIbLb0EESY_EEDaST_SU_EUlST_E_NS1_11comp_targetILNS1_3genE2ELNS1_11target_archE906ELNS1_3gpuE6ELNS1_3repE0EEENS1_30default_config_static_selectorELNS0_4arch9wavefront6targetE1EEEvT1_,comdat
	.protected	_ZN7rocprim17ROCPRIM_400000_NS6detail17trampoline_kernelINS0_14default_configENS1_29reduce_by_key_config_selectorIiiN6thrust23THRUST_200600_302600_NS4plusIiEEEEZZNS1_33reduce_by_key_impl_wrapped_configILNS1_25lookback_scan_determinismE0ES3_S9_NS6_10device_ptrIiEESD_SD_SD_PmS8_NS6_8equal_toIiEEEE10hipError_tPvRmT2_T3_mT4_T5_T6_T7_T8_P12ihipStream_tbENKUlT_T0_E_clISt17integral_constantIbLb0EESY_EEDaST_SU_EUlST_E_NS1_11comp_targetILNS1_3genE2ELNS1_11target_archE906ELNS1_3gpuE6ELNS1_3repE0EEENS1_30default_config_static_selectorELNS0_4arch9wavefront6targetE1EEEvT1_ ; -- Begin function _ZN7rocprim17ROCPRIM_400000_NS6detail17trampoline_kernelINS0_14default_configENS1_29reduce_by_key_config_selectorIiiN6thrust23THRUST_200600_302600_NS4plusIiEEEEZZNS1_33reduce_by_key_impl_wrapped_configILNS1_25lookback_scan_determinismE0ES3_S9_NS6_10device_ptrIiEESD_SD_SD_PmS8_NS6_8equal_toIiEEEE10hipError_tPvRmT2_T3_mT4_T5_T6_T7_T8_P12ihipStream_tbENKUlT_T0_E_clISt17integral_constantIbLb0EESY_EEDaST_SU_EUlST_E_NS1_11comp_targetILNS1_3genE2ELNS1_11target_archE906ELNS1_3gpuE6ELNS1_3repE0EEENS1_30default_config_static_selectorELNS0_4arch9wavefront6targetE1EEEvT1_
	.globl	_ZN7rocprim17ROCPRIM_400000_NS6detail17trampoline_kernelINS0_14default_configENS1_29reduce_by_key_config_selectorIiiN6thrust23THRUST_200600_302600_NS4plusIiEEEEZZNS1_33reduce_by_key_impl_wrapped_configILNS1_25lookback_scan_determinismE0ES3_S9_NS6_10device_ptrIiEESD_SD_SD_PmS8_NS6_8equal_toIiEEEE10hipError_tPvRmT2_T3_mT4_T5_T6_T7_T8_P12ihipStream_tbENKUlT_T0_E_clISt17integral_constantIbLb0EESY_EEDaST_SU_EUlST_E_NS1_11comp_targetILNS1_3genE2ELNS1_11target_archE906ELNS1_3gpuE6ELNS1_3repE0EEENS1_30default_config_static_selectorELNS0_4arch9wavefront6targetE1EEEvT1_
	.p2align	8
	.type	_ZN7rocprim17ROCPRIM_400000_NS6detail17trampoline_kernelINS0_14default_configENS1_29reduce_by_key_config_selectorIiiN6thrust23THRUST_200600_302600_NS4plusIiEEEEZZNS1_33reduce_by_key_impl_wrapped_configILNS1_25lookback_scan_determinismE0ES3_S9_NS6_10device_ptrIiEESD_SD_SD_PmS8_NS6_8equal_toIiEEEE10hipError_tPvRmT2_T3_mT4_T5_T6_T7_T8_P12ihipStream_tbENKUlT_T0_E_clISt17integral_constantIbLb0EESY_EEDaST_SU_EUlST_E_NS1_11comp_targetILNS1_3genE2ELNS1_11target_archE906ELNS1_3gpuE6ELNS1_3repE0EEENS1_30default_config_static_selectorELNS0_4arch9wavefront6targetE1EEEvT1_,@function
_ZN7rocprim17ROCPRIM_400000_NS6detail17trampoline_kernelINS0_14default_configENS1_29reduce_by_key_config_selectorIiiN6thrust23THRUST_200600_302600_NS4plusIiEEEEZZNS1_33reduce_by_key_impl_wrapped_configILNS1_25lookback_scan_determinismE0ES3_S9_NS6_10device_ptrIiEESD_SD_SD_PmS8_NS6_8equal_toIiEEEE10hipError_tPvRmT2_T3_mT4_T5_T6_T7_T8_P12ihipStream_tbENKUlT_T0_E_clISt17integral_constantIbLb0EESY_EEDaST_SU_EUlST_E_NS1_11comp_targetILNS1_3genE2ELNS1_11target_archE906ELNS1_3gpuE6ELNS1_3repE0EEENS1_30default_config_static_selectorELNS0_4arch9wavefront6targetE1EEEvT1_: ; @_ZN7rocprim17ROCPRIM_400000_NS6detail17trampoline_kernelINS0_14default_configENS1_29reduce_by_key_config_selectorIiiN6thrust23THRUST_200600_302600_NS4plusIiEEEEZZNS1_33reduce_by_key_impl_wrapped_configILNS1_25lookback_scan_determinismE0ES3_S9_NS6_10device_ptrIiEESD_SD_SD_PmS8_NS6_8equal_toIiEEEE10hipError_tPvRmT2_T3_mT4_T5_T6_T7_T8_P12ihipStream_tbENKUlT_T0_E_clISt17integral_constantIbLb0EESY_EEDaST_SU_EUlST_E_NS1_11comp_targetILNS1_3genE2ELNS1_11target_archE906ELNS1_3gpuE6ELNS1_3repE0EEENS1_30default_config_static_selectorELNS0_4arch9wavefront6targetE1EEEvT1_
; %bb.0:
	.section	.rodata,"a",@progbits
	.p2align	6, 0x0
	.amdhsa_kernel _ZN7rocprim17ROCPRIM_400000_NS6detail17trampoline_kernelINS0_14default_configENS1_29reduce_by_key_config_selectorIiiN6thrust23THRUST_200600_302600_NS4plusIiEEEEZZNS1_33reduce_by_key_impl_wrapped_configILNS1_25lookback_scan_determinismE0ES3_S9_NS6_10device_ptrIiEESD_SD_SD_PmS8_NS6_8equal_toIiEEEE10hipError_tPvRmT2_T3_mT4_T5_T6_T7_T8_P12ihipStream_tbENKUlT_T0_E_clISt17integral_constantIbLb0EESY_EEDaST_SU_EUlST_E_NS1_11comp_targetILNS1_3genE2ELNS1_11target_archE906ELNS1_3gpuE6ELNS1_3repE0EEENS1_30default_config_static_selectorELNS0_4arch9wavefront6targetE1EEEvT1_
		.amdhsa_group_segment_fixed_size 0
		.amdhsa_private_segment_fixed_size 0
		.amdhsa_kernarg_size 120
		.amdhsa_user_sgpr_count 6
		.amdhsa_user_sgpr_private_segment_buffer 1
		.amdhsa_user_sgpr_dispatch_ptr 0
		.amdhsa_user_sgpr_queue_ptr 0
		.amdhsa_user_sgpr_kernarg_segment_ptr 1
		.amdhsa_user_sgpr_dispatch_id 0
		.amdhsa_user_sgpr_flat_scratch_init 0
		.amdhsa_user_sgpr_kernarg_preload_length 0
		.amdhsa_user_sgpr_kernarg_preload_offset 0
		.amdhsa_user_sgpr_private_segment_size 0
		.amdhsa_uses_dynamic_stack 0
		.amdhsa_system_sgpr_private_segment_wavefront_offset 0
		.amdhsa_system_sgpr_workgroup_id_x 1
		.amdhsa_system_sgpr_workgroup_id_y 0
		.amdhsa_system_sgpr_workgroup_id_z 0
		.amdhsa_system_sgpr_workgroup_info 0
		.amdhsa_system_vgpr_workitem_id 0
		.amdhsa_next_free_vgpr 1
		.amdhsa_next_free_sgpr 0
		.amdhsa_accum_offset 4
		.amdhsa_reserve_vcc 0
		.amdhsa_reserve_flat_scratch 0
		.amdhsa_float_round_mode_32 0
		.amdhsa_float_round_mode_16_64 0
		.amdhsa_float_denorm_mode_32 3
		.amdhsa_float_denorm_mode_16_64 3
		.amdhsa_dx10_clamp 1
		.amdhsa_ieee_mode 1
		.amdhsa_fp16_overflow 0
		.amdhsa_tg_split 0
		.amdhsa_exception_fp_ieee_invalid_op 0
		.amdhsa_exception_fp_denorm_src 0
		.amdhsa_exception_fp_ieee_div_zero 0
		.amdhsa_exception_fp_ieee_overflow 0
		.amdhsa_exception_fp_ieee_underflow 0
		.amdhsa_exception_fp_ieee_inexact 0
		.amdhsa_exception_int_div_zero 0
	.end_amdhsa_kernel
	.section	.text._ZN7rocprim17ROCPRIM_400000_NS6detail17trampoline_kernelINS0_14default_configENS1_29reduce_by_key_config_selectorIiiN6thrust23THRUST_200600_302600_NS4plusIiEEEEZZNS1_33reduce_by_key_impl_wrapped_configILNS1_25lookback_scan_determinismE0ES3_S9_NS6_10device_ptrIiEESD_SD_SD_PmS8_NS6_8equal_toIiEEEE10hipError_tPvRmT2_T3_mT4_T5_T6_T7_T8_P12ihipStream_tbENKUlT_T0_E_clISt17integral_constantIbLb0EESY_EEDaST_SU_EUlST_E_NS1_11comp_targetILNS1_3genE2ELNS1_11target_archE906ELNS1_3gpuE6ELNS1_3repE0EEENS1_30default_config_static_selectorELNS0_4arch9wavefront6targetE1EEEvT1_,"axG",@progbits,_ZN7rocprim17ROCPRIM_400000_NS6detail17trampoline_kernelINS0_14default_configENS1_29reduce_by_key_config_selectorIiiN6thrust23THRUST_200600_302600_NS4plusIiEEEEZZNS1_33reduce_by_key_impl_wrapped_configILNS1_25lookback_scan_determinismE0ES3_S9_NS6_10device_ptrIiEESD_SD_SD_PmS8_NS6_8equal_toIiEEEE10hipError_tPvRmT2_T3_mT4_T5_T6_T7_T8_P12ihipStream_tbENKUlT_T0_E_clISt17integral_constantIbLb0EESY_EEDaST_SU_EUlST_E_NS1_11comp_targetILNS1_3genE2ELNS1_11target_archE906ELNS1_3gpuE6ELNS1_3repE0EEENS1_30default_config_static_selectorELNS0_4arch9wavefront6targetE1EEEvT1_,comdat
.Lfunc_end1098:
	.size	_ZN7rocprim17ROCPRIM_400000_NS6detail17trampoline_kernelINS0_14default_configENS1_29reduce_by_key_config_selectorIiiN6thrust23THRUST_200600_302600_NS4plusIiEEEEZZNS1_33reduce_by_key_impl_wrapped_configILNS1_25lookback_scan_determinismE0ES3_S9_NS6_10device_ptrIiEESD_SD_SD_PmS8_NS6_8equal_toIiEEEE10hipError_tPvRmT2_T3_mT4_T5_T6_T7_T8_P12ihipStream_tbENKUlT_T0_E_clISt17integral_constantIbLb0EESY_EEDaST_SU_EUlST_E_NS1_11comp_targetILNS1_3genE2ELNS1_11target_archE906ELNS1_3gpuE6ELNS1_3repE0EEENS1_30default_config_static_selectorELNS0_4arch9wavefront6targetE1EEEvT1_, .Lfunc_end1098-_ZN7rocprim17ROCPRIM_400000_NS6detail17trampoline_kernelINS0_14default_configENS1_29reduce_by_key_config_selectorIiiN6thrust23THRUST_200600_302600_NS4plusIiEEEEZZNS1_33reduce_by_key_impl_wrapped_configILNS1_25lookback_scan_determinismE0ES3_S9_NS6_10device_ptrIiEESD_SD_SD_PmS8_NS6_8equal_toIiEEEE10hipError_tPvRmT2_T3_mT4_T5_T6_T7_T8_P12ihipStream_tbENKUlT_T0_E_clISt17integral_constantIbLb0EESY_EEDaST_SU_EUlST_E_NS1_11comp_targetILNS1_3genE2ELNS1_11target_archE906ELNS1_3gpuE6ELNS1_3repE0EEENS1_30default_config_static_selectorELNS0_4arch9wavefront6targetE1EEEvT1_
                                        ; -- End function
	.section	.AMDGPU.csdata,"",@progbits
; Kernel info:
; codeLenInByte = 0
; NumSgprs: 4
; NumVgprs: 0
; NumAgprs: 0
; TotalNumVgprs: 0
; ScratchSize: 0
; MemoryBound: 0
; FloatMode: 240
; IeeeMode: 1
; LDSByteSize: 0 bytes/workgroup (compile time only)
; SGPRBlocks: 0
; VGPRBlocks: 0
; NumSGPRsForWavesPerEU: 4
; NumVGPRsForWavesPerEU: 1
; AccumOffset: 4
; Occupancy: 8
; WaveLimiterHint : 0
; COMPUTE_PGM_RSRC2:SCRATCH_EN: 0
; COMPUTE_PGM_RSRC2:USER_SGPR: 6
; COMPUTE_PGM_RSRC2:TRAP_HANDLER: 0
; COMPUTE_PGM_RSRC2:TGID_X_EN: 1
; COMPUTE_PGM_RSRC2:TGID_Y_EN: 0
; COMPUTE_PGM_RSRC2:TGID_Z_EN: 0
; COMPUTE_PGM_RSRC2:TIDIG_COMP_CNT: 0
; COMPUTE_PGM_RSRC3_GFX90A:ACCUM_OFFSET: 0
; COMPUTE_PGM_RSRC3_GFX90A:TG_SPLIT: 0
	.section	.text._ZN7rocprim17ROCPRIM_400000_NS6detail17trampoline_kernelINS0_14default_configENS1_29reduce_by_key_config_selectorIiiN6thrust23THRUST_200600_302600_NS4plusIiEEEEZZNS1_33reduce_by_key_impl_wrapped_configILNS1_25lookback_scan_determinismE0ES3_S9_NS6_10device_ptrIiEESD_SD_SD_PmS8_NS6_8equal_toIiEEEE10hipError_tPvRmT2_T3_mT4_T5_T6_T7_T8_P12ihipStream_tbENKUlT_T0_E_clISt17integral_constantIbLb0EESY_EEDaST_SU_EUlST_E_NS1_11comp_targetILNS1_3genE10ELNS1_11target_archE1201ELNS1_3gpuE5ELNS1_3repE0EEENS1_30default_config_static_selectorELNS0_4arch9wavefront6targetE1EEEvT1_,"axG",@progbits,_ZN7rocprim17ROCPRIM_400000_NS6detail17trampoline_kernelINS0_14default_configENS1_29reduce_by_key_config_selectorIiiN6thrust23THRUST_200600_302600_NS4plusIiEEEEZZNS1_33reduce_by_key_impl_wrapped_configILNS1_25lookback_scan_determinismE0ES3_S9_NS6_10device_ptrIiEESD_SD_SD_PmS8_NS6_8equal_toIiEEEE10hipError_tPvRmT2_T3_mT4_T5_T6_T7_T8_P12ihipStream_tbENKUlT_T0_E_clISt17integral_constantIbLb0EESY_EEDaST_SU_EUlST_E_NS1_11comp_targetILNS1_3genE10ELNS1_11target_archE1201ELNS1_3gpuE5ELNS1_3repE0EEENS1_30default_config_static_selectorELNS0_4arch9wavefront6targetE1EEEvT1_,comdat
	.protected	_ZN7rocprim17ROCPRIM_400000_NS6detail17trampoline_kernelINS0_14default_configENS1_29reduce_by_key_config_selectorIiiN6thrust23THRUST_200600_302600_NS4plusIiEEEEZZNS1_33reduce_by_key_impl_wrapped_configILNS1_25lookback_scan_determinismE0ES3_S9_NS6_10device_ptrIiEESD_SD_SD_PmS8_NS6_8equal_toIiEEEE10hipError_tPvRmT2_T3_mT4_T5_T6_T7_T8_P12ihipStream_tbENKUlT_T0_E_clISt17integral_constantIbLb0EESY_EEDaST_SU_EUlST_E_NS1_11comp_targetILNS1_3genE10ELNS1_11target_archE1201ELNS1_3gpuE5ELNS1_3repE0EEENS1_30default_config_static_selectorELNS0_4arch9wavefront6targetE1EEEvT1_ ; -- Begin function _ZN7rocprim17ROCPRIM_400000_NS6detail17trampoline_kernelINS0_14default_configENS1_29reduce_by_key_config_selectorIiiN6thrust23THRUST_200600_302600_NS4plusIiEEEEZZNS1_33reduce_by_key_impl_wrapped_configILNS1_25lookback_scan_determinismE0ES3_S9_NS6_10device_ptrIiEESD_SD_SD_PmS8_NS6_8equal_toIiEEEE10hipError_tPvRmT2_T3_mT4_T5_T6_T7_T8_P12ihipStream_tbENKUlT_T0_E_clISt17integral_constantIbLb0EESY_EEDaST_SU_EUlST_E_NS1_11comp_targetILNS1_3genE10ELNS1_11target_archE1201ELNS1_3gpuE5ELNS1_3repE0EEENS1_30default_config_static_selectorELNS0_4arch9wavefront6targetE1EEEvT1_
	.globl	_ZN7rocprim17ROCPRIM_400000_NS6detail17trampoline_kernelINS0_14default_configENS1_29reduce_by_key_config_selectorIiiN6thrust23THRUST_200600_302600_NS4plusIiEEEEZZNS1_33reduce_by_key_impl_wrapped_configILNS1_25lookback_scan_determinismE0ES3_S9_NS6_10device_ptrIiEESD_SD_SD_PmS8_NS6_8equal_toIiEEEE10hipError_tPvRmT2_T3_mT4_T5_T6_T7_T8_P12ihipStream_tbENKUlT_T0_E_clISt17integral_constantIbLb0EESY_EEDaST_SU_EUlST_E_NS1_11comp_targetILNS1_3genE10ELNS1_11target_archE1201ELNS1_3gpuE5ELNS1_3repE0EEENS1_30default_config_static_selectorELNS0_4arch9wavefront6targetE1EEEvT1_
	.p2align	8
	.type	_ZN7rocprim17ROCPRIM_400000_NS6detail17trampoline_kernelINS0_14default_configENS1_29reduce_by_key_config_selectorIiiN6thrust23THRUST_200600_302600_NS4plusIiEEEEZZNS1_33reduce_by_key_impl_wrapped_configILNS1_25lookback_scan_determinismE0ES3_S9_NS6_10device_ptrIiEESD_SD_SD_PmS8_NS6_8equal_toIiEEEE10hipError_tPvRmT2_T3_mT4_T5_T6_T7_T8_P12ihipStream_tbENKUlT_T0_E_clISt17integral_constantIbLb0EESY_EEDaST_SU_EUlST_E_NS1_11comp_targetILNS1_3genE10ELNS1_11target_archE1201ELNS1_3gpuE5ELNS1_3repE0EEENS1_30default_config_static_selectorELNS0_4arch9wavefront6targetE1EEEvT1_,@function
_ZN7rocprim17ROCPRIM_400000_NS6detail17trampoline_kernelINS0_14default_configENS1_29reduce_by_key_config_selectorIiiN6thrust23THRUST_200600_302600_NS4plusIiEEEEZZNS1_33reduce_by_key_impl_wrapped_configILNS1_25lookback_scan_determinismE0ES3_S9_NS6_10device_ptrIiEESD_SD_SD_PmS8_NS6_8equal_toIiEEEE10hipError_tPvRmT2_T3_mT4_T5_T6_T7_T8_P12ihipStream_tbENKUlT_T0_E_clISt17integral_constantIbLb0EESY_EEDaST_SU_EUlST_E_NS1_11comp_targetILNS1_3genE10ELNS1_11target_archE1201ELNS1_3gpuE5ELNS1_3repE0EEENS1_30default_config_static_selectorELNS0_4arch9wavefront6targetE1EEEvT1_: ; @_ZN7rocprim17ROCPRIM_400000_NS6detail17trampoline_kernelINS0_14default_configENS1_29reduce_by_key_config_selectorIiiN6thrust23THRUST_200600_302600_NS4plusIiEEEEZZNS1_33reduce_by_key_impl_wrapped_configILNS1_25lookback_scan_determinismE0ES3_S9_NS6_10device_ptrIiEESD_SD_SD_PmS8_NS6_8equal_toIiEEEE10hipError_tPvRmT2_T3_mT4_T5_T6_T7_T8_P12ihipStream_tbENKUlT_T0_E_clISt17integral_constantIbLb0EESY_EEDaST_SU_EUlST_E_NS1_11comp_targetILNS1_3genE10ELNS1_11target_archE1201ELNS1_3gpuE5ELNS1_3repE0EEENS1_30default_config_static_selectorELNS0_4arch9wavefront6targetE1EEEvT1_
; %bb.0:
	.section	.rodata,"a",@progbits
	.p2align	6, 0x0
	.amdhsa_kernel _ZN7rocprim17ROCPRIM_400000_NS6detail17trampoline_kernelINS0_14default_configENS1_29reduce_by_key_config_selectorIiiN6thrust23THRUST_200600_302600_NS4plusIiEEEEZZNS1_33reduce_by_key_impl_wrapped_configILNS1_25lookback_scan_determinismE0ES3_S9_NS6_10device_ptrIiEESD_SD_SD_PmS8_NS6_8equal_toIiEEEE10hipError_tPvRmT2_T3_mT4_T5_T6_T7_T8_P12ihipStream_tbENKUlT_T0_E_clISt17integral_constantIbLb0EESY_EEDaST_SU_EUlST_E_NS1_11comp_targetILNS1_3genE10ELNS1_11target_archE1201ELNS1_3gpuE5ELNS1_3repE0EEENS1_30default_config_static_selectorELNS0_4arch9wavefront6targetE1EEEvT1_
		.amdhsa_group_segment_fixed_size 0
		.amdhsa_private_segment_fixed_size 0
		.amdhsa_kernarg_size 120
		.amdhsa_user_sgpr_count 6
		.amdhsa_user_sgpr_private_segment_buffer 1
		.amdhsa_user_sgpr_dispatch_ptr 0
		.amdhsa_user_sgpr_queue_ptr 0
		.amdhsa_user_sgpr_kernarg_segment_ptr 1
		.amdhsa_user_sgpr_dispatch_id 0
		.amdhsa_user_sgpr_flat_scratch_init 0
		.amdhsa_user_sgpr_kernarg_preload_length 0
		.amdhsa_user_sgpr_kernarg_preload_offset 0
		.amdhsa_user_sgpr_private_segment_size 0
		.amdhsa_uses_dynamic_stack 0
		.amdhsa_system_sgpr_private_segment_wavefront_offset 0
		.amdhsa_system_sgpr_workgroup_id_x 1
		.amdhsa_system_sgpr_workgroup_id_y 0
		.amdhsa_system_sgpr_workgroup_id_z 0
		.amdhsa_system_sgpr_workgroup_info 0
		.amdhsa_system_vgpr_workitem_id 0
		.amdhsa_next_free_vgpr 1
		.amdhsa_next_free_sgpr 0
		.amdhsa_accum_offset 4
		.amdhsa_reserve_vcc 0
		.amdhsa_reserve_flat_scratch 0
		.amdhsa_float_round_mode_32 0
		.amdhsa_float_round_mode_16_64 0
		.amdhsa_float_denorm_mode_32 3
		.amdhsa_float_denorm_mode_16_64 3
		.amdhsa_dx10_clamp 1
		.amdhsa_ieee_mode 1
		.amdhsa_fp16_overflow 0
		.amdhsa_tg_split 0
		.amdhsa_exception_fp_ieee_invalid_op 0
		.amdhsa_exception_fp_denorm_src 0
		.amdhsa_exception_fp_ieee_div_zero 0
		.amdhsa_exception_fp_ieee_overflow 0
		.amdhsa_exception_fp_ieee_underflow 0
		.amdhsa_exception_fp_ieee_inexact 0
		.amdhsa_exception_int_div_zero 0
	.end_amdhsa_kernel
	.section	.text._ZN7rocprim17ROCPRIM_400000_NS6detail17trampoline_kernelINS0_14default_configENS1_29reduce_by_key_config_selectorIiiN6thrust23THRUST_200600_302600_NS4plusIiEEEEZZNS1_33reduce_by_key_impl_wrapped_configILNS1_25lookback_scan_determinismE0ES3_S9_NS6_10device_ptrIiEESD_SD_SD_PmS8_NS6_8equal_toIiEEEE10hipError_tPvRmT2_T3_mT4_T5_T6_T7_T8_P12ihipStream_tbENKUlT_T0_E_clISt17integral_constantIbLb0EESY_EEDaST_SU_EUlST_E_NS1_11comp_targetILNS1_3genE10ELNS1_11target_archE1201ELNS1_3gpuE5ELNS1_3repE0EEENS1_30default_config_static_selectorELNS0_4arch9wavefront6targetE1EEEvT1_,"axG",@progbits,_ZN7rocprim17ROCPRIM_400000_NS6detail17trampoline_kernelINS0_14default_configENS1_29reduce_by_key_config_selectorIiiN6thrust23THRUST_200600_302600_NS4plusIiEEEEZZNS1_33reduce_by_key_impl_wrapped_configILNS1_25lookback_scan_determinismE0ES3_S9_NS6_10device_ptrIiEESD_SD_SD_PmS8_NS6_8equal_toIiEEEE10hipError_tPvRmT2_T3_mT4_T5_T6_T7_T8_P12ihipStream_tbENKUlT_T0_E_clISt17integral_constantIbLb0EESY_EEDaST_SU_EUlST_E_NS1_11comp_targetILNS1_3genE10ELNS1_11target_archE1201ELNS1_3gpuE5ELNS1_3repE0EEENS1_30default_config_static_selectorELNS0_4arch9wavefront6targetE1EEEvT1_,comdat
.Lfunc_end1099:
	.size	_ZN7rocprim17ROCPRIM_400000_NS6detail17trampoline_kernelINS0_14default_configENS1_29reduce_by_key_config_selectorIiiN6thrust23THRUST_200600_302600_NS4plusIiEEEEZZNS1_33reduce_by_key_impl_wrapped_configILNS1_25lookback_scan_determinismE0ES3_S9_NS6_10device_ptrIiEESD_SD_SD_PmS8_NS6_8equal_toIiEEEE10hipError_tPvRmT2_T3_mT4_T5_T6_T7_T8_P12ihipStream_tbENKUlT_T0_E_clISt17integral_constantIbLb0EESY_EEDaST_SU_EUlST_E_NS1_11comp_targetILNS1_3genE10ELNS1_11target_archE1201ELNS1_3gpuE5ELNS1_3repE0EEENS1_30default_config_static_selectorELNS0_4arch9wavefront6targetE1EEEvT1_, .Lfunc_end1099-_ZN7rocprim17ROCPRIM_400000_NS6detail17trampoline_kernelINS0_14default_configENS1_29reduce_by_key_config_selectorIiiN6thrust23THRUST_200600_302600_NS4plusIiEEEEZZNS1_33reduce_by_key_impl_wrapped_configILNS1_25lookback_scan_determinismE0ES3_S9_NS6_10device_ptrIiEESD_SD_SD_PmS8_NS6_8equal_toIiEEEE10hipError_tPvRmT2_T3_mT4_T5_T6_T7_T8_P12ihipStream_tbENKUlT_T0_E_clISt17integral_constantIbLb0EESY_EEDaST_SU_EUlST_E_NS1_11comp_targetILNS1_3genE10ELNS1_11target_archE1201ELNS1_3gpuE5ELNS1_3repE0EEENS1_30default_config_static_selectorELNS0_4arch9wavefront6targetE1EEEvT1_
                                        ; -- End function
	.section	.AMDGPU.csdata,"",@progbits
; Kernel info:
; codeLenInByte = 0
; NumSgprs: 4
; NumVgprs: 0
; NumAgprs: 0
; TotalNumVgprs: 0
; ScratchSize: 0
; MemoryBound: 0
; FloatMode: 240
; IeeeMode: 1
; LDSByteSize: 0 bytes/workgroup (compile time only)
; SGPRBlocks: 0
; VGPRBlocks: 0
; NumSGPRsForWavesPerEU: 4
; NumVGPRsForWavesPerEU: 1
; AccumOffset: 4
; Occupancy: 8
; WaveLimiterHint : 0
; COMPUTE_PGM_RSRC2:SCRATCH_EN: 0
; COMPUTE_PGM_RSRC2:USER_SGPR: 6
; COMPUTE_PGM_RSRC2:TRAP_HANDLER: 0
; COMPUTE_PGM_RSRC2:TGID_X_EN: 1
; COMPUTE_PGM_RSRC2:TGID_Y_EN: 0
; COMPUTE_PGM_RSRC2:TGID_Z_EN: 0
; COMPUTE_PGM_RSRC2:TIDIG_COMP_CNT: 0
; COMPUTE_PGM_RSRC3_GFX90A:ACCUM_OFFSET: 0
; COMPUTE_PGM_RSRC3_GFX90A:TG_SPLIT: 0
	.section	.text._ZN7rocprim17ROCPRIM_400000_NS6detail17trampoline_kernelINS0_14default_configENS1_29reduce_by_key_config_selectorIiiN6thrust23THRUST_200600_302600_NS4plusIiEEEEZZNS1_33reduce_by_key_impl_wrapped_configILNS1_25lookback_scan_determinismE0ES3_S9_NS6_10device_ptrIiEESD_SD_SD_PmS8_NS6_8equal_toIiEEEE10hipError_tPvRmT2_T3_mT4_T5_T6_T7_T8_P12ihipStream_tbENKUlT_T0_E_clISt17integral_constantIbLb0EESY_EEDaST_SU_EUlST_E_NS1_11comp_targetILNS1_3genE10ELNS1_11target_archE1200ELNS1_3gpuE4ELNS1_3repE0EEENS1_30default_config_static_selectorELNS0_4arch9wavefront6targetE1EEEvT1_,"axG",@progbits,_ZN7rocprim17ROCPRIM_400000_NS6detail17trampoline_kernelINS0_14default_configENS1_29reduce_by_key_config_selectorIiiN6thrust23THRUST_200600_302600_NS4plusIiEEEEZZNS1_33reduce_by_key_impl_wrapped_configILNS1_25lookback_scan_determinismE0ES3_S9_NS6_10device_ptrIiEESD_SD_SD_PmS8_NS6_8equal_toIiEEEE10hipError_tPvRmT2_T3_mT4_T5_T6_T7_T8_P12ihipStream_tbENKUlT_T0_E_clISt17integral_constantIbLb0EESY_EEDaST_SU_EUlST_E_NS1_11comp_targetILNS1_3genE10ELNS1_11target_archE1200ELNS1_3gpuE4ELNS1_3repE0EEENS1_30default_config_static_selectorELNS0_4arch9wavefront6targetE1EEEvT1_,comdat
	.protected	_ZN7rocprim17ROCPRIM_400000_NS6detail17trampoline_kernelINS0_14default_configENS1_29reduce_by_key_config_selectorIiiN6thrust23THRUST_200600_302600_NS4plusIiEEEEZZNS1_33reduce_by_key_impl_wrapped_configILNS1_25lookback_scan_determinismE0ES3_S9_NS6_10device_ptrIiEESD_SD_SD_PmS8_NS6_8equal_toIiEEEE10hipError_tPvRmT2_T3_mT4_T5_T6_T7_T8_P12ihipStream_tbENKUlT_T0_E_clISt17integral_constantIbLb0EESY_EEDaST_SU_EUlST_E_NS1_11comp_targetILNS1_3genE10ELNS1_11target_archE1200ELNS1_3gpuE4ELNS1_3repE0EEENS1_30default_config_static_selectorELNS0_4arch9wavefront6targetE1EEEvT1_ ; -- Begin function _ZN7rocprim17ROCPRIM_400000_NS6detail17trampoline_kernelINS0_14default_configENS1_29reduce_by_key_config_selectorIiiN6thrust23THRUST_200600_302600_NS4plusIiEEEEZZNS1_33reduce_by_key_impl_wrapped_configILNS1_25lookback_scan_determinismE0ES3_S9_NS6_10device_ptrIiEESD_SD_SD_PmS8_NS6_8equal_toIiEEEE10hipError_tPvRmT2_T3_mT4_T5_T6_T7_T8_P12ihipStream_tbENKUlT_T0_E_clISt17integral_constantIbLb0EESY_EEDaST_SU_EUlST_E_NS1_11comp_targetILNS1_3genE10ELNS1_11target_archE1200ELNS1_3gpuE4ELNS1_3repE0EEENS1_30default_config_static_selectorELNS0_4arch9wavefront6targetE1EEEvT1_
	.globl	_ZN7rocprim17ROCPRIM_400000_NS6detail17trampoline_kernelINS0_14default_configENS1_29reduce_by_key_config_selectorIiiN6thrust23THRUST_200600_302600_NS4plusIiEEEEZZNS1_33reduce_by_key_impl_wrapped_configILNS1_25lookback_scan_determinismE0ES3_S9_NS6_10device_ptrIiEESD_SD_SD_PmS8_NS6_8equal_toIiEEEE10hipError_tPvRmT2_T3_mT4_T5_T6_T7_T8_P12ihipStream_tbENKUlT_T0_E_clISt17integral_constantIbLb0EESY_EEDaST_SU_EUlST_E_NS1_11comp_targetILNS1_3genE10ELNS1_11target_archE1200ELNS1_3gpuE4ELNS1_3repE0EEENS1_30default_config_static_selectorELNS0_4arch9wavefront6targetE1EEEvT1_
	.p2align	8
	.type	_ZN7rocprim17ROCPRIM_400000_NS6detail17trampoline_kernelINS0_14default_configENS1_29reduce_by_key_config_selectorIiiN6thrust23THRUST_200600_302600_NS4plusIiEEEEZZNS1_33reduce_by_key_impl_wrapped_configILNS1_25lookback_scan_determinismE0ES3_S9_NS6_10device_ptrIiEESD_SD_SD_PmS8_NS6_8equal_toIiEEEE10hipError_tPvRmT2_T3_mT4_T5_T6_T7_T8_P12ihipStream_tbENKUlT_T0_E_clISt17integral_constantIbLb0EESY_EEDaST_SU_EUlST_E_NS1_11comp_targetILNS1_3genE10ELNS1_11target_archE1200ELNS1_3gpuE4ELNS1_3repE0EEENS1_30default_config_static_selectorELNS0_4arch9wavefront6targetE1EEEvT1_,@function
_ZN7rocprim17ROCPRIM_400000_NS6detail17trampoline_kernelINS0_14default_configENS1_29reduce_by_key_config_selectorIiiN6thrust23THRUST_200600_302600_NS4plusIiEEEEZZNS1_33reduce_by_key_impl_wrapped_configILNS1_25lookback_scan_determinismE0ES3_S9_NS6_10device_ptrIiEESD_SD_SD_PmS8_NS6_8equal_toIiEEEE10hipError_tPvRmT2_T3_mT4_T5_T6_T7_T8_P12ihipStream_tbENKUlT_T0_E_clISt17integral_constantIbLb0EESY_EEDaST_SU_EUlST_E_NS1_11comp_targetILNS1_3genE10ELNS1_11target_archE1200ELNS1_3gpuE4ELNS1_3repE0EEENS1_30default_config_static_selectorELNS0_4arch9wavefront6targetE1EEEvT1_: ; @_ZN7rocprim17ROCPRIM_400000_NS6detail17trampoline_kernelINS0_14default_configENS1_29reduce_by_key_config_selectorIiiN6thrust23THRUST_200600_302600_NS4plusIiEEEEZZNS1_33reduce_by_key_impl_wrapped_configILNS1_25lookback_scan_determinismE0ES3_S9_NS6_10device_ptrIiEESD_SD_SD_PmS8_NS6_8equal_toIiEEEE10hipError_tPvRmT2_T3_mT4_T5_T6_T7_T8_P12ihipStream_tbENKUlT_T0_E_clISt17integral_constantIbLb0EESY_EEDaST_SU_EUlST_E_NS1_11comp_targetILNS1_3genE10ELNS1_11target_archE1200ELNS1_3gpuE4ELNS1_3repE0EEENS1_30default_config_static_selectorELNS0_4arch9wavefront6targetE1EEEvT1_
; %bb.0:
	.section	.rodata,"a",@progbits
	.p2align	6, 0x0
	.amdhsa_kernel _ZN7rocprim17ROCPRIM_400000_NS6detail17trampoline_kernelINS0_14default_configENS1_29reduce_by_key_config_selectorIiiN6thrust23THRUST_200600_302600_NS4plusIiEEEEZZNS1_33reduce_by_key_impl_wrapped_configILNS1_25lookback_scan_determinismE0ES3_S9_NS6_10device_ptrIiEESD_SD_SD_PmS8_NS6_8equal_toIiEEEE10hipError_tPvRmT2_T3_mT4_T5_T6_T7_T8_P12ihipStream_tbENKUlT_T0_E_clISt17integral_constantIbLb0EESY_EEDaST_SU_EUlST_E_NS1_11comp_targetILNS1_3genE10ELNS1_11target_archE1200ELNS1_3gpuE4ELNS1_3repE0EEENS1_30default_config_static_selectorELNS0_4arch9wavefront6targetE1EEEvT1_
		.amdhsa_group_segment_fixed_size 0
		.amdhsa_private_segment_fixed_size 0
		.amdhsa_kernarg_size 120
		.amdhsa_user_sgpr_count 6
		.amdhsa_user_sgpr_private_segment_buffer 1
		.amdhsa_user_sgpr_dispatch_ptr 0
		.amdhsa_user_sgpr_queue_ptr 0
		.amdhsa_user_sgpr_kernarg_segment_ptr 1
		.amdhsa_user_sgpr_dispatch_id 0
		.amdhsa_user_sgpr_flat_scratch_init 0
		.amdhsa_user_sgpr_kernarg_preload_length 0
		.amdhsa_user_sgpr_kernarg_preload_offset 0
		.amdhsa_user_sgpr_private_segment_size 0
		.amdhsa_uses_dynamic_stack 0
		.amdhsa_system_sgpr_private_segment_wavefront_offset 0
		.amdhsa_system_sgpr_workgroup_id_x 1
		.amdhsa_system_sgpr_workgroup_id_y 0
		.amdhsa_system_sgpr_workgroup_id_z 0
		.amdhsa_system_sgpr_workgroup_info 0
		.amdhsa_system_vgpr_workitem_id 0
		.amdhsa_next_free_vgpr 1
		.amdhsa_next_free_sgpr 0
		.amdhsa_accum_offset 4
		.amdhsa_reserve_vcc 0
		.amdhsa_reserve_flat_scratch 0
		.amdhsa_float_round_mode_32 0
		.amdhsa_float_round_mode_16_64 0
		.amdhsa_float_denorm_mode_32 3
		.amdhsa_float_denorm_mode_16_64 3
		.amdhsa_dx10_clamp 1
		.amdhsa_ieee_mode 1
		.amdhsa_fp16_overflow 0
		.amdhsa_tg_split 0
		.amdhsa_exception_fp_ieee_invalid_op 0
		.amdhsa_exception_fp_denorm_src 0
		.amdhsa_exception_fp_ieee_div_zero 0
		.amdhsa_exception_fp_ieee_overflow 0
		.amdhsa_exception_fp_ieee_underflow 0
		.amdhsa_exception_fp_ieee_inexact 0
		.amdhsa_exception_int_div_zero 0
	.end_amdhsa_kernel
	.section	.text._ZN7rocprim17ROCPRIM_400000_NS6detail17trampoline_kernelINS0_14default_configENS1_29reduce_by_key_config_selectorIiiN6thrust23THRUST_200600_302600_NS4plusIiEEEEZZNS1_33reduce_by_key_impl_wrapped_configILNS1_25lookback_scan_determinismE0ES3_S9_NS6_10device_ptrIiEESD_SD_SD_PmS8_NS6_8equal_toIiEEEE10hipError_tPvRmT2_T3_mT4_T5_T6_T7_T8_P12ihipStream_tbENKUlT_T0_E_clISt17integral_constantIbLb0EESY_EEDaST_SU_EUlST_E_NS1_11comp_targetILNS1_3genE10ELNS1_11target_archE1200ELNS1_3gpuE4ELNS1_3repE0EEENS1_30default_config_static_selectorELNS0_4arch9wavefront6targetE1EEEvT1_,"axG",@progbits,_ZN7rocprim17ROCPRIM_400000_NS6detail17trampoline_kernelINS0_14default_configENS1_29reduce_by_key_config_selectorIiiN6thrust23THRUST_200600_302600_NS4plusIiEEEEZZNS1_33reduce_by_key_impl_wrapped_configILNS1_25lookback_scan_determinismE0ES3_S9_NS6_10device_ptrIiEESD_SD_SD_PmS8_NS6_8equal_toIiEEEE10hipError_tPvRmT2_T3_mT4_T5_T6_T7_T8_P12ihipStream_tbENKUlT_T0_E_clISt17integral_constantIbLb0EESY_EEDaST_SU_EUlST_E_NS1_11comp_targetILNS1_3genE10ELNS1_11target_archE1200ELNS1_3gpuE4ELNS1_3repE0EEENS1_30default_config_static_selectorELNS0_4arch9wavefront6targetE1EEEvT1_,comdat
.Lfunc_end1100:
	.size	_ZN7rocprim17ROCPRIM_400000_NS6detail17trampoline_kernelINS0_14default_configENS1_29reduce_by_key_config_selectorIiiN6thrust23THRUST_200600_302600_NS4plusIiEEEEZZNS1_33reduce_by_key_impl_wrapped_configILNS1_25lookback_scan_determinismE0ES3_S9_NS6_10device_ptrIiEESD_SD_SD_PmS8_NS6_8equal_toIiEEEE10hipError_tPvRmT2_T3_mT4_T5_T6_T7_T8_P12ihipStream_tbENKUlT_T0_E_clISt17integral_constantIbLb0EESY_EEDaST_SU_EUlST_E_NS1_11comp_targetILNS1_3genE10ELNS1_11target_archE1200ELNS1_3gpuE4ELNS1_3repE0EEENS1_30default_config_static_selectorELNS0_4arch9wavefront6targetE1EEEvT1_, .Lfunc_end1100-_ZN7rocprim17ROCPRIM_400000_NS6detail17trampoline_kernelINS0_14default_configENS1_29reduce_by_key_config_selectorIiiN6thrust23THRUST_200600_302600_NS4plusIiEEEEZZNS1_33reduce_by_key_impl_wrapped_configILNS1_25lookback_scan_determinismE0ES3_S9_NS6_10device_ptrIiEESD_SD_SD_PmS8_NS6_8equal_toIiEEEE10hipError_tPvRmT2_T3_mT4_T5_T6_T7_T8_P12ihipStream_tbENKUlT_T0_E_clISt17integral_constantIbLb0EESY_EEDaST_SU_EUlST_E_NS1_11comp_targetILNS1_3genE10ELNS1_11target_archE1200ELNS1_3gpuE4ELNS1_3repE0EEENS1_30default_config_static_selectorELNS0_4arch9wavefront6targetE1EEEvT1_
                                        ; -- End function
	.section	.AMDGPU.csdata,"",@progbits
; Kernel info:
; codeLenInByte = 0
; NumSgprs: 4
; NumVgprs: 0
; NumAgprs: 0
; TotalNumVgprs: 0
; ScratchSize: 0
; MemoryBound: 0
; FloatMode: 240
; IeeeMode: 1
; LDSByteSize: 0 bytes/workgroup (compile time only)
; SGPRBlocks: 0
; VGPRBlocks: 0
; NumSGPRsForWavesPerEU: 4
; NumVGPRsForWavesPerEU: 1
; AccumOffset: 4
; Occupancy: 8
; WaveLimiterHint : 0
; COMPUTE_PGM_RSRC2:SCRATCH_EN: 0
; COMPUTE_PGM_RSRC2:USER_SGPR: 6
; COMPUTE_PGM_RSRC2:TRAP_HANDLER: 0
; COMPUTE_PGM_RSRC2:TGID_X_EN: 1
; COMPUTE_PGM_RSRC2:TGID_Y_EN: 0
; COMPUTE_PGM_RSRC2:TGID_Z_EN: 0
; COMPUTE_PGM_RSRC2:TIDIG_COMP_CNT: 0
; COMPUTE_PGM_RSRC3_GFX90A:ACCUM_OFFSET: 0
; COMPUTE_PGM_RSRC3_GFX90A:TG_SPLIT: 0
	.section	.text._ZN7rocprim17ROCPRIM_400000_NS6detail17trampoline_kernelINS0_14default_configENS1_29reduce_by_key_config_selectorIiiN6thrust23THRUST_200600_302600_NS4plusIiEEEEZZNS1_33reduce_by_key_impl_wrapped_configILNS1_25lookback_scan_determinismE0ES3_S9_NS6_10device_ptrIiEESD_SD_SD_PmS8_NS6_8equal_toIiEEEE10hipError_tPvRmT2_T3_mT4_T5_T6_T7_T8_P12ihipStream_tbENKUlT_T0_E_clISt17integral_constantIbLb0EESY_EEDaST_SU_EUlST_E_NS1_11comp_targetILNS1_3genE9ELNS1_11target_archE1100ELNS1_3gpuE3ELNS1_3repE0EEENS1_30default_config_static_selectorELNS0_4arch9wavefront6targetE1EEEvT1_,"axG",@progbits,_ZN7rocprim17ROCPRIM_400000_NS6detail17trampoline_kernelINS0_14default_configENS1_29reduce_by_key_config_selectorIiiN6thrust23THRUST_200600_302600_NS4plusIiEEEEZZNS1_33reduce_by_key_impl_wrapped_configILNS1_25lookback_scan_determinismE0ES3_S9_NS6_10device_ptrIiEESD_SD_SD_PmS8_NS6_8equal_toIiEEEE10hipError_tPvRmT2_T3_mT4_T5_T6_T7_T8_P12ihipStream_tbENKUlT_T0_E_clISt17integral_constantIbLb0EESY_EEDaST_SU_EUlST_E_NS1_11comp_targetILNS1_3genE9ELNS1_11target_archE1100ELNS1_3gpuE3ELNS1_3repE0EEENS1_30default_config_static_selectorELNS0_4arch9wavefront6targetE1EEEvT1_,comdat
	.protected	_ZN7rocprim17ROCPRIM_400000_NS6detail17trampoline_kernelINS0_14default_configENS1_29reduce_by_key_config_selectorIiiN6thrust23THRUST_200600_302600_NS4plusIiEEEEZZNS1_33reduce_by_key_impl_wrapped_configILNS1_25lookback_scan_determinismE0ES3_S9_NS6_10device_ptrIiEESD_SD_SD_PmS8_NS6_8equal_toIiEEEE10hipError_tPvRmT2_T3_mT4_T5_T6_T7_T8_P12ihipStream_tbENKUlT_T0_E_clISt17integral_constantIbLb0EESY_EEDaST_SU_EUlST_E_NS1_11comp_targetILNS1_3genE9ELNS1_11target_archE1100ELNS1_3gpuE3ELNS1_3repE0EEENS1_30default_config_static_selectorELNS0_4arch9wavefront6targetE1EEEvT1_ ; -- Begin function _ZN7rocprim17ROCPRIM_400000_NS6detail17trampoline_kernelINS0_14default_configENS1_29reduce_by_key_config_selectorIiiN6thrust23THRUST_200600_302600_NS4plusIiEEEEZZNS1_33reduce_by_key_impl_wrapped_configILNS1_25lookback_scan_determinismE0ES3_S9_NS6_10device_ptrIiEESD_SD_SD_PmS8_NS6_8equal_toIiEEEE10hipError_tPvRmT2_T3_mT4_T5_T6_T7_T8_P12ihipStream_tbENKUlT_T0_E_clISt17integral_constantIbLb0EESY_EEDaST_SU_EUlST_E_NS1_11comp_targetILNS1_3genE9ELNS1_11target_archE1100ELNS1_3gpuE3ELNS1_3repE0EEENS1_30default_config_static_selectorELNS0_4arch9wavefront6targetE1EEEvT1_
	.globl	_ZN7rocprim17ROCPRIM_400000_NS6detail17trampoline_kernelINS0_14default_configENS1_29reduce_by_key_config_selectorIiiN6thrust23THRUST_200600_302600_NS4plusIiEEEEZZNS1_33reduce_by_key_impl_wrapped_configILNS1_25lookback_scan_determinismE0ES3_S9_NS6_10device_ptrIiEESD_SD_SD_PmS8_NS6_8equal_toIiEEEE10hipError_tPvRmT2_T3_mT4_T5_T6_T7_T8_P12ihipStream_tbENKUlT_T0_E_clISt17integral_constantIbLb0EESY_EEDaST_SU_EUlST_E_NS1_11comp_targetILNS1_3genE9ELNS1_11target_archE1100ELNS1_3gpuE3ELNS1_3repE0EEENS1_30default_config_static_selectorELNS0_4arch9wavefront6targetE1EEEvT1_
	.p2align	8
	.type	_ZN7rocprim17ROCPRIM_400000_NS6detail17trampoline_kernelINS0_14default_configENS1_29reduce_by_key_config_selectorIiiN6thrust23THRUST_200600_302600_NS4plusIiEEEEZZNS1_33reduce_by_key_impl_wrapped_configILNS1_25lookback_scan_determinismE0ES3_S9_NS6_10device_ptrIiEESD_SD_SD_PmS8_NS6_8equal_toIiEEEE10hipError_tPvRmT2_T3_mT4_T5_T6_T7_T8_P12ihipStream_tbENKUlT_T0_E_clISt17integral_constantIbLb0EESY_EEDaST_SU_EUlST_E_NS1_11comp_targetILNS1_3genE9ELNS1_11target_archE1100ELNS1_3gpuE3ELNS1_3repE0EEENS1_30default_config_static_selectorELNS0_4arch9wavefront6targetE1EEEvT1_,@function
_ZN7rocprim17ROCPRIM_400000_NS6detail17trampoline_kernelINS0_14default_configENS1_29reduce_by_key_config_selectorIiiN6thrust23THRUST_200600_302600_NS4plusIiEEEEZZNS1_33reduce_by_key_impl_wrapped_configILNS1_25lookback_scan_determinismE0ES3_S9_NS6_10device_ptrIiEESD_SD_SD_PmS8_NS6_8equal_toIiEEEE10hipError_tPvRmT2_T3_mT4_T5_T6_T7_T8_P12ihipStream_tbENKUlT_T0_E_clISt17integral_constantIbLb0EESY_EEDaST_SU_EUlST_E_NS1_11comp_targetILNS1_3genE9ELNS1_11target_archE1100ELNS1_3gpuE3ELNS1_3repE0EEENS1_30default_config_static_selectorELNS0_4arch9wavefront6targetE1EEEvT1_: ; @_ZN7rocprim17ROCPRIM_400000_NS6detail17trampoline_kernelINS0_14default_configENS1_29reduce_by_key_config_selectorIiiN6thrust23THRUST_200600_302600_NS4plusIiEEEEZZNS1_33reduce_by_key_impl_wrapped_configILNS1_25lookback_scan_determinismE0ES3_S9_NS6_10device_ptrIiEESD_SD_SD_PmS8_NS6_8equal_toIiEEEE10hipError_tPvRmT2_T3_mT4_T5_T6_T7_T8_P12ihipStream_tbENKUlT_T0_E_clISt17integral_constantIbLb0EESY_EEDaST_SU_EUlST_E_NS1_11comp_targetILNS1_3genE9ELNS1_11target_archE1100ELNS1_3gpuE3ELNS1_3repE0EEENS1_30default_config_static_selectorELNS0_4arch9wavefront6targetE1EEEvT1_
; %bb.0:
	.section	.rodata,"a",@progbits
	.p2align	6, 0x0
	.amdhsa_kernel _ZN7rocprim17ROCPRIM_400000_NS6detail17trampoline_kernelINS0_14default_configENS1_29reduce_by_key_config_selectorIiiN6thrust23THRUST_200600_302600_NS4plusIiEEEEZZNS1_33reduce_by_key_impl_wrapped_configILNS1_25lookback_scan_determinismE0ES3_S9_NS6_10device_ptrIiEESD_SD_SD_PmS8_NS6_8equal_toIiEEEE10hipError_tPvRmT2_T3_mT4_T5_T6_T7_T8_P12ihipStream_tbENKUlT_T0_E_clISt17integral_constantIbLb0EESY_EEDaST_SU_EUlST_E_NS1_11comp_targetILNS1_3genE9ELNS1_11target_archE1100ELNS1_3gpuE3ELNS1_3repE0EEENS1_30default_config_static_selectorELNS0_4arch9wavefront6targetE1EEEvT1_
		.amdhsa_group_segment_fixed_size 0
		.amdhsa_private_segment_fixed_size 0
		.amdhsa_kernarg_size 120
		.amdhsa_user_sgpr_count 6
		.amdhsa_user_sgpr_private_segment_buffer 1
		.amdhsa_user_sgpr_dispatch_ptr 0
		.amdhsa_user_sgpr_queue_ptr 0
		.amdhsa_user_sgpr_kernarg_segment_ptr 1
		.amdhsa_user_sgpr_dispatch_id 0
		.amdhsa_user_sgpr_flat_scratch_init 0
		.amdhsa_user_sgpr_kernarg_preload_length 0
		.amdhsa_user_sgpr_kernarg_preload_offset 0
		.amdhsa_user_sgpr_private_segment_size 0
		.amdhsa_uses_dynamic_stack 0
		.amdhsa_system_sgpr_private_segment_wavefront_offset 0
		.amdhsa_system_sgpr_workgroup_id_x 1
		.amdhsa_system_sgpr_workgroup_id_y 0
		.amdhsa_system_sgpr_workgroup_id_z 0
		.amdhsa_system_sgpr_workgroup_info 0
		.amdhsa_system_vgpr_workitem_id 0
		.amdhsa_next_free_vgpr 1
		.amdhsa_next_free_sgpr 0
		.amdhsa_accum_offset 4
		.amdhsa_reserve_vcc 0
		.amdhsa_reserve_flat_scratch 0
		.amdhsa_float_round_mode_32 0
		.amdhsa_float_round_mode_16_64 0
		.amdhsa_float_denorm_mode_32 3
		.amdhsa_float_denorm_mode_16_64 3
		.amdhsa_dx10_clamp 1
		.amdhsa_ieee_mode 1
		.amdhsa_fp16_overflow 0
		.amdhsa_tg_split 0
		.amdhsa_exception_fp_ieee_invalid_op 0
		.amdhsa_exception_fp_denorm_src 0
		.amdhsa_exception_fp_ieee_div_zero 0
		.amdhsa_exception_fp_ieee_overflow 0
		.amdhsa_exception_fp_ieee_underflow 0
		.amdhsa_exception_fp_ieee_inexact 0
		.amdhsa_exception_int_div_zero 0
	.end_amdhsa_kernel
	.section	.text._ZN7rocprim17ROCPRIM_400000_NS6detail17trampoline_kernelINS0_14default_configENS1_29reduce_by_key_config_selectorIiiN6thrust23THRUST_200600_302600_NS4plusIiEEEEZZNS1_33reduce_by_key_impl_wrapped_configILNS1_25lookback_scan_determinismE0ES3_S9_NS6_10device_ptrIiEESD_SD_SD_PmS8_NS6_8equal_toIiEEEE10hipError_tPvRmT2_T3_mT4_T5_T6_T7_T8_P12ihipStream_tbENKUlT_T0_E_clISt17integral_constantIbLb0EESY_EEDaST_SU_EUlST_E_NS1_11comp_targetILNS1_3genE9ELNS1_11target_archE1100ELNS1_3gpuE3ELNS1_3repE0EEENS1_30default_config_static_selectorELNS0_4arch9wavefront6targetE1EEEvT1_,"axG",@progbits,_ZN7rocprim17ROCPRIM_400000_NS6detail17trampoline_kernelINS0_14default_configENS1_29reduce_by_key_config_selectorIiiN6thrust23THRUST_200600_302600_NS4plusIiEEEEZZNS1_33reduce_by_key_impl_wrapped_configILNS1_25lookback_scan_determinismE0ES3_S9_NS6_10device_ptrIiEESD_SD_SD_PmS8_NS6_8equal_toIiEEEE10hipError_tPvRmT2_T3_mT4_T5_T6_T7_T8_P12ihipStream_tbENKUlT_T0_E_clISt17integral_constantIbLb0EESY_EEDaST_SU_EUlST_E_NS1_11comp_targetILNS1_3genE9ELNS1_11target_archE1100ELNS1_3gpuE3ELNS1_3repE0EEENS1_30default_config_static_selectorELNS0_4arch9wavefront6targetE1EEEvT1_,comdat
.Lfunc_end1101:
	.size	_ZN7rocprim17ROCPRIM_400000_NS6detail17trampoline_kernelINS0_14default_configENS1_29reduce_by_key_config_selectorIiiN6thrust23THRUST_200600_302600_NS4plusIiEEEEZZNS1_33reduce_by_key_impl_wrapped_configILNS1_25lookback_scan_determinismE0ES3_S9_NS6_10device_ptrIiEESD_SD_SD_PmS8_NS6_8equal_toIiEEEE10hipError_tPvRmT2_T3_mT4_T5_T6_T7_T8_P12ihipStream_tbENKUlT_T0_E_clISt17integral_constantIbLb0EESY_EEDaST_SU_EUlST_E_NS1_11comp_targetILNS1_3genE9ELNS1_11target_archE1100ELNS1_3gpuE3ELNS1_3repE0EEENS1_30default_config_static_selectorELNS0_4arch9wavefront6targetE1EEEvT1_, .Lfunc_end1101-_ZN7rocprim17ROCPRIM_400000_NS6detail17trampoline_kernelINS0_14default_configENS1_29reduce_by_key_config_selectorIiiN6thrust23THRUST_200600_302600_NS4plusIiEEEEZZNS1_33reduce_by_key_impl_wrapped_configILNS1_25lookback_scan_determinismE0ES3_S9_NS6_10device_ptrIiEESD_SD_SD_PmS8_NS6_8equal_toIiEEEE10hipError_tPvRmT2_T3_mT4_T5_T6_T7_T8_P12ihipStream_tbENKUlT_T0_E_clISt17integral_constantIbLb0EESY_EEDaST_SU_EUlST_E_NS1_11comp_targetILNS1_3genE9ELNS1_11target_archE1100ELNS1_3gpuE3ELNS1_3repE0EEENS1_30default_config_static_selectorELNS0_4arch9wavefront6targetE1EEEvT1_
                                        ; -- End function
	.section	.AMDGPU.csdata,"",@progbits
; Kernel info:
; codeLenInByte = 0
; NumSgprs: 4
; NumVgprs: 0
; NumAgprs: 0
; TotalNumVgprs: 0
; ScratchSize: 0
; MemoryBound: 0
; FloatMode: 240
; IeeeMode: 1
; LDSByteSize: 0 bytes/workgroup (compile time only)
; SGPRBlocks: 0
; VGPRBlocks: 0
; NumSGPRsForWavesPerEU: 4
; NumVGPRsForWavesPerEU: 1
; AccumOffset: 4
; Occupancy: 8
; WaveLimiterHint : 0
; COMPUTE_PGM_RSRC2:SCRATCH_EN: 0
; COMPUTE_PGM_RSRC2:USER_SGPR: 6
; COMPUTE_PGM_RSRC2:TRAP_HANDLER: 0
; COMPUTE_PGM_RSRC2:TGID_X_EN: 1
; COMPUTE_PGM_RSRC2:TGID_Y_EN: 0
; COMPUTE_PGM_RSRC2:TGID_Z_EN: 0
; COMPUTE_PGM_RSRC2:TIDIG_COMP_CNT: 0
; COMPUTE_PGM_RSRC3_GFX90A:ACCUM_OFFSET: 0
; COMPUTE_PGM_RSRC3_GFX90A:TG_SPLIT: 0
	.section	.text._ZN7rocprim17ROCPRIM_400000_NS6detail17trampoline_kernelINS0_14default_configENS1_29reduce_by_key_config_selectorIiiN6thrust23THRUST_200600_302600_NS4plusIiEEEEZZNS1_33reduce_by_key_impl_wrapped_configILNS1_25lookback_scan_determinismE0ES3_S9_NS6_10device_ptrIiEESD_SD_SD_PmS8_NS6_8equal_toIiEEEE10hipError_tPvRmT2_T3_mT4_T5_T6_T7_T8_P12ihipStream_tbENKUlT_T0_E_clISt17integral_constantIbLb0EESY_EEDaST_SU_EUlST_E_NS1_11comp_targetILNS1_3genE8ELNS1_11target_archE1030ELNS1_3gpuE2ELNS1_3repE0EEENS1_30default_config_static_selectorELNS0_4arch9wavefront6targetE1EEEvT1_,"axG",@progbits,_ZN7rocprim17ROCPRIM_400000_NS6detail17trampoline_kernelINS0_14default_configENS1_29reduce_by_key_config_selectorIiiN6thrust23THRUST_200600_302600_NS4plusIiEEEEZZNS1_33reduce_by_key_impl_wrapped_configILNS1_25lookback_scan_determinismE0ES3_S9_NS6_10device_ptrIiEESD_SD_SD_PmS8_NS6_8equal_toIiEEEE10hipError_tPvRmT2_T3_mT4_T5_T6_T7_T8_P12ihipStream_tbENKUlT_T0_E_clISt17integral_constantIbLb0EESY_EEDaST_SU_EUlST_E_NS1_11comp_targetILNS1_3genE8ELNS1_11target_archE1030ELNS1_3gpuE2ELNS1_3repE0EEENS1_30default_config_static_selectorELNS0_4arch9wavefront6targetE1EEEvT1_,comdat
	.protected	_ZN7rocprim17ROCPRIM_400000_NS6detail17trampoline_kernelINS0_14default_configENS1_29reduce_by_key_config_selectorIiiN6thrust23THRUST_200600_302600_NS4plusIiEEEEZZNS1_33reduce_by_key_impl_wrapped_configILNS1_25lookback_scan_determinismE0ES3_S9_NS6_10device_ptrIiEESD_SD_SD_PmS8_NS6_8equal_toIiEEEE10hipError_tPvRmT2_T3_mT4_T5_T6_T7_T8_P12ihipStream_tbENKUlT_T0_E_clISt17integral_constantIbLb0EESY_EEDaST_SU_EUlST_E_NS1_11comp_targetILNS1_3genE8ELNS1_11target_archE1030ELNS1_3gpuE2ELNS1_3repE0EEENS1_30default_config_static_selectorELNS0_4arch9wavefront6targetE1EEEvT1_ ; -- Begin function _ZN7rocprim17ROCPRIM_400000_NS6detail17trampoline_kernelINS0_14default_configENS1_29reduce_by_key_config_selectorIiiN6thrust23THRUST_200600_302600_NS4plusIiEEEEZZNS1_33reduce_by_key_impl_wrapped_configILNS1_25lookback_scan_determinismE0ES3_S9_NS6_10device_ptrIiEESD_SD_SD_PmS8_NS6_8equal_toIiEEEE10hipError_tPvRmT2_T3_mT4_T5_T6_T7_T8_P12ihipStream_tbENKUlT_T0_E_clISt17integral_constantIbLb0EESY_EEDaST_SU_EUlST_E_NS1_11comp_targetILNS1_3genE8ELNS1_11target_archE1030ELNS1_3gpuE2ELNS1_3repE0EEENS1_30default_config_static_selectorELNS0_4arch9wavefront6targetE1EEEvT1_
	.globl	_ZN7rocprim17ROCPRIM_400000_NS6detail17trampoline_kernelINS0_14default_configENS1_29reduce_by_key_config_selectorIiiN6thrust23THRUST_200600_302600_NS4plusIiEEEEZZNS1_33reduce_by_key_impl_wrapped_configILNS1_25lookback_scan_determinismE0ES3_S9_NS6_10device_ptrIiEESD_SD_SD_PmS8_NS6_8equal_toIiEEEE10hipError_tPvRmT2_T3_mT4_T5_T6_T7_T8_P12ihipStream_tbENKUlT_T0_E_clISt17integral_constantIbLb0EESY_EEDaST_SU_EUlST_E_NS1_11comp_targetILNS1_3genE8ELNS1_11target_archE1030ELNS1_3gpuE2ELNS1_3repE0EEENS1_30default_config_static_selectorELNS0_4arch9wavefront6targetE1EEEvT1_
	.p2align	8
	.type	_ZN7rocprim17ROCPRIM_400000_NS6detail17trampoline_kernelINS0_14default_configENS1_29reduce_by_key_config_selectorIiiN6thrust23THRUST_200600_302600_NS4plusIiEEEEZZNS1_33reduce_by_key_impl_wrapped_configILNS1_25lookback_scan_determinismE0ES3_S9_NS6_10device_ptrIiEESD_SD_SD_PmS8_NS6_8equal_toIiEEEE10hipError_tPvRmT2_T3_mT4_T5_T6_T7_T8_P12ihipStream_tbENKUlT_T0_E_clISt17integral_constantIbLb0EESY_EEDaST_SU_EUlST_E_NS1_11comp_targetILNS1_3genE8ELNS1_11target_archE1030ELNS1_3gpuE2ELNS1_3repE0EEENS1_30default_config_static_selectorELNS0_4arch9wavefront6targetE1EEEvT1_,@function
_ZN7rocprim17ROCPRIM_400000_NS6detail17trampoline_kernelINS0_14default_configENS1_29reduce_by_key_config_selectorIiiN6thrust23THRUST_200600_302600_NS4plusIiEEEEZZNS1_33reduce_by_key_impl_wrapped_configILNS1_25lookback_scan_determinismE0ES3_S9_NS6_10device_ptrIiEESD_SD_SD_PmS8_NS6_8equal_toIiEEEE10hipError_tPvRmT2_T3_mT4_T5_T6_T7_T8_P12ihipStream_tbENKUlT_T0_E_clISt17integral_constantIbLb0EESY_EEDaST_SU_EUlST_E_NS1_11comp_targetILNS1_3genE8ELNS1_11target_archE1030ELNS1_3gpuE2ELNS1_3repE0EEENS1_30default_config_static_selectorELNS0_4arch9wavefront6targetE1EEEvT1_: ; @_ZN7rocprim17ROCPRIM_400000_NS6detail17trampoline_kernelINS0_14default_configENS1_29reduce_by_key_config_selectorIiiN6thrust23THRUST_200600_302600_NS4plusIiEEEEZZNS1_33reduce_by_key_impl_wrapped_configILNS1_25lookback_scan_determinismE0ES3_S9_NS6_10device_ptrIiEESD_SD_SD_PmS8_NS6_8equal_toIiEEEE10hipError_tPvRmT2_T3_mT4_T5_T6_T7_T8_P12ihipStream_tbENKUlT_T0_E_clISt17integral_constantIbLb0EESY_EEDaST_SU_EUlST_E_NS1_11comp_targetILNS1_3genE8ELNS1_11target_archE1030ELNS1_3gpuE2ELNS1_3repE0EEENS1_30default_config_static_selectorELNS0_4arch9wavefront6targetE1EEEvT1_
; %bb.0:
	.section	.rodata,"a",@progbits
	.p2align	6, 0x0
	.amdhsa_kernel _ZN7rocprim17ROCPRIM_400000_NS6detail17trampoline_kernelINS0_14default_configENS1_29reduce_by_key_config_selectorIiiN6thrust23THRUST_200600_302600_NS4plusIiEEEEZZNS1_33reduce_by_key_impl_wrapped_configILNS1_25lookback_scan_determinismE0ES3_S9_NS6_10device_ptrIiEESD_SD_SD_PmS8_NS6_8equal_toIiEEEE10hipError_tPvRmT2_T3_mT4_T5_T6_T7_T8_P12ihipStream_tbENKUlT_T0_E_clISt17integral_constantIbLb0EESY_EEDaST_SU_EUlST_E_NS1_11comp_targetILNS1_3genE8ELNS1_11target_archE1030ELNS1_3gpuE2ELNS1_3repE0EEENS1_30default_config_static_selectorELNS0_4arch9wavefront6targetE1EEEvT1_
		.amdhsa_group_segment_fixed_size 0
		.amdhsa_private_segment_fixed_size 0
		.amdhsa_kernarg_size 120
		.amdhsa_user_sgpr_count 6
		.amdhsa_user_sgpr_private_segment_buffer 1
		.amdhsa_user_sgpr_dispatch_ptr 0
		.amdhsa_user_sgpr_queue_ptr 0
		.amdhsa_user_sgpr_kernarg_segment_ptr 1
		.amdhsa_user_sgpr_dispatch_id 0
		.amdhsa_user_sgpr_flat_scratch_init 0
		.amdhsa_user_sgpr_kernarg_preload_length 0
		.amdhsa_user_sgpr_kernarg_preload_offset 0
		.amdhsa_user_sgpr_private_segment_size 0
		.amdhsa_uses_dynamic_stack 0
		.amdhsa_system_sgpr_private_segment_wavefront_offset 0
		.amdhsa_system_sgpr_workgroup_id_x 1
		.amdhsa_system_sgpr_workgroup_id_y 0
		.amdhsa_system_sgpr_workgroup_id_z 0
		.amdhsa_system_sgpr_workgroup_info 0
		.amdhsa_system_vgpr_workitem_id 0
		.amdhsa_next_free_vgpr 1
		.amdhsa_next_free_sgpr 0
		.amdhsa_accum_offset 4
		.amdhsa_reserve_vcc 0
		.amdhsa_reserve_flat_scratch 0
		.amdhsa_float_round_mode_32 0
		.amdhsa_float_round_mode_16_64 0
		.amdhsa_float_denorm_mode_32 3
		.amdhsa_float_denorm_mode_16_64 3
		.amdhsa_dx10_clamp 1
		.amdhsa_ieee_mode 1
		.amdhsa_fp16_overflow 0
		.amdhsa_tg_split 0
		.amdhsa_exception_fp_ieee_invalid_op 0
		.amdhsa_exception_fp_denorm_src 0
		.amdhsa_exception_fp_ieee_div_zero 0
		.amdhsa_exception_fp_ieee_overflow 0
		.amdhsa_exception_fp_ieee_underflow 0
		.amdhsa_exception_fp_ieee_inexact 0
		.amdhsa_exception_int_div_zero 0
	.end_amdhsa_kernel
	.section	.text._ZN7rocprim17ROCPRIM_400000_NS6detail17trampoline_kernelINS0_14default_configENS1_29reduce_by_key_config_selectorIiiN6thrust23THRUST_200600_302600_NS4plusIiEEEEZZNS1_33reduce_by_key_impl_wrapped_configILNS1_25lookback_scan_determinismE0ES3_S9_NS6_10device_ptrIiEESD_SD_SD_PmS8_NS6_8equal_toIiEEEE10hipError_tPvRmT2_T3_mT4_T5_T6_T7_T8_P12ihipStream_tbENKUlT_T0_E_clISt17integral_constantIbLb0EESY_EEDaST_SU_EUlST_E_NS1_11comp_targetILNS1_3genE8ELNS1_11target_archE1030ELNS1_3gpuE2ELNS1_3repE0EEENS1_30default_config_static_selectorELNS0_4arch9wavefront6targetE1EEEvT1_,"axG",@progbits,_ZN7rocprim17ROCPRIM_400000_NS6detail17trampoline_kernelINS0_14default_configENS1_29reduce_by_key_config_selectorIiiN6thrust23THRUST_200600_302600_NS4plusIiEEEEZZNS1_33reduce_by_key_impl_wrapped_configILNS1_25lookback_scan_determinismE0ES3_S9_NS6_10device_ptrIiEESD_SD_SD_PmS8_NS6_8equal_toIiEEEE10hipError_tPvRmT2_T3_mT4_T5_T6_T7_T8_P12ihipStream_tbENKUlT_T0_E_clISt17integral_constantIbLb0EESY_EEDaST_SU_EUlST_E_NS1_11comp_targetILNS1_3genE8ELNS1_11target_archE1030ELNS1_3gpuE2ELNS1_3repE0EEENS1_30default_config_static_selectorELNS0_4arch9wavefront6targetE1EEEvT1_,comdat
.Lfunc_end1102:
	.size	_ZN7rocprim17ROCPRIM_400000_NS6detail17trampoline_kernelINS0_14default_configENS1_29reduce_by_key_config_selectorIiiN6thrust23THRUST_200600_302600_NS4plusIiEEEEZZNS1_33reduce_by_key_impl_wrapped_configILNS1_25lookback_scan_determinismE0ES3_S9_NS6_10device_ptrIiEESD_SD_SD_PmS8_NS6_8equal_toIiEEEE10hipError_tPvRmT2_T3_mT4_T5_T6_T7_T8_P12ihipStream_tbENKUlT_T0_E_clISt17integral_constantIbLb0EESY_EEDaST_SU_EUlST_E_NS1_11comp_targetILNS1_3genE8ELNS1_11target_archE1030ELNS1_3gpuE2ELNS1_3repE0EEENS1_30default_config_static_selectorELNS0_4arch9wavefront6targetE1EEEvT1_, .Lfunc_end1102-_ZN7rocprim17ROCPRIM_400000_NS6detail17trampoline_kernelINS0_14default_configENS1_29reduce_by_key_config_selectorIiiN6thrust23THRUST_200600_302600_NS4plusIiEEEEZZNS1_33reduce_by_key_impl_wrapped_configILNS1_25lookback_scan_determinismE0ES3_S9_NS6_10device_ptrIiEESD_SD_SD_PmS8_NS6_8equal_toIiEEEE10hipError_tPvRmT2_T3_mT4_T5_T6_T7_T8_P12ihipStream_tbENKUlT_T0_E_clISt17integral_constantIbLb0EESY_EEDaST_SU_EUlST_E_NS1_11comp_targetILNS1_3genE8ELNS1_11target_archE1030ELNS1_3gpuE2ELNS1_3repE0EEENS1_30default_config_static_selectorELNS0_4arch9wavefront6targetE1EEEvT1_
                                        ; -- End function
	.section	.AMDGPU.csdata,"",@progbits
; Kernel info:
; codeLenInByte = 0
; NumSgprs: 4
; NumVgprs: 0
; NumAgprs: 0
; TotalNumVgprs: 0
; ScratchSize: 0
; MemoryBound: 0
; FloatMode: 240
; IeeeMode: 1
; LDSByteSize: 0 bytes/workgroup (compile time only)
; SGPRBlocks: 0
; VGPRBlocks: 0
; NumSGPRsForWavesPerEU: 4
; NumVGPRsForWavesPerEU: 1
; AccumOffset: 4
; Occupancy: 8
; WaveLimiterHint : 0
; COMPUTE_PGM_RSRC2:SCRATCH_EN: 0
; COMPUTE_PGM_RSRC2:USER_SGPR: 6
; COMPUTE_PGM_RSRC2:TRAP_HANDLER: 0
; COMPUTE_PGM_RSRC2:TGID_X_EN: 1
; COMPUTE_PGM_RSRC2:TGID_Y_EN: 0
; COMPUTE_PGM_RSRC2:TGID_Z_EN: 0
; COMPUTE_PGM_RSRC2:TIDIG_COMP_CNT: 0
; COMPUTE_PGM_RSRC3_GFX90A:ACCUM_OFFSET: 0
; COMPUTE_PGM_RSRC3_GFX90A:TG_SPLIT: 0
	.section	.text._ZN7rocprim17ROCPRIM_400000_NS6detail17trampoline_kernelINS0_14default_configENS1_29reduce_by_key_config_selectorIiiN6thrust23THRUST_200600_302600_NS4plusIiEEEEZZNS1_33reduce_by_key_impl_wrapped_configILNS1_25lookback_scan_determinismE0ES3_S9_NS6_10device_ptrIiEESD_SD_SD_PmS8_NS6_8equal_toIiEEEE10hipError_tPvRmT2_T3_mT4_T5_T6_T7_T8_P12ihipStream_tbENKUlT_T0_E_clISt17integral_constantIbLb1EESY_EEDaST_SU_EUlST_E_NS1_11comp_targetILNS1_3genE0ELNS1_11target_archE4294967295ELNS1_3gpuE0ELNS1_3repE0EEENS1_30default_config_static_selectorELNS0_4arch9wavefront6targetE1EEEvT1_,"axG",@progbits,_ZN7rocprim17ROCPRIM_400000_NS6detail17trampoline_kernelINS0_14default_configENS1_29reduce_by_key_config_selectorIiiN6thrust23THRUST_200600_302600_NS4plusIiEEEEZZNS1_33reduce_by_key_impl_wrapped_configILNS1_25lookback_scan_determinismE0ES3_S9_NS6_10device_ptrIiEESD_SD_SD_PmS8_NS6_8equal_toIiEEEE10hipError_tPvRmT2_T3_mT4_T5_T6_T7_T8_P12ihipStream_tbENKUlT_T0_E_clISt17integral_constantIbLb1EESY_EEDaST_SU_EUlST_E_NS1_11comp_targetILNS1_3genE0ELNS1_11target_archE4294967295ELNS1_3gpuE0ELNS1_3repE0EEENS1_30default_config_static_selectorELNS0_4arch9wavefront6targetE1EEEvT1_,comdat
	.protected	_ZN7rocprim17ROCPRIM_400000_NS6detail17trampoline_kernelINS0_14default_configENS1_29reduce_by_key_config_selectorIiiN6thrust23THRUST_200600_302600_NS4plusIiEEEEZZNS1_33reduce_by_key_impl_wrapped_configILNS1_25lookback_scan_determinismE0ES3_S9_NS6_10device_ptrIiEESD_SD_SD_PmS8_NS6_8equal_toIiEEEE10hipError_tPvRmT2_T3_mT4_T5_T6_T7_T8_P12ihipStream_tbENKUlT_T0_E_clISt17integral_constantIbLb1EESY_EEDaST_SU_EUlST_E_NS1_11comp_targetILNS1_3genE0ELNS1_11target_archE4294967295ELNS1_3gpuE0ELNS1_3repE0EEENS1_30default_config_static_selectorELNS0_4arch9wavefront6targetE1EEEvT1_ ; -- Begin function _ZN7rocprim17ROCPRIM_400000_NS6detail17trampoline_kernelINS0_14default_configENS1_29reduce_by_key_config_selectorIiiN6thrust23THRUST_200600_302600_NS4plusIiEEEEZZNS1_33reduce_by_key_impl_wrapped_configILNS1_25lookback_scan_determinismE0ES3_S9_NS6_10device_ptrIiEESD_SD_SD_PmS8_NS6_8equal_toIiEEEE10hipError_tPvRmT2_T3_mT4_T5_T6_T7_T8_P12ihipStream_tbENKUlT_T0_E_clISt17integral_constantIbLb1EESY_EEDaST_SU_EUlST_E_NS1_11comp_targetILNS1_3genE0ELNS1_11target_archE4294967295ELNS1_3gpuE0ELNS1_3repE0EEENS1_30default_config_static_selectorELNS0_4arch9wavefront6targetE1EEEvT1_
	.globl	_ZN7rocprim17ROCPRIM_400000_NS6detail17trampoline_kernelINS0_14default_configENS1_29reduce_by_key_config_selectorIiiN6thrust23THRUST_200600_302600_NS4plusIiEEEEZZNS1_33reduce_by_key_impl_wrapped_configILNS1_25lookback_scan_determinismE0ES3_S9_NS6_10device_ptrIiEESD_SD_SD_PmS8_NS6_8equal_toIiEEEE10hipError_tPvRmT2_T3_mT4_T5_T6_T7_T8_P12ihipStream_tbENKUlT_T0_E_clISt17integral_constantIbLb1EESY_EEDaST_SU_EUlST_E_NS1_11comp_targetILNS1_3genE0ELNS1_11target_archE4294967295ELNS1_3gpuE0ELNS1_3repE0EEENS1_30default_config_static_selectorELNS0_4arch9wavefront6targetE1EEEvT1_
	.p2align	8
	.type	_ZN7rocprim17ROCPRIM_400000_NS6detail17trampoline_kernelINS0_14default_configENS1_29reduce_by_key_config_selectorIiiN6thrust23THRUST_200600_302600_NS4plusIiEEEEZZNS1_33reduce_by_key_impl_wrapped_configILNS1_25lookback_scan_determinismE0ES3_S9_NS6_10device_ptrIiEESD_SD_SD_PmS8_NS6_8equal_toIiEEEE10hipError_tPvRmT2_T3_mT4_T5_T6_T7_T8_P12ihipStream_tbENKUlT_T0_E_clISt17integral_constantIbLb1EESY_EEDaST_SU_EUlST_E_NS1_11comp_targetILNS1_3genE0ELNS1_11target_archE4294967295ELNS1_3gpuE0ELNS1_3repE0EEENS1_30default_config_static_selectorELNS0_4arch9wavefront6targetE1EEEvT1_,@function
_ZN7rocprim17ROCPRIM_400000_NS6detail17trampoline_kernelINS0_14default_configENS1_29reduce_by_key_config_selectorIiiN6thrust23THRUST_200600_302600_NS4plusIiEEEEZZNS1_33reduce_by_key_impl_wrapped_configILNS1_25lookback_scan_determinismE0ES3_S9_NS6_10device_ptrIiEESD_SD_SD_PmS8_NS6_8equal_toIiEEEE10hipError_tPvRmT2_T3_mT4_T5_T6_T7_T8_P12ihipStream_tbENKUlT_T0_E_clISt17integral_constantIbLb1EESY_EEDaST_SU_EUlST_E_NS1_11comp_targetILNS1_3genE0ELNS1_11target_archE4294967295ELNS1_3gpuE0ELNS1_3repE0EEENS1_30default_config_static_selectorELNS0_4arch9wavefront6targetE1EEEvT1_: ; @_ZN7rocprim17ROCPRIM_400000_NS6detail17trampoline_kernelINS0_14default_configENS1_29reduce_by_key_config_selectorIiiN6thrust23THRUST_200600_302600_NS4plusIiEEEEZZNS1_33reduce_by_key_impl_wrapped_configILNS1_25lookback_scan_determinismE0ES3_S9_NS6_10device_ptrIiEESD_SD_SD_PmS8_NS6_8equal_toIiEEEE10hipError_tPvRmT2_T3_mT4_T5_T6_T7_T8_P12ihipStream_tbENKUlT_T0_E_clISt17integral_constantIbLb1EESY_EEDaST_SU_EUlST_E_NS1_11comp_targetILNS1_3genE0ELNS1_11target_archE4294967295ELNS1_3gpuE0ELNS1_3repE0EEENS1_30default_config_static_selectorELNS0_4arch9wavefront6targetE1EEEvT1_
; %bb.0:
	.section	.rodata,"a",@progbits
	.p2align	6, 0x0
	.amdhsa_kernel _ZN7rocprim17ROCPRIM_400000_NS6detail17trampoline_kernelINS0_14default_configENS1_29reduce_by_key_config_selectorIiiN6thrust23THRUST_200600_302600_NS4plusIiEEEEZZNS1_33reduce_by_key_impl_wrapped_configILNS1_25lookback_scan_determinismE0ES3_S9_NS6_10device_ptrIiEESD_SD_SD_PmS8_NS6_8equal_toIiEEEE10hipError_tPvRmT2_T3_mT4_T5_T6_T7_T8_P12ihipStream_tbENKUlT_T0_E_clISt17integral_constantIbLb1EESY_EEDaST_SU_EUlST_E_NS1_11comp_targetILNS1_3genE0ELNS1_11target_archE4294967295ELNS1_3gpuE0ELNS1_3repE0EEENS1_30default_config_static_selectorELNS0_4arch9wavefront6targetE1EEEvT1_
		.amdhsa_group_segment_fixed_size 0
		.amdhsa_private_segment_fixed_size 0
		.amdhsa_kernarg_size 120
		.amdhsa_user_sgpr_count 6
		.amdhsa_user_sgpr_private_segment_buffer 1
		.amdhsa_user_sgpr_dispatch_ptr 0
		.amdhsa_user_sgpr_queue_ptr 0
		.amdhsa_user_sgpr_kernarg_segment_ptr 1
		.amdhsa_user_sgpr_dispatch_id 0
		.amdhsa_user_sgpr_flat_scratch_init 0
		.amdhsa_user_sgpr_kernarg_preload_length 0
		.amdhsa_user_sgpr_kernarg_preload_offset 0
		.amdhsa_user_sgpr_private_segment_size 0
		.amdhsa_uses_dynamic_stack 0
		.amdhsa_system_sgpr_private_segment_wavefront_offset 0
		.amdhsa_system_sgpr_workgroup_id_x 1
		.amdhsa_system_sgpr_workgroup_id_y 0
		.amdhsa_system_sgpr_workgroup_id_z 0
		.amdhsa_system_sgpr_workgroup_info 0
		.amdhsa_system_vgpr_workitem_id 0
		.amdhsa_next_free_vgpr 1
		.amdhsa_next_free_sgpr 0
		.amdhsa_accum_offset 4
		.amdhsa_reserve_vcc 0
		.amdhsa_reserve_flat_scratch 0
		.amdhsa_float_round_mode_32 0
		.amdhsa_float_round_mode_16_64 0
		.amdhsa_float_denorm_mode_32 3
		.amdhsa_float_denorm_mode_16_64 3
		.amdhsa_dx10_clamp 1
		.amdhsa_ieee_mode 1
		.amdhsa_fp16_overflow 0
		.amdhsa_tg_split 0
		.amdhsa_exception_fp_ieee_invalid_op 0
		.amdhsa_exception_fp_denorm_src 0
		.amdhsa_exception_fp_ieee_div_zero 0
		.amdhsa_exception_fp_ieee_overflow 0
		.amdhsa_exception_fp_ieee_underflow 0
		.amdhsa_exception_fp_ieee_inexact 0
		.amdhsa_exception_int_div_zero 0
	.end_amdhsa_kernel
	.section	.text._ZN7rocprim17ROCPRIM_400000_NS6detail17trampoline_kernelINS0_14default_configENS1_29reduce_by_key_config_selectorIiiN6thrust23THRUST_200600_302600_NS4plusIiEEEEZZNS1_33reduce_by_key_impl_wrapped_configILNS1_25lookback_scan_determinismE0ES3_S9_NS6_10device_ptrIiEESD_SD_SD_PmS8_NS6_8equal_toIiEEEE10hipError_tPvRmT2_T3_mT4_T5_T6_T7_T8_P12ihipStream_tbENKUlT_T0_E_clISt17integral_constantIbLb1EESY_EEDaST_SU_EUlST_E_NS1_11comp_targetILNS1_3genE0ELNS1_11target_archE4294967295ELNS1_3gpuE0ELNS1_3repE0EEENS1_30default_config_static_selectorELNS0_4arch9wavefront6targetE1EEEvT1_,"axG",@progbits,_ZN7rocprim17ROCPRIM_400000_NS6detail17trampoline_kernelINS0_14default_configENS1_29reduce_by_key_config_selectorIiiN6thrust23THRUST_200600_302600_NS4plusIiEEEEZZNS1_33reduce_by_key_impl_wrapped_configILNS1_25lookback_scan_determinismE0ES3_S9_NS6_10device_ptrIiEESD_SD_SD_PmS8_NS6_8equal_toIiEEEE10hipError_tPvRmT2_T3_mT4_T5_T6_T7_T8_P12ihipStream_tbENKUlT_T0_E_clISt17integral_constantIbLb1EESY_EEDaST_SU_EUlST_E_NS1_11comp_targetILNS1_3genE0ELNS1_11target_archE4294967295ELNS1_3gpuE0ELNS1_3repE0EEENS1_30default_config_static_selectorELNS0_4arch9wavefront6targetE1EEEvT1_,comdat
.Lfunc_end1103:
	.size	_ZN7rocprim17ROCPRIM_400000_NS6detail17trampoline_kernelINS0_14default_configENS1_29reduce_by_key_config_selectorIiiN6thrust23THRUST_200600_302600_NS4plusIiEEEEZZNS1_33reduce_by_key_impl_wrapped_configILNS1_25lookback_scan_determinismE0ES3_S9_NS6_10device_ptrIiEESD_SD_SD_PmS8_NS6_8equal_toIiEEEE10hipError_tPvRmT2_T3_mT4_T5_T6_T7_T8_P12ihipStream_tbENKUlT_T0_E_clISt17integral_constantIbLb1EESY_EEDaST_SU_EUlST_E_NS1_11comp_targetILNS1_3genE0ELNS1_11target_archE4294967295ELNS1_3gpuE0ELNS1_3repE0EEENS1_30default_config_static_selectorELNS0_4arch9wavefront6targetE1EEEvT1_, .Lfunc_end1103-_ZN7rocprim17ROCPRIM_400000_NS6detail17trampoline_kernelINS0_14default_configENS1_29reduce_by_key_config_selectorIiiN6thrust23THRUST_200600_302600_NS4plusIiEEEEZZNS1_33reduce_by_key_impl_wrapped_configILNS1_25lookback_scan_determinismE0ES3_S9_NS6_10device_ptrIiEESD_SD_SD_PmS8_NS6_8equal_toIiEEEE10hipError_tPvRmT2_T3_mT4_T5_T6_T7_T8_P12ihipStream_tbENKUlT_T0_E_clISt17integral_constantIbLb1EESY_EEDaST_SU_EUlST_E_NS1_11comp_targetILNS1_3genE0ELNS1_11target_archE4294967295ELNS1_3gpuE0ELNS1_3repE0EEENS1_30default_config_static_selectorELNS0_4arch9wavefront6targetE1EEEvT1_
                                        ; -- End function
	.section	.AMDGPU.csdata,"",@progbits
; Kernel info:
; codeLenInByte = 0
; NumSgprs: 4
; NumVgprs: 0
; NumAgprs: 0
; TotalNumVgprs: 0
; ScratchSize: 0
; MemoryBound: 0
; FloatMode: 240
; IeeeMode: 1
; LDSByteSize: 0 bytes/workgroup (compile time only)
; SGPRBlocks: 0
; VGPRBlocks: 0
; NumSGPRsForWavesPerEU: 4
; NumVGPRsForWavesPerEU: 1
; AccumOffset: 4
; Occupancy: 8
; WaveLimiterHint : 0
; COMPUTE_PGM_RSRC2:SCRATCH_EN: 0
; COMPUTE_PGM_RSRC2:USER_SGPR: 6
; COMPUTE_PGM_RSRC2:TRAP_HANDLER: 0
; COMPUTE_PGM_RSRC2:TGID_X_EN: 1
; COMPUTE_PGM_RSRC2:TGID_Y_EN: 0
; COMPUTE_PGM_RSRC2:TGID_Z_EN: 0
; COMPUTE_PGM_RSRC2:TIDIG_COMP_CNT: 0
; COMPUTE_PGM_RSRC3_GFX90A:ACCUM_OFFSET: 0
; COMPUTE_PGM_RSRC3_GFX90A:TG_SPLIT: 0
	.section	.text._ZN7rocprim17ROCPRIM_400000_NS6detail17trampoline_kernelINS0_14default_configENS1_29reduce_by_key_config_selectorIiiN6thrust23THRUST_200600_302600_NS4plusIiEEEEZZNS1_33reduce_by_key_impl_wrapped_configILNS1_25lookback_scan_determinismE0ES3_S9_NS6_10device_ptrIiEESD_SD_SD_PmS8_NS6_8equal_toIiEEEE10hipError_tPvRmT2_T3_mT4_T5_T6_T7_T8_P12ihipStream_tbENKUlT_T0_E_clISt17integral_constantIbLb1EESY_EEDaST_SU_EUlST_E_NS1_11comp_targetILNS1_3genE5ELNS1_11target_archE942ELNS1_3gpuE9ELNS1_3repE0EEENS1_30default_config_static_selectorELNS0_4arch9wavefront6targetE1EEEvT1_,"axG",@progbits,_ZN7rocprim17ROCPRIM_400000_NS6detail17trampoline_kernelINS0_14default_configENS1_29reduce_by_key_config_selectorIiiN6thrust23THRUST_200600_302600_NS4plusIiEEEEZZNS1_33reduce_by_key_impl_wrapped_configILNS1_25lookback_scan_determinismE0ES3_S9_NS6_10device_ptrIiEESD_SD_SD_PmS8_NS6_8equal_toIiEEEE10hipError_tPvRmT2_T3_mT4_T5_T6_T7_T8_P12ihipStream_tbENKUlT_T0_E_clISt17integral_constantIbLb1EESY_EEDaST_SU_EUlST_E_NS1_11comp_targetILNS1_3genE5ELNS1_11target_archE942ELNS1_3gpuE9ELNS1_3repE0EEENS1_30default_config_static_selectorELNS0_4arch9wavefront6targetE1EEEvT1_,comdat
	.protected	_ZN7rocprim17ROCPRIM_400000_NS6detail17trampoline_kernelINS0_14default_configENS1_29reduce_by_key_config_selectorIiiN6thrust23THRUST_200600_302600_NS4plusIiEEEEZZNS1_33reduce_by_key_impl_wrapped_configILNS1_25lookback_scan_determinismE0ES3_S9_NS6_10device_ptrIiEESD_SD_SD_PmS8_NS6_8equal_toIiEEEE10hipError_tPvRmT2_T3_mT4_T5_T6_T7_T8_P12ihipStream_tbENKUlT_T0_E_clISt17integral_constantIbLb1EESY_EEDaST_SU_EUlST_E_NS1_11comp_targetILNS1_3genE5ELNS1_11target_archE942ELNS1_3gpuE9ELNS1_3repE0EEENS1_30default_config_static_selectorELNS0_4arch9wavefront6targetE1EEEvT1_ ; -- Begin function _ZN7rocprim17ROCPRIM_400000_NS6detail17trampoline_kernelINS0_14default_configENS1_29reduce_by_key_config_selectorIiiN6thrust23THRUST_200600_302600_NS4plusIiEEEEZZNS1_33reduce_by_key_impl_wrapped_configILNS1_25lookback_scan_determinismE0ES3_S9_NS6_10device_ptrIiEESD_SD_SD_PmS8_NS6_8equal_toIiEEEE10hipError_tPvRmT2_T3_mT4_T5_T6_T7_T8_P12ihipStream_tbENKUlT_T0_E_clISt17integral_constantIbLb1EESY_EEDaST_SU_EUlST_E_NS1_11comp_targetILNS1_3genE5ELNS1_11target_archE942ELNS1_3gpuE9ELNS1_3repE0EEENS1_30default_config_static_selectorELNS0_4arch9wavefront6targetE1EEEvT1_
	.globl	_ZN7rocprim17ROCPRIM_400000_NS6detail17trampoline_kernelINS0_14default_configENS1_29reduce_by_key_config_selectorIiiN6thrust23THRUST_200600_302600_NS4plusIiEEEEZZNS1_33reduce_by_key_impl_wrapped_configILNS1_25lookback_scan_determinismE0ES3_S9_NS6_10device_ptrIiEESD_SD_SD_PmS8_NS6_8equal_toIiEEEE10hipError_tPvRmT2_T3_mT4_T5_T6_T7_T8_P12ihipStream_tbENKUlT_T0_E_clISt17integral_constantIbLb1EESY_EEDaST_SU_EUlST_E_NS1_11comp_targetILNS1_3genE5ELNS1_11target_archE942ELNS1_3gpuE9ELNS1_3repE0EEENS1_30default_config_static_selectorELNS0_4arch9wavefront6targetE1EEEvT1_
	.p2align	8
	.type	_ZN7rocprim17ROCPRIM_400000_NS6detail17trampoline_kernelINS0_14default_configENS1_29reduce_by_key_config_selectorIiiN6thrust23THRUST_200600_302600_NS4plusIiEEEEZZNS1_33reduce_by_key_impl_wrapped_configILNS1_25lookback_scan_determinismE0ES3_S9_NS6_10device_ptrIiEESD_SD_SD_PmS8_NS6_8equal_toIiEEEE10hipError_tPvRmT2_T3_mT4_T5_T6_T7_T8_P12ihipStream_tbENKUlT_T0_E_clISt17integral_constantIbLb1EESY_EEDaST_SU_EUlST_E_NS1_11comp_targetILNS1_3genE5ELNS1_11target_archE942ELNS1_3gpuE9ELNS1_3repE0EEENS1_30default_config_static_selectorELNS0_4arch9wavefront6targetE1EEEvT1_,@function
_ZN7rocprim17ROCPRIM_400000_NS6detail17trampoline_kernelINS0_14default_configENS1_29reduce_by_key_config_selectorIiiN6thrust23THRUST_200600_302600_NS4plusIiEEEEZZNS1_33reduce_by_key_impl_wrapped_configILNS1_25lookback_scan_determinismE0ES3_S9_NS6_10device_ptrIiEESD_SD_SD_PmS8_NS6_8equal_toIiEEEE10hipError_tPvRmT2_T3_mT4_T5_T6_T7_T8_P12ihipStream_tbENKUlT_T0_E_clISt17integral_constantIbLb1EESY_EEDaST_SU_EUlST_E_NS1_11comp_targetILNS1_3genE5ELNS1_11target_archE942ELNS1_3gpuE9ELNS1_3repE0EEENS1_30default_config_static_selectorELNS0_4arch9wavefront6targetE1EEEvT1_: ; @_ZN7rocprim17ROCPRIM_400000_NS6detail17trampoline_kernelINS0_14default_configENS1_29reduce_by_key_config_selectorIiiN6thrust23THRUST_200600_302600_NS4plusIiEEEEZZNS1_33reduce_by_key_impl_wrapped_configILNS1_25lookback_scan_determinismE0ES3_S9_NS6_10device_ptrIiEESD_SD_SD_PmS8_NS6_8equal_toIiEEEE10hipError_tPvRmT2_T3_mT4_T5_T6_T7_T8_P12ihipStream_tbENKUlT_T0_E_clISt17integral_constantIbLb1EESY_EEDaST_SU_EUlST_E_NS1_11comp_targetILNS1_3genE5ELNS1_11target_archE942ELNS1_3gpuE9ELNS1_3repE0EEENS1_30default_config_static_selectorELNS0_4arch9wavefront6targetE1EEEvT1_
; %bb.0:
	.section	.rodata,"a",@progbits
	.p2align	6, 0x0
	.amdhsa_kernel _ZN7rocprim17ROCPRIM_400000_NS6detail17trampoline_kernelINS0_14default_configENS1_29reduce_by_key_config_selectorIiiN6thrust23THRUST_200600_302600_NS4plusIiEEEEZZNS1_33reduce_by_key_impl_wrapped_configILNS1_25lookback_scan_determinismE0ES3_S9_NS6_10device_ptrIiEESD_SD_SD_PmS8_NS6_8equal_toIiEEEE10hipError_tPvRmT2_T3_mT4_T5_T6_T7_T8_P12ihipStream_tbENKUlT_T0_E_clISt17integral_constantIbLb1EESY_EEDaST_SU_EUlST_E_NS1_11comp_targetILNS1_3genE5ELNS1_11target_archE942ELNS1_3gpuE9ELNS1_3repE0EEENS1_30default_config_static_selectorELNS0_4arch9wavefront6targetE1EEEvT1_
		.amdhsa_group_segment_fixed_size 0
		.amdhsa_private_segment_fixed_size 0
		.amdhsa_kernarg_size 120
		.amdhsa_user_sgpr_count 6
		.amdhsa_user_sgpr_private_segment_buffer 1
		.amdhsa_user_sgpr_dispatch_ptr 0
		.amdhsa_user_sgpr_queue_ptr 0
		.amdhsa_user_sgpr_kernarg_segment_ptr 1
		.amdhsa_user_sgpr_dispatch_id 0
		.amdhsa_user_sgpr_flat_scratch_init 0
		.amdhsa_user_sgpr_kernarg_preload_length 0
		.amdhsa_user_sgpr_kernarg_preload_offset 0
		.amdhsa_user_sgpr_private_segment_size 0
		.amdhsa_uses_dynamic_stack 0
		.amdhsa_system_sgpr_private_segment_wavefront_offset 0
		.amdhsa_system_sgpr_workgroup_id_x 1
		.amdhsa_system_sgpr_workgroup_id_y 0
		.amdhsa_system_sgpr_workgroup_id_z 0
		.amdhsa_system_sgpr_workgroup_info 0
		.amdhsa_system_vgpr_workitem_id 0
		.amdhsa_next_free_vgpr 1
		.amdhsa_next_free_sgpr 0
		.amdhsa_accum_offset 4
		.amdhsa_reserve_vcc 0
		.amdhsa_reserve_flat_scratch 0
		.amdhsa_float_round_mode_32 0
		.amdhsa_float_round_mode_16_64 0
		.amdhsa_float_denorm_mode_32 3
		.amdhsa_float_denorm_mode_16_64 3
		.amdhsa_dx10_clamp 1
		.amdhsa_ieee_mode 1
		.amdhsa_fp16_overflow 0
		.amdhsa_tg_split 0
		.amdhsa_exception_fp_ieee_invalid_op 0
		.amdhsa_exception_fp_denorm_src 0
		.amdhsa_exception_fp_ieee_div_zero 0
		.amdhsa_exception_fp_ieee_overflow 0
		.amdhsa_exception_fp_ieee_underflow 0
		.amdhsa_exception_fp_ieee_inexact 0
		.amdhsa_exception_int_div_zero 0
	.end_amdhsa_kernel
	.section	.text._ZN7rocprim17ROCPRIM_400000_NS6detail17trampoline_kernelINS0_14default_configENS1_29reduce_by_key_config_selectorIiiN6thrust23THRUST_200600_302600_NS4plusIiEEEEZZNS1_33reduce_by_key_impl_wrapped_configILNS1_25lookback_scan_determinismE0ES3_S9_NS6_10device_ptrIiEESD_SD_SD_PmS8_NS6_8equal_toIiEEEE10hipError_tPvRmT2_T3_mT4_T5_T6_T7_T8_P12ihipStream_tbENKUlT_T0_E_clISt17integral_constantIbLb1EESY_EEDaST_SU_EUlST_E_NS1_11comp_targetILNS1_3genE5ELNS1_11target_archE942ELNS1_3gpuE9ELNS1_3repE0EEENS1_30default_config_static_selectorELNS0_4arch9wavefront6targetE1EEEvT1_,"axG",@progbits,_ZN7rocprim17ROCPRIM_400000_NS6detail17trampoline_kernelINS0_14default_configENS1_29reduce_by_key_config_selectorIiiN6thrust23THRUST_200600_302600_NS4plusIiEEEEZZNS1_33reduce_by_key_impl_wrapped_configILNS1_25lookback_scan_determinismE0ES3_S9_NS6_10device_ptrIiEESD_SD_SD_PmS8_NS6_8equal_toIiEEEE10hipError_tPvRmT2_T3_mT4_T5_T6_T7_T8_P12ihipStream_tbENKUlT_T0_E_clISt17integral_constantIbLb1EESY_EEDaST_SU_EUlST_E_NS1_11comp_targetILNS1_3genE5ELNS1_11target_archE942ELNS1_3gpuE9ELNS1_3repE0EEENS1_30default_config_static_selectorELNS0_4arch9wavefront6targetE1EEEvT1_,comdat
.Lfunc_end1104:
	.size	_ZN7rocprim17ROCPRIM_400000_NS6detail17trampoline_kernelINS0_14default_configENS1_29reduce_by_key_config_selectorIiiN6thrust23THRUST_200600_302600_NS4plusIiEEEEZZNS1_33reduce_by_key_impl_wrapped_configILNS1_25lookback_scan_determinismE0ES3_S9_NS6_10device_ptrIiEESD_SD_SD_PmS8_NS6_8equal_toIiEEEE10hipError_tPvRmT2_T3_mT4_T5_T6_T7_T8_P12ihipStream_tbENKUlT_T0_E_clISt17integral_constantIbLb1EESY_EEDaST_SU_EUlST_E_NS1_11comp_targetILNS1_3genE5ELNS1_11target_archE942ELNS1_3gpuE9ELNS1_3repE0EEENS1_30default_config_static_selectorELNS0_4arch9wavefront6targetE1EEEvT1_, .Lfunc_end1104-_ZN7rocprim17ROCPRIM_400000_NS6detail17trampoline_kernelINS0_14default_configENS1_29reduce_by_key_config_selectorIiiN6thrust23THRUST_200600_302600_NS4plusIiEEEEZZNS1_33reduce_by_key_impl_wrapped_configILNS1_25lookback_scan_determinismE0ES3_S9_NS6_10device_ptrIiEESD_SD_SD_PmS8_NS6_8equal_toIiEEEE10hipError_tPvRmT2_T3_mT4_T5_T6_T7_T8_P12ihipStream_tbENKUlT_T0_E_clISt17integral_constantIbLb1EESY_EEDaST_SU_EUlST_E_NS1_11comp_targetILNS1_3genE5ELNS1_11target_archE942ELNS1_3gpuE9ELNS1_3repE0EEENS1_30default_config_static_selectorELNS0_4arch9wavefront6targetE1EEEvT1_
                                        ; -- End function
	.section	.AMDGPU.csdata,"",@progbits
; Kernel info:
; codeLenInByte = 0
; NumSgprs: 4
; NumVgprs: 0
; NumAgprs: 0
; TotalNumVgprs: 0
; ScratchSize: 0
; MemoryBound: 0
; FloatMode: 240
; IeeeMode: 1
; LDSByteSize: 0 bytes/workgroup (compile time only)
; SGPRBlocks: 0
; VGPRBlocks: 0
; NumSGPRsForWavesPerEU: 4
; NumVGPRsForWavesPerEU: 1
; AccumOffset: 4
; Occupancy: 8
; WaveLimiterHint : 0
; COMPUTE_PGM_RSRC2:SCRATCH_EN: 0
; COMPUTE_PGM_RSRC2:USER_SGPR: 6
; COMPUTE_PGM_RSRC2:TRAP_HANDLER: 0
; COMPUTE_PGM_RSRC2:TGID_X_EN: 1
; COMPUTE_PGM_RSRC2:TGID_Y_EN: 0
; COMPUTE_PGM_RSRC2:TGID_Z_EN: 0
; COMPUTE_PGM_RSRC2:TIDIG_COMP_CNT: 0
; COMPUTE_PGM_RSRC3_GFX90A:ACCUM_OFFSET: 0
; COMPUTE_PGM_RSRC3_GFX90A:TG_SPLIT: 0
	.section	.text._ZN7rocprim17ROCPRIM_400000_NS6detail17trampoline_kernelINS0_14default_configENS1_29reduce_by_key_config_selectorIiiN6thrust23THRUST_200600_302600_NS4plusIiEEEEZZNS1_33reduce_by_key_impl_wrapped_configILNS1_25lookback_scan_determinismE0ES3_S9_NS6_10device_ptrIiEESD_SD_SD_PmS8_NS6_8equal_toIiEEEE10hipError_tPvRmT2_T3_mT4_T5_T6_T7_T8_P12ihipStream_tbENKUlT_T0_E_clISt17integral_constantIbLb1EESY_EEDaST_SU_EUlST_E_NS1_11comp_targetILNS1_3genE4ELNS1_11target_archE910ELNS1_3gpuE8ELNS1_3repE0EEENS1_30default_config_static_selectorELNS0_4arch9wavefront6targetE1EEEvT1_,"axG",@progbits,_ZN7rocprim17ROCPRIM_400000_NS6detail17trampoline_kernelINS0_14default_configENS1_29reduce_by_key_config_selectorIiiN6thrust23THRUST_200600_302600_NS4plusIiEEEEZZNS1_33reduce_by_key_impl_wrapped_configILNS1_25lookback_scan_determinismE0ES3_S9_NS6_10device_ptrIiEESD_SD_SD_PmS8_NS6_8equal_toIiEEEE10hipError_tPvRmT2_T3_mT4_T5_T6_T7_T8_P12ihipStream_tbENKUlT_T0_E_clISt17integral_constantIbLb1EESY_EEDaST_SU_EUlST_E_NS1_11comp_targetILNS1_3genE4ELNS1_11target_archE910ELNS1_3gpuE8ELNS1_3repE0EEENS1_30default_config_static_selectorELNS0_4arch9wavefront6targetE1EEEvT1_,comdat
	.protected	_ZN7rocprim17ROCPRIM_400000_NS6detail17trampoline_kernelINS0_14default_configENS1_29reduce_by_key_config_selectorIiiN6thrust23THRUST_200600_302600_NS4plusIiEEEEZZNS1_33reduce_by_key_impl_wrapped_configILNS1_25lookback_scan_determinismE0ES3_S9_NS6_10device_ptrIiEESD_SD_SD_PmS8_NS6_8equal_toIiEEEE10hipError_tPvRmT2_T3_mT4_T5_T6_T7_T8_P12ihipStream_tbENKUlT_T0_E_clISt17integral_constantIbLb1EESY_EEDaST_SU_EUlST_E_NS1_11comp_targetILNS1_3genE4ELNS1_11target_archE910ELNS1_3gpuE8ELNS1_3repE0EEENS1_30default_config_static_selectorELNS0_4arch9wavefront6targetE1EEEvT1_ ; -- Begin function _ZN7rocprim17ROCPRIM_400000_NS6detail17trampoline_kernelINS0_14default_configENS1_29reduce_by_key_config_selectorIiiN6thrust23THRUST_200600_302600_NS4plusIiEEEEZZNS1_33reduce_by_key_impl_wrapped_configILNS1_25lookback_scan_determinismE0ES3_S9_NS6_10device_ptrIiEESD_SD_SD_PmS8_NS6_8equal_toIiEEEE10hipError_tPvRmT2_T3_mT4_T5_T6_T7_T8_P12ihipStream_tbENKUlT_T0_E_clISt17integral_constantIbLb1EESY_EEDaST_SU_EUlST_E_NS1_11comp_targetILNS1_3genE4ELNS1_11target_archE910ELNS1_3gpuE8ELNS1_3repE0EEENS1_30default_config_static_selectorELNS0_4arch9wavefront6targetE1EEEvT1_
	.globl	_ZN7rocprim17ROCPRIM_400000_NS6detail17trampoline_kernelINS0_14default_configENS1_29reduce_by_key_config_selectorIiiN6thrust23THRUST_200600_302600_NS4plusIiEEEEZZNS1_33reduce_by_key_impl_wrapped_configILNS1_25lookback_scan_determinismE0ES3_S9_NS6_10device_ptrIiEESD_SD_SD_PmS8_NS6_8equal_toIiEEEE10hipError_tPvRmT2_T3_mT4_T5_T6_T7_T8_P12ihipStream_tbENKUlT_T0_E_clISt17integral_constantIbLb1EESY_EEDaST_SU_EUlST_E_NS1_11comp_targetILNS1_3genE4ELNS1_11target_archE910ELNS1_3gpuE8ELNS1_3repE0EEENS1_30default_config_static_selectorELNS0_4arch9wavefront6targetE1EEEvT1_
	.p2align	8
	.type	_ZN7rocprim17ROCPRIM_400000_NS6detail17trampoline_kernelINS0_14default_configENS1_29reduce_by_key_config_selectorIiiN6thrust23THRUST_200600_302600_NS4plusIiEEEEZZNS1_33reduce_by_key_impl_wrapped_configILNS1_25lookback_scan_determinismE0ES3_S9_NS6_10device_ptrIiEESD_SD_SD_PmS8_NS6_8equal_toIiEEEE10hipError_tPvRmT2_T3_mT4_T5_T6_T7_T8_P12ihipStream_tbENKUlT_T0_E_clISt17integral_constantIbLb1EESY_EEDaST_SU_EUlST_E_NS1_11comp_targetILNS1_3genE4ELNS1_11target_archE910ELNS1_3gpuE8ELNS1_3repE0EEENS1_30default_config_static_selectorELNS0_4arch9wavefront6targetE1EEEvT1_,@function
_ZN7rocprim17ROCPRIM_400000_NS6detail17trampoline_kernelINS0_14default_configENS1_29reduce_by_key_config_selectorIiiN6thrust23THRUST_200600_302600_NS4plusIiEEEEZZNS1_33reduce_by_key_impl_wrapped_configILNS1_25lookback_scan_determinismE0ES3_S9_NS6_10device_ptrIiEESD_SD_SD_PmS8_NS6_8equal_toIiEEEE10hipError_tPvRmT2_T3_mT4_T5_T6_T7_T8_P12ihipStream_tbENKUlT_T0_E_clISt17integral_constantIbLb1EESY_EEDaST_SU_EUlST_E_NS1_11comp_targetILNS1_3genE4ELNS1_11target_archE910ELNS1_3gpuE8ELNS1_3repE0EEENS1_30default_config_static_selectorELNS0_4arch9wavefront6targetE1EEEvT1_: ; @_ZN7rocprim17ROCPRIM_400000_NS6detail17trampoline_kernelINS0_14default_configENS1_29reduce_by_key_config_selectorIiiN6thrust23THRUST_200600_302600_NS4plusIiEEEEZZNS1_33reduce_by_key_impl_wrapped_configILNS1_25lookback_scan_determinismE0ES3_S9_NS6_10device_ptrIiEESD_SD_SD_PmS8_NS6_8equal_toIiEEEE10hipError_tPvRmT2_T3_mT4_T5_T6_T7_T8_P12ihipStream_tbENKUlT_T0_E_clISt17integral_constantIbLb1EESY_EEDaST_SU_EUlST_E_NS1_11comp_targetILNS1_3genE4ELNS1_11target_archE910ELNS1_3gpuE8ELNS1_3repE0EEENS1_30default_config_static_selectorELNS0_4arch9wavefront6targetE1EEEvT1_
; %bb.0:
	s_load_dwordx8 s[36:43], s[4:5], 0x0
	s_load_dwordx4 s[52:55], s[4:5], 0x20
	s_load_dwordx8 s[44:51], s[4:5], 0x38
	s_load_dwordx2 s[60:61], s[4:5], 0x68
	s_load_dwordx4 s[56:59], s[4:5], 0x58
	v_cmp_ne_u32_e64 s[2:3], 0, v0
	v_cmp_eq_u32_e64 s[0:1], 0, v0
	s_and_saveexec_b64 s[6:7], s[0:1]
	s_cbranch_execz .LBB1105_4
; %bb.1:
	s_mov_b64 s[10:11], exec
	v_mbcnt_lo_u32_b32 v1, s10, 0
	v_mbcnt_hi_u32_b32 v1, s11, v1
	v_cmp_eq_u32_e32 vcc, 0, v1
                                        ; implicit-def: $vgpr2
	s_and_saveexec_b64 s[8:9], vcc
	s_cbranch_execz .LBB1105_3
; %bb.2:
	s_load_dwordx2 s[4:5], s[4:5], 0x70
	s_bcnt1_i32_b64 s10, s[10:11]
	v_mov_b32_e32 v2, 0
	v_mov_b32_e32 v3, s10
	s_waitcnt lgkmcnt(0)
	global_atomic_add v2, v2, v3, s[4:5] glc
.LBB1105_3:
	s_or_b64 exec, exec, s[8:9]
	s_waitcnt vmcnt(0)
	v_readfirstlane_b32 s4, v2
	v_add_u32_e32 v1, s4, v1
	v_mov_b32_e32 v2, 0
	ds_write_b32 v2, v1
.LBB1105_4:
	s_or_b64 exec, exec, s[6:7]
	v_mov_b32_e32 v3, 0
	s_waitcnt lgkmcnt(0)
	s_lshl_b64 s[4:5], s[38:39], 2
	s_barrier
	ds_read_b32 v1, v3
	s_add_u32 s6, s36, s4
	s_addc_u32 s7, s37, s5
	s_add_u32 s4, s40, s4
	s_mul_i32 s8, s48, s47
	s_mul_hi_u32 s9, s48, s46
	s_addc_u32 s5, s41, s5
	s_add_i32 s8, s9, s8
	s_mul_i32 s9, s49, s46
	s_add_i32 s8, s8, s9
	s_mul_i32 s9, s48, s46
	s_waitcnt lgkmcnt(0)
	v_readfirstlane_b32 s62, v1
	s_movk_i32 s10, 0xf00
	v_mul_lo_u32 v2, v1, s10
	s_add_u32 s40, s9, s62
	v_lshlrev_b64 v[2:3], 2, v[2:3]
	s_addc_u32 s41, s8, 0
	v_mov_b32_e32 v1, s7
	v_add_co_u32_e32 v38, vcc, s6, v2
	s_add_u32 s6, s50, -1
	v_addc_co_u32_e32 v39, vcc, v1, v3, vcc
	s_addc_u32 s7, s51, -1
	v_mov_b32_e32 v1, s5
	v_add_co_u32_e32 v22, vcc, s4, v2
	s_cmp_eq_u64 s[40:41], s[6:7]
	v_addc_co_u32_e32 v23, vcc, v1, v3, vcc
	s_cselect_b64 s[36:37], -1, 0
	s_cmp_lg_u64 s[40:41], s[6:7]
	s_mov_b64 s[4:5], -1
	s_cselect_b64 s[48:49], -1, 0
	s_mul_i32 s33, s6, 0xfffff100
	s_and_b64 vcc, exec, s[36:37]
	s_barrier
	s_cbranch_vccnz .LBB1105_6
; %bb.5:
	v_lshlrev_b32_e32 v26, 2, v0
	v_add_co_u32_e32 v2, vcc, v38, v26
	v_addc_co_u32_e32 v3, vcc, 0, v39, vcc
	v_add_co_u32_e32 v4, vcc, 0x1000, v2
	v_addc_co_u32_e32 v5, vcc, 0, v3, vcc
	flat_load_dword v1, v[2:3]
	flat_load_dword v8, v[2:3] offset:1024
	flat_load_dword v9, v[2:3] offset:2048
	;; [unrolled: 1-line block ×3, first 2 shown]
	flat_load_dword v11, v[4:5]
	flat_load_dword v12, v[4:5] offset:1024
	flat_load_dword v13, v[4:5] offset:2048
	;; [unrolled: 1-line block ×3, first 2 shown]
	v_add_co_u32_e32 v4, vcc, 0x2000, v2
	v_addc_co_u32_e32 v5, vcc, 0, v3, vcc
	v_add_co_u32_e32 v2, vcc, 0x3000, v2
	v_addc_co_u32_e32 v3, vcc, 0, v3, vcc
	flat_load_dword v15, v[4:5]
	flat_load_dword v16, v[4:5] offset:1024
	flat_load_dword v17, v[4:5] offset:2048
	;; [unrolled: 1-line block ×3, first 2 shown]
	flat_load_dword v19, v[2:3]
	flat_load_dword v20, v[2:3] offset:1024
	flat_load_dword v21, v[2:3] offset:2048
	v_add_co_u32_e32 v2, vcc, v22, v26
	s_movk_i32 s4, 0x1000
	v_addc_co_u32_e32 v3, vcc, 0, v23, vcc
	v_add_co_u32_e32 v4, vcc, s4, v2
	s_movk_i32 s5, 0x2000
	v_addc_co_u32_e32 v5, vcc, 0, v3, vcc
	;; [unrolled: 3-line block ×3, first 2 shown]
	v_mad_u32_u24 v40, v0, 56, v26
	v_add_co_u32_e32 v24, vcc, s6, v2
	v_addc_co_u32_e32 v25, vcc, 0, v3, vcc
	s_waitcnt vmcnt(0) lgkmcnt(0)
	ds_write2st64_b32 v26, v1, v8 offset1:4
	ds_write2st64_b32 v26, v9, v10 offset0:8 offset1:12
	ds_write2st64_b32 v26, v11, v12 offset0:16 offset1:20
	;; [unrolled: 1-line block ×6, first 2 shown]
	ds_write_b32 v26, v21 offset:14336
	s_waitcnt lgkmcnt(0)
	s_barrier
	ds_read2_b32 v[20:21], v40 offset1:1
	ds_read2_b32 v[18:19], v40 offset0:2 offset1:3
	ds_read2_b32 v[16:17], v40 offset0:4 offset1:5
	;; [unrolled: 1-line block ×6, first 2 shown]
	ds_read_b32 v1, v40 offset:56
	s_waitcnt lgkmcnt(0)
	s_barrier
	flat_load_dword v27, v[2:3]
	flat_load_dword v28, v[2:3] offset:1024
	flat_load_dword v29, v[2:3] offset:2048
	flat_load_dword v30, v[2:3] offset:3072
	flat_load_dword v31, v[4:5]
	flat_load_dword v32, v[4:5] offset:1024
	flat_load_dword v33, v[4:5] offset:2048
	flat_load_dword v34, v[4:5] offset:3072
	;; [unrolled: 4-line block ×3, first 2 shown]
	flat_load_dword v44, v[24:25]
	flat_load_dword v45, v[24:25] offset:1024
	flat_load_dword v46, v[24:25] offset:2048
	v_mov_b32_e32 v36, v20
	v_mov_b32_e32 v37, v18
	;; [unrolled: 1-line block ×7, first 2 shown]
	s_waitcnt vmcnt(0) lgkmcnt(0)
	ds_write2st64_b32 v26, v27, v28 offset1:4
	ds_write2st64_b32 v26, v29, v30 offset0:8 offset1:12
	ds_write2st64_b32 v26, v31, v32 offset0:16 offset1:20
	;; [unrolled: 1-line block ×6, first 2 shown]
	ds_write_b32 v26, v46 offset:14336
	s_waitcnt lgkmcnt(0)
	s_barrier
	s_add_i32 s33, s33, s56
	s_cbranch_execz .LBB1105_7
	s_branch .LBB1105_54
.LBB1105_6:
                                        ; implicit-def: $vgpr1
                                        ; implicit-def: $vgpr8
                                        ; implicit-def: $vgpr10
                                        ; implicit-def: $vgpr12
                                        ; implicit-def: $vgpr14
                                        ; implicit-def: $vgpr16
                                        ; implicit-def: $vgpr18
                                        ; implicit-def: $vgpr20
                                        ; implicit-def: $vgpr40
                                        ; implicit-def: $vgpr2_vgpr3
                                        ; implicit-def: $vgpr4_vgpr5
                                        ; implicit-def: $vgpr36_vgpr37
                                        ; implicit-def: $vgpr6_vgpr7
	s_andn2_b64 vcc, exec, s[4:5]
	s_add_i32 s33, s33, s56
	s_cbranch_vccnz .LBB1105_54
.LBB1105_7:
	v_cmp_gt_u32_e32 vcc, s33, v0
                                        ; implicit-def: $vgpr1
	s_and_saveexec_b64 s[6:7], vcc
	s_cbranch_execz .LBB1105_9
; %bb.8:
	v_lshlrev_b32_e32 v1, 2, v0
	v_add_co_u32_e64 v2, s[4:5], v38, v1
	v_addc_co_u32_e64 v3, s[4:5], 0, v39, s[4:5]
	flat_load_dword v1, v[2:3]
.LBB1105_9:
	s_or_b64 exec, exec, s[6:7]
	v_or_b32_e32 v2, 0x100, v0
	v_cmp_gt_u32_e64 s[4:5], s33, v2
                                        ; implicit-def: $vgpr8
	s_and_saveexec_b64 s[8:9], s[4:5]
	s_cbranch_execz .LBB1105_11
; %bb.10:
	v_lshlrev_b32_e32 v2, 2, v0
	v_add_co_u32_e64 v2, s[6:7], v38, v2
	v_addc_co_u32_e64 v3, s[6:7], 0, v39, s[6:7]
	flat_load_dword v8, v[2:3] offset:1024
.LBB1105_11:
	s_or_b64 exec, exec, s[8:9]
	v_or_b32_e32 v2, 0x200, v0
	v_cmp_gt_u32_e64 s[6:7], s33, v2
                                        ; implicit-def: $vgpr9
	s_and_saveexec_b64 s[10:11], s[6:7]
	s_cbranch_execz .LBB1105_13
; %bb.12:
	v_lshlrev_b32_e32 v2, 2, v0
	v_add_co_u32_e64 v2, s[8:9], v38, v2
	v_addc_co_u32_e64 v3, s[8:9], 0, v39, s[8:9]
	flat_load_dword v9, v[2:3] offset:2048
.LBB1105_13:
	s_or_b64 exec, exec, s[10:11]
	v_or_b32_e32 v2, 0x300, v0
	v_cmp_gt_u32_e64 s[8:9], s33, v2
                                        ; implicit-def: $vgpr10
	s_and_saveexec_b64 s[12:13], s[8:9]
	s_cbranch_execz .LBB1105_15
; %bb.14:
	v_lshlrev_b32_e32 v2, 2, v0
	v_add_co_u32_e64 v2, s[10:11], v38, v2
	v_addc_co_u32_e64 v3, s[10:11], 0, v39, s[10:11]
	flat_load_dword v10, v[2:3] offset:3072
.LBB1105_15:
	s_or_b64 exec, exec, s[12:13]
	v_or_b32_e32 v2, 0x400, v0
	v_cmp_gt_u32_e64 s[10:11], s33, v2
                                        ; implicit-def: $vgpr11
	s_and_saveexec_b64 s[14:15], s[10:11]
	s_cbranch_execz .LBB1105_17
; %bb.16:
	v_lshlrev_b32_e32 v3, 2, v2
	v_add_co_u32_e64 v4, s[12:13], v38, v3
	v_addc_co_u32_e64 v5, s[12:13], 0, v39, s[12:13]
	flat_load_dword v11, v[4:5]
.LBB1105_17:
	s_or_b64 exec, exec, s[14:15]
	v_or_b32_e32 v3, 0x500, v0
	v_cmp_gt_u32_e64 s[12:13], s33, v3
                                        ; implicit-def: $vgpr12
	s_and_saveexec_b64 s[16:17], s[12:13]
	s_cbranch_execz .LBB1105_19
; %bb.18:
	v_lshlrev_b32_e32 v4, 2, v3
	v_add_co_u32_e64 v4, s[14:15], v38, v4
	v_addc_co_u32_e64 v5, s[14:15], 0, v39, s[14:15]
	flat_load_dword v12, v[4:5]
.LBB1105_19:
	s_or_b64 exec, exec, s[16:17]
	v_or_b32_e32 v4, 0x600, v0
	v_cmp_gt_u32_e64 s[14:15], s33, v4
                                        ; implicit-def: $vgpr13
	s_and_saveexec_b64 s[18:19], s[14:15]
	s_cbranch_execz .LBB1105_21
; %bb.20:
	v_lshlrev_b32_e32 v5, 2, v4
	v_add_co_u32_e64 v6, s[16:17], v38, v5
	v_addc_co_u32_e64 v7, s[16:17], 0, v39, s[16:17]
	flat_load_dword v13, v[6:7]
.LBB1105_21:
	s_or_b64 exec, exec, s[18:19]
	v_or_b32_e32 v5, 0x700, v0
	v_cmp_gt_u32_e64 s[16:17], s33, v5
                                        ; implicit-def: $vgpr14
	s_and_saveexec_b64 s[20:21], s[16:17]
	s_cbranch_execz .LBB1105_23
; %bb.22:
	v_lshlrev_b32_e32 v6, 2, v5
	v_add_co_u32_e64 v6, s[18:19], v38, v6
	v_addc_co_u32_e64 v7, s[18:19], 0, v39, s[18:19]
	flat_load_dword v14, v[6:7]
.LBB1105_23:
	s_or_b64 exec, exec, s[20:21]
	v_or_b32_e32 v6, 0x800, v0
	v_cmp_gt_u32_e64 s[18:19], s33, v6
                                        ; implicit-def: $vgpr15
	s_and_saveexec_b64 s[22:23], s[18:19]
	s_cbranch_execz .LBB1105_25
; %bb.24:
	v_lshlrev_b32_e32 v7, 2, v6
	v_add_co_u32_e64 v16, s[20:21], v38, v7
	v_addc_co_u32_e64 v17, s[20:21], 0, v39, s[20:21]
	flat_load_dword v15, v[16:17]
.LBB1105_25:
	s_or_b64 exec, exec, s[22:23]
	v_or_b32_e32 v24, 0x900, v0
	v_cmp_gt_u32_e64 s[20:21], s33, v24
                                        ; implicit-def: $vgpr16
	s_and_saveexec_b64 s[24:25], s[20:21]
	s_cbranch_execz .LBB1105_27
; %bb.26:
	v_lshlrev_b32_e32 v7, 2, v24
	v_add_co_u32_e64 v16, s[22:23], v38, v7
	v_addc_co_u32_e64 v17, s[22:23], 0, v39, s[22:23]
	flat_load_dword v16, v[16:17]
.LBB1105_27:
	s_or_b64 exec, exec, s[24:25]
	v_or_b32_e32 v25, 0xa00, v0
	v_cmp_gt_u32_e64 s[22:23], s33, v25
                                        ; implicit-def: $vgpr17
	s_and_saveexec_b64 s[26:27], s[22:23]
	s_cbranch_execz .LBB1105_29
; %bb.28:
	v_lshlrev_b32_e32 v7, 2, v25
	v_add_co_u32_e64 v18, s[24:25], v38, v7
	v_addc_co_u32_e64 v19, s[24:25], 0, v39, s[24:25]
	flat_load_dword v17, v[18:19]
.LBB1105_29:
	s_or_b64 exec, exec, s[26:27]
	v_or_b32_e32 v26, 0xb00, v0
	v_cmp_gt_u32_e64 s[24:25], s33, v26
                                        ; implicit-def: $vgpr18
	s_and_saveexec_b64 s[28:29], s[24:25]
	s_cbranch_execz .LBB1105_31
; %bb.30:
	v_lshlrev_b32_e32 v7, 2, v26
	v_add_co_u32_e64 v18, s[26:27], v38, v7
	v_addc_co_u32_e64 v19, s[26:27], 0, v39, s[26:27]
	flat_load_dword v18, v[18:19]
.LBB1105_31:
	s_or_b64 exec, exec, s[28:29]
	v_or_b32_e32 v27, 0xc00, v0
	v_cmp_gt_u32_e64 s[26:27], s33, v27
                                        ; implicit-def: $vgpr19
	s_and_saveexec_b64 s[30:31], s[26:27]
	s_cbranch_execz .LBB1105_33
; %bb.32:
	v_lshlrev_b32_e32 v7, 2, v27
	v_add_co_u32_e64 v20, s[28:29], v38, v7
	v_addc_co_u32_e64 v21, s[28:29], 0, v39, s[28:29]
	flat_load_dword v19, v[20:21]
.LBB1105_33:
	s_or_b64 exec, exec, s[30:31]
	v_or_b32_e32 v28, 0xd00, v0
	v_cmp_gt_u32_e64 s[28:29], s33, v28
                                        ; implicit-def: $vgpr20
	s_and_saveexec_b64 s[34:35], s[28:29]
	s_cbranch_execz .LBB1105_35
; %bb.34:
	v_lshlrev_b32_e32 v7, 2, v28
	v_add_co_u32_e64 v20, s[30:31], v38, v7
	v_addc_co_u32_e64 v21, s[30:31], 0, v39, s[30:31]
	flat_load_dword v20, v[20:21]
.LBB1105_35:
	s_or_b64 exec, exec, s[34:35]
	v_or_b32_e32 v29, 0xe00, v0
	v_cmp_gt_u32_e64 s[30:31], s33, v29
                                        ; implicit-def: $vgpr21
	s_and_saveexec_b64 s[38:39], s[30:31]
	s_cbranch_execz .LBB1105_37
; %bb.36:
	v_lshlrev_b32_e32 v7, 2, v29
	v_add_co_u32_e64 v30, s[34:35], v38, v7
	v_addc_co_u32_e64 v31, s[34:35], 0, v39, s[34:35]
	flat_load_dword v21, v[30:31]
.LBB1105_37:
	s_or_b64 exec, exec, s[38:39]
	v_lshlrev_b32_e32 v7, 2, v0
	v_mad_u32_u24 v40, v0, 56, v7
	s_waitcnt vmcnt(0) lgkmcnt(0)
	ds_write2st64_b32 v7, v1, v8 offset1:4
	ds_write2st64_b32 v7, v9, v10 offset0:8 offset1:12
	ds_write2st64_b32 v7, v11, v12 offset0:16 offset1:20
	;; [unrolled: 1-line block ×6, first 2 shown]
	ds_write_b32 v7, v21 offset:14336
	s_waitcnt lgkmcnt(0)
	s_barrier
	ds_read2_b32 v[20:21], v40 offset1:1
	ds_read2_b32 v[18:19], v40 offset0:2 offset1:3
	ds_read2_b32 v[16:17], v40 offset0:4 offset1:5
	;; [unrolled: 1-line block ×6, first 2 shown]
	ds_read_b32 v1, v40 offset:56
	s_waitcnt lgkmcnt(0)
	s_barrier
	s_waitcnt lgkmcnt(0)
                                        ; implicit-def: $vgpr30
	s_and_saveexec_b64 s[34:35], vcc
	s_cbranch_execnz .LBB1105_61
; %bb.38:
	s_or_b64 exec, exec, s[34:35]
                                        ; implicit-def: $vgpr31
	s_and_saveexec_b64 s[34:35], s[4:5]
	s_cbranch_execnz .LBB1105_62
.LBB1105_39:
	s_or_b64 exec, exec, s[34:35]
                                        ; implicit-def: $vgpr32
	s_and_saveexec_b64 s[4:5], s[6:7]
	s_cbranch_execnz .LBB1105_63
.LBB1105_40:
	s_or_b64 exec, exec, s[4:5]
                                        ; implicit-def: $vgpr33
	s_and_saveexec_b64 s[4:5], s[8:9]
	s_cbranch_execnz .LBB1105_64
.LBB1105_41:
	s_or_b64 exec, exec, s[4:5]
                                        ; implicit-def: $vgpr34
	s_and_saveexec_b64 s[4:5], s[10:11]
	s_cbranch_execnz .LBB1105_65
.LBB1105_42:
	s_or_b64 exec, exec, s[4:5]
                                        ; implicit-def: $vgpr2
	s_and_saveexec_b64 s[4:5], s[12:13]
	s_cbranch_execnz .LBB1105_66
.LBB1105_43:
	s_or_b64 exec, exec, s[4:5]
                                        ; implicit-def: $vgpr3
	s_and_saveexec_b64 s[4:5], s[14:15]
	s_cbranch_execnz .LBB1105_67
.LBB1105_44:
	s_or_b64 exec, exec, s[4:5]
                                        ; implicit-def: $vgpr4
	s_and_saveexec_b64 s[4:5], s[16:17]
	s_cbranch_execnz .LBB1105_68
.LBB1105_45:
	s_or_b64 exec, exec, s[4:5]
                                        ; implicit-def: $vgpr5
	s_and_saveexec_b64 s[4:5], s[18:19]
	s_cbranch_execnz .LBB1105_69
.LBB1105_46:
	s_or_b64 exec, exec, s[4:5]
                                        ; implicit-def: $vgpr6
	s_and_saveexec_b64 s[4:5], s[20:21]
	s_cbranch_execnz .LBB1105_70
.LBB1105_47:
	s_or_b64 exec, exec, s[4:5]
                                        ; implicit-def: $vgpr24
	s_and_saveexec_b64 s[4:5], s[22:23]
	s_cbranch_execnz .LBB1105_71
.LBB1105_48:
	s_or_b64 exec, exec, s[4:5]
                                        ; implicit-def: $vgpr25
	s_and_saveexec_b64 s[4:5], s[24:25]
	s_cbranch_execnz .LBB1105_72
.LBB1105_49:
	s_or_b64 exec, exec, s[4:5]
                                        ; implicit-def: $vgpr26
	s_and_saveexec_b64 s[4:5], s[26:27]
	s_cbranch_execnz .LBB1105_73
.LBB1105_50:
	s_or_b64 exec, exec, s[4:5]
                                        ; implicit-def: $vgpr27
	s_and_saveexec_b64 s[4:5], s[28:29]
	s_cbranch_execnz .LBB1105_74
.LBB1105_51:
	s_or_b64 exec, exec, s[4:5]
                                        ; implicit-def: $vgpr28
	s_and_saveexec_b64 s[4:5], s[30:31]
	s_cbranch_execz .LBB1105_53
.LBB1105_52:
	v_lshlrev_b32_e32 v28, 2, v29
	v_add_co_u32_e32 v22, vcc, v22, v28
	v_addc_co_u32_e32 v23, vcc, 0, v23, vcc
	flat_load_dword v28, v[22:23]
.LBB1105_53:
	s_or_b64 exec, exec, s[4:5]
	s_waitcnt vmcnt(0) lgkmcnt(0)
	ds_write2st64_b32 v7, v30, v31 offset1:4
	ds_write2st64_b32 v7, v32, v33 offset0:8 offset1:12
	ds_write2st64_b32 v7, v34, v2 offset0:16 offset1:20
	;; [unrolled: 1-line block ×6, first 2 shown]
	ds_write_b32 v7, v28 offset:14336
	v_mov_b32_e32 v36, v20
	v_mov_b32_e32 v37, v18
	;; [unrolled: 1-line block ×7, first 2 shown]
	s_waitcnt lgkmcnt(0)
	s_barrier
.LBB1105_54:
	ds_read2_b32 v[34:35], v40 offset1:1
	ds_read2_b32 v[32:33], v40 offset0:2 offset1:3
	ds_read2_b32 v[30:31], v40 offset0:4 offset1:5
	;; [unrolled: 1-line block ×6, first 2 shown]
	ds_read_b32 v82, v40 offset:56
	s_cmp_eq_u64 s[40:41], 0
	s_cselect_b64 s[38:39], -1, 0
	s_cmp_lg_u64 s[40:41], 0
	s_mov_b64 s[6:7], 0
	s_cselect_b64 s[8:9], -1, 0
	s_and_b64 vcc, exec, s[48:49]
	s_waitcnt lgkmcnt(0)
	s_barrier
	s_cbranch_vccz .LBB1105_60
; %bb.55:
	s_and_b64 vcc, exec, s[8:9]
	s_cbranch_vccz .LBB1105_75
; %bb.56:
	v_add_co_u32_e32 v40, vcc, -4, v38
	v_addc_co_u32_e32 v41, vcc, -1, v39, vcc
	flat_load_dword v7, v[40:41]
	v_lshlrev_b32_e32 v40, 2, v0
	ds_write_b32 v40, v1
	s_waitcnt lgkmcnt(0)
	s_barrier
	s_and_saveexec_b64 s[4:5], s[2:3]
	s_cbranch_execz .LBB1105_58
; %bb.57:
	s_waitcnt vmcnt(0)
	v_add_u32_e32 v7, -4, v40
	ds_read_b32 v7, v7
.LBB1105_58:
	s_or_b64 exec, exec, s[4:5]
	v_cmp_ne_u32_e32 vcc, v36, v21
	v_cndmask_b32_e64 v79, 0, 1, vcc
	v_cmp_ne_u32_e32 vcc, v37, v21
	v_cndmask_b32_e64 v78, 0, 1, vcc
	;; [unrolled: 2-line block ×14, first 2 shown]
	s_waitcnt vmcnt(0) lgkmcnt(0)
	v_cmp_ne_u32_e64 s[4:5], v7, v20
	s_mov_b64 s[6:7], -1
.LBB1105_59:
                                        ; implicit-def: $sgpr12
	s_branch .LBB1105_87
.LBB1105_60:
                                        ; implicit-def: $sgpr4_sgpr5
                                        ; implicit-def: $vgpr66
                                        ; implicit-def: $vgpr67
                                        ; implicit-def: $vgpr68
                                        ; implicit-def: $vgpr69
                                        ; implicit-def: $vgpr70
                                        ; implicit-def: $vgpr71
                                        ; implicit-def: $vgpr72
                                        ; implicit-def: $vgpr73
                                        ; implicit-def: $vgpr74
                                        ; implicit-def: $vgpr75
                                        ; implicit-def: $vgpr76
                                        ; implicit-def: $vgpr77
                                        ; implicit-def: $vgpr78
                                        ; implicit-def: $vgpr79
                                        ; implicit-def: $sgpr12
	s_cbranch_execnz .LBB1105_79
	s_branch .LBB1105_87
.LBB1105_61:
	v_add_co_u32_e32 v30, vcc, v22, v7
	v_addc_co_u32_e32 v31, vcc, 0, v23, vcc
	flat_load_dword v30, v[30:31]
	s_or_b64 exec, exec, s[34:35]
                                        ; implicit-def: $vgpr31
	s_and_saveexec_b64 s[34:35], s[4:5]
	s_cbranch_execz .LBB1105_39
.LBB1105_62:
	v_add_co_u32_e32 v32, vcc, v22, v7
	v_addc_co_u32_e32 v33, vcc, 0, v23, vcc
	flat_load_dword v31, v[32:33] offset:1024
	s_or_b64 exec, exec, s[34:35]
                                        ; implicit-def: $vgpr32
	s_and_saveexec_b64 s[4:5], s[6:7]
	s_cbranch_execz .LBB1105_40
.LBB1105_63:
	v_add_co_u32_e32 v32, vcc, v22, v7
	v_addc_co_u32_e32 v33, vcc, 0, v23, vcc
	flat_load_dword v32, v[32:33] offset:2048
	s_or_b64 exec, exec, s[4:5]
                                        ; implicit-def: $vgpr33
	s_and_saveexec_b64 s[4:5], s[8:9]
	s_cbranch_execz .LBB1105_41
.LBB1105_64:
	v_add_co_u32_e32 v34, vcc, v22, v7
	v_addc_co_u32_e32 v35, vcc, 0, v23, vcc
	flat_load_dword v33, v[34:35] offset:3072
	s_or_b64 exec, exec, s[4:5]
                                        ; implicit-def: $vgpr34
	s_and_saveexec_b64 s[4:5], s[10:11]
	s_cbranch_execz .LBB1105_42
.LBB1105_65:
	v_lshlrev_b32_e32 v2, 2, v2
	v_add_co_u32_e32 v34, vcc, v22, v2
	v_addc_co_u32_e32 v35, vcc, 0, v23, vcc
	flat_load_dword v34, v[34:35]
	s_or_b64 exec, exec, s[4:5]
                                        ; implicit-def: $vgpr2
	s_and_saveexec_b64 s[4:5], s[12:13]
	s_cbranch_execz .LBB1105_43
.LBB1105_66:
	v_lshlrev_b32_e32 v2, 2, v3
	v_add_co_u32_e32 v2, vcc, v22, v2
	v_addc_co_u32_e32 v3, vcc, 0, v23, vcc
	flat_load_dword v2, v[2:3]
	s_or_b64 exec, exec, s[4:5]
                                        ; implicit-def: $vgpr3
	s_and_saveexec_b64 s[4:5], s[14:15]
	s_cbranch_execz .LBB1105_44
.LBB1105_67:
	v_lshlrev_b32_e32 v3, 2, v4
	v_add_co_u32_e32 v36, vcc, v22, v3
	v_addc_co_u32_e32 v37, vcc, 0, v23, vcc
	flat_load_dword v3, v[36:37]
	s_or_b64 exec, exec, s[4:5]
                                        ; implicit-def: $vgpr4
	s_and_saveexec_b64 s[4:5], s[16:17]
	s_cbranch_execz .LBB1105_45
.LBB1105_68:
	v_lshlrev_b32_e32 v4, 2, v5
	v_add_co_u32_e32 v4, vcc, v22, v4
	v_addc_co_u32_e32 v5, vcc, 0, v23, vcc
	flat_load_dword v4, v[4:5]
	s_or_b64 exec, exec, s[4:5]
                                        ; implicit-def: $vgpr5
	s_and_saveexec_b64 s[4:5], s[18:19]
	s_cbranch_execz .LBB1105_46
.LBB1105_69:
	v_lshlrev_b32_e32 v5, 2, v6
	v_add_co_u32_e32 v36, vcc, v22, v5
	v_addc_co_u32_e32 v37, vcc, 0, v23, vcc
	flat_load_dword v5, v[36:37]
	s_or_b64 exec, exec, s[4:5]
                                        ; implicit-def: $vgpr6
	s_and_saveexec_b64 s[4:5], s[20:21]
	s_cbranch_execz .LBB1105_47
.LBB1105_70:
	v_lshlrev_b32_e32 v6, 2, v24
	v_add_co_u32_e32 v36, vcc, v22, v6
	v_addc_co_u32_e32 v37, vcc, 0, v23, vcc
	flat_load_dword v6, v[36:37]
	s_or_b64 exec, exec, s[4:5]
                                        ; implicit-def: $vgpr24
	s_and_saveexec_b64 s[4:5], s[22:23]
	s_cbranch_execz .LBB1105_48
.LBB1105_71:
	v_lshlrev_b32_e32 v24, 2, v25
	v_add_co_u32_e32 v24, vcc, v22, v24
	v_addc_co_u32_e32 v25, vcc, 0, v23, vcc
	flat_load_dword v24, v[24:25]
	s_or_b64 exec, exec, s[4:5]
                                        ; implicit-def: $vgpr25
	s_and_saveexec_b64 s[4:5], s[24:25]
	s_cbranch_execz .LBB1105_49
.LBB1105_72:
	v_lshlrev_b32_e32 v25, 2, v26
	v_add_co_u32_e32 v36, vcc, v22, v25
	v_addc_co_u32_e32 v37, vcc, 0, v23, vcc
	flat_load_dword v25, v[36:37]
	s_or_b64 exec, exec, s[4:5]
                                        ; implicit-def: $vgpr26
	s_and_saveexec_b64 s[4:5], s[26:27]
	s_cbranch_execz .LBB1105_50
.LBB1105_73:
	v_lshlrev_b32_e32 v26, 2, v27
	v_add_co_u32_e32 v26, vcc, v22, v26
	v_addc_co_u32_e32 v27, vcc, 0, v23, vcc
	flat_load_dword v26, v[26:27]
	s_or_b64 exec, exec, s[4:5]
                                        ; implicit-def: $vgpr27
	s_and_saveexec_b64 s[4:5], s[28:29]
	s_cbranch_execz .LBB1105_51
.LBB1105_74:
	v_lshlrev_b32_e32 v27, 2, v28
	v_add_co_u32_e32 v36, vcc, v22, v27
	v_addc_co_u32_e32 v37, vcc, 0, v23, vcc
	flat_load_dword v27, v[36:37]
	s_or_b64 exec, exec, s[4:5]
                                        ; implicit-def: $vgpr28
	s_and_saveexec_b64 s[4:5], s[30:31]
	s_cbranch_execnz .LBB1105_52
	s_branch .LBB1105_53
.LBB1105_75:
                                        ; implicit-def: $sgpr4_sgpr5
                                        ; implicit-def: $vgpr66
                                        ; implicit-def: $vgpr67
                                        ; implicit-def: $vgpr68
                                        ; implicit-def: $vgpr69
                                        ; implicit-def: $vgpr70
                                        ; implicit-def: $vgpr71
                                        ; implicit-def: $vgpr72
                                        ; implicit-def: $vgpr73
                                        ; implicit-def: $vgpr74
                                        ; implicit-def: $vgpr75
                                        ; implicit-def: $vgpr76
                                        ; implicit-def: $vgpr77
                                        ; implicit-def: $vgpr78
                                        ; implicit-def: $vgpr79
	s_cbranch_execz .LBB1105_59
; %bb.76:
	v_cmp_ne_u32_e32 vcc, v21, v36
	v_cndmask_b32_e64 v79, 0, 1, vcc
	v_cmp_ne_u32_e32 vcc, v21, v37
	v_cndmask_b32_e64 v78, 0, 1, vcc
	;; [unrolled: 2-line block ×13, first 2 shown]
	v_cmp_ne_u32_e32 vcc, v9, v1
	v_lshlrev_b32_e32 v7, 2, v0
	v_cndmask_b32_e64 v66, 0, 1, vcc
	ds_write_b32 v7, v1
	s_waitcnt lgkmcnt(0)
	s_barrier
	s_waitcnt lgkmcnt(0)
                                        ; implicit-def: $sgpr4_sgpr5
	s_and_saveexec_b64 s[10:11], s[2:3]
	s_xor_b64 s[10:11], exec, s[10:11]
	s_cbranch_execz .LBB1105_78
; %bb.77:
	v_add_u32_e32 v2, -4, v7
	ds_read_b32 v2, v2
	s_or_b64 s[6:7], s[6:7], exec
	s_waitcnt lgkmcnt(0)
	v_cmp_ne_u32_e32 vcc, v2, v20
	s_and_b64 s[4:5], vcc, exec
.LBB1105_78:
	s_or_b64 exec, exec, s[10:11]
	s_mov_b32 s12, 1
	s_branch .LBB1105_87
.LBB1105_79:
	s_mul_hi_u32 s5, s40, 0xfffff100
	s_mul_i32 s4, s41, 0xfffff100
	s_sub_i32 s5, s5, s40
	s_add_i32 s5, s5, s4
	s_mul_i32 s4, s40, 0xfffff100
	s_add_u32 s10, s4, s56
	s_addc_u32 s11, s5, s57
	s_and_b64 vcc, exec, s[8:9]
	s_cbranch_vccz .LBB1105_84
; %bb.80:
	v_add_co_u32_e32 v2, vcc, -4, v38
	v_addc_co_u32_e32 v3, vcc, -1, v39, vcc
	flat_load_dword v6, v[2:3]
	v_mad_u32_u24 v4, v0, 15, 14
	v_mov_b32_e32 v5, 0
	v_cmp_gt_u64_e32 vcc, s[10:11], v[4:5]
	v_cmp_ne_u32_e64 s[4:5], v9, v1
	v_mad_u32_u24 v4, v0, 15, 13
	s_and_b64 s[6:7], vcc, s[4:5]
	v_cmp_gt_u64_e32 vcc, s[10:11], v[4:5]
	v_cmp_ne_u32_e64 s[4:5], v8, v9
	v_mad_u32_u24 v4, v0, 15, 12
	s_and_b64 s[8:9], vcc, s[4:5]
	;; [unrolled: 4-line block ×13, first 2 shown]
	v_cmp_gt_u64_e32 vcc, s[10:11], v[4:5]
	v_cmp_ne_u32_e64 s[4:5], v20, v21
	v_lshlrev_b32_e32 v3, 2, v0
	v_mul_u32_u24_e32 v2, 15, v0
	s_and_b64 s[4:5], vcc, s[4:5]
	ds_write_b32 v3, v1
	s_waitcnt lgkmcnt(0)
	s_barrier
	s_and_saveexec_b64 s[40:41], s[2:3]
	s_cbranch_execz .LBB1105_82
; %bb.81:
	v_add_u32_e32 v3, -4, v3
	s_waitcnt vmcnt(0)
	ds_read_b32 v6, v3
.LBB1105_82:
	s_or_b64 exec, exec, s[40:41]
	v_mov_b32_e32 v3, v5
	v_cndmask_b32_e64 v79, 0, 1, s[4:5]
	v_cmp_gt_u64_e32 vcc, s[10:11], v[2:3]
	s_waitcnt vmcnt(0) lgkmcnt(0)
	v_cmp_ne_u32_e64 s[4:5], v6, v20
	v_cndmask_b32_e64 v66, 0, 1, s[6:7]
	v_cndmask_b32_e64 v67, 0, 1, s[8:9]
	v_cndmask_b32_e64 v68, 0, 1, s[12:13]
	v_cndmask_b32_e64 v69, 0, 1, s[14:15]
	v_cndmask_b32_e64 v70, 0, 1, s[16:17]
	v_cndmask_b32_e64 v71, 0, 1, s[18:19]
	v_cndmask_b32_e64 v72, 0, 1, s[20:21]
	v_cndmask_b32_e64 v73, 0, 1, s[22:23]
	v_cndmask_b32_e64 v74, 0, 1, s[24:25]
	v_cndmask_b32_e64 v75, 0, 1, s[26:27]
	v_cndmask_b32_e64 v76, 0, 1, s[28:29]
	v_cndmask_b32_e64 v77, 0, 1, s[30:31]
	v_cndmask_b32_e64 v78, 0, 1, s[34:35]
	s_and_b64 s[4:5], vcc, s[4:5]
	s_mov_b64 s[6:7], -1
.LBB1105_83:
                                        ; implicit-def: $sgpr12
	v_mov_b32_e32 v81, s12
	s_and_saveexec_b64 s[2:3], s[6:7]
	s_cbranch_execnz .LBB1105_88
	s_branch .LBB1105_89
.LBB1105_84:
                                        ; implicit-def: $sgpr4_sgpr5
                                        ; implicit-def: $vgpr66
                                        ; implicit-def: $vgpr67
                                        ; implicit-def: $vgpr68
                                        ; implicit-def: $vgpr69
                                        ; implicit-def: $vgpr70
                                        ; implicit-def: $vgpr71
                                        ; implicit-def: $vgpr72
                                        ; implicit-def: $vgpr73
                                        ; implicit-def: $vgpr74
                                        ; implicit-def: $vgpr75
                                        ; implicit-def: $vgpr76
                                        ; implicit-def: $vgpr77
                                        ; implicit-def: $vgpr78
                                        ; implicit-def: $vgpr79
	s_cbranch_execz .LBB1105_83
; %bb.85:
	v_mad_u32_u24 v2, v0, 15, 14
	v_mov_b32_e32 v3, 0
	v_cmp_gt_u64_e32 vcc, s[10:11], v[2:3]
	v_cmp_ne_u32_e64 s[4:5], v9, v1
	s_and_b64 s[4:5], vcc, s[4:5]
	v_mad_u32_u24 v2, v0, 15, 13
	v_cndmask_b32_e64 v66, 0, 1, s[4:5]
	v_cmp_gt_u64_e32 vcc, s[10:11], v[2:3]
	v_cmp_ne_u32_e64 s[4:5], v8, v9
	s_and_b64 s[4:5], vcc, s[4:5]
	v_mad_u32_u24 v2, v0, 15, 12
	v_cndmask_b32_e64 v67, 0, 1, s[4:5]
	v_cmp_gt_u64_e32 vcc, s[10:11], v[2:3]
	v_cmp_ne_u32_e64 s[4:5], v11, v8
	s_and_b64 s[4:5], vcc, s[4:5]
	v_mad_u32_u24 v2, v0, 15, 11
	v_cndmask_b32_e64 v68, 0, 1, s[4:5]
	v_cmp_gt_u64_e32 vcc, s[10:11], v[2:3]
	v_cmp_ne_u32_e64 s[4:5], v10, v11
	s_and_b64 s[4:5], vcc, s[4:5]
	v_mad_u32_u24 v2, v0, 15, 10
	v_cndmask_b32_e64 v69, 0, 1, s[4:5]
	v_cmp_gt_u64_e32 vcc, s[10:11], v[2:3]
	v_cmp_ne_u32_e64 s[4:5], v13, v10
	s_and_b64 s[4:5], vcc, s[4:5]
	v_mad_u32_u24 v2, v0, 15, 9
	v_cndmask_b32_e64 v70, 0, 1, s[4:5]
	v_cmp_gt_u64_e32 vcc, s[10:11], v[2:3]
	v_cmp_ne_u32_e64 s[4:5], v12, v13
	s_and_b64 s[4:5], vcc, s[4:5]
	v_mad_u32_u24 v2, v0, 15, 8
	v_cndmask_b32_e64 v71, 0, 1, s[4:5]
	v_cmp_gt_u64_e32 vcc, s[10:11], v[2:3]
	v_cmp_ne_u32_e64 s[4:5], v15, v12
	s_and_b64 s[4:5], vcc, s[4:5]
	v_mad_u32_u24 v2, v0, 15, 7
	v_cndmask_b32_e64 v72, 0, 1, s[4:5]
	v_cmp_gt_u64_e32 vcc, s[10:11], v[2:3]
	v_cmp_ne_u32_e64 s[4:5], v14, v15
	s_and_b64 s[4:5], vcc, s[4:5]
	v_mad_u32_u24 v2, v0, 15, 6
	v_cndmask_b32_e64 v73, 0, 1, s[4:5]
	v_cmp_gt_u64_e32 vcc, s[10:11], v[2:3]
	v_cmp_ne_u32_e64 s[4:5], v17, v14
	s_and_b64 s[4:5], vcc, s[4:5]
	v_mad_u32_u24 v2, v0, 15, 5
	v_cndmask_b32_e64 v74, 0, 1, s[4:5]
	v_cmp_gt_u64_e32 vcc, s[10:11], v[2:3]
	v_cmp_ne_u32_e64 s[4:5], v16, v17
	s_and_b64 s[4:5], vcc, s[4:5]
	v_mad_u32_u24 v2, v0, 15, 4
	v_cndmask_b32_e64 v75, 0, 1, s[4:5]
	v_cmp_gt_u64_e32 vcc, s[10:11], v[2:3]
	v_cmp_ne_u32_e64 s[4:5], v19, v16
	s_and_b64 s[4:5], vcc, s[4:5]
	v_mad_u32_u24 v2, v0, 15, 3
	v_cndmask_b32_e64 v76, 0, 1, s[4:5]
	v_cmp_gt_u64_e32 vcc, s[10:11], v[2:3]
	v_cmp_ne_u32_e64 s[4:5], v18, v19
	s_and_b64 s[4:5], vcc, s[4:5]
	v_mad_u32_u24 v2, v0, 15, 2
	v_cndmask_b32_e64 v77, 0, 1, s[4:5]
	v_cmp_gt_u64_e32 vcc, s[10:11], v[2:3]
	v_cmp_ne_u32_e64 s[4:5], v21, v18
	s_and_b64 s[4:5], vcc, s[4:5]
	v_mad_u32_u24 v2, v0, 15, 1
	v_cndmask_b32_e64 v78, 0, 1, s[4:5]
	v_cmp_gt_u64_e32 vcc, s[10:11], v[2:3]
	v_cmp_ne_u32_e64 s[4:5], v20, v21
	s_and_b64 s[4:5], vcc, s[4:5]
	v_lshlrev_b32_e32 v4, 2, v0
	s_mov_b32 s12, 1
	v_cndmask_b32_e64 v79, 0, 1, s[4:5]
	ds_write_b32 v4, v1
	s_waitcnt lgkmcnt(0)
	s_barrier
	s_waitcnt lgkmcnt(0)
                                        ; implicit-def: $sgpr4_sgpr5
	s_and_saveexec_b64 s[8:9], s[2:3]
	s_cbranch_execz .LBB1105_196
; %bb.86:
	v_add_u32_e32 v2, -4, v4
	ds_read_b32 v4, v2
	v_mul_u32_u24_e32 v2, 15, v0
	v_cmp_gt_u64_e32 vcc, s[10:11], v[2:3]
	s_or_b64 s[6:7], s[6:7], exec
	s_waitcnt lgkmcnt(0)
	v_cmp_ne_u32_e64 s[2:3], v4, v20
	s_and_b64 s[2:3], vcc, s[2:3]
	s_and_b64 s[4:5], s[2:3], exec
	s_or_b64 exec, exec, s[8:9]
.LBB1105_87:
	v_mov_b32_e32 v81, s12
	s_and_saveexec_b64 s[2:3], s[6:7]
.LBB1105_88:
	v_cndmask_b32_e64 v81, 0, 1, s[4:5]
.LBB1105_89:
	s_or_b64 exec, exec, s[2:3]
	s_cmp_eq_u64 s[46:47], 0
	v_add3_u32 v2, v79, v81, v78
	s_cselect_b64 s[34:35], -1, 0
	s_cmp_lg_u32 s62, 0
	v_cmp_eq_u32_e64 s[26:27], 0, v79
	v_cmp_eq_u32_e64 s[24:25], 0, v78
	;; [unrolled: 1-line block ×3, first 2 shown]
	v_add3_u32 v86, v2, v77, v76
	v_cmp_eq_u32_e64 s[20:21], 0, v76
	v_cmp_eq_u32_e64 s[18:19], 0, v75
	;; [unrolled: 1-line block ×10, first 2 shown]
	v_cmp_eq_u32_e32 vcc, 0, v66
	v_mbcnt_lo_u32_b32 v85, -1, 0
	v_lshrrev_b32_e32 v83, 6, v0
	v_or_b32_e32 v84, 63, v0
	s_cbranch_scc0 .LBB1105_120
; %bb.90:
	v_cndmask_b32_e64 v2, 0, v34, s[26:27]
	v_add_u32_e32 v2, v2, v35
	v_cndmask_b32_e64 v2, 0, v2, s[24:25]
	v_add_u32_e32 v2, v2, v32
	;; [unrolled: 2-line block ×11, first 2 shown]
	v_cndmask_b32_e64 v2, 0, v2, s[4:5]
	v_add3_u32 v3, v86, v75, v74
	v_add_u32_e32 v2, v2, v22
	v_add3_u32 v3, v3, v73, v72
	v_cndmask_b32_e64 v2, 0, v2, s[2:3]
	v_add3_u32 v3, v3, v71, v70
	v_add_u32_e32 v2, v2, v23
	v_add3_u32 v3, v3, v69, v68
	v_cndmask_b32_e32 v2, 0, v2, vcc
	v_add3_u32 v3, v3, v67, v66
	v_add_u32_e32 v2, v2, v82
	v_mbcnt_hi_u32_b32 v39, -1, v85
	v_and_b32_e32 v4, 15, v39
	v_mov_b32_dpp v6, v2 row_shr:1 row_mask:0xf bank_mask:0xf
	v_cmp_eq_u32_e32 vcc, 0, v3
	v_mov_b32_dpp v5, v3 row_shr:1 row_mask:0xf bank_mask:0xf
	v_cndmask_b32_e32 v6, 0, v6, vcc
	v_cmp_eq_u32_e32 vcc, 0, v4
	v_cndmask_b32_e64 v5, v5, 0, vcc
	v_add_u32_e32 v3, v5, v3
	v_cndmask_b32_e64 v5, v6, 0, vcc
	v_add_u32_e32 v2, v5, v2
	v_cmp_eq_u32_e32 vcc, 0, v3
	v_mov_b32_dpp v5, v3 row_shr:2 row_mask:0xf bank_mask:0xf
	v_cmp_lt_u32_e64 s[28:29], 1, v4
	v_mov_b32_dpp v6, v2 row_shr:2 row_mask:0xf bank_mask:0xf
	v_cndmask_b32_e64 v5, 0, v5, s[28:29]
	s_and_b64 vcc, s[28:29], vcc
	v_cndmask_b32_e32 v6, 0, v6, vcc
	v_add_u32_e32 v3, v3, v5
	v_add_u32_e32 v2, v6, v2
	v_cmp_eq_u32_e32 vcc, 0, v3
	v_mov_b32_dpp v5, v3 row_shr:4 row_mask:0xf bank_mask:0xf
	v_cmp_lt_u32_e64 s[28:29], 3, v4
	v_mov_b32_dpp v6, v2 row_shr:4 row_mask:0xf bank_mask:0xf
	v_cndmask_b32_e64 v5, 0, v5, s[28:29]
	s_and_b64 vcc, s[28:29], vcc
	v_cndmask_b32_e32 v6, 0, v6, vcc
	v_add_u32_e32 v3, v5, v3
	v_add_u32_e32 v2, v2, v6
	v_cmp_eq_u32_e32 vcc, 0, v3
	v_cmp_lt_u32_e64 s[28:29], 7, v4
	v_mov_b32_dpp v5, v3 row_shr:8 row_mask:0xf bank_mask:0xf
	v_mov_b32_dpp v6, v2 row_shr:8 row_mask:0xf bank_mask:0xf
	s_and_b64 vcc, s[28:29], vcc
	v_cndmask_b32_e64 v4, 0, v5, s[28:29]
	v_cndmask_b32_e32 v5, 0, v6, vcc
	v_add_u32_e32 v2, v5, v2
	v_add_u32_e32 v3, v4, v3
	v_bfe_i32 v6, v39, 4, 1
	v_mov_b32_dpp v5, v2 row_bcast:15 row_mask:0xf bank_mask:0xf
	v_mov_b32_dpp v4, v3 row_bcast:15 row_mask:0xf bank_mask:0xf
	v_cmp_eq_u32_e32 vcc, 0, v3
	v_cndmask_b32_e32 v5, 0, v5, vcc
	v_and_b32_e32 v4, v6, v4
	v_add_u32_e32 v3, v4, v3
	v_and_b32_e32 v4, v6, v5
	v_add_u32_e32 v4, v4, v2
	v_mov_b32_dpp v2, v3 row_bcast:31 row_mask:0xf bank_mask:0xf
	v_cmp_eq_u32_e32 vcc, 0, v3
	v_cmp_lt_u32_e64 s[28:29], 31, v39
	v_mov_b32_dpp v5, v4 row_bcast:31 row_mask:0xf bank_mask:0xf
	v_cndmask_b32_e64 v2, 0, v2, s[28:29]
	s_and_b64 vcc, s[28:29], vcc
	v_add_u32_e32 v2, v2, v3
	v_cndmask_b32_e32 v3, 0, v5, vcc
	v_add_u32_e32 v3, v3, v4
	v_cmp_eq_u32_e32 vcc, v84, v0
	v_lshlrev_b32_e32 v4, 3, v83
	s_and_saveexec_b64 s[28:29], vcc
	s_cbranch_execz .LBB1105_92
; %bb.91:
	ds_write_b64 v4, v[2:3] offset:2064
.LBB1105_92:
	s_or_b64 exec, exec, s[28:29]
	v_cmp_gt_u32_e32 vcc, 4, v0
	s_waitcnt lgkmcnt(0)
	s_barrier
	s_and_saveexec_b64 s[30:31], vcc
	s_cbranch_execz .LBB1105_94
; %bb.93:
	v_lshlrev_b32_e32 v5, 3, v0
	ds_read_b64 v[6:7], v5 offset:2064
	v_and_b32_e32 v36, 3, v39
	v_cmp_lt_u32_e64 s[28:29], 1, v36
	s_waitcnt lgkmcnt(0)
	v_mov_b32_dpp v38, v7 row_shr:1 row_mask:0xf bank_mask:0xf
	v_cmp_eq_u32_e32 vcc, 0, v6
	v_mov_b32_dpp v37, v6 row_shr:1 row_mask:0xf bank_mask:0xf
	v_cndmask_b32_e32 v38, 0, v38, vcc
	v_cmp_eq_u32_e32 vcc, 0, v36
	v_cndmask_b32_e64 v37, v37, 0, vcc
	v_add_u32_e32 v6, v37, v6
	v_cndmask_b32_e64 v37, v38, 0, vcc
	v_add_u32_e32 v7, v37, v7
	v_cmp_eq_u32_e32 vcc, 0, v6
	v_mov_b32_dpp v37, v6 row_shr:2 row_mask:0xf bank_mask:0xf
	v_mov_b32_dpp v38, v7 row_shr:2 row_mask:0xf bank_mask:0xf
	v_cndmask_b32_e64 v36, 0, v37, s[28:29]
	s_and_b64 vcc, s[28:29], vcc
	v_add_u32_e32 v6, v36, v6
	v_cndmask_b32_e32 v36, 0, v38, vcc
	v_add_u32_e32 v7, v36, v7
	ds_write_b64 v5, v[6:7] offset:2064
.LBB1105_94:
	s_or_b64 exec, exec, s[30:31]
	v_cmp_gt_u32_e32 vcc, 64, v0
	v_cmp_lt_u32_e64 s[28:29], 63, v0
	v_mov_b32_e32 v36, 0
	v_mov_b32_e32 v37, 0
	s_waitcnt lgkmcnt(0)
	s_barrier
	s_and_saveexec_b64 s[30:31], s[28:29]
	s_cbranch_execz .LBB1105_96
; %bb.95:
	ds_read_b64 v[36:37], v4 offset:2056
	v_cmp_eq_u32_e64 s[28:29], 0, v2
	s_waitcnt lgkmcnt(0)
	v_add_u32_e32 v4, v36, v2
	v_cndmask_b32_e64 v2, 0, v37, s[28:29]
	v_add_u32_e32 v3, v2, v3
	v_mov_b32_e32 v2, v4
.LBB1105_96:
	s_or_b64 exec, exec, s[30:31]
	v_add_u32_e32 v4, -1, v39
	v_and_b32_e32 v5, 64, v39
	v_cmp_lt_i32_e64 s[28:29], v4, v5
	v_cndmask_b32_e64 v4, v4, v39, s[28:29]
	v_lshlrev_b32_e32 v4, 2, v4
	ds_bpermute_b32 v44, v4, v2
	ds_bpermute_b32 v45, v4, v3
	v_cmp_eq_u32_e64 s[28:29], 0, v39
	s_and_saveexec_b64 s[40:41], vcc
	s_cbranch_execz .LBB1105_119
; %bb.97:
	v_mov_b32_e32 v7, 0
	ds_read_b64 v[2:3], v7 offset:2088
	s_waitcnt lgkmcnt(0)
	v_readfirstlane_b32 s48, v2
	v_readfirstlane_b32 s49, v3
	s_and_saveexec_b64 s[30:31], s[28:29]
	s_cbranch_execz .LBB1105_99
; %bb.98:
	s_add_i32 s46, s62, 64
	s_mov_b32 s47, 0
	s_lshl_b64 s[50:51], s[46:47], 4
	s_add_u32 s50, s44, s50
	s_addc_u32 s51, s45, s51
	s_and_b32 s57, s49, 0xff000000
	s_mov_b32 s56, s47
	s_and_b32 s65, s49, 0xff0000
	s_mov_b32 s64, s47
	s_or_b64 s[56:57], s[64:65], s[56:57]
	s_and_b32 s65, s49, 0xff00
	s_or_b64 s[56:57], s[56:57], s[64:65]
	s_and_b32 s65, s49, 0xff
	s_or_b64 s[46:47], s[56:57], s[64:65]
	v_mov_b32_e32 v4, s48
	v_mov_b32_e32 v5, s47
	;; [unrolled: 1-line block ×3, first 2 shown]
	v_pk_mov_b32 v[2:3], s[50:51], s[50:51] op_sel:[0,1]
	;;#ASMSTART
	global_store_dwordx4 v[2:3], v[4:7] off	
s_waitcnt vmcnt(0)
	;;#ASMEND
.LBB1105_99:
	s_or_b64 exec, exec, s[30:31]
	v_xad_u32 v38, v39, -1, s62
	v_add_u32_e32 v6, 64, v38
	v_lshlrev_b64 v[2:3], 4, v[6:7]
	v_mov_b32_e32 v4, s45
	v_add_co_u32_e32 v40, vcc, s44, v2
	v_addc_co_u32_e32 v41, vcc, v4, v3, vcc
	;;#ASMSTART
	global_load_dwordx4 v[2:5], v[40:41] off glc	
s_waitcnt vmcnt(0)
	;;#ASMEND
	v_and_b32_e32 v5, 0xff, v3
	v_and_b32_e32 v6, 0xff00, v3
	;; [unrolled: 1-line block ×3, first 2 shown]
	v_or3_b32 v5, 0, v5, v6
	v_or3_b32 v2, v2, 0, 0
	v_and_b32_e32 v3, 0xff000000, v3
	v_or3_b32 v3, v5, v42, v3
	v_or3_b32 v2, v2, 0, 0
	v_cmp_eq_u16_sdwa s[46:47], v4, v7 src0_sel:BYTE_0 src1_sel:DWORD
	s_and_saveexec_b64 s[30:31], s[46:47]
	s_cbranch_execz .LBB1105_105
; %bb.100:
	s_mov_b32 s50, 1
	s_mov_b64 s[46:47], 0
	v_mov_b32_e32 v6, 0
.LBB1105_101:                           ; =>This Loop Header: Depth=1
                                        ;     Child Loop BB1105_102 Depth 2
	s_max_u32 s51, s50, 1
.LBB1105_102:                           ;   Parent Loop BB1105_101 Depth=1
                                        ; =>  This Inner Loop Header: Depth=2
	s_add_i32 s51, s51, -1
	s_cmp_eq_u32 s51, 0
	s_sleep 1
	s_cbranch_scc0 .LBB1105_102
; %bb.103:                              ;   in Loop: Header=BB1105_101 Depth=1
	s_cmp_lt_u32 s50, 32
	s_cselect_b64 s[56:57], -1, 0
	s_cmp_lg_u64 s[56:57], 0
	s_addc_u32 s50, s50, 0
	;;#ASMSTART
	global_load_dwordx4 v[2:5], v[40:41] off glc	
s_waitcnt vmcnt(0)
	;;#ASMEND
	v_cmp_ne_u16_sdwa s[56:57], v4, v6 src0_sel:BYTE_0 src1_sel:DWORD
	s_or_b64 s[46:47], s[56:57], s[46:47]
	s_andn2_b64 exec, exec, s[46:47]
	s_cbranch_execnz .LBB1105_101
; %bb.104:
	s_or_b64 exec, exec, s[46:47]
.LBB1105_105:
	s_or_b64 exec, exec, s[30:31]
	v_mov_b32_e32 v46, 2
	v_cmp_eq_u16_sdwa s[30:31], v4, v46 src0_sel:BYTE_0 src1_sel:DWORD
	v_lshlrev_b64 v[40:41], v39, -1
	v_and_b32_e32 v5, s31, v41
	v_and_b32_e32 v47, 63, v39
	v_or_b32_e32 v5, 0x80000000, v5
	v_cmp_ne_u32_e32 vcc, 63, v47
	v_and_b32_e32 v6, s30, v40
	v_ffbl_b32_e32 v5, v5
	v_addc_co_u32_e32 v7, vcc, 0, v39, vcc
	v_add_u32_e32 v5, 32, v5
	v_ffbl_b32_e32 v6, v6
	v_lshlrev_b32_e32 v48, 2, v7
	v_min_u32_e32 v5, v6, v5
	ds_bpermute_b32 v6, v48, v3
	v_cmp_eq_u32_e32 vcc, 0, v2
	v_cmp_lt_u32_e64 s[30:31], v47, v5
	ds_bpermute_b32 v7, v48, v2
	s_and_b64 vcc, s[30:31], vcc
	s_waitcnt lgkmcnt(1)
	v_cndmask_b32_e32 v6, 0, v6, vcc
	v_cmp_gt_u32_e32 vcc, 62, v47
	v_add_u32_e32 v3, v6, v3
	v_cndmask_b32_e64 v6, 0, 1, vcc
	v_lshlrev_b32_e32 v6, 1, v6
	v_add_lshl_u32 v49, v6, v39, 2
	s_waitcnt lgkmcnt(0)
	v_cndmask_b32_e64 v7, 0, v7, s[30:31]
	ds_bpermute_b32 v6, v49, v3
	v_add_u32_e32 v2, v7, v2
	ds_bpermute_b32 v7, v49, v2
	v_add_u32_e32 v50, 2, v47
	v_cmp_eq_u32_e32 vcc, 0, v2
	s_waitcnt lgkmcnt(1)
	v_cndmask_b32_e32 v6, 0, v6, vcc
	v_cmp_gt_u32_e32 vcc, v50, v5
	v_cndmask_b32_e64 v6, v6, 0, vcc
	v_add_u32_e32 v3, v6, v3
	s_waitcnt lgkmcnt(0)
	v_cndmask_b32_e64 v6, v7, 0, vcc
	v_cmp_gt_u32_e32 vcc, 60, v47
	v_cndmask_b32_e64 v7, 0, 1, vcc
	v_lshlrev_b32_e32 v7, 2, v7
	v_add_lshl_u32 v51, v7, v39, 2
	ds_bpermute_b32 v7, v51, v3
	v_add_u32_e32 v2, v2, v6
	ds_bpermute_b32 v6, v51, v2
	v_add_u32_e32 v52, 4, v47
	v_cmp_eq_u32_e32 vcc, 0, v2
	s_waitcnt lgkmcnt(1)
	v_cndmask_b32_e32 v7, 0, v7, vcc
	v_cmp_gt_u32_e32 vcc, v52, v5
	v_cndmask_b32_e64 v7, v7, 0, vcc
	s_waitcnt lgkmcnt(0)
	v_cndmask_b32_e64 v6, v6, 0, vcc
	v_cmp_gt_u32_e32 vcc, 56, v47
	v_add_u32_e32 v3, v3, v7
	v_cndmask_b32_e64 v7, 0, 1, vcc
	v_lshlrev_b32_e32 v7, 3, v7
	v_add_lshl_u32 v53, v7, v39, 2
	ds_bpermute_b32 v7, v53, v3
	v_add_u32_e32 v2, v2, v6
	ds_bpermute_b32 v6, v53, v2
	v_add_u32_e32 v54, 8, v47
	v_cmp_eq_u32_e32 vcc, 0, v2
	s_waitcnt lgkmcnt(1)
	v_cndmask_b32_e32 v7, 0, v7, vcc
	v_cmp_gt_u32_e32 vcc, v54, v5
	v_cndmask_b32_e64 v7, v7, 0, vcc
	s_waitcnt lgkmcnt(0)
	v_cndmask_b32_e64 v6, v6, 0, vcc
	v_cmp_gt_u32_e32 vcc, 48, v47
	v_add_u32_e32 v3, v3, v7
	;; [unrolled: 16-line block ×3, first 2 shown]
	v_cndmask_b32_e64 v7, 0, 1, vcc
	v_lshlrev_b32_e32 v7, 5, v7
	v_add_lshl_u32 v57, v7, v39, 2
	ds_bpermute_b32 v7, v57, v3
	v_add_u32_e32 v2, v2, v6
	ds_bpermute_b32 v6, v57, v2
	v_add_u32_e32 v58, 32, v47
	v_cmp_eq_u32_e32 vcc, 0, v2
	s_waitcnt lgkmcnt(1)
	v_cndmask_b32_e32 v7, 0, v7, vcc
	v_cmp_gt_u32_e32 vcc, v58, v5
	v_cndmask_b32_e64 v5, v7, 0, vcc
	v_add_u32_e32 v3, v5, v3
	s_waitcnt lgkmcnt(0)
	v_cndmask_b32_e64 v5, v6, 0, vcc
	v_add_u32_e32 v2, v5, v2
	v_mov_b32_e32 v39, 0
	s_branch .LBB1105_107
.LBB1105_106:                           ;   in Loop: Header=BB1105_107 Depth=1
	s_or_b64 exec, exec, s[30:31]
	v_cmp_eq_u16_sdwa s[30:31], v4, v46 src0_sel:BYTE_0 src1_sel:DWORD
	v_and_b32_e32 v5, s31, v41
	v_or_b32_e32 v5, 0x80000000, v5
	v_and_b32_e32 v42, s30, v40
	v_ffbl_b32_e32 v5, v5
	v_add_u32_e32 v5, 32, v5
	v_ffbl_b32_e32 v42, v42
	v_min_u32_e32 v5, v42, v5
	ds_bpermute_b32 v42, v48, v3
	v_cmp_eq_u32_e32 vcc, 0, v2
	v_cmp_lt_u32_e64 s[30:31], v47, v5
	ds_bpermute_b32 v43, v48, v2
	s_and_b64 vcc, s[30:31], vcc
	s_waitcnt lgkmcnt(1)
	v_cndmask_b32_e32 v42, 0, v42, vcc
	v_add_u32_e32 v3, v42, v3
	ds_bpermute_b32 v42, v49, v3
	s_waitcnt lgkmcnt(1)
	v_cndmask_b32_e64 v43, 0, v43, s[30:31]
	v_add_u32_e32 v2, v43, v2
	v_cmp_eq_u32_e32 vcc, 0, v2
	ds_bpermute_b32 v43, v49, v2
	s_waitcnt lgkmcnt(1)
	v_cndmask_b32_e32 v42, 0, v42, vcc
	v_cmp_gt_u32_e32 vcc, v50, v5
	v_cndmask_b32_e64 v42, v42, 0, vcc
	v_add_u32_e32 v3, v42, v3
	ds_bpermute_b32 v42, v51, v3
	s_waitcnt lgkmcnt(1)
	v_cndmask_b32_e64 v43, v43, 0, vcc
	v_add_u32_e32 v2, v2, v43
	v_cmp_eq_u32_e32 vcc, 0, v2
	ds_bpermute_b32 v43, v51, v2
	s_waitcnt lgkmcnt(1)
	v_cndmask_b32_e32 v42, 0, v42, vcc
	v_cmp_gt_u32_e32 vcc, v52, v5
	v_cndmask_b32_e64 v42, v42, 0, vcc
	v_add_u32_e32 v3, v3, v42
	ds_bpermute_b32 v42, v53, v3
	s_waitcnt lgkmcnt(1)
	v_cndmask_b32_e64 v43, v43, 0, vcc
	v_add_u32_e32 v2, v2, v43
	ds_bpermute_b32 v43, v53, v2
	v_cmp_eq_u32_e32 vcc, 0, v2
	s_waitcnt lgkmcnt(1)
	v_cndmask_b32_e32 v42, 0, v42, vcc
	v_cmp_gt_u32_e32 vcc, v54, v5
	v_cndmask_b32_e64 v42, v42, 0, vcc
	v_add_u32_e32 v3, v3, v42
	ds_bpermute_b32 v42, v55, v3
	s_waitcnt lgkmcnt(1)
	v_cndmask_b32_e64 v43, v43, 0, vcc
	v_add_u32_e32 v2, v2, v43
	ds_bpermute_b32 v43, v55, v2
	v_cmp_eq_u32_e32 vcc, 0, v2
	;; [unrolled: 11-line block ×3, first 2 shown]
	s_waitcnt lgkmcnt(1)
	v_cndmask_b32_e32 v42, 0, v42, vcc
	v_cmp_gt_u32_e32 vcc, v58, v5
	v_cndmask_b32_e64 v5, v42, 0, vcc
	v_add_u32_e32 v3, v5, v3
	s_waitcnt lgkmcnt(0)
	v_cndmask_b32_e64 v5, v43, 0, vcc
	v_cmp_eq_u32_e32 vcc, 0, v6
	v_cndmask_b32_e32 v3, 0, v3, vcc
	v_subrev_u32_e32 v38, 64, v38
	v_add3_u32 v2, v2, v6, v5
	v_add_u32_e32 v3, v3, v7
.LBB1105_107:                           ; =>This Loop Header: Depth=1
                                        ;     Child Loop BB1105_110 Depth 2
                                        ;       Child Loop BB1105_111 Depth 3
	v_cmp_ne_u16_sdwa s[30:31], v4, v46 src0_sel:BYTE_0 src1_sel:DWORD
	v_mov_b32_e32 v7, v3
	v_cndmask_b32_e64 v3, 0, 1, s[30:31]
	;;#ASMSTART
	;;#ASMEND
	v_cmp_ne_u32_e32 vcc, 0, v3
	s_cmp_lg_u64 vcc, exec
	v_mov_b32_e32 v6, v2
	s_cbranch_scc1 .LBB1105_114
; %bb.108:                              ;   in Loop: Header=BB1105_107 Depth=1
	v_lshlrev_b64 v[2:3], 4, v[38:39]
	v_mov_b32_e32 v4, s45
	v_add_co_u32_e32 v42, vcc, s44, v2
	v_addc_co_u32_e32 v43, vcc, v4, v3, vcc
	;;#ASMSTART
	global_load_dwordx4 v[2:5], v[42:43] off glc	
s_waitcnt vmcnt(0)
	;;#ASMEND
	v_and_b32_e32 v5, 0xff, v3
	v_and_b32_e32 v59, 0xff00, v3
	;; [unrolled: 1-line block ×3, first 2 shown]
	v_or3_b32 v5, 0, v5, v59
	v_or3_b32 v2, v2, 0, 0
	v_and_b32_e32 v3, 0xff000000, v3
	v_or3_b32 v3, v5, v60, v3
	v_or3_b32 v2, v2, 0, 0
	v_cmp_eq_u16_sdwa s[46:47], v4, v39 src0_sel:BYTE_0 src1_sel:DWORD
	s_and_saveexec_b64 s[30:31], s[46:47]
	s_cbranch_execz .LBB1105_106
; %bb.109:                              ;   in Loop: Header=BB1105_107 Depth=1
	s_mov_b32 s50, 1
	s_mov_b64 s[46:47], 0
.LBB1105_110:                           ;   Parent Loop BB1105_107 Depth=1
                                        ; =>  This Loop Header: Depth=2
                                        ;       Child Loop BB1105_111 Depth 3
	s_max_u32 s51, s50, 1
.LBB1105_111:                           ;   Parent Loop BB1105_107 Depth=1
                                        ;     Parent Loop BB1105_110 Depth=2
                                        ; =>    This Inner Loop Header: Depth=3
	s_add_i32 s51, s51, -1
	s_cmp_eq_u32 s51, 0
	s_sleep 1
	s_cbranch_scc0 .LBB1105_111
; %bb.112:                              ;   in Loop: Header=BB1105_110 Depth=2
	s_cmp_lt_u32 s50, 32
	s_cselect_b64 s[56:57], -1, 0
	s_cmp_lg_u64 s[56:57], 0
	s_addc_u32 s50, s50, 0
	;;#ASMSTART
	global_load_dwordx4 v[2:5], v[42:43] off glc	
s_waitcnt vmcnt(0)
	;;#ASMEND
	v_cmp_ne_u16_sdwa s[56:57], v4, v39 src0_sel:BYTE_0 src1_sel:DWORD
	s_or_b64 s[46:47], s[56:57], s[46:47]
	s_andn2_b64 exec, exec, s[46:47]
	s_cbranch_execnz .LBB1105_110
; %bb.113:                              ;   in Loop: Header=BB1105_107 Depth=1
	s_or_b64 exec, exec, s[46:47]
	s_branch .LBB1105_106
.LBB1105_114:                           ;   in Loop: Header=BB1105_107 Depth=1
                                        ; implicit-def: $vgpr3
                                        ; implicit-def: $vgpr2
                                        ; implicit-def: $vgpr4
	s_cbranch_execz .LBB1105_107
; %bb.115:
	s_and_saveexec_b64 s[30:31], s[28:29]
	s_cbranch_execz .LBB1105_117
; %bb.116:
	s_cmp_eq_u32 s48, 0
	s_cselect_b64 vcc, -1, 0
	s_mov_b32 s47, 0
	v_cndmask_b32_e32 v2, 0, v7, vcc
	s_add_i32 s46, s62, 64
	v_add_u32_e32 v2, s49, v2
	s_lshl_b64 s[46:47], s[46:47], 4
	s_add_u32 s46, s44, s46
	v_and_b32_e32 v3, 0xff000000, v2
	v_and_b32_e32 v4, 0xff0000, v2
	s_addc_u32 s47, s45, s47
	v_or_b32_e32 v3, v4, v3
	v_and_b32_e32 v4, 0xff00, v2
	v_and_b32_e32 v2, 0xff, v2
	v_add_u32_e32 v38, s48, v6
	v_mov_b32_e32 v41, 0
	v_or3_b32 v39, v3, v4, v2
	v_mov_b32_e32 v40, 2
	v_pk_mov_b32 v[2:3], s[46:47], s[46:47] op_sel:[0,1]
	;;#ASMSTART
	global_store_dwordx4 v[2:3], v[38:41] off	
s_waitcnt vmcnt(0)
	;;#ASMEND
	v_mov_b32_e32 v4, s48
	v_mov_b32_e32 v5, s49
	ds_write_b128 v41, v[4:7] offset:2048
.LBB1105_117:
	s_or_b64 exec, exec, s[30:31]
	s_and_b64 exec, exec, s[0:1]
	s_cbranch_execz .LBB1105_119
; %bb.118:
	v_mov_b32_e32 v2, 0
	ds_write_b64 v2, v[6:7] offset:2088
.LBB1105_119:
	s_or_b64 exec, exec, s[40:41]
	v_mov_b32_e32 v4, 0
	s_waitcnt lgkmcnt(0)
	s_barrier
	ds_read_b64 v[2:3], v4 offset:2088
	v_cndmask_b32_e64 v6, v44, v36, s[28:29]
	v_cmp_eq_u32_e32 vcc, 0, v6
	v_cndmask_b32_e64 v5, v45, v37, s[28:29]
	s_waitcnt lgkmcnt(0)
	v_cndmask_b32_e32 v7, 0, v3, vcc
	v_add_u32_e32 v5, v7, v5
	v_cndmask_b32_e64 v65, v5, v3, s[0:1]
	v_cndmask_b32_e64 v3, v6, 0, s[0:1]
	v_cmp_eq_u32_e32 vcc, 0, v81
	v_add_u32_e32 v64, v2, v3
	v_cndmask_b32_e32 v2, 0, v65, vcc
	v_add_u32_e32 v63, v2, v34
	v_cndmask_b32_e64 v2, 0, v63, s[26:27]
	v_add_u32_e32 v61, v2, v35
	v_cndmask_b32_e64 v2, 0, v61, s[24:25]
	;; [unrolled: 2-line block ×8, first 2 shown]
	v_add_u32_e32 v62, v64, v81
	v_add_u32_e32 v47, v2, v26
	v_add_u32_e32 v60, v62, v79
	v_cndmask_b32_e64 v2, 0, v47, s[10:11]
	v_add_u32_e32 v58, v60, v78
	v_add_u32_e32 v45, v2, v27
	v_add_u32_e32 v56, v58, v77
	v_cndmask_b32_e64 v2, 0, v45, s[8:9]
	;; [unrolled: 4-line block ×3, first 2 shown]
	v_add_u32_e32 v50, v52, v74
	v_add_u32_e32 v41, v2, v25
	s_barrier
	ds_read_b128 v[2:5], v4 offset:2048
	v_add_u32_e32 v48, v50, v73
	v_add_u32_e32 v46, v48, v72
	;; [unrolled: 1-line block ×4, first 2 shown]
	v_cndmask_b32_e64 v6, 0, v41, s[4:5]
	v_add_u32_e32 v40, v42, v69
	v_add_u32_e32 v39, v6, v22
	s_waitcnt lgkmcnt(0)
	v_cmp_eq_u32_e32 vcc, 0, v2
	v_add_u32_e32 v38, v40, v68
	v_cndmask_b32_e64 v6, 0, v39, s[2:3]
	v_cndmask_b32_e32 v5, 0, v5, vcc
	v_add_u32_e32 v36, v38, v67
	v_add_u32_e32 v37, v6, v23
	;; [unrolled: 1-line block ×3, first 2 shown]
	s_branch .LBB1105_132
.LBB1105_120:
                                        ; implicit-def: $vgpr2
                                        ; implicit-def: $vgpr80
                                        ; implicit-def: $vgpr64_vgpr65
                                        ; implicit-def: $vgpr62_vgpr63
                                        ; implicit-def: $vgpr60_vgpr61
                                        ; implicit-def: $vgpr58_vgpr59
                                        ; implicit-def: $vgpr56_vgpr57
                                        ; implicit-def: $vgpr54_vgpr55
                                        ; implicit-def: $vgpr52_vgpr53
                                        ; implicit-def: $vgpr50_vgpr51
                                        ; implicit-def: $vgpr48_vgpr49
                                        ; implicit-def: $vgpr46_vgpr47
                                        ; implicit-def: $vgpr44_vgpr45
                                        ; implicit-def: $vgpr42_vgpr43
                                        ; implicit-def: $vgpr40_vgpr41
                                        ; implicit-def: $vgpr38_vgpr39
                                        ; implicit-def: $vgpr36_vgpr37
	s_cbranch_execz .LBB1105_132
; %bb.121:
	s_and_b64 s[2:3], s[34:35], exec
	s_cselect_b32 s3, 0, s61
	s_cselect_b32 s2, 0, s60
	s_cmp_eq_u64 s[2:3], 0
	v_mov_b32_e32 v6, v34
	s_cbranch_scc1 .LBB1105_123
; %bb.122:
	v_mov_b32_e32 v2, 0
	global_load_dword v6, v2, s[2:3]
.LBB1105_123:
	v_cmp_eq_u32_e64 s[2:3], 0, v79
	v_cndmask_b32_e64 v2, 0, v34, s[2:3]
	v_add_u32_e32 v2, v2, v35
	v_cmp_eq_u32_e64 s[4:5], 0, v78
	v_cndmask_b32_e64 v2, 0, v2, s[4:5]
	v_add_u32_e32 v2, v2, v32
	;; [unrolled: 3-line block ×11, first 2 shown]
	v_cmp_eq_u32_e64 s[24:25], 0, v68
	v_cndmask_b32_e64 v2, 0, v2, s[24:25]
	v_add3_u32 v3, v86, v75, v74
	v_add_u32_e32 v2, v2, v22
	v_cmp_eq_u32_e32 vcc, 0, v67
	v_add3_u32 v3, v3, v73, v72
	v_cndmask_b32_e32 v2, 0, v2, vcc
	v_add3_u32 v3, v3, v71, v70
	v_add_u32_e32 v2, v2, v23
	v_cmp_eq_u32_e64 s[26:27], 0, v66
	v_add3_u32 v3, v3, v69, v68
	v_cndmask_b32_e64 v2, 0, v2, s[26:27]
	v_add3_u32 v3, v3, v67, v66
	v_add_u32_e32 v2, v2, v82
	v_mbcnt_hi_u32_b32 v7, -1, v85
	v_and_b32_e32 v4, 15, v7
	v_mov_b32_dpp v36, v2 row_shr:1 row_mask:0xf bank_mask:0xf
	v_cmp_eq_u32_e64 s[26:27], 0, v3
	v_mov_b32_dpp v5, v3 row_shr:1 row_mask:0xf bank_mask:0xf
	v_cndmask_b32_e64 v36, 0, v36, s[26:27]
	v_cmp_eq_u32_e64 s[26:27], 0, v4
	v_cndmask_b32_e64 v5, v5, 0, s[26:27]
	v_add_u32_e32 v3, v5, v3
	v_cndmask_b32_e64 v5, v36, 0, s[26:27]
	v_add_u32_e32 v2, v5, v2
	v_cmp_eq_u32_e64 s[26:27], 0, v3
	v_mov_b32_dpp v5, v3 row_shr:2 row_mask:0xf bank_mask:0xf
	v_cmp_lt_u32_e64 s[28:29], 1, v4
	v_mov_b32_dpp v36, v2 row_shr:2 row_mask:0xf bank_mask:0xf
	v_cndmask_b32_e64 v5, 0, v5, s[28:29]
	s_and_b64 s[26:27], s[28:29], s[26:27]
	v_cndmask_b32_e64 v36, 0, v36, s[26:27]
	v_add_u32_e32 v3, v3, v5
	v_add_u32_e32 v2, v36, v2
	v_cmp_eq_u32_e64 s[26:27], 0, v3
	v_mov_b32_dpp v5, v3 row_shr:4 row_mask:0xf bank_mask:0xf
	v_cmp_lt_u32_e64 s[28:29], 3, v4
	v_mov_b32_dpp v36, v2 row_shr:4 row_mask:0xf bank_mask:0xf
	v_cndmask_b32_e64 v5, 0, v5, s[28:29]
	s_and_b64 s[26:27], s[28:29], s[26:27]
	v_cndmask_b32_e64 v36, 0, v36, s[26:27]
	v_add_u32_e32 v3, v5, v3
	v_add_u32_e32 v2, v2, v36
	v_cmp_eq_u32_e64 s[26:27], 0, v3
	v_cmp_lt_u32_e64 s[28:29], 7, v4
	v_mov_b32_dpp v5, v3 row_shr:8 row_mask:0xf bank_mask:0xf
	v_mov_b32_dpp v36, v2 row_shr:8 row_mask:0xf bank_mask:0xf
	s_and_b64 s[26:27], s[28:29], s[26:27]
	v_cndmask_b32_e64 v4, 0, v5, s[28:29]
	v_cndmask_b32_e64 v5, 0, v36, s[26:27]
	v_add_u32_e32 v2, v5, v2
	v_add_u32_e32 v3, v4, v3
	v_bfe_i32 v36, v7, 4, 1
	v_mov_b32_dpp v5, v2 row_bcast:15 row_mask:0xf bank_mask:0xf
	v_mov_b32_dpp v4, v3 row_bcast:15 row_mask:0xf bank_mask:0xf
	v_cmp_eq_u32_e64 s[26:27], 0, v3
	v_cndmask_b32_e64 v5, 0, v5, s[26:27]
	v_and_b32_e32 v4, v36, v4
	v_add_u32_e32 v3, v4, v3
	v_and_b32_e32 v4, v36, v5
	v_add_u32_e32 v4, v4, v2
	v_mov_b32_dpp v2, v3 row_bcast:31 row_mask:0xf bank_mask:0xf
	v_cmp_eq_u32_e64 s[26:27], 0, v3
	v_cmp_lt_u32_e64 s[28:29], 31, v7
	v_mov_b32_dpp v5, v4 row_bcast:31 row_mask:0xf bank_mask:0xf
	v_cndmask_b32_e64 v2, 0, v2, s[28:29]
	s_and_b64 s[26:27], s[28:29], s[26:27]
	v_add_u32_e32 v2, v2, v3
	v_cndmask_b32_e64 v3, 0, v5, s[26:27]
	v_add_u32_e32 v3, v3, v4
	v_cmp_eq_u32_e64 s[26:27], v84, v0
	s_and_saveexec_b64 s[28:29], s[26:27]
	s_cbranch_execz .LBB1105_125
; %bb.124:
	v_lshlrev_b32_e32 v4, 3, v83
	ds_write_b64 v4, v[2:3] offset:2064
.LBB1105_125:
	s_or_b64 exec, exec, s[28:29]
	v_cmp_gt_u32_e64 s[26:27], 4, v0
	s_waitcnt lgkmcnt(0)
	s_barrier
	s_and_saveexec_b64 s[30:31], s[26:27]
	s_cbranch_execz .LBB1105_127
; %bb.126:
	v_lshlrev_b32_e32 v36, 3, v0
	ds_read_b64 v[4:5], v36 offset:2064
	v_and_b32_e32 v37, 3, v7
	v_cmp_lt_u32_e64 s[28:29], 1, v37
	s_waitcnt lgkmcnt(0)
	v_mov_b32_dpp v39, v5 row_shr:1 row_mask:0xf bank_mask:0xf
	v_cmp_eq_u32_e64 s[26:27], 0, v4
	v_mov_b32_dpp v38, v4 row_shr:1 row_mask:0xf bank_mask:0xf
	v_cndmask_b32_e64 v39, 0, v39, s[26:27]
	v_cmp_eq_u32_e64 s[26:27], 0, v37
	v_cndmask_b32_e64 v38, v38, 0, s[26:27]
	v_add_u32_e32 v4, v38, v4
	v_cndmask_b32_e64 v38, v39, 0, s[26:27]
	v_add_u32_e32 v5, v38, v5
	v_cmp_eq_u32_e64 s[26:27], 0, v4
	v_mov_b32_dpp v38, v4 row_shr:2 row_mask:0xf bank_mask:0xf
	v_mov_b32_dpp v39, v5 row_shr:2 row_mask:0xf bank_mask:0xf
	v_cndmask_b32_e64 v37, 0, v38, s[28:29]
	s_and_b64 s[26:27], s[28:29], s[26:27]
	v_add_u32_e32 v4, v37, v4
	v_cndmask_b32_e64 v37, 0, v39, s[26:27]
	v_add_u32_e32 v5, v37, v5
	ds_write_b64 v36, v[4:5] offset:2064
.LBB1105_127:
	s_or_b64 exec, exec, s[30:31]
	v_cmp_lt_u32_e64 s[26:27], 63, v0
	v_mov_b32_e32 v36, 0
	v_mov_b32_e32 v4, 0
	s_waitcnt vmcnt(0)
	v_mov_b32_e32 v5, v6
	s_waitcnt lgkmcnt(0)
	s_barrier
	s_and_saveexec_b64 s[28:29], s[26:27]
	s_cbranch_execz .LBB1105_129
; %bb.128:
	v_lshlrev_b32_e32 v4, 3, v83
	ds_read_b64 v[4:5], v4 offset:2056
	s_waitcnt lgkmcnt(0)
	v_cmp_eq_u32_e64 s[26:27], 0, v4
	v_cndmask_b32_e64 v37, 0, v6, s[26:27]
	v_add_u32_e32 v5, v37, v5
.LBB1105_129:
	s_or_b64 exec, exec, s[28:29]
	v_cmp_eq_u32_e64 s[26:27], 0, v2
	v_add_u32_e32 v37, v4, v2
	v_cndmask_b32_e64 v2, 0, v5, s[26:27]
	v_add_u32_e32 v2, v2, v3
	v_add_u32_e32 v3, -1, v7
	v_and_b32_e32 v38, 64, v7
	v_cmp_lt_i32_e64 s[26:27], v3, v38
	v_cndmask_b32_e64 v3, v3, v7, s[26:27]
	v_lshlrev_b32_e32 v3, 2, v3
	ds_bpermute_b32 v2, v3, v2
	ds_bpermute_b32 v37, v3, v37
	v_cmp_eq_u32_e64 s[26:27], 0, v7
	s_waitcnt lgkmcnt(1)
	v_cndmask_b32_e64 v2, v2, v5, s[26:27]
	s_waitcnt lgkmcnt(0)
	v_cndmask_b32_e64 v3, v37, v4, s[26:27]
	v_cndmask_b32_e64 v65, v2, v6, s[0:1]
	v_cmp_eq_u32_e64 s[26:27], 0, v81
	v_cndmask_b32_e64 v2, 0, v65, s[26:27]
	v_add_u32_e32 v63, v2, v34
	v_cndmask_b32_e64 v2, 0, v63, s[2:3]
	v_add_u32_e32 v61, v2, v35
	;; [unrolled: 2-line block ×8, first 2 shown]
	v_cndmask_b32_e64 v64, v3, 0, s[0:1]
	v_cndmask_b32_e64 v2, 0, v49, s[16:17]
	v_add_u32_e32 v62, v64, v81
	v_add_u32_e32 v47, v2, v26
	v_add_u32_e32 v60, v62, v79
	v_cndmask_b32_e64 v2, 0, v47, s[18:19]
	v_add_u32_e32 v58, v60, v78
	v_add_u32_e32 v45, v2, v27
	v_add_u32_e32 v56, v58, v77
	;; [unrolled: 4-line block ×3, first 2 shown]
	v_cndmask_b32_e64 v2, 0, v43, s[22:23]
	v_add_u32_e32 v50, v52, v74
	v_add_u32_e32 v41, v2, v25
	ds_read_b64 v[2:3], v36 offset:2088
	v_add_u32_e32 v48, v50, v73
	v_add_u32_e32 v46, v48, v72
	;; [unrolled: 1-line block ×3, first 2 shown]
	v_cndmask_b32_e64 v4, 0, v41, s[24:25]
	v_add_u32_e32 v42, v44, v70
	v_add_u32_e32 v39, v4, v22
	;; [unrolled: 1-line block ×3, first 2 shown]
	v_cndmask_b32_e32 v4, 0, v39, vcc
	s_waitcnt lgkmcnt(0)
	v_cmp_eq_u32_e32 vcc, 0, v2
	v_add_u32_e32 v38, v40, v68
	v_add_u32_e32 v37, v4, v23
	v_cndmask_b32_e32 v4, 0, v6, vcc
	v_add_u32_e32 v36, v38, v67
	v_add_u32_e32 v80, v4, v3
	s_and_saveexec_b64 s[2:3], s[0:1]
	s_cbranch_execz .LBB1105_131
; %bb.130:
	s_add_u32 s4, s44, 0x400
	v_and_b32_e32 v3, 0xff000000, v80
	v_and_b32_e32 v4, 0xff0000, v80
	s_addc_u32 s5, s45, 0
	v_or_b32_e32 v3, v4, v3
	v_and_b32_e32 v4, 0xff00, v80
	v_and_b32_e32 v6, 0xff, v80
	v_mov_b32_e32 v5, 0
	v_or3_b32 v3, v3, v4, v6
	v_mov_b32_e32 v4, 2
	v_pk_mov_b32 v[6:7], s[4:5], s[4:5] op_sel:[0,1]
	;;#ASMSTART
	global_store_dwordx4 v[6:7], v[2:5] off	
s_waitcnt vmcnt(0)
	;;#ASMEND
.LBB1105_131:
	s_or_b64 exec, exec, s[2:3]
	v_mov_b32_e32 v4, 0
.LBB1105_132:
	s_and_b64 s[2:3], s[34:35], exec
	s_cselect_b32 s3, 0, s59
	s_cselect_b32 s2, 0, s58
	s_cmp_eq_u64 s[2:3], 0
	v_pk_mov_b32 v[6:7], 0, 0
	s_barrier
	s_cbranch_scc1 .LBB1105_134
; %bb.133:
	v_mov_b32_e32 v3, 0
	global_load_dwordx2 v[6:7], v3, s[2:3]
.LBB1105_134:
	s_waitcnt vmcnt(0)
	v_lshlrev_b64 v[22:23], 2, v[6:7]
	v_mov_b32_e32 v3, s43
	v_add_co_u32_e32 v26, vcc, s42, v22
	v_mov_b32_e32 v5, 0
	v_addc_co_u32_e32 v27, vcc, v3, v23, vcc
	v_lshlrev_b64 v[24:25], 2, v[4:5]
	v_add_co_u32_e32 v3, vcc, v26, v24
	v_addc_co_u32_e32 v5, vcc, v27, v25, vcc
	v_cmp_eq_u32_e32 vcc, 0, v81
	v_cndmask_b32_e64 v26, 1, 2, vcc
	v_cmp_eq_u32_e32 vcc, 0, v79
	v_cndmask_b32_e64 v27, 1, 2, vcc
	v_cmp_eq_u32_e32 vcc, 0, v78
	v_and_b32_e32 v26, v27, v26
	v_cndmask_b32_e64 v27, 1, 2, vcc
	v_cmp_eq_u32_e32 vcc, 0, v77
	v_and_b32_e32 v26, v26, v27
	;; [unrolled: 3-line block ×13, first 2 shown]
	v_cndmask_b32_e64 v27, 1, 2, vcc
	s_movk_i32 s34, 0x100
	v_and_b32_e32 v26, v26, v27
	v_cmp_gt_u32_e32 vcc, s34, v2
	v_cmp_ne_u32_e64 s[30:31], 0, v81
	v_cmp_ne_u32_e64 s[28:29], 0, v79
	;; [unrolled: 1-line block ×15, first 2 shown]
	s_mov_b64 s[40:41], -1
	v_cmp_gt_i16_e64 s[34:35], 2, v26
	s_cbranch_vccz .LBB1105_141
; %bb.135:
	s_and_saveexec_b64 s[40:41], s[34:35]
	s_cbranch_execz .LBB1105_140
; %bb.136:
	v_cmp_ne_u16_e32 vcc, 1, v26
	s_mov_b64 s[42:43], 0
	s_and_saveexec_b64 s[34:35], vcc
	s_xor_b64 s[34:35], exec, s[34:35]
	s_cbranch_execnz .LBB1105_197
; %bb.137:
	s_andn2_saveexec_b64 s[34:35], s[34:35]
	s_cbranch_execnz .LBB1105_213
.LBB1105_138:
	s_or_b64 exec, exec, s[34:35]
	s_and_b64 exec, exec, s[42:43]
	s_cbranch_execz .LBB1105_140
.LBB1105_139:
	v_sub_u32_e32 v28, v36, v4
	v_mov_b32_e32 v29, 0
	v_lshlrev_b64 v[28:29], 2, v[28:29]
	v_add_co_u32_e32 v28, vcc, v3, v28
	v_addc_co_u32_e32 v29, vcc, v5, v29, vcc
	global_store_dword v[28:29], v1, off
.LBB1105_140:
	s_or_b64 exec, exec, s[40:41]
	s_mov_b64 s[40:41], 0
.LBB1105_141:
	s_and_b64 vcc, exec, s[40:41]
	s_cbranch_vccz .LBB1105_163
; %bb.142:
	v_cmp_gt_i16_e32 vcc, 2, v26
	s_and_saveexec_b64 s[34:35], vcc
	s_cbranch_execz .LBB1105_147
; %bb.143:
	v_cmp_ne_u16_e32 vcc, 1, v26
	s_mov_b64 s[42:43], 0
	s_and_saveexec_b64 s[40:41], vcc
	s_xor_b64 s[40:41], exec, s[40:41]
	s_cbranch_execnz .LBB1105_214
; %bb.144:
	s_andn2_saveexec_b64 s[2:3], s[40:41]
	s_cbranch_execnz .LBB1105_230
.LBB1105_145:
	s_or_b64 exec, exec, s[2:3]
	s_and_b64 exec, exec, s[42:43]
	s_cbranch_execz .LBB1105_147
.LBB1105_146:
	v_sub_u32_e32 v8, v36, v4
	v_lshlrev_b32_e32 v8, 2, v8
	ds_write_b32 v8, v1
.LBB1105_147:
	s_or_b64 exec, exec, s[34:35]
	v_cmp_lt_u32_e32 vcc, v0, v2
	s_waitcnt lgkmcnt(0)
	s_barrier
	s_and_saveexec_b64 s[4:5], vcc
	s_cbranch_execz .LBB1105_162
; %bb.148:
	v_xad_u32 v1, v0, -1, v2
	s_movk_i32 s2, 0x1700
	v_cmp_gt_u32_e64 s[6:7], s2, v1
	s_movk_i32 s2, 0x16ff
	v_cmp_lt_u32_e32 vcc, s2, v1
	v_mov_b32_e32 v8, v0
	s_and_saveexec_b64 s[8:9], vcc
	s_cbranch_execz .LBB1105_159
; %bb.149:
	v_sub_u32_e32 v8, v0, v2
	v_or_b32_e32 v8, 0xff, v8
	v_cmp_ge_u32_e32 vcc, v8, v0
	s_mov_b64 s[2:3], -1
	v_mov_b32_e32 v8, v0
	s_and_saveexec_b64 s[10:11], vcc
	s_cbranch_execz .LBB1105_158
; %bb.150:
	v_lshrrev_b32_e32 v12, 8, v1
	v_add_u32_e32 v8, -1, v12
	v_or_b32_e32 v1, 0x100, v0
	v_lshrrev_b32_e32 v9, 1, v8
	v_add_u32_e32 v13, 1, v9
	v_cmp_lt_u32_e32 vcc, 13, v8
	v_mov_b32_e32 v16, 0
	v_pk_mov_b32 v[8:9], v[0:1], v[0:1] op_sel:[0,1]
	s_and_saveexec_b64 s[12:13], vcc
	s_cbranch_execz .LBB1105_154
; %bb.151:
	v_and_b32_e32 v14, -8, v13
	v_lshlrev_b32_e32 v15, 2, v0
	s_mov_b32 s16, 0
	s_mov_b64 s[14:15], 0
	v_mov_b32_e32 v11, 0
	v_pk_mov_b32 v[8:9], v[0:1], v[0:1] op_sel:[0,1]
.LBB1105_152:                           ; =>This Inner Loop Header: Depth=1
	v_mov_b32_e32 v10, v8
	v_add_u32_e32 v14, -8, v14
	v_lshlrev_b64 v[96:97], 2, v[10:11]
	v_mov_b32_e32 v10, v9
	ds_read2st64_b32 v[18:19], v15 offset1:4
	s_add_i32 s16, s16, 16
	v_cmp_eq_u32_e32 vcc, 0, v14
	v_lshlrev_b64 v[100:101], 2, v[10:11]
	v_add_u32_e32 v10, 0x200, v8
	s_or_b64 s[14:15], vcc, s[14:15]
	v_add_co_u32_e32 v100, vcc, v3, v100
	v_add_u32_e32 v16, 0x200, v9
	v_mov_b32_e32 v17, v11
	ds_read2st64_b32 v[20:21], v15 offset0:8 offset1:12
	ds_read2st64_b32 v[28:29], v15 offset0:16 offset1:20
	v_add_co_u32_e64 v96, s[2:3], v3, v96
	v_addc_co_u32_e32 v101, vcc, v5, v101, vcc
	v_lshlrev_b64 v[102:103], 2, v[10:11]
	v_lshlrev_b64 v[98:99], 2, v[16:17]
	v_addc_co_u32_e64 v97, s[2:3], v5, v97, s[2:3]
	v_add_u32_e32 v10, 0x400, v8
	v_add_co_u32_e32 v102, vcc, v3, v102
	v_add_u32_e32 v26, 0x400, v9
	v_mov_b32_e32 v27, v11
	ds_read2st64_b32 v[32:33], v15 offset0:24 offset1:28
	v_add_co_u32_e64 v98, s[2:3], v3, v98
	v_addc_co_u32_e32 v103, vcc, v5, v103, vcc
	v_lshlrev_b64 v[104:105], 2, v[10:11]
	ds_read2st64_b32 v[82:83], v15 offset0:32 offset1:36
	ds_read2st64_b32 v[86:87], v15 offset0:40 offset1:44
	;; [unrolled: 1-line block ×4, first 2 shown]
	v_lshlrev_b64 v[26:27], 2, v[26:27]
	v_addc_co_u32_e64 v99, s[2:3], v5, v99, s[2:3]
	v_add_u32_e32 v10, 0x600, v8
	s_waitcnt lgkmcnt(7)
	global_store_dword v[96:97], v18, off
	global_store_dword v[100:101], v19, off
	s_waitcnt lgkmcnt(6)
	global_store_dword v[102:103], v20, off
	global_store_dword v[98:99], v21, off
	v_add_co_u32_e32 v18, vcc, v3, v104
	v_add_u32_e32 v30, 0x600, v9
	v_mov_b32_e32 v31, v11
	v_add_co_u32_e64 v26, s[2:3], v3, v26
	v_addc_co_u32_e32 v19, vcc, v5, v105, vcc
	v_lshlrev_b64 v[20:21], 2, v[10:11]
	v_lshlrev_b64 v[30:31], 2, v[30:31]
	v_addc_co_u32_e64 v27, s[2:3], v5, v27, s[2:3]
	v_add_u32_e32 v10, 0x800, v8
	s_waitcnt lgkmcnt(5)
	global_store_dword v[18:19], v28, off
	global_store_dword v[26:27], v29, off
	v_add_co_u32_e32 v18, vcc, v3, v20
	v_add_u32_e32 v34, 0x800, v9
	v_mov_b32_e32 v35, v11
	v_add_co_u32_e64 v30, s[2:3], v3, v30
	v_addc_co_u32_e32 v19, vcc, v5, v21, vcc
	v_lshlrev_b64 v[20:21], 2, v[10:11]
	v_lshlrev_b64 v[34:35], 2, v[34:35]
	v_addc_co_u32_e64 v31, s[2:3], v5, v31, s[2:3]
	v_add_u32_e32 v10, 0xa00, v8
	;; [unrolled: 12-line block ×4, first 2 shown]
	s_waitcnt lgkmcnt(2)
	global_store_dword v[18:19], v86, off
	global_store_dword v[84:85], v87, off
	v_add_co_u32_e32 v18, vcc, v3, v20
	v_add_u32_e32 v92, 0xe00, v9
	v_mov_b32_e32 v93, v11
	v_add_co_u32_e64 v88, s[2:3], v3, v88
	v_addc_co_u32_e32 v19, vcc, v5, v21, vcc
	v_lshlrev_b64 v[20:21], 2, v[10:11]
	v_lshlrev_b64 v[92:93], 2, v[92:93]
	v_addc_co_u32_e64 v89, s[2:3], v5, v89, s[2:3]
	s_waitcnt lgkmcnt(1)
	global_store_dword v[18:19], v90, off
	global_store_dword v[88:89], v91, off
	v_add_co_u32_e32 v18, vcc, v3, v20
	v_add_u32_e32 v15, 0x4000, v15
	v_add_u32_e32 v9, 0x1000, v9
	v_mov_b32_e32 v16, s16
	v_add_co_u32_e64 v92, s[2:3], v3, v92
	v_add_u32_e32 v8, 0x1000, v8
	v_addc_co_u32_e32 v19, vcc, v5, v21, vcc
	v_addc_co_u32_e64 v93, s[2:3], v5, v93, s[2:3]
	s_waitcnt lgkmcnt(0)
	global_store_dword v[18:19], v94, off
	global_store_dword v[92:93], v95, off
	s_andn2_b64 exec, exec, s[14:15]
	s_cbranch_execnz .LBB1105_152
; %bb.153:
	s_or_b64 exec, exec, s[14:15]
.LBB1105_154:
	s_or_b64 exec, exec, s[12:13]
	v_and_b32_e32 v1, 7, v13
	v_cmp_ne_u32_e32 vcc, 0, v1
	s_and_saveexec_b64 s[12:13], vcc
	s_cbranch_execz .LBB1105_157
; %bb.155:
	v_lshlrev_b32_e32 v10, 2, v0
	v_lshl_or_b32 v13, v16, 10, v10
	s_mov_b64 s[14:15], 0
	v_mov_b32_e32 v11, 0
.LBB1105_156:                           ; =>This Inner Loop Header: Depth=1
	ds_read2st64_b32 v[14:15], v13 offset1:4
	v_mov_b32_e32 v10, v8
	v_add_u32_e32 v1, -1, v1
	v_lshlrev_b64 v[16:17], 2, v[10:11]
	v_mov_b32_e32 v10, v9
	v_cmp_eq_u32_e32 vcc, 0, v1
	v_add_co_u32_e64 v16, s[2:3], v3, v16
	v_lshlrev_b64 v[18:19], 2, v[10:11]
	v_add_u32_e32 v8, 0x200, v8
	v_add_u32_e32 v13, 0x800, v13
	;; [unrolled: 1-line block ×3, first 2 shown]
	v_addc_co_u32_e64 v17, s[2:3], v5, v17, s[2:3]
	s_or_b64 s[14:15], vcc, s[14:15]
	v_add_co_u32_e32 v18, vcc, v3, v18
	v_addc_co_u32_e32 v19, vcc, v5, v19, vcc
	s_waitcnt lgkmcnt(0)
	global_store_dword v[16:17], v14, off
	global_store_dword v[18:19], v15, off
	s_andn2_b64 exec, exec, s[14:15]
	s_cbranch_execnz .LBB1105_156
.LBB1105_157:
	s_or_b64 exec, exec, s[12:13]
	v_add_u32_e32 v1, 1, v12
	v_and_b32_e32 v9, 0x1fffffe, v1
	v_cmp_ne_u32_e32 vcc, v1, v9
	v_lshl_or_b32 v8, v9, 8, v0
	s_orn2_b64 s[2:3], vcc, exec
.LBB1105_158:
	s_or_b64 exec, exec, s[10:11]
	s_andn2_b64 s[6:7], s[6:7], exec
	s_and_b64 s[2:3], s[2:3], exec
	s_or_b64 s[6:7], s[6:7], s[2:3]
.LBB1105_159:
	s_or_b64 exec, exec, s[8:9]
	s_and_b64 exec, exec, s[6:7]
	s_cbranch_execz .LBB1105_162
; %bb.160:
	v_lshlrev_b32_e32 v1, 2, v8
	s_mov_b64 s[2:3], 0
	v_mov_b32_e32 v9, 0
.LBB1105_161:                           ; =>This Inner Loop Header: Depth=1
	v_lshlrev_b64 v[10:11], 2, v[8:9]
	ds_read_b32 v12, v1
	v_add_co_u32_e32 v10, vcc, v3, v10
	v_add_u32_e32 v8, 0x100, v8
	v_addc_co_u32_e32 v11, vcc, v5, v11, vcc
	v_cmp_ge_u32_e32 vcc, v8, v2
	v_add_u32_e32 v1, 0x400, v1
	s_or_b64 s[2:3], vcc, s[2:3]
	s_waitcnt lgkmcnt(0)
	global_store_dword v[10:11], v12, off
	s_andn2_b64 exec, exec, s[2:3]
	s_cbranch_execnz .LBB1105_161
.LBB1105_162:
	s_or_b64 exec, exec, s[4:5]
.LBB1105_163:
	s_cmpk_lg_i32 s33, 0xf00
	s_cselect_b64 s[2:3], -1, 0
	s_and_b64 s[0:1], s[0:1], s[38:39]
	v_cndmask_b32_e64 v5, v81, 0, s[0:1]
	s_mul_hi_u32 s0, s33, 0x88888889
	s_lshr_b32 s0, s0, 3
	v_mad_i32_i24 v9, v0, -15, s33
	v_cmp_eq_u32_e32 vcc, s0, v0
	v_cmp_ne_u32_e64 s[0:1], 0, v9
	v_cndmask_b32_e64 v10, 1, v5, s[0:1]
	v_cmp_ne_u32_e64 s[0:1], 1, v9
	v_cndmask_b32_e64 v11, 1, v79, s[0:1]
	;; [unrolled: 2-line block ×15, first 2 shown]
	s_and_b64 vcc, vcc, s[36:37]
	v_cndmask_b32_e32 v28, v66, v9, vcc
	v_cndmask_b32_e32 v27, v67, v27, vcc
	;; [unrolled: 1-line block ×15, first 2 shown]
	v_mov_b32_e32 v5, s53
	v_add_co_u32_e32 v9, vcc, s52, v22
	v_addc_co_u32_e32 v12, vcc, v5, v23, vcc
	v_cndmask_b32_e64 v1, 0, 1, s[38:39]
	v_add_co_u32_e32 v5, vcc, v9, v24
	v_addc_co_u32_e32 v12, vcc, v12, v25, vcc
	v_lshlrev_b32_e32 v9, 2, v1
	v_add_co_u32_e32 v9, vcc, v9, v5
	v_addc_co_u32_e32 v14, vcc, 0, v12, vcc
	v_add_co_u32_e32 v13, vcc, -4, v9
	v_addc_co_u32_e32 v14, vcc, -1, v14, vcc
	v_cmp_eq_u32_e32 vcc, 0, v10
	v_cmp_ne_u32_e64 s[28:29], 0, v10
	v_cndmask_b32_e64 v10, 1, 2, vcc
	v_cmp_eq_u32_e32 vcc, 0, v11
	v_cmp_ne_u32_e64 s[26:27], 0, v11
	v_cndmask_b32_e64 v11, 1, 2, vcc
	v_cmp_eq_u32_e32 vcc, 0, v31
	v_and_b32_e32 v10, v11, v10
	v_cndmask_b32_e64 v11, 1, 2, vcc
	v_cmp_eq_u32_e32 vcc, 0, v30
	v_and_b32_e32 v10, v10, v11
	;; [unrolled: 3-line block ×10, first 2 shown]
	v_cndmask_b32_e64 v11, 1, 2, vcc
	v_cmp_eq_u32_e32 vcc, 0, v26
	s_and_b64 s[2:3], s[2:3], s[36:37]
	v_and_b32_e32 v10, v10, v11
	v_cndmask_b32_e64 v11, 1, 2, vcc
	v_cmp_eq_u32_e32 vcc, 0, v27
	v_sub_u32_e32 v3, v2, v1
	v_cndmask_b32_e64 v8, 0, 1, s[2:3]
	v_and_b32_e32 v10, v10, v11
	v_cndmask_b32_e64 v11, 1, 2, vcc
	v_cmp_eq_u32_e32 vcc, 0, v28
	v_add_u32_e32 v3, v3, v8
	v_and_b32_e32 v10, v10, v11
	v_cndmask_b32_e64 v11, 1, 2, vcc
	s_movk_i32 s30, 0x100
	v_and_b32_e32 v10, v10, v11
	v_cmp_gt_u32_e32 vcc, s30, v3
	v_add_u32_e32 v9, v4, v1
	v_cmp_ne_u32_e64 s[24:25], 0, v31
	v_cmp_ne_u32_e64 s[22:23], 0, v30
	;; [unrolled: 1-line block ×13, first 2 shown]
	s_mov_b64 s[34:35], -1
	v_cmp_gt_i16_e64 s[30:31], 2, v10
	s_barrier
	s_cbranch_vccz .LBB1105_170
; %bb.164:
	s_and_saveexec_b64 s[34:35], s[30:31]
	s_cbranch_execz .LBB1105_169
; %bb.165:
	v_cmp_ne_u16_e32 vcc, 1, v10
	s_mov_b64 s[38:39], 0
	s_and_saveexec_b64 s[30:31], vcc
	s_xor_b64 s[30:31], exec, s[30:31]
	s_cbranch_execnz .LBB1105_231
; %bb.166:
	s_andn2_saveexec_b64 s[30:31], s[30:31]
	s_cbranch_execnz .LBB1105_247
.LBB1105_167:
	s_or_b64 exec, exec, s[30:31]
	s_and_b64 exec, exec, s[38:39]
	s_cbranch_execz .LBB1105_169
.LBB1105_168:
	v_sub_u32_e32 v16, v36, v9
	v_mov_b32_e32 v17, 0
	v_lshlrev_b64 v[16:17], 2, v[16:17]
	v_add_co_u32_e32 v16, vcc, v13, v16
	v_addc_co_u32_e32 v17, vcc, v14, v17, vcc
	global_store_dword v[16:17], v37, off
.LBB1105_169:
	s_or_b64 exec, exec, s[34:35]
	s_mov_b64 s[34:35], 0
.LBB1105_170:
	s_and_b64 vcc, exec, s[34:35]
	s_cbranch_vccz .LBB1105_192
; %bb.171:
	v_cmp_gt_i16_e32 vcc, 2, v10
	s_and_saveexec_b64 s[30:31], vcc
	s_cbranch_execz .LBB1105_176
; %bb.172:
	v_cmp_ne_u16_e32 vcc, 1, v10
	s_mov_b64 s[38:39], 0
	s_and_saveexec_b64 s[34:35], vcc
	s_xor_b64 s[34:35], exec, s[34:35]
	s_cbranch_execnz .LBB1105_248
; %bb.173:
	s_andn2_saveexec_b64 s[0:1], s[34:35]
	s_cbranch_execnz .LBB1105_264
.LBB1105_174:
	s_or_b64 exec, exec, s[0:1]
	s_and_b64 exec, exec, s[38:39]
	s_cbranch_execz .LBB1105_176
.LBB1105_175:
	v_sub_u32_e32 v9, v36, v9
	v_lshlrev_b32_e32 v9, 2, v9
	ds_write_b32 v9, v37
.LBB1105_176:
	s_or_b64 exec, exec, s[30:31]
	v_cmp_lt_u32_e32 vcc, v0, v3
	s_waitcnt lgkmcnt(0)
	s_barrier
	s_and_saveexec_b64 s[2:3], vcc
	s_cbranch_execz .LBB1105_191
; %bb.177:
	v_add_u32_e32 v10, v2, v8
	v_xad_u32 v8, v0, -1, v10
	v_sub_u32_e32 v9, v8, v1
	s_movk_i32 s0, 0x1900
	v_cmp_gt_u32_e64 s[4:5], s0, v9
	s_movk_i32 s0, 0x18ff
	v_cmp_lt_u32_e32 vcc, s0, v9
	v_mov_b32_e32 v8, v0
	s_and_saveexec_b64 s[6:7], vcc
	s_cbranch_execz .LBB1105_188
; %bb.178:
	v_sub_u32_e32 v8, v0, v10
	v_add_u32_e32 v1, v8, v1
	v_or_b32_e32 v1, 0xff, v1
	v_cmp_ge_u32_e32 vcc, v1, v0
	s_mov_b64 s[0:1], -1
	v_mov_b32_e32 v8, v0
	s_and_saveexec_b64 s[8:9], vcc
	s_cbranch_execz .LBB1105_187
; %bb.179:
	v_lshrrev_b32_e32 v15, 8, v9
	v_add_u32_e32 v8, -1, v15
	v_or_b32_e32 v1, 0x100, v0
	v_lshrrev_b32_e32 v9, 1, v8
	v_add_u32_e32 v17, 1, v9
	v_cmp_lt_u32_e32 vcc, 13, v8
	v_mov_b32_e32 v20, 0
	v_lshlrev_b32_e32 v16, 2, v0
	v_pk_mov_b32 v[8:9], v[0:1], v[0:1] op_sel:[0,1]
	s_and_saveexec_b64 s[10:11], vcc
	s_cbranch_execz .LBB1105_183
; %bb.180:
	v_and_b32_e32 v18, -8, v17
	s_mov_b32 s14, 0
	s_mov_b64 s[12:13], 0
	v_mov_b32_e32 v11, 0
	v_mov_b32_e32 v19, v16
	v_pk_mov_b32 v[8:9], v[0:1], v[0:1] op_sel:[0,1]
.LBB1105_181:                           ; =>This Inner Loop Header: Depth=1
	v_mov_b32_e32 v10, v8
	v_add_u32_e32 v18, -8, v18
	v_lshlrev_b64 v[50:51], 2, v[10:11]
	v_mov_b32_e32 v10, v9
	ds_read2st64_b32 v[22:23], v19 offset1:4
	s_add_i32 s14, s14, 16
	v_cmp_eq_u32_e32 vcc, 0, v18
	v_lshlrev_b64 v[54:55], 2, v[10:11]
	v_add_u32_e32 v10, 0x200, v8
	s_or_b64 s[12:13], vcc, s[12:13]
	v_add_co_u32_e32 v54, vcc, v13, v54
	v_add_u32_e32 v20, 0x200, v9
	v_mov_b32_e32 v21, v11
	ds_read2st64_b32 v[24:25], v19 offset0:8 offset1:12
	ds_read2st64_b32 v[28:29], v19 offset0:16 offset1:20
	v_add_co_u32_e64 v50, s[0:1], v13, v50
	v_addc_co_u32_e32 v55, vcc, v14, v55, vcc
	v_lshlrev_b64 v[56:57], 2, v[10:11]
	v_lshlrev_b64 v[52:53], 2, v[20:21]
	v_addc_co_u32_e64 v51, s[0:1], v14, v51, s[0:1]
	v_add_u32_e32 v10, 0x400, v8
	v_add_co_u32_e32 v56, vcc, v13, v56
	v_add_u32_e32 v26, 0x400, v9
	v_mov_b32_e32 v27, v11
	ds_read2st64_b32 v[32:33], v19 offset0:24 offset1:28
	v_add_co_u32_e64 v52, s[0:1], v13, v52
	v_addc_co_u32_e32 v57, vcc, v14, v57, vcc
	v_lshlrev_b64 v[58:59], 2, v[10:11]
	ds_read2st64_b32 v[36:37], v19 offset0:32 offset1:36
	ds_read2st64_b32 v[40:41], v19 offset0:40 offset1:44
	;; [unrolled: 1-line block ×4, first 2 shown]
	v_lshlrev_b64 v[26:27], 2, v[26:27]
	v_addc_co_u32_e64 v53, s[0:1], v14, v53, s[0:1]
	v_add_u32_e32 v10, 0x600, v8
	s_waitcnt lgkmcnt(7)
	global_store_dword v[50:51], v22, off
	global_store_dword v[54:55], v23, off
	s_waitcnt lgkmcnt(6)
	global_store_dword v[56:57], v24, off
	global_store_dword v[52:53], v25, off
	v_add_co_u32_e32 v22, vcc, v13, v58
	v_add_u32_e32 v30, 0x600, v9
	v_mov_b32_e32 v31, v11
	v_add_co_u32_e64 v26, s[0:1], v13, v26
	v_addc_co_u32_e32 v23, vcc, v14, v59, vcc
	v_lshlrev_b64 v[24:25], 2, v[10:11]
	v_lshlrev_b64 v[30:31], 2, v[30:31]
	v_addc_co_u32_e64 v27, s[0:1], v14, v27, s[0:1]
	v_add_u32_e32 v10, 0x800, v8
	s_waitcnt lgkmcnt(5)
	global_store_dword v[22:23], v28, off
	global_store_dword v[26:27], v29, off
	v_add_co_u32_e32 v22, vcc, v13, v24
	v_add_u32_e32 v34, 0x800, v9
	v_mov_b32_e32 v35, v11
	v_add_co_u32_e64 v30, s[0:1], v13, v30
	v_addc_co_u32_e32 v23, vcc, v14, v25, vcc
	v_lshlrev_b64 v[24:25], 2, v[10:11]
	v_lshlrev_b64 v[34:35], 2, v[34:35]
	v_addc_co_u32_e64 v31, s[0:1], v14, v31, s[0:1]
	v_add_u32_e32 v10, 0xa00, v8
	s_waitcnt lgkmcnt(4)
	global_store_dword v[22:23], v32, off
	global_store_dword v[30:31], v33, off
	v_add_co_u32_e32 v22, vcc, v13, v24
	v_add_u32_e32 v38, 0xa00, v9
	v_mov_b32_e32 v39, v11
	v_add_co_u32_e64 v34, s[0:1], v13, v34
	v_addc_co_u32_e32 v23, vcc, v14, v25, vcc
	v_lshlrev_b64 v[24:25], 2, v[10:11]
	v_lshlrev_b64 v[38:39], 2, v[38:39]
	v_addc_co_u32_e64 v35, s[0:1], v14, v35, s[0:1]
	v_add_u32_e32 v10, 0xc00, v8
	s_waitcnt lgkmcnt(3)
	global_store_dword v[22:23], v36, off
	global_store_dword v[34:35], v37, off
	v_add_co_u32_e32 v22, vcc, v13, v24
	v_add_u32_e32 v42, 0xc00, v9
	v_mov_b32_e32 v43, v11
	v_add_co_u32_e64 v38, s[0:1], v13, v38
	v_addc_co_u32_e32 v23, vcc, v14, v25, vcc
	v_lshlrev_b64 v[24:25], 2, v[10:11]
	v_lshlrev_b64 v[42:43], 2, v[42:43]
	v_addc_co_u32_e64 v39, s[0:1], v14, v39, s[0:1]
	v_add_u32_e32 v10, 0xe00, v8
	s_waitcnt lgkmcnt(2)
	global_store_dword v[22:23], v40, off
	global_store_dword v[38:39], v41, off
	v_add_co_u32_e32 v22, vcc, v13, v24
	v_add_u32_e32 v46, 0xe00, v9
	v_mov_b32_e32 v47, v11
	v_add_co_u32_e64 v42, s[0:1], v13, v42
	v_addc_co_u32_e32 v23, vcc, v14, v25, vcc
	v_lshlrev_b64 v[24:25], 2, v[10:11]
	v_lshlrev_b64 v[46:47], 2, v[46:47]
	v_addc_co_u32_e64 v43, s[0:1], v14, v43, s[0:1]
	s_waitcnt lgkmcnt(1)
	global_store_dword v[22:23], v44, off
	global_store_dword v[42:43], v45, off
	v_add_co_u32_e32 v22, vcc, v13, v24
	v_add_u32_e32 v19, 0x4000, v19
	v_add_u32_e32 v9, 0x1000, v9
	v_mov_b32_e32 v20, s14
	v_add_co_u32_e64 v46, s[0:1], v13, v46
	v_add_u32_e32 v8, 0x1000, v8
	v_addc_co_u32_e32 v23, vcc, v14, v25, vcc
	v_addc_co_u32_e64 v47, s[0:1], v14, v47, s[0:1]
	s_waitcnt lgkmcnt(0)
	global_store_dword v[22:23], v48, off
	global_store_dword v[46:47], v49, off
	s_andn2_b64 exec, exec, s[12:13]
	s_cbranch_execnz .LBB1105_181
; %bb.182:
	s_or_b64 exec, exec, s[12:13]
.LBB1105_183:
	s_or_b64 exec, exec, s[10:11]
	v_and_b32_e32 v1, 7, v17
	v_cmp_ne_u32_e32 vcc, 0, v1
	s_and_saveexec_b64 s[10:11], vcc
	s_cbranch_execz .LBB1105_186
; %bb.184:
	v_lshl_or_b32 v16, v20, 10, v16
	s_mov_b64 s[12:13], 0
	v_mov_b32_e32 v11, 0
.LBB1105_185:                           ; =>This Inner Loop Header: Depth=1
	ds_read2st64_b32 v[18:19], v16 offset1:4
	v_mov_b32_e32 v10, v8
	v_add_u32_e32 v1, -1, v1
	v_lshlrev_b64 v[20:21], 2, v[10:11]
	v_mov_b32_e32 v10, v9
	v_cmp_eq_u32_e32 vcc, 0, v1
	v_add_co_u32_e64 v20, s[0:1], v13, v20
	v_lshlrev_b64 v[22:23], 2, v[10:11]
	v_add_u32_e32 v8, 0x200, v8
	v_add_u32_e32 v16, 0x800, v16
	;; [unrolled: 1-line block ×3, first 2 shown]
	v_addc_co_u32_e64 v21, s[0:1], v14, v21, s[0:1]
	s_or_b64 s[12:13], vcc, s[12:13]
	v_add_co_u32_e32 v22, vcc, v13, v22
	v_addc_co_u32_e32 v23, vcc, v14, v23, vcc
	s_waitcnt lgkmcnt(0)
	global_store_dword v[20:21], v18, off
	global_store_dword v[22:23], v19, off
	s_andn2_b64 exec, exec, s[12:13]
	s_cbranch_execnz .LBB1105_185
.LBB1105_186:
	s_or_b64 exec, exec, s[10:11]
	v_add_u32_e32 v1, 1, v15
	v_and_b32_e32 v9, 0x1fffffe, v1
	v_cmp_ne_u32_e32 vcc, v1, v9
	v_lshl_or_b32 v8, v9, 8, v0
	s_orn2_b64 s[0:1], vcc, exec
.LBB1105_187:
	s_or_b64 exec, exec, s[8:9]
	s_andn2_b64 s[4:5], s[4:5], exec
	s_and_b64 s[0:1], s[0:1], exec
	s_or_b64 s[4:5], s[4:5], s[0:1]
.LBB1105_188:
	s_or_b64 exec, exec, s[6:7]
	s_and_b64 exec, exec, s[4:5]
	s_cbranch_execz .LBB1105_191
; %bb.189:
	v_lshlrev_b32_e32 v1, 2, v8
	s_mov_b64 s[0:1], 0
	v_mov_b32_e32 v9, 0
.LBB1105_190:                           ; =>This Inner Loop Header: Depth=1
	v_lshlrev_b64 v[10:11], 2, v[8:9]
	ds_read_b32 v15, v1
	v_add_co_u32_e32 v10, vcc, v13, v10
	v_add_u32_e32 v8, 0x100, v8
	v_addc_co_u32_e32 v11, vcc, v14, v11, vcc
	v_cmp_ge_u32_e32 vcc, v8, v3
	v_add_u32_e32 v1, 0x400, v1
	s_or_b64 s[0:1], vcc, s[0:1]
	s_waitcnt lgkmcnt(0)
	global_store_dword v[10:11], v15, off
	s_andn2_b64 exec, exec, s[0:1]
	s_cbranch_execnz .LBB1105_190
.LBB1105_191:
	s_or_b64 exec, exec, s[2:3]
.LBB1105_192:
	s_movk_i32 s0, 0xff
	v_cmp_eq_u32_e32 vcc, s0, v0
	s_and_b64 s[0:1], vcc, s[36:37]
	s_and_saveexec_b64 s[2:3], s[0:1]
	s_cbranch_execz .LBB1105_195
; %bb.193:
	v_add_co_u32_e32 v0, vcc, v2, v4
	v_addc_co_u32_e64 v1, s[0:1], 0, 0, vcc
	v_add_co_u32_e32 v0, vcc, v0, v6
	v_mov_b32_e32 v3, 0
	v_addc_co_u32_e32 v1, vcc, v1, v7, vcc
	s_cmpk_lg_i32 s33, 0xf00
	global_store_dwordx2 v3, v[0:1], s[54:55]
	s_cbranch_scc1 .LBB1105_195
; %bb.194:
	v_lshlrev_b64 v[0:1], 2, v[2:3]
	v_add_co_u32_e32 v0, vcc, v5, v0
	v_addc_co_u32_e32 v1, vcc, v12, v1, vcc
	global_store_dword v[0:1], v80, off offset:-4
.LBB1105_195:
	s_endpgm
.LBB1105_196:
	s_or_b64 exec, exec, s[8:9]
	v_mov_b32_e32 v81, s12
	s_and_saveexec_b64 s[2:3], s[6:7]
	s_cbranch_execnz .LBB1105_88
	s_branch .LBB1105_89
.LBB1105_197:
	s_and_saveexec_b64 s[42:43], s[30:31]
	s_cbranch_execnz .LBB1105_265
; %bb.198:
	s_or_b64 exec, exec, s[42:43]
	s_and_saveexec_b64 s[42:43], s[28:29]
	s_cbranch_execnz .LBB1105_266
.LBB1105_199:
	s_or_b64 exec, exec, s[42:43]
	s_and_saveexec_b64 s[42:43], s[26:27]
	s_cbranch_execnz .LBB1105_267
.LBB1105_200:
	s_or_b64 exec, exec, s[42:43]
	s_and_saveexec_b64 s[42:43], s[24:25]
	s_cbranch_execnz .LBB1105_268
.LBB1105_201:
	s_or_b64 exec, exec, s[42:43]
	s_and_saveexec_b64 s[42:43], s[22:23]
	s_cbranch_execnz .LBB1105_269
.LBB1105_202:
	s_or_b64 exec, exec, s[42:43]
	s_and_saveexec_b64 s[42:43], s[20:21]
	s_cbranch_execnz .LBB1105_270
.LBB1105_203:
	s_or_b64 exec, exec, s[42:43]
	s_and_saveexec_b64 s[42:43], s[18:19]
	s_cbranch_execnz .LBB1105_271
.LBB1105_204:
	s_or_b64 exec, exec, s[42:43]
	s_and_saveexec_b64 s[42:43], s[16:17]
	s_cbranch_execnz .LBB1105_272
.LBB1105_205:
	s_or_b64 exec, exec, s[42:43]
	s_and_saveexec_b64 s[42:43], s[14:15]
	s_cbranch_execnz .LBB1105_273
.LBB1105_206:
	s_or_b64 exec, exec, s[42:43]
	s_and_saveexec_b64 s[42:43], s[12:13]
	s_cbranch_execnz .LBB1105_274
.LBB1105_207:
	s_or_b64 exec, exec, s[42:43]
	s_and_saveexec_b64 s[42:43], s[10:11]
	s_cbranch_execnz .LBB1105_275
.LBB1105_208:
	s_or_b64 exec, exec, s[42:43]
	s_and_saveexec_b64 s[42:43], s[8:9]
	s_cbranch_execnz .LBB1105_276
.LBB1105_209:
	s_or_b64 exec, exec, s[42:43]
	s_and_saveexec_b64 s[42:43], s[6:7]
	s_cbranch_execnz .LBB1105_277
.LBB1105_210:
	s_or_b64 exec, exec, s[42:43]
	s_and_saveexec_b64 s[42:43], s[4:5]
	s_cbranch_execz .LBB1105_212
.LBB1105_211:
	v_sub_u32_e32 v28, v38, v4
	v_mov_b32_e32 v29, 0
	v_lshlrev_b64 v[28:29], 2, v[28:29]
	v_add_co_u32_e32 v28, vcc, v3, v28
	v_addc_co_u32_e32 v29, vcc, v5, v29, vcc
	global_store_dword v[28:29], v9, off
.LBB1105_212:
	s_or_b64 exec, exec, s[42:43]
	s_and_b64 s[42:43], s[2:3], exec
	s_andn2_saveexec_b64 s[34:35], s[34:35]
	s_cbranch_execz .LBB1105_138
.LBB1105_213:
	v_sub_u32_e32 v28, v64, v4
	v_mov_b32_e32 v29, 0
	v_lshlrev_b64 v[30:31], 2, v[28:29]
	v_add_co_u32_e32 v30, vcc, v3, v30
	v_addc_co_u32_e32 v31, vcc, v5, v31, vcc
	v_sub_u32_e32 v28, v62, v4
	global_store_dword v[30:31], v20, off
	v_lshlrev_b64 v[30:31], 2, v[28:29]
	v_add_co_u32_e32 v30, vcc, v3, v30
	v_addc_co_u32_e32 v31, vcc, v5, v31, vcc
	v_sub_u32_e32 v28, v60, v4
	global_store_dword v[30:31], v21, off
	;; [unrolled: 5-line block ×12, first 2 shown]
	v_lshlrev_b64 v[30:31], 2, v[28:29]
	v_add_co_u32_e32 v30, vcc, v3, v30
	v_sub_u32_e32 v28, v38, v4
	v_addc_co_u32_e32 v31, vcc, v5, v31, vcc
	v_lshlrev_b64 v[28:29], 2, v[28:29]
	v_add_co_u32_e32 v28, vcc, v3, v28
	v_addc_co_u32_e32 v29, vcc, v5, v29, vcc
	s_or_b64 s[42:43], s[42:43], exec
	global_store_dword v[30:31], v8, off
	global_store_dword v[28:29], v9, off
	s_or_b64 exec, exec, s[34:35]
	s_and_b64 exec, exec, s[42:43]
	s_cbranch_execnz .LBB1105_139
	s_branch .LBB1105_140
.LBB1105_214:
	s_and_saveexec_b64 s[42:43], s[30:31]
	s_cbranch_execnz .LBB1105_278
; %bb.215:
	s_or_b64 exec, exec, s[42:43]
	s_and_saveexec_b64 s[30:31], s[28:29]
	s_cbranch_execnz .LBB1105_279
.LBB1105_216:
	s_or_b64 exec, exec, s[30:31]
	s_and_saveexec_b64 s[28:29], s[26:27]
	s_cbranch_execnz .LBB1105_280
.LBB1105_217:
	s_or_b64 exec, exec, s[28:29]
	s_and_saveexec_b64 s[26:27], s[24:25]
	s_cbranch_execnz .LBB1105_281
.LBB1105_218:
	s_or_b64 exec, exec, s[26:27]
	s_and_saveexec_b64 s[24:25], s[22:23]
	s_cbranch_execnz .LBB1105_282
.LBB1105_219:
	s_or_b64 exec, exec, s[24:25]
	s_and_saveexec_b64 s[22:23], s[20:21]
	s_cbranch_execnz .LBB1105_283
.LBB1105_220:
	s_or_b64 exec, exec, s[22:23]
	s_and_saveexec_b64 s[20:21], s[18:19]
	s_cbranch_execnz .LBB1105_284
.LBB1105_221:
	s_or_b64 exec, exec, s[20:21]
	s_and_saveexec_b64 s[18:19], s[16:17]
	s_cbranch_execnz .LBB1105_285
.LBB1105_222:
	s_or_b64 exec, exec, s[18:19]
	s_and_saveexec_b64 s[16:17], s[14:15]
	s_cbranch_execnz .LBB1105_286
.LBB1105_223:
	s_or_b64 exec, exec, s[16:17]
	s_and_saveexec_b64 s[14:15], s[12:13]
	s_cbranch_execnz .LBB1105_287
.LBB1105_224:
	s_or_b64 exec, exec, s[14:15]
	s_and_saveexec_b64 s[12:13], s[10:11]
	s_cbranch_execnz .LBB1105_288
.LBB1105_225:
	s_or_b64 exec, exec, s[12:13]
	s_and_saveexec_b64 s[10:11], s[8:9]
	s_cbranch_execnz .LBB1105_289
.LBB1105_226:
	s_or_b64 exec, exec, s[10:11]
	s_and_saveexec_b64 s[8:9], s[6:7]
	s_cbranch_execnz .LBB1105_290
.LBB1105_227:
	s_or_b64 exec, exec, s[8:9]
	s_and_saveexec_b64 s[6:7], s[4:5]
	s_cbranch_execz .LBB1105_229
.LBB1105_228:
	v_sub_u32_e32 v8, v38, v4
	v_lshlrev_b32_e32 v8, 2, v8
	ds_write_b32 v8, v9
.LBB1105_229:
	s_or_b64 exec, exec, s[6:7]
	s_and_b64 s[42:43], s[2:3], exec
                                        ; implicit-def: $vgpr8
                                        ; implicit-def: $vgpr10
                                        ; implicit-def: $vgpr12
                                        ; implicit-def: $vgpr14
                                        ; implicit-def: $vgpr16
                                        ; implicit-def: $vgpr18
                                        ; implicit-def: $vgpr20
	s_andn2_saveexec_b64 s[2:3], s[40:41]
	s_cbranch_execz .LBB1105_145
.LBB1105_230:
	v_sub_u32_e32 v26, v64, v4
	v_lshlrev_b32_e32 v26, 2, v26
	ds_write_b32 v26, v20
	v_sub_u32_e32 v20, v62, v4
	v_lshlrev_b32_e32 v20, 2, v20
	ds_write_b32 v20, v21
	;; [unrolled: 3-line block ×13, first 2 shown]
	v_sub_u32_e32 v8, v38, v4
	v_lshlrev_b32_e32 v8, 2, v8
	s_or_b64 s[42:43], s[42:43], exec
	ds_write_b32 v8, v9
	s_or_b64 exec, exec, s[2:3]
	s_and_b64 exec, exec, s[42:43]
	s_cbranch_execnz .LBB1105_146
	s_branch .LBB1105_147
.LBB1105_231:
	s_and_saveexec_b64 s[38:39], s[28:29]
	s_cbranch_execnz .LBB1105_291
; %bb.232:
	s_or_b64 exec, exec, s[38:39]
	s_and_saveexec_b64 s[38:39], s[26:27]
	s_cbranch_execnz .LBB1105_292
.LBB1105_233:
	s_or_b64 exec, exec, s[38:39]
	s_and_saveexec_b64 s[38:39], s[24:25]
	s_cbranch_execnz .LBB1105_293
.LBB1105_234:
	s_or_b64 exec, exec, s[38:39]
	s_and_saveexec_b64 s[38:39], s[22:23]
	s_cbranch_execnz .LBB1105_294
.LBB1105_235:
	s_or_b64 exec, exec, s[38:39]
	s_and_saveexec_b64 s[38:39], s[20:21]
	s_cbranch_execnz .LBB1105_295
.LBB1105_236:
	s_or_b64 exec, exec, s[38:39]
	s_and_saveexec_b64 s[38:39], s[18:19]
	s_cbranch_execnz .LBB1105_296
.LBB1105_237:
	s_or_b64 exec, exec, s[38:39]
	s_and_saveexec_b64 s[38:39], s[16:17]
	s_cbranch_execnz .LBB1105_297
.LBB1105_238:
	s_or_b64 exec, exec, s[38:39]
	s_and_saveexec_b64 s[38:39], s[14:15]
	s_cbranch_execnz .LBB1105_298
.LBB1105_239:
	s_or_b64 exec, exec, s[38:39]
	s_and_saveexec_b64 s[38:39], s[12:13]
	s_cbranch_execnz .LBB1105_299
.LBB1105_240:
	s_or_b64 exec, exec, s[38:39]
	s_and_saveexec_b64 s[38:39], s[10:11]
	s_cbranch_execnz .LBB1105_300
.LBB1105_241:
	s_or_b64 exec, exec, s[38:39]
	s_and_saveexec_b64 s[38:39], s[8:9]
	s_cbranch_execnz .LBB1105_301
.LBB1105_242:
	s_or_b64 exec, exec, s[38:39]
	s_and_saveexec_b64 s[38:39], s[6:7]
	s_cbranch_execnz .LBB1105_302
.LBB1105_243:
	s_or_b64 exec, exec, s[38:39]
	s_and_saveexec_b64 s[38:39], s[4:5]
	s_cbranch_execnz .LBB1105_303
.LBB1105_244:
	s_or_b64 exec, exec, s[38:39]
	s_and_saveexec_b64 s[38:39], s[2:3]
	s_cbranch_execz .LBB1105_246
.LBB1105_245:
	v_sub_u32_e32 v16, v38, v9
	v_mov_b32_e32 v17, 0
	v_lshlrev_b64 v[16:17], 2, v[16:17]
	v_add_co_u32_e32 v16, vcc, v13, v16
	v_addc_co_u32_e32 v17, vcc, v14, v17, vcc
	global_store_dword v[16:17], v39, off
.LBB1105_246:
	s_or_b64 exec, exec, s[38:39]
	s_and_b64 s[38:39], s[0:1], exec
	s_andn2_saveexec_b64 s[30:31], s[30:31]
	s_cbranch_execz .LBB1105_167
.LBB1105_247:
	v_sub_u32_e32 v16, v64, v9
	v_mov_b32_e32 v17, 0
	v_lshlrev_b64 v[18:19], 2, v[16:17]
	v_add_co_u32_e32 v18, vcc, v13, v18
	v_addc_co_u32_e32 v19, vcc, v14, v19, vcc
	v_sub_u32_e32 v16, v62, v9
	global_store_dword v[18:19], v65, off
	v_lshlrev_b64 v[18:19], 2, v[16:17]
	v_add_co_u32_e32 v18, vcc, v13, v18
	v_addc_co_u32_e32 v19, vcc, v14, v19, vcc
	v_sub_u32_e32 v16, v60, v9
	global_store_dword v[18:19], v63, off
	;; [unrolled: 5-line block ×12, first 2 shown]
	v_lshlrev_b64 v[18:19], 2, v[16:17]
	v_add_co_u32_e32 v18, vcc, v13, v18
	v_sub_u32_e32 v16, v38, v9
	v_addc_co_u32_e32 v19, vcc, v14, v19, vcc
	v_lshlrev_b64 v[16:17], 2, v[16:17]
	v_add_co_u32_e32 v16, vcc, v13, v16
	v_addc_co_u32_e32 v17, vcc, v14, v17, vcc
	s_or_b64 s[38:39], s[38:39], exec
	global_store_dword v[18:19], v41, off
	global_store_dword v[16:17], v39, off
	s_or_b64 exec, exec, s[30:31]
	s_and_b64 exec, exec, s[38:39]
	s_cbranch_execnz .LBB1105_168
	s_branch .LBB1105_169
.LBB1105_248:
	s_and_saveexec_b64 s[38:39], s[28:29]
	s_cbranch_execnz .LBB1105_304
; %bb.249:
	s_or_b64 exec, exec, s[38:39]
	s_and_saveexec_b64 s[28:29], s[26:27]
	s_cbranch_execnz .LBB1105_305
.LBB1105_250:
	s_or_b64 exec, exec, s[28:29]
	s_and_saveexec_b64 s[26:27], s[24:25]
	s_cbranch_execnz .LBB1105_306
.LBB1105_251:
	s_or_b64 exec, exec, s[26:27]
	s_and_saveexec_b64 s[24:25], s[22:23]
	s_cbranch_execnz .LBB1105_307
.LBB1105_252:
	s_or_b64 exec, exec, s[24:25]
	s_and_saveexec_b64 s[22:23], s[20:21]
	s_cbranch_execnz .LBB1105_308
.LBB1105_253:
	s_or_b64 exec, exec, s[22:23]
	s_and_saveexec_b64 s[20:21], s[18:19]
	s_cbranch_execnz .LBB1105_309
.LBB1105_254:
	s_or_b64 exec, exec, s[20:21]
	s_and_saveexec_b64 s[18:19], s[16:17]
	s_cbranch_execnz .LBB1105_310
.LBB1105_255:
	s_or_b64 exec, exec, s[18:19]
	s_and_saveexec_b64 s[16:17], s[14:15]
	s_cbranch_execnz .LBB1105_311
.LBB1105_256:
	s_or_b64 exec, exec, s[16:17]
	s_and_saveexec_b64 s[14:15], s[12:13]
	s_cbranch_execnz .LBB1105_312
.LBB1105_257:
	s_or_b64 exec, exec, s[14:15]
	s_and_saveexec_b64 s[12:13], s[10:11]
	s_cbranch_execnz .LBB1105_313
.LBB1105_258:
	s_or_b64 exec, exec, s[12:13]
	s_and_saveexec_b64 s[10:11], s[8:9]
	s_cbranch_execnz .LBB1105_314
.LBB1105_259:
	s_or_b64 exec, exec, s[10:11]
	s_and_saveexec_b64 s[8:9], s[6:7]
	s_cbranch_execnz .LBB1105_315
.LBB1105_260:
	s_or_b64 exec, exec, s[8:9]
	s_and_saveexec_b64 s[6:7], s[4:5]
	s_cbranch_execnz .LBB1105_316
.LBB1105_261:
	s_or_b64 exec, exec, s[6:7]
	s_and_saveexec_b64 s[4:5], s[2:3]
	s_cbranch_execz .LBB1105_263
.LBB1105_262:
	v_sub_u32_e32 v10, v38, v9
	v_lshlrev_b32_e32 v10, 2, v10
	ds_write_b32 v10, v39
.LBB1105_263:
	s_or_b64 exec, exec, s[4:5]
	s_and_b64 s[38:39], s[0:1], exec
                                        ; implicit-def: $vgpr64_vgpr65
                                        ; implicit-def: $vgpr62_vgpr63
                                        ; implicit-def: $vgpr60_vgpr61
                                        ; implicit-def: $vgpr58_vgpr59
                                        ; implicit-def: $vgpr56_vgpr57
                                        ; implicit-def: $vgpr54_vgpr55
                                        ; implicit-def: $vgpr52_vgpr53
                                        ; implicit-def: $vgpr50_vgpr51
                                        ; implicit-def: $vgpr48_vgpr49
                                        ; implicit-def: $vgpr46_vgpr47
                                        ; implicit-def: $vgpr44_vgpr45
                                        ; implicit-def: $vgpr42_vgpr43
                                        ; implicit-def: $vgpr40_vgpr41
                                        ; implicit-def: $vgpr38_vgpr39
	s_andn2_saveexec_b64 s[0:1], s[34:35]
	s_cbranch_execz .LBB1105_174
.LBB1105_264:
	v_sub_u32_e32 v10, v64, v9
	v_lshlrev_b32_e32 v10, 2, v10
	ds_write_b32 v10, v65
	v_sub_u32_e32 v10, v62, v9
	v_lshlrev_b32_e32 v10, 2, v10
	ds_write_b32 v10, v63
	;; [unrolled: 3-line block ×13, first 2 shown]
	v_sub_u32_e32 v10, v38, v9
	v_lshlrev_b32_e32 v10, 2, v10
	s_or_b64 s[38:39], s[38:39], exec
	ds_write_b32 v10, v39
	s_or_b64 exec, exec, s[0:1]
	s_and_b64 exec, exec, s[38:39]
	s_cbranch_execnz .LBB1105_175
	s_branch .LBB1105_176
.LBB1105_265:
	v_sub_u32_e32 v28, v64, v4
	v_mov_b32_e32 v29, 0
	v_lshlrev_b64 v[28:29], 2, v[28:29]
	v_add_co_u32_e32 v28, vcc, v3, v28
	v_addc_co_u32_e32 v29, vcc, v5, v29, vcc
	global_store_dword v[28:29], v20, off
	s_or_b64 exec, exec, s[42:43]
	s_and_saveexec_b64 s[42:43], s[28:29]
	s_cbranch_execz .LBB1105_199
.LBB1105_266:
	v_sub_u32_e32 v28, v62, v4
	v_mov_b32_e32 v29, 0
	v_lshlrev_b64 v[28:29], 2, v[28:29]
	v_add_co_u32_e32 v28, vcc, v3, v28
	v_addc_co_u32_e32 v29, vcc, v5, v29, vcc
	global_store_dword v[28:29], v21, off
	s_or_b64 exec, exec, s[42:43]
	s_and_saveexec_b64 s[42:43], s[26:27]
	s_cbranch_execz .LBB1105_200
.LBB1105_267:
	v_sub_u32_e32 v28, v60, v4
	v_mov_b32_e32 v29, 0
	v_lshlrev_b64 v[28:29], 2, v[28:29]
	v_add_co_u32_e32 v28, vcc, v3, v28
	v_addc_co_u32_e32 v29, vcc, v5, v29, vcc
	global_store_dword v[28:29], v18, off
	s_or_b64 exec, exec, s[42:43]
	s_and_saveexec_b64 s[42:43], s[24:25]
	s_cbranch_execz .LBB1105_201
.LBB1105_268:
	v_sub_u32_e32 v28, v58, v4
	v_mov_b32_e32 v29, 0
	v_lshlrev_b64 v[28:29], 2, v[28:29]
	v_add_co_u32_e32 v28, vcc, v3, v28
	v_addc_co_u32_e32 v29, vcc, v5, v29, vcc
	global_store_dword v[28:29], v19, off
	s_or_b64 exec, exec, s[42:43]
	s_and_saveexec_b64 s[42:43], s[22:23]
	s_cbranch_execz .LBB1105_202
.LBB1105_269:
	v_sub_u32_e32 v28, v56, v4
	v_mov_b32_e32 v29, 0
	v_lshlrev_b64 v[28:29], 2, v[28:29]
	v_add_co_u32_e32 v28, vcc, v3, v28
	v_addc_co_u32_e32 v29, vcc, v5, v29, vcc
	global_store_dword v[28:29], v16, off
	s_or_b64 exec, exec, s[42:43]
	s_and_saveexec_b64 s[42:43], s[20:21]
	s_cbranch_execz .LBB1105_203
.LBB1105_270:
	v_sub_u32_e32 v28, v54, v4
	v_mov_b32_e32 v29, 0
	v_lshlrev_b64 v[28:29], 2, v[28:29]
	v_add_co_u32_e32 v28, vcc, v3, v28
	v_addc_co_u32_e32 v29, vcc, v5, v29, vcc
	global_store_dword v[28:29], v17, off
	s_or_b64 exec, exec, s[42:43]
	s_and_saveexec_b64 s[42:43], s[18:19]
	s_cbranch_execz .LBB1105_204
.LBB1105_271:
	v_sub_u32_e32 v28, v52, v4
	v_mov_b32_e32 v29, 0
	v_lshlrev_b64 v[28:29], 2, v[28:29]
	v_add_co_u32_e32 v28, vcc, v3, v28
	v_addc_co_u32_e32 v29, vcc, v5, v29, vcc
	global_store_dword v[28:29], v14, off
	s_or_b64 exec, exec, s[42:43]
	s_and_saveexec_b64 s[42:43], s[16:17]
	s_cbranch_execz .LBB1105_205
.LBB1105_272:
	v_sub_u32_e32 v28, v50, v4
	v_mov_b32_e32 v29, 0
	v_lshlrev_b64 v[28:29], 2, v[28:29]
	v_add_co_u32_e32 v28, vcc, v3, v28
	v_addc_co_u32_e32 v29, vcc, v5, v29, vcc
	global_store_dword v[28:29], v15, off
	s_or_b64 exec, exec, s[42:43]
	s_and_saveexec_b64 s[42:43], s[14:15]
	s_cbranch_execz .LBB1105_206
.LBB1105_273:
	v_sub_u32_e32 v28, v48, v4
	v_mov_b32_e32 v29, 0
	v_lshlrev_b64 v[28:29], 2, v[28:29]
	v_add_co_u32_e32 v28, vcc, v3, v28
	v_addc_co_u32_e32 v29, vcc, v5, v29, vcc
	global_store_dword v[28:29], v12, off
	s_or_b64 exec, exec, s[42:43]
	s_and_saveexec_b64 s[42:43], s[12:13]
	s_cbranch_execz .LBB1105_207
.LBB1105_274:
	v_sub_u32_e32 v28, v46, v4
	v_mov_b32_e32 v29, 0
	v_lshlrev_b64 v[28:29], 2, v[28:29]
	v_add_co_u32_e32 v28, vcc, v3, v28
	v_addc_co_u32_e32 v29, vcc, v5, v29, vcc
	global_store_dword v[28:29], v13, off
	s_or_b64 exec, exec, s[42:43]
	s_and_saveexec_b64 s[42:43], s[10:11]
	s_cbranch_execz .LBB1105_208
.LBB1105_275:
	v_sub_u32_e32 v28, v44, v4
	v_mov_b32_e32 v29, 0
	v_lshlrev_b64 v[28:29], 2, v[28:29]
	v_add_co_u32_e32 v28, vcc, v3, v28
	v_addc_co_u32_e32 v29, vcc, v5, v29, vcc
	global_store_dword v[28:29], v10, off
	s_or_b64 exec, exec, s[42:43]
	s_and_saveexec_b64 s[42:43], s[8:9]
	s_cbranch_execz .LBB1105_209
.LBB1105_276:
	v_sub_u32_e32 v28, v42, v4
	v_mov_b32_e32 v29, 0
	v_lshlrev_b64 v[28:29], 2, v[28:29]
	v_add_co_u32_e32 v28, vcc, v3, v28
	v_addc_co_u32_e32 v29, vcc, v5, v29, vcc
	global_store_dword v[28:29], v11, off
	s_or_b64 exec, exec, s[42:43]
	s_and_saveexec_b64 s[42:43], s[6:7]
	s_cbranch_execz .LBB1105_210
.LBB1105_277:
	v_sub_u32_e32 v28, v40, v4
	v_mov_b32_e32 v29, 0
	v_lshlrev_b64 v[28:29], 2, v[28:29]
	v_add_co_u32_e32 v28, vcc, v3, v28
	v_addc_co_u32_e32 v29, vcc, v5, v29, vcc
	global_store_dword v[28:29], v8, off
	s_or_b64 exec, exec, s[42:43]
	s_and_saveexec_b64 s[42:43], s[4:5]
	s_cbranch_execnz .LBB1105_211
	s_branch .LBB1105_212
.LBB1105_278:
	v_sub_u32_e32 v26, v64, v4
	v_lshlrev_b32_e32 v26, 2, v26
	ds_write_b32 v26, v20
	s_or_b64 exec, exec, s[42:43]
	s_and_saveexec_b64 s[30:31], s[28:29]
	s_cbranch_execz .LBB1105_216
.LBB1105_279:
	v_sub_u32_e32 v20, v62, v4
	v_lshlrev_b32_e32 v20, 2, v20
	ds_write_b32 v20, v21
	s_or_b64 exec, exec, s[30:31]
	s_and_saveexec_b64 s[28:29], s[26:27]
	s_cbranch_execz .LBB1105_217
.LBB1105_280:
	v_sub_u32_e32 v20, v60, v4
	v_lshlrev_b32_e32 v20, 2, v20
	ds_write_b32 v20, v18
	s_or_b64 exec, exec, s[28:29]
	s_and_saveexec_b64 s[26:27], s[24:25]
	s_cbranch_execz .LBB1105_218
.LBB1105_281:
	v_sub_u32_e32 v18, v58, v4
	v_lshlrev_b32_e32 v18, 2, v18
	ds_write_b32 v18, v19
	s_or_b64 exec, exec, s[26:27]
	s_and_saveexec_b64 s[24:25], s[22:23]
	s_cbranch_execz .LBB1105_219
.LBB1105_282:
	v_sub_u32_e32 v18, v56, v4
	v_lshlrev_b32_e32 v18, 2, v18
	ds_write_b32 v18, v16
	s_or_b64 exec, exec, s[24:25]
	s_and_saveexec_b64 s[22:23], s[20:21]
	s_cbranch_execz .LBB1105_220
.LBB1105_283:
	v_sub_u32_e32 v16, v54, v4
	v_lshlrev_b32_e32 v16, 2, v16
	ds_write_b32 v16, v17
	s_or_b64 exec, exec, s[22:23]
	s_and_saveexec_b64 s[20:21], s[18:19]
	s_cbranch_execz .LBB1105_221
.LBB1105_284:
	v_sub_u32_e32 v16, v52, v4
	v_lshlrev_b32_e32 v16, 2, v16
	ds_write_b32 v16, v14
	s_or_b64 exec, exec, s[20:21]
	s_and_saveexec_b64 s[18:19], s[16:17]
	s_cbranch_execz .LBB1105_222
.LBB1105_285:
	v_sub_u32_e32 v14, v50, v4
	v_lshlrev_b32_e32 v14, 2, v14
	ds_write_b32 v14, v15
	s_or_b64 exec, exec, s[18:19]
	s_and_saveexec_b64 s[16:17], s[14:15]
	s_cbranch_execz .LBB1105_223
.LBB1105_286:
	v_sub_u32_e32 v14, v48, v4
	v_lshlrev_b32_e32 v14, 2, v14
	ds_write_b32 v14, v12
	s_or_b64 exec, exec, s[16:17]
	s_and_saveexec_b64 s[14:15], s[12:13]
	s_cbranch_execz .LBB1105_224
.LBB1105_287:
	v_sub_u32_e32 v12, v46, v4
	v_lshlrev_b32_e32 v12, 2, v12
	ds_write_b32 v12, v13
	s_or_b64 exec, exec, s[14:15]
	s_and_saveexec_b64 s[12:13], s[10:11]
	s_cbranch_execz .LBB1105_225
.LBB1105_288:
	v_sub_u32_e32 v12, v44, v4
	v_lshlrev_b32_e32 v12, 2, v12
	ds_write_b32 v12, v10
	s_or_b64 exec, exec, s[12:13]
	s_and_saveexec_b64 s[10:11], s[8:9]
	s_cbranch_execz .LBB1105_226
.LBB1105_289:
	v_sub_u32_e32 v10, v42, v4
	v_lshlrev_b32_e32 v10, 2, v10
	ds_write_b32 v10, v11
	s_or_b64 exec, exec, s[10:11]
	s_and_saveexec_b64 s[8:9], s[6:7]
	s_cbranch_execz .LBB1105_227
.LBB1105_290:
	v_sub_u32_e32 v10, v40, v4
	v_lshlrev_b32_e32 v10, 2, v10
	ds_write_b32 v10, v8
	s_or_b64 exec, exec, s[8:9]
	s_and_saveexec_b64 s[6:7], s[4:5]
	s_cbranch_execnz .LBB1105_228
	s_branch .LBB1105_229
.LBB1105_291:
	v_sub_u32_e32 v16, v64, v9
	v_mov_b32_e32 v17, 0
	v_lshlrev_b64 v[16:17], 2, v[16:17]
	v_add_co_u32_e32 v16, vcc, v13, v16
	v_addc_co_u32_e32 v17, vcc, v14, v17, vcc
	global_store_dword v[16:17], v65, off
	s_or_b64 exec, exec, s[38:39]
	s_and_saveexec_b64 s[38:39], s[26:27]
	s_cbranch_execz .LBB1105_233
.LBB1105_292:
	v_sub_u32_e32 v16, v62, v9
	v_mov_b32_e32 v17, 0
	v_lshlrev_b64 v[16:17], 2, v[16:17]
	v_add_co_u32_e32 v16, vcc, v13, v16
	v_addc_co_u32_e32 v17, vcc, v14, v17, vcc
	global_store_dword v[16:17], v63, off
	s_or_b64 exec, exec, s[38:39]
	s_and_saveexec_b64 s[38:39], s[24:25]
	s_cbranch_execz .LBB1105_234
.LBB1105_293:
	v_sub_u32_e32 v16, v60, v9
	v_mov_b32_e32 v17, 0
	v_lshlrev_b64 v[16:17], 2, v[16:17]
	v_add_co_u32_e32 v16, vcc, v13, v16
	v_addc_co_u32_e32 v17, vcc, v14, v17, vcc
	global_store_dword v[16:17], v61, off
	s_or_b64 exec, exec, s[38:39]
	s_and_saveexec_b64 s[38:39], s[22:23]
	s_cbranch_execz .LBB1105_235
.LBB1105_294:
	v_sub_u32_e32 v16, v58, v9
	v_mov_b32_e32 v17, 0
	v_lshlrev_b64 v[16:17], 2, v[16:17]
	v_add_co_u32_e32 v16, vcc, v13, v16
	v_addc_co_u32_e32 v17, vcc, v14, v17, vcc
	global_store_dword v[16:17], v59, off
	s_or_b64 exec, exec, s[38:39]
	s_and_saveexec_b64 s[38:39], s[20:21]
	s_cbranch_execz .LBB1105_236
.LBB1105_295:
	v_sub_u32_e32 v16, v56, v9
	v_mov_b32_e32 v17, 0
	v_lshlrev_b64 v[16:17], 2, v[16:17]
	v_add_co_u32_e32 v16, vcc, v13, v16
	v_addc_co_u32_e32 v17, vcc, v14, v17, vcc
	global_store_dword v[16:17], v57, off
	s_or_b64 exec, exec, s[38:39]
	s_and_saveexec_b64 s[38:39], s[18:19]
	s_cbranch_execz .LBB1105_237
.LBB1105_296:
	v_sub_u32_e32 v16, v54, v9
	v_mov_b32_e32 v17, 0
	v_lshlrev_b64 v[16:17], 2, v[16:17]
	v_add_co_u32_e32 v16, vcc, v13, v16
	v_addc_co_u32_e32 v17, vcc, v14, v17, vcc
	global_store_dword v[16:17], v55, off
	s_or_b64 exec, exec, s[38:39]
	s_and_saveexec_b64 s[38:39], s[16:17]
	s_cbranch_execz .LBB1105_238
.LBB1105_297:
	v_sub_u32_e32 v16, v52, v9
	v_mov_b32_e32 v17, 0
	v_lshlrev_b64 v[16:17], 2, v[16:17]
	v_add_co_u32_e32 v16, vcc, v13, v16
	v_addc_co_u32_e32 v17, vcc, v14, v17, vcc
	global_store_dword v[16:17], v53, off
	s_or_b64 exec, exec, s[38:39]
	s_and_saveexec_b64 s[38:39], s[14:15]
	s_cbranch_execz .LBB1105_239
.LBB1105_298:
	v_sub_u32_e32 v16, v50, v9
	v_mov_b32_e32 v17, 0
	v_lshlrev_b64 v[16:17], 2, v[16:17]
	v_add_co_u32_e32 v16, vcc, v13, v16
	v_addc_co_u32_e32 v17, vcc, v14, v17, vcc
	global_store_dword v[16:17], v51, off
	s_or_b64 exec, exec, s[38:39]
	s_and_saveexec_b64 s[38:39], s[12:13]
	s_cbranch_execz .LBB1105_240
.LBB1105_299:
	v_sub_u32_e32 v16, v48, v9
	v_mov_b32_e32 v17, 0
	v_lshlrev_b64 v[16:17], 2, v[16:17]
	v_add_co_u32_e32 v16, vcc, v13, v16
	v_addc_co_u32_e32 v17, vcc, v14, v17, vcc
	global_store_dword v[16:17], v49, off
	s_or_b64 exec, exec, s[38:39]
	s_and_saveexec_b64 s[38:39], s[10:11]
	s_cbranch_execz .LBB1105_241
.LBB1105_300:
	v_sub_u32_e32 v16, v46, v9
	v_mov_b32_e32 v17, 0
	v_lshlrev_b64 v[16:17], 2, v[16:17]
	v_add_co_u32_e32 v16, vcc, v13, v16
	v_addc_co_u32_e32 v17, vcc, v14, v17, vcc
	global_store_dword v[16:17], v47, off
	s_or_b64 exec, exec, s[38:39]
	s_and_saveexec_b64 s[38:39], s[8:9]
	s_cbranch_execz .LBB1105_242
.LBB1105_301:
	v_sub_u32_e32 v16, v44, v9
	v_mov_b32_e32 v17, 0
	v_lshlrev_b64 v[16:17], 2, v[16:17]
	v_add_co_u32_e32 v16, vcc, v13, v16
	v_addc_co_u32_e32 v17, vcc, v14, v17, vcc
	global_store_dword v[16:17], v45, off
	s_or_b64 exec, exec, s[38:39]
	s_and_saveexec_b64 s[38:39], s[6:7]
	s_cbranch_execz .LBB1105_243
.LBB1105_302:
	v_sub_u32_e32 v16, v42, v9
	v_mov_b32_e32 v17, 0
	v_lshlrev_b64 v[16:17], 2, v[16:17]
	v_add_co_u32_e32 v16, vcc, v13, v16
	v_addc_co_u32_e32 v17, vcc, v14, v17, vcc
	global_store_dword v[16:17], v43, off
	s_or_b64 exec, exec, s[38:39]
	s_and_saveexec_b64 s[38:39], s[4:5]
	s_cbranch_execz .LBB1105_244
.LBB1105_303:
	v_sub_u32_e32 v16, v40, v9
	v_mov_b32_e32 v17, 0
	v_lshlrev_b64 v[16:17], 2, v[16:17]
	v_add_co_u32_e32 v16, vcc, v13, v16
	v_addc_co_u32_e32 v17, vcc, v14, v17, vcc
	global_store_dword v[16:17], v41, off
	s_or_b64 exec, exec, s[38:39]
	s_and_saveexec_b64 s[38:39], s[2:3]
	s_cbranch_execnz .LBB1105_245
	s_branch .LBB1105_246
.LBB1105_304:
	v_sub_u32_e32 v10, v64, v9
	v_lshlrev_b32_e32 v10, 2, v10
	ds_write_b32 v10, v65
	s_or_b64 exec, exec, s[38:39]
	s_and_saveexec_b64 s[28:29], s[26:27]
	s_cbranch_execz .LBB1105_250
.LBB1105_305:
	v_sub_u32_e32 v10, v62, v9
	v_lshlrev_b32_e32 v10, 2, v10
	ds_write_b32 v10, v63
	s_or_b64 exec, exec, s[28:29]
	s_and_saveexec_b64 s[26:27], s[24:25]
	s_cbranch_execz .LBB1105_251
.LBB1105_306:
	v_sub_u32_e32 v10, v60, v9
	v_lshlrev_b32_e32 v10, 2, v10
	ds_write_b32 v10, v61
	s_or_b64 exec, exec, s[26:27]
	s_and_saveexec_b64 s[24:25], s[22:23]
	s_cbranch_execz .LBB1105_252
.LBB1105_307:
	v_sub_u32_e32 v10, v58, v9
	v_lshlrev_b32_e32 v10, 2, v10
	ds_write_b32 v10, v59
	s_or_b64 exec, exec, s[24:25]
	s_and_saveexec_b64 s[22:23], s[20:21]
	s_cbranch_execz .LBB1105_253
.LBB1105_308:
	v_sub_u32_e32 v10, v56, v9
	v_lshlrev_b32_e32 v10, 2, v10
	ds_write_b32 v10, v57
	s_or_b64 exec, exec, s[22:23]
	s_and_saveexec_b64 s[20:21], s[18:19]
	s_cbranch_execz .LBB1105_254
.LBB1105_309:
	v_sub_u32_e32 v10, v54, v9
	v_lshlrev_b32_e32 v10, 2, v10
	ds_write_b32 v10, v55
	s_or_b64 exec, exec, s[20:21]
	s_and_saveexec_b64 s[18:19], s[16:17]
	s_cbranch_execz .LBB1105_255
.LBB1105_310:
	v_sub_u32_e32 v10, v52, v9
	v_lshlrev_b32_e32 v10, 2, v10
	ds_write_b32 v10, v53
	s_or_b64 exec, exec, s[18:19]
	s_and_saveexec_b64 s[16:17], s[14:15]
	s_cbranch_execz .LBB1105_256
.LBB1105_311:
	v_sub_u32_e32 v10, v50, v9
	v_lshlrev_b32_e32 v10, 2, v10
	ds_write_b32 v10, v51
	s_or_b64 exec, exec, s[16:17]
	s_and_saveexec_b64 s[14:15], s[12:13]
	s_cbranch_execz .LBB1105_257
.LBB1105_312:
	v_sub_u32_e32 v10, v48, v9
	v_lshlrev_b32_e32 v10, 2, v10
	ds_write_b32 v10, v49
	s_or_b64 exec, exec, s[14:15]
	s_and_saveexec_b64 s[12:13], s[10:11]
	s_cbranch_execz .LBB1105_258
.LBB1105_313:
	v_sub_u32_e32 v10, v46, v9
	v_lshlrev_b32_e32 v10, 2, v10
	ds_write_b32 v10, v47
	s_or_b64 exec, exec, s[12:13]
	s_and_saveexec_b64 s[10:11], s[8:9]
	s_cbranch_execz .LBB1105_259
.LBB1105_314:
	v_sub_u32_e32 v10, v44, v9
	v_lshlrev_b32_e32 v10, 2, v10
	ds_write_b32 v10, v45
	s_or_b64 exec, exec, s[10:11]
	s_and_saveexec_b64 s[8:9], s[6:7]
	s_cbranch_execz .LBB1105_260
.LBB1105_315:
	v_sub_u32_e32 v10, v42, v9
	v_lshlrev_b32_e32 v10, 2, v10
	ds_write_b32 v10, v43
	s_or_b64 exec, exec, s[8:9]
	s_and_saveexec_b64 s[6:7], s[4:5]
	s_cbranch_execz .LBB1105_261
.LBB1105_316:
	v_sub_u32_e32 v10, v40, v9
	v_lshlrev_b32_e32 v10, 2, v10
	ds_write_b32 v10, v41
	s_or_b64 exec, exec, s[6:7]
	s_and_saveexec_b64 s[4:5], s[2:3]
	s_cbranch_execnz .LBB1105_262
	s_branch .LBB1105_263
	.section	.rodata,"a",@progbits
	.p2align	6, 0x0
	.amdhsa_kernel _ZN7rocprim17ROCPRIM_400000_NS6detail17trampoline_kernelINS0_14default_configENS1_29reduce_by_key_config_selectorIiiN6thrust23THRUST_200600_302600_NS4plusIiEEEEZZNS1_33reduce_by_key_impl_wrapped_configILNS1_25lookback_scan_determinismE0ES3_S9_NS6_10device_ptrIiEESD_SD_SD_PmS8_NS6_8equal_toIiEEEE10hipError_tPvRmT2_T3_mT4_T5_T6_T7_T8_P12ihipStream_tbENKUlT_T0_E_clISt17integral_constantIbLb1EESY_EEDaST_SU_EUlST_E_NS1_11comp_targetILNS1_3genE4ELNS1_11target_archE910ELNS1_3gpuE8ELNS1_3repE0EEENS1_30default_config_static_selectorELNS0_4arch9wavefront6targetE1EEEvT1_
		.amdhsa_group_segment_fixed_size 15360
		.amdhsa_private_segment_fixed_size 0
		.amdhsa_kernarg_size 120
		.amdhsa_user_sgpr_count 6
		.amdhsa_user_sgpr_private_segment_buffer 1
		.amdhsa_user_sgpr_dispatch_ptr 0
		.amdhsa_user_sgpr_queue_ptr 0
		.amdhsa_user_sgpr_kernarg_segment_ptr 1
		.amdhsa_user_sgpr_dispatch_id 0
		.amdhsa_user_sgpr_flat_scratch_init 0
		.amdhsa_user_sgpr_kernarg_preload_length 0
		.amdhsa_user_sgpr_kernarg_preload_offset 0
		.amdhsa_user_sgpr_private_segment_size 0
		.amdhsa_uses_dynamic_stack 0
		.amdhsa_system_sgpr_private_segment_wavefront_offset 0
		.amdhsa_system_sgpr_workgroup_id_x 1
		.amdhsa_system_sgpr_workgroup_id_y 0
		.amdhsa_system_sgpr_workgroup_id_z 0
		.amdhsa_system_sgpr_workgroup_info 0
		.amdhsa_system_vgpr_workitem_id 0
		.amdhsa_next_free_vgpr 106
		.amdhsa_next_free_sgpr 66
		.amdhsa_accum_offset 108
		.amdhsa_reserve_vcc 1
		.amdhsa_reserve_flat_scratch 0
		.amdhsa_float_round_mode_32 0
		.amdhsa_float_round_mode_16_64 0
		.amdhsa_float_denorm_mode_32 3
		.amdhsa_float_denorm_mode_16_64 3
		.amdhsa_dx10_clamp 1
		.amdhsa_ieee_mode 1
		.amdhsa_fp16_overflow 0
		.amdhsa_tg_split 0
		.amdhsa_exception_fp_ieee_invalid_op 0
		.amdhsa_exception_fp_denorm_src 0
		.amdhsa_exception_fp_ieee_div_zero 0
		.amdhsa_exception_fp_ieee_overflow 0
		.amdhsa_exception_fp_ieee_underflow 0
		.amdhsa_exception_fp_ieee_inexact 0
		.amdhsa_exception_int_div_zero 0
	.end_amdhsa_kernel
	.section	.text._ZN7rocprim17ROCPRIM_400000_NS6detail17trampoline_kernelINS0_14default_configENS1_29reduce_by_key_config_selectorIiiN6thrust23THRUST_200600_302600_NS4plusIiEEEEZZNS1_33reduce_by_key_impl_wrapped_configILNS1_25lookback_scan_determinismE0ES3_S9_NS6_10device_ptrIiEESD_SD_SD_PmS8_NS6_8equal_toIiEEEE10hipError_tPvRmT2_T3_mT4_T5_T6_T7_T8_P12ihipStream_tbENKUlT_T0_E_clISt17integral_constantIbLb1EESY_EEDaST_SU_EUlST_E_NS1_11comp_targetILNS1_3genE4ELNS1_11target_archE910ELNS1_3gpuE8ELNS1_3repE0EEENS1_30default_config_static_selectorELNS0_4arch9wavefront6targetE1EEEvT1_,"axG",@progbits,_ZN7rocprim17ROCPRIM_400000_NS6detail17trampoline_kernelINS0_14default_configENS1_29reduce_by_key_config_selectorIiiN6thrust23THRUST_200600_302600_NS4plusIiEEEEZZNS1_33reduce_by_key_impl_wrapped_configILNS1_25lookback_scan_determinismE0ES3_S9_NS6_10device_ptrIiEESD_SD_SD_PmS8_NS6_8equal_toIiEEEE10hipError_tPvRmT2_T3_mT4_T5_T6_T7_T8_P12ihipStream_tbENKUlT_T0_E_clISt17integral_constantIbLb1EESY_EEDaST_SU_EUlST_E_NS1_11comp_targetILNS1_3genE4ELNS1_11target_archE910ELNS1_3gpuE8ELNS1_3repE0EEENS1_30default_config_static_selectorELNS0_4arch9wavefront6targetE1EEEvT1_,comdat
.Lfunc_end1105:
	.size	_ZN7rocprim17ROCPRIM_400000_NS6detail17trampoline_kernelINS0_14default_configENS1_29reduce_by_key_config_selectorIiiN6thrust23THRUST_200600_302600_NS4plusIiEEEEZZNS1_33reduce_by_key_impl_wrapped_configILNS1_25lookback_scan_determinismE0ES3_S9_NS6_10device_ptrIiEESD_SD_SD_PmS8_NS6_8equal_toIiEEEE10hipError_tPvRmT2_T3_mT4_T5_T6_T7_T8_P12ihipStream_tbENKUlT_T0_E_clISt17integral_constantIbLb1EESY_EEDaST_SU_EUlST_E_NS1_11comp_targetILNS1_3genE4ELNS1_11target_archE910ELNS1_3gpuE8ELNS1_3repE0EEENS1_30default_config_static_selectorELNS0_4arch9wavefront6targetE1EEEvT1_, .Lfunc_end1105-_ZN7rocprim17ROCPRIM_400000_NS6detail17trampoline_kernelINS0_14default_configENS1_29reduce_by_key_config_selectorIiiN6thrust23THRUST_200600_302600_NS4plusIiEEEEZZNS1_33reduce_by_key_impl_wrapped_configILNS1_25lookback_scan_determinismE0ES3_S9_NS6_10device_ptrIiEESD_SD_SD_PmS8_NS6_8equal_toIiEEEE10hipError_tPvRmT2_T3_mT4_T5_T6_T7_T8_P12ihipStream_tbENKUlT_T0_E_clISt17integral_constantIbLb1EESY_EEDaST_SU_EUlST_E_NS1_11comp_targetILNS1_3genE4ELNS1_11target_archE910ELNS1_3gpuE8ELNS1_3repE0EEENS1_30default_config_static_selectorELNS0_4arch9wavefront6targetE1EEEvT1_
                                        ; -- End function
	.section	.AMDGPU.csdata,"",@progbits
; Kernel info:
; codeLenInByte = 17256
; NumSgprs: 70
; NumVgprs: 106
; NumAgprs: 0
; TotalNumVgprs: 106
; ScratchSize: 0
; MemoryBound: 0
; FloatMode: 240
; IeeeMode: 1
; LDSByteSize: 15360 bytes/workgroup (compile time only)
; SGPRBlocks: 8
; VGPRBlocks: 13
; NumSGPRsForWavesPerEU: 70
; NumVGPRsForWavesPerEU: 106
; AccumOffset: 108
; Occupancy: 4
; WaveLimiterHint : 1
; COMPUTE_PGM_RSRC2:SCRATCH_EN: 0
; COMPUTE_PGM_RSRC2:USER_SGPR: 6
; COMPUTE_PGM_RSRC2:TRAP_HANDLER: 0
; COMPUTE_PGM_RSRC2:TGID_X_EN: 1
; COMPUTE_PGM_RSRC2:TGID_Y_EN: 0
; COMPUTE_PGM_RSRC2:TGID_Z_EN: 0
; COMPUTE_PGM_RSRC2:TIDIG_COMP_CNT: 0
; COMPUTE_PGM_RSRC3_GFX90A:ACCUM_OFFSET: 26
; COMPUTE_PGM_RSRC3_GFX90A:TG_SPLIT: 0
	.section	.text._ZN7rocprim17ROCPRIM_400000_NS6detail17trampoline_kernelINS0_14default_configENS1_29reduce_by_key_config_selectorIiiN6thrust23THRUST_200600_302600_NS4plusIiEEEEZZNS1_33reduce_by_key_impl_wrapped_configILNS1_25lookback_scan_determinismE0ES3_S9_NS6_10device_ptrIiEESD_SD_SD_PmS8_NS6_8equal_toIiEEEE10hipError_tPvRmT2_T3_mT4_T5_T6_T7_T8_P12ihipStream_tbENKUlT_T0_E_clISt17integral_constantIbLb1EESY_EEDaST_SU_EUlST_E_NS1_11comp_targetILNS1_3genE3ELNS1_11target_archE908ELNS1_3gpuE7ELNS1_3repE0EEENS1_30default_config_static_selectorELNS0_4arch9wavefront6targetE1EEEvT1_,"axG",@progbits,_ZN7rocprim17ROCPRIM_400000_NS6detail17trampoline_kernelINS0_14default_configENS1_29reduce_by_key_config_selectorIiiN6thrust23THRUST_200600_302600_NS4plusIiEEEEZZNS1_33reduce_by_key_impl_wrapped_configILNS1_25lookback_scan_determinismE0ES3_S9_NS6_10device_ptrIiEESD_SD_SD_PmS8_NS6_8equal_toIiEEEE10hipError_tPvRmT2_T3_mT4_T5_T6_T7_T8_P12ihipStream_tbENKUlT_T0_E_clISt17integral_constantIbLb1EESY_EEDaST_SU_EUlST_E_NS1_11comp_targetILNS1_3genE3ELNS1_11target_archE908ELNS1_3gpuE7ELNS1_3repE0EEENS1_30default_config_static_selectorELNS0_4arch9wavefront6targetE1EEEvT1_,comdat
	.protected	_ZN7rocprim17ROCPRIM_400000_NS6detail17trampoline_kernelINS0_14default_configENS1_29reduce_by_key_config_selectorIiiN6thrust23THRUST_200600_302600_NS4plusIiEEEEZZNS1_33reduce_by_key_impl_wrapped_configILNS1_25lookback_scan_determinismE0ES3_S9_NS6_10device_ptrIiEESD_SD_SD_PmS8_NS6_8equal_toIiEEEE10hipError_tPvRmT2_T3_mT4_T5_T6_T7_T8_P12ihipStream_tbENKUlT_T0_E_clISt17integral_constantIbLb1EESY_EEDaST_SU_EUlST_E_NS1_11comp_targetILNS1_3genE3ELNS1_11target_archE908ELNS1_3gpuE7ELNS1_3repE0EEENS1_30default_config_static_selectorELNS0_4arch9wavefront6targetE1EEEvT1_ ; -- Begin function _ZN7rocprim17ROCPRIM_400000_NS6detail17trampoline_kernelINS0_14default_configENS1_29reduce_by_key_config_selectorIiiN6thrust23THRUST_200600_302600_NS4plusIiEEEEZZNS1_33reduce_by_key_impl_wrapped_configILNS1_25lookback_scan_determinismE0ES3_S9_NS6_10device_ptrIiEESD_SD_SD_PmS8_NS6_8equal_toIiEEEE10hipError_tPvRmT2_T3_mT4_T5_T6_T7_T8_P12ihipStream_tbENKUlT_T0_E_clISt17integral_constantIbLb1EESY_EEDaST_SU_EUlST_E_NS1_11comp_targetILNS1_3genE3ELNS1_11target_archE908ELNS1_3gpuE7ELNS1_3repE0EEENS1_30default_config_static_selectorELNS0_4arch9wavefront6targetE1EEEvT1_
	.globl	_ZN7rocprim17ROCPRIM_400000_NS6detail17trampoline_kernelINS0_14default_configENS1_29reduce_by_key_config_selectorIiiN6thrust23THRUST_200600_302600_NS4plusIiEEEEZZNS1_33reduce_by_key_impl_wrapped_configILNS1_25lookback_scan_determinismE0ES3_S9_NS6_10device_ptrIiEESD_SD_SD_PmS8_NS6_8equal_toIiEEEE10hipError_tPvRmT2_T3_mT4_T5_T6_T7_T8_P12ihipStream_tbENKUlT_T0_E_clISt17integral_constantIbLb1EESY_EEDaST_SU_EUlST_E_NS1_11comp_targetILNS1_3genE3ELNS1_11target_archE908ELNS1_3gpuE7ELNS1_3repE0EEENS1_30default_config_static_selectorELNS0_4arch9wavefront6targetE1EEEvT1_
	.p2align	8
	.type	_ZN7rocprim17ROCPRIM_400000_NS6detail17trampoline_kernelINS0_14default_configENS1_29reduce_by_key_config_selectorIiiN6thrust23THRUST_200600_302600_NS4plusIiEEEEZZNS1_33reduce_by_key_impl_wrapped_configILNS1_25lookback_scan_determinismE0ES3_S9_NS6_10device_ptrIiEESD_SD_SD_PmS8_NS6_8equal_toIiEEEE10hipError_tPvRmT2_T3_mT4_T5_T6_T7_T8_P12ihipStream_tbENKUlT_T0_E_clISt17integral_constantIbLb1EESY_EEDaST_SU_EUlST_E_NS1_11comp_targetILNS1_3genE3ELNS1_11target_archE908ELNS1_3gpuE7ELNS1_3repE0EEENS1_30default_config_static_selectorELNS0_4arch9wavefront6targetE1EEEvT1_,@function
_ZN7rocprim17ROCPRIM_400000_NS6detail17trampoline_kernelINS0_14default_configENS1_29reduce_by_key_config_selectorIiiN6thrust23THRUST_200600_302600_NS4plusIiEEEEZZNS1_33reduce_by_key_impl_wrapped_configILNS1_25lookback_scan_determinismE0ES3_S9_NS6_10device_ptrIiEESD_SD_SD_PmS8_NS6_8equal_toIiEEEE10hipError_tPvRmT2_T3_mT4_T5_T6_T7_T8_P12ihipStream_tbENKUlT_T0_E_clISt17integral_constantIbLb1EESY_EEDaST_SU_EUlST_E_NS1_11comp_targetILNS1_3genE3ELNS1_11target_archE908ELNS1_3gpuE7ELNS1_3repE0EEENS1_30default_config_static_selectorELNS0_4arch9wavefront6targetE1EEEvT1_: ; @_ZN7rocprim17ROCPRIM_400000_NS6detail17trampoline_kernelINS0_14default_configENS1_29reduce_by_key_config_selectorIiiN6thrust23THRUST_200600_302600_NS4plusIiEEEEZZNS1_33reduce_by_key_impl_wrapped_configILNS1_25lookback_scan_determinismE0ES3_S9_NS6_10device_ptrIiEESD_SD_SD_PmS8_NS6_8equal_toIiEEEE10hipError_tPvRmT2_T3_mT4_T5_T6_T7_T8_P12ihipStream_tbENKUlT_T0_E_clISt17integral_constantIbLb1EESY_EEDaST_SU_EUlST_E_NS1_11comp_targetILNS1_3genE3ELNS1_11target_archE908ELNS1_3gpuE7ELNS1_3repE0EEENS1_30default_config_static_selectorELNS0_4arch9wavefront6targetE1EEEvT1_
; %bb.0:
	.section	.rodata,"a",@progbits
	.p2align	6, 0x0
	.amdhsa_kernel _ZN7rocprim17ROCPRIM_400000_NS6detail17trampoline_kernelINS0_14default_configENS1_29reduce_by_key_config_selectorIiiN6thrust23THRUST_200600_302600_NS4plusIiEEEEZZNS1_33reduce_by_key_impl_wrapped_configILNS1_25lookback_scan_determinismE0ES3_S9_NS6_10device_ptrIiEESD_SD_SD_PmS8_NS6_8equal_toIiEEEE10hipError_tPvRmT2_T3_mT4_T5_T6_T7_T8_P12ihipStream_tbENKUlT_T0_E_clISt17integral_constantIbLb1EESY_EEDaST_SU_EUlST_E_NS1_11comp_targetILNS1_3genE3ELNS1_11target_archE908ELNS1_3gpuE7ELNS1_3repE0EEENS1_30default_config_static_selectorELNS0_4arch9wavefront6targetE1EEEvT1_
		.amdhsa_group_segment_fixed_size 0
		.amdhsa_private_segment_fixed_size 0
		.amdhsa_kernarg_size 120
		.amdhsa_user_sgpr_count 6
		.amdhsa_user_sgpr_private_segment_buffer 1
		.amdhsa_user_sgpr_dispatch_ptr 0
		.amdhsa_user_sgpr_queue_ptr 0
		.amdhsa_user_sgpr_kernarg_segment_ptr 1
		.amdhsa_user_sgpr_dispatch_id 0
		.amdhsa_user_sgpr_flat_scratch_init 0
		.amdhsa_user_sgpr_kernarg_preload_length 0
		.amdhsa_user_sgpr_kernarg_preload_offset 0
		.amdhsa_user_sgpr_private_segment_size 0
		.amdhsa_uses_dynamic_stack 0
		.amdhsa_system_sgpr_private_segment_wavefront_offset 0
		.amdhsa_system_sgpr_workgroup_id_x 1
		.amdhsa_system_sgpr_workgroup_id_y 0
		.amdhsa_system_sgpr_workgroup_id_z 0
		.amdhsa_system_sgpr_workgroup_info 0
		.amdhsa_system_vgpr_workitem_id 0
		.amdhsa_next_free_vgpr 1
		.amdhsa_next_free_sgpr 0
		.amdhsa_accum_offset 4
		.amdhsa_reserve_vcc 0
		.amdhsa_reserve_flat_scratch 0
		.amdhsa_float_round_mode_32 0
		.amdhsa_float_round_mode_16_64 0
		.amdhsa_float_denorm_mode_32 3
		.amdhsa_float_denorm_mode_16_64 3
		.amdhsa_dx10_clamp 1
		.amdhsa_ieee_mode 1
		.amdhsa_fp16_overflow 0
		.amdhsa_tg_split 0
		.amdhsa_exception_fp_ieee_invalid_op 0
		.amdhsa_exception_fp_denorm_src 0
		.amdhsa_exception_fp_ieee_div_zero 0
		.amdhsa_exception_fp_ieee_overflow 0
		.amdhsa_exception_fp_ieee_underflow 0
		.amdhsa_exception_fp_ieee_inexact 0
		.amdhsa_exception_int_div_zero 0
	.end_amdhsa_kernel
	.section	.text._ZN7rocprim17ROCPRIM_400000_NS6detail17trampoline_kernelINS0_14default_configENS1_29reduce_by_key_config_selectorIiiN6thrust23THRUST_200600_302600_NS4plusIiEEEEZZNS1_33reduce_by_key_impl_wrapped_configILNS1_25lookback_scan_determinismE0ES3_S9_NS6_10device_ptrIiEESD_SD_SD_PmS8_NS6_8equal_toIiEEEE10hipError_tPvRmT2_T3_mT4_T5_T6_T7_T8_P12ihipStream_tbENKUlT_T0_E_clISt17integral_constantIbLb1EESY_EEDaST_SU_EUlST_E_NS1_11comp_targetILNS1_3genE3ELNS1_11target_archE908ELNS1_3gpuE7ELNS1_3repE0EEENS1_30default_config_static_selectorELNS0_4arch9wavefront6targetE1EEEvT1_,"axG",@progbits,_ZN7rocprim17ROCPRIM_400000_NS6detail17trampoline_kernelINS0_14default_configENS1_29reduce_by_key_config_selectorIiiN6thrust23THRUST_200600_302600_NS4plusIiEEEEZZNS1_33reduce_by_key_impl_wrapped_configILNS1_25lookback_scan_determinismE0ES3_S9_NS6_10device_ptrIiEESD_SD_SD_PmS8_NS6_8equal_toIiEEEE10hipError_tPvRmT2_T3_mT4_T5_T6_T7_T8_P12ihipStream_tbENKUlT_T0_E_clISt17integral_constantIbLb1EESY_EEDaST_SU_EUlST_E_NS1_11comp_targetILNS1_3genE3ELNS1_11target_archE908ELNS1_3gpuE7ELNS1_3repE0EEENS1_30default_config_static_selectorELNS0_4arch9wavefront6targetE1EEEvT1_,comdat
.Lfunc_end1106:
	.size	_ZN7rocprim17ROCPRIM_400000_NS6detail17trampoline_kernelINS0_14default_configENS1_29reduce_by_key_config_selectorIiiN6thrust23THRUST_200600_302600_NS4plusIiEEEEZZNS1_33reduce_by_key_impl_wrapped_configILNS1_25lookback_scan_determinismE0ES3_S9_NS6_10device_ptrIiEESD_SD_SD_PmS8_NS6_8equal_toIiEEEE10hipError_tPvRmT2_T3_mT4_T5_T6_T7_T8_P12ihipStream_tbENKUlT_T0_E_clISt17integral_constantIbLb1EESY_EEDaST_SU_EUlST_E_NS1_11comp_targetILNS1_3genE3ELNS1_11target_archE908ELNS1_3gpuE7ELNS1_3repE0EEENS1_30default_config_static_selectorELNS0_4arch9wavefront6targetE1EEEvT1_, .Lfunc_end1106-_ZN7rocprim17ROCPRIM_400000_NS6detail17trampoline_kernelINS0_14default_configENS1_29reduce_by_key_config_selectorIiiN6thrust23THRUST_200600_302600_NS4plusIiEEEEZZNS1_33reduce_by_key_impl_wrapped_configILNS1_25lookback_scan_determinismE0ES3_S9_NS6_10device_ptrIiEESD_SD_SD_PmS8_NS6_8equal_toIiEEEE10hipError_tPvRmT2_T3_mT4_T5_T6_T7_T8_P12ihipStream_tbENKUlT_T0_E_clISt17integral_constantIbLb1EESY_EEDaST_SU_EUlST_E_NS1_11comp_targetILNS1_3genE3ELNS1_11target_archE908ELNS1_3gpuE7ELNS1_3repE0EEENS1_30default_config_static_selectorELNS0_4arch9wavefront6targetE1EEEvT1_
                                        ; -- End function
	.section	.AMDGPU.csdata,"",@progbits
; Kernel info:
; codeLenInByte = 0
; NumSgprs: 4
; NumVgprs: 0
; NumAgprs: 0
; TotalNumVgprs: 0
; ScratchSize: 0
; MemoryBound: 0
; FloatMode: 240
; IeeeMode: 1
; LDSByteSize: 0 bytes/workgroup (compile time only)
; SGPRBlocks: 0
; VGPRBlocks: 0
; NumSGPRsForWavesPerEU: 4
; NumVGPRsForWavesPerEU: 1
; AccumOffset: 4
; Occupancy: 8
; WaveLimiterHint : 0
; COMPUTE_PGM_RSRC2:SCRATCH_EN: 0
; COMPUTE_PGM_RSRC2:USER_SGPR: 6
; COMPUTE_PGM_RSRC2:TRAP_HANDLER: 0
; COMPUTE_PGM_RSRC2:TGID_X_EN: 1
; COMPUTE_PGM_RSRC2:TGID_Y_EN: 0
; COMPUTE_PGM_RSRC2:TGID_Z_EN: 0
; COMPUTE_PGM_RSRC2:TIDIG_COMP_CNT: 0
; COMPUTE_PGM_RSRC3_GFX90A:ACCUM_OFFSET: 0
; COMPUTE_PGM_RSRC3_GFX90A:TG_SPLIT: 0
	.section	.text._ZN7rocprim17ROCPRIM_400000_NS6detail17trampoline_kernelINS0_14default_configENS1_29reduce_by_key_config_selectorIiiN6thrust23THRUST_200600_302600_NS4plusIiEEEEZZNS1_33reduce_by_key_impl_wrapped_configILNS1_25lookback_scan_determinismE0ES3_S9_NS6_10device_ptrIiEESD_SD_SD_PmS8_NS6_8equal_toIiEEEE10hipError_tPvRmT2_T3_mT4_T5_T6_T7_T8_P12ihipStream_tbENKUlT_T0_E_clISt17integral_constantIbLb1EESY_EEDaST_SU_EUlST_E_NS1_11comp_targetILNS1_3genE2ELNS1_11target_archE906ELNS1_3gpuE6ELNS1_3repE0EEENS1_30default_config_static_selectorELNS0_4arch9wavefront6targetE1EEEvT1_,"axG",@progbits,_ZN7rocprim17ROCPRIM_400000_NS6detail17trampoline_kernelINS0_14default_configENS1_29reduce_by_key_config_selectorIiiN6thrust23THRUST_200600_302600_NS4plusIiEEEEZZNS1_33reduce_by_key_impl_wrapped_configILNS1_25lookback_scan_determinismE0ES3_S9_NS6_10device_ptrIiEESD_SD_SD_PmS8_NS6_8equal_toIiEEEE10hipError_tPvRmT2_T3_mT4_T5_T6_T7_T8_P12ihipStream_tbENKUlT_T0_E_clISt17integral_constantIbLb1EESY_EEDaST_SU_EUlST_E_NS1_11comp_targetILNS1_3genE2ELNS1_11target_archE906ELNS1_3gpuE6ELNS1_3repE0EEENS1_30default_config_static_selectorELNS0_4arch9wavefront6targetE1EEEvT1_,comdat
	.protected	_ZN7rocprim17ROCPRIM_400000_NS6detail17trampoline_kernelINS0_14default_configENS1_29reduce_by_key_config_selectorIiiN6thrust23THRUST_200600_302600_NS4plusIiEEEEZZNS1_33reduce_by_key_impl_wrapped_configILNS1_25lookback_scan_determinismE0ES3_S9_NS6_10device_ptrIiEESD_SD_SD_PmS8_NS6_8equal_toIiEEEE10hipError_tPvRmT2_T3_mT4_T5_T6_T7_T8_P12ihipStream_tbENKUlT_T0_E_clISt17integral_constantIbLb1EESY_EEDaST_SU_EUlST_E_NS1_11comp_targetILNS1_3genE2ELNS1_11target_archE906ELNS1_3gpuE6ELNS1_3repE0EEENS1_30default_config_static_selectorELNS0_4arch9wavefront6targetE1EEEvT1_ ; -- Begin function _ZN7rocprim17ROCPRIM_400000_NS6detail17trampoline_kernelINS0_14default_configENS1_29reduce_by_key_config_selectorIiiN6thrust23THRUST_200600_302600_NS4plusIiEEEEZZNS1_33reduce_by_key_impl_wrapped_configILNS1_25lookback_scan_determinismE0ES3_S9_NS6_10device_ptrIiEESD_SD_SD_PmS8_NS6_8equal_toIiEEEE10hipError_tPvRmT2_T3_mT4_T5_T6_T7_T8_P12ihipStream_tbENKUlT_T0_E_clISt17integral_constantIbLb1EESY_EEDaST_SU_EUlST_E_NS1_11comp_targetILNS1_3genE2ELNS1_11target_archE906ELNS1_3gpuE6ELNS1_3repE0EEENS1_30default_config_static_selectorELNS0_4arch9wavefront6targetE1EEEvT1_
	.globl	_ZN7rocprim17ROCPRIM_400000_NS6detail17trampoline_kernelINS0_14default_configENS1_29reduce_by_key_config_selectorIiiN6thrust23THRUST_200600_302600_NS4plusIiEEEEZZNS1_33reduce_by_key_impl_wrapped_configILNS1_25lookback_scan_determinismE0ES3_S9_NS6_10device_ptrIiEESD_SD_SD_PmS8_NS6_8equal_toIiEEEE10hipError_tPvRmT2_T3_mT4_T5_T6_T7_T8_P12ihipStream_tbENKUlT_T0_E_clISt17integral_constantIbLb1EESY_EEDaST_SU_EUlST_E_NS1_11comp_targetILNS1_3genE2ELNS1_11target_archE906ELNS1_3gpuE6ELNS1_3repE0EEENS1_30default_config_static_selectorELNS0_4arch9wavefront6targetE1EEEvT1_
	.p2align	8
	.type	_ZN7rocprim17ROCPRIM_400000_NS6detail17trampoline_kernelINS0_14default_configENS1_29reduce_by_key_config_selectorIiiN6thrust23THRUST_200600_302600_NS4plusIiEEEEZZNS1_33reduce_by_key_impl_wrapped_configILNS1_25lookback_scan_determinismE0ES3_S9_NS6_10device_ptrIiEESD_SD_SD_PmS8_NS6_8equal_toIiEEEE10hipError_tPvRmT2_T3_mT4_T5_T6_T7_T8_P12ihipStream_tbENKUlT_T0_E_clISt17integral_constantIbLb1EESY_EEDaST_SU_EUlST_E_NS1_11comp_targetILNS1_3genE2ELNS1_11target_archE906ELNS1_3gpuE6ELNS1_3repE0EEENS1_30default_config_static_selectorELNS0_4arch9wavefront6targetE1EEEvT1_,@function
_ZN7rocprim17ROCPRIM_400000_NS6detail17trampoline_kernelINS0_14default_configENS1_29reduce_by_key_config_selectorIiiN6thrust23THRUST_200600_302600_NS4plusIiEEEEZZNS1_33reduce_by_key_impl_wrapped_configILNS1_25lookback_scan_determinismE0ES3_S9_NS6_10device_ptrIiEESD_SD_SD_PmS8_NS6_8equal_toIiEEEE10hipError_tPvRmT2_T3_mT4_T5_T6_T7_T8_P12ihipStream_tbENKUlT_T0_E_clISt17integral_constantIbLb1EESY_EEDaST_SU_EUlST_E_NS1_11comp_targetILNS1_3genE2ELNS1_11target_archE906ELNS1_3gpuE6ELNS1_3repE0EEENS1_30default_config_static_selectorELNS0_4arch9wavefront6targetE1EEEvT1_: ; @_ZN7rocprim17ROCPRIM_400000_NS6detail17trampoline_kernelINS0_14default_configENS1_29reduce_by_key_config_selectorIiiN6thrust23THRUST_200600_302600_NS4plusIiEEEEZZNS1_33reduce_by_key_impl_wrapped_configILNS1_25lookback_scan_determinismE0ES3_S9_NS6_10device_ptrIiEESD_SD_SD_PmS8_NS6_8equal_toIiEEEE10hipError_tPvRmT2_T3_mT4_T5_T6_T7_T8_P12ihipStream_tbENKUlT_T0_E_clISt17integral_constantIbLb1EESY_EEDaST_SU_EUlST_E_NS1_11comp_targetILNS1_3genE2ELNS1_11target_archE906ELNS1_3gpuE6ELNS1_3repE0EEENS1_30default_config_static_selectorELNS0_4arch9wavefront6targetE1EEEvT1_
; %bb.0:
	.section	.rodata,"a",@progbits
	.p2align	6, 0x0
	.amdhsa_kernel _ZN7rocprim17ROCPRIM_400000_NS6detail17trampoline_kernelINS0_14default_configENS1_29reduce_by_key_config_selectorIiiN6thrust23THRUST_200600_302600_NS4plusIiEEEEZZNS1_33reduce_by_key_impl_wrapped_configILNS1_25lookback_scan_determinismE0ES3_S9_NS6_10device_ptrIiEESD_SD_SD_PmS8_NS6_8equal_toIiEEEE10hipError_tPvRmT2_T3_mT4_T5_T6_T7_T8_P12ihipStream_tbENKUlT_T0_E_clISt17integral_constantIbLb1EESY_EEDaST_SU_EUlST_E_NS1_11comp_targetILNS1_3genE2ELNS1_11target_archE906ELNS1_3gpuE6ELNS1_3repE0EEENS1_30default_config_static_selectorELNS0_4arch9wavefront6targetE1EEEvT1_
		.amdhsa_group_segment_fixed_size 0
		.amdhsa_private_segment_fixed_size 0
		.amdhsa_kernarg_size 120
		.amdhsa_user_sgpr_count 6
		.amdhsa_user_sgpr_private_segment_buffer 1
		.amdhsa_user_sgpr_dispatch_ptr 0
		.amdhsa_user_sgpr_queue_ptr 0
		.amdhsa_user_sgpr_kernarg_segment_ptr 1
		.amdhsa_user_sgpr_dispatch_id 0
		.amdhsa_user_sgpr_flat_scratch_init 0
		.amdhsa_user_sgpr_kernarg_preload_length 0
		.amdhsa_user_sgpr_kernarg_preload_offset 0
		.amdhsa_user_sgpr_private_segment_size 0
		.amdhsa_uses_dynamic_stack 0
		.amdhsa_system_sgpr_private_segment_wavefront_offset 0
		.amdhsa_system_sgpr_workgroup_id_x 1
		.amdhsa_system_sgpr_workgroup_id_y 0
		.amdhsa_system_sgpr_workgroup_id_z 0
		.amdhsa_system_sgpr_workgroup_info 0
		.amdhsa_system_vgpr_workitem_id 0
		.amdhsa_next_free_vgpr 1
		.amdhsa_next_free_sgpr 0
		.amdhsa_accum_offset 4
		.amdhsa_reserve_vcc 0
		.amdhsa_reserve_flat_scratch 0
		.amdhsa_float_round_mode_32 0
		.amdhsa_float_round_mode_16_64 0
		.amdhsa_float_denorm_mode_32 3
		.amdhsa_float_denorm_mode_16_64 3
		.amdhsa_dx10_clamp 1
		.amdhsa_ieee_mode 1
		.amdhsa_fp16_overflow 0
		.amdhsa_tg_split 0
		.amdhsa_exception_fp_ieee_invalid_op 0
		.amdhsa_exception_fp_denorm_src 0
		.amdhsa_exception_fp_ieee_div_zero 0
		.amdhsa_exception_fp_ieee_overflow 0
		.amdhsa_exception_fp_ieee_underflow 0
		.amdhsa_exception_fp_ieee_inexact 0
		.amdhsa_exception_int_div_zero 0
	.end_amdhsa_kernel
	.section	.text._ZN7rocprim17ROCPRIM_400000_NS6detail17trampoline_kernelINS0_14default_configENS1_29reduce_by_key_config_selectorIiiN6thrust23THRUST_200600_302600_NS4plusIiEEEEZZNS1_33reduce_by_key_impl_wrapped_configILNS1_25lookback_scan_determinismE0ES3_S9_NS6_10device_ptrIiEESD_SD_SD_PmS8_NS6_8equal_toIiEEEE10hipError_tPvRmT2_T3_mT4_T5_T6_T7_T8_P12ihipStream_tbENKUlT_T0_E_clISt17integral_constantIbLb1EESY_EEDaST_SU_EUlST_E_NS1_11comp_targetILNS1_3genE2ELNS1_11target_archE906ELNS1_3gpuE6ELNS1_3repE0EEENS1_30default_config_static_selectorELNS0_4arch9wavefront6targetE1EEEvT1_,"axG",@progbits,_ZN7rocprim17ROCPRIM_400000_NS6detail17trampoline_kernelINS0_14default_configENS1_29reduce_by_key_config_selectorIiiN6thrust23THRUST_200600_302600_NS4plusIiEEEEZZNS1_33reduce_by_key_impl_wrapped_configILNS1_25lookback_scan_determinismE0ES3_S9_NS6_10device_ptrIiEESD_SD_SD_PmS8_NS6_8equal_toIiEEEE10hipError_tPvRmT2_T3_mT4_T5_T6_T7_T8_P12ihipStream_tbENKUlT_T0_E_clISt17integral_constantIbLb1EESY_EEDaST_SU_EUlST_E_NS1_11comp_targetILNS1_3genE2ELNS1_11target_archE906ELNS1_3gpuE6ELNS1_3repE0EEENS1_30default_config_static_selectorELNS0_4arch9wavefront6targetE1EEEvT1_,comdat
.Lfunc_end1107:
	.size	_ZN7rocprim17ROCPRIM_400000_NS6detail17trampoline_kernelINS0_14default_configENS1_29reduce_by_key_config_selectorIiiN6thrust23THRUST_200600_302600_NS4plusIiEEEEZZNS1_33reduce_by_key_impl_wrapped_configILNS1_25lookback_scan_determinismE0ES3_S9_NS6_10device_ptrIiEESD_SD_SD_PmS8_NS6_8equal_toIiEEEE10hipError_tPvRmT2_T3_mT4_T5_T6_T7_T8_P12ihipStream_tbENKUlT_T0_E_clISt17integral_constantIbLb1EESY_EEDaST_SU_EUlST_E_NS1_11comp_targetILNS1_3genE2ELNS1_11target_archE906ELNS1_3gpuE6ELNS1_3repE0EEENS1_30default_config_static_selectorELNS0_4arch9wavefront6targetE1EEEvT1_, .Lfunc_end1107-_ZN7rocprim17ROCPRIM_400000_NS6detail17trampoline_kernelINS0_14default_configENS1_29reduce_by_key_config_selectorIiiN6thrust23THRUST_200600_302600_NS4plusIiEEEEZZNS1_33reduce_by_key_impl_wrapped_configILNS1_25lookback_scan_determinismE0ES3_S9_NS6_10device_ptrIiEESD_SD_SD_PmS8_NS6_8equal_toIiEEEE10hipError_tPvRmT2_T3_mT4_T5_T6_T7_T8_P12ihipStream_tbENKUlT_T0_E_clISt17integral_constantIbLb1EESY_EEDaST_SU_EUlST_E_NS1_11comp_targetILNS1_3genE2ELNS1_11target_archE906ELNS1_3gpuE6ELNS1_3repE0EEENS1_30default_config_static_selectorELNS0_4arch9wavefront6targetE1EEEvT1_
                                        ; -- End function
	.section	.AMDGPU.csdata,"",@progbits
; Kernel info:
; codeLenInByte = 0
; NumSgprs: 4
; NumVgprs: 0
; NumAgprs: 0
; TotalNumVgprs: 0
; ScratchSize: 0
; MemoryBound: 0
; FloatMode: 240
; IeeeMode: 1
; LDSByteSize: 0 bytes/workgroup (compile time only)
; SGPRBlocks: 0
; VGPRBlocks: 0
; NumSGPRsForWavesPerEU: 4
; NumVGPRsForWavesPerEU: 1
; AccumOffset: 4
; Occupancy: 8
; WaveLimiterHint : 0
; COMPUTE_PGM_RSRC2:SCRATCH_EN: 0
; COMPUTE_PGM_RSRC2:USER_SGPR: 6
; COMPUTE_PGM_RSRC2:TRAP_HANDLER: 0
; COMPUTE_PGM_RSRC2:TGID_X_EN: 1
; COMPUTE_PGM_RSRC2:TGID_Y_EN: 0
; COMPUTE_PGM_RSRC2:TGID_Z_EN: 0
; COMPUTE_PGM_RSRC2:TIDIG_COMP_CNT: 0
; COMPUTE_PGM_RSRC3_GFX90A:ACCUM_OFFSET: 0
; COMPUTE_PGM_RSRC3_GFX90A:TG_SPLIT: 0
	.section	.text._ZN7rocprim17ROCPRIM_400000_NS6detail17trampoline_kernelINS0_14default_configENS1_29reduce_by_key_config_selectorIiiN6thrust23THRUST_200600_302600_NS4plusIiEEEEZZNS1_33reduce_by_key_impl_wrapped_configILNS1_25lookback_scan_determinismE0ES3_S9_NS6_10device_ptrIiEESD_SD_SD_PmS8_NS6_8equal_toIiEEEE10hipError_tPvRmT2_T3_mT4_T5_T6_T7_T8_P12ihipStream_tbENKUlT_T0_E_clISt17integral_constantIbLb1EESY_EEDaST_SU_EUlST_E_NS1_11comp_targetILNS1_3genE10ELNS1_11target_archE1201ELNS1_3gpuE5ELNS1_3repE0EEENS1_30default_config_static_selectorELNS0_4arch9wavefront6targetE1EEEvT1_,"axG",@progbits,_ZN7rocprim17ROCPRIM_400000_NS6detail17trampoline_kernelINS0_14default_configENS1_29reduce_by_key_config_selectorIiiN6thrust23THRUST_200600_302600_NS4plusIiEEEEZZNS1_33reduce_by_key_impl_wrapped_configILNS1_25lookback_scan_determinismE0ES3_S9_NS6_10device_ptrIiEESD_SD_SD_PmS8_NS6_8equal_toIiEEEE10hipError_tPvRmT2_T3_mT4_T5_T6_T7_T8_P12ihipStream_tbENKUlT_T0_E_clISt17integral_constantIbLb1EESY_EEDaST_SU_EUlST_E_NS1_11comp_targetILNS1_3genE10ELNS1_11target_archE1201ELNS1_3gpuE5ELNS1_3repE0EEENS1_30default_config_static_selectorELNS0_4arch9wavefront6targetE1EEEvT1_,comdat
	.protected	_ZN7rocprim17ROCPRIM_400000_NS6detail17trampoline_kernelINS0_14default_configENS1_29reduce_by_key_config_selectorIiiN6thrust23THRUST_200600_302600_NS4plusIiEEEEZZNS1_33reduce_by_key_impl_wrapped_configILNS1_25lookback_scan_determinismE0ES3_S9_NS6_10device_ptrIiEESD_SD_SD_PmS8_NS6_8equal_toIiEEEE10hipError_tPvRmT2_T3_mT4_T5_T6_T7_T8_P12ihipStream_tbENKUlT_T0_E_clISt17integral_constantIbLb1EESY_EEDaST_SU_EUlST_E_NS1_11comp_targetILNS1_3genE10ELNS1_11target_archE1201ELNS1_3gpuE5ELNS1_3repE0EEENS1_30default_config_static_selectorELNS0_4arch9wavefront6targetE1EEEvT1_ ; -- Begin function _ZN7rocprim17ROCPRIM_400000_NS6detail17trampoline_kernelINS0_14default_configENS1_29reduce_by_key_config_selectorIiiN6thrust23THRUST_200600_302600_NS4plusIiEEEEZZNS1_33reduce_by_key_impl_wrapped_configILNS1_25lookback_scan_determinismE0ES3_S9_NS6_10device_ptrIiEESD_SD_SD_PmS8_NS6_8equal_toIiEEEE10hipError_tPvRmT2_T3_mT4_T5_T6_T7_T8_P12ihipStream_tbENKUlT_T0_E_clISt17integral_constantIbLb1EESY_EEDaST_SU_EUlST_E_NS1_11comp_targetILNS1_3genE10ELNS1_11target_archE1201ELNS1_3gpuE5ELNS1_3repE0EEENS1_30default_config_static_selectorELNS0_4arch9wavefront6targetE1EEEvT1_
	.globl	_ZN7rocprim17ROCPRIM_400000_NS6detail17trampoline_kernelINS0_14default_configENS1_29reduce_by_key_config_selectorIiiN6thrust23THRUST_200600_302600_NS4plusIiEEEEZZNS1_33reduce_by_key_impl_wrapped_configILNS1_25lookback_scan_determinismE0ES3_S9_NS6_10device_ptrIiEESD_SD_SD_PmS8_NS6_8equal_toIiEEEE10hipError_tPvRmT2_T3_mT4_T5_T6_T7_T8_P12ihipStream_tbENKUlT_T0_E_clISt17integral_constantIbLb1EESY_EEDaST_SU_EUlST_E_NS1_11comp_targetILNS1_3genE10ELNS1_11target_archE1201ELNS1_3gpuE5ELNS1_3repE0EEENS1_30default_config_static_selectorELNS0_4arch9wavefront6targetE1EEEvT1_
	.p2align	8
	.type	_ZN7rocprim17ROCPRIM_400000_NS6detail17trampoline_kernelINS0_14default_configENS1_29reduce_by_key_config_selectorIiiN6thrust23THRUST_200600_302600_NS4plusIiEEEEZZNS1_33reduce_by_key_impl_wrapped_configILNS1_25lookback_scan_determinismE0ES3_S9_NS6_10device_ptrIiEESD_SD_SD_PmS8_NS6_8equal_toIiEEEE10hipError_tPvRmT2_T3_mT4_T5_T6_T7_T8_P12ihipStream_tbENKUlT_T0_E_clISt17integral_constantIbLb1EESY_EEDaST_SU_EUlST_E_NS1_11comp_targetILNS1_3genE10ELNS1_11target_archE1201ELNS1_3gpuE5ELNS1_3repE0EEENS1_30default_config_static_selectorELNS0_4arch9wavefront6targetE1EEEvT1_,@function
_ZN7rocprim17ROCPRIM_400000_NS6detail17trampoline_kernelINS0_14default_configENS1_29reduce_by_key_config_selectorIiiN6thrust23THRUST_200600_302600_NS4plusIiEEEEZZNS1_33reduce_by_key_impl_wrapped_configILNS1_25lookback_scan_determinismE0ES3_S9_NS6_10device_ptrIiEESD_SD_SD_PmS8_NS6_8equal_toIiEEEE10hipError_tPvRmT2_T3_mT4_T5_T6_T7_T8_P12ihipStream_tbENKUlT_T0_E_clISt17integral_constantIbLb1EESY_EEDaST_SU_EUlST_E_NS1_11comp_targetILNS1_3genE10ELNS1_11target_archE1201ELNS1_3gpuE5ELNS1_3repE0EEENS1_30default_config_static_selectorELNS0_4arch9wavefront6targetE1EEEvT1_: ; @_ZN7rocprim17ROCPRIM_400000_NS6detail17trampoline_kernelINS0_14default_configENS1_29reduce_by_key_config_selectorIiiN6thrust23THRUST_200600_302600_NS4plusIiEEEEZZNS1_33reduce_by_key_impl_wrapped_configILNS1_25lookback_scan_determinismE0ES3_S9_NS6_10device_ptrIiEESD_SD_SD_PmS8_NS6_8equal_toIiEEEE10hipError_tPvRmT2_T3_mT4_T5_T6_T7_T8_P12ihipStream_tbENKUlT_T0_E_clISt17integral_constantIbLb1EESY_EEDaST_SU_EUlST_E_NS1_11comp_targetILNS1_3genE10ELNS1_11target_archE1201ELNS1_3gpuE5ELNS1_3repE0EEENS1_30default_config_static_selectorELNS0_4arch9wavefront6targetE1EEEvT1_
; %bb.0:
	.section	.rodata,"a",@progbits
	.p2align	6, 0x0
	.amdhsa_kernel _ZN7rocprim17ROCPRIM_400000_NS6detail17trampoline_kernelINS0_14default_configENS1_29reduce_by_key_config_selectorIiiN6thrust23THRUST_200600_302600_NS4plusIiEEEEZZNS1_33reduce_by_key_impl_wrapped_configILNS1_25lookback_scan_determinismE0ES3_S9_NS6_10device_ptrIiEESD_SD_SD_PmS8_NS6_8equal_toIiEEEE10hipError_tPvRmT2_T3_mT4_T5_T6_T7_T8_P12ihipStream_tbENKUlT_T0_E_clISt17integral_constantIbLb1EESY_EEDaST_SU_EUlST_E_NS1_11comp_targetILNS1_3genE10ELNS1_11target_archE1201ELNS1_3gpuE5ELNS1_3repE0EEENS1_30default_config_static_selectorELNS0_4arch9wavefront6targetE1EEEvT1_
		.amdhsa_group_segment_fixed_size 0
		.amdhsa_private_segment_fixed_size 0
		.amdhsa_kernarg_size 120
		.amdhsa_user_sgpr_count 6
		.amdhsa_user_sgpr_private_segment_buffer 1
		.amdhsa_user_sgpr_dispatch_ptr 0
		.amdhsa_user_sgpr_queue_ptr 0
		.amdhsa_user_sgpr_kernarg_segment_ptr 1
		.amdhsa_user_sgpr_dispatch_id 0
		.amdhsa_user_sgpr_flat_scratch_init 0
		.amdhsa_user_sgpr_kernarg_preload_length 0
		.amdhsa_user_sgpr_kernarg_preload_offset 0
		.amdhsa_user_sgpr_private_segment_size 0
		.amdhsa_uses_dynamic_stack 0
		.amdhsa_system_sgpr_private_segment_wavefront_offset 0
		.amdhsa_system_sgpr_workgroup_id_x 1
		.amdhsa_system_sgpr_workgroup_id_y 0
		.amdhsa_system_sgpr_workgroup_id_z 0
		.amdhsa_system_sgpr_workgroup_info 0
		.amdhsa_system_vgpr_workitem_id 0
		.amdhsa_next_free_vgpr 1
		.amdhsa_next_free_sgpr 0
		.amdhsa_accum_offset 4
		.amdhsa_reserve_vcc 0
		.amdhsa_reserve_flat_scratch 0
		.amdhsa_float_round_mode_32 0
		.amdhsa_float_round_mode_16_64 0
		.amdhsa_float_denorm_mode_32 3
		.amdhsa_float_denorm_mode_16_64 3
		.amdhsa_dx10_clamp 1
		.amdhsa_ieee_mode 1
		.amdhsa_fp16_overflow 0
		.amdhsa_tg_split 0
		.amdhsa_exception_fp_ieee_invalid_op 0
		.amdhsa_exception_fp_denorm_src 0
		.amdhsa_exception_fp_ieee_div_zero 0
		.amdhsa_exception_fp_ieee_overflow 0
		.amdhsa_exception_fp_ieee_underflow 0
		.amdhsa_exception_fp_ieee_inexact 0
		.amdhsa_exception_int_div_zero 0
	.end_amdhsa_kernel
	.section	.text._ZN7rocprim17ROCPRIM_400000_NS6detail17trampoline_kernelINS0_14default_configENS1_29reduce_by_key_config_selectorIiiN6thrust23THRUST_200600_302600_NS4plusIiEEEEZZNS1_33reduce_by_key_impl_wrapped_configILNS1_25lookback_scan_determinismE0ES3_S9_NS6_10device_ptrIiEESD_SD_SD_PmS8_NS6_8equal_toIiEEEE10hipError_tPvRmT2_T3_mT4_T5_T6_T7_T8_P12ihipStream_tbENKUlT_T0_E_clISt17integral_constantIbLb1EESY_EEDaST_SU_EUlST_E_NS1_11comp_targetILNS1_3genE10ELNS1_11target_archE1201ELNS1_3gpuE5ELNS1_3repE0EEENS1_30default_config_static_selectorELNS0_4arch9wavefront6targetE1EEEvT1_,"axG",@progbits,_ZN7rocprim17ROCPRIM_400000_NS6detail17trampoline_kernelINS0_14default_configENS1_29reduce_by_key_config_selectorIiiN6thrust23THRUST_200600_302600_NS4plusIiEEEEZZNS1_33reduce_by_key_impl_wrapped_configILNS1_25lookback_scan_determinismE0ES3_S9_NS6_10device_ptrIiEESD_SD_SD_PmS8_NS6_8equal_toIiEEEE10hipError_tPvRmT2_T3_mT4_T5_T6_T7_T8_P12ihipStream_tbENKUlT_T0_E_clISt17integral_constantIbLb1EESY_EEDaST_SU_EUlST_E_NS1_11comp_targetILNS1_3genE10ELNS1_11target_archE1201ELNS1_3gpuE5ELNS1_3repE0EEENS1_30default_config_static_selectorELNS0_4arch9wavefront6targetE1EEEvT1_,comdat
.Lfunc_end1108:
	.size	_ZN7rocprim17ROCPRIM_400000_NS6detail17trampoline_kernelINS0_14default_configENS1_29reduce_by_key_config_selectorIiiN6thrust23THRUST_200600_302600_NS4plusIiEEEEZZNS1_33reduce_by_key_impl_wrapped_configILNS1_25lookback_scan_determinismE0ES3_S9_NS6_10device_ptrIiEESD_SD_SD_PmS8_NS6_8equal_toIiEEEE10hipError_tPvRmT2_T3_mT4_T5_T6_T7_T8_P12ihipStream_tbENKUlT_T0_E_clISt17integral_constantIbLb1EESY_EEDaST_SU_EUlST_E_NS1_11comp_targetILNS1_3genE10ELNS1_11target_archE1201ELNS1_3gpuE5ELNS1_3repE0EEENS1_30default_config_static_selectorELNS0_4arch9wavefront6targetE1EEEvT1_, .Lfunc_end1108-_ZN7rocprim17ROCPRIM_400000_NS6detail17trampoline_kernelINS0_14default_configENS1_29reduce_by_key_config_selectorIiiN6thrust23THRUST_200600_302600_NS4plusIiEEEEZZNS1_33reduce_by_key_impl_wrapped_configILNS1_25lookback_scan_determinismE0ES3_S9_NS6_10device_ptrIiEESD_SD_SD_PmS8_NS6_8equal_toIiEEEE10hipError_tPvRmT2_T3_mT4_T5_T6_T7_T8_P12ihipStream_tbENKUlT_T0_E_clISt17integral_constantIbLb1EESY_EEDaST_SU_EUlST_E_NS1_11comp_targetILNS1_3genE10ELNS1_11target_archE1201ELNS1_3gpuE5ELNS1_3repE0EEENS1_30default_config_static_selectorELNS0_4arch9wavefront6targetE1EEEvT1_
                                        ; -- End function
	.section	.AMDGPU.csdata,"",@progbits
; Kernel info:
; codeLenInByte = 0
; NumSgprs: 4
; NumVgprs: 0
; NumAgprs: 0
; TotalNumVgprs: 0
; ScratchSize: 0
; MemoryBound: 0
; FloatMode: 240
; IeeeMode: 1
; LDSByteSize: 0 bytes/workgroup (compile time only)
; SGPRBlocks: 0
; VGPRBlocks: 0
; NumSGPRsForWavesPerEU: 4
; NumVGPRsForWavesPerEU: 1
; AccumOffset: 4
; Occupancy: 8
; WaveLimiterHint : 0
; COMPUTE_PGM_RSRC2:SCRATCH_EN: 0
; COMPUTE_PGM_RSRC2:USER_SGPR: 6
; COMPUTE_PGM_RSRC2:TRAP_HANDLER: 0
; COMPUTE_PGM_RSRC2:TGID_X_EN: 1
; COMPUTE_PGM_RSRC2:TGID_Y_EN: 0
; COMPUTE_PGM_RSRC2:TGID_Z_EN: 0
; COMPUTE_PGM_RSRC2:TIDIG_COMP_CNT: 0
; COMPUTE_PGM_RSRC3_GFX90A:ACCUM_OFFSET: 0
; COMPUTE_PGM_RSRC3_GFX90A:TG_SPLIT: 0
	.section	.text._ZN7rocprim17ROCPRIM_400000_NS6detail17trampoline_kernelINS0_14default_configENS1_29reduce_by_key_config_selectorIiiN6thrust23THRUST_200600_302600_NS4plusIiEEEEZZNS1_33reduce_by_key_impl_wrapped_configILNS1_25lookback_scan_determinismE0ES3_S9_NS6_10device_ptrIiEESD_SD_SD_PmS8_NS6_8equal_toIiEEEE10hipError_tPvRmT2_T3_mT4_T5_T6_T7_T8_P12ihipStream_tbENKUlT_T0_E_clISt17integral_constantIbLb1EESY_EEDaST_SU_EUlST_E_NS1_11comp_targetILNS1_3genE10ELNS1_11target_archE1200ELNS1_3gpuE4ELNS1_3repE0EEENS1_30default_config_static_selectorELNS0_4arch9wavefront6targetE1EEEvT1_,"axG",@progbits,_ZN7rocprim17ROCPRIM_400000_NS6detail17trampoline_kernelINS0_14default_configENS1_29reduce_by_key_config_selectorIiiN6thrust23THRUST_200600_302600_NS4plusIiEEEEZZNS1_33reduce_by_key_impl_wrapped_configILNS1_25lookback_scan_determinismE0ES3_S9_NS6_10device_ptrIiEESD_SD_SD_PmS8_NS6_8equal_toIiEEEE10hipError_tPvRmT2_T3_mT4_T5_T6_T7_T8_P12ihipStream_tbENKUlT_T0_E_clISt17integral_constantIbLb1EESY_EEDaST_SU_EUlST_E_NS1_11comp_targetILNS1_3genE10ELNS1_11target_archE1200ELNS1_3gpuE4ELNS1_3repE0EEENS1_30default_config_static_selectorELNS0_4arch9wavefront6targetE1EEEvT1_,comdat
	.protected	_ZN7rocprim17ROCPRIM_400000_NS6detail17trampoline_kernelINS0_14default_configENS1_29reduce_by_key_config_selectorIiiN6thrust23THRUST_200600_302600_NS4plusIiEEEEZZNS1_33reduce_by_key_impl_wrapped_configILNS1_25lookback_scan_determinismE0ES3_S9_NS6_10device_ptrIiEESD_SD_SD_PmS8_NS6_8equal_toIiEEEE10hipError_tPvRmT2_T3_mT4_T5_T6_T7_T8_P12ihipStream_tbENKUlT_T0_E_clISt17integral_constantIbLb1EESY_EEDaST_SU_EUlST_E_NS1_11comp_targetILNS1_3genE10ELNS1_11target_archE1200ELNS1_3gpuE4ELNS1_3repE0EEENS1_30default_config_static_selectorELNS0_4arch9wavefront6targetE1EEEvT1_ ; -- Begin function _ZN7rocprim17ROCPRIM_400000_NS6detail17trampoline_kernelINS0_14default_configENS1_29reduce_by_key_config_selectorIiiN6thrust23THRUST_200600_302600_NS4plusIiEEEEZZNS1_33reduce_by_key_impl_wrapped_configILNS1_25lookback_scan_determinismE0ES3_S9_NS6_10device_ptrIiEESD_SD_SD_PmS8_NS6_8equal_toIiEEEE10hipError_tPvRmT2_T3_mT4_T5_T6_T7_T8_P12ihipStream_tbENKUlT_T0_E_clISt17integral_constantIbLb1EESY_EEDaST_SU_EUlST_E_NS1_11comp_targetILNS1_3genE10ELNS1_11target_archE1200ELNS1_3gpuE4ELNS1_3repE0EEENS1_30default_config_static_selectorELNS0_4arch9wavefront6targetE1EEEvT1_
	.globl	_ZN7rocprim17ROCPRIM_400000_NS6detail17trampoline_kernelINS0_14default_configENS1_29reduce_by_key_config_selectorIiiN6thrust23THRUST_200600_302600_NS4plusIiEEEEZZNS1_33reduce_by_key_impl_wrapped_configILNS1_25lookback_scan_determinismE0ES3_S9_NS6_10device_ptrIiEESD_SD_SD_PmS8_NS6_8equal_toIiEEEE10hipError_tPvRmT2_T3_mT4_T5_T6_T7_T8_P12ihipStream_tbENKUlT_T0_E_clISt17integral_constantIbLb1EESY_EEDaST_SU_EUlST_E_NS1_11comp_targetILNS1_3genE10ELNS1_11target_archE1200ELNS1_3gpuE4ELNS1_3repE0EEENS1_30default_config_static_selectorELNS0_4arch9wavefront6targetE1EEEvT1_
	.p2align	8
	.type	_ZN7rocprim17ROCPRIM_400000_NS6detail17trampoline_kernelINS0_14default_configENS1_29reduce_by_key_config_selectorIiiN6thrust23THRUST_200600_302600_NS4plusIiEEEEZZNS1_33reduce_by_key_impl_wrapped_configILNS1_25lookback_scan_determinismE0ES3_S9_NS6_10device_ptrIiEESD_SD_SD_PmS8_NS6_8equal_toIiEEEE10hipError_tPvRmT2_T3_mT4_T5_T6_T7_T8_P12ihipStream_tbENKUlT_T0_E_clISt17integral_constantIbLb1EESY_EEDaST_SU_EUlST_E_NS1_11comp_targetILNS1_3genE10ELNS1_11target_archE1200ELNS1_3gpuE4ELNS1_3repE0EEENS1_30default_config_static_selectorELNS0_4arch9wavefront6targetE1EEEvT1_,@function
_ZN7rocprim17ROCPRIM_400000_NS6detail17trampoline_kernelINS0_14default_configENS1_29reduce_by_key_config_selectorIiiN6thrust23THRUST_200600_302600_NS4plusIiEEEEZZNS1_33reduce_by_key_impl_wrapped_configILNS1_25lookback_scan_determinismE0ES3_S9_NS6_10device_ptrIiEESD_SD_SD_PmS8_NS6_8equal_toIiEEEE10hipError_tPvRmT2_T3_mT4_T5_T6_T7_T8_P12ihipStream_tbENKUlT_T0_E_clISt17integral_constantIbLb1EESY_EEDaST_SU_EUlST_E_NS1_11comp_targetILNS1_3genE10ELNS1_11target_archE1200ELNS1_3gpuE4ELNS1_3repE0EEENS1_30default_config_static_selectorELNS0_4arch9wavefront6targetE1EEEvT1_: ; @_ZN7rocprim17ROCPRIM_400000_NS6detail17trampoline_kernelINS0_14default_configENS1_29reduce_by_key_config_selectorIiiN6thrust23THRUST_200600_302600_NS4plusIiEEEEZZNS1_33reduce_by_key_impl_wrapped_configILNS1_25lookback_scan_determinismE0ES3_S9_NS6_10device_ptrIiEESD_SD_SD_PmS8_NS6_8equal_toIiEEEE10hipError_tPvRmT2_T3_mT4_T5_T6_T7_T8_P12ihipStream_tbENKUlT_T0_E_clISt17integral_constantIbLb1EESY_EEDaST_SU_EUlST_E_NS1_11comp_targetILNS1_3genE10ELNS1_11target_archE1200ELNS1_3gpuE4ELNS1_3repE0EEENS1_30default_config_static_selectorELNS0_4arch9wavefront6targetE1EEEvT1_
; %bb.0:
	.section	.rodata,"a",@progbits
	.p2align	6, 0x0
	.amdhsa_kernel _ZN7rocprim17ROCPRIM_400000_NS6detail17trampoline_kernelINS0_14default_configENS1_29reduce_by_key_config_selectorIiiN6thrust23THRUST_200600_302600_NS4plusIiEEEEZZNS1_33reduce_by_key_impl_wrapped_configILNS1_25lookback_scan_determinismE0ES3_S9_NS6_10device_ptrIiEESD_SD_SD_PmS8_NS6_8equal_toIiEEEE10hipError_tPvRmT2_T3_mT4_T5_T6_T7_T8_P12ihipStream_tbENKUlT_T0_E_clISt17integral_constantIbLb1EESY_EEDaST_SU_EUlST_E_NS1_11comp_targetILNS1_3genE10ELNS1_11target_archE1200ELNS1_3gpuE4ELNS1_3repE0EEENS1_30default_config_static_selectorELNS0_4arch9wavefront6targetE1EEEvT1_
		.amdhsa_group_segment_fixed_size 0
		.amdhsa_private_segment_fixed_size 0
		.amdhsa_kernarg_size 120
		.amdhsa_user_sgpr_count 6
		.amdhsa_user_sgpr_private_segment_buffer 1
		.amdhsa_user_sgpr_dispatch_ptr 0
		.amdhsa_user_sgpr_queue_ptr 0
		.amdhsa_user_sgpr_kernarg_segment_ptr 1
		.amdhsa_user_sgpr_dispatch_id 0
		.amdhsa_user_sgpr_flat_scratch_init 0
		.amdhsa_user_sgpr_kernarg_preload_length 0
		.amdhsa_user_sgpr_kernarg_preload_offset 0
		.amdhsa_user_sgpr_private_segment_size 0
		.amdhsa_uses_dynamic_stack 0
		.amdhsa_system_sgpr_private_segment_wavefront_offset 0
		.amdhsa_system_sgpr_workgroup_id_x 1
		.amdhsa_system_sgpr_workgroup_id_y 0
		.amdhsa_system_sgpr_workgroup_id_z 0
		.amdhsa_system_sgpr_workgroup_info 0
		.amdhsa_system_vgpr_workitem_id 0
		.amdhsa_next_free_vgpr 1
		.amdhsa_next_free_sgpr 0
		.amdhsa_accum_offset 4
		.amdhsa_reserve_vcc 0
		.amdhsa_reserve_flat_scratch 0
		.amdhsa_float_round_mode_32 0
		.amdhsa_float_round_mode_16_64 0
		.amdhsa_float_denorm_mode_32 3
		.amdhsa_float_denorm_mode_16_64 3
		.amdhsa_dx10_clamp 1
		.amdhsa_ieee_mode 1
		.amdhsa_fp16_overflow 0
		.amdhsa_tg_split 0
		.amdhsa_exception_fp_ieee_invalid_op 0
		.amdhsa_exception_fp_denorm_src 0
		.amdhsa_exception_fp_ieee_div_zero 0
		.amdhsa_exception_fp_ieee_overflow 0
		.amdhsa_exception_fp_ieee_underflow 0
		.amdhsa_exception_fp_ieee_inexact 0
		.amdhsa_exception_int_div_zero 0
	.end_amdhsa_kernel
	.section	.text._ZN7rocprim17ROCPRIM_400000_NS6detail17trampoline_kernelINS0_14default_configENS1_29reduce_by_key_config_selectorIiiN6thrust23THRUST_200600_302600_NS4plusIiEEEEZZNS1_33reduce_by_key_impl_wrapped_configILNS1_25lookback_scan_determinismE0ES3_S9_NS6_10device_ptrIiEESD_SD_SD_PmS8_NS6_8equal_toIiEEEE10hipError_tPvRmT2_T3_mT4_T5_T6_T7_T8_P12ihipStream_tbENKUlT_T0_E_clISt17integral_constantIbLb1EESY_EEDaST_SU_EUlST_E_NS1_11comp_targetILNS1_3genE10ELNS1_11target_archE1200ELNS1_3gpuE4ELNS1_3repE0EEENS1_30default_config_static_selectorELNS0_4arch9wavefront6targetE1EEEvT1_,"axG",@progbits,_ZN7rocprim17ROCPRIM_400000_NS6detail17trampoline_kernelINS0_14default_configENS1_29reduce_by_key_config_selectorIiiN6thrust23THRUST_200600_302600_NS4plusIiEEEEZZNS1_33reduce_by_key_impl_wrapped_configILNS1_25lookback_scan_determinismE0ES3_S9_NS6_10device_ptrIiEESD_SD_SD_PmS8_NS6_8equal_toIiEEEE10hipError_tPvRmT2_T3_mT4_T5_T6_T7_T8_P12ihipStream_tbENKUlT_T0_E_clISt17integral_constantIbLb1EESY_EEDaST_SU_EUlST_E_NS1_11comp_targetILNS1_3genE10ELNS1_11target_archE1200ELNS1_3gpuE4ELNS1_3repE0EEENS1_30default_config_static_selectorELNS0_4arch9wavefront6targetE1EEEvT1_,comdat
.Lfunc_end1109:
	.size	_ZN7rocprim17ROCPRIM_400000_NS6detail17trampoline_kernelINS0_14default_configENS1_29reduce_by_key_config_selectorIiiN6thrust23THRUST_200600_302600_NS4plusIiEEEEZZNS1_33reduce_by_key_impl_wrapped_configILNS1_25lookback_scan_determinismE0ES3_S9_NS6_10device_ptrIiEESD_SD_SD_PmS8_NS6_8equal_toIiEEEE10hipError_tPvRmT2_T3_mT4_T5_T6_T7_T8_P12ihipStream_tbENKUlT_T0_E_clISt17integral_constantIbLb1EESY_EEDaST_SU_EUlST_E_NS1_11comp_targetILNS1_3genE10ELNS1_11target_archE1200ELNS1_3gpuE4ELNS1_3repE0EEENS1_30default_config_static_selectorELNS0_4arch9wavefront6targetE1EEEvT1_, .Lfunc_end1109-_ZN7rocprim17ROCPRIM_400000_NS6detail17trampoline_kernelINS0_14default_configENS1_29reduce_by_key_config_selectorIiiN6thrust23THRUST_200600_302600_NS4plusIiEEEEZZNS1_33reduce_by_key_impl_wrapped_configILNS1_25lookback_scan_determinismE0ES3_S9_NS6_10device_ptrIiEESD_SD_SD_PmS8_NS6_8equal_toIiEEEE10hipError_tPvRmT2_T3_mT4_T5_T6_T7_T8_P12ihipStream_tbENKUlT_T0_E_clISt17integral_constantIbLb1EESY_EEDaST_SU_EUlST_E_NS1_11comp_targetILNS1_3genE10ELNS1_11target_archE1200ELNS1_3gpuE4ELNS1_3repE0EEENS1_30default_config_static_selectorELNS0_4arch9wavefront6targetE1EEEvT1_
                                        ; -- End function
	.section	.AMDGPU.csdata,"",@progbits
; Kernel info:
; codeLenInByte = 0
; NumSgprs: 4
; NumVgprs: 0
; NumAgprs: 0
; TotalNumVgprs: 0
; ScratchSize: 0
; MemoryBound: 0
; FloatMode: 240
; IeeeMode: 1
; LDSByteSize: 0 bytes/workgroup (compile time only)
; SGPRBlocks: 0
; VGPRBlocks: 0
; NumSGPRsForWavesPerEU: 4
; NumVGPRsForWavesPerEU: 1
; AccumOffset: 4
; Occupancy: 8
; WaveLimiterHint : 0
; COMPUTE_PGM_RSRC2:SCRATCH_EN: 0
; COMPUTE_PGM_RSRC2:USER_SGPR: 6
; COMPUTE_PGM_RSRC2:TRAP_HANDLER: 0
; COMPUTE_PGM_RSRC2:TGID_X_EN: 1
; COMPUTE_PGM_RSRC2:TGID_Y_EN: 0
; COMPUTE_PGM_RSRC2:TGID_Z_EN: 0
; COMPUTE_PGM_RSRC2:TIDIG_COMP_CNT: 0
; COMPUTE_PGM_RSRC3_GFX90A:ACCUM_OFFSET: 0
; COMPUTE_PGM_RSRC3_GFX90A:TG_SPLIT: 0
	.section	.text._ZN7rocprim17ROCPRIM_400000_NS6detail17trampoline_kernelINS0_14default_configENS1_29reduce_by_key_config_selectorIiiN6thrust23THRUST_200600_302600_NS4plusIiEEEEZZNS1_33reduce_by_key_impl_wrapped_configILNS1_25lookback_scan_determinismE0ES3_S9_NS6_10device_ptrIiEESD_SD_SD_PmS8_NS6_8equal_toIiEEEE10hipError_tPvRmT2_T3_mT4_T5_T6_T7_T8_P12ihipStream_tbENKUlT_T0_E_clISt17integral_constantIbLb1EESY_EEDaST_SU_EUlST_E_NS1_11comp_targetILNS1_3genE9ELNS1_11target_archE1100ELNS1_3gpuE3ELNS1_3repE0EEENS1_30default_config_static_selectorELNS0_4arch9wavefront6targetE1EEEvT1_,"axG",@progbits,_ZN7rocprim17ROCPRIM_400000_NS6detail17trampoline_kernelINS0_14default_configENS1_29reduce_by_key_config_selectorIiiN6thrust23THRUST_200600_302600_NS4plusIiEEEEZZNS1_33reduce_by_key_impl_wrapped_configILNS1_25lookback_scan_determinismE0ES3_S9_NS6_10device_ptrIiEESD_SD_SD_PmS8_NS6_8equal_toIiEEEE10hipError_tPvRmT2_T3_mT4_T5_T6_T7_T8_P12ihipStream_tbENKUlT_T0_E_clISt17integral_constantIbLb1EESY_EEDaST_SU_EUlST_E_NS1_11comp_targetILNS1_3genE9ELNS1_11target_archE1100ELNS1_3gpuE3ELNS1_3repE0EEENS1_30default_config_static_selectorELNS0_4arch9wavefront6targetE1EEEvT1_,comdat
	.protected	_ZN7rocprim17ROCPRIM_400000_NS6detail17trampoline_kernelINS0_14default_configENS1_29reduce_by_key_config_selectorIiiN6thrust23THRUST_200600_302600_NS4plusIiEEEEZZNS1_33reduce_by_key_impl_wrapped_configILNS1_25lookback_scan_determinismE0ES3_S9_NS6_10device_ptrIiEESD_SD_SD_PmS8_NS6_8equal_toIiEEEE10hipError_tPvRmT2_T3_mT4_T5_T6_T7_T8_P12ihipStream_tbENKUlT_T0_E_clISt17integral_constantIbLb1EESY_EEDaST_SU_EUlST_E_NS1_11comp_targetILNS1_3genE9ELNS1_11target_archE1100ELNS1_3gpuE3ELNS1_3repE0EEENS1_30default_config_static_selectorELNS0_4arch9wavefront6targetE1EEEvT1_ ; -- Begin function _ZN7rocprim17ROCPRIM_400000_NS6detail17trampoline_kernelINS0_14default_configENS1_29reduce_by_key_config_selectorIiiN6thrust23THRUST_200600_302600_NS4plusIiEEEEZZNS1_33reduce_by_key_impl_wrapped_configILNS1_25lookback_scan_determinismE0ES3_S9_NS6_10device_ptrIiEESD_SD_SD_PmS8_NS6_8equal_toIiEEEE10hipError_tPvRmT2_T3_mT4_T5_T6_T7_T8_P12ihipStream_tbENKUlT_T0_E_clISt17integral_constantIbLb1EESY_EEDaST_SU_EUlST_E_NS1_11comp_targetILNS1_3genE9ELNS1_11target_archE1100ELNS1_3gpuE3ELNS1_3repE0EEENS1_30default_config_static_selectorELNS0_4arch9wavefront6targetE1EEEvT1_
	.globl	_ZN7rocprim17ROCPRIM_400000_NS6detail17trampoline_kernelINS0_14default_configENS1_29reduce_by_key_config_selectorIiiN6thrust23THRUST_200600_302600_NS4plusIiEEEEZZNS1_33reduce_by_key_impl_wrapped_configILNS1_25lookback_scan_determinismE0ES3_S9_NS6_10device_ptrIiEESD_SD_SD_PmS8_NS6_8equal_toIiEEEE10hipError_tPvRmT2_T3_mT4_T5_T6_T7_T8_P12ihipStream_tbENKUlT_T0_E_clISt17integral_constantIbLb1EESY_EEDaST_SU_EUlST_E_NS1_11comp_targetILNS1_3genE9ELNS1_11target_archE1100ELNS1_3gpuE3ELNS1_3repE0EEENS1_30default_config_static_selectorELNS0_4arch9wavefront6targetE1EEEvT1_
	.p2align	8
	.type	_ZN7rocprim17ROCPRIM_400000_NS6detail17trampoline_kernelINS0_14default_configENS1_29reduce_by_key_config_selectorIiiN6thrust23THRUST_200600_302600_NS4plusIiEEEEZZNS1_33reduce_by_key_impl_wrapped_configILNS1_25lookback_scan_determinismE0ES3_S9_NS6_10device_ptrIiEESD_SD_SD_PmS8_NS6_8equal_toIiEEEE10hipError_tPvRmT2_T3_mT4_T5_T6_T7_T8_P12ihipStream_tbENKUlT_T0_E_clISt17integral_constantIbLb1EESY_EEDaST_SU_EUlST_E_NS1_11comp_targetILNS1_3genE9ELNS1_11target_archE1100ELNS1_3gpuE3ELNS1_3repE0EEENS1_30default_config_static_selectorELNS0_4arch9wavefront6targetE1EEEvT1_,@function
_ZN7rocprim17ROCPRIM_400000_NS6detail17trampoline_kernelINS0_14default_configENS1_29reduce_by_key_config_selectorIiiN6thrust23THRUST_200600_302600_NS4plusIiEEEEZZNS1_33reduce_by_key_impl_wrapped_configILNS1_25lookback_scan_determinismE0ES3_S9_NS6_10device_ptrIiEESD_SD_SD_PmS8_NS6_8equal_toIiEEEE10hipError_tPvRmT2_T3_mT4_T5_T6_T7_T8_P12ihipStream_tbENKUlT_T0_E_clISt17integral_constantIbLb1EESY_EEDaST_SU_EUlST_E_NS1_11comp_targetILNS1_3genE9ELNS1_11target_archE1100ELNS1_3gpuE3ELNS1_3repE0EEENS1_30default_config_static_selectorELNS0_4arch9wavefront6targetE1EEEvT1_: ; @_ZN7rocprim17ROCPRIM_400000_NS6detail17trampoline_kernelINS0_14default_configENS1_29reduce_by_key_config_selectorIiiN6thrust23THRUST_200600_302600_NS4plusIiEEEEZZNS1_33reduce_by_key_impl_wrapped_configILNS1_25lookback_scan_determinismE0ES3_S9_NS6_10device_ptrIiEESD_SD_SD_PmS8_NS6_8equal_toIiEEEE10hipError_tPvRmT2_T3_mT4_T5_T6_T7_T8_P12ihipStream_tbENKUlT_T0_E_clISt17integral_constantIbLb1EESY_EEDaST_SU_EUlST_E_NS1_11comp_targetILNS1_3genE9ELNS1_11target_archE1100ELNS1_3gpuE3ELNS1_3repE0EEENS1_30default_config_static_selectorELNS0_4arch9wavefront6targetE1EEEvT1_
; %bb.0:
	.section	.rodata,"a",@progbits
	.p2align	6, 0x0
	.amdhsa_kernel _ZN7rocprim17ROCPRIM_400000_NS6detail17trampoline_kernelINS0_14default_configENS1_29reduce_by_key_config_selectorIiiN6thrust23THRUST_200600_302600_NS4plusIiEEEEZZNS1_33reduce_by_key_impl_wrapped_configILNS1_25lookback_scan_determinismE0ES3_S9_NS6_10device_ptrIiEESD_SD_SD_PmS8_NS6_8equal_toIiEEEE10hipError_tPvRmT2_T3_mT4_T5_T6_T7_T8_P12ihipStream_tbENKUlT_T0_E_clISt17integral_constantIbLb1EESY_EEDaST_SU_EUlST_E_NS1_11comp_targetILNS1_3genE9ELNS1_11target_archE1100ELNS1_3gpuE3ELNS1_3repE0EEENS1_30default_config_static_selectorELNS0_4arch9wavefront6targetE1EEEvT1_
		.amdhsa_group_segment_fixed_size 0
		.amdhsa_private_segment_fixed_size 0
		.amdhsa_kernarg_size 120
		.amdhsa_user_sgpr_count 6
		.amdhsa_user_sgpr_private_segment_buffer 1
		.amdhsa_user_sgpr_dispatch_ptr 0
		.amdhsa_user_sgpr_queue_ptr 0
		.amdhsa_user_sgpr_kernarg_segment_ptr 1
		.amdhsa_user_sgpr_dispatch_id 0
		.amdhsa_user_sgpr_flat_scratch_init 0
		.amdhsa_user_sgpr_kernarg_preload_length 0
		.amdhsa_user_sgpr_kernarg_preload_offset 0
		.amdhsa_user_sgpr_private_segment_size 0
		.amdhsa_uses_dynamic_stack 0
		.amdhsa_system_sgpr_private_segment_wavefront_offset 0
		.amdhsa_system_sgpr_workgroup_id_x 1
		.amdhsa_system_sgpr_workgroup_id_y 0
		.amdhsa_system_sgpr_workgroup_id_z 0
		.amdhsa_system_sgpr_workgroup_info 0
		.amdhsa_system_vgpr_workitem_id 0
		.amdhsa_next_free_vgpr 1
		.amdhsa_next_free_sgpr 0
		.amdhsa_accum_offset 4
		.amdhsa_reserve_vcc 0
		.amdhsa_reserve_flat_scratch 0
		.amdhsa_float_round_mode_32 0
		.amdhsa_float_round_mode_16_64 0
		.amdhsa_float_denorm_mode_32 3
		.amdhsa_float_denorm_mode_16_64 3
		.amdhsa_dx10_clamp 1
		.amdhsa_ieee_mode 1
		.amdhsa_fp16_overflow 0
		.amdhsa_tg_split 0
		.amdhsa_exception_fp_ieee_invalid_op 0
		.amdhsa_exception_fp_denorm_src 0
		.amdhsa_exception_fp_ieee_div_zero 0
		.amdhsa_exception_fp_ieee_overflow 0
		.amdhsa_exception_fp_ieee_underflow 0
		.amdhsa_exception_fp_ieee_inexact 0
		.amdhsa_exception_int_div_zero 0
	.end_amdhsa_kernel
	.section	.text._ZN7rocprim17ROCPRIM_400000_NS6detail17trampoline_kernelINS0_14default_configENS1_29reduce_by_key_config_selectorIiiN6thrust23THRUST_200600_302600_NS4plusIiEEEEZZNS1_33reduce_by_key_impl_wrapped_configILNS1_25lookback_scan_determinismE0ES3_S9_NS6_10device_ptrIiEESD_SD_SD_PmS8_NS6_8equal_toIiEEEE10hipError_tPvRmT2_T3_mT4_T5_T6_T7_T8_P12ihipStream_tbENKUlT_T0_E_clISt17integral_constantIbLb1EESY_EEDaST_SU_EUlST_E_NS1_11comp_targetILNS1_3genE9ELNS1_11target_archE1100ELNS1_3gpuE3ELNS1_3repE0EEENS1_30default_config_static_selectorELNS0_4arch9wavefront6targetE1EEEvT1_,"axG",@progbits,_ZN7rocprim17ROCPRIM_400000_NS6detail17trampoline_kernelINS0_14default_configENS1_29reduce_by_key_config_selectorIiiN6thrust23THRUST_200600_302600_NS4plusIiEEEEZZNS1_33reduce_by_key_impl_wrapped_configILNS1_25lookback_scan_determinismE0ES3_S9_NS6_10device_ptrIiEESD_SD_SD_PmS8_NS6_8equal_toIiEEEE10hipError_tPvRmT2_T3_mT4_T5_T6_T7_T8_P12ihipStream_tbENKUlT_T0_E_clISt17integral_constantIbLb1EESY_EEDaST_SU_EUlST_E_NS1_11comp_targetILNS1_3genE9ELNS1_11target_archE1100ELNS1_3gpuE3ELNS1_3repE0EEENS1_30default_config_static_selectorELNS0_4arch9wavefront6targetE1EEEvT1_,comdat
.Lfunc_end1110:
	.size	_ZN7rocprim17ROCPRIM_400000_NS6detail17trampoline_kernelINS0_14default_configENS1_29reduce_by_key_config_selectorIiiN6thrust23THRUST_200600_302600_NS4plusIiEEEEZZNS1_33reduce_by_key_impl_wrapped_configILNS1_25lookback_scan_determinismE0ES3_S9_NS6_10device_ptrIiEESD_SD_SD_PmS8_NS6_8equal_toIiEEEE10hipError_tPvRmT2_T3_mT4_T5_T6_T7_T8_P12ihipStream_tbENKUlT_T0_E_clISt17integral_constantIbLb1EESY_EEDaST_SU_EUlST_E_NS1_11comp_targetILNS1_3genE9ELNS1_11target_archE1100ELNS1_3gpuE3ELNS1_3repE0EEENS1_30default_config_static_selectorELNS0_4arch9wavefront6targetE1EEEvT1_, .Lfunc_end1110-_ZN7rocprim17ROCPRIM_400000_NS6detail17trampoline_kernelINS0_14default_configENS1_29reduce_by_key_config_selectorIiiN6thrust23THRUST_200600_302600_NS4plusIiEEEEZZNS1_33reduce_by_key_impl_wrapped_configILNS1_25lookback_scan_determinismE0ES3_S9_NS6_10device_ptrIiEESD_SD_SD_PmS8_NS6_8equal_toIiEEEE10hipError_tPvRmT2_T3_mT4_T5_T6_T7_T8_P12ihipStream_tbENKUlT_T0_E_clISt17integral_constantIbLb1EESY_EEDaST_SU_EUlST_E_NS1_11comp_targetILNS1_3genE9ELNS1_11target_archE1100ELNS1_3gpuE3ELNS1_3repE0EEENS1_30default_config_static_selectorELNS0_4arch9wavefront6targetE1EEEvT1_
                                        ; -- End function
	.section	.AMDGPU.csdata,"",@progbits
; Kernel info:
; codeLenInByte = 0
; NumSgprs: 4
; NumVgprs: 0
; NumAgprs: 0
; TotalNumVgprs: 0
; ScratchSize: 0
; MemoryBound: 0
; FloatMode: 240
; IeeeMode: 1
; LDSByteSize: 0 bytes/workgroup (compile time only)
; SGPRBlocks: 0
; VGPRBlocks: 0
; NumSGPRsForWavesPerEU: 4
; NumVGPRsForWavesPerEU: 1
; AccumOffset: 4
; Occupancy: 8
; WaveLimiterHint : 0
; COMPUTE_PGM_RSRC2:SCRATCH_EN: 0
; COMPUTE_PGM_RSRC2:USER_SGPR: 6
; COMPUTE_PGM_RSRC2:TRAP_HANDLER: 0
; COMPUTE_PGM_RSRC2:TGID_X_EN: 1
; COMPUTE_PGM_RSRC2:TGID_Y_EN: 0
; COMPUTE_PGM_RSRC2:TGID_Z_EN: 0
; COMPUTE_PGM_RSRC2:TIDIG_COMP_CNT: 0
; COMPUTE_PGM_RSRC3_GFX90A:ACCUM_OFFSET: 0
; COMPUTE_PGM_RSRC3_GFX90A:TG_SPLIT: 0
	.section	.text._ZN7rocprim17ROCPRIM_400000_NS6detail17trampoline_kernelINS0_14default_configENS1_29reduce_by_key_config_selectorIiiN6thrust23THRUST_200600_302600_NS4plusIiEEEEZZNS1_33reduce_by_key_impl_wrapped_configILNS1_25lookback_scan_determinismE0ES3_S9_NS6_10device_ptrIiEESD_SD_SD_PmS8_NS6_8equal_toIiEEEE10hipError_tPvRmT2_T3_mT4_T5_T6_T7_T8_P12ihipStream_tbENKUlT_T0_E_clISt17integral_constantIbLb1EESY_EEDaST_SU_EUlST_E_NS1_11comp_targetILNS1_3genE8ELNS1_11target_archE1030ELNS1_3gpuE2ELNS1_3repE0EEENS1_30default_config_static_selectorELNS0_4arch9wavefront6targetE1EEEvT1_,"axG",@progbits,_ZN7rocprim17ROCPRIM_400000_NS6detail17trampoline_kernelINS0_14default_configENS1_29reduce_by_key_config_selectorIiiN6thrust23THRUST_200600_302600_NS4plusIiEEEEZZNS1_33reduce_by_key_impl_wrapped_configILNS1_25lookback_scan_determinismE0ES3_S9_NS6_10device_ptrIiEESD_SD_SD_PmS8_NS6_8equal_toIiEEEE10hipError_tPvRmT2_T3_mT4_T5_T6_T7_T8_P12ihipStream_tbENKUlT_T0_E_clISt17integral_constantIbLb1EESY_EEDaST_SU_EUlST_E_NS1_11comp_targetILNS1_3genE8ELNS1_11target_archE1030ELNS1_3gpuE2ELNS1_3repE0EEENS1_30default_config_static_selectorELNS0_4arch9wavefront6targetE1EEEvT1_,comdat
	.protected	_ZN7rocprim17ROCPRIM_400000_NS6detail17trampoline_kernelINS0_14default_configENS1_29reduce_by_key_config_selectorIiiN6thrust23THRUST_200600_302600_NS4plusIiEEEEZZNS1_33reduce_by_key_impl_wrapped_configILNS1_25lookback_scan_determinismE0ES3_S9_NS6_10device_ptrIiEESD_SD_SD_PmS8_NS6_8equal_toIiEEEE10hipError_tPvRmT2_T3_mT4_T5_T6_T7_T8_P12ihipStream_tbENKUlT_T0_E_clISt17integral_constantIbLb1EESY_EEDaST_SU_EUlST_E_NS1_11comp_targetILNS1_3genE8ELNS1_11target_archE1030ELNS1_3gpuE2ELNS1_3repE0EEENS1_30default_config_static_selectorELNS0_4arch9wavefront6targetE1EEEvT1_ ; -- Begin function _ZN7rocprim17ROCPRIM_400000_NS6detail17trampoline_kernelINS0_14default_configENS1_29reduce_by_key_config_selectorIiiN6thrust23THRUST_200600_302600_NS4plusIiEEEEZZNS1_33reduce_by_key_impl_wrapped_configILNS1_25lookback_scan_determinismE0ES3_S9_NS6_10device_ptrIiEESD_SD_SD_PmS8_NS6_8equal_toIiEEEE10hipError_tPvRmT2_T3_mT4_T5_T6_T7_T8_P12ihipStream_tbENKUlT_T0_E_clISt17integral_constantIbLb1EESY_EEDaST_SU_EUlST_E_NS1_11comp_targetILNS1_3genE8ELNS1_11target_archE1030ELNS1_3gpuE2ELNS1_3repE0EEENS1_30default_config_static_selectorELNS0_4arch9wavefront6targetE1EEEvT1_
	.globl	_ZN7rocprim17ROCPRIM_400000_NS6detail17trampoline_kernelINS0_14default_configENS1_29reduce_by_key_config_selectorIiiN6thrust23THRUST_200600_302600_NS4plusIiEEEEZZNS1_33reduce_by_key_impl_wrapped_configILNS1_25lookback_scan_determinismE0ES3_S9_NS6_10device_ptrIiEESD_SD_SD_PmS8_NS6_8equal_toIiEEEE10hipError_tPvRmT2_T3_mT4_T5_T6_T7_T8_P12ihipStream_tbENKUlT_T0_E_clISt17integral_constantIbLb1EESY_EEDaST_SU_EUlST_E_NS1_11comp_targetILNS1_3genE8ELNS1_11target_archE1030ELNS1_3gpuE2ELNS1_3repE0EEENS1_30default_config_static_selectorELNS0_4arch9wavefront6targetE1EEEvT1_
	.p2align	8
	.type	_ZN7rocprim17ROCPRIM_400000_NS6detail17trampoline_kernelINS0_14default_configENS1_29reduce_by_key_config_selectorIiiN6thrust23THRUST_200600_302600_NS4plusIiEEEEZZNS1_33reduce_by_key_impl_wrapped_configILNS1_25lookback_scan_determinismE0ES3_S9_NS6_10device_ptrIiEESD_SD_SD_PmS8_NS6_8equal_toIiEEEE10hipError_tPvRmT2_T3_mT4_T5_T6_T7_T8_P12ihipStream_tbENKUlT_T0_E_clISt17integral_constantIbLb1EESY_EEDaST_SU_EUlST_E_NS1_11comp_targetILNS1_3genE8ELNS1_11target_archE1030ELNS1_3gpuE2ELNS1_3repE0EEENS1_30default_config_static_selectorELNS0_4arch9wavefront6targetE1EEEvT1_,@function
_ZN7rocprim17ROCPRIM_400000_NS6detail17trampoline_kernelINS0_14default_configENS1_29reduce_by_key_config_selectorIiiN6thrust23THRUST_200600_302600_NS4plusIiEEEEZZNS1_33reduce_by_key_impl_wrapped_configILNS1_25lookback_scan_determinismE0ES3_S9_NS6_10device_ptrIiEESD_SD_SD_PmS8_NS6_8equal_toIiEEEE10hipError_tPvRmT2_T3_mT4_T5_T6_T7_T8_P12ihipStream_tbENKUlT_T0_E_clISt17integral_constantIbLb1EESY_EEDaST_SU_EUlST_E_NS1_11comp_targetILNS1_3genE8ELNS1_11target_archE1030ELNS1_3gpuE2ELNS1_3repE0EEENS1_30default_config_static_selectorELNS0_4arch9wavefront6targetE1EEEvT1_: ; @_ZN7rocprim17ROCPRIM_400000_NS6detail17trampoline_kernelINS0_14default_configENS1_29reduce_by_key_config_selectorIiiN6thrust23THRUST_200600_302600_NS4plusIiEEEEZZNS1_33reduce_by_key_impl_wrapped_configILNS1_25lookback_scan_determinismE0ES3_S9_NS6_10device_ptrIiEESD_SD_SD_PmS8_NS6_8equal_toIiEEEE10hipError_tPvRmT2_T3_mT4_T5_T6_T7_T8_P12ihipStream_tbENKUlT_T0_E_clISt17integral_constantIbLb1EESY_EEDaST_SU_EUlST_E_NS1_11comp_targetILNS1_3genE8ELNS1_11target_archE1030ELNS1_3gpuE2ELNS1_3repE0EEENS1_30default_config_static_selectorELNS0_4arch9wavefront6targetE1EEEvT1_
; %bb.0:
	.section	.rodata,"a",@progbits
	.p2align	6, 0x0
	.amdhsa_kernel _ZN7rocprim17ROCPRIM_400000_NS6detail17trampoline_kernelINS0_14default_configENS1_29reduce_by_key_config_selectorIiiN6thrust23THRUST_200600_302600_NS4plusIiEEEEZZNS1_33reduce_by_key_impl_wrapped_configILNS1_25lookback_scan_determinismE0ES3_S9_NS6_10device_ptrIiEESD_SD_SD_PmS8_NS6_8equal_toIiEEEE10hipError_tPvRmT2_T3_mT4_T5_T6_T7_T8_P12ihipStream_tbENKUlT_T0_E_clISt17integral_constantIbLb1EESY_EEDaST_SU_EUlST_E_NS1_11comp_targetILNS1_3genE8ELNS1_11target_archE1030ELNS1_3gpuE2ELNS1_3repE0EEENS1_30default_config_static_selectorELNS0_4arch9wavefront6targetE1EEEvT1_
		.amdhsa_group_segment_fixed_size 0
		.amdhsa_private_segment_fixed_size 0
		.amdhsa_kernarg_size 120
		.amdhsa_user_sgpr_count 6
		.amdhsa_user_sgpr_private_segment_buffer 1
		.amdhsa_user_sgpr_dispatch_ptr 0
		.amdhsa_user_sgpr_queue_ptr 0
		.amdhsa_user_sgpr_kernarg_segment_ptr 1
		.amdhsa_user_sgpr_dispatch_id 0
		.amdhsa_user_sgpr_flat_scratch_init 0
		.amdhsa_user_sgpr_kernarg_preload_length 0
		.amdhsa_user_sgpr_kernarg_preload_offset 0
		.amdhsa_user_sgpr_private_segment_size 0
		.amdhsa_uses_dynamic_stack 0
		.amdhsa_system_sgpr_private_segment_wavefront_offset 0
		.amdhsa_system_sgpr_workgroup_id_x 1
		.amdhsa_system_sgpr_workgroup_id_y 0
		.amdhsa_system_sgpr_workgroup_id_z 0
		.amdhsa_system_sgpr_workgroup_info 0
		.amdhsa_system_vgpr_workitem_id 0
		.amdhsa_next_free_vgpr 1
		.amdhsa_next_free_sgpr 0
		.amdhsa_accum_offset 4
		.amdhsa_reserve_vcc 0
		.amdhsa_reserve_flat_scratch 0
		.amdhsa_float_round_mode_32 0
		.amdhsa_float_round_mode_16_64 0
		.amdhsa_float_denorm_mode_32 3
		.amdhsa_float_denorm_mode_16_64 3
		.amdhsa_dx10_clamp 1
		.amdhsa_ieee_mode 1
		.amdhsa_fp16_overflow 0
		.amdhsa_tg_split 0
		.amdhsa_exception_fp_ieee_invalid_op 0
		.amdhsa_exception_fp_denorm_src 0
		.amdhsa_exception_fp_ieee_div_zero 0
		.amdhsa_exception_fp_ieee_overflow 0
		.amdhsa_exception_fp_ieee_underflow 0
		.amdhsa_exception_fp_ieee_inexact 0
		.amdhsa_exception_int_div_zero 0
	.end_amdhsa_kernel
	.section	.text._ZN7rocprim17ROCPRIM_400000_NS6detail17trampoline_kernelINS0_14default_configENS1_29reduce_by_key_config_selectorIiiN6thrust23THRUST_200600_302600_NS4plusIiEEEEZZNS1_33reduce_by_key_impl_wrapped_configILNS1_25lookback_scan_determinismE0ES3_S9_NS6_10device_ptrIiEESD_SD_SD_PmS8_NS6_8equal_toIiEEEE10hipError_tPvRmT2_T3_mT4_T5_T6_T7_T8_P12ihipStream_tbENKUlT_T0_E_clISt17integral_constantIbLb1EESY_EEDaST_SU_EUlST_E_NS1_11comp_targetILNS1_3genE8ELNS1_11target_archE1030ELNS1_3gpuE2ELNS1_3repE0EEENS1_30default_config_static_selectorELNS0_4arch9wavefront6targetE1EEEvT1_,"axG",@progbits,_ZN7rocprim17ROCPRIM_400000_NS6detail17trampoline_kernelINS0_14default_configENS1_29reduce_by_key_config_selectorIiiN6thrust23THRUST_200600_302600_NS4plusIiEEEEZZNS1_33reduce_by_key_impl_wrapped_configILNS1_25lookback_scan_determinismE0ES3_S9_NS6_10device_ptrIiEESD_SD_SD_PmS8_NS6_8equal_toIiEEEE10hipError_tPvRmT2_T3_mT4_T5_T6_T7_T8_P12ihipStream_tbENKUlT_T0_E_clISt17integral_constantIbLb1EESY_EEDaST_SU_EUlST_E_NS1_11comp_targetILNS1_3genE8ELNS1_11target_archE1030ELNS1_3gpuE2ELNS1_3repE0EEENS1_30default_config_static_selectorELNS0_4arch9wavefront6targetE1EEEvT1_,comdat
.Lfunc_end1111:
	.size	_ZN7rocprim17ROCPRIM_400000_NS6detail17trampoline_kernelINS0_14default_configENS1_29reduce_by_key_config_selectorIiiN6thrust23THRUST_200600_302600_NS4plusIiEEEEZZNS1_33reduce_by_key_impl_wrapped_configILNS1_25lookback_scan_determinismE0ES3_S9_NS6_10device_ptrIiEESD_SD_SD_PmS8_NS6_8equal_toIiEEEE10hipError_tPvRmT2_T3_mT4_T5_T6_T7_T8_P12ihipStream_tbENKUlT_T0_E_clISt17integral_constantIbLb1EESY_EEDaST_SU_EUlST_E_NS1_11comp_targetILNS1_3genE8ELNS1_11target_archE1030ELNS1_3gpuE2ELNS1_3repE0EEENS1_30default_config_static_selectorELNS0_4arch9wavefront6targetE1EEEvT1_, .Lfunc_end1111-_ZN7rocprim17ROCPRIM_400000_NS6detail17trampoline_kernelINS0_14default_configENS1_29reduce_by_key_config_selectorIiiN6thrust23THRUST_200600_302600_NS4plusIiEEEEZZNS1_33reduce_by_key_impl_wrapped_configILNS1_25lookback_scan_determinismE0ES3_S9_NS6_10device_ptrIiEESD_SD_SD_PmS8_NS6_8equal_toIiEEEE10hipError_tPvRmT2_T3_mT4_T5_T6_T7_T8_P12ihipStream_tbENKUlT_T0_E_clISt17integral_constantIbLb1EESY_EEDaST_SU_EUlST_E_NS1_11comp_targetILNS1_3genE8ELNS1_11target_archE1030ELNS1_3gpuE2ELNS1_3repE0EEENS1_30default_config_static_selectorELNS0_4arch9wavefront6targetE1EEEvT1_
                                        ; -- End function
	.section	.AMDGPU.csdata,"",@progbits
; Kernel info:
; codeLenInByte = 0
; NumSgprs: 4
; NumVgprs: 0
; NumAgprs: 0
; TotalNumVgprs: 0
; ScratchSize: 0
; MemoryBound: 0
; FloatMode: 240
; IeeeMode: 1
; LDSByteSize: 0 bytes/workgroup (compile time only)
; SGPRBlocks: 0
; VGPRBlocks: 0
; NumSGPRsForWavesPerEU: 4
; NumVGPRsForWavesPerEU: 1
; AccumOffset: 4
; Occupancy: 8
; WaveLimiterHint : 0
; COMPUTE_PGM_RSRC2:SCRATCH_EN: 0
; COMPUTE_PGM_RSRC2:USER_SGPR: 6
; COMPUTE_PGM_RSRC2:TRAP_HANDLER: 0
; COMPUTE_PGM_RSRC2:TGID_X_EN: 1
; COMPUTE_PGM_RSRC2:TGID_Y_EN: 0
; COMPUTE_PGM_RSRC2:TGID_Z_EN: 0
; COMPUTE_PGM_RSRC2:TIDIG_COMP_CNT: 0
; COMPUTE_PGM_RSRC3_GFX90A:ACCUM_OFFSET: 0
; COMPUTE_PGM_RSRC3_GFX90A:TG_SPLIT: 0
	.section	.text._ZN7rocprim17ROCPRIM_400000_NS6detail17trampoline_kernelINS0_14default_configENS1_29reduce_by_key_config_selectorIiiN6thrust23THRUST_200600_302600_NS4plusIiEEEEZZNS1_33reduce_by_key_impl_wrapped_configILNS1_25lookback_scan_determinismE0ES3_S9_NS6_10device_ptrIiEESD_SD_SD_PmS8_NS6_8equal_toIiEEEE10hipError_tPvRmT2_T3_mT4_T5_T6_T7_T8_P12ihipStream_tbENKUlT_T0_E_clISt17integral_constantIbLb1EESX_IbLb0EEEEDaST_SU_EUlST_E_NS1_11comp_targetILNS1_3genE0ELNS1_11target_archE4294967295ELNS1_3gpuE0ELNS1_3repE0EEENS1_30default_config_static_selectorELNS0_4arch9wavefront6targetE1EEEvT1_,"axG",@progbits,_ZN7rocprim17ROCPRIM_400000_NS6detail17trampoline_kernelINS0_14default_configENS1_29reduce_by_key_config_selectorIiiN6thrust23THRUST_200600_302600_NS4plusIiEEEEZZNS1_33reduce_by_key_impl_wrapped_configILNS1_25lookback_scan_determinismE0ES3_S9_NS6_10device_ptrIiEESD_SD_SD_PmS8_NS6_8equal_toIiEEEE10hipError_tPvRmT2_T3_mT4_T5_T6_T7_T8_P12ihipStream_tbENKUlT_T0_E_clISt17integral_constantIbLb1EESX_IbLb0EEEEDaST_SU_EUlST_E_NS1_11comp_targetILNS1_3genE0ELNS1_11target_archE4294967295ELNS1_3gpuE0ELNS1_3repE0EEENS1_30default_config_static_selectorELNS0_4arch9wavefront6targetE1EEEvT1_,comdat
	.protected	_ZN7rocprim17ROCPRIM_400000_NS6detail17trampoline_kernelINS0_14default_configENS1_29reduce_by_key_config_selectorIiiN6thrust23THRUST_200600_302600_NS4plusIiEEEEZZNS1_33reduce_by_key_impl_wrapped_configILNS1_25lookback_scan_determinismE0ES3_S9_NS6_10device_ptrIiEESD_SD_SD_PmS8_NS6_8equal_toIiEEEE10hipError_tPvRmT2_T3_mT4_T5_T6_T7_T8_P12ihipStream_tbENKUlT_T0_E_clISt17integral_constantIbLb1EESX_IbLb0EEEEDaST_SU_EUlST_E_NS1_11comp_targetILNS1_3genE0ELNS1_11target_archE4294967295ELNS1_3gpuE0ELNS1_3repE0EEENS1_30default_config_static_selectorELNS0_4arch9wavefront6targetE1EEEvT1_ ; -- Begin function _ZN7rocprim17ROCPRIM_400000_NS6detail17trampoline_kernelINS0_14default_configENS1_29reduce_by_key_config_selectorIiiN6thrust23THRUST_200600_302600_NS4plusIiEEEEZZNS1_33reduce_by_key_impl_wrapped_configILNS1_25lookback_scan_determinismE0ES3_S9_NS6_10device_ptrIiEESD_SD_SD_PmS8_NS6_8equal_toIiEEEE10hipError_tPvRmT2_T3_mT4_T5_T6_T7_T8_P12ihipStream_tbENKUlT_T0_E_clISt17integral_constantIbLb1EESX_IbLb0EEEEDaST_SU_EUlST_E_NS1_11comp_targetILNS1_3genE0ELNS1_11target_archE4294967295ELNS1_3gpuE0ELNS1_3repE0EEENS1_30default_config_static_selectorELNS0_4arch9wavefront6targetE1EEEvT1_
	.globl	_ZN7rocprim17ROCPRIM_400000_NS6detail17trampoline_kernelINS0_14default_configENS1_29reduce_by_key_config_selectorIiiN6thrust23THRUST_200600_302600_NS4plusIiEEEEZZNS1_33reduce_by_key_impl_wrapped_configILNS1_25lookback_scan_determinismE0ES3_S9_NS6_10device_ptrIiEESD_SD_SD_PmS8_NS6_8equal_toIiEEEE10hipError_tPvRmT2_T3_mT4_T5_T6_T7_T8_P12ihipStream_tbENKUlT_T0_E_clISt17integral_constantIbLb1EESX_IbLb0EEEEDaST_SU_EUlST_E_NS1_11comp_targetILNS1_3genE0ELNS1_11target_archE4294967295ELNS1_3gpuE0ELNS1_3repE0EEENS1_30default_config_static_selectorELNS0_4arch9wavefront6targetE1EEEvT1_
	.p2align	8
	.type	_ZN7rocprim17ROCPRIM_400000_NS6detail17trampoline_kernelINS0_14default_configENS1_29reduce_by_key_config_selectorIiiN6thrust23THRUST_200600_302600_NS4plusIiEEEEZZNS1_33reduce_by_key_impl_wrapped_configILNS1_25lookback_scan_determinismE0ES3_S9_NS6_10device_ptrIiEESD_SD_SD_PmS8_NS6_8equal_toIiEEEE10hipError_tPvRmT2_T3_mT4_T5_T6_T7_T8_P12ihipStream_tbENKUlT_T0_E_clISt17integral_constantIbLb1EESX_IbLb0EEEEDaST_SU_EUlST_E_NS1_11comp_targetILNS1_3genE0ELNS1_11target_archE4294967295ELNS1_3gpuE0ELNS1_3repE0EEENS1_30default_config_static_selectorELNS0_4arch9wavefront6targetE1EEEvT1_,@function
_ZN7rocprim17ROCPRIM_400000_NS6detail17trampoline_kernelINS0_14default_configENS1_29reduce_by_key_config_selectorIiiN6thrust23THRUST_200600_302600_NS4plusIiEEEEZZNS1_33reduce_by_key_impl_wrapped_configILNS1_25lookback_scan_determinismE0ES3_S9_NS6_10device_ptrIiEESD_SD_SD_PmS8_NS6_8equal_toIiEEEE10hipError_tPvRmT2_T3_mT4_T5_T6_T7_T8_P12ihipStream_tbENKUlT_T0_E_clISt17integral_constantIbLb1EESX_IbLb0EEEEDaST_SU_EUlST_E_NS1_11comp_targetILNS1_3genE0ELNS1_11target_archE4294967295ELNS1_3gpuE0ELNS1_3repE0EEENS1_30default_config_static_selectorELNS0_4arch9wavefront6targetE1EEEvT1_: ; @_ZN7rocprim17ROCPRIM_400000_NS6detail17trampoline_kernelINS0_14default_configENS1_29reduce_by_key_config_selectorIiiN6thrust23THRUST_200600_302600_NS4plusIiEEEEZZNS1_33reduce_by_key_impl_wrapped_configILNS1_25lookback_scan_determinismE0ES3_S9_NS6_10device_ptrIiEESD_SD_SD_PmS8_NS6_8equal_toIiEEEE10hipError_tPvRmT2_T3_mT4_T5_T6_T7_T8_P12ihipStream_tbENKUlT_T0_E_clISt17integral_constantIbLb1EESX_IbLb0EEEEDaST_SU_EUlST_E_NS1_11comp_targetILNS1_3genE0ELNS1_11target_archE4294967295ELNS1_3gpuE0ELNS1_3repE0EEENS1_30default_config_static_selectorELNS0_4arch9wavefront6targetE1EEEvT1_
; %bb.0:
	.section	.rodata,"a",@progbits
	.p2align	6, 0x0
	.amdhsa_kernel _ZN7rocprim17ROCPRIM_400000_NS6detail17trampoline_kernelINS0_14default_configENS1_29reduce_by_key_config_selectorIiiN6thrust23THRUST_200600_302600_NS4plusIiEEEEZZNS1_33reduce_by_key_impl_wrapped_configILNS1_25lookback_scan_determinismE0ES3_S9_NS6_10device_ptrIiEESD_SD_SD_PmS8_NS6_8equal_toIiEEEE10hipError_tPvRmT2_T3_mT4_T5_T6_T7_T8_P12ihipStream_tbENKUlT_T0_E_clISt17integral_constantIbLb1EESX_IbLb0EEEEDaST_SU_EUlST_E_NS1_11comp_targetILNS1_3genE0ELNS1_11target_archE4294967295ELNS1_3gpuE0ELNS1_3repE0EEENS1_30default_config_static_selectorELNS0_4arch9wavefront6targetE1EEEvT1_
		.amdhsa_group_segment_fixed_size 0
		.amdhsa_private_segment_fixed_size 0
		.amdhsa_kernarg_size 120
		.amdhsa_user_sgpr_count 6
		.amdhsa_user_sgpr_private_segment_buffer 1
		.amdhsa_user_sgpr_dispatch_ptr 0
		.amdhsa_user_sgpr_queue_ptr 0
		.amdhsa_user_sgpr_kernarg_segment_ptr 1
		.amdhsa_user_sgpr_dispatch_id 0
		.amdhsa_user_sgpr_flat_scratch_init 0
		.amdhsa_user_sgpr_kernarg_preload_length 0
		.amdhsa_user_sgpr_kernarg_preload_offset 0
		.amdhsa_user_sgpr_private_segment_size 0
		.amdhsa_uses_dynamic_stack 0
		.amdhsa_system_sgpr_private_segment_wavefront_offset 0
		.amdhsa_system_sgpr_workgroup_id_x 1
		.amdhsa_system_sgpr_workgroup_id_y 0
		.amdhsa_system_sgpr_workgroup_id_z 0
		.amdhsa_system_sgpr_workgroup_info 0
		.amdhsa_system_vgpr_workitem_id 0
		.amdhsa_next_free_vgpr 1
		.amdhsa_next_free_sgpr 0
		.amdhsa_accum_offset 4
		.amdhsa_reserve_vcc 0
		.amdhsa_reserve_flat_scratch 0
		.amdhsa_float_round_mode_32 0
		.amdhsa_float_round_mode_16_64 0
		.amdhsa_float_denorm_mode_32 3
		.amdhsa_float_denorm_mode_16_64 3
		.amdhsa_dx10_clamp 1
		.amdhsa_ieee_mode 1
		.amdhsa_fp16_overflow 0
		.amdhsa_tg_split 0
		.amdhsa_exception_fp_ieee_invalid_op 0
		.amdhsa_exception_fp_denorm_src 0
		.amdhsa_exception_fp_ieee_div_zero 0
		.amdhsa_exception_fp_ieee_overflow 0
		.amdhsa_exception_fp_ieee_underflow 0
		.amdhsa_exception_fp_ieee_inexact 0
		.amdhsa_exception_int_div_zero 0
	.end_amdhsa_kernel
	.section	.text._ZN7rocprim17ROCPRIM_400000_NS6detail17trampoline_kernelINS0_14default_configENS1_29reduce_by_key_config_selectorIiiN6thrust23THRUST_200600_302600_NS4plusIiEEEEZZNS1_33reduce_by_key_impl_wrapped_configILNS1_25lookback_scan_determinismE0ES3_S9_NS6_10device_ptrIiEESD_SD_SD_PmS8_NS6_8equal_toIiEEEE10hipError_tPvRmT2_T3_mT4_T5_T6_T7_T8_P12ihipStream_tbENKUlT_T0_E_clISt17integral_constantIbLb1EESX_IbLb0EEEEDaST_SU_EUlST_E_NS1_11comp_targetILNS1_3genE0ELNS1_11target_archE4294967295ELNS1_3gpuE0ELNS1_3repE0EEENS1_30default_config_static_selectorELNS0_4arch9wavefront6targetE1EEEvT1_,"axG",@progbits,_ZN7rocprim17ROCPRIM_400000_NS6detail17trampoline_kernelINS0_14default_configENS1_29reduce_by_key_config_selectorIiiN6thrust23THRUST_200600_302600_NS4plusIiEEEEZZNS1_33reduce_by_key_impl_wrapped_configILNS1_25lookback_scan_determinismE0ES3_S9_NS6_10device_ptrIiEESD_SD_SD_PmS8_NS6_8equal_toIiEEEE10hipError_tPvRmT2_T3_mT4_T5_T6_T7_T8_P12ihipStream_tbENKUlT_T0_E_clISt17integral_constantIbLb1EESX_IbLb0EEEEDaST_SU_EUlST_E_NS1_11comp_targetILNS1_3genE0ELNS1_11target_archE4294967295ELNS1_3gpuE0ELNS1_3repE0EEENS1_30default_config_static_selectorELNS0_4arch9wavefront6targetE1EEEvT1_,comdat
.Lfunc_end1112:
	.size	_ZN7rocprim17ROCPRIM_400000_NS6detail17trampoline_kernelINS0_14default_configENS1_29reduce_by_key_config_selectorIiiN6thrust23THRUST_200600_302600_NS4plusIiEEEEZZNS1_33reduce_by_key_impl_wrapped_configILNS1_25lookback_scan_determinismE0ES3_S9_NS6_10device_ptrIiEESD_SD_SD_PmS8_NS6_8equal_toIiEEEE10hipError_tPvRmT2_T3_mT4_T5_T6_T7_T8_P12ihipStream_tbENKUlT_T0_E_clISt17integral_constantIbLb1EESX_IbLb0EEEEDaST_SU_EUlST_E_NS1_11comp_targetILNS1_3genE0ELNS1_11target_archE4294967295ELNS1_3gpuE0ELNS1_3repE0EEENS1_30default_config_static_selectorELNS0_4arch9wavefront6targetE1EEEvT1_, .Lfunc_end1112-_ZN7rocprim17ROCPRIM_400000_NS6detail17trampoline_kernelINS0_14default_configENS1_29reduce_by_key_config_selectorIiiN6thrust23THRUST_200600_302600_NS4plusIiEEEEZZNS1_33reduce_by_key_impl_wrapped_configILNS1_25lookback_scan_determinismE0ES3_S9_NS6_10device_ptrIiEESD_SD_SD_PmS8_NS6_8equal_toIiEEEE10hipError_tPvRmT2_T3_mT4_T5_T6_T7_T8_P12ihipStream_tbENKUlT_T0_E_clISt17integral_constantIbLb1EESX_IbLb0EEEEDaST_SU_EUlST_E_NS1_11comp_targetILNS1_3genE0ELNS1_11target_archE4294967295ELNS1_3gpuE0ELNS1_3repE0EEENS1_30default_config_static_selectorELNS0_4arch9wavefront6targetE1EEEvT1_
                                        ; -- End function
	.section	.AMDGPU.csdata,"",@progbits
; Kernel info:
; codeLenInByte = 0
; NumSgprs: 4
; NumVgprs: 0
; NumAgprs: 0
; TotalNumVgprs: 0
; ScratchSize: 0
; MemoryBound: 0
; FloatMode: 240
; IeeeMode: 1
; LDSByteSize: 0 bytes/workgroup (compile time only)
; SGPRBlocks: 0
; VGPRBlocks: 0
; NumSGPRsForWavesPerEU: 4
; NumVGPRsForWavesPerEU: 1
; AccumOffset: 4
; Occupancy: 8
; WaveLimiterHint : 0
; COMPUTE_PGM_RSRC2:SCRATCH_EN: 0
; COMPUTE_PGM_RSRC2:USER_SGPR: 6
; COMPUTE_PGM_RSRC2:TRAP_HANDLER: 0
; COMPUTE_PGM_RSRC2:TGID_X_EN: 1
; COMPUTE_PGM_RSRC2:TGID_Y_EN: 0
; COMPUTE_PGM_RSRC2:TGID_Z_EN: 0
; COMPUTE_PGM_RSRC2:TIDIG_COMP_CNT: 0
; COMPUTE_PGM_RSRC3_GFX90A:ACCUM_OFFSET: 0
; COMPUTE_PGM_RSRC3_GFX90A:TG_SPLIT: 0
	.section	.text._ZN7rocprim17ROCPRIM_400000_NS6detail17trampoline_kernelINS0_14default_configENS1_29reduce_by_key_config_selectorIiiN6thrust23THRUST_200600_302600_NS4plusIiEEEEZZNS1_33reduce_by_key_impl_wrapped_configILNS1_25lookback_scan_determinismE0ES3_S9_NS6_10device_ptrIiEESD_SD_SD_PmS8_NS6_8equal_toIiEEEE10hipError_tPvRmT2_T3_mT4_T5_T6_T7_T8_P12ihipStream_tbENKUlT_T0_E_clISt17integral_constantIbLb1EESX_IbLb0EEEEDaST_SU_EUlST_E_NS1_11comp_targetILNS1_3genE5ELNS1_11target_archE942ELNS1_3gpuE9ELNS1_3repE0EEENS1_30default_config_static_selectorELNS0_4arch9wavefront6targetE1EEEvT1_,"axG",@progbits,_ZN7rocprim17ROCPRIM_400000_NS6detail17trampoline_kernelINS0_14default_configENS1_29reduce_by_key_config_selectorIiiN6thrust23THRUST_200600_302600_NS4plusIiEEEEZZNS1_33reduce_by_key_impl_wrapped_configILNS1_25lookback_scan_determinismE0ES3_S9_NS6_10device_ptrIiEESD_SD_SD_PmS8_NS6_8equal_toIiEEEE10hipError_tPvRmT2_T3_mT4_T5_T6_T7_T8_P12ihipStream_tbENKUlT_T0_E_clISt17integral_constantIbLb1EESX_IbLb0EEEEDaST_SU_EUlST_E_NS1_11comp_targetILNS1_3genE5ELNS1_11target_archE942ELNS1_3gpuE9ELNS1_3repE0EEENS1_30default_config_static_selectorELNS0_4arch9wavefront6targetE1EEEvT1_,comdat
	.protected	_ZN7rocprim17ROCPRIM_400000_NS6detail17trampoline_kernelINS0_14default_configENS1_29reduce_by_key_config_selectorIiiN6thrust23THRUST_200600_302600_NS4plusIiEEEEZZNS1_33reduce_by_key_impl_wrapped_configILNS1_25lookback_scan_determinismE0ES3_S9_NS6_10device_ptrIiEESD_SD_SD_PmS8_NS6_8equal_toIiEEEE10hipError_tPvRmT2_T3_mT4_T5_T6_T7_T8_P12ihipStream_tbENKUlT_T0_E_clISt17integral_constantIbLb1EESX_IbLb0EEEEDaST_SU_EUlST_E_NS1_11comp_targetILNS1_3genE5ELNS1_11target_archE942ELNS1_3gpuE9ELNS1_3repE0EEENS1_30default_config_static_selectorELNS0_4arch9wavefront6targetE1EEEvT1_ ; -- Begin function _ZN7rocprim17ROCPRIM_400000_NS6detail17trampoline_kernelINS0_14default_configENS1_29reduce_by_key_config_selectorIiiN6thrust23THRUST_200600_302600_NS4plusIiEEEEZZNS1_33reduce_by_key_impl_wrapped_configILNS1_25lookback_scan_determinismE0ES3_S9_NS6_10device_ptrIiEESD_SD_SD_PmS8_NS6_8equal_toIiEEEE10hipError_tPvRmT2_T3_mT4_T5_T6_T7_T8_P12ihipStream_tbENKUlT_T0_E_clISt17integral_constantIbLb1EESX_IbLb0EEEEDaST_SU_EUlST_E_NS1_11comp_targetILNS1_3genE5ELNS1_11target_archE942ELNS1_3gpuE9ELNS1_3repE0EEENS1_30default_config_static_selectorELNS0_4arch9wavefront6targetE1EEEvT1_
	.globl	_ZN7rocprim17ROCPRIM_400000_NS6detail17trampoline_kernelINS0_14default_configENS1_29reduce_by_key_config_selectorIiiN6thrust23THRUST_200600_302600_NS4plusIiEEEEZZNS1_33reduce_by_key_impl_wrapped_configILNS1_25lookback_scan_determinismE0ES3_S9_NS6_10device_ptrIiEESD_SD_SD_PmS8_NS6_8equal_toIiEEEE10hipError_tPvRmT2_T3_mT4_T5_T6_T7_T8_P12ihipStream_tbENKUlT_T0_E_clISt17integral_constantIbLb1EESX_IbLb0EEEEDaST_SU_EUlST_E_NS1_11comp_targetILNS1_3genE5ELNS1_11target_archE942ELNS1_3gpuE9ELNS1_3repE0EEENS1_30default_config_static_selectorELNS0_4arch9wavefront6targetE1EEEvT1_
	.p2align	8
	.type	_ZN7rocprim17ROCPRIM_400000_NS6detail17trampoline_kernelINS0_14default_configENS1_29reduce_by_key_config_selectorIiiN6thrust23THRUST_200600_302600_NS4plusIiEEEEZZNS1_33reduce_by_key_impl_wrapped_configILNS1_25lookback_scan_determinismE0ES3_S9_NS6_10device_ptrIiEESD_SD_SD_PmS8_NS6_8equal_toIiEEEE10hipError_tPvRmT2_T3_mT4_T5_T6_T7_T8_P12ihipStream_tbENKUlT_T0_E_clISt17integral_constantIbLb1EESX_IbLb0EEEEDaST_SU_EUlST_E_NS1_11comp_targetILNS1_3genE5ELNS1_11target_archE942ELNS1_3gpuE9ELNS1_3repE0EEENS1_30default_config_static_selectorELNS0_4arch9wavefront6targetE1EEEvT1_,@function
_ZN7rocprim17ROCPRIM_400000_NS6detail17trampoline_kernelINS0_14default_configENS1_29reduce_by_key_config_selectorIiiN6thrust23THRUST_200600_302600_NS4plusIiEEEEZZNS1_33reduce_by_key_impl_wrapped_configILNS1_25lookback_scan_determinismE0ES3_S9_NS6_10device_ptrIiEESD_SD_SD_PmS8_NS6_8equal_toIiEEEE10hipError_tPvRmT2_T3_mT4_T5_T6_T7_T8_P12ihipStream_tbENKUlT_T0_E_clISt17integral_constantIbLb1EESX_IbLb0EEEEDaST_SU_EUlST_E_NS1_11comp_targetILNS1_3genE5ELNS1_11target_archE942ELNS1_3gpuE9ELNS1_3repE0EEENS1_30default_config_static_selectorELNS0_4arch9wavefront6targetE1EEEvT1_: ; @_ZN7rocprim17ROCPRIM_400000_NS6detail17trampoline_kernelINS0_14default_configENS1_29reduce_by_key_config_selectorIiiN6thrust23THRUST_200600_302600_NS4plusIiEEEEZZNS1_33reduce_by_key_impl_wrapped_configILNS1_25lookback_scan_determinismE0ES3_S9_NS6_10device_ptrIiEESD_SD_SD_PmS8_NS6_8equal_toIiEEEE10hipError_tPvRmT2_T3_mT4_T5_T6_T7_T8_P12ihipStream_tbENKUlT_T0_E_clISt17integral_constantIbLb1EESX_IbLb0EEEEDaST_SU_EUlST_E_NS1_11comp_targetILNS1_3genE5ELNS1_11target_archE942ELNS1_3gpuE9ELNS1_3repE0EEENS1_30default_config_static_selectorELNS0_4arch9wavefront6targetE1EEEvT1_
; %bb.0:
	.section	.rodata,"a",@progbits
	.p2align	6, 0x0
	.amdhsa_kernel _ZN7rocprim17ROCPRIM_400000_NS6detail17trampoline_kernelINS0_14default_configENS1_29reduce_by_key_config_selectorIiiN6thrust23THRUST_200600_302600_NS4plusIiEEEEZZNS1_33reduce_by_key_impl_wrapped_configILNS1_25lookback_scan_determinismE0ES3_S9_NS6_10device_ptrIiEESD_SD_SD_PmS8_NS6_8equal_toIiEEEE10hipError_tPvRmT2_T3_mT4_T5_T6_T7_T8_P12ihipStream_tbENKUlT_T0_E_clISt17integral_constantIbLb1EESX_IbLb0EEEEDaST_SU_EUlST_E_NS1_11comp_targetILNS1_3genE5ELNS1_11target_archE942ELNS1_3gpuE9ELNS1_3repE0EEENS1_30default_config_static_selectorELNS0_4arch9wavefront6targetE1EEEvT1_
		.amdhsa_group_segment_fixed_size 0
		.amdhsa_private_segment_fixed_size 0
		.amdhsa_kernarg_size 120
		.amdhsa_user_sgpr_count 6
		.amdhsa_user_sgpr_private_segment_buffer 1
		.amdhsa_user_sgpr_dispatch_ptr 0
		.amdhsa_user_sgpr_queue_ptr 0
		.amdhsa_user_sgpr_kernarg_segment_ptr 1
		.amdhsa_user_sgpr_dispatch_id 0
		.amdhsa_user_sgpr_flat_scratch_init 0
		.amdhsa_user_sgpr_kernarg_preload_length 0
		.amdhsa_user_sgpr_kernarg_preload_offset 0
		.amdhsa_user_sgpr_private_segment_size 0
		.amdhsa_uses_dynamic_stack 0
		.amdhsa_system_sgpr_private_segment_wavefront_offset 0
		.amdhsa_system_sgpr_workgroup_id_x 1
		.amdhsa_system_sgpr_workgroup_id_y 0
		.amdhsa_system_sgpr_workgroup_id_z 0
		.amdhsa_system_sgpr_workgroup_info 0
		.amdhsa_system_vgpr_workitem_id 0
		.amdhsa_next_free_vgpr 1
		.amdhsa_next_free_sgpr 0
		.amdhsa_accum_offset 4
		.amdhsa_reserve_vcc 0
		.amdhsa_reserve_flat_scratch 0
		.amdhsa_float_round_mode_32 0
		.amdhsa_float_round_mode_16_64 0
		.amdhsa_float_denorm_mode_32 3
		.amdhsa_float_denorm_mode_16_64 3
		.amdhsa_dx10_clamp 1
		.amdhsa_ieee_mode 1
		.amdhsa_fp16_overflow 0
		.amdhsa_tg_split 0
		.amdhsa_exception_fp_ieee_invalid_op 0
		.amdhsa_exception_fp_denorm_src 0
		.amdhsa_exception_fp_ieee_div_zero 0
		.amdhsa_exception_fp_ieee_overflow 0
		.amdhsa_exception_fp_ieee_underflow 0
		.amdhsa_exception_fp_ieee_inexact 0
		.amdhsa_exception_int_div_zero 0
	.end_amdhsa_kernel
	.section	.text._ZN7rocprim17ROCPRIM_400000_NS6detail17trampoline_kernelINS0_14default_configENS1_29reduce_by_key_config_selectorIiiN6thrust23THRUST_200600_302600_NS4plusIiEEEEZZNS1_33reduce_by_key_impl_wrapped_configILNS1_25lookback_scan_determinismE0ES3_S9_NS6_10device_ptrIiEESD_SD_SD_PmS8_NS6_8equal_toIiEEEE10hipError_tPvRmT2_T3_mT4_T5_T6_T7_T8_P12ihipStream_tbENKUlT_T0_E_clISt17integral_constantIbLb1EESX_IbLb0EEEEDaST_SU_EUlST_E_NS1_11comp_targetILNS1_3genE5ELNS1_11target_archE942ELNS1_3gpuE9ELNS1_3repE0EEENS1_30default_config_static_selectorELNS0_4arch9wavefront6targetE1EEEvT1_,"axG",@progbits,_ZN7rocprim17ROCPRIM_400000_NS6detail17trampoline_kernelINS0_14default_configENS1_29reduce_by_key_config_selectorIiiN6thrust23THRUST_200600_302600_NS4plusIiEEEEZZNS1_33reduce_by_key_impl_wrapped_configILNS1_25lookback_scan_determinismE0ES3_S9_NS6_10device_ptrIiEESD_SD_SD_PmS8_NS6_8equal_toIiEEEE10hipError_tPvRmT2_T3_mT4_T5_T6_T7_T8_P12ihipStream_tbENKUlT_T0_E_clISt17integral_constantIbLb1EESX_IbLb0EEEEDaST_SU_EUlST_E_NS1_11comp_targetILNS1_3genE5ELNS1_11target_archE942ELNS1_3gpuE9ELNS1_3repE0EEENS1_30default_config_static_selectorELNS0_4arch9wavefront6targetE1EEEvT1_,comdat
.Lfunc_end1113:
	.size	_ZN7rocprim17ROCPRIM_400000_NS6detail17trampoline_kernelINS0_14default_configENS1_29reduce_by_key_config_selectorIiiN6thrust23THRUST_200600_302600_NS4plusIiEEEEZZNS1_33reduce_by_key_impl_wrapped_configILNS1_25lookback_scan_determinismE0ES3_S9_NS6_10device_ptrIiEESD_SD_SD_PmS8_NS6_8equal_toIiEEEE10hipError_tPvRmT2_T3_mT4_T5_T6_T7_T8_P12ihipStream_tbENKUlT_T0_E_clISt17integral_constantIbLb1EESX_IbLb0EEEEDaST_SU_EUlST_E_NS1_11comp_targetILNS1_3genE5ELNS1_11target_archE942ELNS1_3gpuE9ELNS1_3repE0EEENS1_30default_config_static_selectorELNS0_4arch9wavefront6targetE1EEEvT1_, .Lfunc_end1113-_ZN7rocprim17ROCPRIM_400000_NS6detail17trampoline_kernelINS0_14default_configENS1_29reduce_by_key_config_selectorIiiN6thrust23THRUST_200600_302600_NS4plusIiEEEEZZNS1_33reduce_by_key_impl_wrapped_configILNS1_25lookback_scan_determinismE0ES3_S9_NS6_10device_ptrIiEESD_SD_SD_PmS8_NS6_8equal_toIiEEEE10hipError_tPvRmT2_T3_mT4_T5_T6_T7_T8_P12ihipStream_tbENKUlT_T0_E_clISt17integral_constantIbLb1EESX_IbLb0EEEEDaST_SU_EUlST_E_NS1_11comp_targetILNS1_3genE5ELNS1_11target_archE942ELNS1_3gpuE9ELNS1_3repE0EEENS1_30default_config_static_selectorELNS0_4arch9wavefront6targetE1EEEvT1_
                                        ; -- End function
	.section	.AMDGPU.csdata,"",@progbits
; Kernel info:
; codeLenInByte = 0
; NumSgprs: 4
; NumVgprs: 0
; NumAgprs: 0
; TotalNumVgprs: 0
; ScratchSize: 0
; MemoryBound: 0
; FloatMode: 240
; IeeeMode: 1
; LDSByteSize: 0 bytes/workgroup (compile time only)
; SGPRBlocks: 0
; VGPRBlocks: 0
; NumSGPRsForWavesPerEU: 4
; NumVGPRsForWavesPerEU: 1
; AccumOffset: 4
; Occupancy: 8
; WaveLimiterHint : 0
; COMPUTE_PGM_RSRC2:SCRATCH_EN: 0
; COMPUTE_PGM_RSRC2:USER_SGPR: 6
; COMPUTE_PGM_RSRC2:TRAP_HANDLER: 0
; COMPUTE_PGM_RSRC2:TGID_X_EN: 1
; COMPUTE_PGM_RSRC2:TGID_Y_EN: 0
; COMPUTE_PGM_RSRC2:TGID_Z_EN: 0
; COMPUTE_PGM_RSRC2:TIDIG_COMP_CNT: 0
; COMPUTE_PGM_RSRC3_GFX90A:ACCUM_OFFSET: 0
; COMPUTE_PGM_RSRC3_GFX90A:TG_SPLIT: 0
	.section	.text._ZN7rocprim17ROCPRIM_400000_NS6detail17trampoline_kernelINS0_14default_configENS1_29reduce_by_key_config_selectorIiiN6thrust23THRUST_200600_302600_NS4plusIiEEEEZZNS1_33reduce_by_key_impl_wrapped_configILNS1_25lookback_scan_determinismE0ES3_S9_NS6_10device_ptrIiEESD_SD_SD_PmS8_NS6_8equal_toIiEEEE10hipError_tPvRmT2_T3_mT4_T5_T6_T7_T8_P12ihipStream_tbENKUlT_T0_E_clISt17integral_constantIbLb1EESX_IbLb0EEEEDaST_SU_EUlST_E_NS1_11comp_targetILNS1_3genE4ELNS1_11target_archE910ELNS1_3gpuE8ELNS1_3repE0EEENS1_30default_config_static_selectorELNS0_4arch9wavefront6targetE1EEEvT1_,"axG",@progbits,_ZN7rocprim17ROCPRIM_400000_NS6detail17trampoline_kernelINS0_14default_configENS1_29reduce_by_key_config_selectorIiiN6thrust23THRUST_200600_302600_NS4plusIiEEEEZZNS1_33reduce_by_key_impl_wrapped_configILNS1_25lookback_scan_determinismE0ES3_S9_NS6_10device_ptrIiEESD_SD_SD_PmS8_NS6_8equal_toIiEEEE10hipError_tPvRmT2_T3_mT4_T5_T6_T7_T8_P12ihipStream_tbENKUlT_T0_E_clISt17integral_constantIbLb1EESX_IbLb0EEEEDaST_SU_EUlST_E_NS1_11comp_targetILNS1_3genE4ELNS1_11target_archE910ELNS1_3gpuE8ELNS1_3repE0EEENS1_30default_config_static_selectorELNS0_4arch9wavefront6targetE1EEEvT1_,comdat
	.protected	_ZN7rocprim17ROCPRIM_400000_NS6detail17trampoline_kernelINS0_14default_configENS1_29reduce_by_key_config_selectorIiiN6thrust23THRUST_200600_302600_NS4plusIiEEEEZZNS1_33reduce_by_key_impl_wrapped_configILNS1_25lookback_scan_determinismE0ES3_S9_NS6_10device_ptrIiEESD_SD_SD_PmS8_NS6_8equal_toIiEEEE10hipError_tPvRmT2_T3_mT4_T5_T6_T7_T8_P12ihipStream_tbENKUlT_T0_E_clISt17integral_constantIbLb1EESX_IbLb0EEEEDaST_SU_EUlST_E_NS1_11comp_targetILNS1_3genE4ELNS1_11target_archE910ELNS1_3gpuE8ELNS1_3repE0EEENS1_30default_config_static_selectorELNS0_4arch9wavefront6targetE1EEEvT1_ ; -- Begin function _ZN7rocprim17ROCPRIM_400000_NS6detail17trampoline_kernelINS0_14default_configENS1_29reduce_by_key_config_selectorIiiN6thrust23THRUST_200600_302600_NS4plusIiEEEEZZNS1_33reduce_by_key_impl_wrapped_configILNS1_25lookback_scan_determinismE0ES3_S9_NS6_10device_ptrIiEESD_SD_SD_PmS8_NS6_8equal_toIiEEEE10hipError_tPvRmT2_T3_mT4_T5_T6_T7_T8_P12ihipStream_tbENKUlT_T0_E_clISt17integral_constantIbLb1EESX_IbLb0EEEEDaST_SU_EUlST_E_NS1_11comp_targetILNS1_3genE4ELNS1_11target_archE910ELNS1_3gpuE8ELNS1_3repE0EEENS1_30default_config_static_selectorELNS0_4arch9wavefront6targetE1EEEvT1_
	.globl	_ZN7rocprim17ROCPRIM_400000_NS6detail17trampoline_kernelINS0_14default_configENS1_29reduce_by_key_config_selectorIiiN6thrust23THRUST_200600_302600_NS4plusIiEEEEZZNS1_33reduce_by_key_impl_wrapped_configILNS1_25lookback_scan_determinismE0ES3_S9_NS6_10device_ptrIiEESD_SD_SD_PmS8_NS6_8equal_toIiEEEE10hipError_tPvRmT2_T3_mT4_T5_T6_T7_T8_P12ihipStream_tbENKUlT_T0_E_clISt17integral_constantIbLb1EESX_IbLb0EEEEDaST_SU_EUlST_E_NS1_11comp_targetILNS1_3genE4ELNS1_11target_archE910ELNS1_3gpuE8ELNS1_3repE0EEENS1_30default_config_static_selectorELNS0_4arch9wavefront6targetE1EEEvT1_
	.p2align	8
	.type	_ZN7rocprim17ROCPRIM_400000_NS6detail17trampoline_kernelINS0_14default_configENS1_29reduce_by_key_config_selectorIiiN6thrust23THRUST_200600_302600_NS4plusIiEEEEZZNS1_33reduce_by_key_impl_wrapped_configILNS1_25lookback_scan_determinismE0ES3_S9_NS6_10device_ptrIiEESD_SD_SD_PmS8_NS6_8equal_toIiEEEE10hipError_tPvRmT2_T3_mT4_T5_T6_T7_T8_P12ihipStream_tbENKUlT_T0_E_clISt17integral_constantIbLb1EESX_IbLb0EEEEDaST_SU_EUlST_E_NS1_11comp_targetILNS1_3genE4ELNS1_11target_archE910ELNS1_3gpuE8ELNS1_3repE0EEENS1_30default_config_static_selectorELNS0_4arch9wavefront6targetE1EEEvT1_,@function
_ZN7rocprim17ROCPRIM_400000_NS6detail17trampoline_kernelINS0_14default_configENS1_29reduce_by_key_config_selectorIiiN6thrust23THRUST_200600_302600_NS4plusIiEEEEZZNS1_33reduce_by_key_impl_wrapped_configILNS1_25lookback_scan_determinismE0ES3_S9_NS6_10device_ptrIiEESD_SD_SD_PmS8_NS6_8equal_toIiEEEE10hipError_tPvRmT2_T3_mT4_T5_T6_T7_T8_P12ihipStream_tbENKUlT_T0_E_clISt17integral_constantIbLb1EESX_IbLb0EEEEDaST_SU_EUlST_E_NS1_11comp_targetILNS1_3genE4ELNS1_11target_archE910ELNS1_3gpuE8ELNS1_3repE0EEENS1_30default_config_static_selectorELNS0_4arch9wavefront6targetE1EEEvT1_: ; @_ZN7rocprim17ROCPRIM_400000_NS6detail17trampoline_kernelINS0_14default_configENS1_29reduce_by_key_config_selectorIiiN6thrust23THRUST_200600_302600_NS4plusIiEEEEZZNS1_33reduce_by_key_impl_wrapped_configILNS1_25lookback_scan_determinismE0ES3_S9_NS6_10device_ptrIiEESD_SD_SD_PmS8_NS6_8equal_toIiEEEE10hipError_tPvRmT2_T3_mT4_T5_T6_T7_T8_P12ihipStream_tbENKUlT_T0_E_clISt17integral_constantIbLb1EESX_IbLb0EEEEDaST_SU_EUlST_E_NS1_11comp_targetILNS1_3genE4ELNS1_11target_archE910ELNS1_3gpuE8ELNS1_3repE0EEENS1_30default_config_static_selectorELNS0_4arch9wavefront6targetE1EEEvT1_
; %bb.0:
	s_load_dwordx8 s[36:43], s[4:5], 0x0
	s_load_dwordx4 s[52:55], s[4:5], 0x20
	s_load_dwordx8 s[44:51], s[4:5], 0x38
	s_load_dwordx2 s[60:61], s[4:5], 0x68
	s_load_dwordx4 s[56:59], s[4:5], 0x58
	s_waitcnt lgkmcnt(0)
	s_lshl_b64 s[0:1], s[38:39], 2
	s_add_u32 s2, s36, s0
	s_addc_u32 s3, s37, s1
	s_add_u32 s4, s40, s0
	s_addc_u32 s5, s41, s1
	s_mul_i32 s0, s48, s47
	s_mul_hi_u32 s1, s48, s46
	s_add_i32 s0, s1, s0
	s_mul_i32 s1, s49, s46
	s_add_i32 s8, s0, s1
	s_mul_i32 s0, s6, 0xf00
	s_mov_b32 s1, 0
	s_lshl_b64 s[0:1], s[0:1], 2
	s_add_u32 s7, s2, s0
	s_mul_i32 s9, s48, s46
	s_addc_u32 s48, s3, s1
	s_add_u32 s49, s4, s0
	s_addc_u32 s62, s5, s1
	s_add_u32 s38, s9, s6
	s_addc_u32 s39, s8, 0
	s_add_u32 s2, s50, -1
	s_addc_u32 s3, s51, -1
	s_cmp_eq_u64 s[38:39], s[2:3]
	s_cselect_b64 s[34:35], -1, 0
	s_cmp_lg_u64 s[38:39], s[2:3]
	s_mov_b64 s[0:1], -1
	s_cselect_b64 s[40:41], -1, 0
	s_mul_i32 s33, s2, 0xfffff100
	s_and_b64 vcc, exec, s[34:35]
	s_cbranch_vccnz .LBB1114_2
; %bb.1:
	v_lshlrev_b32_e32 v24, 2, v0
	v_mov_b32_e32 v1, s48
	v_add_co_u32_e32 v2, vcc, s7, v24
	v_addc_co_u32_e32 v3, vcc, 0, v1, vcc
	v_add_co_u32_e32 v4, vcc, 0x1000, v2
	v_addc_co_u32_e32 v5, vcc, 0, v3, vcc
	flat_load_dword v1, v[2:3]
	flat_load_dword v8, v[2:3] offset:1024
	flat_load_dword v9, v[2:3] offset:2048
	;; [unrolled: 1-line block ×3, first 2 shown]
	flat_load_dword v11, v[4:5]
	flat_load_dword v12, v[4:5] offset:1024
	flat_load_dword v13, v[4:5] offset:2048
	;; [unrolled: 1-line block ×3, first 2 shown]
	v_add_co_u32_e32 v4, vcc, 0x2000, v2
	v_addc_co_u32_e32 v5, vcc, 0, v3, vcc
	v_add_co_u32_e32 v2, vcc, 0x3000, v2
	v_addc_co_u32_e32 v3, vcc, 0, v3, vcc
	flat_load_dword v15, v[4:5]
	flat_load_dword v16, v[4:5] offset:1024
	flat_load_dword v17, v[4:5] offset:2048
	;; [unrolled: 1-line block ×3, first 2 shown]
	flat_load_dword v19, v[2:3]
	flat_load_dword v20, v[2:3] offset:1024
	flat_load_dword v21, v[2:3] offset:2048
	v_mov_b32_e32 v3, s62
	v_add_co_u32_e32 v2, vcc, s49, v24
	s_movk_i32 s0, 0x1000
	v_addc_co_u32_e32 v3, vcc, 0, v3, vcc
	v_add_co_u32_e32 v4, vcc, s0, v2
	s_movk_i32 s1, 0x2000
	v_addc_co_u32_e32 v5, vcc, 0, v3, vcc
	;; [unrolled: 3-line block ×3, first 2 shown]
	v_mad_u32_u24 v38, v0, 56, v24
	v_add_co_u32_e32 v22, vcc, s2, v2
	v_addc_co_u32_e32 v23, vcc, 0, v3, vcc
	s_waitcnt vmcnt(0) lgkmcnt(0)
	ds_write2st64_b32 v24, v1, v8 offset1:4
	ds_write2st64_b32 v24, v9, v10 offset0:8 offset1:12
	ds_write2st64_b32 v24, v11, v12 offset0:16 offset1:20
	;; [unrolled: 1-line block ×6, first 2 shown]
	ds_write_b32 v24, v21 offset:14336
	s_waitcnt lgkmcnt(0)
	s_barrier
	ds_read2_b32 v[20:21], v38 offset1:1
	ds_read2_b32 v[18:19], v38 offset0:2 offset1:3
	ds_read2_b32 v[16:17], v38 offset0:4 offset1:5
	;; [unrolled: 1-line block ×6, first 2 shown]
	ds_read_b32 v1, v38 offset:56
	s_waitcnt lgkmcnt(0)
	s_barrier
	flat_load_dword v25, v[2:3]
	flat_load_dword v26, v[2:3] offset:1024
	flat_load_dword v27, v[2:3] offset:2048
	flat_load_dword v28, v[2:3] offset:3072
	flat_load_dword v29, v[4:5]
	flat_load_dword v30, v[4:5] offset:1024
	flat_load_dword v31, v[4:5] offset:2048
	flat_load_dword v32, v[4:5] offset:3072
	;; [unrolled: 4-line block ×3, first 2 shown]
	flat_load_dword v40, v[22:23]
	flat_load_dword v41, v[22:23] offset:1024
	flat_load_dword v42, v[22:23] offset:2048
	v_mov_b32_e32 v36, v20
	v_mov_b32_e32 v37, v18
	;; [unrolled: 1-line block ×7, first 2 shown]
	s_waitcnt vmcnt(0) lgkmcnt(0)
	ds_write2st64_b32 v24, v25, v26 offset1:4
	ds_write2st64_b32 v24, v27, v28 offset0:8 offset1:12
	ds_write2st64_b32 v24, v29, v30 offset0:16 offset1:20
	;; [unrolled: 1-line block ×6, first 2 shown]
	ds_write_b32 v24, v42 offset:14336
	s_waitcnt lgkmcnt(0)
	s_barrier
	s_add_i32 s33, s33, s56
	s_cbranch_execz .LBB1114_3
	s_branch .LBB1114_50
.LBB1114_2:
                                        ; implicit-def: $vgpr1
                                        ; implicit-def: $vgpr8
                                        ; implicit-def: $vgpr10
                                        ; implicit-def: $vgpr12
                                        ; implicit-def: $vgpr14
                                        ; implicit-def: $vgpr16
                                        ; implicit-def: $vgpr18
                                        ; implicit-def: $vgpr20
                                        ; implicit-def: $vgpr38
                                        ; implicit-def: $vgpr2_vgpr3
                                        ; implicit-def: $vgpr4_vgpr5
                                        ; implicit-def: $vgpr36_vgpr37
                                        ; implicit-def: $vgpr6_vgpr7
	s_andn2_b64 vcc, exec, s[0:1]
	s_add_i32 s33, s33, s56
	s_cbranch_vccnz .LBB1114_50
.LBB1114_3:
	v_cmp_gt_u32_e32 vcc, s33, v0
                                        ; implicit-def: $vgpr1
	s_and_saveexec_b64 s[2:3], vcc
	s_cbranch_execz .LBB1114_5
; %bb.4:
	v_lshlrev_b32_e32 v1, 2, v0
	v_mov_b32_e32 v3, s48
	v_add_co_u32_e64 v2, s[0:1], s7, v1
	v_addc_co_u32_e64 v3, s[0:1], 0, v3, s[0:1]
	flat_load_dword v1, v[2:3]
.LBB1114_5:
	s_or_b64 exec, exec, s[2:3]
	v_or_b32_e32 v2, 0x100, v0
	v_cmp_gt_u32_e64 s[0:1], s33, v2
                                        ; implicit-def: $vgpr8
	s_and_saveexec_b64 s[4:5], s[0:1]
	s_cbranch_execz .LBB1114_7
; %bb.6:
	v_lshlrev_b32_e32 v2, 2, v0
	v_mov_b32_e32 v3, s48
	v_add_co_u32_e64 v2, s[2:3], s7, v2
	v_addc_co_u32_e64 v3, s[2:3], 0, v3, s[2:3]
	flat_load_dword v8, v[2:3] offset:1024
.LBB1114_7:
	s_or_b64 exec, exec, s[4:5]
	v_or_b32_e32 v2, 0x200, v0
	v_cmp_gt_u32_e64 s[2:3], s33, v2
                                        ; implicit-def: $vgpr9
	s_and_saveexec_b64 s[8:9], s[2:3]
	s_cbranch_execz .LBB1114_9
; %bb.8:
	v_lshlrev_b32_e32 v2, 2, v0
	v_mov_b32_e32 v3, s48
	v_add_co_u32_e64 v2, s[4:5], s7, v2
	v_addc_co_u32_e64 v3, s[4:5], 0, v3, s[4:5]
	flat_load_dword v9, v[2:3] offset:2048
.LBB1114_9:
	s_or_b64 exec, exec, s[8:9]
	v_or_b32_e32 v2, 0x300, v0
	v_cmp_gt_u32_e64 s[4:5], s33, v2
                                        ; implicit-def: $vgpr10
	s_and_saveexec_b64 s[10:11], s[4:5]
	s_cbranch_execz .LBB1114_11
; %bb.10:
	v_lshlrev_b32_e32 v2, 2, v0
	v_mov_b32_e32 v3, s48
	v_add_co_u32_e64 v2, s[8:9], s7, v2
	v_addc_co_u32_e64 v3, s[8:9], 0, v3, s[8:9]
	flat_load_dword v10, v[2:3] offset:3072
.LBB1114_11:
	s_or_b64 exec, exec, s[10:11]
	v_or_b32_e32 v2, 0x400, v0
	v_cmp_gt_u32_e64 s[28:29], s33, v2
                                        ; implicit-def: $vgpr11
	s_and_saveexec_b64 s[10:11], s[28:29]
	s_cbranch_execz .LBB1114_13
; %bb.12:
	v_lshlrev_b32_e32 v3, 2, v2
	v_mov_b32_e32 v5, s48
	v_add_co_u32_e64 v4, s[8:9], s7, v3
	v_addc_co_u32_e64 v5, s[8:9], 0, v5, s[8:9]
	flat_load_dword v11, v[4:5]
.LBB1114_13:
	s_or_b64 exec, exec, s[10:11]
	v_or_b32_e32 v3, 0x500, v0
	v_cmp_gt_u32_e64 s[8:9], s33, v3
                                        ; implicit-def: $vgpr12
	s_and_saveexec_b64 s[12:13], s[8:9]
	s_cbranch_execz .LBB1114_15
; %bb.14:
	v_lshlrev_b32_e32 v4, 2, v3
	v_mov_b32_e32 v5, s48
	v_add_co_u32_e64 v4, s[10:11], s7, v4
	v_addc_co_u32_e64 v5, s[10:11], 0, v5, s[10:11]
	flat_load_dword v12, v[4:5]
.LBB1114_15:
	s_or_b64 exec, exec, s[12:13]
	v_or_b32_e32 v4, 0x600, v0
	v_cmp_gt_u32_e64 s[10:11], s33, v4
                                        ; implicit-def: $vgpr13
	s_and_saveexec_b64 s[14:15], s[10:11]
	s_cbranch_execz .LBB1114_17
; %bb.16:
	v_lshlrev_b32_e32 v5, 2, v4
	v_mov_b32_e32 v7, s48
	v_add_co_u32_e64 v6, s[12:13], s7, v5
	v_addc_co_u32_e64 v7, s[12:13], 0, v7, s[12:13]
	flat_load_dword v13, v[6:7]
.LBB1114_17:
	s_or_b64 exec, exec, s[14:15]
	v_or_b32_e32 v5, 0x700, v0
	v_cmp_gt_u32_e64 s[12:13], s33, v5
                                        ; implicit-def: $vgpr14
	s_and_saveexec_b64 s[16:17], s[12:13]
	s_cbranch_execz .LBB1114_19
; %bb.18:
	v_lshlrev_b32_e32 v6, 2, v5
	v_mov_b32_e32 v7, s48
	v_add_co_u32_e64 v6, s[14:15], s7, v6
	v_addc_co_u32_e64 v7, s[14:15], 0, v7, s[14:15]
	flat_load_dword v14, v[6:7]
.LBB1114_19:
	s_or_b64 exec, exec, s[16:17]
	v_or_b32_e32 v6, 0x800, v0
	v_cmp_gt_u32_e64 s[14:15], s33, v6
                                        ; implicit-def: $vgpr15
	s_and_saveexec_b64 s[18:19], s[14:15]
	s_cbranch_execz .LBB1114_21
; %bb.20:
	v_lshlrev_b32_e32 v7, 2, v6
	v_mov_b32_e32 v15, s48
	v_add_co_u32_e64 v16, s[16:17], s7, v7
	v_addc_co_u32_e64 v17, s[16:17], 0, v15, s[16:17]
	flat_load_dword v15, v[16:17]
.LBB1114_21:
	s_or_b64 exec, exec, s[18:19]
	v_or_b32_e32 v22, 0x900, v0
	v_cmp_gt_u32_e64 s[16:17], s33, v22
                                        ; implicit-def: $vgpr16
	s_and_saveexec_b64 s[20:21], s[16:17]
	s_cbranch_execz .LBB1114_23
; %bb.22:
	v_lshlrev_b32_e32 v7, 2, v22
	v_mov_b32_e32 v17, s48
	v_add_co_u32_e64 v16, s[18:19], s7, v7
	v_addc_co_u32_e64 v17, s[18:19], 0, v17, s[18:19]
	flat_load_dword v16, v[16:17]
.LBB1114_23:
	s_or_b64 exec, exec, s[20:21]
	v_or_b32_e32 v23, 0xa00, v0
	v_cmp_gt_u32_e64 s[18:19], s33, v23
                                        ; implicit-def: $vgpr17
	s_and_saveexec_b64 s[22:23], s[18:19]
	s_cbranch_execz .LBB1114_25
; %bb.24:
	v_lshlrev_b32_e32 v7, 2, v23
	v_mov_b32_e32 v17, s48
	v_add_co_u32_e64 v18, s[20:21], s7, v7
	v_addc_co_u32_e64 v19, s[20:21], 0, v17, s[20:21]
	flat_load_dword v17, v[18:19]
.LBB1114_25:
	s_or_b64 exec, exec, s[22:23]
	v_or_b32_e32 v24, 0xb00, v0
	v_cmp_gt_u32_e64 s[20:21], s33, v24
                                        ; implicit-def: $vgpr18
	s_and_saveexec_b64 s[24:25], s[20:21]
	s_cbranch_execz .LBB1114_27
; %bb.26:
	v_lshlrev_b32_e32 v7, 2, v24
	v_mov_b32_e32 v19, s48
	v_add_co_u32_e64 v18, s[22:23], s7, v7
	v_addc_co_u32_e64 v19, s[22:23], 0, v19, s[22:23]
	flat_load_dword v18, v[18:19]
.LBB1114_27:
	s_or_b64 exec, exec, s[24:25]
	v_or_b32_e32 v25, 0xc00, v0
	v_cmp_gt_u32_e64 s[22:23], s33, v25
                                        ; implicit-def: $vgpr19
	s_and_saveexec_b64 s[26:27], s[22:23]
	s_cbranch_execz .LBB1114_29
; %bb.28:
	v_lshlrev_b32_e32 v7, 2, v25
	v_mov_b32_e32 v19, s48
	v_add_co_u32_e64 v20, s[24:25], s7, v7
	v_addc_co_u32_e64 v21, s[24:25], 0, v19, s[24:25]
	flat_load_dword v19, v[20:21]
.LBB1114_29:
	s_or_b64 exec, exec, s[26:27]
	v_or_b32_e32 v26, 0xd00, v0
	v_cmp_gt_u32_e64 s[24:25], s33, v26
                                        ; implicit-def: $vgpr20
	s_and_saveexec_b64 s[30:31], s[24:25]
	s_cbranch_execz .LBB1114_31
; %bb.30:
	v_lshlrev_b32_e32 v7, 2, v26
	v_mov_b32_e32 v21, s48
	v_add_co_u32_e64 v20, s[26:27], s7, v7
	v_addc_co_u32_e64 v21, s[26:27], 0, v21, s[26:27]
	flat_load_dword v20, v[20:21]
.LBB1114_31:
	s_or_b64 exec, exec, s[30:31]
	v_or_b32_e32 v27, 0xe00, v0
	v_cmp_gt_u32_e64 s[26:27], s33, v27
                                        ; implicit-def: $vgpr21
	s_and_saveexec_b64 s[36:37], s[26:27]
	s_cbranch_execz .LBB1114_33
; %bb.32:
	v_lshlrev_b32_e32 v7, 2, v27
	v_mov_b32_e32 v21, s48
	v_add_co_u32_e64 v28, s[30:31], s7, v7
	v_addc_co_u32_e64 v29, s[30:31], 0, v21, s[30:31]
	flat_load_dword v21, v[28:29]
.LBB1114_33:
	s_or_b64 exec, exec, s[36:37]
	v_lshlrev_b32_e32 v7, 2, v0
	v_mad_u32_u24 v38, v0, 56, v7
	s_waitcnt vmcnt(0) lgkmcnt(0)
	ds_write2st64_b32 v7, v1, v8 offset1:4
	ds_write2st64_b32 v7, v9, v10 offset0:8 offset1:12
	ds_write2st64_b32 v7, v11, v12 offset0:16 offset1:20
	;; [unrolled: 1-line block ×6, first 2 shown]
	ds_write_b32 v7, v21 offset:14336
	s_waitcnt lgkmcnt(0)
	s_barrier
	ds_read2_b32 v[20:21], v38 offset1:1
	ds_read2_b32 v[18:19], v38 offset0:2 offset1:3
	ds_read2_b32 v[16:17], v38 offset0:4 offset1:5
	;; [unrolled: 1-line block ×6, first 2 shown]
	ds_read_b32 v1, v38 offset:56
	s_waitcnt lgkmcnt(0)
	s_barrier
	s_waitcnt lgkmcnt(0)
                                        ; implicit-def: $vgpr28
	s_and_saveexec_b64 s[30:31], vcc
	s_cbranch_execnz .LBB1114_57
; %bb.34:
	s_or_b64 exec, exec, s[30:31]
                                        ; implicit-def: $vgpr29
	s_and_saveexec_b64 s[30:31], s[0:1]
	s_cbranch_execnz .LBB1114_58
.LBB1114_35:
	s_or_b64 exec, exec, s[30:31]
                                        ; implicit-def: $vgpr30
	s_and_saveexec_b64 s[0:1], s[2:3]
	s_cbranch_execnz .LBB1114_59
.LBB1114_36:
	s_or_b64 exec, exec, s[0:1]
                                        ; implicit-def: $vgpr31
	s_and_saveexec_b64 s[0:1], s[4:5]
	s_cbranch_execnz .LBB1114_60
.LBB1114_37:
	s_or_b64 exec, exec, s[0:1]
                                        ; implicit-def: $vgpr32
	s_and_saveexec_b64 s[0:1], s[28:29]
	s_cbranch_execnz .LBB1114_61
.LBB1114_38:
	s_or_b64 exec, exec, s[0:1]
                                        ; implicit-def: $vgpr2
	s_and_saveexec_b64 s[0:1], s[8:9]
	s_cbranch_execnz .LBB1114_62
.LBB1114_39:
	s_or_b64 exec, exec, s[0:1]
                                        ; implicit-def: $vgpr3
	s_and_saveexec_b64 s[0:1], s[10:11]
	s_cbranch_execnz .LBB1114_63
.LBB1114_40:
	s_or_b64 exec, exec, s[0:1]
                                        ; implicit-def: $vgpr4
	s_and_saveexec_b64 s[0:1], s[12:13]
	s_cbranch_execnz .LBB1114_64
.LBB1114_41:
	s_or_b64 exec, exec, s[0:1]
                                        ; implicit-def: $vgpr5
	s_and_saveexec_b64 s[0:1], s[14:15]
	s_cbranch_execnz .LBB1114_65
.LBB1114_42:
	s_or_b64 exec, exec, s[0:1]
                                        ; implicit-def: $vgpr6
	s_and_saveexec_b64 s[0:1], s[16:17]
	s_cbranch_execnz .LBB1114_66
.LBB1114_43:
	s_or_b64 exec, exec, s[0:1]
                                        ; implicit-def: $vgpr22
	s_and_saveexec_b64 s[0:1], s[18:19]
	s_cbranch_execnz .LBB1114_67
.LBB1114_44:
	s_or_b64 exec, exec, s[0:1]
                                        ; implicit-def: $vgpr23
	s_and_saveexec_b64 s[0:1], s[20:21]
	s_cbranch_execnz .LBB1114_68
.LBB1114_45:
	s_or_b64 exec, exec, s[0:1]
                                        ; implicit-def: $vgpr24
	s_and_saveexec_b64 s[0:1], s[22:23]
	s_cbranch_execnz .LBB1114_69
.LBB1114_46:
	s_or_b64 exec, exec, s[0:1]
                                        ; implicit-def: $vgpr25
	s_and_saveexec_b64 s[0:1], s[24:25]
	s_cbranch_execnz .LBB1114_70
.LBB1114_47:
	s_or_b64 exec, exec, s[0:1]
                                        ; implicit-def: $vgpr26
	s_and_saveexec_b64 s[0:1], s[26:27]
	s_cbranch_execz .LBB1114_49
.LBB1114_48:
	v_lshlrev_b32_e32 v26, 2, v27
	v_mov_b32_e32 v27, s62
	v_add_co_u32_e32 v26, vcc, s49, v26
	v_addc_co_u32_e32 v27, vcc, 0, v27, vcc
	flat_load_dword v26, v[26:27]
.LBB1114_49:
	s_or_b64 exec, exec, s[0:1]
	s_waitcnt vmcnt(0) lgkmcnt(0)
	ds_write2st64_b32 v7, v28, v29 offset1:4
	ds_write2st64_b32 v7, v30, v31 offset0:8 offset1:12
	ds_write2st64_b32 v7, v32, v2 offset0:16 offset1:20
	ds_write2st64_b32 v7, v3, v4 offset0:24 offset1:28
	ds_write2st64_b32 v7, v5, v6 offset0:32 offset1:36
	ds_write2st64_b32 v7, v22, v23 offset0:40 offset1:44
	ds_write2st64_b32 v7, v24, v25 offset0:48 offset1:52
	ds_write_b32 v7, v26 offset:14336
	v_mov_b32_e32 v36, v20
	v_mov_b32_e32 v37, v18
	;; [unrolled: 1-line block ×7, first 2 shown]
	s_waitcnt lgkmcnt(0)
	s_barrier
.LBB1114_50:
	ds_read2_b32 v[34:35], v38 offset1:1
	ds_read2_b32 v[32:33], v38 offset0:2 offset1:3
	ds_read2_b32 v[30:31], v38 offset0:4 offset1:5
	;; [unrolled: 1-line block ×6, first 2 shown]
	ds_read_b32 v82, v38 offset:56
	s_cmp_eq_u64 s[38:39], 0
	s_cselect_b64 s[36:37], -1, 0
	s_cmp_lg_u64 s[38:39], 0
	s_mov_b64 s[2:3], 0
	s_cselect_b64 s[4:5], -1, 0
	s_and_b64 vcc, exec, s[40:41]
	s_waitcnt lgkmcnt(0)
	s_barrier
	s_cbranch_vccz .LBB1114_56
; %bb.51:
	s_and_b64 vcc, exec, s[4:5]
	s_cbranch_vccz .LBB1114_71
; %bb.52:
	v_mov_b32_e32 v7, s48
	v_add_co_u32_e64 v38, vcc, -4, s7
	v_addc_co_u32_e32 v39, vcc, -1, v7, vcc
	flat_load_dword v7, v[38:39]
	v_lshlrev_b32_e32 v38, 2, v0
	v_cmp_ne_u32_e32 vcc, 0, v0
	ds_write_b32 v38, v1
	s_waitcnt lgkmcnt(0)
	s_barrier
	s_and_saveexec_b64 s[0:1], vcc
	s_cbranch_execz .LBB1114_54
; %bb.53:
	s_waitcnt vmcnt(0)
	v_add_u32_e32 v7, -4, v38
	ds_read_b32 v7, v7
.LBB1114_54:
	s_or_b64 exec, exec, s[0:1]
	v_cmp_ne_u32_e32 vcc, v36, v21
	v_cndmask_b32_e64 v79, 0, 1, vcc
	v_cmp_ne_u32_e32 vcc, v37, v21
	v_cndmask_b32_e64 v78, 0, 1, vcc
	v_cmp_ne_u32_e32 vcc, v37, v19
	v_cndmask_b32_e64 v77, 0, 1, vcc
	v_cmp_ne_u32_e32 vcc, v4, v19
	v_cndmask_b32_e64 v76, 0, 1, vcc
	v_cmp_ne_u32_e32 vcc, v4, v17
	v_cndmask_b32_e64 v75, 0, 1, vcc
	v_cmp_ne_u32_e32 vcc, v5, v17
	v_cndmask_b32_e64 v74, 0, 1, vcc
	v_cmp_ne_u32_e32 vcc, v5, v15
	v_cndmask_b32_e64 v73, 0, 1, vcc
	v_cmp_ne_u32_e32 vcc, v2, v15
	v_cndmask_b32_e64 v72, 0, 1, vcc
	v_cmp_ne_u32_e32 vcc, v2, v13
	v_cndmask_b32_e64 v71, 0, 1, vcc
	v_cmp_ne_u32_e32 vcc, v3, v13
	v_cndmask_b32_e64 v70, 0, 1, vcc
	v_cmp_ne_u32_e32 vcc, v3, v11
	v_cndmask_b32_e64 v69, 0, 1, vcc
	v_cmp_ne_u32_e32 vcc, v6, v11
	v_cndmask_b32_e64 v68, 0, 1, vcc
	v_cmp_ne_u32_e32 vcc, v6, v9
	v_cndmask_b32_e64 v67, 0, 1, vcc
	v_cmp_ne_u32_e32 vcc, v1, v9
	v_cndmask_b32_e64 v66, 0, 1, vcc
	s_waitcnt vmcnt(0) lgkmcnt(0)
	v_cmp_ne_u32_e64 s[0:1], v7, v20
	s_mov_b64 s[2:3], -1
.LBB1114_55:
                                        ; implicit-def: $sgpr10
	s_branch .LBB1114_83
.LBB1114_56:
                                        ; implicit-def: $sgpr0_sgpr1
                                        ; implicit-def: $vgpr66
                                        ; implicit-def: $vgpr67
                                        ; implicit-def: $vgpr68
                                        ; implicit-def: $vgpr69
                                        ; implicit-def: $vgpr70
                                        ; implicit-def: $vgpr71
                                        ; implicit-def: $vgpr72
                                        ; implicit-def: $vgpr73
                                        ; implicit-def: $vgpr74
                                        ; implicit-def: $vgpr75
                                        ; implicit-def: $vgpr76
                                        ; implicit-def: $vgpr77
                                        ; implicit-def: $vgpr78
                                        ; implicit-def: $vgpr79
                                        ; implicit-def: $sgpr10
	s_cbranch_execnz .LBB1114_75
	s_branch .LBB1114_83
.LBB1114_57:
	v_mov_b32_e32 v29, s62
	v_add_co_u32_e32 v28, vcc, s49, v7
	v_addc_co_u32_e32 v29, vcc, 0, v29, vcc
	flat_load_dword v28, v[28:29]
	s_or_b64 exec, exec, s[30:31]
                                        ; implicit-def: $vgpr29
	s_and_saveexec_b64 s[30:31], s[0:1]
	s_cbranch_execz .LBB1114_35
.LBB1114_58:
	v_mov_b32_e32 v29, s62
	v_add_co_u32_e32 v30, vcc, s49, v7
	v_addc_co_u32_e32 v31, vcc, 0, v29, vcc
	flat_load_dword v29, v[30:31] offset:1024
	s_or_b64 exec, exec, s[30:31]
                                        ; implicit-def: $vgpr30
	s_and_saveexec_b64 s[0:1], s[2:3]
	s_cbranch_execz .LBB1114_36
.LBB1114_59:
	v_mov_b32_e32 v31, s62
	v_add_co_u32_e32 v30, vcc, s49, v7
	v_addc_co_u32_e32 v31, vcc, 0, v31, vcc
	flat_load_dword v30, v[30:31] offset:2048
	s_or_b64 exec, exec, s[0:1]
                                        ; implicit-def: $vgpr31
	s_and_saveexec_b64 s[0:1], s[4:5]
	s_cbranch_execz .LBB1114_37
.LBB1114_60:
	v_mov_b32_e32 v31, s62
	v_add_co_u32_e32 v32, vcc, s49, v7
	v_addc_co_u32_e32 v33, vcc, 0, v31, vcc
	flat_load_dword v31, v[32:33] offset:3072
	s_or_b64 exec, exec, s[0:1]
                                        ; implicit-def: $vgpr32
	s_and_saveexec_b64 s[0:1], s[28:29]
	s_cbranch_execz .LBB1114_38
.LBB1114_61:
	v_lshlrev_b32_e32 v2, 2, v2
	v_mov_b32_e32 v33, s62
	v_add_co_u32_e32 v32, vcc, s49, v2
	v_addc_co_u32_e32 v33, vcc, 0, v33, vcc
	flat_load_dword v32, v[32:33]
	s_or_b64 exec, exec, s[0:1]
                                        ; implicit-def: $vgpr2
	s_and_saveexec_b64 s[0:1], s[8:9]
	s_cbranch_execz .LBB1114_39
.LBB1114_62:
	v_lshlrev_b32_e32 v2, 2, v3
	v_mov_b32_e32 v3, s62
	v_add_co_u32_e32 v2, vcc, s49, v2
	v_addc_co_u32_e32 v3, vcc, 0, v3, vcc
	flat_load_dword v2, v[2:3]
	s_or_b64 exec, exec, s[0:1]
                                        ; implicit-def: $vgpr3
	s_and_saveexec_b64 s[0:1], s[10:11]
	s_cbranch_execz .LBB1114_40
.LBB1114_63:
	v_lshlrev_b32_e32 v3, 2, v4
	v_mov_b32_e32 v4, s62
	v_add_co_u32_e32 v34, vcc, s49, v3
	v_addc_co_u32_e32 v35, vcc, 0, v4, vcc
	flat_load_dword v3, v[34:35]
	s_or_b64 exec, exec, s[0:1]
                                        ; implicit-def: $vgpr4
	s_and_saveexec_b64 s[0:1], s[12:13]
	s_cbranch_execz .LBB1114_41
.LBB1114_64:
	v_lshlrev_b32_e32 v4, 2, v5
	v_mov_b32_e32 v5, s62
	v_add_co_u32_e32 v4, vcc, s49, v4
	v_addc_co_u32_e32 v5, vcc, 0, v5, vcc
	flat_load_dword v4, v[4:5]
	s_or_b64 exec, exec, s[0:1]
                                        ; implicit-def: $vgpr5
	s_and_saveexec_b64 s[0:1], s[14:15]
	s_cbranch_execz .LBB1114_42
.LBB1114_65:
	v_lshlrev_b32_e32 v5, 2, v6
	v_mov_b32_e32 v6, s62
	v_add_co_u32_e32 v34, vcc, s49, v5
	v_addc_co_u32_e32 v35, vcc, 0, v6, vcc
	flat_load_dword v5, v[34:35]
	s_or_b64 exec, exec, s[0:1]
                                        ; implicit-def: $vgpr6
	s_and_saveexec_b64 s[0:1], s[16:17]
	s_cbranch_execz .LBB1114_43
.LBB1114_66:
	v_lshlrev_b32_e32 v6, 2, v22
	v_mov_b32_e32 v22, s62
	v_add_co_u32_e32 v34, vcc, s49, v6
	v_addc_co_u32_e32 v35, vcc, 0, v22, vcc
	flat_load_dword v6, v[34:35]
	s_or_b64 exec, exec, s[0:1]
                                        ; implicit-def: $vgpr22
	s_and_saveexec_b64 s[0:1], s[18:19]
	s_cbranch_execz .LBB1114_44
.LBB1114_67:
	v_lshlrev_b32_e32 v22, 2, v23
	v_mov_b32_e32 v23, s62
	v_add_co_u32_e32 v22, vcc, s49, v22
	v_addc_co_u32_e32 v23, vcc, 0, v23, vcc
	flat_load_dword v22, v[22:23]
	s_or_b64 exec, exec, s[0:1]
                                        ; implicit-def: $vgpr23
	s_and_saveexec_b64 s[0:1], s[20:21]
	s_cbranch_execz .LBB1114_45
.LBB1114_68:
	v_lshlrev_b32_e32 v23, 2, v24
	v_mov_b32_e32 v24, s62
	v_add_co_u32_e32 v34, vcc, s49, v23
	v_addc_co_u32_e32 v35, vcc, 0, v24, vcc
	flat_load_dword v23, v[34:35]
	s_or_b64 exec, exec, s[0:1]
                                        ; implicit-def: $vgpr24
	s_and_saveexec_b64 s[0:1], s[22:23]
	s_cbranch_execz .LBB1114_46
.LBB1114_69:
	v_lshlrev_b32_e32 v24, 2, v25
	v_mov_b32_e32 v25, s62
	v_add_co_u32_e32 v24, vcc, s49, v24
	v_addc_co_u32_e32 v25, vcc, 0, v25, vcc
	flat_load_dword v24, v[24:25]
	s_or_b64 exec, exec, s[0:1]
                                        ; implicit-def: $vgpr25
	s_and_saveexec_b64 s[0:1], s[24:25]
	s_cbranch_execz .LBB1114_47
.LBB1114_70:
	v_lshlrev_b32_e32 v25, 2, v26
	v_mov_b32_e32 v26, s62
	v_add_co_u32_e32 v34, vcc, s49, v25
	v_addc_co_u32_e32 v35, vcc, 0, v26, vcc
	flat_load_dword v25, v[34:35]
	s_or_b64 exec, exec, s[0:1]
                                        ; implicit-def: $vgpr26
	s_and_saveexec_b64 s[0:1], s[26:27]
	s_cbranch_execnz .LBB1114_48
	s_branch .LBB1114_49
.LBB1114_71:
                                        ; implicit-def: $sgpr0_sgpr1
                                        ; implicit-def: $vgpr66
                                        ; implicit-def: $vgpr67
                                        ; implicit-def: $vgpr68
                                        ; implicit-def: $vgpr69
                                        ; implicit-def: $vgpr70
                                        ; implicit-def: $vgpr71
                                        ; implicit-def: $vgpr72
                                        ; implicit-def: $vgpr73
                                        ; implicit-def: $vgpr74
                                        ; implicit-def: $vgpr75
                                        ; implicit-def: $vgpr76
                                        ; implicit-def: $vgpr77
                                        ; implicit-def: $vgpr78
                                        ; implicit-def: $vgpr79
	s_cbranch_execz .LBB1114_55
; %bb.72:
	v_cmp_ne_u32_e32 vcc, v21, v36
	v_cndmask_b32_e64 v79, 0, 1, vcc
	v_cmp_ne_u32_e32 vcc, v21, v37
	v_cndmask_b32_e64 v78, 0, 1, vcc
	;; [unrolled: 2-line block ×13, first 2 shown]
	v_cmp_ne_u32_e32 vcc, v9, v1
	v_lshlrev_b32_e32 v7, 2, v0
	v_cndmask_b32_e64 v66, 0, 1, vcc
	v_cmp_ne_u32_e32 vcc, 0, v0
	ds_write_b32 v7, v1
	s_waitcnt lgkmcnt(0)
	s_barrier
	s_waitcnt lgkmcnt(0)
                                        ; implicit-def: $sgpr0_sgpr1
	s_and_saveexec_b64 s[8:9], vcc
	s_xor_b64 s[8:9], exec, s[8:9]
	s_cbranch_execz .LBB1114_74
; %bb.73:
	v_add_u32_e32 v2, -4, v7
	ds_read_b32 v2, v2
	s_or_b64 s[2:3], s[2:3], exec
	s_waitcnt lgkmcnt(0)
	v_cmp_ne_u32_e32 vcc, v2, v20
	s_and_b64 s[0:1], vcc, exec
.LBB1114_74:
	s_or_b64 exec, exec, s[8:9]
	s_mov_b32 s10, 1
	s_branch .LBB1114_83
.LBB1114_75:
	s_mul_hi_u32 s1, s38, 0xfffff100
	s_mul_i32 s0, s39, 0xfffff100
	s_sub_i32 s1, s1, s38
	s_add_i32 s1, s1, s0
	s_mul_i32 s0, s38, 0xfffff100
	s_add_u32 s8, s0, s56
	s_addc_u32 s9, s1, s57
	s_and_b64 vcc, exec, s[4:5]
	s_cbranch_vccz .LBB1114_80
; %bb.76:
	v_mov_b32_e32 v3, s48
	v_add_co_u32_e64 v2, vcc, -4, s7
	v_addc_co_u32_e32 v3, vcc, -1, v3, vcc
	flat_load_dword v6, v[2:3]
	v_mad_u32_u24 v4, v0, 15, 14
	v_mov_b32_e32 v5, 0
	v_cmp_gt_u64_e32 vcc, s[8:9], v[4:5]
	v_cmp_ne_u32_e64 s[0:1], v9, v1
	v_mad_u32_u24 v4, v0, 15, 13
	s_and_b64 s[2:3], vcc, s[0:1]
	v_cmp_gt_u64_e32 vcc, s[8:9], v[4:5]
	v_cmp_ne_u32_e64 s[0:1], v8, v9
	v_mad_u32_u24 v4, v0, 15, 12
	s_and_b64 s[4:5], vcc, s[0:1]
	;; [unrolled: 4-line block ×13, first 2 shown]
	v_cmp_gt_u64_e32 vcc, s[8:9], v[4:5]
	v_cmp_ne_u32_e64 s[0:1], v20, v21
	v_lshlrev_b32_e32 v3, 2, v0
	v_mul_u32_u24_e32 v2, 15, v0
	s_and_b64 s[0:1], vcc, s[0:1]
	v_cmp_ne_u32_e32 vcc, 0, v0
	ds_write_b32 v3, v1
	s_waitcnt lgkmcnt(0)
	s_barrier
	s_and_saveexec_b64 s[38:39], vcc
	s_cbranch_execz .LBB1114_78
; %bb.77:
	v_add_u32_e32 v3, -4, v3
	s_waitcnt vmcnt(0)
	ds_read_b32 v6, v3
.LBB1114_78:
	s_or_b64 exec, exec, s[38:39]
	v_mov_b32_e32 v3, v5
	v_cndmask_b32_e64 v79, 0, 1, s[0:1]
	v_cmp_gt_u64_e32 vcc, s[8:9], v[2:3]
	s_waitcnt vmcnt(0) lgkmcnt(0)
	v_cmp_ne_u32_e64 s[0:1], v6, v20
	v_cndmask_b32_e64 v66, 0, 1, s[2:3]
	v_cndmask_b32_e64 v67, 0, 1, s[4:5]
	;; [unrolled: 1-line block ×13, first 2 shown]
	s_and_b64 s[0:1], vcc, s[0:1]
	s_mov_b64 s[2:3], -1
.LBB1114_79:
                                        ; implicit-def: $sgpr10
	v_mov_b32_e32 v81, s10
	s_and_saveexec_b64 s[4:5], s[2:3]
	s_cbranch_execnz .LBB1114_84
	s_branch .LBB1114_85
.LBB1114_80:
                                        ; implicit-def: $sgpr0_sgpr1
                                        ; implicit-def: $vgpr66
                                        ; implicit-def: $vgpr67
                                        ; implicit-def: $vgpr68
                                        ; implicit-def: $vgpr69
                                        ; implicit-def: $vgpr70
                                        ; implicit-def: $vgpr71
                                        ; implicit-def: $vgpr72
                                        ; implicit-def: $vgpr73
                                        ; implicit-def: $vgpr74
                                        ; implicit-def: $vgpr75
                                        ; implicit-def: $vgpr76
                                        ; implicit-def: $vgpr77
                                        ; implicit-def: $vgpr78
                                        ; implicit-def: $vgpr79
	s_cbranch_execz .LBB1114_79
; %bb.81:
	v_mad_u32_u24 v2, v0, 15, 14
	v_mov_b32_e32 v3, 0
	v_cmp_gt_u64_e32 vcc, s[8:9], v[2:3]
	v_cmp_ne_u32_e64 s[0:1], v9, v1
	s_and_b64 s[0:1], vcc, s[0:1]
	v_mad_u32_u24 v2, v0, 15, 13
	v_cndmask_b32_e64 v66, 0, 1, s[0:1]
	v_cmp_gt_u64_e32 vcc, s[8:9], v[2:3]
	v_cmp_ne_u32_e64 s[0:1], v8, v9
	s_and_b64 s[0:1], vcc, s[0:1]
	v_mad_u32_u24 v2, v0, 15, 12
	v_cndmask_b32_e64 v67, 0, 1, s[0:1]
	;; [unrolled: 5-line block ×13, first 2 shown]
	v_cmp_gt_u64_e32 vcc, s[8:9], v[2:3]
	v_cmp_ne_u32_e64 s[0:1], v20, v21
	s_and_b64 s[0:1], vcc, s[0:1]
	v_lshlrev_b32_e32 v4, 2, v0
	s_mov_b32 s10, 1
	v_cndmask_b32_e64 v79, 0, 1, s[0:1]
	v_cmp_ne_u32_e32 vcc, 0, v0
	ds_write_b32 v4, v1
	s_waitcnt lgkmcnt(0)
	s_barrier
	s_waitcnt lgkmcnt(0)
                                        ; implicit-def: $sgpr0_sgpr1
	s_and_saveexec_b64 s[4:5], vcc
	s_cbranch_execz .LBB1114_192
; %bb.82:
	v_add_u32_e32 v2, -4, v4
	ds_read_b32 v4, v2
	v_mul_u32_u24_e32 v2, 15, v0
	v_cmp_gt_u64_e32 vcc, s[8:9], v[2:3]
	s_or_b64 s[2:3], s[2:3], exec
	s_waitcnt lgkmcnt(0)
	v_cmp_ne_u32_e64 s[0:1], v4, v20
	s_and_b64 s[0:1], vcc, s[0:1]
	s_and_b64 s[0:1], s[0:1], exec
	s_or_b64 exec, exec, s[4:5]
.LBB1114_83:
	v_mov_b32_e32 v81, s10
	s_and_saveexec_b64 s[4:5], s[2:3]
.LBB1114_84:
	v_cndmask_b32_e64 v81, 0, 1, s[0:1]
.LBB1114_85:
	s_or_b64 exec, exec, s[4:5]
	s_cmp_eq_u64 s[46:47], 0
	v_add3_u32 v2, v79, v81, v78
	s_cselect_b64 s[38:39], -1, 0
	s_cmp_lg_u32 s6, 0
	v_cmp_eq_u32_e64 s[24:25], 0, v79
	v_cmp_eq_u32_e64 s[22:23], 0, v78
	;; [unrolled: 1-line block ×3, first 2 shown]
	v_add3_u32 v86, v2, v77, v76
	v_cmp_eq_u32_e64 s[18:19], 0, v76
	v_cmp_eq_u32_e64 s[16:17], 0, v75
	v_cmp_eq_u32_e64 s[14:15], 0, v74
	v_cmp_eq_u32_e64 s[12:13], 0, v73
	v_cmp_eq_u32_e64 s[10:11], 0, v72
	v_cmp_eq_u32_e64 s[8:9], 0, v71
	v_cmp_eq_u32_e64 s[28:29], 0, v70
	v_cmp_eq_u32_e64 s[4:5], 0, v69
	v_cmp_eq_u32_e64 s[2:3], 0, v68
	v_cmp_eq_u32_e64 s[0:1], 0, v67
	v_cmp_eq_u32_e32 vcc, 0, v66
	v_mbcnt_lo_u32_b32 v85, -1, 0
	v_lshrrev_b32_e32 v83, 6, v0
	v_or_b32_e32 v84, 63, v0
	s_cbranch_scc0 .LBB1114_116
; %bb.86:
	v_cndmask_b32_e64 v2, 0, v34, s[24:25]
	v_add_u32_e32 v2, v2, v35
	v_cndmask_b32_e64 v2, 0, v2, s[22:23]
	v_add_u32_e32 v2, v2, v32
	;; [unrolled: 2-line block ×11, first 2 shown]
	v_cndmask_b32_e64 v2, 0, v2, s[2:3]
	v_add3_u32 v3, v86, v75, v74
	v_add_u32_e32 v2, v2, v22
	v_add3_u32 v3, v3, v73, v72
	v_cndmask_b32_e64 v2, 0, v2, s[0:1]
	v_add3_u32 v3, v3, v71, v70
	v_add_u32_e32 v2, v2, v23
	v_add3_u32 v3, v3, v69, v68
	v_cndmask_b32_e32 v2, 0, v2, vcc
	v_add3_u32 v3, v3, v67, v66
	v_add_u32_e32 v2, v2, v82
	v_mbcnt_hi_u32_b32 v39, -1, v85
	v_and_b32_e32 v4, 15, v39
	v_mov_b32_dpp v6, v2 row_shr:1 row_mask:0xf bank_mask:0xf
	v_cmp_eq_u32_e32 vcc, 0, v3
	v_mov_b32_dpp v5, v3 row_shr:1 row_mask:0xf bank_mask:0xf
	v_cndmask_b32_e32 v6, 0, v6, vcc
	v_cmp_eq_u32_e32 vcc, 0, v4
	v_cndmask_b32_e64 v5, v5, 0, vcc
	v_add_u32_e32 v3, v5, v3
	v_cndmask_b32_e64 v5, v6, 0, vcc
	v_add_u32_e32 v2, v5, v2
	v_cmp_eq_u32_e32 vcc, 0, v3
	v_mov_b32_dpp v5, v3 row_shr:2 row_mask:0xf bank_mask:0xf
	v_cmp_lt_u32_e64 s[26:27], 1, v4
	v_mov_b32_dpp v6, v2 row_shr:2 row_mask:0xf bank_mask:0xf
	v_cndmask_b32_e64 v5, 0, v5, s[26:27]
	s_and_b64 vcc, s[26:27], vcc
	v_cndmask_b32_e32 v6, 0, v6, vcc
	v_add_u32_e32 v3, v3, v5
	v_add_u32_e32 v2, v6, v2
	v_cmp_eq_u32_e32 vcc, 0, v3
	v_mov_b32_dpp v5, v3 row_shr:4 row_mask:0xf bank_mask:0xf
	v_cmp_lt_u32_e64 s[26:27], 3, v4
	v_mov_b32_dpp v6, v2 row_shr:4 row_mask:0xf bank_mask:0xf
	v_cndmask_b32_e64 v5, 0, v5, s[26:27]
	s_and_b64 vcc, s[26:27], vcc
	v_cndmask_b32_e32 v6, 0, v6, vcc
	v_add_u32_e32 v3, v5, v3
	v_add_u32_e32 v2, v2, v6
	v_cmp_eq_u32_e32 vcc, 0, v3
	v_cmp_lt_u32_e64 s[26:27], 7, v4
	v_mov_b32_dpp v5, v3 row_shr:8 row_mask:0xf bank_mask:0xf
	v_mov_b32_dpp v6, v2 row_shr:8 row_mask:0xf bank_mask:0xf
	s_and_b64 vcc, s[26:27], vcc
	v_cndmask_b32_e64 v4, 0, v5, s[26:27]
	v_cndmask_b32_e32 v5, 0, v6, vcc
	v_add_u32_e32 v2, v5, v2
	v_add_u32_e32 v3, v4, v3
	v_bfe_i32 v6, v39, 4, 1
	v_mov_b32_dpp v5, v2 row_bcast:15 row_mask:0xf bank_mask:0xf
	v_mov_b32_dpp v4, v3 row_bcast:15 row_mask:0xf bank_mask:0xf
	v_cmp_eq_u32_e32 vcc, 0, v3
	v_cndmask_b32_e32 v5, 0, v5, vcc
	v_and_b32_e32 v4, v6, v4
	v_add_u32_e32 v3, v4, v3
	v_and_b32_e32 v4, v6, v5
	v_add_u32_e32 v4, v4, v2
	v_mov_b32_dpp v2, v3 row_bcast:31 row_mask:0xf bank_mask:0xf
	v_cmp_eq_u32_e32 vcc, 0, v3
	v_cmp_lt_u32_e64 s[26:27], 31, v39
	v_mov_b32_dpp v5, v4 row_bcast:31 row_mask:0xf bank_mask:0xf
	v_cndmask_b32_e64 v2, 0, v2, s[26:27]
	s_and_b64 vcc, s[26:27], vcc
	v_add_u32_e32 v2, v2, v3
	v_cndmask_b32_e32 v3, 0, v5, vcc
	v_add_u32_e32 v3, v3, v4
	v_cmp_eq_u32_e32 vcc, v84, v0
	v_lshlrev_b32_e32 v4, 3, v83
	s_and_saveexec_b64 s[26:27], vcc
	s_cbranch_execz .LBB1114_88
; %bb.87:
	ds_write_b64 v4, v[2:3] offset:2064
.LBB1114_88:
	s_or_b64 exec, exec, s[26:27]
	v_cmp_gt_u32_e32 vcc, 4, v0
	s_waitcnt lgkmcnt(0)
	s_barrier
	s_and_saveexec_b64 s[30:31], vcc
	s_cbranch_execz .LBB1114_90
; %bb.89:
	v_lshlrev_b32_e32 v5, 3, v0
	ds_read_b64 v[6:7], v5 offset:2064
	v_and_b32_e32 v36, 3, v39
	v_cmp_lt_u32_e64 s[26:27], 1, v36
	s_waitcnt lgkmcnt(0)
	v_mov_b32_dpp v38, v7 row_shr:1 row_mask:0xf bank_mask:0xf
	v_cmp_eq_u32_e32 vcc, 0, v6
	v_mov_b32_dpp v37, v6 row_shr:1 row_mask:0xf bank_mask:0xf
	v_cndmask_b32_e32 v38, 0, v38, vcc
	v_cmp_eq_u32_e32 vcc, 0, v36
	v_cndmask_b32_e64 v37, v37, 0, vcc
	v_add_u32_e32 v6, v37, v6
	v_cndmask_b32_e64 v37, v38, 0, vcc
	v_add_u32_e32 v7, v37, v7
	v_cmp_eq_u32_e32 vcc, 0, v6
	v_mov_b32_dpp v37, v6 row_shr:2 row_mask:0xf bank_mask:0xf
	v_mov_b32_dpp v38, v7 row_shr:2 row_mask:0xf bank_mask:0xf
	v_cndmask_b32_e64 v36, 0, v37, s[26:27]
	s_and_b64 vcc, s[26:27], vcc
	v_add_u32_e32 v6, v36, v6
	v_cndmask_b32_e32 v36, 0, v38, vcc
	v_add_u32_e32 v7, v36, v7
	ds_write_b64 v5, v[6:7] offset:2064
.LBB1114_90:
	s_or_b64 exec, exec, s[30:31]
	v_cmp_gt_u32_e32 vcc, 64, v0
	v_cmp_lt_u32_e64 s[26:27], 63, v0
	v_mov_b32_e32 v36, 0
	v_mov_b32_e32 v37, 0
	s_waitcnt lgkmcnt(0)
	s_barrier
	s_and_saveexec_b64 s[30:31], s[26:27]
	s_cbranch_execz .LBB1114_92
; %bb.91:
	ds_read_b64 v[36:37], v4 offset:2056
	v_cmp_eq_u32_e64 s[26:27], 0, v2
	s_waitcnt lgkmcnt(0)
	v_add_u32_e32 v4, v36, v2
	v_cndmask_b32_e64 v2, 0, v37, s[26:27]
	v_add_u32_e32 v3, v2, v3
	v_mov_b32_e32 v2, v4
.LBB1114_92:
	s_or_b64 exec, exec, s[30:31]
	v_add_u32_e32 v4, -1, v39
	v_and_b32_e32 v5, 64, v39
	v_cmp_lt_i32_e64 s[26:27], v4, v5
	v_cndmask_b32_e64 v4, v4, v39, s[26:27]
	v_lshlrev_b32_e32 v4, 2, v4
	ds_bpermute_b32 v44, v4, v2
	ds_bpermute_b32 v45, v4, v3
	v_cmp_eq_u32_e64 s[26:27], 0, v39
	s_and_saveexec_b64 s[40:41], vcc
	s_cbranch_execz .LBB1114_115
; %bb.93:
	v_mov_b32_e32 v7, 0
	ds_read_b64 v[2:3], v7 offset:2088
	s_waitcnt lgkmcnt(0)
	v_readfirstlane_b32 s7, v2
	v_readfirstlane_b32 s48, v3
	s_and_saveexec_b64 s[30:31], s[26:27]
	s_cbranch_execz .LBB1114_95
; %bb.94:
	s_add_i32 s46, s6, 64
	s_mov_b32 s47, 0
	s_lshl_b64 s[50:51], s[46:47], 4
	s_add_u32 s50, s44, s50
	s_addc_u32 s51, s45, s51
	s_and_b32 s57, s48, 0xff000000
	s_mov_b32 s56, s47
	s_and_b32 s63, s48, 0xff0000
	s_mov_b32 s62, s47
	s_or_b64 s[56:57], s[62:63], s[56:57]
	s_and_b32 s63, s48, 0xff00
	s_or_b64 s[56:57], s[56:57], s[62:63]
	s_and_b32 s63, s48, 0xff
	s_or_b64 s[46:47], s[56:57], s[62:63]
	v_mov_b32_e32 v4, s7
	v_mov_b32_e32 v5, s47
	;; [unrolled: 1-line block ×3, first 2 shown]
	v_pk_mov_b32 v[2:3], s[50:51], s[50:51] op_sel:[0,1]
	;;#ASMSTART
	global_store_dwordx4 v[2:3], v[4:7] off	
s_waitcnt vmcnt(0)
	;;#ASMEND
.LBB1114_95:
	s_or_b64 exec, exec, s[30:31]
	v_xad_u32 v38, v39, -1, s6
	v_add_u32_e32 v6, 64, v38
	v_lshlrev_b64 v[2:3], 4, v[6:7]
	v_mov_b32_e32 v4, s45
	v_add_co_u32_e32 v40, vcc, s44, v2
	v_addc_co_u32_e32 v41, vcc, v4, v3, vcc
	;;#ASMSTART
	global_load_dwordx4 v[2:5], v[40:41] off glc	
s_waitcnt vmcnt(0)
	;;#ASMEND
	v_and_b32_e32 v5, 0xff, v3
	v_and_b32_e32 v6, 0xff00, v3
	;; [unrolled: 1-line block ×3, first 2 shown]
	v_or3_b32 v5, 0, v5, v6
	v_or3_b32 v2, v2, 0, 0
	v_and_b32_e32 v3, 0xff000000, v3
	v_or3_b32 v3, v5, v42, v3
	v_or3_b32 v2, v2, 0, 0
	v_cmp_eq_u16_sdwa s[46:47], v4, v7 src0_sel:BYTE_0 src1_sel:DWORD
	s_and_saveexec_b64 s[30:31], s[46:47]
	s_cbranch_execz .LBB1114_101
; %bb.96:
	s_mov_b32 s49, 1
	s_mov_b64 s[46:47], 0
	v_mov_b32_e32 v6, 0
.LBB1114_97:                            ; =>This Loop Header: Depth=1
                                        ;     Child Loop BB1114_98 Depth 2
	s_max_u32 s50, s49, 1
.LBB1114_98:                            ;   Parent Loop BB1114_97 Depth=1
                                        ; =>  This Inner Loop Header: Depth=2
	s_add_i32 s50, s50, -1
	s_cmp_eq_u32 s50, 0
	s_sleep 1
	s_cbranch_scc0 .LBB1114_98
; %bb.99:                               ;   in Loop: Header=BB1114_97 Depth=1
	s_cmp_lt_u32 s49, 32
	s_cselect_b64 s[50:51], -1, 0
	s_cmp_lg_u64 s[50:51], 0
	s_addc_u32 s49, s49, 0
	;;#ASMSTART
	global_load_dwordx4 v[2:5], v[40:41] off glc	
s_waitcnt vmcnt(0)
	;;#ASMEND
	v_cmp_ne_u16_sdwa s[50:51], v4, v6 src0_sel:BYTE_0 src1_sel:DWORD
	s_or_b64 s[46:47], s[50:51], s[46:47]
	s_andn2_b64 exec, exec, s[46:47]
	s_cbranch_execnz .LBB1114_97
; %bb.100:
	s_or_b64 exec, exec, s[46:47]
.LBB1114_101:
	s_or_b64 exec, exec, s[30:31]
	v_mov_b32_e32 v46, 2
	v_cmp_eq_u16_sdwa s[30:31], v4, v46 src0_sel:BYTE_0 src1_sel:DWORD
	v_lshlrev_b64 v[40:41], v39, -1
	v_and_b32_e32 v5, s31, v41
	v_and_b32_e32 v47, 63, v39
	v_or_b32_e32 v5, 0x80000000, v5
	v_cmp_ne_u32_e32 vcc, 63, v47
	v_and_b32_e32 v6, s30, v40
	v_ffbl_b32_e32 v5, v5
	v_addc_co_u32_e32 v7, vcc, 0, v39, vcc
	v_add_u32_e32 v5, 32, v5
	v_ffbl_b32_e32 v6, v6
	v_lshlrev_b32_e32 v48, 2, v7
	v_min_u32_e32 v5, v6, v5
	ds_bpermute_b32 v6, v48, v3
	v_cmp_eq_u32_e32 vcc, 0, v2
	v_cmp_lt_u32_e64 s[30:31], v47, v5
	ds_bpermute_b32 v7, v48, v2
	s_and_b64 vcc, s[30:31], vcc
	s_waitcnt lgkmcnt(1)
	v_cndmask_b32_e32 v6, 0, v6, vcc
	v_cmp_gt_u32_e32 vcc, 62, v47
	v_add_u32_e32 v3, v6, v3
	v_cndmask_b32_e64 v6, 0, 1, vcc
	v_lshlrev_b32_e32 v6, 1, v6
	v_add_lshl_u32 v49, v6, v39, 2
	s_waitcnt lgkmcnt(0)
	v_cndmask_b32_e64 v7, 0, v7, s[30:31]
	ds_bpermute_b32 v6, v49, v3
	v_add_u32_e32 v2, v7, v2
	ds_bpermute_b32 v7, v49, v2
	v_add_u32_e32 v50, 2, v47
	v_cmp_eq_u32_e32 vcc, 0, v2
	s_waitcnt lgkmcnt(1)
	v_cndmask_b32_e32 v6, 0, v6, vcc
	v_cmp_gt_u32_e32 vcc, v50, v5
	v_cndmask_b32_e64 v6, v6, 0, vcc
	v_add_u32_e32 v3, v6, v3
	s_waitcnt lgkmcnt(0)
	v_cndmask_b32_e64 v6, v7, 0, vcc
	v_cmp_gt_u32_e32 vcc, 60, v47
	v_cndmask_b32_e64 v7, 0, 1, vcc
	v_lshlrev_b32_e32 v7, 2, v7
	v_add_lshl_u32 v51, v7, v39, 2
	ds_bpermute_b32 v7, v51, v3
	v_add_u32_e32 v2, v2, v6
	ds_bpermute_b32 v6, v51, v2
	v_add_u32_e32 v52, 4, v47
	v_cmp_eq_u32_e32 vcc, 0, v2
	s_waitcnt lgkmcnt(1)
	v_cndmask_b32_e32 v7, 0, v7, vcc
	v_cmp_gt_u32_e32 vcc, v52, v5
	v_cndmask_b32_e64 v7, v7, 0, vcc
	s_waitcnt lgkmcnt(0)
	v_cndmask_b32_e64 v6, v6, 0, vcc
	v_cmp_gt_u32_e32 vcc, 56, v47
	v_add_u32_e32 v3, v3, v7
	v_cndmask_b32_e64 v7, 0, 1, vcc
	v_lshlrev_b32_e32 v7, 3, v7
	v_add_lshl_u32 v53, v7, v39, 2
	ds_bpermute_b32 v7, v53, v3
	v_add_u32_e32 v2, v2, v6
	ds_bpermute_b32 v6, v53, v2
	v_add_u32_e32 v54, 8, v47
	v_cmp_eq_u32_e32 vcc, 0, v2
	s_waitcnt lgkmcnt(1)
	v_cndmask_b32_e32 v7, 0, v7, vcc
	v_cmp_gt_u32_e32 vcc, v54, v5
	v_cndmask_b32_e64 v7, v7, 0, vcc
	s_waitcnt lgkmcnt(0)
	v_cndmask_b32_e64 v6, v6, 0, vcc
	v_cmp_gt_u32_e32 vcc, 48, v47
	v_add_u32_e32 v3, v3, v7
	;; [unrolled: 16-line block ×3, first 2 shown]
	v_cndmask_b32_e64 v7, 0, 1, vcc
	v_lshlrev_b32_e32 v7, 5, v7
	v_add_lshl_u32 v57, v7, v39, 2
	ds_bpermute_b32 v7, v57, v3
	v_add_u32_e32 v2, v2, v6
	ds_bpermute_b32 v6, v57, v2
	v_add_u32_e32 v58, 32, v47
	v_cmp_eq_u32_e32 vcc, 0, v2
	s_waitcnt lgkmcnt(1)
	v_cndmask_b32_e32 v7, 0, v7, vcc
	v_cmp_gt_u32_e32 vcc, v58, v5
	v_cndmask_b32_e64 v5, v7, 0, vcc
	v_add_u32_e32 v3, v5, v3
	s_waitcnt lgkmcnt(0)
	v_cndmask_b32_e64 v5, v6, 0, vcc
	v_add_u32_e32 v2, v5, v2
	v_mov_b32_e32 v39, 0
	s_branch .LBB1114_103
.LBB1114_102:                           ;   in Loop: Header=BB1114_103 Depth=1
	s_or_b64 exec, exec, s[30:31]
	v_cmp_eq_u16_sdwa s[30:31], v4, v46 src0_sel:BYTE_0 src1_sel:DWORD
	v_and_b32_e32 v5, s31, v41
	v_or_b32_e32 v5, 0x80000000, v5
	v_and_b32_e32 v42, s30, v40
	v_ffbl_b32_e32 v5, v5
	v_add_u32_e32 v5, 32, v5
	v_ffbl_b32_e32 v42, v42
	v_min_u32_e32 v5, v42, v5
	ds_bpermute_b32 v42, v48, v3
	v_cmp_eq_u32_e32 vcc, 0, v2
	v_cmp_lt_u32_e64 s[30:31], v47, v5
	ds_bpermute_b32 v43, v48, v2
	s_and_b64 vcc, s[30:31], vcc
	s_waitcnt lgkmcnt(1)
	v_cndmask_b32_e32 v42, 0, v42, vcc
	v_add_u32_e32 v3, v42, v3
	ds_bpermute_b32 v42, v49, v3
	s_waitcnt lgkmcnt(1)
	v_cndmask_b32_e64 v43, 0, v43, s[30:31]
	v_add_u32_e32 v2, v43, v2
	v_cmp_eq_u32_e32 vcc, 0, v2
	ds_bpermute_b32 v43, v49, v2
	s_waitcnt lgkmcnt(1)
	v_cndmask_b32_e32 v42, 0, v42, vcc
	v_cmp_gt_u32_e32 vcc, v50, v5
	v_cndmask_b32_e64 v42, v42, 0, vcc
	v_add_u32_e32 v3, v42, v3
	ds_bpermute_b32 v42, v51, v3
	s_waitcnt lgkmcnt(1)
	v_cndmask_b32_e64 v43, v43, 0, vcc
	v_add_u32_e32 v2, v2, v43
	v_cmp_eq_u32_e32 vcc, 0, v2
	ds_bpermute_b32 v43, v51, v2
	s_waitcnt lgkmcnt(1)
	v_cndmask_b32_e32 v42, 0, v42, vcc
	v_cmp_gt_u32_e32 vcc, v52, v5
	v_cndmask_b32_e64 v42, v42, 0, vcc
	v_add_u32_e32 v3, v3, v42
	ds_bpermute_b32 v42, v53, v3
	s_waitcnt lgkmcnt(1)
	v_cndmask_b32_e64 v43, v43, 0, vcc
	v_add_u32_e32 v2, v2, v43
	ds_bpermute_b32 v43, v53, v2
	v_cmp_eq_u32_e32 vcc, 0, v2
	s_waitcnt lgkmcnt(1)
	v_cndmask_b32_e32 v42, 0, v42, vcc
	v_cmp_gt_u32_e32 vcc, v54, v5
	v_cndmask_b32_e64 v42, v42, 0, vcc
	v_add_u32_e32 v3, v3, v42
	ds_bpermute_b32 v42, v55, v3
	s_waitcnt lgkmcnt(1)
	v_cndmask_b32_e64 v43, v43, 0, vcc
	v_add_u32_e32 v2, v2, v43
	ds_bpermute_b32 v43, v55, v2
	v_cmp_eq_u32_e32 vcc, 0, v2
	;; [unrolled: 11-line block ×3, first 2 shown]
	s_waitcnt lgkmcnt(1)
	v_cndmask_b32_e32 v42, 0, v42, vcc
	v_cmp_gt_u32_e32 vcc, v58, v5
	v_cndmask_b32_e64 v5, v42, 0, vcc
	v_add_u32_e32 v3, v5, v3
	s_waitcnt lgkmcnt(0)
	v_cndmask_b32_e64 v5, v43, 0, vcc
	v_cmp_eq_u32_e32 vcc, 0, v6
	v_cndmask_b32_e32 v3, 0, v3, vcc
	v_subrev_u32_e32 v38, 64, v38
	v_add3_u32 v2, v2, v6, v5
	v_add_u32_e32 v3, v3, v7
.LBB1114_103:                           ; =>This Loop Header: Depth=1
                                        ;     Child Loop BB1114_106 Depth 2
                                        ;       Child Loop BB1114_107 Depth 3
	v_cmp_ne_u16_sdwa s[30:31], v4, v46 src0_sel:BYTE_0 src1_sel:DWORD
	v_mov_b32_e32 v7, v3
	v_cndmask_b32_e64 v3, 0, 1, s[30:31]
	;;#ASMSTART
	;;#ASMEND
	v_cmp_ne_u32_e32 vcc, 0, v3
	s_cmp_lg_u64 vcc, exec
	v_mov_b32_e32 v6, v2
	s_cbranch_scc1 .LBB1114_110
; %bb.104:                              ;   in Loop: Header=BB1114_103 Depth=1
	v_lshlrev_b64 v[2:3], 4, v[38:39]
	v_mov_b32_e32 v4, s45
	v_add_co_u32_e32 v42, vcc, s44, v2
	v_addc_co_u32_e32 v43, vcc, v4, v3, vcc
	;;#ASMSTART
	global_load_dwordx4 v[2:5], v[42:43] off glc	
s_waitcnt vmcnt(0)
	;;#ASMEND
	v_and_b32_e32 v5, 0xff, v3
	v_and_b32_e32 v59, 0xff00, v3
	;; [unrolled: 1-line block ×3, first 2 shown]
	v_or3_b32 v5, 0, v5, v59
	v_or3_b32 v2, v2, 0, 0
	v_and_b32_e32 v3, 0xff000000, v3
	v_or3_b32 v3, v5, v60, v3
	v_or3_b32 v2, v2, 0, 0
	v_cmp_eq_u16_sdwa s[46:47], v4, v39 src0_sel:BYTE_0 src1_sel:DWORD
	s_and_saveexec_b64 s[30:31], s[46:47]
	s_cbranch_execz .LBB1114_102
; %bb.105:                              ;   in Loop: Header=BB1114_103 Depth=1
	s_mov_b32 s49, 1
	s_mov_b64 s[46:47], 0
.LBB1114_106:                           ;   Parent Loop BB1114_103 Depth=1
                                        ; =>  This Loop Header: Depth=2
                                        ;       Child Loop BB1114_107 Depth 3
	s_max_u32 s50, s49, 1
.LBB1114_107:                           ;   Parent Loop BB1114_103 Depth=1
                                        ;     Parent Loop BB1114_106 Depth=2
                                        ; =>    This Inner Loop Header: Depth=3
	s_add_i32 s50, s50, -1
	s_cmp_eq_u32 s50, 0
	s_sleep 1
	s_cbranch_scc0 .LBB1114_107
; %bb.108:                              ;   in Loop: Header=BB1114_106 Depth=2
	s_cmp_lt_u32 s49, 32
	s_cselect_b64 s[50:51], -1, 0
	s_cmp_lg_u64 s[50:51], 0
	s_addc_u32 s49, s49, 0
	;;#ASMSTART
	global_load_dwordx4 v[2:5], v[42:43] off glc	
s_waitcnt vmcnt(0)
	;;#ASMEND
	v_cmp_ne_u16_sdwa s[50:51], v4, v39 src0_sel:BYTE_0 src1_sel:DWORD
	s_or_b64 s[46:47], s[50:51], s[46:47]
	s_andn2_b64 exec, exec, s[46:47]
	s_cbranch_execnz .LBB1114_106
; %bb.109:                              ;   in Loop: Header=BB1114_103 Depth=1
	s_or_b64 exec, exec, s[46:47]
	s_branch .LBB1114_102
.LBB1114_110:                           ;   in Loop: Header=BB1114_103 Depth=1
                                        ; implicit-def: $vgpr3
                                        ; implicit-def: $vgpr2
                                        ; implicit-def: $vgpr4
	s_cbranch_execz .LBB1114_103
; %bb.111:
	s_and_saveexec_b64 s[30:31], s[26:27]
	s_cbranch_execz .LBB1114_113
; %bb.112:
	s_cmp_eq_u32 s7, 0
	s_cselect_b64 vcc, -1, 0
	s_mov_b32 s47, 0
	v_cndmask_b32_e32 v2, 0, v7, vcc
	s_add_i32 s46, s6, 64
	v_add_u32_e32 v2, s48, v2
	s_lshl_b64 s[46:47], s[46:47], 4
	s_add_u32 s46, s44, s46
	v_and_b32_e32 v3, 0xff000000, v2
	v_and_b32_e32 v4, 0xff0000, v2
	s_addc_u32 s47, s45, s47
	v_or_b32_e32 v3, v4, v3
	v_and_b32_e32 v4, 0xff00, v2
	v_and_b32_e32 v2, 0xff, v2
	v_add_u32_e32 v38, s7, v6
	v_mov_b32_e32 v41, 0
	v_or3_b32 v39, v3, v4, v2
	v_mov_b32_e32 v40, 2
	v_pk_mov_b32 v[2:3], s[46:47], s[46:47] op_sel:[0,1]
	;;#ASMSTART
	global_store_dwordx4 v[2:3], v[38:41] off	
s_waitcnt vmcnt(0)
	;;#ASMEND
	v_mov_b32_e32 v4, s7
	v_mov_b32_e32 v5, s48
	ds_write_b128 v41, v[4:7] offset:2048
.LBB1114_113:
	s_or_b64 exec, exec, s[30:31]
	v_cmp_eq_u32_e32 vcc, 0, v0
	s_and_b64 exec, exec, vcc
	s_cbranch_execz .LBB1114_115
; %bb.114:
	v_mov_b32_e32 v2, 0
	ds_write_b64 v2, v[6:7] offset:2088
.LBB1114_115:
	s_or_b64 exec, exec, s[40:41]
	v_mov_b32_e32 v4, 0
	s_waitcnt lgkmcnt(0)
	s_barrier
	ds_read_b64 v[2:3], v4 offset:2088
	v_cndmask_b32_e64 v6, v44, v36, s[26:27]
	v_cmp_eq_u32_e32 vcc, 0, v6
	v_cndmask_b32_e64 v5, v45, v37, s[26:27]
	s_waitcnt lgkmcnt(0)
	v_cndmask_b32_e32 v7, 0, v3, vcc
	v_add_u32_e32 v5, v7, v5
	v_cmp_eq_u32_e32 vcc, 0, v0
	v_cndmask_b32_e32 v65, v5, v3, vcc
	v_cndmask_b32_e64 v3, v6, 0, vcc
	v_cmp_eq_u32_e32 vcc, 0, v81
	v_add_u32_e32 v64, v2, v3
	v_cndmask_b32_e32 v2, 0, v65, vcc
	v_add_u32_e32 v63, v2, v34
	v_cndmask_b32_e64 v2, 0, v63, s[24:25]
	v_add_u32_e32 v61, v2, v35
	v_cndmask_b32_e64 v2, 0, v61, s[22:23]
	v_add_u32_e32 v59, v2, v32
	v_cndmask_b32_e64 v2, 0, v59, s[20:21]
	v_add_u32_e32 v57, v2, v33
	v_cndmask_b32_e64 v2, 0, v57, s[18:19]
	v_add_u32_e32 v55, v2, v30
	v_cndmask_b32_e64 v2, 0, v55, s[16:17]
	v_add_u32_e32 v53, v2, v31
	v_cndmask_b32_e64 v2, 0, v53, s[14:15]
	v_add_u32_e32 v51, v2, v28
	v_cndmask_b32_e64 v2, 0, v51, s[12:13]
	v_add_u32_e32 v49, v2, v29
	v_cndmask_b32_e64 v2, 0, v49, s[10:11]
	v_add_u32_e32 v62, v64, v81
	v_add_u32_e32 v47, v2, v26
	v_add_u32_e32 v60, v62, v79
	v_cndmask_b32_e64 v2, 0, v47, s[8:9]
	v_add_u32_e32 v58, v60, v78
	v_add_u32_e32 v45, v2, v27
	v_add_u32_e32 v56, v58, v77
	v_cndmask_b32_e64 v2, 0, v45, s[28:29]
	;; [unrolled: 4-line block ×3, first 2 shown]
	v_add_u32_e32 v50, v52, v74
	v_add_u32_e32 v41, v2, v25
	s_barrier
	ds_read_b128 v[2:5], v4 offset:2048
	v_add_u32_e32 v48, v50, v73
	v_add_u32_e32 v46, v48, v72
	;; [unrolled: 1-line block ×4, first 2 shown]
	v_cndmask_b32_e64 v6, 0, v41, s[2:3]
	v_add_u32_e32 v40, v42, v69
	v_add_u32_e32 v39, v6, v22
	s_waitcnt lgkmcnt(0)
	v_cmp_eq_u32_e32 vcc, 0, v2
	v_add_u32_e32 v38, v40, v68
	v_cndmask_b32_e64 v6, 0, v39, s[0:1]
	v_cndmask_b32_e32 v5, 0, v5, vcc
	v_add_u32_e32 v36, v38, v67
	v_add_u32_e32 v37, v6, v23
	;; [unrolled: 1-line block ×3, first 2 shown]
	s_branch .LBB1114_128
.LBB1114_116:
                                        ; implicit-def: $vgpr2
                                        ; implicit-def: $vgpr80
                                        ; implicit-def: $vgpr64_vgpr65
                                        ; implicit-def: $vgpr62_vgpr63
                                        ; implicit-def: $vgpr60_vgpr61
                                        ; implicit-def: $vgpr58_vgpr59
                                        ; implicit-def: $vgpr56_vgpr57
                                        ; implicit-def: $vgpr54_vgpr55
                                        ; implicit-def: $vgpr52_vgpr53
                                        ; implicit-def: $vgpr50_vgpr51
                                        ; implicit-def: $vgpr48_vgpr49
                                        ; implicit-def: $vgpr46_vgpr47
                                        ; implicit-def: $vgpr44_vgpr45
                                        ; implicit-def: $vgpr42_vgpr43
                                        ; implicit-def: $vgpr40_vgpr41
                                        ; implicit-def: $vgpr38_vgpr39
                                        ; implicit-def: $vgpr36_vgpr37
	s_cbranch_execz .LBB1114_128
; %bb.117:
	s_and_b64 s[0:1], s[38:39], exec
	s_cselect_b32 s1, 0, s61
	s_cselect_b32 s0, 0, s60
	s_cmp_eq_u64 s[0:1], 0
	v_mov_b32_e32 v6, v34
	s_cbranch_scc1 .LBB1114_119
; %bb.118:
	v_mov_b32_e32 v2, 0
	global_load_dword v6, v2, s[0:1]
.LBB1114_119:
	v_cmp_eq_u32_e64 s[0:1], 0, v79
	v_cndmask_b32_e64 v2, 0, v34, s[0:1]
	v_add_u32_e32 v2, v2, v35
	v_cmp_eq_u32_e64 s[2:3], 0, v78
	v_cndmask_b32_e64 v2, 0, v2, s[2:3]
	v_add_u32_e32 v2, v2, v32
	;; [unrolled: 3-line block ×11, first 2 shown]
	v_cmp_eq_u32_e64 s[22:23], 0, v68
	v_cndmask_b32_e64 v2, 0, v2, s[22:23]
	v_add3_u32 v3, v86, v75, v74
	v_add_u32_e32 v2, v2, v22
	v_cmp_eq_u32_e32 vcc, 0, v67
	v_add3_u32 v3, v3, v73, v72
	v_cndmask_b32_e32 v2, 0, v2, vcc
	v_add3_u32 v3, v3, v71, v70
	v_add_u32_e32 v2, v2, v23
	v_cmp_eq_u32_e64 s[24:25], 0, v66
	v_add3_u32 v3, v3, v69, v68
	v_cndmask_b32_e64 v2, 0, v2, s[24:25]
	v_add3_u32 v3, v3, v67, v66
	v_add_u32_e32 v2, v2, v82
	v_mbcnt_hi_u32_b32 v7, -1, v85
	v_and_b32_e32 v4, 15, v7
	v_mov_b32_dpp v36, v2 row_shr:1 row_mask:0xf bank_mask:0xf
	v_cmp_eq_u32_e64 s[24:25], 0, v3
	v_mov_b32_dpp v5, v3 row_shr:1 row_mask:0xf bank_mask:0xf
	v_cndmask_b32_e64 v36, 0, v36, s[24:25]
	v_cmp_eq_u32_e64 s[24:25], 0, v4
	v_cndmask_b32_e64 v5, v5, 0, s[24:25]
	v_add_u32_e32 v3, v5, v3
	v_cndmask_b32_e64 v5, v36, 0, s[24:25]
	v_add_u32_e32 v2, v5, v2
	v_cmp_eq_u32_e64 s[24:25], 0, v3
	v_mov_b32_dpp v5, v3 row_shr:2 row_mask:0xf bank_mask:0xf
	v_cmp_lt_u32_e64 s[26:27], 1, v4
	v_mov_b32_dpp v36, v2 row_shr:2 row_mask:0xf bank_mask:0xf
	v_cndmask_b32_e64 v5, 0, v5, s[26:27]
	s_and_b64 s[24:25], s[26:27], s[24:25]
	v_cndmask_b32_e64 v36, 0, v36, s[24:25]
	v_add_u32_e32 v3, v3, v5
	v_add_u32_e32 v2, v36, v2
	v_cmp_eq_u32_e64 s[24:25], 0, v3
	v_mov_b32_dpp v5, v3 row_shr:4 row_mask:0xf bank_mask:0xf
	v_cmp_lt_u32_e64 s[26:27], 3, v4
	v_mov_b32_dpp v36, v2 row_shr:4 row_mask:0xf bank_mask:0xf
	v_cndmask_b32_e64 v5, 0, v5, s[26:27]
	s_and_b64 s[24:25], s[26:27], s[24:25]
	v_cndmask_b32_e64 v36, 0, v36, s[24:25]
	v_add_u32_e32 v3, v5, v3
	v_add_u32_e32 v2, v2, v36
	v_cmp_eq_u32_e64 s[24:25], 0, v3
	v_cmp_lt_u32_e64 s[26:27], 7, v4
	v_mov_b32_dpp v5, v3 row_shr:8 row_mask:0xf bank_mask:0xf
	v_mov_b32_dpp v36, v2 row_shr:8 row_mask:0xf bank_mask:0xf
	s_and_b64 s[24:25], s[26:27], s[24:25]
	v_cndmask_b32_e64 v4, 0, v5, s[26:27]
	v_cndmask_b32_e64 v5, 0, v36, s[24:25]
	v_add_u32_e32 v2, v5, v2
	v_add_u32_e32 v3, v4, v3
	v_bfe_i32 v36, v7, 4, 1
	v_mov_b32_dpp v5, v2 row_bcast:15 row_mask:0xf bank_mask:0xf
	v_mov_b32_dpp v4, v3 row_bcast:15 row_mask:0xf bank_mask:0xf
	v_cmp_eq_u32_e64 s[24:25], 0, v3
	v_cndmask_b32_e64 v5, 0, v5, s[24:25]
	v_and_b32_e32 v4, v36, v4
	v_add_u32_e32 v3, v4, v3
	v_and_b32_e32 v4, v36, v5
	v_add_u32_e32 v4, v4, v2
	v_mov_b32_dpp v2, v3 row_bcast:31 row_mask:0xf bank_mask:0xf
	v_cmp_eq_u32_e64 s[24:25], 0, v3
	v_cmp_lt_u32_e64 s[26:27], 31, v7
	v_mov_b32_dpp v5, v4 row_bcast:31 row_mask:0xf bank_mask:0xf
	v_cndmask_b32_e64 v2, 0, v2, s[26:27]
	s_and_b64 s[24:25], s[26:27], s[24:25]
	v_add_u32_e32 v2, v2, v3
	v_cndmask_b32_e64 v3, 0, v5, s[24:25]
	v_add_u32_e32 v3, v3, v4
	v_cmp_eq_u32_e64 s[24:25], v84, v0
	s_and_saveexec_b64 s[26:27], s[24:25]
	s_cbranch_execz .LBB1114_121
; %bb.120:
	v_lshlrev_b32_e32 v4, 3, v83
	ds_write_b64 v4, v[2:3] offset:2064
.LBB1114_121:
	s_or_b64 exec, exec, s[26:27]
	v_cmp_gt_u32_e64 s[24:25], 4, v0
	s_waitcnt lgkmcnt(0)
	s_barrier
	s_and_saveexec_b64 s[28:29], s[24:25]
	s_cbranch_execz .LBB1114_123
; %bb.122:
	v_lshlrev_b32_e32 v36, 3, v0
	ds_read_b64 v[4:5], v36 offset:2064
	v_and_b32_e32 v37, 3, v7
	v_cmp_lt_u32_e64 s[26:27], 1, v37
	s_waitcnt lgkmcnt(0)
	v_mov_b32_dpp v39, v5 row_shr:1 row_mask:0xf bank_mask:0xf
	v_cmp_eq_u32_e64 s[24:25], 0, v4
	v_mov_b32_dpp v38, v4 row_shr:1 row_mask:0xf bank_mask:0xf
	v_cndmask_b32_e64 v39, 0, v39, s[24:25]
	v_cmp_eq_u32_e64 s[24:25], 0, v37
	v_cndmask_b32_e64 v38, v38, 0, s[24:25]
	v_add_u32_e32 v4, v38, v4
	v_cndmask_b32_e64 v38, v39, 0, s[24:25]
	v_add_u32_e32 v5, v38, v5
	v_cmp_eq_u32_e64 s[24:25], 0, v4
	v_mov_b32_dpp v38, v4 row_shr:2 row_mask:0xf bank_mask:0xf
	v_mov_b32_dpp v39, v5 row_shr:2 row_mask:0xf bank_mask:0xf
	v_cndmask_b32_e64 v37, 0, v38, s[26:27]
	s_and_b64 s[24:25], s[26:27], s[24:25]
	v_add_u32_e32 v4, v37, v4
	v_cndmask_b32_e64 v37, 0, v39, s[24:25]
	v_add_u32_e32 v5, v37, v5
	ds_write_b64 v36, v[4:5] offset:2064
.LBB1114_123:
	s_or_b64 exec, exec, s[28:29]
	v_cmp_lt_u32_e64 s[24:25], 63, v0
	v_mov_b32_e32 v36, 0
	v_mov_b32_e32 v4, 0
	s_waitcnt vmcnt(0)
	v_mov_b32_e32 v5, v6
	s_waitcnt lgkmcnt(0)
	s_barrier
	s_and_saveexec_b64 s[26:27], s[24:25]
	s_cbranch_execz .LBB1114_125
; %bb.124:
	v_lshlrev_b32_e32 v4, 3, v83
	ds_read_b64 v[4:5], v4 offset:2056
	s_waitcnt lgkmcnt(0)
	v_cmp_eq_u32_e64 s[24:25], 0, v4
	v_cndmask_b32_e64 v37, 0, v6, s[24:25]
	v_add_u32_e32 v5, v37, v5
.LBB1114_125:
	s_or_b64 exec, exec, s[26:27]
	v_cmp_eq_u32_e64 s[24:25], 0, v2
	v_add_u32_e32 v37, v4, v2
	v_cndmask_b32_e64 v2, 0, v5, s[24:25]
	v_add_u32_e32 v2, v2, v3
	v_add_u32_e32 v3, -1, v7
	v_and_b32_e32 v38, 64, v7
	v_cmp_lt_i32_e64 s[24:25], v3, v38
	v_cndmask_b32_e64 v3, v3, v7, s[24:25]
	v_lshlrev_b32_e32 v3, 2, v3
	ds_bpermute_b32 v37, v3, v37
	ds_bpermute_b32 v2, v3, v2
	v_cmp_eq_u32_e64 s[24:25], 0, v7
	v_cmp_eq_u32_e64 s[26:27], 0, v81
	s_waitcnt lgkmcnt(1)
	v_cndmask_b32_e64 v3, v37, v4, s[24:25]
	s_waitcnt lgkmcnt(0)
	v_cndmask_b32_e64 v2, v2, v5, s[24:25]
	v_cmp_eq_u32_e64 s[24:25], 0, v0
	v_cndmask_b32_e64 v65, v2, v6, s[24:25]
	v_cndmask_b32_e64 v2, 0, v65, s[26:27]
	v_add_u32_e32 v63, v2, v34
	v_cndmask_b32_e64 v2, 0, v63, s[0:1]
	v_add_u32_e32 v61, v2, v35
	;; [unrolled: 2-line block ×8, first 2 shown]
	v_cndmask_b32_e64 v64, v3, 0, s[24:25]
	v_cndmask_b32_e64 v2, 0, v49, s[14:15]
	v_add_u32_e32 v62, v64, v81
	v_add_u32_e32 v47, v2, v26
	v_add_u32_e32 v60, v62, v79
	v_cndmask_b32_e64 v2, 0, v47, s[16:17]
	v_add_u32_e32 v58, v60, v78
	v_add_u32_e32 v45, v2, v27
	v_add_u32_e32 v56, v58, v77
	v_cndmask_b32_e64 v2, 0, v45, s[18:19]
	v_add_u32_e32 v54, v56, v76
	v_add_u32_e32 v43, v2, v24
	v_add_u32_e32 v52, v54, v75
	v_cndmask_b32_e64 v2, 0, v43, s[20:21]
	v_add_u32_e32 v50, v52, v74
	v_add_u32_e32 v41, v2, v25
	ds_read_b64 v[2:3], v36 offset:2088
	v_add_u32_e32 v48, v50, v73
	v_add_u32_e32 v46, v48, v72
	;; [unrolled: 1-line block ×3, first 2 shown]
	v_cndmask_b32_e64 v4, 0, v41, s[22:23]
	v_add_u32_e32 v42, v44, v70
	v_add_u32_e32 v39, v4, v22
	;; [unrolled: 1-line block ×3, first 2 shown]
	v_cndmask_b32_e32 v4, 0, v39, vcc
	s_waitcnt lgkmcnt(0)
	v_cmp_eq_u32_e32 vcc, 0, v2
	v_add_u32_e32 v38, v40, v68
	v_add_u32_e32 v37, v4, v23
	v_cndmask_b32_e32 v4, 0, v6, vcc
	v_add_u32_e32 v36, v38, v67
	v_add_u32_e32 v80, v4, v3
	s_and_saveexec_b64 s[0:1], s[24:25]
	s_cbranch_execz .LBB1114_127
; %bb.126:
	s_add_u32 s2, s44, 0x400
	v_and_b32_e32 v3, 0xff000000, v80
	v_and_b32_e32 v4, 0xff0000, v80
	s_addc_u32 s3, s45, 0
	v_or_b32_e32 v3, v4, v3
	v_and_b32_e32 v4, 0xff00, v80
	v_and_b32_e32 v6, 0xff, v80
	v_mov_b32_e32 v5, 0
	v_or3_b32 v3, v3, v4, v6
	v_mov_b32_e32 v4, 2
	v_pk_mov_b32 v[6:7], s[2:3], s[2:3] op_sel:[0,1]
	;;#ASMSTART
	global_store_dwordx4 v[6:7], v[2:5] off	
s_waitcnt vmcnt(0)
	;;#ASMEND
.LBB1114_127:
	s_or_b64 exec, exec, s[0:1]
	v_mov_b32_e32 v4, 0
.LBB1114_128:
	s_and_b64 s[0:1], s[38:39], exec
	s_cselect_b32 s1, 0, s59
	s_cselect_b32 s0, 0, s58
	s_cmp_eq_u64 s[0:1], 0
	v_pk_mov_b32 v[6:7], 0, 0
	s_barrier
	s_cbranch_scc1 .LBB1114_130
; %bb.129:
	v_mov_b32_e32 v3, 0
	global_load_dwordx2 v[6:7], v3, s[0:1]
.LBB1114_130:
	s_waitcnt vmcnt(0)
	v_lshlrev_b64 v[22:23], 2, v[6:7]
	v_mov_b32_e32 v3, s43
	v_add_co_u32_e32 v26, vcc, s42, v22
	v_mov_b32_e32 v5, 0
	v_addc_co_u32_e32 v27, vcc, v3, v23, vcc
	v_lshlrev_b64 v[24:25], 2, v[4:5]
	v_add_co_u32_e32 v3, vcc, v26, v24
	v_addc_co_u32_e32 v5, vcc, v27, v25, vcc
	v_cmp_eq_u32_e32 vcc, 0, v81
	v_cndmask_b32_e64 v26, 1, 2, vcc
	v_cmp_eq_u32_e32 vcc, 0, v79
	v_cndmask_b32_e64 v27, 1, 2, vcc
	v_cmp_eq_u32_e32 vcc, 0, v78
	v_and_b32_e32 v26, v27, v26
	v_cndmask_b32_e64 v27, 1, 2, vcc
	v_cmp_eq_u32_e32 vcc, 0, v77
	v_and_b32_e32 v26, v26, v27
	;; [unrolled: 3-line block ×13, first 2 shown]
	v_cndmask_b32_e64 v27, 1, 2, vcc
	s_movk_i32 s30, 0x100
	v_and_b32_e32 v26, v26, v27
	v_cmp_gt_u32_e32 vcc, s30, v2
	v_cmp_ne_u32_e64 s[28:29], 0, v81
	v_cmp_ne_u32_e64 s[26:27], 0, v79
	;; [unrolled: 1-line block ×15, first 2 shown]
	s_mov_b64 s[38:39], -1
	v_cmp_gt_i16_e64 s[30:31], 2, v26
	s_cbranch_vccz .LBB1114_137
; %bb.131:
	s_and_saveexec_b64 s[38:39], s[30:31]
	s_cbranch_execz .LBB1114_136
; %bb.132:
	v_cmp_ne_u16_e32 vcc, 1, v26
	s_mov_b64 s[40:41], 0
	s_and_saveexec_b64 s[30:31], vcc
	s_xor_b64 s[30:31], exec, s[30:31]
	s_cbranch_execnz .LBB1114_193
; %bb.133:
	s_andn2_saveexec_b64 s[30:31], s[30:31]
	s_cbranch_execnz .LBB1114_209
.LBB1114_134:
	s_or_b64 exec, exec, s[30:31]
	s_and_b64 exec, exec, s[40:41]
	s_cbranch_execz .LBB1114_136
.LBB1114_135:
	v_sub_u32_e32 v28, v36, v4
	v_mov_b32_e32 v29, 0
	v_lshlrev_b64 v[28:29], 2, v[28:29]
	v_add_co_u32_e32 v28, vcc, v3, v28
	v_addc_co_u32_e32 v29, vcc, v5, v29, vcc
	global_store_dword v[28:29], v1, off
.LBB1114_136:
	s_or_b64 exec, exec, s[38:39]
	s_mov_b64 s[38:39], 0
.LBB1114_137:
	s_and_b64 vcc, exec, s[38:39]
	s_cbranch_vccz .LBB1114_159
; %bb.138:
	v_cmp_gt_i16_e32 vcc, 2, v26
	s_and_saveexec_b64 s[30:31], vcc
	s_cbranch_execz .LBB1114_143
; %bb.139:
	v_cmp_ne_u16_e32 vcc, 1, v26
	s_mov_b64 s[40:41], 0
	s_and_saveexec_b64 s[38:39], vcc
	s_xor_b64 s[38:39], exec, s[38:39]
	s_cbranch_execnz .LBB1114_210
; %bb.140:
	s_andn2_saveexec_b64 s[0:1], s[38:39]
	s_cbranch_execnz .LBB1114_226
.LBB1114_141:
	s_or_b64 exec, exec, s[0:1]
	s_and_b64 exec, exec, s[40:41]
	s_cbranch_execz .LBB1114_143
.LBB1114_142:
	v_sub_u32_e32 v8, v36, v4
	v_lshlrev_b32_e32 v8, 2, v8
	ds_write_b32 v8, v1
.LBB1114_143:
	s_or_b64 exec, exec, s[30:31]
	v_cmp_lt_u32_e32 vcc, v0, v2
	s_waitcnt lgkmcnt(0)
	s_barrier
	s_and_saveexec_b64 s[2:3], vcc
	s_cbranch_execz .LBB1114_158
; %bb.144:
	v_xad_u32 v1, v0, -1, v2
	s_movk_i32 s0, 0x1700
	v_cmp_gt_u32_e64 s[4:5], s0, v1
	s_movk_i32 s0, 0x16ff
	v_cmp_lt_u32_e32 vcc, s0, v1
	v_mov_b32_e32 v8, v0
	s_and_saveexec_b64 s[6:7], vcc
	s_cbranch_execz .LBB1114_155
; %bb.145:
	v_sub_u32_e32 v8, v0, v2
	v_or_b32_e32 v8, 0xff, v8
	v_cmp_ge_u32_e32 vcc, v8, v0
	s_mov_b64 s[0:1], -1
	v_mov_b32_e32 v8, v0
	s_and_saveexec_b64 s[8:9], vcc
	s_cbranch_execz .LBB1114_154
; %bb.146:
	v_lshrrev_b32_e32 v12, 8, v1
	v_add_u32_e32 v8, -1, v12
	v_or_b32_e32 v1, 0x100, v0
	v_lshrrev_b32_e32 v9, 1, v8
	v_add_u32_e32 v13, 1, v9
	v_cmp_lt_u32_e32 vcc, 13, v8
	v_mov_b32_e32 v16, 0
	v_pk_mov_b32 v[8:9], v[0:1], v[0:1] op_sel:[0,1]
	s_and_saveexec_b64 s[10:11], vcc
	s_cbranch_execz .LBB1114_150
; %bb.147:
	v_and_b32_e32 v14, -8, v13
	v_lshlrev_b32_e32 v15, 2, v0
	s_mov_b32 s14, 0
	s_mov_b64 s[12:13], 0
	v_mov_b32_e32 v11, 0
	v_pk_mov_b32 v[8:9], v[0:1], v[0:1] op_sel:[0,1]
.LBB1114_148:                           ; =>This Inner Loop Header: Depth=1
	v_mov_b32_e32 v10, v8
	v_add_u32_e32 v14, -8, v14
	v_lshlrev_b64 v[96:97], 2, v[10:11]
	v_mov_b32_e32 v10, v9
	ds_read2st64_b32 v[18:19], v15 offset1:4
	s_add_i32 s14, s14, 16
	v_cmp_eq_u32_e32 vcc, 0, v14
	v_lshlrev_b64 v[100:101], 2, v[10:11]
	v_add_u32_e32 v10, 0x200, v8
	s_or_b64 s[12:13], vcc, s[12:13]
	v_add_co_u32_e32 v100, vcc, v3, v100
	v_add_u32_e32 v16, 0x200, v9
	v_mov_b32_e32 v17, v11
	ds_read2st64_b32 v[20:21], v15 offset0:8 offset1:12
	ds_read2st64_b32 v[28:29], v15 offset0:16 offset1:20
	v_add_co_u32_e64 v96, s[0:1], v3, v96
	v_addc_co_u32_e32 v101, vcc, v5, v101, vcc
	v_lshlrev_b64 v[102:103], 2, v[10:11]
	v_lshlrev_b64 v[98:99], 2, v[16:17]
	v_addc_co_u32_e64 v97, s[0:1], v5, v97, s[0:1]
	v_add_u32_e32 v10, 0x400, v8
	v_add_co_u32_e32 v102, vcc, v3, v102
	v_add_u32_e32 v26, 0x400, v9
	v_mov_b32_e32 v27, v11
	ds_read2st64_b32 v[32:33], v15 offset0:24 offset1:28
	v_add_co_u32_e64 v98, s[0:1], v3, v98
	v_addc_co_u32_e32 v103, vcc, v5, v103, vcc
	v_lshlrev_b64 v[104:105], 2, v[10:11]
	ds_read2st64_b32 v[82:83], v15 offset0:32 offset1:36
	ds_read2st64_b32 v[86:87], v15 offset0:40 offset1:44
	;; [unrolled: 1-line block ×4, first 2 shown]
	v_lshlrev_b64 v[26:27], 2, v[26:27]
	v_addc_co_u32_e64 v99, s[0:1], v5, v99, s[0:1]
	v_add_u32_e32 v10, 0x600, v8
	s_waitcnt lgkmcnt(7)
	global_store_dword v[96:97], v18, off
	global_store_dword v[100:101], v19, off
	s_waitcnt lgkmcnt(6)
	global_store_dword v[102:103], v20, off
	global_store_dword v[98:99], v21, off
	v_add_co_u32_e32 v18, vcc, v3, v104
	v_add_u32_e32 v30, 0x600, v9
	v_mov_b32_e32 v31, v11
	v_add_co_u32_e64 v26, s[0:1], v3, v26
	v_addc_co_u32_e32 v19, vcc, v5, v105, vcc
	v_lshlrev_b64 v[20:21], 2, v[10:11]
	v_lshlrev_b64 v[30:31], 2, v[30:31]
	v_addc_co_u32_e64 v27, s[0:1], v5, v27, s[0:1]
	v_add_u32_e32 v10, 0x800, v8
	s_waitcnt lgkmcnt(5)
	global_store_dword v[18:19], v28, off
	global_store_dword v[26:27], v29, off
	v_add_co_u32_e32 v18, vcc, v3, v20
	v_add_u32_e32 v34, 0x800, v9
	v_mov_b32_e32 v35, v11
	v_add_co_u32_e64 v30, s[0:1], v3, v30
	v_addc_co_u32_e32 v19, vcc, v5, v21, vcc
	v_lshlrev_b64 v[20:21], 2, v[10:11]
	v_lshlrev_b64 v[34:35], 2, v[34:35]
	v_addc_co_u32_e64 v31, s[0:1], v5, v31, s[0:1]
	v_add_u32_e32 v10, 0xa00, v8
	;; [unrolled: 12-line block ×4, first 2 shown]
	s_waitcnt lgkmcnt(2)
	global_store_dword v[18:19], v86, off
	global_store_dword v[84:85], v87, off
	v_add_co_u32_e32 v18, vcc, v3, v20
	v_add_u32_e32 v92, 0xe00, v9
	v_mov_b32_e32 v93, v11
	v_add_co_u32_e64 v88, s[0:1], v3, v88
	v_addc_co_u32_e32 v19, vcc, v5, v21, vcc
	v_lshlrev_b64 v[20:21], 2, v[10:11]
	v_lshlrev_b64 v[92:93], 2, v[92:93]
	v_addc_co_u32_e64 v89, s[0:1], v5, v89, s[0:1]
	s_waitcnt lgkmcnt(1)
	global_store_dword v[18:19], v90, off
	global_store_dword v[88:89], v91, off
	v_add_co_u32_e32 v18, vcc, v3, v20
	v_add_u32_e32 v15, 0x4000, v15
	v_add_u32_e32 v9, 0x1000, v9
	v_mov_b32_e32 v16, s14
	v_add_co_u32_e64 v92, s[0:1], v3, v92
	v_add_u32_e32 v8, 0x1000, v8
	v_addc_co_u32_e32 v19, vcc, v5, v21, vcc
	v_addc_co_u32_e64 v93, s[0:1], v5, v93, s[0:1]
	s_waitcnt lgkmcnt(0)
	global_store_dword v[18:19], v94, off
	global_store_dword v[92:93], v95, off
	s_andn2_b64 exec, exec, s[12:13]
	s_cbranch_execnz .LBB1114_148
; %bb.149:
	s_or_b64 exec, exec, s[12:13]
.LBB1114_150:
	s_or_b64 exec, exec, s[10:11]
	v_and_b32_e32 v1, 7, v13
	v_cmp_ne_u32_e32 vcc, 0, v1
	s_and_saveexec_b64 s[10:11], vcc
	s_cbranch_execz .LBB1114_153
; %bb.151:
	v_lshlrev_b32_e32 v10, 2, v0
	v_lshl_or_b32 v13, v16, 10, v10
	s_mov_b64 s[12:13], 0
	v_mov_b32_e32 v11, 0
.LBB1114_152:                           ; =>This Inner Loop Header: Depth=1
	ds_read2st64_b32 v[14:15], v13 offset1:4
	v_mov_b32_e32 v10, v8
	v_add_u32_e32 v1, -1, v1
	v_lshlrev_b64 v[16:17], 2, v[10:11]
	v_mov_b32_e32 v10, v9
	v_cmp_eq_u32_e32 vcc, 0, v1
	v_add_co_u32_e64 v16, s[0:1], v3, v16
	v_lshlrev_b64 v[18:19], 2, v[10:11]
	v_add_u32_e32 v8, 0x200, v8
	v_add_u32_e32 v13, 0x800, v13
	;; [unrolled: 1-line block ×3, first 2 shown]
	v_addc_co_u32_e64 v17, s[0:1], v5, v17, s[0:1]
	s_or_b64 s[12:13], vcc, s[12:13]
	v_add_co_u32_e32 v18, vcc, v3, v18
	v_addc_co_u32_e32 v19, vcc, v5, v19, vcc
	s_waitcnt lgkmcnt(0)
	global_store_dword v[16:17], v14, off
	global_store_dword v[18:19], v15, off
	s_andn2_b64 exec, exec, s[12:13]
	s_cbranch_execnz .LBB1114_152
.LBB1114_153:
	s_or_b64 exec, exec, s[10:11]
	v_add_u32_e32 v1, 1, v12
	v_and_b32_e32 v9, 0x1fffffe, v1
	v_cmp_ne_u32_e32 vcc, v1, v9
	v_lshl_or_b32 v8, v9, 8, v0
	s_orn2_b64 s[0:1], vcc, exec
.LBB1114_154:
	s_or_b64 exec, exec, s[8:9]
	s_andn2_b64 s[4:5], s[4:5], exec
	s_and_b64 s[0:1], s[0:1], exec
	s_or_b64 s[4:5], s[4:5], s[0:1]
.LBB1114_155:
	s_or_b64 exec, exec, s[6:7]
	s_and_b64 exec, exec, s[4:5]
	s_cbranch_execz .LBB1114_158
; %bb.156:
	v_lshlrev_b32_e32 v1, 2, v8
	s_mov_b64 s[0:1], 0
	v_mov_b32_e32 v9, 0
.LBB1114_157:                           ; =>This Inner Loop Header: Depth=1
	v_lshlrev_b64 v[10:11], 2, v[8:9]
	ds_read_b32 v12, v1
	v_add_co_u32_e32 v10, vcc, v3, v10
	v_add_u32_e32 v8, 0x100, v8
	v_addc_co_u32_e32 v11, vcc, v5, v11, vcc
	v_cmp_ge_u32_e32 vcc, v8, v2
	v_add_u32_e32 v1, 0x400, v1
	s_or_b64 s[0:1], vcc, s[0:1]
	s_waitcnt lgkmcnt(0)
	global_store_dword v[10:11], v12, off
	s_andn2_b64 exec, exec, s[0:1]
	s_cbranch_execnz .LBB1114_157
.LBB1114_158:
	s_or_b64 exec, exec, s[2:3]
.LBB1114_159:
	s_cmpk_lg_i32 s33, 0xf00
	s_cselect_b64 s[0:1], -1, 0
	s_and_b64 s[0:1], s[34:35], s[0:1]
	v_cmp_eq_u32_e32 vcc, 0, v0
	v_cndmask_b32_e64 v8, 0, 1, s[0:1]
	s_and_b64 s[0:1], vcc, s[36:37]
	v_cndmask_b32_e64 v5, v81, 0, s[0:1]
	s_mul_hi_u32 s0, s33, 0x88888889
	s_lshr_b32 s0, s0, 3
	v_mad_i32_i24 v9, v0, -15, s33
	v_cmp_eq_u32_e32 vcc, s0, v0
	v_cmp_ne_u32_e64 s[0:1], 0, v9
	v_cndmask_b32_e64 v10, 1, v5, s[0:1]
	v_cmp_ne_u32_e64 s[0:1], 1, v9
	v_cndmask_b32_e64 v11, 1, v79, s[0:1]
	;; [unrolled: 2-line block ×15, first 2 shown]
	s_and_b64 vcc, s[34:35], vcc
	v_cndmask_b32_e32 v28, v66, v9, vcc
	v_cndmask_b32_e32 v27, v67, v27, vcc
	;; [unrolled: 1-line block ×15, first 2 shown]
	v_mov_b32_e32 v5, s53
	v_add_co_u32_e32 v9, vcc, s52, v22
	v_addc_co_u32_e32 v12, vcc, v5, v23, vcc
	v_cndmask_b32_e64 v1, 0, 1, s[36:37]
	v_add_co_u32_e32 v5, vcc, v9, v24
	v_addc_co_u32_e32 v12, vcc, v12, v25, vcc
	v_lshlrev_b32_e32 v9, 2, v1
	v_add_co_u32_e32 v9, vcc, v9, v5
	v_addc_co_u32_e32 v14, vcc, 0, v12, vcc
	v_add_co_u32_e32 v13, vcc, -4, v9
	v_addc_co_u32_e32 v14, vcc, -1, v14, vcc
	v_cmp_eq_u32_e32 vcc, 0, v10
	v_cmp_ne_u32_e64 s[28:29], 0, v10
	v_cndmask_b32_e64 v10, 1, 2, vcc
	v_cmp_eq_u32_e32 vcc, 0, v11
	v_cmp_ne_u32_e64 s[26:27], 0, v11
	v_cndmask_b32_e64 v11, 1, 2, vcc
	v_cmp_eq_u32_e32 vcc, 0, v31
	v_and_b32_e32 v10, v11, v10
	v_cndmask_b32_e64 v11, 1, 2, vcc
	v_cmp_eq_u32_e32 vcc, 0, v30
	v_and_b32_e32 v10, v10, v11
	;; [unrolled: 3-line block ×11, first 2 shown]
	v_cndmask_b32_e64 v11, 1, 2, vcc
	v_cmp_eq_u32_e32 vcc, 0, v27
	v_sub_u32_e32 v3, v2, v1
	v_and_b32_e32 v10, v10, v11
	v_cndmask_b32_e64 v11, 1, 2, vcc
	v_cmp_eq_u32_e32 vcc, 0, v28
	v_add_u32_e32 v3, v3, v8
	v_and_b32_e32 v10, v10, v11
	v_cndmask_b32_e64 v11, 1, 2, vcc
	s_movk_i32 s30, 0x100
	v_and_b32_e32 v10, v10, v11
	v_cmp_gt_u32_e32 vcc, s30, v3
	v_add_u32_e32 v9, v4, v1
	v_cmp_ne_u32_e64 s[24:25], 0, v31
	v_cmp_ne_u32_e64 s[22:23], 0, v30
	;; [unrolled: 1-line block ×13, first 2 shown]
	s_mov_b64 s[36:37], -1
	v_cmp_gt_i16_e64 s[30:31], 2, v10
	s_barrier
	s_cbranch_vccz .LBB1114_166
; %bb.160:
	s_and_saveexec_b64 s[36:37], s[30:31]
	s_cbranch_execz .LBB1114_165
; %bb.161:
	v_cmp_ne_u16_e32 vcc, 1, v10
	s_mov_b64 s[38:39], 0
	s_and_saveexec_b64 s[30:31], vcc
	s_xor_b64 s[30:31], exec, s[30:31]
	s_cbranch_execnz .LBB1114_227
; %bb.162:
	s_andn2_saveexec_b64 s[30:31], s[30:31]
	s_cbranch_execnz .LBB1114_243
.LBB1114_163:
	s_or_b64 exec, exec, s[30:31]
	s_and_b64 exec, exec, s[38:39]
	s_cbranch_execz .LBB1114_165
.LBB1114_164:
	v_sub_u32_e32 v16, v36, v9
	v_mov_b32_e32 v17, 0
	v_lshlrev_b64 v[16:17], 2, v[16:17]
	v_add_co_u32_e32 v16, vcc, v13, v16
	v_addc_co_u32_e32 v17, vcc, v14, v17, vcc
	global_store_dword v[16:17], v37, off
.LBB1114_165:
	s_or_b64 exec, exec, s[36:37]
	s_mov_b64 s[36:37], 0
.LBB1114_166:
	s_and_b64 vcc, exec, s[36:37]
	s_cbranch_vccz .LBB1114_188
; %bb.167:
	v_cmp_gt_i16_e32 vcc, 2, v10
	s_and_saveexec_b64 s[30:31], vcc
	s_cbranch_execz .LBB1114_172
; %bb.168:
	v_cmp_ne_u16_e32 vcc, 1, v10
	s_mov_b64 s[38:39], 0
	s_and_saveexec_b64 s[36:37], vcc
	s_xor_b64 s[36:37], exec, s[36:37]
	s_cbranch_execnz .LBB1114_244
; %bb.169:
	s_andn2_saveexec_b64 s[0:1], s[36:37]
	s_cbranch_execnz .LBB1114_260
.LBB1114_170:
	s_or_b64 exec, exec, s[0:1]
	s_and_b64 exec, exec, s[38:39]
	s_cbranch_execz .LBB1114_172
.LBB1114_171:
	v_sub_u32_e32 v9, v36, v9
	v_lshlrev_b32_e32 v9, 2, v9
	ds_write_b32 v9, v37
.LBB1114_172:
	s_or_b64 exec, exec, s[30:31]
	v_cmp_lt_u32_e32 vcc, v0, v3
	s_waitcnt lgkmcnt(0)
	s_barrier
	s_and_saveexec_b64 s[2:3], vcc
	s_cbranch_execz .LBB1114_187
; %bb.173:
	v_add_u32_e32 v10, v2, v8
	v_xad_u32 v8, v0, -1, v10
	v_sub_u32_e32 v9, v8, v1
	s_movk_i32 s0, 0x1900
	v_cmp_gt_u32_e64 s[4:5], s0, v9
	s_movk_i32 s0, 0x18ff
	v_cmp_lt_u32_e32 vcc, s0, v9
	v_mov_b32_e32 v8, v0
	s_and_saveexec_b64 s[6:7], vcc
	s_cbranch_execz .LBB1114_184
; %bb.174:
	v_sub_u32_e32 v8, v0, v10
	v_add_u32_e32 v1, v8, v1
	v_or_b32_e32 v1, 0xff, v1
	v_cmp_ge_u32_e32 vcc, v1, v0
	s_mov_b64 s[0:1], -1
	v_mov_b32_e32 v8, v0
	s_and_saveexec_b64 s[8:9], vcc
	s_cbranch_execz .LBB1114_183
; %bb.175:
	v_lshrrev_b32_e32 v15, 8, v9
	v_add_u32_e32 v8, -1, v15
	v_or_b32_e32 v1, 0x100, v0
	v_lshrrev_b32_e32 v9, 1, v8
	v_add_u32_e32 v17, 1, v9
	v_cmp_lt_u32_e32 vcc, 13, v8
	v_mov_b32_e32 v20, 0
	v_lshlrev_b32_e32 v16, 2, v0
	v_pk_mov_b32 v[8:9], v[0:1], v[0:1] op_sel:[0,1]
	s_and_saveexec_b64 s[10:11], vcc
	s_cbranch_execz .LBB1114_179
; %bb.176:
	v_and_b32_e32 v18, -8, v17
	s_mov_b32 s14, 0
	s_mov_b64 s[12:13], 0
	v_mov_b32_e32 v11, 0
	v_mov_b32_e32 v19, v16
	v_pk_mov_b32 v[8:9], v[0:1], v[0:1] op_sel:[0,1]
.LBB1114_177:                           ; =>This Inner Loop Header: Depth=1
	v_mov_b32_e32 v10, v8
	v_add_u32_e32 v18, -8, v18
	v_lshlrev_b64 v[50:51], 2, v[10:11]
	v_mov_b32_e32 v10, v9
	ds_read2st64_b32 v[22:23], v19 offset1:4
	s_add_i32 s14, s14, 16
	v_cmp_eq_u32_e32 vcc, 0, v18
	v_lshlrev_b64 v[54:55], 2, v[10:11]
	v_add_u32_e32 v10, 0x200, v8
	s_or_b64 s[12:13], vcc, s[12:13]
	v_add_co_u32_e32 v54, vcc, v13, v54
	v_add_u32_e32 v20, 0x200, v9
	v_mov_b32_e32 v21, v11
	ds_read2st64_b32 v[24:25], v19 offset0:8 offset1:12
	ds_read2st64_b32 v[28:29], v19 offset0:16 offset1:20
	v_add_co_u32_e64 v50, s[0:1], v13, v50
	v_addc_co_u32_e32 v55, vcc, v14, v55, vcc
	v_lshlrev_b64 v[56:57], 2, v[10:11]
	v_lshlrev_b64 v[52:53], 2, v[20:21]
	v_addc_co_u32_e64 v51, s[0:1], v14, v51, s[0:1]
	v_add_u32_e32 v10, 0x400, v8
	v_add_co_u32_e32 v56, vcc, v13, v56
	v_add_u32_e32 v26, 0x400, v9
	v_mov_b32_e32 v27, v11
	ds_read2st64_b32 v[32:33], v19 offset0:24 offset1:28
	v_add_co_u32_e64 v52, s[0:1], v13, v52
	v_addc_co_u32_e32 v57, vcc, v14, v57, vcc
	v_lshlrev_b64 v[58:59], 2, v[10:11]
	ds_read2st64_b32 v[36:37], v19 offset0:32 offset1:36
	ds_read2st64_b32 v[40:41], v19 offset0:40 offset1:44
	;; [unrolled: 1-line block ×4, first 2 shown]
	v_lshlrev_b64 v[26:27], 2, v[26:27]
	v_addc_co_u32_e64 v53, s[0:1], v14, v53, s[0:1]
	v_add_u32_e32 v10, 0x600, v8
	s_waitcnt lgkmcnt(7)
	global_store_dword v[50:51], v22, off
	global_store_dword v[54:55], v23, off
	s_waitcnt lgkmcnt(6)
	global_store_dword v[56:57], v24, off
	global_store_dword v[52:53], v25, off
	v_add_co_u32_e32 v22, vcc, v13, v58
	v_add_u32_e32 v30, 0x600, v9
	v_mov_b32_e32 v31, v11
	v_add_co_u32_e64 v26, s[0:1], v13, v26
	v_addc_co_u32_e32 v23, vcc, v14, v59, vcc
	v_lshlrev_b64 v[24:25], 2, v[10:11]
	v_lshlrev_b64 v[30:31], 2, v[30:31]
	v_addc_co_u32_e64 v27, s[0:1], v14, v27, s[0:1]
	v_add_u32_e32 v10, 0x800, v8
	s_waitcnt lgkmcnt(5)
	global_store_dword v[22:23], v28, off
	global_store_dword v[26:27], v29, off
	v_add_co_u32_e32 v22, vcc, v13, v24
	v_add_u32_e32 v34, 0x800, v9
	v_mov_b32_e32 v35, v11
	v_add_co_u32_e64 v30, s[0:1], v13, v30
	v_addc_co_u32_e32 v23, vcc, v14, v25, vcc
	v_lshlrev_b64 v[24:25], 2, v[10:11]
	v_lshlrev_b64 v[34:35], 2, v[34:35]
	v_addc_co_u32_e64 v31, s[0:1], v14, v31, s[0:1]
	v_add_u32_e32 v10, 0xa00, v8
	;; [unrolled: 12-line block ×4, first 2 shown]
	s_waitcnt lgkmcnt(2)
	global_store_dword v[22:23], v40, off
	global_store_dword v[38:39], v41, off
	v_add_co_u32_e32 v22, vcc, v13, v24
	v_add_u32_e32 v46, 0xe00, v9
	v_mov_b32_e32 v47, v11
	v_add_co_u32_e64 v42, s[0:1], v13, v42
	v_addc_co_u32_e32 v23, vcc, v14, v25, vcc
	v_lshlrev_b64 v[24:25], 2, v[10:11]
	v_lshlrev_b64 v[46:47], 2, v[46:47]
	v_addc_co_u32_e64 v43, s[0:1], v14, v43, s[0:1]
	s_waitcnt lgkmcnt(1)
	global_store_dword v[22:23], v44, off
	global_store_dword v[42:43], v45, off
	v_add_co_u32_e32 v22, vcc, v13, v24
	v_add_u32_e32 v19, 0x4000, v19
	v_add_u32_e32 v9, 0x1000, v9
	v_mov_b32_e32 v20, s14
	v_add_co_u32_e64 v46, s[0:1], v13, v46
	v_add_u32_e32 v8, 0x1000, v8
	v_addc_co_u32_e32 v23, vcc, v14, v25, vcc
	v_addc_co_u32_e64 v47, s[0:1], v14, v47, s[0:1]
	s_waitcnt lgkmcnt(0)
	global_store_dword v[22:23], v48, off
	global_store_dword v[46:47], v49, off
	s_andn2_b64 exec, exec, s[12:13]
	s_cbranch_execnz .LBB1114_177
; %bb.178:
	s_or_b64 exec, exec, s[12:13]
.LBB1114_179:
	s_or_b64 exec, exec, s[10:11]
	v_and_b32_e32 v1, 7, v17
	v_cmp_ne_u32_e32 vcc, 0, v1
	s_and_saveexec_b64 s[10:11], vcc
	s_cbranch_execz .LBB1114_182
; %bb.180:
	v_lshl_or_b32 v16, v20, 10, v16
	s_mov_b64 s[12:13], 0
	v_mov_b32_e32 v11, 0
.LBB1114_181:                           ; =>This Inner Loop Header: Depth=1
	ds_read2st64_b32 v[18:19], v16 offset1:4
	v_mov_b32_e32 v10, v8
	v_add_u32_e32 v1, -1, v1
	v_lshlrev_b64 v[20:21], 2, v[10:11]
	v_mov_b32_e32 v10, v9
	v_cmp_eq_u32_e32 vcc, 0, v1
	v_add_co_u32_e64 v20, s[0:1], v13, v20
	v_lshlrev_b64 v[22:23], 2, v[10:11]
	v_add_u32_e32 v8, 0x200, v8
	v_add_u32_e32 v16, 0x800, v16
	;; [unrolled: 1-line block ×3, first 2 shown]
	v_addc_co_u32_e64 v21, s[0:1], v14, v21, s[0:1]
	s_or_b64 s[12:13], vcc, s[12:13]
	v_add_co_u32_e32 v22, vcc, v13, v22
	v_addc_co_u32_e32 v23, vcc, v14, v23, vcc
	s_waitcnt lgkmcnt(0)
	global_store_dword v[20:21], v18, off
	global_store_dword v[22:23], v19, off
	s_andn2_b64 exec, exec, s[12:13]
	s_cbranch_execnz .LBB1114_181
.LBB1114_182:
	s_or_b64 exec, exec, s[10:11]
	v_add_u32_e32 v1, 1, v15
	v_and_b32_e32 v9, 0x1fffffe, v1
	v_cmp_ne_u32_e32 vcc, v1, v9
	v_lshl_or_b32 v8, v9, 8, v0
	s_orn2_b64 s[0:1], vcc, exec
.LBB1114_183:
	s_or_b64 exec, exec, s[8:9]
	s_andn2_b64 s[4:5], s[4:5], exec
	s_and_b64 s[0:1], s[0:1], exec
	s_or_b64 s[4:5], s[4:5], s[0:1]
.LBB1114_184:
	s_or_b64 exec, exec, s[6:7]
	s_and_b64 exec, exec, s[4:5]
	s_cbranch_execz .LBB1114_187
; %bb.185:
	v_lshlrev_b32_e32 v1, 2, v8
	s_mov_b64 s[0:1], 0
	v_mov_b32_e32 v9, 0
.LBB1114_186:                           ; =>This Inner Loop Header: Depth=1
	v_lshlrev_b64 v[10:11], 2, v[8:9]
	ds_read_b32 v15, v1
	v_add_co_u32_e32 v10, vcc, v13, v10
	v_add_u32_e32 v8, 0x100, v8
	v_addc_co_u32_e32 v11, vcc, v14, v11, vcc
	v_cmp_ge_u32_e32 vcc, v8, v3
	v_add_u32_e32 v1, 0x400, v1
	s_or_b64 s[0:1], vcc, s[0:1]
	s_waitcnt lgkmcnt(0)
	global_store_dword v[10:11], v15, off
	s_andn2_b64 exec, exec, s[0:1]
	s_cbranch_execnz .LBB1114_186
.LBB1114_187:
	s_or_b64 exec, exec, s[2:3]
.LBB1114_188:
	s_movk_i32 s0, 0xff
	v_cmp_eq_u32_e32 vcc, s0, v0
	s_and_b64 s[0:1], vcc, s[34:35]
	s_and_saveexec_b64 s[2:3], s[0:1]
	s_cbranch_execz .LBB1114_191
; %bb.189:
	v_add_co_u32_e32 v0, vcc, v2, v4
	v_addc_co_u32_e64 v1, s[0:1], 0, 0, vcc
	v_add_co_u32_e32 v0, vcc, v0, v6
	v_mov_b32_e32 v3, 0
	v_addc_co_u32_e32 v1, vcc, v1, v7, vcc
	s_cmpk_lg_i32 s33, 0xf00
	global_store_dwordx2 v3, v[0:1], s[54:55]
	s_cbranch_scc1 .LBB1114_191
; %bb.190:
	v_lshlrev_b64 v[0:1], 2, v[2:3]
	v_add_co_u32_e32 v0, vcc, v5, v0
	v_addc_co_u32_e32 v1, vcc, v12, v1, vcc
	global_store_dword v[0:1], v80, off offset:-4
.LBB1114_191:
	s_endpgm
.LBB1114_192:
	s_or_b64 exec, exec, s[4:5]
	v_mov_b32_e32 v81, s10
	s_and_saveexec_b64 s[4:5], s[2:3]
	s_cbranch_execnz .LBB1114_84
	s_branch .LBB1114_85
.LBB1114_193:
	s_and_saveexec_b64 s[40:41], s[28:29]
	s_cbranch_execnz .LBB1114_261
; %bb.194:
	s_or_b64 exec, exec, s[40:41]
	s_and_saveexec_b64 s[40:41], s[26:27]
	s_cbranch_execnz .LBB1114_262
.LBB1114_195:
	s_or_b64 exec, exec, s[40:41]
	s_and_saveexec_b64 s[40:41], s[24:25]
	s_cbranch_execnz .LBB1114_263
.LBB1114_196:
	s_or_b64 exec, exec, s[40:41]
	s_and_saveexec_b64 s[40:41], s[22:23]
	s_cbranch_execnz .LBB1114_264
.LBB1114_197:
	s_or_b64 exec, exec, s[40:41]
	s_and_saveexec_b64 s[40:41], s[20:21]
	s_cbranch_execnz .LBB1114_265
.LBB1114_198:
	s_or_b64 exec, exec, s[40:41]
	s_and_saveexec_b64 s[40:41], s[18:19]
	s_cbranch_execnz .LBB1114_266
.LBB1114_199:
	s_or_b64 exec, exec, s[40:41]
	s_and_saveexec_b64 s[40:41], s[16:17]
	s_cbranch_execnz .LBB1114_267
.LBB1114_200:
	s_or_b64 exec, exec, s[40:41]
	s_and_saveexec_b64 s[40:41], s[14:15]
	s_cbranch_execnz .LBB1114_268
.LBB1114_201:
	s_or_b64 exec, exec, s[40:41]
	s_and_saveexec_b64 s[40:41], s[12:13]
	s_cbranch_execnz .LBB1114_269
.LBB1114_202:
	s_or_b64 exec, exec, s[40:41]
	s_and_saveexec_b64 s[40:41], s[10:11]
	s_cbranch_execnz .LBB1114_270
.LBB1114_203:
	s_or_b64 exec, exec, s[40:41]
	s_and_saveexec_b64 s[40:41], s[8:9]
	s_cbranch_execnz .LBB1114_271
.LBB1114_204:
	s_or_b64 exec, exec, s[40:41]
	s_and_saveexec_b64 s[40:41], s[6:7]
	s_cbranch_execnz .LBB1114_272
.LBB1114_205:
	s_or_b64 exec, exec, s[40:41]
	s_and_saveexec_b64 s[40:41], s[4:5]
	s_cbranch_execnz .LBB1114_273
.LBB1114_206:
	s_or_b64 exec, exec, s[40:41]
	s_and_saveexec_b64 s[40:41], s[2:3]
	s_cbranch_execz .LBB1114_208
.LBB1114_207:
	v_sub_u32_e32 v28, v38, v4
	v_mov_b32_e32 v29, 0
	v_lshlrev_b64 v[28:29], 2, v[28:29]
	v_add_co_u32_e32 v28, vcc, v3, v28
	v_addc_co_u32_e32 v29, vcc, v5, v29, vcc
	global_store_dword v[28:29], v9, off
.LBB1114_208:
	s_or_b64 exec, exec, s[40:41]
	s_and_b64 s[40:41], s[0:1], exec
	s_andn2_saveexec_b64 s[30:31], s[30:31]
	s_cbranch_execz .LBB1114_134
.LBB1114_209:
	v_sub_u32_e32 v28, v64, v4
	v_mov_b32_e32 v29, 0
	v_lshlrev_b64 v[30:31], 2, v[28:29]
	v_add_co_u32_e32 v30, vcc, v3, v30
	v_addc_co_u32_e32 v31, vcc, v5, v31, vcc
	v_sub_u32_e32 v28, v62, v4
	global_store_dword v[30:31], v20, off
	v_lshlrev_b64 v[30:31], 2, v[28:29]
	v_add_co_u32_e32 v30, vcc, v3, v30
	v_addc_co_u32_e32 v31, vcc, v5, v31, vcc
	v_sub_u32_e32 v28, v60, v4
	global_store_dword v[30:31], v21, off
	;; [unrolled: 5-line block ×12, first 2 shown]
	v_lshlrev_b64 v[30:31], 2, v[28:29]
	v_add_co_u32_e32 v30, vcc, v3, v30
	v_sub_u32_e32 v28, v38, v4
	v_addc_co_u32_e32 v31, vcc, v5, v31, vcc
	v_lshlrev_b64 v[28:29], 2, v[28:29]
	v_add_co_u32_e32 v28, vcc, v3, v28
	v_addc_co_u32_e32 v29, vcc, v5, v29, vcc
	s_or_b64 s[40:41], s[40:41], exec
	global_store_dword v[30:31], v8, off
	global_store_dword v[28:29], v9, off
	s_or_b64 exec, exec, s[30:31]
	s_and_b64 exec, exec, s[40:41]
	s_cbranch_execnz .LBB1114_135
	s_branch .LBB1114_136
.LBB1114_210:
	s_and_saveexec_b64 s[40:41], s[28:29]
	s_cbranch_execnz .LBB1114_274
; %bb.211:
	s_or_b64 exec, exec, s[40:41]
	s_and_saveexec_b64 s[28:29], s[26:27]
	s_cbranch_execnz .LBB1114_275
.LBB1114_212:
	s_or_b64 exec, exec, s[28:29]
	s_and_saveexec_b64 s[26:27], s[24:25]
	s_cbranch_execnz .LBB1114_276
.LBB1114_213:
	s_or_b64 exec, exec, s[26:27]
	s_and_saveexec_b64 s[24:25], s[22:23]
	s_cbranch_execnz .LBB1114_277
.LBB1114_214:
	s_or_b64 exec, exec, s[24:25]
	s_and_saveexec_b64 s[22:23], s[20:21]
	s_cbranch_execnz .LBB1114_278
.LBB1114_215:
	s_or_b64 exec, exec, s[22:23]
	s_and_saveexec_b64 s[20:21], s[18:19]
	s_cbranch_execnz .LBB1114_279
.LBB1114_216:
	s_or_b64 exec, exec, s[20:21]
	s_and_saveexec_b64 s[18:19], s[16:17]
	s_cbranch_execnz .LBB1114_280
.LBB1114_217:
	s_or_b64 exec, exec, s[18:19]
	s_and_saveexec_b64 s[16:17], s[14:15]
	s_cbranch_execnz .LBB1114_281
.LBB1114_218:
	s_or_b64 exec, exec, s[16:17]
	s_and_saveexec_b64 s[14:15], s[12:13]
	s_cbranch_execnz .LBB1114_282
.LBB1114_219:
	s_or_b64 exec, exec, s[14:15]
	s_and_saveexec_b64 s[12:13], s[10:11]
	s_cbranch_execnz .LBB1114_283
.LBB1114_220:
	s_or_b64 exec, exec, s[12:13]
	s_and_saveexec_b64 s[10:11], s[8:9]
	s_cbranch_execnz .LBB1114_284
.LBB1114_221:
	s_or_b64 exec, exec, s[10:11]
	s_and_saveexec_b64 s[8:9], s[6:7]
	s_cbranch_execnz .LBB1114_285
.LBB1114_222:
	s_or_b64 exec, exec, s[8:9]
	s_and_saveexec_b64 s[6:7], s[4:5]
	s_cbranch_execnz .LBB1114_286
.LBB1114_223:
	s_or_b64 exec, exec, s[6:7]
	s_and_saveexec_b64 s[4:5], s[2:3]
	s_cbranch_execz .LBB1114_225
.LBB1114_224:
	v_sub_u32_e32 v8, v38, v4
	v_lshlrev_b32_e32 v8, 2, v8
	ds_write_b32 v8, v9
.LBB1114_225:
	s_or_b64 exec, exec, s[4:5]
	s_and_b64 s[40:41], s[0:1], exec
                                        ; implicit-def: $vgpr8
                                        ; implicit-def: $vgpr10
                                        ; implicit-def: $vgpr12
                                        ; implicit-def: $vgpr14
                                        ; implicit-def: $vgpr16
                                        ; implicit-def: $vgpr18
                                        ; implicit-def: $vgpr20
	s_andn2_saveexec_b64 s[0:1], s[38:39]
	s_cbranch_execz .LBB1114_141
.LBB1114_226:
	v_sub_u32_e32 v26, v64, v4
	v_lshlrev_b32_e32 v26, 2, v26
	ds_write_b32 v26, v20
	v_sub_u32_e32 v20, v62, v4
	v_lshlrev_b32_e32 v20, 2, v20
	ds_write_b32 v20, v21
	;; [unrolled: 3-line block ×13, first 2 shown]
	v_sub_u32_e32 v8, v38, v4
	v_lshlrev_b32_e32 v8, 2, v8
	s_or_b64 s[40:41], s[40:41], exec
	ds_write_b32 v8, v9
	s_or_b64 exec, exec, s[0:1]
	s_and_b64 exec, exec, s[40:41]
	s_cbranch_execnz .LBB1114_142
	s_branch .LBB1114_143
.LBB1114_227:
	s_and_saveexec_b64 s[38:39], s[28:29]
	s_cbranch_execnz .LBB1114_287
; %bb.228:
	s_or_b64 exec, exec, s[38:39]
	s_and_saveexec_b64 s[38:39], s[26:27]
	s_cbranch_execnz .LBB1114_288
.LBB1114_229:
	s_or_b64 exec, exec, s[38:39]
	s_and_saveexec_b64 s[38:39], s[24:25]
	s_cbranch_execnz .LBB1114_289
.LBB1114_230:
	s_or_b64 exec, exec, s[38:39]
	s_and_saveexec_b64 s[38:39], s[22:23]
	s_cbranch_execnz .LBB1114_290
.LBB1114_231:
	s_or_b64 exec, exec, s[38:39]
	s_and_saveexec_b64 s[38:39], s[20:21]
	s_cbranch_execnz .LBB1114_291
.LBB1114_232:
	s_or_b64 exec, exec, s[38:39]
	s_and_saveexec_b64 s[38:39], s[18:19]
	s_cbranch_execnz .LBB1114_292
.LBB1114_233:
	s_or_b64 exec, exec, s[38:39]
	s_and_saveexec_b64 s[38:39], s[16:17]
	s_cbranch_execnz .LBB1114_293
.LBB1114_234:
	s_or_b64 exec, exec, s[38:39]
	s_and_saveexec_b64 s[38:39], s[14:15]
	s_cbranch_execnz .LBB1114_294
.LBB1114_235:
	s_or_b64 exec, exec, s[38:39]
	s_and_saveexec_b64 s[38:39], s[12:13]
	s_cbranch_execnz .LBB1114_295
.LBB1114_236:
	s_or_b64 exec, exec, s[38:39]
	s_and_saveexec_b64 s[38:39], s[10:11]
	s_cbranch_execnz .LBB1114_296
.LBB1114_237:
	s_or_b64 exec, exec, s[38:39]
	s_and_saveexec_b64 s[38:39], s[8:9]
	s_cbranch_execnz .LBB1114_297
.LBB1114_238:
	s_or_b64 exec, exec, s[38:39]
	s_and_saveexec_b64 s[38:39], s[6:7]
	s_cbranch_execnz .LBB1114_298
.LBB1114_239:
	s_or_b64 exec, exec, s[38:39]
	s_and_saveexec_b64 s[38:39], s[4:5]
	s_cbranch_execnz .LBB1114_299
.LBB1114_240:
	s_or_b64 exec, exec, s[38:39]
	s_and_saveexec_b64 s[38:39], s[2:3]
	s_cbranch_execz .LBB1114_242
.LBB1114_241:
	v_sub_u32_e32 v16, v38, v9
	v_mov_b32_e32 v17, 0
	v_lshlrev_b64 v[16:17], 2, v[16:17]
	v_add_co_u32_e32 v16, vcc, v13, v16
	v_addc_co_u32_e32 v17, vcc, v14, v17, vcc
	global_store_dword v[16:17], v39, off
.LBB1114_242:
	s_or_b64 exec, exec, s[38:39]
	s_and_b64 s[38:39], s[0:1], exec
	s_andn2_saveexec_b64 s[30:31], s[30:31]
	s_cbranch_execz .LBB1114_163
.LBB1114_243:
	v_sub_u32_e32 v16, v64, v9
	v_mov_b32_e32 v17, 0
	v_lshlrev_b64 v[18:19], 2, v[16:17]
	v_add_co_u32_e32 v18, vcc, v13, v18
	v_addc_co_u32_e32 v19, vcc, v14, v19, vcc
	v_sub_u32_e32 v16, v62, v9
	global_store_dword v[18:19], v65, off
	v_lshlrev_b64 v[18:19], 2, v[16:17]
	v_add_co_u32_e32 v18, vcc, v13, v18
	v_addc_co_u32_e32 v19, vcc, v14, v19, vcc
	v_sub_u32_e32 v16, v60, v9
	global_store_dword v[18:19], v63, off
	v_lshlrev_b64 v[18:19], 2, v[16:17]
	v_add_co_u32_e32 v18, vcc, v13, v18
	v_addc_co_u32_e32 v19, vcc, v14, v19, vcc
	v_sub_u32_e32 v16, v58, v9
	global_store_dword v[18:19], v61, off
	v_lshlrev_b64 v[18:19], 2, v[16:17]
	v_add_co_u32_e32 v18, vcc, v13, v18
	v_addc_co_u32_e32 v19, vcc, v14, v19, vcc
	v_sub_u32_e32 v16, v56, v9
	global_store_dword v[18:19], v59, off
	v_lshlrev_b64 v[18:19], 2, v[16:17]
	v_add_co_u32_e32 v18, vcc, v13, v18
	v_addc_co_u32_e32 v19, vcc, v14, v19, vcc
	v_sub_u32_e32 v16, v54, v9
	global_store_dword v[18:19], v57, off
	v_lshlrev_b64 v[18:19], 2, v[16:17]
	v_add_co_u32_e32 v18, vcc, v13, v18
	v_addc_co_u32_e32 v19, vcc, v14, v19, vcc
	v_sub_u32_e32 v16, v52, v9
	global_store_dword v[18:19], v55, off
	v_lshlrev_b64 v[18:19], 2, v[16:17]
	v_add_co_u32_e32 v18, vcc, v13, v18
	v_addc_co_u32_e32 v19, vcc, v14, v19, vcc
	v_sub_u32_e32 v16, v50, v9
	global_store_dword v[18:19], v53, off
	v_lshlrev_b64 v[18:19], 2, v[16:17]
	v_add_co_u32_e32 v18, vcc, v13, v18
	v_addc_co_u32_e32 v19, vcc, v14, v19, vcc
	v_sub_u32_e32 v16, v48, v9
	global_store_dword v[18:19], v51, off
	v_lshlrev_b64 v[18:19], 2, v[16:17]
	v_add_co_u32_e32 v18, vcc, v13, v18
	v_addc_co_u32_e32 v19, vcc, v14, v19, vcc
	v_sub_u32_e32 v16, v46, v9
	global_store_dword v[18:19], v49, off
	v_lshlrev_b64 v[18:19], 2, v[16:17]
	v_add_co_u32_e32 v18, vcc, v13, v18
	v_addc_co_u32_e32 v19, vcc, v14, v19, vcc
	v_sub_u32_e32 v16, v44, v9
	global_store_dword v[18:19], v47, off
	v_lshlrev_b64 v[18:19], 2, v[16:17]
	v_add_co_u32_e32 v18, vcc, v13, v18
	v_addc_co_u32_e32 v19, vcc, v14, v19, vcc
	v_sub_u32_e32 v16, v42, v9
	global_store_dword v[18:19], v45, off
	v_lshlrev_b64 v[18:19], 2, v[16:17]
	v_add_co_u32_e32 v18, vcc, v13, v18
	v_addc_co_u32_e32 v19, vcc, v14, v19, vcc
	v_sub_u32_e32 v16, v40, v9
	global_store_dword v[18:19], v43, off
	v_lshlrev_b64 v[18:19], 2, v[16:17]
	v_add_co_u32_e32 v18, vcc, v13, v18
	v_sub_u32_e32 v16, v38, v9
	v_addc_co_u32_e32 v19, vcc, v14, v19, vcc
	v_lshlrev_b64 v[16:17], 2, v[16:17]
	v_add_co_u32_e32 v16, vcc, v13, v16
	v_addc_co_u32_e32 v17, vcc, v14, v17, vcc
	s_or_b64 s[38:39], s[38:39], exec
	global_store_dword v[18:19], v41, off
	global_store_dword v[16:17], v39, off
	s_or_b64 exec, exec, s[30:31]
	s_and_b64 exec, exec, s[38:39]
	s_cbranch_execnz .LBB1114_164
	s_branch .LBB1114_165
.LBB1114_244:
	s_and_saveexec_b64 s[38:39], s[28:29]
	s_cbranch_execnz .LBB1114_300
; %bb.245:
	s_or_b64 exec, exec, s[38:39]
	s_and_saveexec_b64 s[28:29], s[26:27]
	s_cbranch_execnz .LBB1114_301
.LBB1114_246:
	s_or_b64 exec, exec, s[28:29]
	s_and_saveexec_b64 s[26:27], s[24:25]
	s_cbranch_execnz .LBB1114_302
.LBB1114_247:
	s_or_b64 exec, exec, s[26:27]
	s_and_saveexec_b64 s[24:25], s[22:23]
	s_cbranch_execnz .LBB1114_303
.LBB1114_248:
	s_or_b64 exec, exec, s[24:25]
	s_and_saveexec_b64 s[22:23], s[20:21]
	s_cbranch_execnz .LBB1114_304
.LBB1114_249:
	s_or_b64 exec, exec, s[22:23]
	s_and_saveexec_b64 s[20:21], s[18:19]
	s_cbranch_execnz .LBB1114_305
.LBB1114_250:
	s_or_b64 exec, exec, s[20:21]
	s_and_saveexec_b64 s[18:19], s[16:17]
	s_cbranch_execnz .LBB1114_306
.LBB1114_251:
	s_or_b64 exec, exec, s[18:19]
	s_and_saveexec_b64 s[16:17], s[14:15]
	s_cbranch_execnz .LBB1114_307
.LBB1114_252:
	s_or_b64 exec, exec, s[16:17]
	s_and_saveexec_b64 s[14:15], s[12:13]
	s_cbranch_execnz .LBB1114_308
.LBB1114_253:
	s_or_b64 exec, exec, s[14:15]
	s_and_saveexec_b64 s[12:13], s[10:11]
	s_cbranch_execnz .LBB1114_309
.LBB1114_254:
	s_or_b64 exec, exec, s[12:13]
	s_and_saveexec_b64 s[10:11], s[8:9]
	s_cbranch_execnz .LBB1114_310
.LBB1114_255:
	s_or_b64 exec, exec, s[10:11]
	s_and_saveexec_b64 s[8:9], s[6:7]
	s_cbranch_execnz .LBB1114_311
.LBB1114_256:
	s_or_b64 exec, exec, s[8:9]
	s_and_saveexec_b64 s[6:7], s[4:5]
	s_cbranch_execnz .LBB1114_312
.LBB1114_257:
	s_or_b64 exec, exec, s[6:7]
	s_and_saveexec_b64 s[4:5], s[2:3]
	s_cbranch_execz .LBB1114_259
.LBB1114_258:
	v_sub_u32_e32 v10, v38, v9
	v_lshlrev_b32_e32 v10, 2, v10
	ds_write_b32 v10, v39
.LBB1114_259:
	s_or_b64 exec, exec, s[4:5]
	s_and_b64 s[38:39], s[0:1], exec
                                        ; implicit-def: $vgpr64_vgpr65
                                        ; implicit-def: $vgpr62_vgpr63
                                        ; implicit-def: $vgpr60_vgpr61
                                        ; implicit-def: $vgpr58_vgpr59
                                        ; implicit-def: $vgpr56_vgpr57
                                        ; implicit-def: $vgpr54_vgpr55
                                        ; implicit-def: $vgpr52_vgpr53
                                        ; implicit-def: $vgpr50_vgpr51
                                        ; implicit-def: $vgpr48_vgpr49
                                        ; implicit-def: $vgpr46_vgpr47
                                        ; implicit-def: $vgpr44_vgpr45
                                        ; implicit-def: $vgpr42_vgpr43
                                        ; implicit-def: $vgpr40_vgpr41
                                        ; implicit-def: $vgpr38_vgpr39
	s_andn2_saveexec_b64 s[0:1], s[36:37]
	s_cbranch_execz .LBB1114_170
.LBB1114_260:
	v_sub_u32_e32 v10, v64, v9
	v_lshlrev_b32_e32 v10, 2, v10
	ds_write_b32 v10, v65
	v_sub_u32_e32 v10, v62, v9
	v_lshlrev_b32_e32 v10, 2, v10
	ds_write_b32 v10, v63
	;; [unrolled: 3-line block ×13, first 2 shown]
	v_sub_u32_e32 v10, v38, v9
	v_lshlrev_b32_e32 v10, 2, v10
	s_or_b64 s[38:39], s[38:39], exec
	ds_write_b32 v10, v39
	s_or_b64 exec, exec, s[0:1]
	s_and_b64 exec, exec, s[38:39]
	s_cbranch_execnz .LBB1114_171
	s_branch .LBB1114_172
.LBB1114_261:
	v_sub_u32_e32 v28, v64, v4
	v_mov_b32_e32 v29, 0
	v_lshlrev_b64 v[28:29], 2, v[28:29]
	v_add_co_u32_e32 v28, vcc, v3, v28
	v_addc_co_u32_e32 v29, vcc, v5, v29, vcc
	global_store_dword v[28:29], v20, off
	s_or_b64 exec, exec, s[40:41]
	s_and_saveexec_b64 s[40:41], s[26:27]
	s_cbranch_execz .LBB1114_195
.LBB1114_262:
	v_sub_u32_e32 v28, v62, v4
	v_mov_b32_e32 v29, 0
	v_lshlrev_b64 v[28:29], 2, v[28:29]
	v_add_co_u32_e32 v28, vcc, v3, v28
	v_addc_co_u32_e32 v29, vcc, v5, v29, vcc
	global_store_dword v[28:29], v21, off
	s_or_b64 exec, exec, s[40:41]
	s_and_saveexec_b64 s[40:41], s[24:25]
	s_cbranch_execz .LBB1114_196
.LBB1114_263:
	v_sub_u32_e32 v28, v60, v4
	v_mov_b32_e32 v29, 0
	v_lshlrev_b64 v[28:29], 2, v[28:29]
	v_add_co_u32_e32 v28, vcc, v3, v28
	v_addc_co_u32_e32 v29, vcc, v5, v29, vcc
	global_store_dword v[28:29], v18, off
	s_or_b64 exec, exec, s[40:41]
	s_and_saveexec_b64 s[40:41], s[22:23]
	s_cbranch_execz .LBB1114_197
.LBB1114_264:
	v_sub_u32_e32 v28, v58, v4
	v_mov_b32_e32 v29, 0
	v_lshlrev_b64 v[28:29], 2, v[28:29]
	v_add_co_u32_e32 v28, vcc, v3, v28
	v_addc_co_u32_e32 v29, vcc, v5, v29, vcc
	global_store_dword v[28:29], v19, off
	s_or_b64 exec, exec, s[40:41]
	s_and_saveexec_b64 s[40:41], s[20:21]
	s_cbranch_execz .LBB1114_198
.LBB1114_265:
	v_sub_u32_e32 v28, v56, v4
	v_mov_b32_e32 v29, 0
	v_lshlrev_b64 v[28:29], 2, v[28:29]
	v_add_co_u32_e32 v28, vcc, v3, v28
	v_addc_co_u32_e32 v29, vcc, v5, v29, vcc
	global_store_dword v[28:29], v16, off
	s_or_b64 exec, exec, s[40:41]
	s_and_saveexec_b64 s[40:41], s[18:19]
	s_cbranch_execz .LBB1114_199
.LBB1114_266:
	v_sub_u32_e32 v28, v54, v4
	v_mov_b32_e32 v29, 0
	v_lshlrev_b64 v[28:29], 2, v[28:29]
	v_add_co_u32_e32 v28, vcc, v3, v28
	v_addc_co_u32_e32 v29, vcc, v5, v29, vcc
	global_store_dword v[28:29], v17, off
	s_or_b64 exec, exec, s[40:41]
	s_and_saveexec_b64 s[40:41], s[16:17]
	s_cbranch_execz .LBB1114_200
.LBB1114_267:
	v_sub_u32_e32 v28, v52, v4
	v_mov_b32_e32 v29, 0
	v_lshlrev_b64 v[28:29], 2, v[28:29]
	v_add_co_u32_e32 v28, vcc, v3, v28
	v_addc_co_u32_e32 v29, vcc, v5, v29, vcc
	global_store_dword v[28:29], v14, off
	s_or_b64 exec, exec, s[40:41]
	s_and_saveexec_b64 s[40:41], s[14:15]
	s_cbranch_execz .LBB1114_201
.LBB1114_268:
	v_sub_u32_e32 v28, v50, v4
	v_mov_b32_e32 v29, 0
	v_lshlrev_b64 v[28:29], 2, v[28:29]
	v_add_co_u32_e32 v28, vcc, v3, v28
	v_addc_co_u32_e32 v29, vcc, v5, v29, vcc
	global_store_dword v[28:29], v15, off
	s_or_b64 exec, exec, s[40:41]
	s_and_saveexec_b64 s[40:41], s[12:13]
	s_cbranch_execz .LBB1114_202
.LBB1114_269:
	v_sub_u32_e32 v28, v48, v4
	v_mov_b32_e32 v29, 0
	v_lshlrev_b64 v[28:29], 2, v[28:29]
	v_add_co_u32_e32 v28, vcc, v3, v28
	v_addc_co_u32_e32 v29, vcc, v5, v29, vcc
	global_store_dword v[28:29], v12, off
	s_or_b64 exec, exec, s[40:41]
	s_and_saveexec_b64 s[40:41], s[10:11]
	s_cbranch_execz .LBB1114_203
.LBB1114_270:
	v_sub_u32_e32 v28, v46, v4
	v_mov_b32_e32 v29, 0
	v_lshlrev_b64 v[28:29], 2, v[28:29]
	v_add_co_u32_e32 v28, vcc, v3, v28
	v_addc_co_u32_e32 v29, vcc, v5, v29, vcc
	global_store_dword v[28:29], v13, off
	s_or_b64 exec, exec, s[40:41]
	s_and_saveexec_b64 s[40:41], s[8:9]
	s_cbranch_execz .LBB1114_204
.LBB1114_271:
	v_sub_u32_e32 v28, v44, v4
	v_mov_b32_e32 v29, 0
	v_lshlrev_b64 v[28:29], 2, v[28:29]
	v_add_co_u32_e32 v28, vcc, v3, v28
	v_addc_co_u32_e32 v29, vcc, v5, v29, vcc
	global_store_dword v[28:29], v10, off
	s_or_b64 exec, exec, s[40:41]
	s_and_saveexec_b64 s[40:41], s[6:7]
	s_cbranch_execz .LBB1114_205
.LBB1114_272:
	v_sub_u32_e32 v28, v42, v4
	v_mov_b32_e32 v29, 0
	v_lshlrev_b64 v[28:29], 2, v[28:29]
	v_add_co_u32_e32 v28, vcc, v3, v28
	v_addc_co_u32_e32 v29, vcc, v5, v29, vcc
	global_store_dword v[28:29], v11, off
	s_or_b64 exec, exec, s[40:41]
	s_and_saveexec_b64 s[40:41], s[4:5]
	s_cbranch_execz .LBB1114_206
.LBB1114_273:
	v_sub_u32_e32 v28, v40, v4
	v_mov_b32_e32 v29, 0
	v_lshlrev_b64 v[28:29], 2, v[28:29]
	v_add_co_u32_e32 v28, vcc, v3, v28
	v_addc_co_u32_e32 v29, vcc, v5, v29, vcc
	global_store_dword v[28:29], v8, off
	s_or_b64 exec, exec, s[40:41]
	s_and_saveexec_b64 s[40:41], s[2:3]
	s_cbranch_execnz .LBB1114_207
	s_branch .LBB1114_208
.LBB1114_274:
	v_sub_u32_e32 v26, v64, v4
	v_lshlrev_b32_e32 v26, 2, v26
	ds_write_b32 v26, v20
	s_or_b64 exec, exec, s[40:41]
	s_and_saveexec_b64 s[28:29], s[26:27]
	s_cbranch_execz .LBB1114_212
.LBB1114_275:
	v_sub_u32_e32 v20, v62, v4
	v_lshlrev_b32_e32 v20, 2, v20
	ds_write_b32 v20, v21
	s_or_b64 exec, exec, s[28:29]
	s_and_saveexec_b64 s[26:27], s[24:25]
	s_cbranch_execz .LBB1114_213
.LBB1114_276:
	v_sub_u32_e32 v20, v60, v4
	v_lshlrev_b32_e32 v20, 2, v20
	ds_write_b32 v20, v18
	s_or_b64 exec, exec, s[26:27]
	s_and_saveexec_b64 s[24:25], s[22:23]
	s_cbranch_execz .LBB1114_214
.LBB1114_277:
	v_sub_u32_e32 v18, v58, v4
	v_lshlrev_b32_e32 v18, 2, v18
	ds_write_b32 v18, v19
	s_or_b64 exec, exec, s[24:25]
	s_and_saveexec_b64 s[22:23], s[20:21]
	s_cbranch_execz .LBB1114_215
.LBB1114_278:
	v_sub_u32_e32 v18, v56, v4
	v_lshlrev_b32_e32 v18, 2, v18
	ds_write_b32 v18, v16
	s_or_b64 exec, exec, s[22:23]
	s_and_saveexec_b64 s[20:21], s[18:19]
	s_cbranch_execz .LBB1114_216
.LBB1114_279:
	v_sub_u32_e32 v16, v54, v4
	v_lshlrev_b32_e32 v16, 2, v16
	ds_write_b32 v16, v17
	s_or_b64 exec, exec, s[20:21]
	s_and_saveexec_b64 s[18:19], s[16:17]
	s_cbranch_execz .LBB1114_217
.LBB1114_280:
	v_sub_u32_e32 v16, v52, v4
	v_lshlrev_b32_e32 v16, 2, v16
	ds_write_b32 v16, v14
	s_or_b64 exec, exec, s[18:19]
	s_and_saveexec_b64 s[16:17], s[14:15]
	s_cbranch_execz .LBB1114_218
.LBB1114_281:
	v_sub_u32_e32 v14, v50, v4
	v_lshlrev_b32_e32 v14, 2, v14
	ds_write_b32 v14, v15
	s_or_b64 exec, exec, s[16:17]
	s_and_saveexec_b64 s[14:15], s[12:13]
	s_cbranch_execz .LBB1114_219
.LBB1114_282:
	v_sub_u32_e32 v14, v48, v4
	v_lshlrev_b32_e32 v14, 2, v14
	ds_write_b32 v14, v12
	s_or_b64 exec, exec, s[14:15]
	s_and_saveexec_b64 s[12:13], s[10:11]
	s_cbranch_execz .LBB1114_220
.LBB1114_283:
	v_sub_u32_e32 v12, v46, v4
	v_lshlrev_b32_e32 v12, 2, v12
	ds_write_b32 v12, v13
	s_or_b64 exec, exec, s[12:13]
	s_and_saveexec_b64 s[10:11], s[8:9]
	s_cbranch_execz .LBB1114_221
.LBB1114_284:
	v_sub_u32_e32 v12, v44, v4
	v_lshlrev_b32_e32 v12, 2, v12
	ds_write_b32 v12, v10
	s_or_b64 exec, exec, s[10:11]
	s_and_saveexec_b64 s[8:9], s[6:7]
	s_cbranch_execz .LBB1114_222
.LBB1114_285:
	v_sub_u32_e32 v10, v42, v4
	v_lshlrev_b32_e32 v10, 2, v10
	ds_write_b32 v10, v11
	s_or_b64 exec, exec, s[8:9]
	s_and_saveexec_b64 s[6:7], s[4:5]
	s_cbranch_execz .LBB1114_223
.LBB1114_286:
	v_sub_u32_e32 v10, v40, v4
	v_lshlrev_b32_e32 v10, 2, v10
	ds_write_b32 v10, v8
	s_or_b64 exec, exec, s[6:7]
	s_and_saveexec_b64 s[4:5], s[2:3]
	s_cbranch_execnz .LBB1114_224
	s_branch .LBB1114_225
.LBB1114_287:
	v_sub_u32_e32 v16, v64, v9
	v_mov_b32_e32 v17, 0
	v_lshlrev_b64 v[16:17], 2, v[16:17]
	v_add_co_u32_e32 v16, vcc, v13, v16
	v_addc_co_u32_e32 v17, vcc, v14, v17, vcc
	global_store_dword v[16:17], v65, off
	s_or_b64 exec, exec, s[38:39]
	s_and_saveexec_b64 s[38:39], s[26:27]
	s_cbranch_execz .LBB1114_229
.LBB1114_288:
	v_sub_u32_e32 v16, v62, v9
	v_mov_b32_e32 v17, 0
	v_lshlrev_b64 v[16:17], 2, v[16:17]
	v_add_co_u32_e32 v16, vcc, v13, v16
	v_addc_co_u32_e32 v17, vcc, v14, v17, vcc
	global_store_dword v[16:17], v63, off
	s_or_b64 exec, exec, s[38:39]
	s_and_saveexec_b64 s[38:39], s[24:25]
	s_cbranch_execz .LBB1114_230
.LBB1114_289:
	v_sub_u32_e32 v16, v60, v9
	v_mov_b32_e32 v17, 0
	v_lshlrev_b64 v[16:17], 2, v[16:17]
	v_add_co_u32_e32 v16, vcc, v13, v16
	v_addc_co_u32_e32 v17, vcc, v14, v17, vcc
	global_store_dword v[16:17], v61, off
	s_or_b64 exec, exec, s[38:39]
	s_and_saveexec_b64 s[38:39], s[22:23]
	s_cbranch_execz .LBB1114_231
.LBB1114_290:
	v_sub_u32_e32 v16, v58, v9
	v_mov_b32_e32 v17, 0
	v_lshlrev_b64 v[16:17], 2, v[16:17]
	v_add_co_u32_e32 v16, vcc, v13, v16
	v_addc_co_u32_e32 v17, vcc, v14, v17, vcc
	global_store_dword v[16:17], v59, off
	s_or_b64 exec, exec, s[38:39]
	s_and_saveexec_b64 s[38:39], s[20:21]
	s_cbranch_execz .LBB1114_232
.LBB1114_291:
	v_sub_u32_e32 v16, v56, v9
	v_mov_b32_e32 v17, 0
	v_lshlrev_b64 v[16:17], 2, v[16:17]
	v_add_co_u32_e32 v16, vcc, v13, v16
	v_addc_co_u32_e32 v17, vcc, v14, v17, vcc
	global_store_dword v[16:17], v57, off
	s_or_b64 exec, exec, s[38:39]
	s_and_saveexec_b64 s[38:39], s[18:19]
	s_cbranch_execz .LBB1114_233
.LBB1114_292:
	v_sub_u32_e32 v16, v54, v9
	v_mov_b32_e32 v17, 0
	v_lshlrev_b64 v[16:17], 2, v[16:17]
	v_add_co_u32_e32 v16, vcc, v13, v16
	v_addc_co_u32_e32 v17, vcc, v14, v17, vcc
	global_store_dword v[16:17], v55, off
	s_or_b64 exec, exec, s[38:39]
	s_and_saveexec_b64 s[38:39], s[16:17]
	s_cbranch_execz .LBB1114_234
.LBB1114_293:
	v_sub_u32_e32 v16, v52, v9
	v_mov_b32_e32 v17, 0
	v_lshlrev_b64 v[16:17], 2, v[16:17]
	v_add_co_u32_e32 v16, vcc, v13, v16
	v_addc_co_u32_e32 v17, vcc, v14, v17, vcc
	global_store_dword v[16:17], v53, off
	s_or_b64 exec, exec, s[38:39]
	s_and_saveexec_b64 s[38:39], s[14:15]
	s_cbranch_execz .LBB1114_235
.LBB1114_294:
	v_sub_u32_e32 v16, v50, v9
	v_mov_b32_e32 v17, 0
	v_lshlrev_b64 v[16:17], 2, v[16:17]
	v_add_co_u32_e32 v16, vcc, v13, v16
	v_addc_co_u32_e32 v17, vcc, v14, v17, vcc
	global_store_dword v[16:17], v51, off
	s_or_b64 exec, exec, s[38:39]
	s_and_saveexec_b64 s[38:39], s[12:13]
	s_cbranch_execz .LBB1114_236
.LBB1114_295:
	v_sub_u32_e32 v16, v48, v9
	v_mov_b32_e32 v17, 0
	v_lshlrev_b64 v[16:17], 2, v[16:17]
	v_add_co_u32_e32 v16, vcc, v13, v16
	v_addc_co_u32_e32 v17, vcc, v14, v17, vcc
	global_store_dword v[16:17], v49, off
	s_or_b64 exec, exec, s[38:39]
	s_and_saveexec_b64 s[38:39], s[10:11]
	s_cbranch_execz .LBB1114_237
.LBB1114_296:
	v_sub_u32_e32 v16, v46, v9
	v_mov_b32_e32 v17, 0
	v_lshlrev_b64 v[16:17], 2, v[16:17]
	v_add_co_u32_e32 v16, vcc, v13, v16
	v_addc_co_u32_e32 v17, vcc, v14, v17, vcc
	global_store_dword v[16:17], v47, off
	s_or_b64 exec, exec, s[38:39]
	s_and_saveexec_b64 s[38:39], s[8:9]
	s_cbranch_execz .LBB1114_238
.LBB1114_297:
	v_sub_u32_e32 v16, v44, v9
	v_mov_b32_e32 v17, 0
	v_lshlrev_b64 v[16:17], 2, v[16:17]
	v_add_co_u32_e32 v16, vcc, v13, v16
	v_addc_co_u32_e32 v17, vcc, v14, v17, vcc
	global_store_dword v[16:17], v45, off
	s_or_b64 exec, exec, s[38:39]
	s_and_saveexec_b64 s[38:39], s[6:7]
	s_cbranch_execz .LBB1114_239
.LBB1114_298:
	v_sub_u32_e32 v16, v42, v9
	v_mov_b32_e32 v17, 0
	v_lshlrev_b64 v[16:17], 2, v[16:17]
	v_add_co_u32_e32 v16, vcc, v13, v16
	v_addc_co_u32_e32 v17, vcc, v14, v17, vcc
	global_store_dword v[16:17], v43, off
	s_or_b64 exec, exec, s[38:39]
	s_and_saveexec_b64 s[38:39], s[4:5]
	s_cbranch_execz .LBB1114_240
.LBB1114_299:
	v_sub_u32_e32 v16, v40, v9
	v_mov_b32_e32 v17, 0
	v_lshlrev_b64 v[16:17], 2, v[16:17]
	v_add_co_u32_e32 v16, vcc, v13, v16
	v_addc_co_u32_e32 v17, vcc, v14, v17, vcc
	global_store_dword v[16:17], v41, off
	s_or_b64 exec, exec, s[38:39]
	s_and_saveexec_b64 s[38:39], s[2:3]
	s_cbranch_execnz .LBB1114_241
	s_branch .LBB1114_242
.LBB1114_300:
	v_sub_u32_e32 v10, v64, v9
	v_lshlrev_b32_e32 v10, 2, v10
	ds_write_b32 v10, v65
	s_or_b64 exec, exec, s[38:39]
	s_and_saveexec_b64 s[28:29], s[26:27]
	s_cbranch_execz .LBB1114_246
.LBB1114_301:
	v_sub_u32_e32 v10, v62, v9
	v_lshlrev_b32_e32 v10, 2, v10
	ds_write_b32 v10, v63
	s_or_b64 exec, exec, s[28:29]
	s_and_saveexec_b64 s[26:27], s[24:25]
	s_cbranch_execz .LBB1114_247
.LBB1114_302:
	v_sub_u32_e32 v10, v60, v9
	v_lshlrev_b32_e32 v10, 2, v10
	ds_write_b32 v10, v61
	s_or_b64 exec, exec, s[26:27]
	s_and_saveexec_b64 s[24:25], s[22:23]
	s_cbranch_execz .LBB1114_248
.LBB1114_303:
	v_sub_u32_e32 v10, v58, v9
	v_lshlrev_b32_e32 v10, 2, v10
	ds_write_b32 v10, v59
	s_or_b64 exec, exec, s[24:25]
	s_and_saveexec_b64 s[22:23], s[20:21]
	s_cbranch_execz .LBB1114_249
.LBB1114_304:
	v_sub_u32_e32 v10, v56, v9
	v_lshlrev_b32_e32 v10, 2, v10
	ds_write_b32 v10, v57
	s_or_b64 exec, exec, s[22:23]
	s_and_saveexec_b64 s[20:21], s[18:19]
	s_cbranch_execz .LBB1114_250
.LBB1114_305:
	v_sub_u32_e32 v10, v54, v9
	v_lshlrev_b32_e32 v10, 2, v10
	ds_write_b32 v10, v55
	s_or_b64 exec, exec, s[20:21]
	s_and_saveexec_b64 s[18:19], s[16:17]
	s_cbranch_execz .LBB1114_251
.LBB1114_306:
	v_sub_u32_e32 v10, v52, v9
	v_lshlrev_b32_e32 v10, 2, v10
	ds_write_b32 v10, v53
	s_or_b64 exec, exec, s[18:19]
	s_and_saveexec_b64 s[16:17], s[14:15]
	s_cbranch_execz .LBB1114_252
.LBB1114_307:
	v_sub_u32_e32 v10, v50, v9
	v_lshlrev_b32_e32 v10, 2, v10
	ds_write_b32 v10, v51
	s_or_b64 exec, exec, s[16:17]
	s_and_saveexec_b64 s[14:15], s[12:13]
	s_cbranch_execz .LBB1114_253
.LBB1114_308:
	v_sub_u32_e32 v10, v48, v9
	v_lshlrev_b32_e32 v10, 2, v10
	ds_write_b32 v10, v49
	s_or_b64 exec, exec, s[14:15]
	s_and_saveexec_b64 s[12:13], s[10:11]
	s_cbranch_execz .LBB1114_254
.LBB1114_309:
	v_sub_u32_e32 v10, v46, v9
	v_lshlrev_b32_e32 v10, 2, v10
	ds_write_b32 v10, v47
	s_or_b64 exec, exec, s[12:13]
	s_and_saveexec_b64 s[10:11], s[8:9]
	s_cbranch_execz .LBB1114_255
.LBB1114_310:
	v_sub_u32_e32 v10, v44, v9
	v_lshlrev_b32_e32 v10, 2, v10
	ds_write_b32 v10, v45
	s_or_b64 exec, exec, s[10:11]
	s_and_saveexec_b64 s[8:9], s[6:7]
	s_cbranch_execz .LBB1114_256
.LBB1114_311:
	v_sub_u32_e32 v10, v42, v9
	v_lshlrev_b32_e32 v10, 2, v10
	ds_write_b32 v10, v43
	s_or_b64 exec, exec, s[8:9]
	s_and_saveexec_b64 s[6:7], s[4:5]
	s_cbranch_execz .LBB1114_257
.LBB1114_312:
	v_sub_u32_e32 v10, v40, v9
	v_lshlrev_b32_e32 v10, 2, v10
	ds_write_b32 v10, v41
	s_or_b64 exec, exec, s[6:7]
	s_and_saveexec_b64 s[4:5], s[2:3]
	s_cbranch_execnz .LBB1114_258
	s_branch .LBB1114_259
	.section	.rodata,"a",@progbits
	.p2align	6, 0x0
	.amdhsa_kernel _ZN7rocprim17ROCPRIM_400000_NS6detail17trampoline_kernelINS0_14default_configENS1_29reduce_by_key_config_selectorIiiN6thrust23THRUST_200600_302600_NS4plusIiEEEEZZNS1_33reduce_by_key_impl_wrapped_configILNS1_25lookback_scan_determinismE0ES3_S9_NS6_10device_ptrIiEESD_SD_SD_PmS8_NS6_8equal_toIiEEEE10hipError_tPvRmT2_T3_mT4_T5_T6_T7_T8_P12ihipStream_tbENKUlT_T0_E_clISt17integral_constantIbLb1EESX_IbLb0EEEEDaST_SU_EUlST_E_NS1_11comp_targetILNS1_3genE4ELNS1_11target_archE910ELNS1_3gpuE8ELNS1_3repE0EEENS1_30default_config_static_selectorELNS0_4arch9wavefront6targetE1EEEvT1_
		.amdhsa_group_segment_fixed_size 15360
		.amdhsa_private_segment_fixed_size 0
		.amdhsa_kernarg_size 120
		.amdhsa_user_sgpr_count 6
		.amdhsa_user_sgpr_private_segment_buffer 1
		.amdhsa_user_sgpr_dispatch_ptr 0
		.amdhsa_user_sgpr_queue_ptr 0
		.amdhsa_user_sgpr_kernarg_segment_ptr 1
		.amdhsa_user_sgpr_dispatch_id 0
		.amdhsa_user_sgpr_flat_scratch_init 0
		.amdhsa_user_sgpr_kernarg_preload_length 0
		.amdhsa_user_sgpr_kernarg_preload_offset 0
		.amdhsa_user_sgpr_private_segment_size 0
		.amdhsa_uses_dynamic_stack 0
		.amdhsa_system_sgpr_private_segment_wavefront_offset 0
		.amdhsa_system_sgpr_workgroup_id_x 1
		.amdhsa_system_sgpr_workgroup_id_y 0
		.amdhsa_system_sgpr_workgroup_id_z 0
		.amdhsa_system_sgpr_workgroup_info 0
		.amdhsa_system_vgpr_workitem_id 0
		.amdhsa_next_free_vgpr 106
		.amdhsa_next_free_sgpr 64
		.amdhsa_accum_offset 108
		.amdhsa_reserve_vcc 1
		.amdhsa_reserve_flat_scratch 0
		.amdhsa_float_round_mode_32 0
		.amdhsa_float_round_mode_16_64 0
		.amdhsa_float_denorm_mode_32 3
		.amdhsa_float_denorm_mode_16_64 3
		.amdhsa_dx10_clamp 1
		.amdhsa_ieee_mode 1
		.amdhsa_fp16_overflow 0
		.amdhsa_tg_split 0
		.amdhsa_exception_fp_ieee_invalid_op 0
		.amdhsa_exception_fp_denorm_src 0
		.amdhsa_exception_fp_ieee_div_zero 0
		.amdhsa_exception_fp_ieee_overflow 0
		.amdhsa_exception_fp_ieee_underflow 0
		.amdhsa_exception_fp_ieee_inexact 0
		.amdhsa_exception_int_div_zero 0
	.end_amdhsa_kernel
	.section	.text._ZN7rocprim17ROCPRIM_400000_NS6detail17trampoline_kernelINS0_14default_configENS1_29reduce_by_key_config_selectorIiiN6thrust23THRUST_200600_302600_NS4plusIiEEEEZZNS1_33reduce_by_key_impl_wrapped_configILNS1_25lookback_scan_determinismE0ES3_S9_NS6_10device_ptrIiEESD_SD_SD_PmS8_NS6_8equal_toIiEEEE10hipError_tPvRmT2_T3_mT4_T5_T6_T7_T8_P12ihipStream_tbENKUlT_T0_E_clISt17integral_constantIbLb1EESX_IbLb0EEEEDaST_SU_EUlST_E_NS1_11comp_targetILNS1_3genE4ELNS1_11target_archE910ELNS1_3gpuE8ELNS1_3repE0EEENS1_30default_config_static_selectorELNS0_4arch9wavefront6targetE1EEEvT1_,"axG",@progbits,_ZN7rocprim17ROCPRIM_400000_NS6detail17trampoline_kernelINS0_14default_configENS1_29reduce_by_key_config_selectorIiiN6thrust23THRUST_200600_302600_NS4plusIiEEEEZZNS1_33reduce_by_key_impl_wrapped_configILNS1_25lookback_scan_determinismE0ES3_S9_NS6_10device_ptrIiEESD_SD_SD_PmS8_NS6_8equal_toIiEEEE10hipError_tPvRmT2_T3_mT4_T5_T6_T7_T8_P12ihipStream_tbENKUlT_T0_E_clISt17integral_constantIbLb1EESX_IbLb0EEEEDaST_SU_EUlST_E_NS1_11comp_targetILNS1_3genE4ELNS1_11target_archE910ELNS1_3gpuE8ELNS1_3repE0EEENS1_30default_config_static_selectorELNS0_4arch9wavefront6targetE1EEEvT1_,comdat
.Lfunc_end1114:
	.size	_ZN7rocprim17ROCPRIM_400000_NS6detail17trampoline_kernelINS0_14default_configENS1_29reduce_by_key_config_selectorIiiN6thrust23THRUST_200600_302600_NS4plusIiEEEEZZNS1_33reduce_by_key_impl_wrapped_configILNS1_25lookback_scan_determinismE0ES3_S9_NS6_10device_ptrIiEESD_SD_SD_PmS8_NS6_8equal_toIiEEEE10hipError_tPvRmT2_T3_mT4_T5_T6_T7_T8_P12ihipStream_tbENKUlT_T0_E_clISt17integral_constantIbLb1EESX_IbLb0EEEEDaST_SU_EUlST_E_NS1_11comp_targetILNS1_3genE4ELNS1_11target_archE910ELNS1_3gpuE8ELNS1_3repE0EEENS1_30default_config_static_selectorELNS0_4arch9wavefront6targetE1EEEvT1_, .Lfunc_end1114-_ZN7rocprim17ROCPRIM_400000_NS6detail17trampoline_kernelINS0_14default_configENS1_29reduce_by_key_config_selectorIiiN6thrust23THRUST_200600_302600_NS4plusIiEEEEZZNS1_33reduce_by_key_impl_wrapped_configILNS1_25lookback_scan_determinismE0ES3_S9_NS6_10device_ptrIiEESD_SD_SD_PmS8_NS6_8equal_toIiEEEE10hipError_tPvRmT2_T3_mT4_T5_T6_T7_T8_P12ihipStream_tbENKUlT_T0_E_clISt17integral_constantIbLb1EESX_IbLb0EEEEDaST_SU_EUlST_E_NS1_11comp_targetILNS1_3genE4ELNS1_11target_archE910ELNS1_3gpuE8ELNS1_3repE0EEENS1_30default_config_static_selectorELNS0_4arch9wavefront6targetE1EEEvT1_
                                        ; -- End function
	.section	.AMDGPU.csdata,"",@progbits
; Kernel info:
; codeLenInByte = 17272
; NumSgprs: 68
; NumVgprs: 106
; NumAgprs: 0
; TotalNumVgprs: 106
; ScratchSize: 0
; MemoryBound: 0
; FloatMode: 240
; IeeeMode: 1
; LDSByteSize: 15360 bytes/workgroup (compile time only)
; SGPRBlocks: 8
; VGPRBlocks: 13
; NumSGPRsForWavesPerEU: 68
; NumVGPRsForWavesPerEU: 106
; AccumOffset: 108
; Occupancy: 4
; WaveLimiterHint : 1
; COMPUTE_PGM_RSRC2:SCRATCH_EN: 0
; COMPUTE_PGM_RSRC2:USER_SGPR: 6
; COMPUTE_PGM_RSRC2:TRAP_HANDLER: 0
; COMPUTE_PGM_RSRC2:TGID_X_EN: 1
; COMPUTE_PGM_RSRC2:TGID_Y_EN: 0
; COMPUTE_PGM_RSRC2:TGID_Z_EN: 0
; COMPUTE_PGM_RSRC2:TIDIG_COMP_CNT: 0
; COMPUTE_PGM_RSRC3_GFX90A:ACCUM_OFFSET: 26
; COMPUTE_PGM_RSRC3_GFX90A:TG_SPLIT: 0
	.section	.text._ZN7rocprim17ROCPRIM_400000_NS6detail17trampoline_kernelINS0_14default_configENS1_29reduce_by_key_config_selectorIiiN6thrust23THRUST_200600_302600_NS4plusIiEEEEZZNS1_33reduce_by_key_impl_wrapped_configILNS1_25lookback_scan_determinismE0ES3_S9_NS6_10device_ptrIiEESD_SD_SD_PmS8_NS6_8equal_toIiEEEE10hipError_tPvRmT2_T3_mT4_T5_T6_T7_T8_P12ihipStream_tbENKUlT_T0_E_clISt17integral_constantIbLb1EESX_IbLb0EEEEDaST_SU_EUlST_E_NS1_11comp_targetILNS1_3genE3ELNS1_11target_archE908ELNS1_3gpuE7ELNS1_3repE0EEENS1_30default_config_static_selectorELNS0_4arch9wavefront6targetE1EEEvT1_,"axG",@progbits,_ZN7rocprim17ROCPRIM_400000_NS6detail17trampoline_kernelINS0_14default_configENS1_29reduce_by_key_config_selectorIiiN6thrust23THRUST_200600_302600_NS4plusIiEEEEZZNS1_33reduce_by_key_impl_wrapped_configILNS1_25lookback_scan_determinismE0ES3_S9_NS6_10device_ptrIiEESD_SD_SD_PmS8_NS6_8equal_toIiEEEE10hipError_tPvRmT2_T3_mT4_T5_T6_T7_T8_P12ihipStream_tbENKUlT_T0_E_clISt17integral_constantIbLb1EESX_IbLb0EEEEDaST_SU_EUlST_E_NS1_11comp_targetILNS1_3genE3ELNS1_11target_archE908ELNS1_3gpuE7ELNS1_3repE0EEENS1_30default_config_static_selectorELNS0_4arch9wavefront6targetE1EEEvT1_,comdat
	.protected	_ZN7rocprim17ROCPRIM_400000_NS6detail17trampoline_kernelINS0_14default_configENS1_29reduce_by_key_config_selectorIiiN6thrust23THRUST_200600_302600_NS4plusIiEEEEZZNS1_33reduce_by_key_impl_wrapped_configILNS1_25lookback_scan_determinismE0ES3_S9_NS6_10device_ptrIiEESD_SD_SD_PmS8_NS6_8equal_toIiEEEE10hipError_tPvRmT2_T3_mT4_T5_T6_T7_T8_P12ihipStream_tbENKUlT_T0_E_clISt17integral_constantIbLb1EESX_IbLb0EEEEDaST_SU_EUlST_E_NS1_11comp_targetILNS1_3genE3ELNS1_11target_archE908ELNS1_3gpuE7ELNS1_3repE0EEENS1_30default_config_static_selectorELNS0_4arch9wavefront6targetE1EEEvT1_ ; -- Begin function _ZN7rocprim17ROCPRIM_400000_NS6detail17trampoline_kernelINS0_14default_configENS1_29reduce_by_key_config_selectorIiiN6thrust23THRUST_200600_302600_NS4plusIiEEEEZZNS1_33reduce_by_key_impl_wrapped_configILNS1_25lookback_scan_determinismE0ES3_S9_NS6_10device_ptrIiEESD_SD_SD_PmS8_NS6_8equal_toIiEEEE10hipError_tPvRmT2_T3_mT4_T5_T6_T7_T8_P12ihipStream_tbENKUlT_T0_E_clISt17integral_constantIbLb1EESX_IbLb0EEEEDaST_SU_EUlST_E_NS1_11comp_targetILNS1_3genE3ELNS1_11target_archE908ELNS1_3gpuE7ELNS1_3repE0EEENS1_30default_config_static_selectorELNS0_4arch9wavefront6targetE1EEEvT1_
	.globl	_ZN7rocprim17ROCPRIM_400000_NS6detail17trampoline_kernelINS0_14default_configENS1_29reduce_by_key_config_selectorIiiN6thrust23THRUST_200600_302600_NS4plusIiEEEEZZNS1_33reduce_by_key_impl_wrapped_configILNS1_25lookback_scan_determinismE0ES3_S9_NS6_10device_ptrIiEESD_SD_SD_PmS8_NS6_8equal_toIiEEEE10hipError_tPvRmT2_T3_mT4_T5_T6_T7_T8_P12ihipStream_tbENKUlT_T0_E_clISt17integral_constantIbLb1EESX_IbLb0EEEEDaST_SU_EUlST_E_NS1_11comp_targetILNS1_3genE3ELNS1_11target_archE908ELNS1_3gpuE7ELNS1_3repE0EEENS1_30default_config_static_selectorELNS0_4arch9wavefront6targetE1EEEvT1_
	.p2align	8
	.type	_ZN7rocprim17ROCPRIM_400000_NS6detail17trampoline_kernelINS0_14default_configENS1_29reduce_by_key_config_selectorIiiN6thrust23THRUST_200600_302600_NS4plusIiEEEEZZNS1_33reduce_by_key_impl_wrapped_configILNS1_25lookback_scan_determinismE0ES3_S9_NS6_10device_ptrIiEESD_SD_SD_PmS8_NS6_8equal_toIiEEEE10hipError_tPvRmT2_T3_mT4_T5_T6_T7_T8_P12ihipStream_tbENKUlT_T0_E_clISt17integral_constantIbLb1EESX_IbLb0EEEEDaST_SU_EUlST_E_NS1_11comp_targetILNS1_3genE3ELNS1_11target_archE908ELNS1_3gpuE7ELNS1_3repE0EEENS1_30default_config_static_selectorELNS0_4arch9wavefront6targetE1EEEvT1_,@function
_ZN7rocprim17ROCPRIM_400000_NS6detail17trampoline_kernelINS0_14default_configENS1_29reduce_by_key_config_selectorIiiN6thrust23THRUST_200600_302600_NS4plusIiEEEEZZNS1_33reduce_by_key_impl_wrapped_configILNS1_25lookback_scan_determinismE0ES3_S9_NS6_10device_ptrIiEESD_SD_SD_PmS8_NS6_8equal_toIiEEEE10hipError_tPvRmT2_T3_mT4_T5_T6_T7_T8_P12ihipStream_tbENKUlT_T0_E_clISt17integral_constantIbLb1EESX_IbLb0EEEEDaST_SU_EUlST_E_NS1_11comp_targetILNS1_3genE3ELNS1_11target_archE908ELNS1_3gpuE7ELNS1_3repE0EEENS1_30default_config_static_selectorELNS0_4arch9wavefront6targetE1EEEvT1_: ; @_ZN7rocprim17ROCPRIM_400000_NS6detail17trampoline_kernelINS0_14default_configENS1_29reduce_by_key_config_selectorIiiN6thrust23THRUST_200600_302600_NS4plusIiEEEEZZNS1_33reduce_by_key_impl_wrapped_configILNS1_25lookback_scan_determinismE0ES3_S9_NS6_10device_ptrIiEESD_SD_SD_PmS8_NS6_8equal_toIiEEEE10hipError_tPvRmT2_T3_mT4_T5_T6_T7_T8_P12ihipStream_tbENKUlT_T0_E_clISt17integral_constantIbLb1EESX_IbLb0EEEEDaST_SU_EUlST_E_NS1_11comp_targetILNS1_3genE3ELNS1_11target_archE908ELNS1_3gpuE7ELNS1_3repE0EEENS1_30default_config_static_selectorELNS0_4arch9wavefront6targetE1EEEvT1_
; %bb.0:
	.section	.rodata,"a",@progbits
	.p2align	6, 0x0
	.amdhsa_kernel _ZN7rocprim17ROCPRIM_400000_NS6detail17trampoline_kernelINS0_14default_configENS1_29reduce_by_key_config_selectorIiiN6thrust23THRUST_200600_302600_NS4plusIiEEEEZZNS1_33reduce_by_key_impl_wrapped_configILNS1_25lookback_scan_determinismE0ES3_S9_NS6_10device_ptrIiEESD_SD_SD_PmS8_NS6_8equal_toIiEEEE10hipError_tPvRmT2_T3_mT4_T5_T6_T7_T8_P12ihipStream_tbENKUlT_T0_E_clISt17integral_constantIbLb1EESX_IbLb0EEEEDaST_SU_EUlST_E_NS1_11comp_targetILNS1_3genE3ELNS1_11target_archE908ELNS1_3gpuE7ELNS1_3repE0EEENS1_30default_config_static_selectorELNS0_4arch9wavefront6targetE1EEEvT1_
		.amdhsa_group_segment_fixed_size 0
		.amdhsa_private_segment_fixed_size 0
		.amdhsa_kernarg_size 120
		.amdhsa_user_sgpr_count 6
		.amdhsa_user_sgpr_private_segment_buffer 1
		.amdhsa_user_sgpr_dispatch_ptr 0
		.amdhsa_user_sgpr_queue_ptr 0
		.amdhsa_user_sgpr_kernarg_segment_ptr 1
		.amdhsa_user_sgpr_dispatch_id 0
		.amdhsa_user_sgpr_flat_scratch_init 0
		.amdhsa_user_sgpr_kernarg_preload_length 0
		.amdhsa_user_sgpr_kernarg_preload_offset 0
		.amdhsa_user_sgpr_private_segment_size 0
		.amdhsa_uses_dynamic_stack 0
		.amdhsa_system_sgpr_private_segment_wavefront_offset 0
		.amdhsa_system_sgpr_workgroup_id_x 1
		.amdhsa_system_sgpr_workgroup_id_y 0
		.amdhsa_system_sgpr_workgroup_id_z 0
		.amdhsa_system_sgpr_workgroup_info 0
		.amdhsa_system_vgpr_workitem_id 0
		.amdhsa_next_free_vgpr 1
		.amdhsa_next_free_sgpr 0
		.amdhsa_accum_offset 4
		.amdhsa_reserve_vcc 0
		.amdhsa_reserve_flat_scratch 0
		.amdhsa_float_round_mode_32 0
		.amdhsa_float_round_mode_16_64 0
		.amdhsa_float_denorm_mode_32 3
		.amdhsa_float_denorm_mode_16_64 3
		.amdhsa_dx10_clamp 1
		.amdhsa_ieee_mode 1
		.amdhsa_fp16_overflow 0
		.amdhsa_tg_split 0
		.amdhsa_exception_fp_ieee_invalid_op 0
		.amdhsa_exception_fp_denorm_src 0
		.amdhsa_exception_fp_ieee_div_zero 0
		.amdhsa_exception_fp_ieee_overflow 0
		.amdhsa_exception_fp_ieee_underflow 0
		.amdhsa_exception_fp_ieee_inexact 0
		.amdhsa_exception_int_div_zero 0
	.end_amdhsa_kernel
	.section	.text._ZN7rocprim17ROCPRIM_400000_NS6detail17trampoline_kernelINS0_14default_configENS1_29reduce_by_key_config_selectorIiiN6thrust23THRUST_200600_302600_NS4plusIiEEEEZZNS1_33reduce_by_key_impl_wrapped_configILNS1_25lookback_scan_determinismE0ES3_S9_NS6_10device_ptrIiEESD_SD_SD_PmS8_NS6_8equal_toIiEEEE10hipError_tPvRmT2_T3_mT4_T5_T6_T7_T8_P12ihipStream_tbENKUlT_T0_E_clISt17integral_constantIbLb1EESX_IbLb0EEEEDaST_SU_EUlST_E_NS1_11comp_targetILNS1_3genE3ELNS1_11target_archE908ELNS1_3gpuE7ELNS1_3repE0EEENS1_30default_config_static_selectorELNS0_4arch9wavefront6targetE1EEEvT1_,"axG",@progbits,_ZN7rocprim17ROCPRIM_400000_NS6detail17trampoline_kernelINS0_14default_configENS1_29reduce_by_key_config_selectorIiiN6thrust23THRUST_200600_302600_NS4plusIiEEEEZZNS1_33reduce_by_key_impl_wrapped_configILNS1_25lookback_scan_determinismE0ES3_S9_NS6_10device_ptrIiEESD_SD_SD_PmS8_NS6_8equal_toIiEEEE10hipError_tPvRmT2_T3_mT4_T5_T6_T7_T8_P12ihipStream_tbENKUlT_T0_E_clISt17integral_constantIbLb1EESX_IbLb0EEEEDaST_SU_EUlST_E_NS1_11comp_targetILNS1_3genE3ELNS1_11target_archE908ELNS1_3gpuE7ELNS1_3repE0EEENS1_30default_config_static_selectorELNS0_4arch9wavefront6targetE1EEEvT1_,comdat
.Lfunc_end1115:
	.size	_ZN7rocprim17ROCPRIM_400000_NS6detail17trampoline_kernelINS0_14default_configENS1_29reduce_by_key_config_selectorIiiN6thrust23THRUST_200600_302600_NS4plusIiEEEEZZNS1_33reduce_by_key_impl_wrapped_configILNS1_25lookback_scan_determinismE0ES3_S9_NS6_10device_ptrIiEESD_SD_SD_PmS8_NS6_8equal_toIiEEEE10hipError_tPvRmT2_T3_mT4_T5_T6_T7_T8_P12ihipStream_tbENKUlT_T0_E_clISt17integral_constantIbLb1EESX_IbLb0EEEEDaST_SU_EUlST_E_NS1_11comp_targetILNS1_3genE3ELNS1_11target_archE908ELNS1_3gpuE7ELNS1_3repE0EEENS1_30default_config_static_selectorELNS0_4arch9wavefront6targetE1EEEvT1_, .Lfunc_end1115-_ZN7rocprim17ROCPRIM_400000_NS6detail17trampoline_kernelINS0_14default_configENS1_29reduce_by_key_config_selectorIiiN6thrust23THRUST_200600_302600_NS4plusIiEEEEZZNS1_33reduce_by_key_impl_wrapped_configILNS1_25lookback_scan_determinismE0ES3_S9_NS6_10device_ptrIiEESD_SD_SD_PmS8_NS6_8equal_toIiEEEE10hipError_tPvRmT2_T3_mT4_T5_T6_T7_T8_P12ihipStream_tbENKUlT_T0_E_clISt17integral_constantIbLb1EESX_IbLb0EEEEDaST_SU_EUlST_E_NS1_11comp_targetILNS1_3genE3ELNS1_11target_archE908ELNS1_3gpuE7ELNS1_3repE0EEENS1_30default_config_static_selectorELNS0_4arch9wavefront6targetE1EEEvT1_
                                        ; -- End function
	.section	.AMDGPU.csdata,"",@progbits
; Kernel info:
; codeLenInByte = 0
; NumSgprs: 4
; NumVgprs: 0
; NumAgprs: 0
; TotalNumVgprs: 0
; ScratchSize: 0
; MemoryBound: 0
; FloatMode: 240
; IeeeMode: 1
; LDSByteSize: 0 bytes/workgroup (compile time only)
; SGPRBlocks: 0
; VGPRBlocks: 0
; NumSGPRsForWavesPerEU: 4
; NumVGPRsForWavesPerEU: 1
; AccumOffset: 4
; Occupancy: 8
; WaveLimiterHint : 0
; COMPUTE_PGM_RSRC2:SCRATCH_EN: 0
; COMPUTE_PGM_RSRC2:USER_SGPR: 6
; COMPUTE_PGM_RSRC2:TRAP_HANDLER: 0
; COMPUTE_PGM_RSRC2:TGID_X_EN: 1
; COMPUTE_PGM_RSRC2:TGID_Y_EN: 0
; COMPUTE_PGM_RSRC2:TGID_Z_EN: 0
; COMPUTE_PGM_RSRC2:TIDIG_COMP_CNT: 0
; COMPUTE_PGM_RSRC3_GFX90A:ACCUM_OFFSET: 0
; COMPUTE_PGM_RSRC3_GFX90A:TG_SPLIT: 0
	.section	.text._ZN7rocprim17ROCPRIM_400000_NS6detail17trampoline_kernelINS0_14default_configENS1_29reduce_by_key_config_selectorIiiN6thrust23THRUST_200600_302600_NS4plusIiEEEEZZNS1_33reduce_by_key_impl_wrapped_configILNS1_25lookback_scan_determinismE0ES3_S9_NS6_10device_ptrIiEESD_SD_SD_PmS8_NS6_8equal_toIiEEEE10hipError_tPvRmT2_T3_mT4_T5_T6_T7_T8_P12ihipStream_tbENKUlT_T0_E_clISt17integral_constantIbLb1EESX_IbLb0EEEEDaST_SU_EUlST_E_NS1_11comp_targetILNS1_3genE2ELNS1_11target_archE906ELNS1_3gpuE6ELNS1_3repE0EEENS1_30default_config_static_selectorELNS0_4arch9wavefront6targetE1EEEvT1_,"axG",@progbits,_ZN7rocprim17ROCPRIM_400000_NS6detail17trampoline_kernelINS0_14default_configENS1_29reduce_by_key_config_selectorIiiN6thrust23THRUST_200600_302600_NS4plusIiEEEEZZNS1_33reduce_by_key_impl_wrapped_configILNS1_25lookback_scan_determinismE0ES3_S9_NS6_10device_ptrIiEESD_SD_SD_PmS8_NS6_8equal_toIiEEEE10hipError_tPvRmT2_T3_mT4_T5_T6_T7_T8_P12ihipStream_tbENKUlT_T0_E_clISt17integral_constantIbLb1EESX_IbLb0EEEEDaST_SU_EUlST_E_NS1_11comp_targetILNS1_3genE2ELNS1_11target_archE906ELNS1_3gpuE6ELNS1_3repE0EEENS1_30default_config_static_selectorELNS0_4arch9wavefront6targetE1EEEvT1_,comdat
	.protected	_ZN7rocprim17ROCPRIM_400000_NS6detail17trampoline_kernelINS0_14default_configENS1_29reduce_by_key_config_selectorIiiN6thrust23THRUST_200600_302600_NS4plusIiEEEEZZNS1_33reduce_by_key_impl_wrapped_configILNS1_25lookback_scan_determinismE0ES3_S9_NS6_10device_ptrIiEESD_SD_SD_PmS8_NS6_8equal_toIiEEEE10hipError_tPvRmT2_T3_mT4_T5_T6_T7_T8_P12ihipStream_tbENKUlT_T0_E_clISt17integral_constantIbLb1EESX_IbLb0EEEEDaST_SU_EUlST_E_NS1_11comp_targetILNS1_3genE2ELNS1_11target_archE906ELNS1_3gpuE6ELNS1_3repE0EEENS1_30default_config_static_selectorELNS0_4arch9wavefront6targetE1EEEvT1_ ; -- Begin function _ZN7rocprim17ROCPRIM_400000_NS6detail17trampoline_kernelINS0_14default_configENS1_29reduce_by_key_config_selectorIiiN6thrust23THRUST_200600_302600_NS4plusIiEEEEZZNS1_33reduce_by_key_impl_wrapped_configILNS1_25lookback_scan_determinismE0ES3_S9_NS6_10device_ptrIiEESD_SD_SD_PmS8_NS6_8equal_toIiEEEE10hipError_tPvRmT2_T3_mT4_T5_T6_T7_T8_P12ihipStream_tbENKUlT_T0_E_clISt17integral_constantIbLb1EESX_IbLb0EEEEDaST_SU_EUlST_E_NS1_11comp_targetILNS1_3genE2ELNS1_11target_archE906ELNS1_3gpuE6ELNS1_3repE0EEENS1_30default_config_static_selectorELNS0_4arch9wavefront6targetE1EEEvT1_
	.globl	_ZN7rocprim17ROCPRIM_400000_NS6detail17trampoline_kernelINS0_14default_configENS1_29reduce_by_key_config_selectorIiiN6thrust23THRUST_200600_302600_NS4plusIiEEEEZZNS1_33reduce_by_key_impl_wrapped_configILNS1_25lookback_scan_determinismE0ES3_S9_NS6_10device_ptrIiEESD_SD_SD_PmS8_NS6_8equal_toIiEEEE10hipError_tPvRmT2_T3_mT4_T5_T6_T7_T8_P12ihipStream_tbENKUlT_T0_E_clISt17integral_constantIbLb1EESX_IbLb0EEEEDaST_SU_EUlST_E_NS1_11comp_targetILNS1_3genE2ELNS1_11target_archE906ELNS1_3gpuE6ELNS1_3repE0EEENS1_30default_config_static_selectorELNS0_4arch9wavefront6targetE1EEEvT1_
	.p2align	8
	.type	_ZN7rocprim17ROCPRIM_400000_NS6detail17trampoline_kernelINS0_14default_configENS1_29reduce_by_key_config_selectorIiiN6thrust23THRUST_200600_302600_NS4plusIiEEEEZZNS1_33reduce_by_key_impl_wrapped_configILNS1_25lookback_scan_determinismE0ES3_S9_NS6_10device_ptrIiEESD_SD_SD_PmS8_NS6_8equal_toIiEEEE10hipError_tPvRmT2_T3_mT4_T5_T6_T7_T8_P12ihipStream_tbENKUlT_T0_E_clISt17integral_constantIbLb1EESX_IbLb0EEEEDaST_SU_EUlST_E_NS1_11comp_targetILNS1_3genE2ELNS1_11target_archE906ELNS1_3gpuE6ELNS1_3repE0EEENS1_30default_config_static_selectorELNS0_4arch9wavefront6targetE1EEEvT1_,@function
_ZN7rocprim17ROCPRIM_400000_NS6detail17trampoline_kernelINS0_14default_configENS1_29reduce_by_key_config_selectorIiiN6thrust23THRUST_200600_302600_NS4plusIiEEEEZZNS1_33reduce_by_key_impl_wrapped_configILNS1_25lookback_scan_determinismE0ES3_S9_NS6_10device_ptrIiEESD_SD_SD_PmS8_NS6_8equal_toIiEEEE10hipError_tPvRmT2_T3_mT4_T5_T6_T7_T8_P12ihipStream_tbENKUlT_T0_E_clISt17integral_constantIbLb1EESX_IbLb0EEEEDaST_SU_EUlST_E_NS1_11comp_targetILNS1_3genE2ELNS1_11target_archE906ELNS1_3gpuE6ELNS1_3repE0EEENS1_30default_config_static_selectorELNS0_4arch9wavefront6targetE1EEEvT1_: ; @_ZN7rocprim17ROCPRIM_400000_NS6detail17trampoline_kernelINS0_14default_configENS1_29reduce_by_key_config_selectorIiiN6thrust23THRUST_200600_302600_NS4plusIiEEEEZZNS1_33reduce_by_key_impl_wrapped_configILNS1_25lookback_scan_determinismE0ES3_S9_NS6_10device_ptrIiEESD_SD_SD_PmS8_NS6_8equal_toIiEEEE10hipError_tPvRmT2_T3_mT4_T5_T6_T7_T8_P12ihipStream_tbENKUlT_T0_E_clISt17integral_constantIbLb1EESX_IbLb0EEEEDaST_SU_EUlST_E_NS1_11comp_targetILNS1_3genE2ELNS1_11target_archE906ELNS1_3gpuE6ELNS1_3repE0EEENS1_30default_config_static_selectorELNS0_4arch9wavefront6targetE1EEEvT1_
; %bb.0:
	.section	.rodata,"a",@progbits
	.p2align	6, 0x0
	.amdhsa_kernel _ZN7rocprim17ROCPRIM_400000_NS6detail17trampoline_kernelINS0_14default_configENS1_29reduce_by_key_config_selectorIiiN6thrust23THRUST_200600_302600_NS4plusIiEEEEZZNS1_33reduce_by_key_impl_wrapped_configILNS1_25lookback_scan_determinismE0ES3_S9_NS6_10device_ptrIiEESD_SD_SD_PmS8_NS6_8equal_toIiEEEE10hipError_tPvRmT2_T3_mT4_T5_T6_T7_T8_P12ihipStream_tbENKUlT_T0_E_clISt17integral_constantIbLb1EESX_IbLb0EEEEDaST_SU_EUlST_E_NS1_11comp_targetILNS1_3genE2ELNS1_11target_archE906ELNS1_3gpuE6ELNS1_3repE0EEENS1_30default_config_static_selectorELNS0_4arch9wavefront6targetE1EEEvT1_
		.amdhsa_group_segment_fixed_size 0
		.amdhsa_private_segment_fixed_size 0
		.amdhsa_kernarg_size 120
		.amdhsa_user_sgpr_count 6
		.amdhsa_user_sgpr_private_segment_buffer 1
		.amdhsa_user_sgpr_dispatch_ptr 0
		.amdhsa_user_sgpr_queue_ptr 0
		.amdhsa_user_sgpr_kernarg_segment_ptr 1
		.amdhsa_user_sgpr_dispatch_id 0
		.amdhsa_user_sgpr_flat_scratch_init 0
		.amdhsa_user_sgpr_kernarg_preload_length 0
		.amdhsa_user_sgpr_kernarg_preload_offset 0
		.amdhsa_user_sgpr_private_segment_size 0
		.amdhsa_uses_dynamic_stack 0
		.amdhsa_system_sgpr_private_segment_wavefront_offset 0
		.amdhsa_system_sgpr_workgroup_id_x 1
		.amdhsa_system_sgpr_workgroup_id_y 0
		.amdhsa_system_sgpr_workgroup_id_z 0
		.amdhsa_system_sgpr_workgroup_info 0
		.amdhsa_system_vgpr_workitem_id 0
		.amdhsa_next_free_vgpr 1
		.amdhsa_next_free_sgpr 0
		.amdhsa_accum_offset 4
		.amdhsa_reserve_vcc 0
		.amdhsa_reserve_flat_scratch 0
		.amdhsa_float_round_mode_32 0
		.amdhsa_float_round_mode_16_64 0
		.amdhsa_float_denorm_mode_32 3
		.amdhsa_float_denorm_mode_16_64 3
		.amdhsa_dx10_clamp 1
		.amdhsa_ieee_mode 1
		.amdhsa_fp16_overflow 0
		.amdhsa_tg_split 0
		.amdhsa_exception_fp_ieee_invalid_op 0
		.amdhsa_exception_fp_denorm_src 0
		.amdhsa_exception_fp_ieee_div_zero 0
		.amdhsa_exception_fp_ieee_overflow 0
		.amdhsa_exception_fp_ieee_underflow 0
		.amdhsa_exception_fp_ieee_inexact 0
		.amdhsa_exception_int_div_zero 0
	.end_amdhsa_kernel
	.section	.text._ZN7rocprim17ROCPRIM_400000_NS6detail17trampoline_kernelINS0_14default_configENS1_29reduce_by_key_config_selectorIiiN6thrust23THRUST_200600_302600_NS4plusIiEEEEZZNS1_33reduce_by_key_impl_wrapped_configILNS1_25lookback_scan_determinismE0ES3_S9_NS6_10device_ptrIiEESD_SD_SD_PmS8_NS6_8equal_toIiEEEE10hipError_tPvRmT2_T3_mT4_T5_T6_T7_T8_P12ihipStream_tbENKUlT_T0_E_clISt17integral_constantIbLb1EESX_IbLb0EEEEDaST_SU_EUlST_E_NS1_11comp_targetILNS1_3genE2ELNS1_11target_archE906ELNS1_3gpuE6ELNS1_3repE0EEENS1_30default_config_static_selectorELNS0_4arch9wavefront6targetE1EEEvT1_,"axG",@progbits,_ZN7rocprim17ROCPRIM_400000_NS6detail17trampoline_kernelINS0_14default_configENS1_29reduce_by_key_config_selectorIiiN6thrust23THRUST_200600_302600_NS4plusIiEEEEZZNS1_33reduce_by_key_impl_wrapped_configILNS1_25lookback_scan_determinismE0ES3_S9_NS6_10device_ptrIiEESD_SD_SD_PmS8_NS6_8equal_toIiEEEE10hipError_tPvRmT2_T3_mT4_T5_T6_T7_T8_P12ihipStream_tbENKUlT_T0_E_clISt17integral_constantIbLb1EESX_IbLb0EEEEDaST_SU_EUlST_E_NS1_11comp_targetILNS1_3genE2ELNS1_11target_archE906ELNS1_3gpuE6ELNS1_3repE0EEENS1_30default_config_static_selectorELNS0_4arch9wavefront6targetE1EEEvT1_,comdat
.Lfunc_end1116:
	.size	_ZN7rocprim17ROCPRIM_400000_NS6detail17trampoline_kernelINS0_14default_configENS1_29reduce_by_key_config_selectorIiiN6thrust23THRUST_200600_302600_NS4plusIiEEEEZZNS1_33reduce_by_key_impl_wrapped_configILNS1_25lookback_scan_determinismE0ES3_S9_NS6_10device_ptrIiEESD_SD_SD_PmS8_NS6_8equal_toIiEEEE10hipError_tPvRmT2_T3_mT4_T5_T6_T7_T8_P12ihipStream_tbENKUlT_T0_E_clISt17integral_constantIbLb1EESX_IbLb0EEEEDaST_SU_EUlST_E_NS1_11comp_targetILNS1_3genE2ELNS1_11target_archE906ELNS1_3gpuE6ELNS1_3repE0EEENS1_30default_config_static_selectorELNS0_4arch9wavefront6targetE1EEEvT1_, .Lfunc_end1116-_ZN7rocprim17ROCPRIM_400000_NS6detail17trampoline_kernelINS0_14default_configENS1_29reduce_by_key_config_selectorIiiN6thrust23THRUST_200600_302600_NS4plusIiEEEEZZNS1_33reduce_by_key_impl_wrapped_configILNS1_25lookback_scan_determinismE0ES3_S9_NS6_10device_ptrIiEESD_SD_SD_PmS8_NS6_8equal_toIiEEEE10hipError_tPvRmT2_T3_mT4_T5_T6_T7_T8_P12ihipStream_tbENKUlT_T0_E_clISt17integral_constantIbLb1EESX_IbLb0EEEEDaST_SU_EUlST_E_NS1_11comp_targetILNS1_3genE2ELNS1_11target_archE906ELNS1_3gpuE6ELNS1_3repE0EEENS1_30default_config_static_selectorELNS0_4arch9wavefront6targetE1EEEvT1_
                                        ; -- End function
	.section	.AMDGPU.csdata,"",@progbits
; Kernel info:
; codeLenInByte = 0
; NumSgprs: 4
; NumVgprs: 0
; NumAgprs: 0
; TotalNumVgprs: 0
; ScratchSize: 0
; MemoryBound: 0
; FloatMode: 240
; IeeeMode: 1
; LDSByteSize: 0 bytes/workgroup (compile time only)
; SGPRBlocks: 0
; VGPRBlocks: 0
; NumSGPRsForWavesPerEU: 4
; NumVGPRsForWavesPerEU: 1
; AccumOffset: 4
; Occupancy: 8
; WaveLimiterHint : 0
; COMPUTE_PGM_RSRC2:SCRATCH_EN: 0
; COMPUTE_PGM_RSRC2:USER_SGPR: 6
; COMPUTE_PGM_RSRC2:TRAP_HANDLER: 0
; COMPUTE_PGM_RSRC2:TGID_X_EN: 1
; COMPUTE_PGM_RSRC2:TGID_Y_EN: 0
; COMPUTE_PGM_RSRC2:TGID_Z_EN: 0
; COMPUTE_PGM_RSRC2:TIDIG_COMP_CNT: 0
; COMPUTE_PGM_RSRC3_GFX90A:ACCUM_OFFSET: 0
; COMPUTE_PGM_RSRC3_GFX90A:TG_SPLIT: 0
	.section	.text._ZN7rocprim17ROCPRIM_400000_NS6detail17trampoline_kernelINS0_14default_configENS1_29reduce_by_key_config_selectorIiiN6thrust23THRUST_200600_302600_NS4plusIiEEEEZZNS1_33reduce_by_key_impl_wrapped_configILNS1_25lookback_scan_determinismE0ES3_S9_NS6_10device_ptrIiEESD_SD_SD_PmS8_NS6_8equal_toIiEEEE10hipError_tPvRmT2_T3_mT4_T5_T6_T7_T8_P12ihipStream_tbENKUlT_T0_E_clISt17integral_constantIbLb1EESX_IbLb0EEEEDaST_SU_EUlST_E_NS1_11comp_targetILNS1_3genE10ELNS1_11target_archE1201ELNS1_3gpuE5ELNS1_3repE0EEENS1_30default_config_static_selectorELNS0_4arch9wavefront6targetE1EEEvT1_,"axG",@progbits,_ZN7rocprim17ROCPRIM_400000_NS6detail17trampoline_kernelINS0_14default_configENS1_29reduce_by_key_config_selectorIiiN6thrust23THRUST_200600_302600_NS4plusIiEEEEZZNS1_33reduce_by_key_impl_wrapped_configILNS1_25lookback_scan_determinismE0ES3_S9_NS6_10device_ptrIiEESD_SD_SD_PmS8_NS6_8equal_toIiEEEE10hipError_tPvRmT2_T3_mT4_T5_T6_T7_T8_P12ihipStream_tbENKUlT_T0_E_clISt17integral_constantIbLb1EESX_IbLb0EEEEDaST_SU_EUlST_E_NS1_11comp_targetILNS1_3genE10ELNS1_11target_archE1201ELNS1_3gpuE5ELNS1_3repE0EEENS1_30default_config_static_selectorELNS0_4arch9wavefront6targetE1EEEvT1_,comdat
	.protected	_ZN7rocprim17ROCPRIM_400000_NS6detail17trampoline_kernelINS0_14default_configENS1_29reduce_by_key_config_selectorIiiN6thrust23THRUST_200600_302600_NS4plusIiEEEEZZNS1_33reduce_by_key_impl_wrapped_configILNS1_25lookback_scan_determinismE0ES3_S9_NS6_10device_ptrIiEESD_SD_SD_PmS8_NS6_8equal_toIiEEEE10hipError_tPvRmT2_T3_mT4_T5_T6_T7_T8_P12ihipStream_tbENKUlT_T0_E_clISt17integral_constantIbLb1EESX_IbLb0EEEEDaST_SU_EUlST_E_NS1_11comp_targetILNS1_3genE10ELNS1_11target_archE1201ELNS1_3gpuE5ELNS1_3repE0EEENS1_30default_config_static_selectorELNS0_4arch9wavefront6targetE1EEEvT1_ ; -- Begin function _ZN7rocprim17ROCPRIM_400000_NS6detail17trampoline_kernelINS0_14default_configENS1_29reduce_by_key_config_selectorIiiN6thrust23THRUST_200600_302600_NS4plusIiEEEEZZNS1_33reduce_by_key_impl_wrapped_configILNS1_25lookback_scan_determinismE0ES3_S9_NS6_10device_ptrIiEESD_SD_SD_PmS8_NS6_8equal_toIiEEEE10hipError_tPvRmT2_T3_mT4_T5_T6_T7_T8_P12ihipStream_tbENKUlT_T0_E_clISt17integral_constantIbLb1EESX_IbLb0EEEEDaST_SU_EUlST_E_NS1_11comp_targetILNS1_3genE10ELNS1_11target_archE1201ELNS1_3gpuE5ELNS1_3repE0EEENS1_30default_config_static_selectorELNS0_4arch9wavefront6targetE1EEEvT1_
	.globl	_ZN7rocprim17ROCPRIM_400000_NS6detail17trampoline_kernelINS0_14default_configENS1_29reduce_by_key_config_selectorIiiN6thrust23THRUST_200600_302600_NS4plusIiEEEEZZNS1_33reduce_by_key_impl_wrapped_configILNS1_25lookback_scan_determinismE0ES3_S9_NS6_10device_ptrIiEESD_SD_SD_PmS8_NS6_8equal_toIiEEEE10hipError_tPvRmT2_T3_mT4_T5_T6_T7_T8_P12ihipStream_tbENKUlT_T0_E_clISt17integral_constantIbLb1EESX_IbLb0EEEEDaST_SU_EUlST_E_NS1_11comp_targetILNS1_3genE10ELNS1_11target_archE1201ELNS1_3gpuE5ELNS1_3repE0EEENS1_30default_config_static_selectorELNS0_4arch9wavefront6targetE1EEEvT1_
	.p2align	8
	.type	_ZN7rocprim17ROCPRIM_400000_NS6detail17trampoline_kernelINS0_14default_configENS1_29reduce_by_key_config_selectorIiiN6thrust23THRUST_200600_302600_NS4plusIiEEEEZZNS1_33reduce_by_key_impl_wrapped_configILNS1_25lookback_scan_determinismE0ES3_S9_NS6_10device_ptrIiEESD_SD_SD_PmS8_NS6_8equal_toIiEEEE10hipError_tPvRmT2_T3_mT4_T5_T6_T7_T8_P12ihipStream_tbENKUlT_T0_E_clISt17integral_constantIbLb1EESX_IbLb0EEEEDaST_SU_EUlST_E_NS1_11comp_targetILNS1_3genE10ELNS1_11target_archE1201ELNS1_3gpuE5ELNS1_3repE0EEENS1_30default_config_static_selectorELNS0_4arch9wavefront6targetE1EEEvT1_,@function
_ZN7rocprim17ROCPRIM_400000_NS6detail17trampoline_kernelINS0_14default_configENS1_29reduce_by_key_config_selectorIiiN6thrust23THRUST_200600_302600_NS4plusIiEEEEZZNS1_33reduce_by_key_impl_wrapped_configILNS1_25lookback_scan_determinismE0ES3_S9_NS6_10device_ptrIiEESD_SD_SD_PmS8_NS6_8equal_toIiEEEE10hipError_tPvRmT2_T3_mT4_T5_T6_T7_T8_P12ihipStream_tbENKUlT_T0_E_clISt17integral_constantIbLb1EESX_IbLb0EEEEDaST_SU_EUlST_E_NS1_11comp_targetILNS1_3genE10ELNS1_11target_archE1201ELNS1_3gpuE5ELNS1_3repE0EEENS1_30default_config_static_selectorELNS0_4arch9wavefront6targetE1EEEvT1_: ; @_ZN7rocprim17ROCPRIM_400000_NS6detail17trampoline_kernelINS0_14default_configENS1_29reduce_by_key_config_selectorIiiN6thrust23THRUST_200600_302600_NS4plusIiEEEEZZNS1_33reduce_by_key_impl_wrapped_configILNS1_25lookback_scan_determinismE0ES3_S9_NS6_10device_ptrIiEESD_SD_SD_PmS8_NS6_8equal_toIiEEEE10hipError_tPvRmT2_T3_mT4_T5_T6_T7_T8_P12ihipStream_tbENKUlT_T0_E_clISt17integral_constantIbLb1EESX_IbLb0EEEEDaST_SU_EUlST_E_NS1_11comp_targetILNS1_3genE10ELNS1_11target_archE1201ELNS1_3gpuE5ELNS1_3repE0EEENS1_30default_config_static_selectorELNS0_4arch9wavefront6targetE1EEEvT1_
; %bb.0:
	.section	.rodata,"a",@progbits
	.p2align	6, 0x0
	.amdhsa_kernel _ZN7rocprim17ROCPRIM_400000_NS6detail17trampoline_kernelINS0_14default_configENS1_29reduce_by_key_config_selectorIiiN6thrust23THRUST_200600_302600_NS4plusIiEEEEZZNS1_33reduce_by_key_impl_wrapped_configILNS1_25lookback_scan_determinismE0ES3_S9_NS6_10device_ptrIiEESD_SD_SD_PmS8_NS6_8equal_toIiEEEE10hipError_tPvRmT2_T3_mT4_T5_T6_T7_T8_P12ihipStream_tbENKUlT_T0_E_clISt17integral_constantIbLb1EESX_IbLb0EEEEDaST_SU_EUlST_E_NS1_11comp_targetILNS1_3genE10ELNS1_11target_archE1201ELNS1_3gpuE5ELNS1_3repE0EEENS1_30default_config_static_selectorELNS0_4arch9wavefront6targetE1EEEvT1_
		.amdhsa_group_segment_fixed_size 0
		.amdhsa_private_segment_fixed_size 0
		.amdhsa_kernarg_size 120
		.amdhsa_user_sgpr_count 6
		.amdhsa_user_sgpr_private_segment_buffer 1
		.amdhsa_user_sgpr_dispatch_ptr 0
		.amdhsa_user_sgpr_queue_ptr 0
		.amdhsa_user_sgpr_kernarg_segment_ptr 1
		.amdhsa_user_sgpr_dispatch_id 0
		.amdhsa_user_sgpr_flat_scratch_init 0
		.amdhsa_user_sgpr_kernarg_preload_length 0
		.amdhsa_user_sgpr_kernarg_preload_offset 0
		.amdhsa_user_sgpr_private_segment_size 0
		.amdhsa_uses_dynamic_stack 0
		.amdhsa_system_sgpr_private_segment_wavefront_offset 0
		.amdhsa_system_sgpr_workgroup_id_x 1
		.amdhsa_system_sgpr_workgroup_id_y 0
		.amdhsa_system_sgpr_workgroup_id_z 0
		.amdhsa_system_sgpr_workgroup_info 0
		.amdhsa_system_vgpr_workitem_id 0
		.amdhsa_next_free_vgpr 1
		.amdhsa_next_free_sgpr 0
		.amdhsa_accum_offset 4
		.amdhsa_reserve_vcc 0
		.amdhsa_reserve_flat_scratch 0
		.amdhsa_float_round_mode_32 0
		.amdhsa_float_round_mode_16_64 0
		.amdhsa_float_denorm_mode_32 3
		.amdhsa_float_denorm_mode_16_64 3
		.amdhsa_dx10_clamp 1
		.amdhsa_ieee_mode 1
		.amdhsa_fp16_overflow 0
		.amdhsa_tg_split 0
		.amdhsa_exception_fp_ieee_invalid_op 0
		.amdhsa_exception_fp_denorm_src 0
		.amdhsa_exception_fp_ieee_div_zero 0
		.amdhsa_exception_fp_ieee_overflow 0
		.amdhsa_exception_fp_ieee_underflow 0
		.amdhsa_exception_fp_ieee_inexact 0
		.amdhsa_exception_int_div_zero 0
	.end_amdhsa_kernel
	.section	.text._ZN7rocprim17ROCPRIM_400000_NS6detail17trampoline_kernelINS0_14default_configENS1_29reduce_by_key_config_selectorIiiN6thrust23THRUST_200600_302600_NS4plusIiEEEEZZNS1_33reduce_by_key_impl_wrapped_configILNS1_25lookback_scan_determinismE0ES3_S9_NS6_10device_ptrIiEESD_SD_SD_PmS8_NS6_8equal_toIiEEEE10hipError_tPvRmT2_T3_mT4_T5_T6_T7_T8_P12ihipStream_tbENKUlT_T0_E_clISt17integral_constantIbLb1EESX_IbLb0EEEEDaST_SU_EUlST_E_NS1_11comp_targetILNS1_3genE10ELNS1_11target_archE1201ELNS1_3gpuE5ELNS1_3repE0EEENS1_30default_config_static_selectorELNS0_4arch9wavefront6targetE1EEEvT1_,"axG",@progbits,_ZN7rocprim17ROCPRIM_400000_NS6detail17trampoline_kernelINS0_14default_configENS1_29reduce_by_key_config_selectorIiiN6thrust23THRUST_200600_302600_NS4plusIiEEEEZZNS1_33reduce_by_key_impl_wrapped_configILNS1_25lookback_scan_determinismE0ES3_S9_NS6_10device_ptrIiEESD_SD_SD_PmS8_NS6_8equal_toIiEEEE10hipError_tPvRmT2_T3_mT4_T5_T6_T7_T8_P12ihipStream_tbENKUlT_T0_E_clISt17integral_constantIbLb1EESX_IbLb0EEEEDaST_SU_EUlST_E_NS1_11comp_targetILNS1_3genE10ELNS1_11target_archE1201ELNS1_3gpuE5ELNS1_3repE0EEENS1_30default_config_static_selectorELNS0_4arch9wavefront6targetE1EEEvT1_,comdat
.Lfunc_end1117:
	.size	_ZN7rocprim17ROCPRIM_400000_NS6detail17trampoline_kernelINS0_14default_configENS1_29reduce_by_key_config_selectorIiiN6thrust23THRUST_200600_302600_NS4plusIiEEEEZZNS1_33reduce_by_key_impl_wrapped_configILNS1_25lookback_scan_determinismE0ES3_S9_NS6_10device_ptrIiEESD_SD_SD_PmS8_NS6_8equal_toIiEEEE10hipError_tPvRmT2_T3_mT4_T5_T6_T7_T8_P12ihipStream_tbENKUlT_T0_E_clISt17integral_constantIbLb1EESX_IbLb0EEEEDaST_SU_EUlST_E_NS1_11comp_targetILNS1_3genE10ELNS1_11target_archE1201ELNS1_3gpuE5ELNS1_3repE0EEENS1_30default_config_static_selectorELNS0_4arch9wavefront6targetE1EEEvT1_, .Lfunc_end1117-_ZN7rocprim17ROCPRIM_400000_NS6detail17trampoline_kernelINS0_14default_configENS1_29reduce_by_key_config_selectorIiiN6thrust23THRUST_200600_302600_NS4plusIiEEEEZZNS1_33reduce_by_key_impl_wrapped_configILNS1_25lookback_scan_determinismE0ES3_S9_NS6_10device_ptrIiEESD_SD_SD_PmS8_NS6_8equal_toIiEEEE10hipError_tPvRmT2_T3_mT4_T5_T6_T7_T8_P12ihipStream_tbENKUlT_T0_E_clISt17integral_constantIbLb1EESX_IbLb0EEEEDaST_SU_EUlST_E_NS1_11comp_targetILNS1_3genE10ELNS1_11target_archE1201ELNS1_3gpuE5ELNS1_3repE0EEENS1_30default_config_static_selectorELNS0_4arch9wavefront6targetE1EEEvT1_
                                        ; -- End function
	.section	.AMDGPU.csdata,"",@progbits
; Kernel info:
; codeLenInByte = 0
; NumSgprs: 4
; NumVgprs: 0
; NumAgprs: 0
; TotalNumVgprs: 0
; ScratchSize: 0
; MemoryBound: 0
; FloatMode: 240
; IeeeMode: 1
; LDSByteSize: 0 bytes/workgroup (compile time only)
; SGPRBlocks: 0
; VGPRBlocks: 0
; NumSGPRsForWavesPerEU: 4
; NumVGPRsForWavesPerEU: 1
; AccumOffset: 4
; Occupancy: 8
; WaveLimiterHint : 0
; COMPUTE_PGM_RSRC2:SCRATCH_EN: 0
; COMPUTE_PGM_RSRC2:USER_SGPR: 6
; COMPUTE_PGM_RSRC2:TRAP_HANDLER: 0
; COMPUTE_PGM_RSRC2:TGID_X_EN: 1
; COMPUTE_PGM_RSRC2:TGID_Y_EN: 0
; COMPUTE_PGM_RSRC2:TGID_Z_EN: 0
; COMPUTE_PGM_RSRC2:TIDIG_COMP_CNT: 0
; COMPUTE_PGM_RSRC3_GFX90A:ACCUM_OFFSET: 0
; COMPUTE_PGM_RSRC3_GFX90A:TG_SPLIT: 0
	.section	.text._ZN7rocprim17ROCPRIM_400000_NS6detail17trampoline_kernelINS0_14default_configENS1_29reduce_by_key_config_selectorIiiN6thrust23THRUST_200600_302600_NS4plusIiEEEEZZNS1_33reduce_by_key_impl_wrapped_configILNS1_25lookback_scan_determinismE0ES3_S9_NS6_10device_ptrIiEESD_SD_SD_PmS8_NS6_8equal_toIiEEEE10hipError_tPvRmT2_T3_mT4_T5_T6_T7_T8_P12ihipStream_tbENKUlT_T0_E_clISt17integral_constantIbLb1EESX_IbLb0EEEEDaST_SU_EUlST_E_NS1_11comp_targetILNS1_3genE10ELNS1_11target_archE1200ELNS1_3gpuE4ELNS1_3repE0EEENS1_30default_config_static_selectorELNS0_4arch9wavefront6targetE1EEEvT1_,"axG",@progbits,_ZN7rocprim17ROCPRIM_400000_NS6detail17trampoline_kernelINS0_14default_configENS1_29reduce_by_key_config_selectorIiiN6thrust23THRUST_200600_302600_NS4plusIiEEEEZZNS1_33reduce_by_key_impl_wrapped_configILNS1_25lookback_scan_determinismE0ES3_S9_NS6_10device_ptrIiEESD_SD_SD_PmS8_NS6_8equal_toIiEEEE10hipError_tPvRmT2_T3_mT4_T5_T6_T7_T8_P12ihipStream_tbENKUlT_T0_E_clISt17integral_constantIbLb1EESX_IbLb0EEEEDaST_SU_EUlST_E_NS1_11comp_targetILNS1_3genE10ELNS1_11target_archE1200ELNS1_3gpuE4ELNS1_3repE0EEENS1_30default_config_static_selectorELNS0_4arch9wavefront6targetE1EEEvT1_,comdat
	.protected	_ZN7rocprim17ROCPRIM_400000_NS6detail17trampoline_kernelINS0_14default_configENS1_29reduce_by_key_config_selectorIiiN6thrust23THRUST_200600_302600_NS4plusIiEEEEZZNS1_33reduce_by_key_impl_wrapped_configILNS1_25lookback_scan_determinismE0ES3_S9_NS6_10device_ptrIiEESD_SD_SD_PmS8_NS6_8equal_toIiEEEE10hipError_tPvRmT2_T3_mT4_T5_T6_T7_T8_P12ihipStream_tbENKUlT_T0_E_clISt17integral_constantIbLb1EESX_IbLb0EEEEDaST_SU_EUlST_E_NS1_11comp_targetILNS1_3genE10ELNS1_11target_archE1200ELNS1_3gpuE4ELNS1_3repE0EEENS1_30default_config_static_selectorELNS0_4arch9wavefront6targetE1EEEvT1_ ; -- Begin function _ZN7rocprim17ROCPRIM_400000_NS6detail17trampoline_kernelINS0_14default_configENS1_29reduce_by_key_config_selectorIiiN6thrust23THRUST_200600_302600_NS4plusIiEEEEZZNS1_33reduce_by_key_impl_wrapped_configILNS1_25lookback_scan_determinismE0ES3_S9_NS6_10device_ptrIiEESD_SD_SD_PmS8_NS6_8equal_toIiEEEE10hipError_tPvRmT2_T3_mT4_T5_T6_T7_T8_P12ihipStream_tbENKUlT_T0_E_clISt17integral_constantIbLb1EESX_IbLb0EEEEDaST_SU_EUlST_E_NS1_11comp_targetILNS1_3genE10ELNS1_11target_archE1200ELNS1_3gpuE4ELNS1_3repE0EEENS1_30default_config_static_selectorELNS0_4arch9wavefront6targetE1EEEvT1_
	.globl	_ZN7rocprim17ROCPRIM_400000_NS6detail17trampoline_kernelINS0_14default_configENS1_29reduce_by_key_config_selectorIiiN6thrust23THRUST_200600_302600_NS4plusIiEEEEZZNS1_33reduce_by_key_impl_wrapped_configILNS1_25lookback_scan_determinismE0ES3_S9_NS6_10device_ptrIiEESD_SD_SD_PmS8_NS6_8equal_toIiEEEE10hipError_tPvRmT2_T3_mT4_T5_T6_T7_T8_P12ihipStream_tbENKUlT_T0_E_clISt17integral_constantIbLb1EESX_IbLb0EEEEDaST_SU_EUlST_E_NS1_11comp_targetILNS1_3genE10ELNS1_11target_archE1200ELNS1_3gpuE4ELNS1_3repE0EEENS1_30default_config_static_selectorELNS0_4arch9wavefront6targetE1EEEvT1_
	.p2align	8
	.type	_ZN7rocprim17ROCPRIM_400000_NS6detail17trampoline_kernelINS0_14default_configENS1_29reduce_by_key_config_selectorIiiN6thrust23THRUST_200600_302600_NS4plusIiEEEEZZNS1_33reduce_by_key_impl_wrapped_configILNS1_25lookback_scan_determinismE0ES3_S9_NS6_10device_ptrIiEESD_SD_SD_PmS8_NS6_8equal_toIiEEEE10hipError_tPvRmT2_T3_mT4_T5_T6_T7_T8_P12ihipStream_tbENKUlT_T0_E_clISt17integral_constantIbLb1EESX_IbLb0EEEEDaST_SU_EUlST_E_NS1_11comp_targetILNS1_3genE10ELNS1_11target_archE1200ELNS1_3gpuE4ELNS1_3repE0EEENS1_30default_config_static_selectorELNS0_4arch9wavefront6targetE1EEEvT1_,@function
_ZN7rocprim17ROCPRIM_400000_NS6detail17trampoline_kernelINS0_14default_configENS1_29reduce_by_key_config_selectorIiiN6thrust23THRUST_200600_302600_NS4plusIiEEEEZZNS1_33reduce_by_key_impl_wrapped_configILNS1_25lookback_scan_determinismE0ES3_S9_NS6_10device_ptrIiEESD_SD_SD_PmS8_NS6_8equal_toIiEEEE10hipError_tPvRmT2_T3_mT4_T5_T6_T7_T8_P12ihipStream_tbENKUlT_T0_E_clISt17integral_constantIbLb1EESX_IbLb0EEEEDaST_SU_EUlST_E_NS1_11comp_targetILNS1_3genE10ELNS1_11target_archE1200ELNS1_3gpuE4ELNS1_3repE0EEENS1_30default_config_static_selectorELNS0_4arch9wavefront6targetE1EEEvT1_: ; @_ZN7rocprim17ROCPRIM_400000_NS6detail17trampoline_kernelINS0_14default_configENS1_29reduce_by_key_config_selectorIiiN6thrust23THRUST_200600_302600_NS4plusIiEEEEZZNS1_33reduce_by_key_impl_wrapped_configILNS1_25lookback_scan_determinismE0ES3_S9_NS6_10device_ptrIiEESD_SD_SD_PmS8_NS6_8equal_toIiEEEE10hipError_tPvRmT2_T3_mT4_T5_T6_T7_T8_P12ihipStream_tbENKUlT_T0_E_clISt17integral_constantIbLb1EESX_IbLb0EEEEDaST_SU_EUlST_E_NS1_11comp_targetILNS1_3genE10ELNS1_11target_archE1200ELNS1_3gpuE4ELNS1_3repE0EEENS1_30default_config_static_selectorELNS0_4arch9wavefront6targetE1EEEvT1_
; %bb.0:
	.section	.rodata,"a",@progbits
	.p2align	6, 0x0
	.amdhsa_kernel _ZN7rocprim17ROCPRIM_400000_NS6detail17trampoline_kernelINS0_14default_configENS1_29reduce_by_key_config_selectorIiiN6thrust23THRUST_200600_302600_NS4plusIiEEEEZZNS1_33reduce_by_key_impl_wrapped_configILNS1_25lookback_scan_determinismE0ES3_S9_NS6_10device_ptrIiEESD_SD_SD_PmS8_NS6_8equal_toIiEEEE10hipError_tPvRmT2_T3_mT4_T5_T6_T7_T8_P12ihipStream_tbENKUlT_T0_E_clISt17integral_constantIbLb1EESX_IbLb0EEEEDaST_SU_EUlST_E_NS1_11comp_targetILNS1_3genE10ELNS1_11target_archE1200ELNS1_3gpuE4ELNS1_3repE0EEENS1_30default_config_static_selectorELNS0_4arch9wavefront6targetE1EEEvT1_
		.amdhsa_group_segment_fixed_size 0
		.amdhsa_private_segment_fixed_size 0
		.amdhsa_kernarg_size 120
		.amdhsa_user_sgpr_count 6
		.amdhsa_user_sgpr_private_segment_buffer 1
		.amdhsa_user_sgpr_dispatch_ptr 0
		.amdhsa_user_sgpr_queue_ptr 0
		.amdhsa_user_sgpr_kernarg_segment_ptr 1
		.amdhsa_user_sgpr_dispatch_id 0
		.amdhsa_user_sgpr_flat_scratch_init 0
		.amdhsa_user_sgpr_kernarg_preload_length 0
		.amdhsa_user_sgpr_kernarg_preload_offset 0
		.amdhsa_user_sgpr_private_segment_size 0
		.amdhsa_uses_dynamic_stack 0
		.amdhsa_system_sgpr_private_segment_wavefront_offset 0
		.amdhsa_system_sgpr_workgroup_id_x 1
		.amdhsa_system_sgpr_workgroup_id_y 0
		.amdhsa_system_sgpr_workgroup_id_z 0
		.amdhsa_system_sgpr_workgroup_info 0
		.amdhsa_system_vgpr_workitem_id 0
		.amdhsa_next_free_vgpr 1
		.amdhsa_next_free_sgpr 0
		.amdhsa_accum_offset 4
		.amdhsa_reserve_vcc 0
		.amdhsa_reserve_flat_scratch 0
		.amdhsa_float_round_mode_32 0
		.amdhsa_float_round_mode_16_64 0
		.amdhsa_float_denorm_mode_32 3
		.amdhsa_float_denorm_mode_16_64 3
		.amdhsa_dx10_clamp 1
		.amdhsa_ieee_mode 1
		.amdhsa_fp16_overflow 0
		.amdhsa_tg_split 0
		.amdhsa_exception_fp_ieee_invalid_op 0
		.amdhsa_exception_fp_denorm_src 0
		.amdhsa_exception_fp_ieee_div_zero 0
		.amdhsa_exception_fp_ieee_overflow 0
		.amdhsa_exception_fp_ieee_underflow 0
		.amdhsa_exception_fp_ieee_inexact 0
		.amdhsa_exception_int_div_zero 0
	.end_amdhsa_kernel
	.section	.text._ZN7rocprim17ROCPRIM_400000_NS6detail17trampoline_kernelINS0_14default_configENS1_29reduce_by_key_config_selectorIiiN6thrust23THRUST_200600_302600_NS4plusIiEEEEZZNS1_33reduce_by_key_impl_wrapped_configILNS1_25lookback_scan_determinismE0ES3_S9_NS6_10device_ptrIiEESD_SD_SD_PmS8_NS6_8equal_toIiEEEE10hipError_tPvRmT2_T3_mT4_T5_T6_T7_T8_P12ihipStream_tbENKUlT_T0_E_clISt17integral_constantIbLb1EESX_IbLb0EEEEDaST_SU_EUlST_E_NS1_11comp_targetILNS1_3genE10ELNS1_11target_archE1200ELNS1_3gpuE4ELNS1_3repE0EEENS1_30default_config_static_selectorELNS0_4arch9wavefront6targetE1EEEvT1_,"axG",@progbits,_ZN7rocprim17ROCPRIM_400000_NS6detail17trampoline_kernelINS0_14default_configENS1_29reduce_by_key_config_selectorIiiN6thrust23THRUST_200600_302600_NS4plusIiEEEEZZNS1_33reduce_by_key_impl_wrapped_configILNS1_25lookback_scan_determinismE0ES3_S9_NS6_10device_ptrIiEESD_SD_SD_PmS8_NS6_8equal_toIiEEEE10hipError_tPvRmT2_T3_mT4_T5_T6_T7_T8_P12ihipStream_tbENKUlT_T0_E_clISt17integral_constantIbLb1EESX_IbLb0EEEEDaST_SU_EUlST_E_NS1_11comp_targetILNS1_3genE10ELNS1_11target_archE1200ELNS1_3gpuE4ELNS1_3repE0EEENS1_30default_config_static_selectorELNS0_4arch9wavefront6targetE1EEEvT1_,comdat
.Lfunc_end1118:
	.size	_ZN7rocprim17ROCPRIM_400000_NS6detail17trampoline_kernelINS0_14default_configENS1_29reduce_by_key_config_selectorIiiN6thrust23THRUST_200600_302600_NS4plusIiEEEEZZNS1_33reduce_by_key_impl_wrapped_configILNS1_25lookback_scan_determinismE0ES3_S9_NS6_10device_ptrIiEESD_SD_SD_PmS8_NS6_8equal_toIiEEEE10hipError_tPvRmT2_T3_mT4_T5_T6_T7_T8_P12ihipStream_tbENKUlT_T0_E_clISt17integral_constantIbLb1EESX_IbLb0EEEEDaST_SU_EUlST_E_NS1_11comp_targetILNS1_3genE10ELNS1_11target_archE1200ELNS1_3gpuE4ELNS1_3repE0EEENS1_30default_config_static_selectorELNS0_4arch9wavefront6targetE1EEEvT1_, .Lfunc_end1118-_ZN7rocprim17ROCPRIM_400000_NS6detail17trampoline_kernelINS0_14default_configENS1_29reduce_by_key_config_selectorIiiN6thrust23THRUST_200600_302600_NS4plusIiEEEEZZNS1_33reduce_by_key_impl_wrapped_configILNS1_25lookback_scan_determinismE0ES3_S9_NS6_10device_ptrIiEESD_SD_SD_PmS8_NS6_8equal_toIiEEEE10hipError_tPvRmT2_T3_mT4_T5_T6_T7_T8_P12ihipStream_tbENKUlT_T0_E_clISt17integral_constantIbLb1EESX_IbLb0EEEEDaST_SU_EUlST_E_NS1_11comp_targetILNS1_3genE10ELNS1_11target_archE1200ELNS1_3gpuE4ELNS1_3repE0EEENS1_30default_config_static_selectorELNS0_4arch9wavefront6targetE1EEEvT1_
                                        ; -- End function
	.section	.AMDGPU.csdata,"",@progbits
; Kernel info:
; codeLenInByte = 0
; NumSgprs: 4
; NumVgprs: 0
; NumAgprs: 0
; TotalNumVgprs: 0
; ScratchSize: 0
; MemoryBound: 0
; FloatMode: 240
; IeeeMode: 1
; LDSByteSize: 0 bytes/workgroup (compile time only)
; SGPRBlocks: 0
; VGPRBlocks: 0
; NumSGPRsForWavesPerEU: 4
; NumVGPRsForWavesPerEU: 1
; AccumOffset: 4
; Occupancy: 8
; WaveLimiterHint : 0
; COMPUTE_PGM_RSRC2:SCRATCH_EN: 0
; COMPUTE_PGM_RSRC2:USER_SGPR: 6
; COMPUTE_PGM_RSRC2:TRAP_HANDLER: 0
; COMPUTE_PGM_RSRC2:TGID_X_EN: 1
; COMPUTE_PGM_RSRC2:TGID_Y_EN: 0
; COMPUTE_PGM_RSRC2:TGID_Z_EN: 0
; COMPUTE_PGM_RSRC2:TIDIG_COMP_CNT: 0
; COMPUTE_PGM_RSRC3_GFX90A:ACCUM_OFFSET: 0
; COMPUTE_PGM_RSRC3_GFX90A:TG_SPLIT: 0
	.section	.text._ZN7rocprim17ROCPRIM_400000_NS6detail17trampoline_kernelINS0_14default_configENS1_29reduce_by_key_config_selectorIiiN6thrust23THRUST_200600_302600_NS4plusIiEEEEZZNS1_33reduce_by_key_impl_wrapped_configILNS1_25lookback_scan_determinismE0ES3_S9_NS6_10device_ptrIiEESD_SD_SD_PmS8_NS6_8equal_toIiEEEE10hipError_tPvRmT2_T3_mT4_T5_T6_T7_T8_P12ihipStream_tbENKUlT_T0_E_clISt17integral_constantIbLb1EESX_IbLb0EEEEDaST_SU_EUlST_E_NS1_11comp_targetILNS1_3genE9ELNS1_11target_archE1100ELNS1_3gpuE3ELNS1_3repE0EEENS1_30default_config_static_selectorELNS0_4arch9wavefront6targetE1EEEvT1_,"axG",@progbits,_ZN7rocprim17ROCPRIM_400000_NS6detail17trampoline_kernelINS0_14default_configENS1_29reduce_by_key_config_selectorIiiN6thrust23THRUST_200600_302600_NS4plusIiEEEEZZNS1_33reduce_by_key_impl_wrapped_configILNS1_25lookback_scan_determinismE0ES3_S9_NS6_10device_ptrIiEESD_SD_SD_PmS8_NS6_8equal_toIiEEEE10hipError_tPvRmT2_T3_mT4_T5_T6_T7_T8_P12ihipStream_tbENKUlT_T0_E_clISt17integral_constantIbLb1EESX_IbLb0EEEEDaST_SU_EUlST_E_NS1_11comp_targetILNS1_3genE9ELNS1_11target_archE1100ELNS1_3gpuE3ELNS1_3repE0EEENS1_30default_config_static_selectorELNS0_4arch9wavefront6targetE1EEEvT1_,comdat
	.protected	_ZN7rocprim17ROCPRIM_400000_NS6detail17trampoline_kernelINS0_14default_configENS1_29reduce_by_key_config_selectorIiiN6thrust23THRUST_200600_302600_NS4plusIiEEEEZZNS1_33reduce_by_key_impl_wrapped_configILNS1_25lookback_scan_determinismE0ES3_S9_NS6_10device_ptrIiEESD_SD_SD_PmS8_NS6_8equal_toIiEEEE10hipError_tPvRmT2_T3_mT4_T5_T6_T7_T8_P12ihipStream_tbENKUlT_T0_E_clISt17integral_constantIbLb1EESX_IbLb0EEEEDaST_SU_EUlST_E_NS1_11comp_targetILNS1_3genE9ELNS1_11target_archE1100ELNS1_3gpuE3ELNS1_3repE0EEENS1_30default_config_static_selectorELNS0_4arch9wavefront6targetE1EEEvT1_ ; -- Begin function _ZN7rocprim17ROCPRIM_400000_NS6detail17trampoline_kernelINS0_14default_configENS1_29reduce_by_key_config_selectorIiiN6thrust23THRUST_200600_302600_NS4plusIiEEEEZZNS1_33reduce_by_key_impl_wrapped_configILNS1_25lookback_scan_determinismE0ES3_S9_NS6_10device_ptrIiEESD_SD_SD_PmS8_NS6_8equal_toIiEEEE10hipError_tPvRmT2_T3_mT4_T5_T6_T7_T8_P12ihipStream_tbENKUlT_T0_E_clISt17integral_constantIbLb1EESX_IbLb0EEEEDaST_SU_EUlST_E_NS1_11comp_targetILNS1_3genE9ELNS1_11target_archE1100ELNS1_3gpuE3ELNS1_3repE0EEENS1_30default_config_static_selectorELNS0_4arch9wavefront6targetE1EEEvT1_
	.globl	_ZN7rocprim17ROCPRIM_400000_NS6detail17trampoline_kernelINS0_14default_configENS1_29reduce_by_key_config_selectorIiiN6thrust23THRUST_200600_302600_NS4plusIiEEEEZZNS1_33reduce_by_key_impl_wrapped_configILNS1_25lookback_scan_determinismE0ES3_S9_NS6_10device_ptrIiEESD_SD_SD_PmS8_NS6_8equal_toIiEEEE10hipError_tPvRmT2_T3_mT4_T5_T6_T7_T8_P12ihipStream_tbENKUlT_T0_E_clISt17integral_constantIbLb1EESX_IbLb0EEEEDaST_SU_EUlST_E_NS1_11comp_targetILNS1_3genE9ELNS1_11target_archE1100ELNS1_3gpuE3ELNS1_3repE0EEENS1_30default_config_static_selectorELNS0_4arch9wavefront6targetE1EEEvT1_
	.p2align	8
	.type	_ZN7rocprim17ROCPRIM_400000_NS6detail17trampoline_kernelINS0_14default_configENS1_29reduce_by_key_config_selectorIiiN6thrust23THRUST_200600_302600_NS4plusIiEEEEZZNS1_33reduce_by_key_impl_wrapped_configILNS1_25lookback_scan_determinismE0ES3_S9_NS6_10device_ptrIiEESD_SD_SD_PmS8_NS6_8equal_toIiEEEE10hipError_tPvRmT2_T3_mT4_T5_T6_T7_T8_P12ihipStream_tbENKUlT_T0_E_clISt17integral_constantIbLb1EESX_IbLb0EEEEDaST_SU_EUlST_E_NS1_11comp_targetILNS1_3genE9ELNS1_11target_archE1100ELNS1_3gpuE3ELNS1_3repE0EEENS1_30default_config_static_selectorELNS0_4arch9wavefront6targetE1EEEvT1_,@function
_ZN7rocprim17ROCPRIM_400000_NS6detail17trampoline_kernelINS0_14default_configENS1_29reduce_by_key_config_selectorIiiN6thrust23THRUST_200600_302600_NS4plusIiEEEEZZNS1_33reduce_by_key_impl_wrapped_configILNS1_25lookback_scan_determinismE0ES3_S9_NS6_10device_ptrIiEESD_SD_SD_PmS8_NS6_8equal_toIiEEEE10hipError_tPvRmT2_T3_mT4_T5_T6_T7_T8_P12ihipStream_tbENKUlT_T0_E_clISt17integral_constantIbLb1EESX_IbLb0EEEEDaST_SU_EUlST_E_NS1_11comp_targetILNS1_3genE9ELNS1_11target_archE1100ELNS1_3gpuE3ELNS1_3repE0EEENS1_30default_config_static_selectorELNS0_4arch9wavefront6targetE1EEEvT1_: ; @_ZN7rocprim17ROCPRIM_400000_NS6detail17trampoline_kernelINS0_14default_configENS1_29reduce_by_key_config_selectorIiiN6thrust23THRUST_200600_302600_NS4plusIiEEEEZZNS1_33reduce_by_key_impl_wrapped_configILNS1_25lookback_scan_determinismE0ES3_S9_NS6_10device_ptrIiEESD_SD_SD_PmS8_NS6_8equal_toIiEEEE10hipError_tPvRmT2_T3_mT4_T5_T6_T7_T8_P12ihipStream_tbENKUlT_T0_E_clISt17integral_constantIbLb1EESX_IbLb0EEEEDaST_SU_EUlST_E_NS1_11comp_targetILNS1_3genE9ELNS1_11target_archE1100ELNS1_3gpuE3ELNS1_3repE0EEENS1_30default_config_static_selectorELNS0_4arch9wavefront6targetE1EEEvT1_
; %bb.0:
	.section	.rodata,"a",@progbits
	.p2align	6, 0x0
	.amdhsa_kernel _ZN7rocprim17ROCPRIM_400000_NS6detail17trampoline_kernelINS0_14default_configENS1_29reduce_by_key_config_selectorIiiN6thrust23THRUST_200600_302600_NS4plusIiEEEEZZNS1_33reduce_by_key_impl_wrapped_configILNS1_25lookback_scan_determinismE0ES3_S9_NS6_10device_ptrIiEESD_SD_SD_PmS8_NS6_8equal_toIiEEEE10hipError_tPvRmT2_T3_mT4_T5_T6_T7_T8_P12ihipStream_tbENKUlT_T0_E_clISt17integral_constantIbLb1EESX_IbLb0EEEEDaST_SU_EUlST_E_NS1_11comp_targetILNS1_3genE9ELNS1_11target_archE1100ELNS1_3gpuE3ELNS1_3repE0EEENS1_30default_config_static_selectorELNS0_4arch9wavefront6targetE1EEEvT1_
		.amdhsa_group_segment_fixed_size 0
		.amdhsa_private_segment_fixed_size 0
		.amdhsa_kernarg_size 120
		.amdhsa_user_sgpr_count 6
		.amdhsa_user_sgpr_private_segment_buffer 1
		.amdhsa_user_sgpr_dispatch_ptr 0
		.amdhsa_user_sgpr_queue_ptr 0
		.amdhsa_user_sgpr_kernarg_segment_ptr 1
		.amdhsa_user_sgpr_dispatch_id 0
		.amdhsa_user_sgpr_flat_scratch_init 0
		.amdhsa_user_sgpr_kernarg_preload_length 0
		.amdhsa_user_sgpr_kernarg_preload_offset 0
		.amdhsa_user_sgpr_private_segment_size 0
		.amdhsa_uses_dynamic_stack 0
		.amdhsa_system_sgpr_private_segment_wavefront_offset 0
		.amdhsa_system_sgpr_workgroup_id_x 1
		.amdhsa_system_sgpr_workgroup_id_y 0
		.amdhsa_system_sgpr_workgroup_id_z 0
		.amdhsa_system_sgpr_workgroup_info 0
		.amdhsa_system_vgpr_workitem_id 0
		.amdhsa_next_free_vgpr 1
		.amdhsa_next_free_sgpr 0
		.amdhsa_accum_offset 4
		.amdhsa_reserve_vcc 0
		.amdhsa_reserve_flat_scratch 0
		.amdhsa_float_round_mode_32 0
		.amdhsa_float_round_mode_16_64 0
		.amdhsa_float_denorm_mode_32 3
		.amdhsa_float_denorm_mode_16_64 3
		.amdhsa_dx10_clamp 1
		.amdhsa_ieee_mode 1
		.amdhsa_fp16_overflow 0
		.amdhsa_tg_split 0
		.amdhsa_exception_fp_ieee_invalid_op 0
		.amdhsa_exception_fp_denorm_src 0
		.amdhsa_exception_fp_ieee_div_zero 0
		.amdhsa_exception_fp_ieee_overflow 0
		.amdhsa_exception_fp_ieee_underflow 0
		.amdhsa_exception_fp_ieee_inexact 0
		.amdhsa_exception_int_div_zero 0
	.end_amdhsa_kernel
	.section	.text._ZN7rocprim17ROCPRIM_400000_NS6detail17trampoline_kernelINS0_14default_configENS1_29reduce_by_key_config_selectorIiiN6thrust23THRUST_200600_302600_NS4plusIiEEEEZZNS1_33reduce_by_key_impl_wrapped_configILNS1_25lookback_scan_determinismE0ES3_S9_NS6_10device_ptrIiEESD_SD_SD_PmS8_NS6_8equal_toIiEEEE10hipError_tPvRmT2_T3_mT4_T5_T6_T7_T8_P12ihipStream_tbENKUlT_T0_E_clISt17integral_constantIbLb1EESX_IbLb0EEEEDaST_SU_EUlST_E_NS1_11comp_targetILNS1_3genE9ELNS1_11target_archE1100ELNS1_3gpuE3ELNS1_3repE0EEENS1_30default_config_static_selectorELNS0_4arch9wavefront6targetE1EEEvT1_,"axG",@progbits,_ZN7rocprim17ROCPRIM_400000_NS6detail17trampoline_kernelINS0_14default_configENS1_29reduce_by_key_config_selectorIiiN6thrust23THRUST_200600_302600_NS4plusIiEEEEZZNS1_33reduce_by_key_impl_wrapped_configILNS1_25lookback_scan_determinismE0ES3_S9_NS6_10device_ptrIiEESD_SD_SD_PmS8_NS6_8equal_toIiEEEE10hipError_tPvRmT2_T3_mT4_T5_T6_T7_T8_P12ihipStream_tbENKUlT_T0_E_clISt17integral_constantIbLb1EESX_IbLb0EEEEDaST_SU_EUlST_E_NS1_11comp_targetILNS1_3genE9ELNS1_11target_archE1100ELNS1_3gpuE3ELNS1_3repE0EEENS1_30default_config_static_selectorELNS0_4arch9wavefront6targetE1EEEvT1_,comdat
.Lfunc_end1119:
	.size	_ZN7rocprim17ROCPRIM_400000_NS6detail17trampoline_kernelINS0_14default_configENS1_29reduce_by_key_config_selectorIiiN6thrust23THRUST_200600_302600_NS4plusIiEEEEZZNS1_33reduce_by_key_impl_wrapped_configILNS1_25lookback_scan_determinismE0ES3_S9_NS6_10device_ptrIiEESD_SD_SD_PmS8_NS6_8equal_toIiEEEE10hipError_tPvRmT2_T3_mT4_T5_T6_T7_T8_P12ihipStream_tbENKUlT_T0_E_clISt17integral_constantIbLb1EESX_IbLb0EEEEDaST_SU_EUlST_E_NS1_11comp_targetILNS1_3genE9ELNS1_11target_archE1100ELNS1_3gpuE3ELNS1_3repE0EEENS1_30default_config_static_selectorELNS0_4arch9wavefront6targetE1EEEvT1_, .Lfunc_end1119-_ZN7rocprim17ROCPRIM_400000_NS6detail17trampoline_kernelINS0_14default_configENS1_29reduce_by_key_config_selectorIiiN6thrust23THRUST_200600_302600_NS4plusIiEEEEZZNS1_33reduce_by_key_impl_wrapped_configILNS1_25lookback_scan_determinismE0ES3_S9_NS6_10device_ptrIiEESD_SD_SD_PmS8_NS6_8equal_toIiEEEE10hipError_tPvRmT2_T3_mT4_T5_T6_T7_T8_P12ihipStream_tbENKUlT_T0_E_clISt17integral_constantIbLb1EESX_IbLb0EEEEDaST_SU_EUlST_E_NS1_11comp_targetILNS1_3genE9ELNS1_11target_archE1100ELNS1_3gpuE3ELNS1_3repE0EEENS1_30default_config_static_selectorELNS0_4arch9wavefront6targetE1EEEvT1_
                                        ; -- End function
	.section	.AMDGPU.csdata,"",@progbits
; Kernel info:
; codeLenInByte = 0
; NumSgprs: 4
; NumVgprs: 0
; NumAgprs: 0
; TotalNumVgprs: 0
; ScratchSize: 0
; MemoryBound: 0
; FloatMode: 240
; IeeeMode: 1
; LDSByteSize: 0 bytes/workgroup (compile time only)
; SGPRBlocks: 0
; VGPRBlocks: 0
; NumSGPRsForWavesPerEU: 4
; NumVGPRsForWavesPerEU: 1
; AccumOffset: 4
; Occupancy: 8
; WaveLimiterHint : 0
; COMPUTE_PGM_RSRC2:SCRATCH_EN: 0
; COMPUTE_PGM_RSRC2:USER_SGPR: 6
; COMPUTE_PGM_RSRC2:TRAP_HANDLER: 0
; COMPUTE_PGM_RSRC2:TGID_X_EN: 1
; COMPUTE_PGM_RSRC2:TGID_Y_EN: 0
; COMPUTE_PGM_RSRC2:TGID_Z_EN: 0
; COMPUTE_PGM_RSRC2:TIDIG_COMP_CNT: 0
; COMPUTE_PGM_RSRC3_GFX90A:ACCUM_OFFSET: 0
; COMPUTE_PGM_RSRC3_GFX90A:TG_SPLIT: 0
	.section	.text._ZN7rocprim17ROCPRIM_400000_NS6detail17trampoline_kernelINS0_14default_configENS1_29reduce_by_key_config_selectorIiiN6thrust23THRUST_200600_302600_NS4plusIiEEEEZZNS1_33reduce_by_key_impl_wrapped_configILNS1_25lookback_scan_determinismE0ES3_S9_NS6_10device_ptrIiEESD_SD_SD_PmS8_NS6_8equal_toIiEEEE10hipError_tPvRmT2_T3_mT4_T5_T6_T7_T8_P12ihipStream_tbENKUlT_T0_E_clISt17integral_constantIbLb1EESX_IbLb0EEEEDaST_SU_EUlST_E_NS1_11comp_targetILNS1_3genE8ELNS1_11target_archE1030ELNS1_3gpuE2ELNS1_3repE0EEENS1_30default_config_static_selectorELNS0_4arch9wavefront6targetE1EEEvT1_,"axG",@progbits,_ZN7rocprim17ROCPRIM_400000_NS6detail17trampoline_kernelINS0_14default_configENS1_29reduce_by_key_config_selectorIiiN6thrust23THRUST_200600_302600_NS4plusIiEEEEZZNS1_33reduce_by_key_impl_wrapped_configILNS1_25lookback_scan_determinismE0ES3_S9_NS6_10device_ptrIiEESD_SD_SD_PmS8_NS6_8equal_toIiEEEE10hipError_tPvRmT2_T3_mT4_T5_T6_T7_T8_P12ihipStream_tbENKUlT_T0_E_clISt17integral_constantIbLb1EESX_IbLb0EEEEDaST_SU_EUlST_E_NS1_11comp_targetILNS1_3genE8ELNS1_11target_archE1030ELNS1_3gpuE2ELNS1_3repE0EEENS1_30default_config_static_selectorELNS0_4arch9wavefront6targetE1EEEvT1_,comdat
	.protected	_ZN7rocprim17ROCPRIM_400000_NS6detail17trampoline_kernelINS0_14default_configENS1_29reduce_by_key_config_selectorIiiN6thrust23THRUST_200600_302600_NS4plusIiEEEEZZNS1_33reduce_by_key_impl_wrapped_configILNS1_25lookback_scan_determinismE0ES3_S9_NS6_10device_ptrIiEESD_SD_SD_PmS8_NS6_8equal_toIiEEEE10hipError_tPvRmT2_T3_mT4_T5_T6_T7_T8_P12ihipStream_tbENKUlT_T0_E_clISt17integral_constantIbLb1EESX_IbLb0EEEEDaST_SU_EUlST_E_NS1_11comp_targetILNS1_3genE8ELNS1_11target_archE1030ELNS1_3gpuE2ELNS1_3repE0EEENS1_30default_config_static_selectorELNS0_4arch9wavefront6targetE1EEEvT1_ ; -- Begin function _ZN7rocprim17ROCPRIM_400000_NS6detail17trampoline_kernelINS0_14default_configENS1_29reduce_by_key_config_selectorIiiN6thrust23THRUST_200600_302600_NS4plusIiEEEEZZNS1_33reduce_by_key_impl_wrapped_configILNS1_25lookback_scan_determinismE0ES3_S9_NS6_10device_ptrIiEESD_SD_SD_PmS8_NS6_8equal_toIiEEEE10hipError_tPvRmT2_T3_mT4_T5_T6_T7_T8_P12ihipStream_tbENKUlT_T0_E_clISt17integral_constantIbLb1EESX_IbLb0EEEEDaST_SU_EUlST_E_NS1_11comp_targetILNS1_3genE8ELNS1_11target_archE1030ELNS1_3gpuE2ELNS1_3repE0EEENS1_30default_config_static_selectorELNS0_4arch9wavefront6targetE1EEEvT1_
	.globl	_ZN7rocprim17ROCPRIM_400000_NS6detail17trampoline_kernelINS0_14default_configENS1_29reduce_by_key_config_selectorIiiN6thrust23THRUST_200600_302600_NS4plusIiEEEEZZNS1_33reduce_by_key_impl_wrapped_configILNS1_25lookback_scan_determinismE0ES3_S9_NS6_10device_ptrIiEESD_SD_SD_PmS8_NS6_8equal_toIiEEEE10hipError_tPvRmT2_T3_mT4_T5_T6_T7_T8_P12ihipStream_tbENKUlT_T0_E_clISt17integral_constantIbLb1EESX_IbLb0EEEEDaST_SU_EUlST_E_NS1_11comp_targetILNS1_3genE8ELNS1_11target_archE1030ELNS1_3gpuE2ELNS1_3repE0EEENS1_30default_config_static_selectorELNS0_4arch9wavefront6targetE1EEEvT1_
	.p2align	8
	.type	_ZN7rocprim17ROCPRIM_400000_NS6detail17trampoline_kernelINS0_14default_configENS1_29reduce_by_key_config_selectorIiiN6thrust23THRUST_200600_302600_NS4plusIiEEEEZZNS1_33reduce_by_key_impl_wrapped_configILNS1_25lookback_scan_determinismE0ES3_S9_NS6_10device_ptrIiEESD_SD_SD_PmS8_NS6_8equal_toIiEEEE10hipError_tPvRmT2_T3_mT4_T5_T6_T7_T8_P12ihipStream_tbENKUlT_T0_E_clISt17integral_constantIbLb1EESX_IbLb0EEEEDaST_SU_EUlST_E_NS1_11comp_targetILNS1_3genE8ELNS1_11target_archE1030ELNS1_3gpuE2ELNS1_3repE0EEENS1_30default_config_static_selectorELNS0_4arch9wavefront6targetE1EEEvT1_,@function
_ZN7rocprim17ROCPRIM_400000_NS6detail17trampoline_kernelINS0_14default_configENS1_29reduce_by_key_config_selectorIiiN6thrust23THRUST_200600_302600_NS4plusIiEEEEZZNS1_33reduce_by_key_impl_wrapped_configILNS1_25lookback_scan_determinismE0ES3_S9_NS6_10device_ptrIiEESD_SD_SD_PmS8_NS6_8equal_toIiEEEE10hipError_tPvRmT2_T3_mT4_T5_T6_T7_T8_P12ihipStream_tbENKUlT_T0_E_clISt17integral_constantIbLb1EESX_IbLb0EEEEDaST_SU_EUlST_E_NS1_11comp_targetILNS1_3genE8ELNS1_11target_archE1030ELNS1_3gpuE2ELNS1_3repE0EEENS1_30default_config_static_selectorELNS0_4arch9wavefront6targetE1EEEvT1_: ; @_ZN7rocprim17ROCPRIM_400000_NS6detail17trampoline_kernelINS0_14default_configENS1_29reduce_by_key_config_selectorIiiN6thrust23THRUST_200600_302600_NS4plusIiEEEEZZNS1_33reduce_by_key_impl_wrapped_configILNS1_25lookback_scan_determinismE0ES3_S9_NS6_10device_ptrIiEESD_SD_SD_PmS8_NS6_8equal_toIiEEEE10hipError_tPvRmT2_T3_mT4_T5_T6_T7_T8_P12ihipStream_tbENKUlT_T0_E_clISt17integral_constantIbLb1EESX_IbLb0EEEEDaST_SU_EUlST_E_NS1_11comp_targetILNS1_3genE8ELNS1_11target_archE1030ELNS1_3gpuE2ELNS1_3repE0EEENS1_30default_config_static_selectorELNS0_4arch9wavefront6targetE1EEEvT1_
; %bb.0:
	.section	.rodata,"a",@progbits
	.p2align	6, 0x0
	.amdhsa_kernel _ZN7rocprim17ROCPRIM_400000_NS6detail17trampoline_kernelINS0_14default_configENS1_29reduce_by_key_config_selectorIiiN6thrust23THRUST_200600_302600_NS4plusIiEEEEZZNS1_33reduce_by_key_impl_wrapped_configILNS1_25lookback_scan_determinismE0ES3_S9_NS6_10device_ptrIiEESD_SD_SD_PmS8_NS6_8equal_toIiEEEE10hipError_tPvRmT2_T3_mT4_T5_T6_T7_T8_P12ihipStream_tbENKUlT_T0_E_clISt17integral_constantIbLb1EESX_IbLb0EEEEDaST_SU_EUlST_E_NS1_11comp_targetILNS1_3genE8ELNS1_11target_archE1030ELNS1_3gpuE2ELNS1_3repE0EEENS1_30default_config_static_selectorELNS0_4arch9wavefront6targetE1EEEvT1_
		.amdhsa_group_segment_fixed_size 0
		.amdhsa_private_segment_fixed_size 0
		.amdhsa_kernarg_size 120
		.amdhsa_user_sgpr_count 6
		.amdhsa_user_sgpr_private_segment_buffer 1
		.amdhsa_user_sgpr_dispatch_ptr 0
		.amdhsa_user_sgpr_queue_ptr 0
		.amdhsa_user_sgpr_kernarg_segment_ptr 1
		.amdhsa_user_sgpr_dispatch_id 0
		.amdhsa_user_sgpr_flat_scratch_init 0
		.amdhsa_user_sgpr_kernarg_preload_length 0
		.amdhsa_user_sgpr_kernarg_preload_offset 0
		.amdhsa_user_sgpr_private_segment_size 0
		.amdhsa_uses_dynamic_stack 0
		.amdhsa_system_sgpr_private_segment_wavefront_offset 0
		.amdhsa_system_sgpr_workgroup_id_x 1
		.amdhsa_system_sgpr_workgroup_id_y 0
		.amdhsa_system_sgpr_workgroup_id_z 0
		.amdhsa_system_sgpr_workgroup_info 0
		.amdhsa_system_vgpr_workitem_id 0
		.amdhsa_next_free_vgpr 1
		.amdhsa_next_free_sgpr 0
		.amdhsa_accum_offset 4
		.amdhsa_reserve_vcc 0
		.amdhsa_reserve_flat_scratch 0
		.amdhsa_float_round_mode_32 0
		.amdhsa_float_round_mode_16_64 0
		.amdhsa_float_denorm_mode_32 3
		.amdhsa_float_denorm_mode_16_64 3
		.amdhsa_dx10_clamp 1
		.amdhsa_ieee_mode 1
		.amdhsa_fp16_overflow 0
		.amdhsa_tg_split 0
		.amdhsa_exception_fp_ieee_invalid_op 0
		.amdhsa_exception_fp_denorm_src 0
		.amdhsa_exception_fp_ieee_div_zero 0
		.amdhsa_exception_fp_ieee_overflow 0
		.amdhsa_exception_fp_ieee_underflow 0
		.amdhsa_exception_fp_ieee_inexact 0
		.amdhsa_exception_int_div_zero 0
	.end_amdhsa_kernel
	.section	.text._ZN7rocprim17ROCPRIM_400000_NS6detail17trampoline_kernelINS0_14default_configENS1_29reduce_by_key_config_selectorIiiN6thrust23THRUST_200600_302600_NS4plusIiEEEEZZNS1_33reduce_by_key_impl_wrapped_configILNS1_25lookback_scan_determinismE0ES3_S9_NS6_10device_ptrIiEESD_SD_SD_PmS8_NS6_8equal_toIiEEEE10hipError_tPvRmT2_T3_mT4_T5_T6_T7_T8_P12ihipStream_tbENKUlT_T0_E_clISt17integral_constantIbLb1EESX_IbLb0EEEEDaST_SU_EUlST_E_NS1_11comp_targetILNS1_3genE8ELNS1_11target_archE1030ELNS1_3gpuE2ELNS1_3repE0EEENS1_30default_config_static_selectorELNS0_4arch9wavefront6targetE1EEEvT1_,"axG",@progbits,_ZN7rocprim17ROCPRIM_400000_NS6detail17trampoline_kernelINS0_14default_configENS1_29reduce_by_key_config_selectorIiiN6thrust23THRUST_200600_302600_NS4plusIiEEEEZZNS1_33reduce_by_key_impl_wrapped_configILNS1_25lookback_scan_determinismE0ES3_S9_NS6_10device_ptrIiEESD_SD_SD_PmS8_NS6_8equal_toIiEEEE10hipError_tPvRmT2_T3_mT4_T5_T6_T7_T8_P12ihipStream_tbENKUlT_T0_E_clISt17integral_constantIbLb1EESX_IbLb0EEEEDaST_SU_EUlST_E_NS1_11comp_targetILNS1_3genE8ELNS1_11target_archE1030ELNS1_3gpuE2ELNS1_3repE0EEENS1_30default_config_static_selectorELNS0_4arch9wavefront6targetE1EEEvT1_,comdat
.Lfunc_end1120:
	.size	_ZN7rocprim17ROCPRIM_400000_NS6detail17trampoline_kernelINS0_14default_configENS1_29reduce_by_key_config_selectorIiiN6thrust23THRUST_200600_302600_NS4plusIiEEEEZZNS1_33reduce_by_key_impl_wrapped_configILNS1_25lookback_scan_determinismE0ES3_S9_NS6_10device_ptrIiEESD_SD_SD_PmS8_NS6_8equal_toIiEEEE10hipError_tPvRmT2_T3_mT4_T5_T6_T7_T8_P12ihipStream_tbENKUlT_T0_E_clISt17integral_constantIbLb1EESX_IbLb0EEEEDaST_SU_EUlST_E_NS1_11comp_targetILNS1_3genE8ELNS1_11target_archE1030ELNS1_3gpuE2ELNS1_3repE0EEENS1_30default_config_static_selectorELNS0_4arch9wavefront6targetE1EEEvT1_, .Lfunc_end1120-_ZN7rocprim17ROCPRIM_400000_NS6detail17trampoline_kernelINS0_14default_configENS1_29reduce_by_key_config_selectorIiiN6thrust23THRUST_200600_302600_NS4plusIiEEEEZZNS1_33reduce_by_key_impl_wrapped_configILNS1_25lookback_scan_determinismE0ES3_S9_NS6_10device_ptrIiEESD_SD_SD_PmS8_NS6_8equal_toIiEEEE10hipError_tPvRmT2_T3_mT4_T5_T6_T7_T8_P12ihipStream_tbENKUlT_T0_E_clISt17integral_constantIbLb1EESX_IbLb0EEEEDaST_SU_EUlST_E_NS1_11comp_targetILNS1_3genE8ELNS1_11target_archE1030ELNS1_3gpuE2ELNS1_3repE0EEENS1_30default_config_static_selectorELNS0_4arch9wavefront6targetE1EEEvT1_
                                        ; -- End function
	.section	.AMDGPU.csdata,"",@progbits
; Kernel info:
; codeLenInByte = 0
; NumSgprs: 4
; NumVgprs: 0
; NumAgprs: 0
; TotalNumVgprs: 0
; ScratchSize: 0
; MemoryBound: 0
; FloatMode: 240
; IeeeMode: 1
; LDSByteSize: 0 bytes/workgroup (compile time only)
; SGPRBlocks: 0
; VGPRBlocks: 0
; NumSGPRsForWavesPerEU: 4
; NumVGPRsForWavesPerEU: 1
; AccumOffset: 4
; Occupancy: 8
; WaveLimiterHint : 0
; COMPUTE_PGM_RSRC2:SCRATCH_EN: 0
; COMPUTE_PGM_RSRC2:USER_SGPR: 6
; COMPUTE_PGM_RSRC2:TRAP_HANDLER: 0
; COMPUTE_PGM_RSRC2:TGID_X_EN: 1
; COMPUTE_PGM_RSRC2:TGID_Y_EN: 0
; COMPUTE_PGM_RSRC2:TGID_Z_EN: 0
; COMPUTE_PGM_RSRC2:TIDIG_COMP_CNT: 0
; COMPUTE_PGM_RSRC3_GFX90A:ACCUM_OFFSET: 0
; COMPUTE_PGM_RSRC3_GFX90A:TG_SPLIT: 0
	.section	.text._ZN7rocprim17ROCPRIM_400000_NS6detail17trampoline_kernelINS0_14default_configENS1_29reduce_by_key_config_selectorIiiN6thrust23THRUST_200600_302600_NS4plusIiEEEEZZNS1_33reduce_by_key_impl_wrapped_configILNS1_25lookback_scan_determinismE0ES3_S9_NS6_10device_ptrIiEESD_SD_SD_PmS8_NS6_8equal_toIiEEEE10hipError_tPvRmT2_T3_mT4_T5_T6_T7_T8_P12ihipStream_tbENKUlT_T0_E_clISt17integral_constantIbLb0EESX_IbLb1EEEEDaST_SU_EUlST_E_NS1_11comp_targetILNS1_3genE0ELNS1_11target_archE4294967295ELNS1_3gpuE0ELNS1_3repE0EEENS1_30default_config_static_selectorELNS0_4arch9wavefront6targetE1EEEvT1_,"axG",@progbits,_ZN7rocprim17ROCPRIM_400000_NS6detail17trampoline_kernelINS0_14default_configENS1_29reduce_by_key_config_selectorIiiN6thrust23THRUST_200600_302600_NS4plusIiEEEEZZNS1_33reduce_by_key_impl_wrapped_configILNS1_25lookback_scan_determinismE0ES3_S9_NS6_10device_ptrIiEESD_SD_SD_PmS8_NS6_8equal_toIiEEEE10hipError_tPvRmT2_T3_mT4_T5_T6_T7_T8_P12ihipStream_tbENKUlT_T0_E_clISt17integral_constantIbLb0EESX_IbLb1EEEEDaST_SU_EUlST_E_NS1_11comp_targetILNS1_3genE0ELNS1_11target_archE4294967295ELNS1_3gpuE0ELNS1_3repE0EEENS1_30default_config_static_selectorELNS0_4arch9wavefront6targetE1EEEvT1_,comdat
	.protected	_ZN7rocprim17ROCPRIM_400000_NS6detail17trampoline_kernelINS0_14default_configENS1_29reduce_by_key_config_selectorIiiN6thrust23THRUST_200600_302600_NS4plusIiEEEEZZNS1_33reduce_by_key_impl_wrapped_configILNS1_25lookback_scan_determinismE0ES3_S9_NS6_10device_ptrIiEESD_SD_SD_PmS8_NS6_8equal_toIiEEEE10hipError_tPvRmT2_T3_mT4_T5_T6_T7_T8_P12ihipStream_tbENKUlT_T0_E_clISt17integral_constantIbLb0EESX_IbLb1EEEEDaST_SU_EUlST_E_NS1_11comp_targetILNS1_3genE0ELNS1_11target_archE4294967295ELNS1_3gpuE0ELNS1_3repE0EEENS1_30default_config_static_selectorELNS0_4arch9wavefront6targetE1EEEvT1_ ; -- Begin function _ZN7rocprim17ROCPRIM_400000_NS6detail17trampoline_kernelINS0_14default_configENS1_29reduce_by_key_config_selectorIiiN6thrust23THRUST_200600_302600_NS4plusIiEEEEZZNS1_33reduce_by_key_impl_wrapped_configILNS1_25lookback_scan_determinismE0ES3_S9_NS6_10device_ptrIiEESD_SD_SD_PmS8_NS6_8equal_toIiEEEE10hipError_tPvRmT2_T3_mT4_T5_T6_T7_T8_P12ihipStream_tbENKUlT_T0_E_clISt17integral_constantIbLb0EESX_IbLb1EEEEDaST_SU_EUlST_E_NS1_11comp_targetILNS1_3genE0ELNS1_11target_archE4294967295ELNS1_3gpuE0ELNS1_3repE0EEENS1_30default_config_static_selectorELNS0_4arch9wavefront6targetE1EEEvT1_
	.globl	_ZN7rocprim17ROCPRIM_400000_NS6detail17trampoline_kernelINS0_14default_configENS1_29reduce_by_key_config_selectorIiiN6thrust23THRUST_200600_302600_NS4plusIiEEEEZZNS1_33reduce_by_key_impl_wrapped_configILNS1_25lookback_scan_determinismE0ES3_S9_NS6_10device_ptrIiEESD_SD_SD_PmS8_NS6_8equal_toIiEEEE10hipError_tPvRmT2_T3_mT4_T5_T6_T7_T8_P12ihipStream_tbENKUlT_T0_E_clISt17integral_constantIbLb0EESX_IbLb1EEEEDaST_SU_EUlST_E_NS1_11comp_targetILNS1_3genE0ELNS1_11target_archE4294967295ELNS1_3gpuE0ELNS1_3repE0EEENS1_30default_config_static_selectorELNS0_4arch9wavefront6targetE1EEEvT1_
	.p2align	8
	.type	_ZN7rocprim17ROCPRIM_400000_NS6detail17trampoline_kernelINS0_14default_configENS1_29reduce_by_key_config_selectorIiiN6thrust23THRUST_200600_302600_NS4plusIiEEEEZZNS1_33reduce_by_key_impl_wrapped_configILNS1_25lookback_scan_determinismE0ES3_S9_NS6_10device_ptrIiEESD_SD_SD_PmS8_NS6_8equal_toIiEEEE10hipError_tPvRmT2_T3_mT4_T5_T6_T7_T8_P12ihipStream_tbENKUlT_T0_E_clISt17integral_constantIbLb0EESX_IbLb1EEEEDaST_SU_EUlST_E_NS1_11comp_targetILNS1_3genE0ELNS1_11target_archE4294967295ELNS1_3gpuE0ELNS1_3repE0EEENS1_30default_config_static_selectorELNS0_4arch9wavefront6targetE1EEEvT1_,@function
_ZN7rocprim17ROCPRIM_400000_NS6detail17trampoline_kernelINS0_14default_configENS1_29reduce_by_key_config_selectorIiiN6thrust23THRUST_200600_302600_NS4plusIiEEEEZZNS1_33reduce_by_key_impl_wrapped_configILNS1_25lookback_scan_determinismE0ES3_S9_NS6_10device_ptrIiEESD_SD_SD_PmS8_NS6_8equal_toIiEEEE10hipError_tPvRmT2_T3_mT4_T5_T6_T7_T8_P12ihipStream_tbENKUlT_T0_E_clISt17integral_constantIbLb0EESX_IbLb1EEEEDaST_SU_EUlST_E_NS1_11comp_targetILNS1_3genE0ELNS1_11target_archE4294967295ELNS1_3gpuE0ELNS1_3repE0EEENS1_30default_config_static_selectorELNS0_4arch9wavefront6targetE1EEEvT1_: ; @_ZN7rocprim17ROCPRIM_400000_NS6detail17trampoline_kernelINS0_14default_configENS1_29reduce_by_key_config_selectorIiiN6thrust23THRUST_200600_302600_NS4plusIiEEEEZZNS1_33reduce_by_key_impl_wrapped_configILNS1_25lookback_scan_determinismE0ES3_S9_NS6_10device_ptrIiEESD_SD_SD_PmS8_NS6_8equal_toIiEEEE10hipError_tPvRmT2_T3_mT4_T5_T6_T7_T8_P12ihipStream_tbENKUlT_T0_E_clISt17integral_constantIbLb0EESX_IbLb1EEEEDaST_SU_EUlST_E_NS1_11comp_targetILNS1_3genE0ELNS1_11target_archE4294967295ELNS1_3gpuE0ELNS1_3repE0EEENS1_30default_config_static_selectorELNS0_4arch9wavefront6targetE1EEEvT1_
; %bb.0:
	.section	.rodata,"a",@progbits
	.p2align	6, 0x0
	.amdhsa_kernel _ZN7rocprim17ROCPRIM_400000_NS6detail17trampoline_kernelINS0_14default_configENS1_29reduce_by_key_config_selectorIiiN6thrust23THRUST_200600_302600_NS4plusIiEEEEZZNS1_33reduce_by_key_impl_wrapped_configILNS1_25lookback_scan_determinismE0ES3_S9_NS6_10device_ptrIiEESD_SD_SD_PmS8_NS6_8equal_toIiEEEE10hipError_tPvRmT2_T3_mT4_T5_T6_T7_T8_P12ihipStream_tbENKUlT_T0_E_clISt17integral_constantIbLb0EESX_IbLb1EEEEDaST_SU_EUlST_E_NS1_11comp_targetILNS1_3genE0ELNS1_11target_archE4294967295ELNS1_3gpuE0ELNS1_3repE0EEENS1_30default_config_static_selectorELNS0_4arch9wavefront6targetE1EEEvT1_
		.amdhsa_group_segment_fixed_size 0
		.amdhsa_private_segment_fixed_size 0
		.amdhsa_kernarg_size 120
		.amdhsa_user_sgpr_count 6
		.amdhsa_user_sgpr_private_segment_buffer 1
		.amdhsa_user_sgpr_dispatch_ptr 0
		.amdhsa_user_sgpr_queue_ptr 0
		.amdhsa_user_sgpr_kernarg_segment_ptr 1
		.amdhsa_user_sgpr_dispatch_id 0
		.amdhsa_user_sgpr_flat_scratch_init 0
		.amdhsa_user_sgpr_kernarg_preload_length 0
		.amdhsa_user_sgpr_kernarg_preload_offset 0
		.amdhsa_user_sgpr_private_segment_size 0
		.amdhsa_uses_dynamic_stack 0
		.amdhsa_system_sgpr_private_segment_wavefront_offset 0
		.amdhsa_system_sgpr_workgroup_id_x 1
		.amdhsa_system_sgpr_workgroup_id_y 0
		.amdhsa_system_sgpr_workgroup_id_z 0
		.amdhsa_system_sgpr_workgroup_info 0
		.amdhsa_system_vgpr_workitem_id 0
		.amdhsa_next_free_vgpr 1
		.amdhsa_next_free_sgpr 0
		.amdhsa_accum_offset 4
		.amdhsa_reserve_vcc 0
		.amdhsa_reserve_flat_scratch 0
		.amdhsa_float_round_mode_32 0
		.amdhsa_float_round_mode_16_64 0
		.amdhsa_float_denorm_mode_32 3
		.amdhsa_float_denorm_mode_16_64 3
		.amdhsa_dx10_clamp 1
		.amdhsa_ieee_mode 1
		.amdhsa_fp16_overflow 0
		.amdhsa_tg_split 0
		.amdhsa_exception_fp_ieee_invalid_op 0
		.amdhsa_exception_fp_denorm_src 0
		.amdhsa_exception_fp_ieee_div_zero 0
		.amdhsa_exception_fp_ieee_overflow 0
		.amdhsa_exception_fp_ieee_underflow 0
		.amdhsa_exception_fp_ieee_inexact 0
		.amdhsa_exception_int_div_zero 0
	.end_amdhsa_kernel
	.section	.text._ZN7rocprim17ROCPRIM_400000_NS6detail17trampoline_kernelINS0_14default_configENS1_29reduce_by_key_config_selectorIiiN6thrust23THRUST_200600_302600_NS4plusIiEEEEZZNS1_33reduce_by_key_impl_wrapped_configILNS1_25lookback_scan_determinismE0ES3_S9_NS6_10device_ptrIiEESD_SD_SD_PmS8_NS6_8equal_toIiEEEE10hipError_tPvRmT2_T3_mT4_T5_T6_T7_T8_P12ihipStream_tbENKUlT_T0_E_clISt17integral_constantIbLb0EESX_IbLb1EEEEDaST_SU_EUlST_E_NS1_11comp_targetILNS1_3genE0ELNS1_11target_archE4294967295ELNS1_3gpuE0ELNS1_3repE0EEENS1_30default_config_static_selectorELNS0_4arch9wavefront6targetE1EEEvT1_,"axG",@progbits,_ZN7rocprim17ROCPRIM_400000_NS6detail17trampoline_kernelINS0_14default_configENS1_29reduce_by_key_config_selectorIiiN6thrust23THRUST_200600_302600_NS4plusIiEEEEZZNS1_33reduce_by_key_impl_wrapped_configILNS1_25lookback_scan_determinismE0ES3_S9_NS6_10device_ptrIiEESD_SD_SD_PmS8_NS6_8equal_toIiEEEE10hipError_tPvRmT2_T3_mT4_T5_T6_T7_T8_P12ihipStream_tbENKUlT_T0_E_clISt17integral_constantIbLb0EESX_IbLb1EEEEDaST_SU_EUlST_E_NS1_11comp_targetILNS1_3genE0ELNS1_11target_archE4294967295ELNS1_3gpuE0ELNS1_3repE0EEENS1_30default_config_static_selectorELNS0_4arch9wavefront6targetE1EEEvT1_,comdat
.Lfunc_end1121:
	.size	_ZN7rocprim17ROCPRIM_400000_NS6detail17trampoline_kernelINS0_14default_configENS1_29reduce_by_key_config_selectorIiiN6thrust23THRUST_200600_302600_NS4plusIiEEEEZZNS1_33reduce_by_key_impl_wrapped_configILNS1_25lookback_scan_determinismE0ES3_S9_NS6_10device_ptrIiEESD_SD_SD_PmS8_NS6_8equal_toIiEEEE10hipError_tPvRmT2_T3_mT4_T5_T6_T7_T8_P12ihipStream_tbENKUlT_T0_E_clISt17integral_constantIbLb0EESX_IbLb1EEEEDaST_SU_EUlST_E_NS1_11comp_targetILNS1_3genE0ELNS1_11target_archE4294967295ELNS1_3gpuE0ELNS1_3repE0EEENS1_30default_config_static_selectorELNS0_4arch9wavefront6targetE1EEEvT1_, .Lfunc_end1121-_ZN7rocprim17ROCPRIM_400000_NS6detail17trampoline_kernelINS0_14default_configENS1_29reduce_by_key_config_selectorIiiN6thrust23THRUST_200600_302600_NS4plusIiEEEEZZNS1_33reduce_by_key_impl_wrapped_configILNS1_25lookback_scan_determinismE0ES3_S9_NS6_10device_ptrIiEESD_SD_SD_PmS8_NS6_8equal_toIiEEEE10hipError_tPvRmT2_T3_mT4_T5_T6_T7_T8_P12ihipStream_tbENKUlT_T0_E_clISt17integral_constantIbLb0EESX_IbLb1EEEEDaST_SU_EUlST_E_NS1_11comp_targetILNS1_3genE0ELNS1_11target_archE4294967295ELNS1_3gpuE0ELNS1_3repE0EEENS1_30default_config_static_selectorELNS0_4arch9wavefront6targetE1EEEvT1_
                                        ; -- End function
	.section	.AMDGPU.csdata,"",@progbits
; Kernel info:
; codeLenInByte = 0
; NumSgprs: 4
; NumVgprs: 0
; NumAgprs: 0
; TotalNumVgprs: 0
; ScratchSize: 0
; MemoryBound: 0
; FloatMode: 240
; IeeeMode: 1
; LDSByteSize: 0 bytes/workgroup (compile time only)
; SGPRBlocks: 0
; VGPRBlocks: 0
; NumSGPRsForWavesPerEU: 4
; NumVGPRsForWavesPerEU: 1
; AccumOffset: 4
; Occupancy: 8
; WaveLimiterHint : 0
; COMPUTE_PGM_RSRC2:SCRATCH_EN: 0
; COMPUTE_PGM_RSRC2:USER_SGPR: 6
; COMPUTE_PGM_RSRC2:TRAP_HANDLER: 0
; COMPUTE_PGM_RSRC2:TGID_X_EN: 1
; COMPUTE_PGM_RSRC2:TGID_Y_EN: 0
; COMPUTE_PGM_RSRC2:TGID_Z_EN: 0
; COMPUTE_PGM_RSRC2:TIDIG_COMP_CNT: 0
; COMPUTE_PGM_RSRC3_GFX90A:ACCUM_OFFSET: 0
; COMPUTE_PGM_RSRC3_GFX90A:TG_SPLIT: 0
	.section	.text._ZN7rocprim17ROCPRIM_400000_NS6detail17trampoline_kernelINS0_14default_configENS1_29reduce_by_key_config_selectorIiiN6thrust23THRUST_200600_302600_NS4plusIiEEEEZZNS1_33reduce_by_key_impl_wrapped_configILNS1_25lookback_scan_determinismE0ES3_S9_NS6_10device_ptrIiEESD_SD_SD_PmS8_NS6_8equal_toIiEEEE10hipError_tPvRmT2_T3_mT4_T5_T6_T7_T8_P12ihipStream_tbENKUlT_T0_E_clISt17integral_constantIbLb0EESX_IbLb1EEEEDaST_SU_EUlST_E_NS1_11comp_targetILNS1_3genE5ELNS1_11target_archE942ELNS1_3gpuE9ELNS1_3repE0EEENS1_30default_config_static_selectorELNS0_4arch9wavefront6targetE1EEEvT1_,"axG",@progbits,_ZN7rocprim17ROCPRIM_400000_NS6detail17trampoline_kernelINS0_14default_configENS1_29reduce_by_key_config_selectorIiiN6thrust23THRUST_200600_302600_NS4plusIiEEEEZZNS1_33reduce_by_key_impl_wrapped_configILNS1_25lookback_scan_determinismE0ES3_S9_NS6_10device_ptrIiEESD_SD_SD_PmS8_NS6_8equal_toIiEEEE10hipError_tPvRmT2_T3_mT4_T5_T6_T7_T8_P12ihipStream_tbENKUlT_T0_E_clISt17integral_constantIbLb0EESX_IbLb1EEEEDaST_SU_EUlST_E_NS1_11comp_targetILNS1_3genE5ELNS1_11target_archE942ELNS1_3gpuE9ELNS1_3repE0EEENS1_30default_config_static_selectorELNS0_4arch9wavefront6targetE1EEEvT1_,comdat
	.protected	_ZN7rocprim17ROCPRIM_400000_NS6detail17trampoline_kernelINS0_14default_configENS1_29reduce_by_key_config_selectorIiiN6thrust23THRUST_200600_302600_NS4plusIiEEEEZZNS1_33reduce_by_key_impl_wrapped_configILNS1_25lookback_scan_determinismE0ES3_S9_NS6_10device_ptrIiEESD_SD_SD_PmS8_NS6_8equal_toIiEEEE10hipError_tPvRmT2_T3_mT4_T5_T6_T7_T8_P12ihipStream_tbENKUlT_T0_E_clISt17integral_constantIbLb0EESX_IbLb1EEEEDaST_SU_EUlST_E_NS1_11comp_targetILNS1_3genE5ELNS1_11target_archE942ELNS1_3gpuE9ELNS1_3repE0EEENS1_30default_config_static_selectorELNS0_4arch9wavefront6targetE1EEEvT1_ ; -- Begin function _ZN7rocprim17ROCPRIM_400000_NS6detail17trampoline_kernelINS0_14default_configENS1_29reduce_by_key_config_selectorIiiN6thrust23THRUST_200600_302600_NS4plusIiEEEEZZNS1_33reduce_by_key_impl_wrapped_configILNS1_25lookback_scan_determinismE0ES3_S9_NS6_10device_ptrIiEESD_SD_SD_PmS8_NS6_8equal_toIiEEEE10hipError_tPvRmT2_T3_mT4_T5_T6_T7_T8_P12ihipStream_tbENKUlT_T0_E_clISt17integral_constantIbLb0EESX_IbLb1EEEEDaST_SU_EUlST_E_NS1_11comp_targetILNS1_3genE5ELNS1_11target_archE942ELNS1_3gpuE9ELNS1_3repE0EEENS1_30default_config_static_selectorELNS0_4arch9wavefront6targetE1EEEvT1_
	.globl	_ZN7rocprim17ROCPRIM_400000_NS6detail17trampoline_kernelINS0_14default_configENS1_29reduce_by_key_config_selectorIiiN6thrust23THRUST_200600_302600_NS4plusIiEEEEZZNS1_33reduce_by_key_impl_wrapped_configILNS1_25lookback_scan_determinismE0ES3_S9_NS6_10device_ptrIiEESD_SD_SD_PmS8_NS6_8equal_toIiEEEE10hipError_tPvRmT2_T3_mT4_T5_T6_T7_T8_P12ihipStream_tbENKUlT_T0_E_clISt17integral_constantIbLb0EESX_IbLb1EEEEDaST_SU_EUlST_E_NS1_11comp_targetILNS1_3genE5ELNS1_11target_archE942ELNS1_3gpuE9ELNS1_3repE0EEENS1_30default_config_static_selectorELNS0_4arch9wavefront6targetE1EEEvT1_
	.p2align	8
	.type	_ZN7rocprim17ROCPRIM_400000_NS6detail17trampoline_kernelINS0_14default_configENS1_29reduce_by_key_config_selectorIiiN6thrust23THRUST_200600_302600_NS4plusIiEEEEZZNS1_33reduce_by_key_impl_wrapped_configILNS1_25lookback_scan_determinismE0ES3_S9_NS6_10device_ptrIiEESD_SD_SD_PmS8_NS6_8equal_toIiEEEE10hipError_tPvRmT2_T3_mT4_T5_T6_T7_T8_P12ihipStream_tbENKUlT_T0_E_clISt17integral_constantIbLb0EESX_IbLb1EEEEDaST_SU_EUlST_E_NS1_11comp_targetILNS1_3genE5ELNS1_11target_archE942ELNS1_3gpuE9ELNS1_3repE0EEENS1_30default_config_static_selectorELNS0_4arch9wavefront6targetE1EEEvT1_,@function
_ZN7rocprim17ROCPRIM_400000_NS6detail17trampoline_kernelINS0_14default_configENS1_29reduce_by_key_config_selectorIiiN6thrust23THRUST_200600_302600_NS4plusIiEEEEZZNS1_33reduce_by_key_impl_wrapped_configILNS1_25lookback_scan_determinismE0ES3_S9_NS6_10device_ptrIiEESD_SD_SD_PmS8_NS6_8equal_toIiEEEE10hipError_tPvRmT2_T3_mT4_T5_T6_T7_T8_P12ihipStream_tbENKUlT_T0_E_clISt17integral_constantIbLb0EESX_IbLb1EEEEDaST_SU_EUlST_E_NS1_11comp_targetILNS1_3genE5ELNS1_11target_archE942ELNS1_3gpuE9ELNS1_3repE0EEENS1_30default_config_static_selectorELNS0_4arch9wavefront6targetE1EEEvT1_: ; @_ZN7rocprim17ROCPRIM_400000_NS6detail17trampoline_kernelINS0_14default_configENS1_29reduce_by_key_config_selectorIiiN6thrust23THRUST_200600_302600_NS4plusIiEEEEZZNS1_33reduce_by_key_impl_wrapped_configILNS1_25lookback_scan_determinismE0ES3_S9_NS6_10device_ptrIiEESD_SD_SD_PmS8_NS6_8equal_toIiEEEE10hipError_tPvRmT2_T3_mT4_T5_T6_T7_T8_P12ihipStream_tbENKUlT_T0_E_clISt17integral_constantIbLb0EESX_IbLb1EEEEDaST_SU_EUlST_E_NS1_11comp_targetILNS1_3genE5ELNS1_11target_archE942ELNS1_3gpuE9ELNS1_3repE0EEENS1_30default_config_static_selectorELNS0_4arch9wavefront6targetE1EEEvT1_
; %bb.0:
	.section	.rodata,"a",@progbits
	.p2align	6, 0x0
	.amdhsa_kernel _ZN7rocprim17ROCPRIM_400000_NS6detail17trampoline_kernelINS0_14default_configENS1_29reduce_by_key_config_selectorIiiN6thrust23THRUST_200600_302600_NS4plusIiEEEEZZNS1_33reduce_by_key_impl_wrapped_configILNS1_25lookback_scan_determinismE0ES3_S9_NS6_10device_ptrIiEESD_SD_SD_PmS8_NS6_8equal_toIiEEEE10hipError_tPvRmT2_T3_mT4_T5_T6_T7_T8_P12ihipStream_tbENKUlT_T0_E_clISt17integral_constantIbLb0EESX_IbLb1EEEEDaST_SU_EUlST_E_NS1_11comp_targetILNS1_3genE5ELNS1_11target_archE942ELNS1_3gpuE9ELNS1_3repE0EEENS1_30default_config_static_selectorELNS0_4arch9wavefront6targetE1EEEvT1_
		.amdhsa_group_segment_fixed_size 0
		.amdhsa_private_segment_fixed_size 0
		.amdhsa_kernarg_size 120
		.amdhsa_user_sgpr_count 6
		.amdhsa_user_sgpr_private_segment_buffer 1
		.amdhsa_user_sgpr_dispatch_ptr 0
		.amdhsa_user_sgpr_queue_ptr 0
		.amdhsa_user_sgpr_kernarg_segment_ptr 1
		.amdhsa_user_sgpr_dispatch_id 0
		.amdhsa_user_sgpr_flat_scratch_init 0
		.amdhsa_user_sgpr_kernarg_preload_length 0
		.amdhsa_user_sgpr_kernarg_preload_offset 0
		.amdhsa_user_sgpr_private_segment_size 0
		.amdhsa_uses_dynamic_stack 0
		.amdhsa_system_sgpr_private_segment_wavefront_offset 0
		.amdhsa_system_sgpr_workgroup_id_x 1
		.amdhsa_system_sgpr_workgroup_id_y 0
		.amdhsa_system_sgpr_workgroup_id_z 0
		.amdhsa_system_sgpr_workgroup_info 0
		.amdhsa_system_vgpr_workitem_id 0
		.amdhsa_next_free_vgpr 1
		.amdhsa_next_free_sgpr 0
		.amdhsa_accum_offset 4
		.amdhsa_reserve_vcc 0
		.amdhsa_reserve_flat_scratch 0
		.amdhsa_float_round_mode_32 0
		.amdhsa_float_round_mode_16_64 0
		.amdhsa_float_denorm_mode_32 3
		.amdhsa_float_denorm_mode_16_64 3
		.amdhsa_dx10_clamp 1
		.amdhsa_ieee_mode 1
		.amdhsa_fp16_overflow 0
		.amdhsa_tg_split 0
		.amdhsa_exception_fp_ieee_invalid_op 0
		.amdhsa_exception_fp_denorm_src 0
		.amdhsa_exception_fp_ieee_div_zero 0
		.amdhsa_exception_fp_ieee_overflow 0
		.amdhsa_exception_fp_ieee_underflow 0
		.amdhsa_exception_fp_ieee_inexact 0
		.amdhsa_exception_int_div_zero 0
	.end_amdhsa_kernel
	.section	.text._ZN7rocprim17ROCPRIM_400000_NS6detail17trampoline_kernelINS0_14default_configENS1_29reduce_by_key_config_selectorIiiN6thrust23THRUST_200600_302600_NS4plusIiEEEEZZNS1_33reduce_by_key_impl_wrapped_configILNS1_25lookback_scan_determinismE0ES3_S9_NS6_10device_ptrIiEESD_SD_SD_PmS8_NS6_8equal_toIiEEEE10hipError_tPvRmT2_T3_mT4_T5_T6_T7_T8_P12ihipStream_tbENKUlT_T0_E_clISt17integral_constantIbLb0EESX_IbLb1EEEEDaST_SU_EUlST_E_NS1_11comp_targetILNS1_3genE5ELNS1_11target_archE942ELNS1_3gpuE9ELNS1_3repE0EEENS1_30default_config_static_selectorELNS0_4arch9wavefront6targetE1EEEvT1_,"axG",@progbits,_ZN7rocprim17ROCPRIM_400000_NS6detail17trampoline_kernelINS0_14default_configENS1_29reduce_by_key_config_selectorIiiN6thrust23THRUST_200600_302600_NS4plusIiEEEEZZNS1_33reduce_by_key_impl_wrapped_configILNS1_25lookback_scan_determinismE0ES3_S9_NS6_10device_ptrIiEESD_SD_SD_PmS8_NS6_8equal_toIiEEEE10hipError_tPvRmT2_T3_mT4_T5_T6_T7_T8_P12ihipStream_tbENKUlT_T0_E_clISt17integral_constantIbLb0EESX_IbLb1EEEEDaST_SU_EUlST_E_NS1_11comp_targetILNS1_3genE5ELNS1_11target_archE942ELNS1_3gpuE9ELNS1_3repE0EEENS1_30default_config_static_selectorELNS0_4arch9wavefront6targetE1EEEvT1_,comdat
.Lfunc_end1122:
	.size	_ZN7rocprim17ROCPRIM_400000_NS6detail17trampoline_kernelINS0_14default_configENS1_29reduce_by_key_config_selectorIiiN6thrust23THRUST_200600_302600_NS4plusIiEEEEZZNS1_33reduce_by_key_impl_wrapped_configILNS1_25lookback_scan_determinismE0ES3_S9_NS6_10device_ptrIiEESD_SD_SD_PmS8_NS6_8equal_toIiEEEE10hipError_tPvRmT2_T3_mT4_T5_T6_T7_T8_P12ihipStream_tbENKUlT_T0_E_clISt17integral_constantIbLb0EESX_IbLb1EEEEDaST_SU_EUlST_E_NS1_11comp_targetILNS1_3genE5ELNS1_11target_archE942ELNS1_3gpuE9ELNS1_3repE0EEENS1_30default_config_static_selectorELNS0_4arch9wavefront6targetE1EEEvT1_, .Lfunc_end1122-_ZN7rocprim17ROCPRIM_400000_NS6detail17trampoline_kernelINS0_14default_configENS1_29reduce_by_key_config_selectorIiiN6thrust23THRUST_200600_302600_NS4plusIiEEEEZZNS1_33reduce_by_key_impl_wrapped_configILNS1_25lookback_scan_determinismE0ES3_S9_NS6_10device_ptrIiEESD_SD_SD_PmS8_NS6_8equal_toIiEEEE10hipError_tPvRmT2_T3_mT4_T5_T6_T7_T8_P12ihipStream_tbENKUlT_T0_E_clISt17integral_constantIbLb0EESX_IbLb1EEEEDaST_SU_EUlST_E_NS1_11comp_targetILNS1_3genE5ELNS1_11target_archE942ELNS1_3gpuE9ELNS1_3repE0EEENS1_30default_config_static_selectorELNS0_4arch9wavefront6targetE1EEEvT1_
                                        ; -- End function
	.section	.AMDGPU.csdata,"",@progbits
; Kernel info:
; codeLenInByte = 0
; NumSgprs: 4
; NumVgprs: 0
; NumAgprs: 0
; TotalNumVgprs: 0
; ScratchSize: 0
; MemoryBound: 0
; FloatMode: 240
; IeeeMode: 1
; LDSByteSize: 0 bytes/workgroup (compile time only)
; SGPRBlocks: 0
; VGPRBlocks: 0
; NumSGPRsForWavesPerEU: 4
; NumVGPRsForWavesPerEU: 1
; AccumOffset: 4
; Occupancy: 8
; WaveLimiterHint : 0
; COMPUTE_PGM_RSRC2:SCRATCH_EN: 0
; COMPUTE_PGM_RSRC2:USER_SGPR: 6
; COMPUTE_PGM_RSRC2:TRAP_HANDLER: 0
; COMPUTE_PGM_RSRC2:TGID_X_EN: 1
; COMPUTE_PGM_RSRC2:TGID_Y_EN: 0
; COMPUTE_PGM_RSRC2:TGID_Z_EN: 0
; COMPUTE_PGM_RSRC2:TIDIG_COMP_CNT: 0
; COMPUTE_PGM_RSRC3_GFX90A:ACCUM_OFFSET: 0
; COMPUTE_PGM_RSRC3_GFX90A:TG_SPLIT: 0
	.section	.text._ZN7rocprim17ROCPRIM_400000_NS6detail17trampoline_kernelINS0_14default_configENS1_29reduce_by_key_config_selectorIiiN6thrust23THRUST_200600_302600_NS4plusIiEEEEZZNS1_33reduce_by_key_impl_wrapped_configILNS1_25lookback_scan_determinismE0ES3_S9_NS6_10device_ptrIiEESD_SD_SD_PmS8_NS6_8equal_toIiEEEE10hipError_tPvRmT2_T3_mT4_T5_T6_T7_T8_P12ihipStream_tbENKUlT_T0_E_clISt17integral_constantIbLb0EESX_IbLb1EEEEDaST_SU_EUlST_E_NS1_11comp_targetILNS1_3genE4ELNS1_11target_archE910ELNS1_3gpuE8ELNS1_3repE0EEENS1_30default_config_static_selectorELNS0_4arch9wavefront6targetE1EEEvT1_,"axG",@progbits,_ZN7rocprim17ROCPRIM_400000_NS6detail17trampoline_kernelINS0_14default_configENS1_29reduce_by_key_config_selectorIiiN6thrust23THRUST_200600_302600_NS4plusIiEEEEZZNS1_33reduce_by_key_impl_wrapped_configILNS1_25lookback_scan_determinismE0ES3_S9_NS6_10device_ptrIiEESD_SD_SD_PmS8_NS6_8equal_toIiEEEE10hipError_tPvRmT2_T3_mT4_T5_T6_T7_T8_P12ihipStream_tbENKUlT_T0_E_clISt17integral_constantIbLb0EESX_IbLb1EEEEDaST_SU_EUlST_E_NS1_11comp_targetILNS1_3genE4ELNS1_11target_archE910ELNS1_3gpuE8ELNS1_3repE0EEENS1_30default_config_static_selectorELNS0_4arch9wavefront6targetE1EEEvT1_,comdat
	.protected	_ZN7rocprim17ROCPRIM_400000_NS6detail17trampoline_kernelINS0_14default_configENS1_29reduce_by_key_config_selectorIiiN6thrust23THRUST_200600_302600_NS4plusIiEEEEZZNS1_33reduce_by_key_impl_wrapped_configILNS1_25lookback_scan_determinismE0ES3_S9_NS6_10device_ptrIiEESD_SD_SD_PmS8_NS6_8equal_toIiEEEE10hipError_tPvRmT2_T3_mT4_T5_T6_T7_T8_P12ihipStream_tbENKUlT_T0_E_clISt17integral_constantIbLb0EESX_IbLb1EEEEDaST_SU_EUlST_E_NS1_11comp_targetILNS1_3genE4ELNS1_11target_archE910ELNS1_3gpuE8ELNS1_3repE0EEENS1_30default_config_static_selectorELNS0_4arch9wavefront6targetE1EEEvT1_ ; -- Begin function _ZN7rocprim17ROCPRIM_400000_NS6detail17trampoline_kernelINS0_14default_configENS1_29reduce_by_key_config_selectorIiiN6thrust23THRUST_200600_302600_NS4plusIiEEEEZZNS1_33reduce_by_key_impl_wrapped_configILNS1_25lookback_scan_determinismE0ES3_S9_NS6_10device_ptrIiEESD_SD_SD_PmS8_NS6_8equal_toIiEEEE10hipError_tPvRmT2_T3_mT4_T5_T6_T7_T8_P12ihipStream_tbENKUlT_T0_E_clISt17integral_constantIbLb0EESX_IbLb1EEEEDaST_SU_EUlST_E_NS1_11comp_targetILNS1_3genE4ELNS1_11target_archE910ELNS1_3gpuE8ELNS1_3repE0EEENS1_30default_config_static_selectorELNS0_4arch9wavefront6targetE1EEEvT1_
	.globl	_ZN7rocprim17ROCPRIM_400000_NS6detail17trampoline_kernelINS0_14default_configENS1_29reduce_by_key_config_selectorIiiN6thrust23THRUST_200600_302600_NS4plusIiEEEEZZNS1_33reduce_by_key_impl_wrapped_configILNS1_25lookback_scan_determinismE0ES3_S9_NS6_10device_ptrIiEESD_SD_SD_PmS8_NS6_8equal_toIiEEEE10hipError_tPvRmT2_T3_mT4_T5_T6_T7_T8_P12ihipStream_tbENKUlT_T0_E_clISt17integral_constantIbLb0EESX_IbLb1EEEEDaST_SU_EUlST_E_NS1_11comp_targetILNS1_3genE4ELNS1_11target_archE910ELNS1_3gpuE8ELNS1_3repE0EEENS1_30default_config_static_selectorELNS0_4arch9wavefront6targetE1EEEvT1_
	.p2align	8
	.type	_ZN7rocprim17ROCPRIM_400000_NS6detail17trampoline_kernelINS0_14default_configENS1_29reduce_by_key_config_selectorIiiN6thrust23THRUST_200600_302600_NS4plusIiEEEEZZNS1_33reduce_by_key_impl_wrapped_configILNS1_25lookback_scan_determinismE0ES3_S9_NS6_10device_ptrIiEESD_SD_SD_PmS8_NS6_8equal_toIiEEEE10hipError_tPvRmT2_T3_mT4_T5_T6_T7_T8_P12ihipStream_tbENKUlT_T0_E_clISt17integral_constantIbLb0EESX_IbLb1EEEEDaST_SU_EUlST_E_NS1_11comp_targetILNS1_3genE4ELNS1_11target_archE910ELNS1_3gpuE8ELNS1_3repE0EEENS1_30default_config_static_selectorELNS0_4arch9wavefront6targetE1EEEvT1_,@function
_ZN7rocprim17ROCPRIM_400000_NS6detail17trampoline_kernelINS0_14default_configENS1_29reduce_by_key_config_selectorIiiN6thrust23THRUST_200600_302600_NS4plusIiEEEEZZNS1_33reduce_by_key_impl_wrapped_configILNS1_25lookback_scan_determinismE0ES3_S9_NS6_10device_ptrIiEESD_SD_SD_PmS8_NS6_8equal_toIiEEEE10hipError_tPvRmT2_T3_mT4_T5_T6_T7_T8_P12ihipStream_tbENKUlT_T0_E_clISt17integral_constantIbLb0EESX_IbLb1EEEEDaST_SU_EUlST_E_NS1_11comp_targetILNS1_3genE4ELNS1_11target_archE910ELNS1_3gpuE8ELNS1_3repE0EEENS1_30default_config_static_selectorELNS0_4arch9wavefront6targetE1EEEvT1_: ; @_ZN7rocprim17ROCPRIM_400000_NS6detail17trampoline_kernelINS0_14default_configENS1_29reduce_by_key_config_selectorIiiN6thrust23THRUST_200600_302600_NS4plusIiEEEEZZNS1_33reduce_by_key_impl_wrapped_configILNS1_25lookback_scan_determinismE0ES3_S9_NS6_10device_ptrIiEESD_SD_SD_PmS8_NS6_8equal_toIiEEEE10hipError_tPvRmT2_T3_mT4_T5_T6_T7_T8_P12ihipStream_tbENKUlT_T0_E_clISt17integral_constantIbLb0EESX_IbLb1EEEEDaST_SU_EUlST_E_NS1_11comp_targetILNS1_3genE4ELNS1_11target_archE910ELNS1_3gpuE8ELNS1_3repE0EEENS1_30default_config_static_selectorELNS0_4arch9wavefront6targetE1EEEvT1_
; %bb.0:
	s_load_dwordx8 s[36:43], s[4:5], 0x0
	s_load_dwordx4 s[52:55], s[4:5], 0x20
	s_load_dwordx8 s[44:51], s[4:5], 0x38
	s_load_dwordx2 s[60:61], s[4:5], 0x68
	s_load_dwordx4 s[56:59], s[4:5], 0x58
	v_cmp_ne_u32_e64 s[2:3], 0, v0
	v_cmp_eq_u32_e64 s[0:1], 0, v0
	s_and_saveexec_b64 s[6:7], s[0:1]
	s_cbranch_execz .LBB1123_4
; %bb.1:
	s_mov_b64 s[10:11], exec
	v_mbcnt_lo_u32_b32 v1, s10, 0
	v_mbcnt_hi_u32_b32 v1, s11, v1
	v_cmp_eq_u32_e32 vcc, 0, v1
                                        ; implicit-def: $vgpr2
	s_and_saveexec_b64 s[8:9], vcc
	s_cbranch_execz .LBB1123_3
; %bb.2:
	s_load_dwordx2 s[4:5], s[4:5], 0x70
	s_bcnt1_i32_b64 s10, s[10:11]
	v_mov_b32_e32 v2, 0
	v_mov_b32_e32 v3, s10
	s_waitcnt lgkmcnt(0)
	global_atomic_add v2, v2, v3, s[4:5] glc
.LBB1123_3:
	s_or_b64 exec, exec, s[8:9]
	s_waitcnt vmcnt(0)
	v_readfirstlane_b32 s4, v2
	v_add_u32_e32 v1, s4, v1
	v_mov_b32_e32 v2, 0
	ds_write_b32 v2, v1
.LBB1123_4:
	s_or_b64 exec, exec, s[6:7]
	v_mov_b32_e32 v3, 0
	s_waitcnt lgkmcnt(0)
	s_lshl_b64 s[4:5], s[38:39], 2
	s_barrier
	ds_read_b32 v1, v3
	s_add_u32 s6, s36, s4
	s_addc_u32 s7, s37, s5
	s_add_u32 s4, s40, s4
	s_mul_i32 s8, s48, s47
	s_mul_hi_u32 s9, s48, s46
	s_addc_u32 s5, s41, s5
	s_add_i32 s8, s9, s8
	s_mul_i32 s9, s49, s46
	s_add_i32 s8, s8, s9
	s_mul_i32 s9, s48, s46
	s_waitcnt lgkmcnt(0)
	v_readfirstlane_b32 s62, v1
	s_movk_i32 s10, 0xf00
	v_mul_lo_u32 v2, v1, s10
	s_add_u32 s40, s9, s62
	v_lshlrev_b64 v[2:3], 2, v[2:3]
	s_addc_u32 s41, s8, 0
	v_mov_b32_e32 v1, s7
	v_add_co_u32_e32 v31, vcc, s6, v2
	s_add_u32 s6, s50, -1
	v_addc_co_u32_e32 v35, vcc, v1, v3, vcc
	s_addc_u32 s7, s51, -1
	v_mov_b32_e32 v1, s5
	v_add_co_u32_e32 v22, vcc, s4, v2
	s_cmp_eq_u64 s[40:41], s[6:7]
	v_addc_co_u32_e32 v23, vcc, v1, v3, vcc
	s_cselect_b64 s[36:37], -1, 0
	s_cmp_lg_u64 s[40:41], s[6:7]
	s_mov_b64 s[4:5], -1
	s_cselect_b64 s[48:49], -1, 0
	s_mul_i32 s33, s6, 0xfffff100
	s_and_b64 vcc, exec, s[36:37]
	s_barrier
	s_cbranch_vccnz .LBB1123_6
; %bb.5:
	v_lshlrev_b32_e32 v28, 2, v0
	v_add_co_u32_e32 v2, vcc, v31, v28
	v_addc_co_u32_e32 v3, vcc, 0, v35, vcc
	v_add_co_u32_e32 v4, vcc, 0x1000, v2
	v_addc_co_u32_e32 v5, vcc, 0, v3, vcc
	flat_load_dword v1, v[2:3]
	flat_load_dword v8, v[2:3] offset:1024
	flat_load_dword v9, v[2:3] offset:2048
	;; [unrolled: 1-line block ×3, first 2 shown]
	flat_load_dword v11, v[4:5]
	flat_load_dword v12, v[4:5] offset:1024
	flat_load_dword v13, v[4:5] offset:2048
	;; [unrolled: 1-line block ×3, first 2 shown]
	v_add_co_u32_e32 v4, vcc, 0x2000, v2
	v_addc_co_u32_e32 v5, vcc, 0, v3, vcc
	v_add_co_u32_e32 v2, vcc, 0x3000, v2
	v_addc_co_u32_e32 v3, vcc, 0, v3, vcc
	flat_load_dword v15, v[4:5]
	flat_load_dword v16, v[4:5] offset:1024
	flat_load_dword v17, v[4:5] offset:2048
	;; [unrolled: 1-line block ×3, first 2 shown]
	flat_load_dword v19, v[2:3]
	flat_load_dword v20, v[2:3] offset:1024
	flat_load_dword v21, v[2:3] offset:2048
	v_add_co_u32_e32 v2, vcc, v22, v28
	s_movk_i32 s4, 0x1000
	v_addc_co_u32_e32 v3, vcc, 0, v23, vcc
	v_add_co_u32_e32 v4, vcc, s4, v2
	s_movk_i32 s5, 0x2000
	v_addc_co_u32_e32 v5, vcc, 0, v3, vcc
	;; [unrolled: 3-line block ×3, first 2 shown]
	v_mad_u32_u24 v30, v0, 56, v28
	v_add_co_u32_e32 v24, vcc, s6, v2
	v_addc_co_u32_e32 v25, vcc, 0, v3, vcc
	s_waitcnt vmcnt(0) lgkmcnt(0)
	ds_write2st64_b32 v28, v1, v8 offset1:4
	ds_write2st64_b32 v28, v9, v10 offset0:8 offset1:12
	ds_write2st64_b32 v28, v11, v12 offset0:16 offset1:20
	;; [unrolled: 1-line block ×6, first 2 shown]
	ds_write_b32 v28, v21 offset:14336
	s_waitcnt lgkmcnt(0)
	s_barrier
	ds_read2_b32 v[20:21], v30 offset1:1
	ds_read2_b32 v[18:19], v30 offset0:2 offset1:3
	ds_read2_b32 v[16:17], v30 offset0:4 offset1:5
	;; [unrolled: 1-line block ×6, first 2 shown]
	ds_read_b32 v1, v30 offset:56
	s_waitcnt lgkmcnt(0)
	s_barrier
	flat_load_dword v29, v[2:3]
	flat_load_dword v32, v[2:3] offset:1024
	flat_load_dword v33, v[2:3] offset:2048
	flat_load_dword v34, v[2:3] offset:3072
	flat_load_dword v36, v[4:5]
	flat_load_dword v37, v[4:5] offset:1024
	flat_load_dword v38, v[4:5] offset:2048
	flat_load_dword v39, v[4:5] offset:3072
	;; [unrolled: 4-line block ×3, first 2 shown]
	flat_load_dword v44, v[24:25]
	flat_load_dword v45, v[24:25] offset:1024
	flat_load_dword v46, v[24:25] offset:2048
	v_mov_b32_e32 v26, v20
	v_mov_b32_e32 v27, v18
	;; [unrolled: 1-line block ×7, first 2 shown]
	s_waitcnt vmcnt(0) lgkmcnt(0)
	ds_write2st64_b32 v28, v29, v32 offset1:4
	ds_write2st64_b32 v28, v33, v34 offset0:8 offset1:12
	ds_write2st64_b32 v28, v36, v37 offset0:16 offset1:20
	;; [unrolled: 1-line block ×6, first 2 shown]
	ds_write_b32 v28, v46 offset:14336
	s_waitcnt lgkmcnt(0)
	s_barrier
	s_add_i32 s33, s33, s56
	s_cbranch_execz .LBB1123_7
	s_branch .LBB1123_54
.LBB1123_6:
                                        ; implicit-def: $vgpr1
                                        ; implicit-def: $vgpr8
                                        ; implicit-def: $vgpr10
                                        ; implicit-def: $vgpr12
                                        ; implicit-def: $vgpr14
                                        ; implicit-def: $vgpr16
                                        ; implicit-def: $vgpr18
                                        ; implicit-def: $vgpr20
                                        ; implicit-def: $vgpr30
                                        ; implicit-def: $vgpr2_vgpr3
                                        ; implicit-def: $vgpr4_vgpr5
                                        ; implicit-def: $vgpr26_vgpr27
                                        ; implicit-def: $vgpr6_vgpr7
	s_andn2_b64 vcc, exec, s[4:5]
	s_add_i32 s33, s33, s56
	s_cbranch_vccnz .LBB1123_54
.LBB1123_7:
	v_cmp_gt_u32_e32 vcc, s33, v0
                                        ; implicit-def: $vgpr1
	s_and_saveexec_b64 s[6:7], vcc
	s_cbranch_execz .LBB1123_9
; %bb.8:
	v_lshlrev_b32_e32 v1, 2, v0
	v_add_co_u32_e64 v2, s[4:5], v31, v1
	v_addc_co_u32_e64 v3, s[4:5], 0, v35, s[4:5]
	flat_load_dword v1, v[2:3]
.LBB1123_9:
	s_or_b64 exec, exec, s[6:7]
	v_or_b32_e32 v2, 0x100, v0
	v_cmp_gt_u32_e64 s[4:5], s33, v2
                                        ; implicit-def: $vgpr8
	s_and_saveexec_b64 s[8:9], s[4:5]
	s_cbranch_execz .LBB1123_11
; %bb.10:
	v_lshlrev_b32_e32 v2, 2, v0
	v_add_co_u32_e64 v2, s[6:7], v31, v2
	v_addc_co_u32_e64 v3, s[6:7], 0, v35, s[6:7]
	flat_load_dword v8, v[2:3] offset:1024
.LBB1123_11:
	s_or_b64 exec, exec, s[8:9]
	v_or_b32_e32 v2, 0x200, v0
	v_cmp_gt_u32_e64 s[6:7], s33, v2
                                        ; implicit-def: $vgpr9
	s_and_saveexec_b64 s[10:11], s[6:7]
	s_cbranch_execz .LBB1123_13
; %bb.12:
	v_lshlrev_b32_e32 v2, 2, v0
	v_add_co_u32_e64 v2, s[8:9], v31, v2
	v_addc_co_u32_e64 v3, s[8:9], 0, v35, s[8:9]
	flat_load_dword v9, v[2:3] offset:2048
.LBB1123_13:
	s_or_b64 exec, exec, s[10:11]
	v_or_b32_e32 v2, 0x300, v0
	v_cmp_gt_u32_e64 s[8:9], s33, v2
                                        ; implicit-def: $vgpr10
	s_and_saveexec_b64 s[12:13], s[8:9]
	s_cbranch_execz .LBB1123_15
; %bb.14:
	v_lshlrev_b32_e32 v2, 2, v0
	v_add_co_u32_e64 v2, s[10:11], v31, v2
	v_addc_co_u32_e64 v3, s[10:11], 0, v35, s[10:11]
	flat_load_dword v10, v[2:3] offset:3072
.LBB1123_15:
	s_or_b64 exec, exec, s[12:13]
	v_or_b32_e32 v2, 0x400, v0
	v_cmp_gt_u32_e64 s[10:11], s33, v2
	v_lshlrev_b32_e32 v2, 2, v2
                                        ; implicit-def: $vgpr11
	s_and_saveexec_b64 s[14:15], s[10:11]
	s_cbranch_execz .LBB1123_17
; %bb.16:
	v_add_co_u32_e64 v4, s[12:13], v31, v2
	v_addc_co_u32_e64 v5, s[12:13], 0, v35, s[12:13]
	flat_load_dword v11, v[4:5]
.LBB1123_17:
	s_or_b64 exec, exec, s[14:15]
	v_or_b32_e32 v3, 0x500, v0
	v_cmp_gt_u32_e64 s[12:13], s33, v3
	v_lshlrev_b32_e32 v3, 2, v3
                                        ; implicit-def: $vgpr12
	s_and_saveexec_b64 s[16:17], s[12:13]
	s_cbranch_execz .LBB1123_19
; %bb.18:
	v_add_co_u32_e64 v4, s[14:15], v31, v3
	v_addc_co_u32_e64 v5, s[14:15], 0, v35, s[14:15]
	flat_load_dword v12, v[4:5]
.LBB1123_19:
	s_or_b64 exec, exec, s[16:17]
	v_or_b32_e32 v4, 0x600, v0
	v_cmp_gt_u32_e64 s[14:15], s33, v4
	v_lshlrev_b32_e32 v4, 2, v4
                                        ; implicit-def: $vgpr13
	s_and_saveexec_b64 s[18:19], s[14:15]
	s_cbranch_execz .LBB1123_21
; %bb.20:
	v_add_co_u32_e64 v6, s[16:17], v31, v4
	v_addc_co_u32_e64 v7, s[16:17], 0, v35, s[16:17]
	flat_load_dword v13, v[6:7]
.LBB1123_21:
	s_or_b64 exec, exec, s[18:19]
	v_or_b32_e32 v5, 0x700, v0
	v_cmp_gt_u32_e64 s[16:17], s33, v5
	v_lshlrev_b32_e32 v5, 2, v5
                                        ; implicit-def: $vgpr14
	s_and_saveexec_b64 s[20:21], s[16:17]
	s_cbranch_execz .LBB1123_23
; %bb.22:
	v_add_co_u32_e64 v6, s[18:19], v31, v5
	v_addc_co_u32_e64 v7, s[18:19], 0, v35, s[18:19]
	flat_load_dword v14, v[6:7]
.LBB1123_23:
	s_or_b64 exec, exec, s[20:21]
	v_or_b32_e32 v6, 0x800, v0
	v_cmp_gt_u32_e64 s[18:19], s33, v6
	v_lshlrev_b32_e32 v6, 2, v6
                                        ; implicit-def: $vgpr15
	s_and_saveexec_b64 s[22:23], s[18:19]
	s_cbranch_execz .LBB1123_25
; %bb.24:
	v_add_co_u32_e64 v16, s[20:21], v31, v6
	v_addc_co_u32_e64 v17, s[20:21], 0, v35, s[20:21]
	flat_load_dword v15, v[16:17]
.LBB1123_25:
	s_or_b64 exec, exec, s[22:23]
	v_or_b32_e32 v7, 0x900, v0
	v_cmp_gt_u32_e64 s[20:21], s33, v7
	v_lshlrev_b32_e32 v7, 2, v7
                                        ; implicit-def: $vgpr16
	s_and_saveexec_b64 s[24:25], s[20:21]
	s_cbranch_execz .LBB1123_27
; %bb.26:
	v_add_co_u32_e64 v16, s[22:23], v31, v7
	v_addc_co_u32_e64 v17, s[22:23], 0, v35, s[22:23]
	flat_load_dword v16, v[16:17]
.LBB1123_27:
	s_or_b64 exec, exec, s[24:25]
	v_or_b32_e32 v17, 0xa00, v0
	v_cmp_gt_u32_e64 s[22:23], s33, v17
	v_lshlrev_b32_e32 v25, 2, v17
                                        ; implicit-def: $vgpr17
	s_and_saveexec_b64 s[26:27], s[22:23]
	s_cbranch_execz .LBB1123_29
; %bb.28:
	v_add_co_u32_e64 v18, s[24:25], v31, v25
	v_addc_co_u32_e64 v19, s[24:25], 0, v35, s[24:25]
	flat_load_dword v17, v[18:19]
.LBB1123_29:
	s_or_b64 exec, exec, s[26:27]
	v_or_b32_e32 v18, 0xb00, v0
	v_cmp_gt_u32_e64 s[24:25], s33, v18
	v_lshlrev_b32_e32 v26, 2, v18
                                        ; implicit-def: $vgpr18
	s_and_saveexec_b64 s[28:29], s[24:25]
	s_cbranch_execz .LBB1123_31
; %bb.30:
	v_add_co_u32_e64 v18, s[26:27], v31, v26
	v_addc_co_u32_e64 v19, s[26:27], 0, v35, s[26:27]
	flat_load_dword v18, v[18:19]
.LBB1123_31:
	s_or_b64 exec, exec, s[28:29]
	v_or_b32_e32 v19, 0xc00, v0
	v_cmp_gt_u32_e64 s[26:27], s33, v19
	v_lshlrev_b32_e32 v27, 2, v19
                                        ; implicit-def: $vgpr19
	s_and_saveexec_b64 s[30:31], s[26:27]
	s_cbranch_execz .LBB1123_33
; %bb.32:
	v_add_co_u32_e64 v20, s[28:29], v31, v27
	v_addc_co_u32_e64 v21, s[28:29], 0, v35, s[28:29]
	flat_load_dword v19, v[20:21]
.LBB1123_33:
	s_or_b64 exec, exec, s[30:31]
	v_or_b32_e32 v20, 0xd00, v0
	v_cmp_gt_u32_e64 s[28:29], s33, v20
	v_lshlrev_b32_e32 v28, 2, v20
                                        ; implicit-def: $vgpr20
	s_and_saveexec_b64 s[34:35], s[28:29]
	s_cbranch_execz .LBB1123_35
; %bb.34:
	v_add_co_u32_e64 v20, s[30:31], v31, v28
	v_addc_co_u32_e64 v21, s[30:31], 0, v35, s[30:31]
	flat_load_dword v20, v[20:21]
.LBB1123_35:
	s_or_b64 exec, exec, s[34:35]
	v_or_b32_e32 v21, 0xe00, v0
	v_cmp_gt_u32_e64 s[30:31], s33, v21
	v_lshlrev_b32_e32 v29, 2, v21
                                        ; implicit-def: $vgpr21
	s_and_saveexec_b64 s[38:39], s[30:31]
	s_cbranch_execz .LBB1123_37
; %bb.36:
	v_add_co_u32_e64 v32, s[34:35], v31, v29
	v_addc_co_u32_e64 v33, s[34:35], 0, v35, s[34:35]
	flat_load_dword v21, v[32:33]
.LBB1123_37:
	s_or_b64 exec, exec, s[38:39]
	v_lshlrev_b32_e32 v24, 2, v0
	v_mad_u32_u24 v30, v0, 56, v24
	s_waitcnt vmcnt(0) lgkmcnt(0)
	ds_write2st64_b32 v24, v1, v8 offset1:4
	ds_write2st64_b32 v24, v9, v10 offset0:8 offset1:12
	ds_write2st64_b32 v24, v11, v12 offset0:16 offset1:20
	;; [unrolled: 1-line block ×6, first 2 shown]
	ds_write_b32 v24, v21 offset:14336
	s_waitcnt lgkmcnt(0)
	s_barrier
	ds_read2_b32 v[20:21], v30 offset1:1
	ds_read2_b32 v[18:19], v30 offset0:2 offset1:3
	ds_read2_b32 v[16:17], v30 offset0:4 offset1:5
	;; [unrolled: 1-line block ×6, first 2 shown]
	ds_read_b32 v1, v30 offset:56
	s_waitcnt lgkmcnt(0)
	s_barrier
	s_waitcnt lgkmcnt(0)
                                        ; implicit-def: $vgpr32
	s_and_saveexec_b64 s[34:35], vcc
	s_cbranch_execnz .LBB1123_61
; %bb.38:
	s_or_b64 exec, exec, s[34:35]
                                        ; implicit-def: $vgpr33
	s_and_saveexec_b64 s[34:35], s[4:5]
	s_cbranch_execnz .LBB1123_62
.LBB1123_39:
	s_or_b64 exec, exec, s[34:35]
                                        ; implicit-def: $vgpr34
	s_and_saveexec_b64 s[4:5], s[6:7]
	s_cbranch_execnz .LBB1123_63
.LBB1123_40:
	s_or_b64 exec, exec, s[4:5]
                                        ; implicit-def: $vgpr36
	s_and_saveexec_b64 s[4:5], s[8:9]
	s_cbranch_execnz .LBB1123_64
.LBB1123_41:
	s_or_b64 exec, exec, s[4:5]
                                        ; implicit-def: $vgpr37
	s_and_saveexec_b64 s[4:5], s[10:11]
	s_cbranch_execnz .LBB1123_65
.LBB1123_42:
	s_or_b64 exec, exec, s[4:5]
                                        ; implicit-def: $vgpr2
	s_and_saveexec_b64 s[4:5], s[12:13]
	s_cbranch_execnz .LBB1123_66
.LBB1123_43:
	s_or_b64 exec, exec, s[4:5]
                                        ; implicit-def: $vgpr3
	s_and_saveexec_b64 s[4:5], s[14:15]
	s_cbranch_execnz .LBB1123_67
.LBB1123_44:
	s_or_b64 exec, exec, s[4:5]
                                        ; implicit-def: $vgpr4
	s_and_saveexec_b64 s[4:5], s[16:17]
	s_cbranch_execnz .LBB1123_68
.LBB1123_45:
	s_or_b64 exec, exec, s[4:5]
                                        ; implicit-def: $vgpr5
	s_and_saveexec_b64 s[4:5], s[18:19]
	s_cbranch_execnz .LBB1123_69
.LBB1123_46:
	s_or_b64 exec, exec, s[4:5]
                                        ; implicit-def: $vgpr6
	s_and_saveexec_b64 s[4:5], s[20:21]
	s_cbranch_execnz .LBB1123_70
.LBB1123_47:
	s_or_b64 exec, exec, s[4:5]
                                        ; implicit-def: $vgpr7
	s_and_saveexec_b64 s[4:5], s[22:23]
	s_cbranch_execnz .LBB1123_71
.LBB1123_48:
	s_or_b64 exec, exec, s[4:5]
                                        ; implicit-def: $vgpr25
	s_and_saveexec_b64 s[4:5], s[24:25]
	s_cbranch_execnz .LBB1123_72
.LBB1123_49:
	s_or_b64 exec, exec, s[4:5]
                                        ; implicit-def: $vgpr26
	s_and_saveexec_b64 s[4:5], s[26:27]
	s_cbranch_execnz .LBB1123_73
.LBB1123_50:
	s_or_b64 exec, exec, s[4:5]
                                        ; implicit-def: $vgpr27
	s_and_saveexec_b64 s[4:5], s[28:29]
	s_cbranch_execnz .LBB1123_74
.LBB1123_51:
	s_or_b64 exec, exec, s[4:5]
                                        ; implicit-def: $vgpr28
	s_and_saveexec_b64 s[4:5], s[30:31]
	s_cbranch_execz .LBB1123_53
.LBB1123_52:
	v_add_co_u32_e32 v22, vcc, v22, v29
	v_addc_co_u32_e32 v23, vcc, 0, v23, vcc
	flat_load_dword v28, v[22:23]
.LBB1123_53:
	s_or_b64 exec, exec, s[4:5]
	s_waitcnt vmcnt(0) lgkmcnt(0)
	ds_write2st64_b32 v24, v32, v33 offset1:4
	ds_write2st64_b32 v24, v34, v36 offset0:8 offset1:12
	ds_write2st64_b32 v24, v37, v2 offset0:16 offset1:20
	ds_write2st64_b32 v24, v3, v4 offset0:24 offset1:28
	ds_write2st64_b32 v24, v5, v6 offset0:32 offset1:36
	ds_write2st64_b32 v24, v7, v25 offset0:40 offset1:44
	ds_write2st64_b32 v24, v26, v27 offset0:48 offset1:52
	ds_write_b32 v24, v28 offset:14336
	v_mov_b32_e32 v26, v20
	v_mov_b32_e32 v27, v18
	;; [unrolled: 1-line block ×7, first 2 shown]
	s_waitcnt lgkmcnt(0)
	s_barrier
.LBB1123_54:
	ds_read2_b32 v[48:49], v30 offset1:1
	ds_read2_b32 v[42:43], v30 offset0:2 offset1:3
	ds_read2_b32 v[36:37], v30 offset0:4 offset1:5
	;; [unrolled: 1-line block ×6, first 2 shown]
	ds_read_b32 v82, v30 offset:56
	s_cmp_eq_u64 s[40:41], 0
	s_cselect_b64 s[38:39], -1, 0
	s_cmp_lg_u64 s[40:41], 0
	s_mov_b64 s[34:35], 0
	s_cselect_b64 s[6:7], -1, 0
	s_and_b64 vcc, exec, s[48:49]
	s_waitcnt lgkmcnt(0)
	s_barrier
	s_cbranch_vccz .LBB1123_60
; %bb.55:
	s_and_b64 vcc, exec, s[6:7]
	s_cbranch_vccz .LBB1123_75
; %bb.56:
	v_add_co_u32_e32 v38, vcc, -4, v31
	v_addc_co_u32_e32 v39, vcc, -1, v35, vcc
	flat_load_dword v7, v[38:39]
	v_lshlrev_b32_e32 v30, 2, v0
	ds_write_b32 v30, v1
	s_waitcnt lgkmcnt(0)
	s_barrier
	s_and_saveexec_b64 s[4:5], s[2:3]
	s_cbranch_execz .LBB1123_58
; %bb.57:
	s_waitcnt vmcnt(0)
	v_add_u32_e32 v7, -4, v30
	ds_read_b32 v7, v7
.LBB1123_58:
	s_or_b64 exec, exec, s[4:5]
	v_cmp_ne_u32_e32 vcc, v26, v21
	v_cndmask_b32_e64 v79, 0, 1, vcc
	v_cmp_ne_u32_e32 vcc, v27, v21
	v_cndmask_b32_e64 v78, 0, 1, vcc
	;; [unrolled: 2-line block ×14, first 2 shown]
	s_waitcnt vmcnt(0) lgkmcnt(0)
	v_cmp_ne_u32_e64 s[4:5], v7, v20
	s_mov_b64 s[34:35], -1
.LBB1123_59:
                                        ; implicit-def: $sgpr10
	s_branch .LBB1123_87
.LBB1123_60:
                                        ; implicit-def: $sgpr4_sgpr5
                                        ; implicit-def: $vgpr66
                                        ; implicit-def: $vgpr67
                                        ; implicit-def: $vgpr68
                                        ; implicit-def: $vgpr69
                                        ; implicit-def: $vgpr70
                                        ; implicit-def: $vgpr71
                                        ; implicit-def: $vgpr72
                                        ; implicit-def: $vgpr73
                                        ; implicit-def: $vgpr74
                                        ; implicit-def: $vgpr75
                                        ; implicit-def: $vgpr76
                                        ; implicit-def: $vgpr77
                                        ; implicit-def: $vgpr78
                                        ; implicit-def: $vgpr79
                                        ; implicit-def: $sgpr10
	s_cbranch_execnz .LBB1123_79
	s_branch .LBB1123_87
.LBB1123_61:
	v_add_co_u32_e32 v32, vcc, v22, v24
	v_addc_co_u32_e32 v33, vcc, 0, v23, vcc
	flat_load_dword v32, v[32:33]
	s_or_b64 exec, exec, s[34:35]
                                        ; implicit-def: $vgpr33
	s_and_saveexec_b64 s[34:35], s[4:5]
	s_cbranch_execz .LBB1123_39
.LBB1123_62:
	v_add_co_u32_e32 v36, vcc, v22, v24
	v_addc_co_u32_e32 v37, vcc, 0, v23, vcc
	flat_load_dword v33, v[36:37] offset:1024
	s_or_b64 exec, exec, s[34:35]
                                        ; implicit-def: $vgpr34
	s_and_saveexec_b64 s[4:5], s[6:7]
	s_cbranch_execz .LBB1123_40
.LBB1123_63:
	v_add_co_u32_e32 v36, vcc, v22, v24
	v_addc_co_u32_e32 v37, vcc, 0, v23, vcc
	flat_load_dword v34, v[36:37] offset:2048
	s_or_b64 exec, exec, s[4:5]
                                        ; implicit-def: $vgpr36
	s_and_saveexec_b64 s[4:5], s[8:9]
	s_cbranch_execz .LBB1123_41
.LBB1123_64:
	v_add_co_u32_e32 v36, vcc, v22, v24
	v_addc_co_u32_e32 v37, vcc, 0, v23, vcc
	flat_load_dword v36, v[36:37] offset:3072
	s_or_b64 exec, exec, s[4:5]
                                        ; implicit-def: $vgpr37
	s_and_saveexec_b64 s[4:5], s[10:11]
	s_cbranch_execz .LBB1123_42
.LBB1123_65:
	v_add_co_u32_e32 v38, vcc, v22, v2
	v_addc_co_u32_e32 v39, vcc, 0, v23, vcc
	flat_load_dword v37, v[38:39]
	s_or_b64 exec, exec, s[4:5]
                                        ; implicit-def: $vgpr2
	s_and_saveexec_b64 s[4:5], s[12:13]
	s_cbranch_execz .LBB1123_43
.LBB1123_66:
	v_add_co_u32_e32 v2, vcc, v22, v3
	v_addc_co_u32_e32 v3, vcc, 0, v23, vcc
	flat_load_dword v2, v[2:3]
	s_or_b64 exec, exec, s[4:5]
                                        ; implicit-def: $vgpr3
	s_and_saveexec_b64 s[4:5], s[14:15]
	s_cbranch_execz .LBB1123_44
.LBB1123_67:
	v_add_co_u32_e32 v38, vcc, v22, v4
	v_addc_co_u32_e32 v39, vcc, 0, v23, vcc
	flat_load_dword v3, v[38:39]
	s_or_b64 exec, exec, s[4:5]
                                        ; implicit-def: $vgpr4
	s_and_saveexec_b64 s[4:5], s[16:17]
	s_cbranch_execz .LBB1123_45
.LBB1123_68:
	v_add_co_u32_e32 v4, vcc, v22, v5
	v_addc_co_u32_e32 v5, vcc, 0, v23, vcc
	flat_load_dword v4, v[4:5]
	s_or_b64 exec, exec, s[4:5]
                                        ; implicit-def: $vgpr5
	s_and_saveexec_b64 s[4:5], s[18:19]
	s_cbranch_execz .LBB1123_46
.LBB1123_69:
	v_add_co_u32_e32 v38, vcc, v22, v6
	v_addc_co_u32_e32 v39, vcc, 0, v23, vcc
	flat_load_dword v5, v[38:39]
	s_or_b64 exec, exec, s[4:5]
                                        ; implicit-def: $vgpr6
	s_and_saveexec_b64 s[4:5], s[20:21]
	s_cbranch_execz .LBB1123_47
.LBB1123_70:
	v_add_co_u32_e32 v6, vcc, v22, v7
	v_addc_co_u32_e32 v7, vcc, 0, v23, vcc
	flat_load_dword v6, v[6:7]
	s_or_b64 exec, exec, s[4:5]
                                        ; implicit-def: $vgpr7
	s_and_saveexec_b64 s[4:5], s[22:23]
	s_cbranch_execz .LBB1123_48
.LBB1123_71:
	v_add_co_u32_e32 v38, vcc, v22, v25
	v_addc_co_u32_e32 v39, vcc, 0, v23, vcc
	flat_load_dword v7, v[38:39]
	s_or_b64 exec, exec, s[4:5]
                                        ; implicit-def: $vgpr25
	s_and_saveexec_b64 s[4:5], s[24:25]
	s_cbranch_execz .LBB1123_49
.LBB1123_72:
	v_add_co_u32_e32 v38, vcc, v22, v26
	v_addc_co_u32_e32 v39, vcc, 0, v23, vcc
	flat_load_dword v25, v[38:39]
	s_or_b64 exec, exec, s[4:5]
                                        ; implicit-def: $vgpr26
	s_and_saveexec_b64 s[4:5], s[26:27]
	s_cbranch_execz .LBB1123_50
.LBB1123_73:
	v_add_co_u32_e32 v26, vcc, v22, v27
	v_addc_co_u32_e32 v27, vcc, 0, v23, vcc
	flat_load_dword v26, v[26:27]
	s_or_b64 exec, exec, s[4:5]
                                        ; implicit-def: $vgpr27
	s_and_saveexec_b64 s[4:5], s[28:29]
	s_cbranch_execz .LBB1123_51
.LBB1123_74:
	v_add_co_u32_e32 v38, vcc, v22, v28
	v_addc_co_u32_e32 v39, vcc, 0, v23, vcc
	flat_load_dword v27, v[38:39]
	s_or_b64 exec, exec, s[4:5]
                                        ; implicit-def: $vgpr28
	s_and_saveexec_b64 s[4:5], s[30:31]
	s_cbranch_execnz .LBB1123_52
	s_branch .LBB1123_53
.LBB1123_75:
                                        ; implicit-def: $sgpr4_sgpr5
                                        ; implicit-def: $vgpr66
                                        ; implicit-def: $vgpr67
                                        ; implicit-def: $vgpr68
                                        ; implicit-def: $vgpr69
                                        ; implicit-def: $vgpr70
                                        ; implicit-def: $vgpr71
                                        ; implicit-def: $vgpr72
                                        ; implicit-def: $vgpr73
                                        ; implicit-def: $vgpr74
                                        ; implicit-def: $vgpr75
                                        ; implicit-def: $vgpr76
                                        ; implicit-def: $vgpr77
                                        ; implicit-def: $vgpr78
                                        ; implicit-def: $vgpr79
	s_cbranch_execz .LBB1123_59
; %bb.76:
	v_cmp_ne_u32_e32 vcc, v21, v26
	v_cndmask_b32_e64 v79, 0, 1, vcc
	v_cmp_ne_u32_e32 vcc, v21, v27
	v_cndmask_b32_e64 v78, 0, 1, vcc
	;; [unrolled: 2-line block ×13, first 2 shown]
	v_cmp_ne_u32_e32 vcc, v9, v1
	v_lshlrev_b32_e32 v7, 2, v0
	v_cndmask_b32_e64 v66, 0, 1, vcc
	ds_write_b32 v7, v1
	s_waitcnt lgkmcnt(0)
	s_barrier
	s_waitcnt lgkmcnt(0)
                                        ; implicit-def: $sgpr4_sgpr5
	s_and_saveexec_b64 s[8:9], s[2:3]
	s_xor_b64 s[8:9], exec, s[8:9]
	s_cbranch_execz .LBB1123_78
; %bb.77:
	v_add_u32_e32 v2, -4, v7
	ds_read_b32 v2, v2
	s_or_b64 s[34:35], s[34:35], exec
	s_waitcnt lgkmcnt(0)
	v_cmp_ne_u32_e32 vcc, v2, v20
	s_and_b64 s[4:5], vcc, exec
.LBB1123_78:
	s_or_b64 exec, exec, s[8:9]
	s_mov_b32 s10, 1
	s_branch .LBB1123_87
.LBB1123_79:
	s_mul_hi_u32 s5, s40, 0xfffff100
	s_mul_i32 s4, s41, 0xfffff100
	s_sub_i32 s5, s5, s40
	s_add_i32 s5, s5, s4
	s_mul_i32 s4, s40, 0xfffff100
	s_add_u32 s40, s4, s56
	s_addc_u32 s41, s5, s57
	s_and_b64 vcc, exec, s[6:7]
	v_cmp_ne_u32_e64 s[30:31], v9, v1
	v_cmp_ne_u32_e64 s[28:29], v8, v9
	;; [unrolled: 1-line block ×14, first 2 shown]
	v_mad_u32_u24 v2, v0, 15, 14
	v_mad_u32_u24 v56, v0, 15, 13
	;; [unrolled: 1-line block ×14, first 2 shown]
	s_cbranch_vccz .LBB1123_84
; %bb.80:
	v_add_co_u32_e32 v58, vcc, -4, v31
	v_addc_co_u32_e32 v59, vcc, -1, v35, vcc
	flat_load_dword v60, v[58:59]
	v_mov_b32_e32 v3, 0
	v_cmp_gt_u64_e32 vcc, s[40:41], v[2:3]
	v_mov_b32_e32 v57, v3
	s_and_b64 s[30:31], vcc, s[30:31]
	v_cmp_gt_u64_e32 vcc, s[40:41], v[56:57]
	v_mov_b32_e32 v55, v3
	s_and_b64 s[28:29], vcc, s[28:29]
	;; [unrolled: 3-line block ×13, first 2 shown]
	v_cmp_gt_u64_e32 vcc, s[40:41], v[4:5]
	v_lshlrev_b32_e32 v59, 2, v0
	v_mul_u32_u24_e32 v58, 15, v0
	s_and_b64 s[4:5], vcc, s[4:5]
	ds_write_b32 v59, v1
	s_waitcnt lgkmcnt(0)
	s_barrier
	s_and_saveexec_b64 s[34:35], s[2:3]
	s_cbranch_execz .LBB1123_82
; %bb.81:
	v_add_u32_e32 v5, -4, v59
	s_waitcnt vmcnt(0)
	ds_read_b32 v60, v5
.LBB1123_82:
	s_or_b64 exec, exec, s[34:35]
	v_mov_b32_e32 v59, v3
	v_cndmask_b32_e64 v79, 0, 1, s[4:5]
	v_cmp_gt_u64_e32 vcc, s[40:41], v[58:59]
	s_waitcnt vmcnt(0) lgkmcnt(0)
	v_cmp_ne_u32_e64 s[4:5], v60, v20
	v_cndmask_b32_e64 v66, 0, 1, s[30:31]
	v_cndmask_b32_e64 v67, 0, 1, s[28:29]
	;; [unrolled: 1-line block ×13, first 2 shown]
	s_and_b64 s[4:5], vcc, s[4:5]
	s_mov_b64 s[34:35], -1
.LBB1123_83:
                                        ; implicit-def: $sgpr10
	v_mov_b32_e32 v81, s10
	s_and_saveexec_b64 s[2:3], s[34:35]
	s_cbranch_execnz .LBB1123_88
	s_branch .LBB1123_89
.LBB1123_84:
                                        ; implicit-def: $sgpr4_sgpr5
                                        ; implicit-def: $vgpr66
                                        ; implicit-def: $vgpr67
                                        ; implicit-def: $vgpr68
                                        ; implicit-def: $vgpr69
                                        ; implicit-def: $vgpr70
                                        ; implicit-def: $vgpr71
                                        ; implicit-def: $vgpr72
                                        ; implicit-def: $vgpr73
                                        ; implicit-def: $vgpr74
                                        ; implicit-def: $vgpr75
                                        ; implicit-def: $vgpr76
                                        ; implicit-def: $vgpr77
                                        ; implicit-def: $vgpr78
                                        ; implicit-def: $vgpr79
	s_cbranch_execz .LBB1123_83
; %bb.85:
	v_mov_b32_e32 v3, 0
	v_cmp_gt_u64_e32 vcc, s[40:41], v[2:3]
	v_cmp_ne_u32_e64 s[4:5], v9, v1
	s_and_b64 s[4:5], vcc, s[4:5]
	v_mov_b32_e32 v57, v3
	v_cndmask_b32_e64 v66, 0, 1, s[4:5]
	v_cmp_gt_u64_e32 vcc, s[40:41], v[56:57]
	v_cmp_ne_u32_e64 s[4:5], v8, v9
	s_and_b64 s[4:5], vcc, s[4:5]
	v_mov_b32_e32 v55, v3
	v_cndmask_b32_e64 v67, 0, 1, s[4:5]
	;; [unrolled: 5-line block ×13, first 2 shown]
	v_cmp_gt_u64_e32 vcc, s[40:41], v[4:5]
	v_cmp_ne_u32_e64 s[4:5], v20, v21
	s_and_b64 s[4:5], vcc, s[4:5]
	v_lshlrev_b32_e32 v58, 2, v0
	s_mov_b32 s10, 1
	v_cndmask_b32_e64 v79, 0, 1, s[4:5]
	ds_write_b32 v58, v1
	s_waitcnt lgkmcnt(0)
	s_barrier
	s_waitcnt lgkmcnt(0)
                                        ; implicit-def: $sgpr4_sgpr5
	s_and_saveexec_b64 s[6:7], s[2:3]
	s_cbranch_execz .LBB1123_192
; %bb.86:
	v_add_u32_e32 v2, -4, v58
	ds_read_b32 v4, v2
	v_mul_u32_u24_e32 v2, 15, v0
	v_cmp_gt_u64_e32 vcc, s[40:41], v[2:3]
	s_or_b64 s[34:35], s[34:35], exec
	s_waitcnt lgkmcnt(0)
	v_cmp_ne_u32_e64 s[2:3], v4, v20
	s_and_b64 s[2:3], vcc, s[2:3]
	s_and_b64 s[4:5], s[2:3], exec
	s_or_b64 exec, exec, s[6:7]
.LBB1123_87:
	v_mov_b32_e32 v81, s10
	s_and_saveexec_b64 s[2:3], s[34:35]
.LBB1123_88:
	v_cndmask_b32_e64 v81, 0, 1, s[4:5]
.LBB1123_89:
	s_or_b64 exec, exec, s[2:3]
	s_cmp_eq_u64 s[46:47], 0
	v_add3_u32 v2, v79, v81, v78
	s_cselect_b64 s[34:35], -1, 0
	s_cmp_lg_u32 s62, 0
	v_cmp_eq_u32_e64 s[26:27], 0, v79
	v_cmp_eq_u32_e64 s[24:25], 0, v78
	;; [unrolled: 1-line block ×3, first 2 shown]
	v_add3_u32 v86, v2, v77, v76
	v_cmp_eq_u32_e64 s[20:21], 0, v76
	v_cmp_eq_u32_e64 s[18:19], 0, v75
	;; [unrolled: 1-line block ×10, first 2 shown]
	v_cmp_eq_u32_e32 vcc, 0, v66
	v_mbcnt_lo_u32_b32 v85, -1, 0
	v_lshrrev_b32_e32 v83, 6, v0
	v_or_b32_e32 v84, 63, v0
	s_cbranch_scc0 .LBB1123_116
; %bb.90:
	v_cndmask_b32_e64 v2, 0, v48, s[26:27]
	v_add_u32_e32 v2, v2, v49
	v_cndmask_b32_e64 v2, 0, v2, s[24:25]
	v_add_u32_e32 v2, v2, v42
	;; [unrolled: 2-line block ×11, first 2 shown]
	v_cndmask_b32_e64 v2, 0, v2, s[4:5]
	v_add3_u32 v3, v86, v75, v74
	v_add_u32_e32 v2, v2, v22
	v_add3_u32 v3, v3, v73, v72
	v_cndmask_b32_e64 v2, 0, v2, s[2:3]
	v_add3_u32 v3, v3, v71, v70
	v_add_u32_e32 v2, v2, v23
	v_add3_u32 v3, v3, v69, v68
	v_cndmask_b32_e32 v2, 0, v2, vcc
	v_add3_u32 v3, v3, v67, v66
	v_add_u32_e32 v2, v2, v82
	v_mbcnt_hi_u32_b32 v31, -1, v85
	v_and_b32_e32 v4, 15, v31
	v_mov_b32_dpp v6, v2 row_shr:1 row_mask:0xf bank_mask:0xf
	v_cmp_eq_u32_e32 vcc, 0, v3
	v_mov_b32_dpp v5, v3 row_shr:1 row_mask:0xf bank_mask:0xf
	v_cndmask_b32_e32 v6, 0, v6, vcc
	v_cmp_eq_u32_e32 vcc, 0, v4
	v_cndmask_b32_e64 v5, v5, 0, vcc
	v_add_u32_e32 v3, v5, v3
	v_cndmask_b32_e64 v5, v6, 0, vcc
	v_add_u32_e32 v2, v5, v2
	v_cmp_eq_u32_e32 vcc, 0, v3
	v_mov_b32_dpp v5, v3 row_shr:2 row_mask:0xf bank_mask:0xf
	v_cmp_lt_u32_e64 s[28:29], 1, v4
	v_mov_b32_dpp v6, v2 row_shr:2 row_mask:0xf bank_mask:0xf
	v_cndmask_b32_e64 v5, 0, v5, s[28:29]
	s_and_b64 vcc, s[28:29], vcc
	v_cndmask_b32_e32 v6, 0, v6, vcc
	v_add_u32_e32 v3, v3, v5
	v_add_u32_e32 v2, v6, v2
	v_cmp_eq_u32_e32 vcc, 0, v3
	v_mov_b32_dpp v5, v3 row_shr:4 row_mask:0xf bank_mask:0xf
	v_cmp_lt_u32_e64 s[28:29], 3, v4
	v_mov_b32_dpp v6, v2 row_shr:4 row_mask:0xf bank_mask:0xf
	v_cndmask_b32_e64 v5, 0, v5, s[28:29]
	s_and_b64 vcc, s[28:29], vcc
	v_cndmask_b32_e32 v6, 0, v6, vcc
	v_add_u32_e32 v3, v5, v3
	v_add_u32_e32 v2, v2, v6
	v_cmp_eq_u32_e32 vcc, 0, v3
	v_cmp_lt_u32_e64 s[28:29], 7, v4
	v_mov_b32_dpp v5, v3 row_shr:8 row_mask:0xf bank_mask:0xf
	v_mov_b32_dpp v6, v2 row_shr:8 row_mask:0xf bank_mask:0xf
	s_and_b64 vcc, s[28:29], vcc
	v_cndmask_b32_e64 v4, 0, v5, s[28:29]
	v_cndmask_b32_e32 v5, 0, v6, vcc
	v_add_u32_e32 v2, v5, v2
	v_add_u32_e32 v3, v4, v3
	v_bfe_i32 v6, v31, 4, 1
	v_mov_b32_dpp v5, v2 row_bcast:15 row_mask:0xf bank_mask:0xf
	v_mov_b32_dpp v4, v3 row_bcast:15 row_mask:0xf bank_mask:0xf
	v_cmp_eq_u32_e32 vcc, 0, v3
	v_cndmask_b32_e32 v5, 0, v5, vcc
	v_and_b32_e32 v4, v6, v4
	v_add_u32_e32 v3, v4, v3
	v_and_b32_e32 v4, v6, v5
	v_add_u32_e32 v4, v4, v2
	v_mov_b32_dpp v2, v3 row_bcast:31 row_mask:0xf bank_mask:0xf
	v_cmp_eq_u32_e32 vcc, 0, v3
	v_cmp_lt_u32_e64 s[28:29], 31, v31
	v_mov_b32_dpp v5, v4 row_bcast:31 row_mask:0xf bank_mask:0xf
	v_cndmask_b32_e64 v2, 0, v2, s[28:29]
	s_and_b64 vcc, s[28:29], vcc
	v_add_u32_e32 v2, v2, v3
	v_cndmask_b32_e32 v3, 0, v5, vcc
	v_add_u32_e32 v3, v3, v4
	v_cmp_eq_u32_e32 vcc, v84, v0
	v_lshlrev_b32_e32 v4, 3, v83
	s_and_saveexec_b64 s[28:29], vcc
	s_cbranch_execz .LBB1123_92
; %bb.91:
	ds_write_b64 v4, v[2:3] offset:2064
.LBB1123_92:
	s_or_b64 exec, exec, s[28:29]
	v_cmp_gt_u32_e32 vcc, 4, v0
	s_waitcnt lgkmcnt(0)
	s_barrier
	s_and_saveexec_b64 s[30:31], vcc
	s_cbranch_execz .LBB1123_94
; %bb.93:
	v_lshlrev_b32_e32 v5, 3, v0
	ds_read_b64 v[6:7], v5 offset:2064
	v_and_b32_e32 v26, 3, v31
	v_cmp_lt_u32_e64 s[28:29], 1, v26
	s_waitcnt lgkmcnt(0)
	v_mov_b32_dpp v30, v7 row_shr:1 row_mask:0xf bank_mask:0xf
	v_cmp_eq_u32_e32 vcc, 0, v6
	v_mov_b32_dpp v27, v6 row_shr:1 row_mask:0xf bank_mask:0xf
	v_cndmask_b32_e32 v30, 0, v30, vcc
	v_cmp_eq_u32_e32 vcc, 0, v26
	v_cndmask_b32_e64 v27, v27, 0, vcc
	v_add_u32_e32 v6, v27, v6
	v_cndmask_b32_e64 v27, v30, 0, vcc
	v_add_u32_e32 v7, v27, v7
	v_cmp_eq_u32_e32 vcc, 0, v6
	v_mov_b32_dpp v27, v6 row_shr:2 row_mask:0xf bank_mask:0xf
	v_mov_b32_dpp v30, v7 row_shr:2 row_mask:0xf bank_mask:0xf
	v_cndmask_b32_e64 v26, 0, v27, s[28:29]
	s_and_b64 vcc, s[28:29], vcc
	v_add_u32_e32 v6, v26, v6
	v_cndmask_b32_e32 v26, 0, v30, vcc
	v_add_u32_e32 v7, v26, v7
	ds_write_b64 v5, v[6:7] offset:2064
.LBB1123_94:
	s_or_b64 exec, exec, s[30:31]
	v_cmp_gt_u32_e32 vcc, 64, v0
	v_cmp_lt_u32_e64 s[28:29], 63, v0
	v_mov_b32_e32 v26, 0
	v_mov_b32_e32 v27, 0
	s_waitcnt lgkmcnt(0)
	s_barrier
	s_and_saveexec_b64 s[30:31], s[28:29]
	s_cbranch_execz .LBB1123_96
; %bb.95:
	ds_read_b64 v[26:27], v4 offset:2056
	v_cmp_eq_u32_e64 s[28:29], 0, v2
	s_waitcnt lgkmcnt(0)
	v_add_u32_e32 v4, v26, v2
	v_cndmask_b32_e64 v2, 0, v27, s[28:29]
	v_add_u32_e32 v3, v2, v3
	v_mov_b32_e32 v2, v4
.LBB1123_96:
	s_or_b64 exec, exec, s[30:31]
	v_add_u32_e32 v4, -1, v31
	v_and_b32_e32 v5, 64, v31
	v_cmp_lt_i32_e64 s[28:29], v4, v5
	v_cndmask_b32_e64 v4, v4, v31, s[28:29]
	v_lshlrev_b32_e32 v4, 2, v4
	ds_bpermute_b32 v40, v4, v2
	ds_bpermute_b32 v41, v4, v3
	v_cmp_eq_u32_e64 s[28:29], 0, v31
	s_and_saveexec_b64 s[40:41], vcc
	s_cbranch_execz .LBB1123_115
; %bb.97:
	v_mov_b32_e32 v7, 0
	ds_read_b64 v[2:3], v7 offset:2088
	s_waitcnt lgkmcnt(0)
	v_readfirstlane_b32 s48, v2
	v_readfirstlane_b32 s49, v3
	s_and_saveexec_b64 s[30:31], s[28:29]
	s_cbranch_execz .LBB1123_99
; %bb.98:
	s_add_i32 s46, s62, 64
	s_mov_b32 s47, 0
	s_lshl_b64 s[50:51], s[46:47], 4
	s_add_u32 s50, s44, s50
	s_addc_u32 s51, s45, s51
	s_and_b32 s57, s49, 0xff000000
	s_mov_b32 s56, s47
	s_and_b32 s65, s49, 0xff0000
	s_mov_b32 s64, s47
	s_or_b64 s[56:57], s[64:65], s[56:57]
	s_and_b32 s65, s49, 0xff00
	s_or_b64 s[56:57], s[56:57], s[64:65]
	s_and_b32 s65, s49, 0xff
	s_or_b64 s[46:47], s[56:57], s[64:65]
	v_mov_b32_e32 v4, s48
	v_mov_b32_e32 v5, s47
	;; [unrolled: 1-line block ×3, first 2 shown]
	v_pk_mov_b32 v[2:3], s[50:51], s[50:51] op_sel:[0,1]
	;;#ASMSTART
	global_store_dwordx4 v[2:3], v[4:7] off	
s_waitcnt vmcnt(0)
	;;#ASMEND
.LBB1123_99:
	s_or_b64 exec, exec, s[30:31]
	v_xad_u32 v30, v31, -1, s62
	v_add_u32_e32 v6, 64, v30
	v_lshlrev_b64 v[2:3], 4, v[6:7]
	v_mov_b32_e32 v4, s45
	v_add_co_u32_e32 v34, vcc, s44, v2
	v_addc_co_u32_e32 v35, vcc, v4, v3, vcc
	;;#ASMSTART
	global_load_dwordx4 v[2:5], v[34:35] off glc	
s_waitcnt vmcnt(0)
	;;#ASMEND
	v_and_b32_e32 v5, 0xff, v3
	v_and_b32_e32 v6, 0xff00, v3
	;; [unrolled: 1-line block ×3, first 2 shown]
	v_or3_b32 v5, 0, v5, v6
	v_or3_b32 v2, v2, 0, 0
	v_and_b32_e32 v3, 0xff000000, v3
	v_or3_b32 v3, v5, v38, v3
	v_or3_b32 v2, v2, 0, 0
	v_cmp_eq_u16_sdwa s[46:47], v4, v7 src0_sel:BYTE_0 src1_sel:DWORD
	s_and_saveexec_b64 s[30:31], s[46:47]
	s_cbranch_execz .LBB1123_103
; %bb.100:
	s_mov_b64 s[46:47], 0
	v_mov_b32_e32 v6, 0
.LBB1123_101:                           ; =>This Inner Loop Header: Depth=1
	;;#ASMSTART
	global_load_dwordx4 v[2:5], v[34:35] off glc	
s_waitcnt vmcnt(0)
	;;#ASMEND
	v_cmp_ne_u16_sdwa s[50:51], v4, v6 src0_sel:BYTE_0 src1_sel:DWORD
	s_or_b64 s[46:47], s[50:51], s[46:47]
	s_andn2_b64 exec, exec, s[46:47]
	s_cbranch_execnz .LBB1123_101
; %bb.102:
	s_or_b64 exec, exec, s[46:47]
.LBB1123_103:
	s_or_b64 exec, exec, s[30:31]
	v_mov_b32_e32 v44, 2
	v_cmp_eq_u16_sdwa s[30:31], v4, v44 src0_sel:BYTE_0 src1_sel:DWORD
	v_lshlrev_b64 v[34:35], v31, -1
	v_and_b32_e32 v5, s31, v35
	v_and_b32_e32 v45, 63, v31
	v_or_b32_e32 v5, 0x80000000, v5
	v_cmp_ne_u32_e32 vcc, 63, v45
	v_and_b32_e32 v6, s30, v34
	v_ffbl_b32_e32 v5, v5
	v_addc_co_u32_e32 v7, vcc, 0, v31, vcc
	v_add_u32_e32 v5, 32, v5
	v_ffbl_b32_e32 v6, v6
	v_lshlrev_b32_e32 v46, 2, v7
	v_min_u32_e32 v5, v6, v5
	ds_bpermute_b32 v6, v46, v3
	v_cmp_eq_u32_e32 vcc, 0, v2
	v_cmp_lt_u32_e64 s[30:31], v45, v5
	ds_bpermute_b32 v7, v46, v2
	s_and_b64 vcc, s[30:31], vcc
	s_waitcnt lgkmcnt(1)
	v_cndmask_b32_e32 v6, 0, v6, vcc
	v_cmp_gt_u32_e32 vcc, 62, v45
	v_add_u32_e32 v3, v6, v3
	v_cndmask_b32_e64 v6, 0, 1, vcc
	v_lshlrev_b32_e32 v6, 1, v6
	v_add_lshl_u32 v47, v6, v31, 2
	s_waitcnt lgkmcnt(0)
	v_cndmask_b32_e64 v7, 0, v7, s[30:31]
	ds_bpermute_b32 v6, v47, v3
	v_add_u32_e32 v2, v7, v2
	ds_bpermute_b32 v7, v47, v2
	v_add_u32_e32 v50, 2, v45
	v_cmp_eq_u32_e32 vcc, 0, v2
	s_waitcnt lgkmcnt(1)
	v_cndmask_b32_e32 v6, 0, v6, vcc
	v_cmp_gt_u32_e32 vcc, v50, v5
	v_cndmask_b32_e64 v6, v6, 0, vcc
	v_add_u32_e32 v3, v6, v3
	s_waitcnt lgkmcnt(0)
	v_cndmask_b32_e64 v6, v7, 0, vcc
	v_cmp_gt_u32_e32 vcc, 60, v45
	v_cndmask_b32_e64 v7, 0, 1, vcc
	v_lshlrev_b32_e32 v7, 2, v7
	v_add_lshl_u32 v51, v7, v31, 2
	ds_bpermute_b32 v7, v51, v3
	v_add_u32_e32 v2, v2, v6
	ds_bpermute_b32 v6, v51, v2
	v_add_u32_e32 v52, 4, v45
	v_cmp_eq_u32_e32 vcc, 0, v2
	s_waitcnt lgkmcnt(1)
	v_cndmask_b32_e32 v7, 0, v7, vcc
	v_cmp_gt_u32_e32 vcc, v52, v5
	v_cndmask_b32_e64 v7, v7, 0, vcc
	s_waitcnt lgkmcnt(0)
	v_cndmask_b32_e64 v6, v6, 0, vcc
	v_cmp_gt_u32_e32 vcc, 56, v45
	v_add_u32_e32 v3, v3, v7
	v_cndmask_b32_e64 v7, 0, 1, vcc
	v_lshlrev_b32_e32 v7, 3, v7
	v_add_lshl_u32 v53, v7, v31, 2
	ds_bpermute_b32 v7, v53, v3
	v_add_u32_e32 v2, v2, v6
	ds_bpermute_b32 v6, v53, v2
	v_add_u32_e32 v54, 8, v45
	v_cmp_eq_u32_e32 vcc, 0, v2
	s_waitcnt lgkmcnt(1)
	v_cndmask_b32_e32 v7, 0, v7, vcc
	v_cmp_gt_u32_e32 vcc, v54, v5
	v_cndmask_b32_e64 v7, v7, 0, vcc
	s_waitcnt lgkmcnt(0)
	v_cndmask_b32_e64 v6, v6, 0, vcc
	v_cmp_gt_u32_e32 vcc, 48, v45
	v_add_u32_e32 v3, v3, v7
	;; [unrolled: 16-line block ×3, first 2 shown]
	v_cndmask_b32_e64 v7, 0, 1, vcc
	v_lshlrev_b32_e32 v7, 5, v7
	v_add_lshl_u32 v57, v7, v31, 2
	ds_bpermute_b32 v7, v57, v3
	v_add_u32_e32 v2, v2, v6
	ds_bpermute_b32 v6, v57, v2
	v_add_u32_e32 v58, 32, v45
	v_cmp_eq_u32_e32 vcc, 0, v2
	s_waitcnt lgkmcnt(1)
	v_cndmask_b32_e32 v7, 0, v7, vcc
	v_cmp_gt_u32_e32 vcc, v58, v5
	v_cndmask_b32_e64 v5, v7, 0, vcc
	v_add_u32_e32 v3, v5, v3
	s_waitcnt lgkmcnt(0)
	v_cndmask_b32_e64 v5, v6, 0, vcc
	v_add_u32_e32 v2, v5, v2
	v_mov_b32_e32 v31, 0
	s_branch .LBB1123_105
.LBB1123_104:                           ;   in Loop: Header=BB1123_105 Depth=1
	s_or_b64 exec, exec, s[30:31]
	v_cmp_eq_u16_sdwa s[30:31], v4, v44 src0_sel:BYTE_0 src1_sel:DWORD
	v_and_b32_e32 v5, s31, v35
	v_or_b32_e32 v5, 0x80000000, v5
	v_and_b32_e32 v38, s30, v34
	v_ffbl_b32_e32 v5, v5
	v_add_u32_e32 v5, 32, v5
	v_ffbl_b32_e32 v38, v38
	v_min_u32_e32 v5, v38, v5
	ds_bpermute_b32 v38, v46, v3
	v_cmp_eq_u32_e32 vcc, 0, v2
	v_cmp_lt_u32_e64 s[30:31], v45, v5
	ds_bpermute_b32 v39, v46, v2
	s_and_b64 vcc, s[30:31], vcc
	s_waitcnt lgkmcnt(1)
	v_cndmask_b32_e32 v38, 0, v38, vcc
	v_add_u32_e32 v3, v38, v3
	ds_bpermute_b32 v38, v47, v3
	s_waitcnt lgkmcnt(1)
	v_cndmask_b32_e64 v39, 0, v39, s[30:31]
	v_add_u32_e32 v2, v39, v2
	v_cmp_eq_u32_e32 vcc, 0, v2
	ds_bpermute_b32 v39, v47, v2
	s_waitcnt lgkmcnt(1)
	v_cndmask_b32_e32 v38, 0, v38, vcc
	v_cmp_gt_u32_e32 vcc, v50, v5
	v_cndmask_b32_e64 v38, v38, 0, vcc
	v_add_u32_e32 v3, v38, v3
	ds_bpermute_b32 v38, v51, v3
	s_waitcnt lgkmcnt(1)
	v_cndmask_b32_e64 v39, v39, 0, vcc
	v_add_u32_e32 v2, v2, v39
	v_cmp_eq_u32_e32 vcc, 0, v2
	ds_bpermute_b32 v39, v51, v2
	s_waitcnt lgkmcnt(1)
	v_cndmask_b32_e32 v38, 0, v38, vcc
	v_cmp_gt_u32_e32 vcc, v52, v5
	v_cndmask_b32_e64 v38, v38, 0, vcc
	v_add_u32_e32 v3, v3, v38
	ds_bpermute_b32 v38, v53, v3
	s_waitcnt lgkmcnt(1)
	v_cndmask_b32_e64 v39, v39, 0, vcc
	v_add_u32_e32 v2, v2, v39
	ds_bpermute_b32 v39, v53, v2
	v_cmp_eq_u32_e32 vcc, 0, v2
	s_waitcnt lgkmcnt(1)
	v_cndmask_b32_e32 v38, 0, v38, vcc
	v_cmp_gt_u32_e32 vcc, v54, v5
	v_cndmask_b32_e64 v38, v38, 0, vcc
	v_add_u32_e32 v3, v3, v38
	ds_bpermute_b32 v38, v55, v3
	s_waitcnt lgkmcnt(1)
	v_cndmask_b32_e64 v39, v39, 0, vcc
	v_add_u32_e32 v2, v2, v39
	ds_bpermute_b32 v39, v55, v2
	v_cmp_eq_u32_e32 vcc, 0, v2
	;; [unrolled: 11-line block ×3, first 2 shown]
	s_waitcnt lgkmcnt(1)
	v_cndmask_b32_e32 v38, 0, v38, vcc
	v_cmp_gt_u32_e32 vcc, v58, v5
	v_cndmask_b32_e64 v5, v38, 0, vcc
	v_add_u32_e32 v3, v5, v3
	s_waitcnt lgkmcnt(0)
	v_cndmask_b32_e64 v5, v39, 0, vcc
	v_cmp_eq_u32_e32 vcc, 0, v6
	v_cndmask_b32_e32 v3, 0, v3, vcc
	v_subrev_u32_e32 v30, 64, v30
	v_add3_u32 v2, v2, v6, v5
	v_add_u32_e32 v3, v3, v7
.LBB1123_105:                           ; =>This Loop Header: Depth=1
                                        ;     Child Loop BB1123_108 Depth 2
	v_cmp_ne_u16_sdwa s[30:31], v4, v44 src0_sel:BYTE_0 src1_sel:DWORD
	v_mov_b32_e32 v7, v3
	v_cndmask_b32_e64 v3, 0, 1, s[30:31]
	;;#ASMSTART
	;;#ASMEND
	v_cmp_ne_u32_e32 vcc, 0, v3
	s_cmp_lg_u64 vcc, exec
	v_mov_b32_e32 v6, v2
	s_cbranch_scc1 .LBB1123_110
; %bb.106:                              ;   in Loop: Header=BB1123_105 Depth=1
	v_lshlrev_b64 v[2:3], 4, v[30:31]
	v_mov_b32_e32 v4, s45
	v_add_co_u32_e32 v38, vcc, s44, v2
	v_addc_co_u32_e32 v39, vcc, v4, v3, vcc
	;;#ASMSTART
	global_load_dwordx4 v[2:5], v[38:39] off glc	
s_waitcnt vmcnt(0)
	;;#ASMEND
	v_and_b32_e32 v5, 0xff, v3
	v_and_b32_e32 v59, 0xff00, v3
	;; [unrolled: 1-line block ×3, first 2 shown]
	v_or3_b32 v5, 0, v5, v59
	v_or3_b32 v2, v2, 0, 0
	v_and_b32_e32 v3, 0xff000000, v3
	v_or3_b32 v3, v5, v60, v3
	v_or3_b32 v2, v2, 0, 0
	v_cmp_eq_u16_sdwa s[46:47], v4, v31 src0_sel:BYTE_0 src1_sel:DWORD
	s_and_saveexec_b64 s[30:31], s[46:47]
	s_cbranch_execz .LBB1123_104
; %bb.107:                              ;   in Loop: Header=BB1123_105 Depth=1
	s_mov_b64 s[46:47], 0
.LBB1123_108:                           ;   Parent Loop BB1123_105 Depth=1
                                        ; =>  This Inner Loop Header: Depth=2
	;;#ASMSTART
	global_load_dwordx4 v[2:5], v[38:39] off glc	
s_waitcnt vmcnt(0)
	;;#ASMEND
	v_cmp_ne_u16_sdwa s[50:51], v4, v31 src0_sel:BYTE_0 src1_sel:DWORD
	s_or_b64 s[46:47], s[50:51], s[46:47]
	s_andn2_b64 exec, exec, s[46:47]
	s_cbranch_execnz .LBB1123_108
; %bb.109:                              ;   in Loop: Header=BB1123_105 Depth=1
	s_or_b64 exec, exec, s[46:47]
	s_branch .LBB1123_104
.LBB1123_110:                           ;   in Loop: Header=BB1123_105 Depth=1
                                        ; implicit-def: $vgpr3
                                        ; implicit-def: $vgpr2
                                        ; implicit-def: $vgpr4
	s_cbranch_execz .LBB1123_105
; %bb.111:
	s_and_saveexec_b64 s[30:31], s[28:29]
	s_cbranch_execz .LBB1123_113
; %bb.112:
	s_cmp_eq_u32 s48, 0
	s_cselect_b64 vcc, -1, 0
	s_mov_b32 s47, 0
	v_cndmask_b32_e32 v2, 0, v7, vcc
	s_add_i32 s46, s62, 64
	v_add_u32_e32 v2, s49, v2
	s_lshl_b64 s[46:47], s[46:47], 4
	s_add_u32 s46, s44, s46
	v_and_b32_e32 v3, 0xff000000, v2
	v_and_b32_e32 v4, 0xff0000, v2
	s_addc_u32 s47, s45, s47
	v_or_b32_e32 v3, v4, v3
	v_and_b32_e32 v4, 0xff00, v2
	v_and_b32_e32 v2, 0xff, v2
	v_add_u32_e32 v44, s48, v6
	v_mov_b32_e32 v47, 0
	v_or3_b32 v45, v3, v4, v2
	v_mov_b32_e32 v46, 2
	v_pk_mov_b32 v[2:3], s[46:47], s[46:47] op_sel:[0,1]
	;;#ASMSTART
	global_store_dwordx4 v[2:3], v[44:47] off	
s_waitcnt vmcnt(0)
	;;#ASMEND
	v_mov_b32_e32 v4, s48
	v_mov_b32_e32 v5, s49
	ds_write_b128 v47, v[4:7] offset:2048
.LBB1123_113:
	s_or_b64 exec, exec, s[30:31]
	s_and_b64 exec, exec, s[0:1]
	s_cbranch_execz .LBB1123_115
; %bb.114:
	v_mov_b32_e32 v2, 0
	ds_write_b64 v2, v[6:7] offset:2088
.LBB1123_115:
	s_or_b64 exec, exec, s[40:41]
	v_mov_b32_e32 v4, 0
	s_waitcnt lgkmcnt(0)
	s_barrier
	ds_read_b64 v[2:3], v4 offset:2088
	v_cndmask_b32_e64 v6, v40, v26, s[28:29]
	v_cmp_eq_u32_e32 vcc, 0, v6
	v_cndmask_b32_e64 v5, v41, v27, s[28:29]
	s_waitcnt lgkmcnt(0)
	v_cndmask_b32_e32 v7, 0, v3, vcc
	v_add_u32_e32 v5, v7, v5
	v_cndmask_b32_e64 v65, v5, v3, s[0:1]
	v_cndmask_b32_e64 v3, v6, 0, s[0:1]
	v_cmp_eq_u32_e32 vcc, 0, v81
	v_add_u32_e32 v64, v2, v3
	v_cndmask_b32_e32 v2, 0, v65, vcc
	v_add_u32_e32 v63, v2, v48
	v_cndmask_b32_e64 v2, 0, v63, s[26:27]
	v_add_u32_e32 v61, v2, v49
	v_cndmask_b32_e64 v2, 0, v61, s[24:25]
	v_add_u32_e32 v59, v2, v42
	v_cndmask_b32_e64 v2, 0, v59, s[22:23]
	v_add_u32_e32 v57, v2, v43
	v_cndmask_b32_e64 v2, 0, v57, s[20:21]
	v_add_u32_e32 v55, v2, v36
	v_cndmask_b32_e64 v2, 0, v55, s[18:19]
	v_add_u32_e32 v53, v2, v37
	v_cndmask_b32_e64 v2, 0, v53, s[16:17]
	v_add_u32_e32 v51, v2, v32
	v_cndmask_b32_e64 v2, 0, v51, s[14:15]
	v_add_u32_e32 v47, v2, v33
	v_cndmask_b32_e64 v2, 0, v47, s[12:13]
	v_add_u32_e32 v62, v64, v81
	v_add_u32_e32 v45, v2, v28
	v_add_u32_e32 v60, v62, v79
	v_cndmask_b32_e64 v2, 0, v45, s[10:11]
	v_add_u32_e32 v58, v60, v78
	v_add_u32_e32 v41, v2, v29
	v_add_u32_e32 v56, v58, v77
	v_cndmask_b32_e64 v2, 0, v41, s[8:9]
	;; [unrolled: 4-line block ×3, first 2 shown]
	v_add_u32_e32 v50, v52, v74
	v_add_u32_e32 v35, v2, v25
	s_barrier
	ds_read_b128 v[2:5], v4 offset:2048
	v_add_u32_e32 v46, v50, v73
	v_add_u32_e32 v44, v46, v72
	;; [unrolled: 1-line block ×4, first 2 shown]
	v_cndmask_b32_e64 v6, 0, v35, s[4:5]
	v_add_u32_e32 v34, v38, v69
	v_add_u32_e32 v31, v6, v22
	s_waitcnt lgkmcnt(0)
	v_cmp_eq_u32_e32 vcc, 0, v2
	v_add_u32_e32 v30, v34, v68
	v_cndmask_b32_e64 v6, 0, v31, s[2:3]
	v_cndmask_b32_e32 v5, 0, v5, vcc
	v_add_u32_e32 v26, v30, v67
	v_add_u32_e32 v27, v6, v23
	v_add_u32_e32 v80, v5, v3
	s_branch .LBB1123_128
.LBB1123_116:
                                        ; implicit-def: $vgpr2
                                        ; implicit-def: $vgpr80
                                        ; implicit-def: $vgpr64_vgpr65
                                        ; implicit-def: $vgpr62_vgpr63
                                        ; implicit-def: $vgpr60_vgpr61
                                        ; implicit-def: $vgpr58_vgpr59
                                        ; implicit-def: $vgpr56_vgpr57
                                        ; implicit-def: $vgpr54_vgpr55
                                        ; implicit-def: $vgpr52_vgpr53
                                        ; implicit-def: $vgpr50_vgpr51
                                        ; implicit-def: $vgpr46_vgpr47
                                        ; implicit-def: $vgpr44_vgpr45
                                        ; implicit-def: $vgpr40_vgpr41
                                        ; implicit-def: $vgpr38_vgpr39
                                        ; implicit-def: $vgpr34_vgpr35
                                        ; implicit-def: $vgpr30_vgpr31
                                        ; implicit-def: $vgpr26_vgpr27
	s_cbranch_execz .LBB1123_128
; %bb.117:
	s_and_b64 s[2:3], s[34:35], exec
	s_cselect_b32 s3, 0, s61
	s_cselect_b32 s2, 0, s60
	s_cmp_eq_u64 s[2:3], 0
	v_mov_b32_e32 v6, v48
	s_cbranch_scc1 .LBB1123_119
; %bb.118:
	v_mov_b32_e32 v2, 0
	global_load_dword v6, v2, s[2:3]
.LBB1123_119:
	v_cmp_eq_u32_e64 s[2:3], 0, v79
	v_cndmask_b32_e64 v2, 0, v48, s[2:3]
	v_add_u32_e32 v2, v2, v49
	v_cmp_eq_u32_e64 s[4:5], 0, v78
	v_cndmask_b32_e64 v2, 0, v2, s[4:5]
	v_add_u32_e32 v2, v2, v42
	;; [unrolled: 3-line block ×11, first 2 shown]
	v_cmp_eq_u32_e64 s[24:25], 0, v68
	v_cndmask_b32_e64 v2, 0, v2, s[24:25]
	v_add3_u32 v3, v86, v75, v74
	v_add_u32_e32 v2, v2, v22
	v_cmp_eq_u32_e32 vcc, 0, v67
	v_add3_u32 v3, v3, v73, v72
	v_cndmask_b32_e32 v2, 0, v2, vcc
	v_add3_u32 v3, v3, v71, v70
	v_add_u32_e32 v2, v2, v23
	v_cmp_eq_u32_e64 s[26:27], 0, v66
	v_add3_u32 v3, v3, v69, v68
	v_cndmask_b32_e64 v2, 0, v2, s[26:27]
	v_add3_u32 v3, v3, v67, v66
	v_add_u32_e32 v2, v2, v82
	v_mbcnt_hi_u32_b32 v7, -1, v85
	v_and_b32_e32 v4, 15, v7
	v_mov_b32_dpp v26, v2 row_shr:1 row_mask:0xf bank_mask:0xf
	v_cmp_eq_u32_e64 s[26:27], 0, v3
	v_mov_b32_dpp v5, v3 row_shr:1 row_mask:0xf bank_mask:0xf
	v_cndmask_b32_e64 v26, 0, v26, s[26:27]
	v_cmp_eq_u32_e64 s[26:27], 0, v4
	v_cndmask_b32_e64 v5, v5, 0, s[26:27]
	v_add_u32_e32 v3, v5, v3
	v_cndmask_b32_e64 v5, v26, 0, s[26:27]
	v_add_u32_e32 v2, v5, v2
	v_cmp_eq_u32_e64 s[26:27], 0, v3
	v_mov_b32_dpp v5, v3 row_shr:2 row_mask:0xf bank_mask:0xf
	v_cmp_lt_u32_e64 s[28:29], 1, v4
	v_mov_b32_dpp v26, v2 row_shr:2 row_mask:0xf bank_mask:0xf
	v_cndmask_b32_e64 v5, 0, v5, s[28:29]
	s_and_b64 s[26:27], s[28:29], s[26:27]
	v_cndmask_b32_e64 v26, 0, v26, s[26:27]
	v_add_u32_e32 v3, v3, v5
	v_add_u32_e32 v2, v26, v2
	v_cmp_eq_u32_e64 s[26:27], 0, v3
	v_mov_b32_dpp v5, v3 row_shr:4 row_mask:0xf bank_mask:0xf
	v_cmp_lt_u32_e64 s[28:29], 3, v4
	v_mov_b32_dpp v26, v2 row_shr:4 row_mask:0xf bank_mask:0xf
	v_cndmask_b32_e64 v5, 0, v5, s[28:29]
	s_and_b64 s[26:27], s[28:29], s[26:27]
	v_cndmask_b32_e64 v26, 0, v26, s[26:27]
	v_add_u32_e32 v3, v5, v3
	v_add_u32_e32 v2, v2, v26
	v_cmp_eq_u32_e64 s[26:27], 0, v3
	v_cmp_lt_u32_e64 s[28:29], 7, v4
	v_mov_b32_dpp v5, v3 row_shr:8 row_mask:0xf bank_mask:0xf
	v_mov_b32_dpp v26, v2 row_shr:8 row_mask:0xf bank_mask:0xf
	s_and_b64 s[26:27], s[28:29], s[26:27]
	v_cndmask_b32_e64 v4, 0, v5, s[28:29]
	v_cndmask_b32_e64 v5, 0, v26, s[26:27]
	v_add_u32_e32 v2, v5, v2
	v_add_u32_e32 v3, v4, v3
	v_bfe_i32 v26, v7, 4, 1
	v_mov_b32_dpp v5, v2 row_bcast:15 row_mask:0xf bank_mask:0xf
	v_mov_b32_dpp v4, v3 row_bcast:15 row_mask:0xf bank_mask:0xf
	v_cmp_eq_u32_e64 s[26:27], 0, v3
	v_cndmask_b32_e64 v5, 0, v5, s[26:27]
	v_and_b32_e32 v4, v26, v4
	v_add_u32_e32 v3, v4, v3
	v_and_b32_e32 v4, v26, v5
	v_add_u32_e32 v4, v4, v2
	v_mov_b32_dpp v2, v3 row_bcast:31 row_mask:0xf bank_mask:0xf
	v_cmp_eq_u32_e64 s[26:27], 0, v3
	v_cmp_lt_u32_e64 s[28:29], 31, v7
	v_mov_b32_dpp v5, v4 row_bcast:31 row_mask:0xf bank_mask:0xf
	v_cndmask_b32_e64 v2, 0, v2, s[28:29]
	s_and_b64 s[26:27], s[28:29], s[26:27]
	v_add_u32_e32 v2, v2, v3
	v_cndmask_b32_e64 v3, 0, v5, s[26:27]
	v_add_u32_e32 v3, v3, v4
	v_cmp_eq_u32_e64 s[26:27], v84, v0
	v_lshlrev_b32_e32 v5, 3, v83
	s_and_saveexec_b64 s[28:29], s[26:27]
	s_cbranch_execz .LBB1123_121
; %bb.120:
	ds_write_b64 v5, v[2:3] offset:2064
.LBB1123_121:
	s_or_b64 exec, exec, s[28:29]
	v_cmp_gt_u32_e64 s[26:27], 4, v0
	s_waitcnt lgkmcnt(0)
	s_barrier
	s_and_saveexec_b64 s[30:31], s[26:27]
	s_cbranch_execz .LBB1123_123
; %bb.122:
	v_lshlrev_b32_e32 v4, 3, v0
	ds_read_b64 v[26:27], v4 offset:2064
	v_and_b32_e32 v30, 3, v7
	v_cmp_lt_u32_e64 s[28:29], 1, v30
	s_waitcnt lgkmcnt(0)
	v_mov_b32_dpp v34, v27 row_shr:1 row_mask:0xf bank_mask:0xf
	v_cmp_eq_u32_e64 s[26:27], 0, v26
	v_mov_b32_dpp v31, v26 row_shr:1 row_mask:0xf bank_mask:0xf
	v_cndmask_b32_e64 v34, 0, v34, s[26:27]
	v_cmp_eq_u32_e64 s[26:27], 0, v30
	v_cndmask_b32_e64 v31, v31, 0, s[26:27]
	v_add_u32_e32 v26, v31, v26
	v_cndmask_b32_e64 v31, v34, 0, s[26:27]
	v_add_u32_e32 v27, v31, v27
	v_cmp_eq_u32_e64 s[26:27], 0, v26
	v_mov_b32_dpp v31, v26 row_shr:2 row_mask:0xf bank_mask:0xf
	v_mov_b32_dpp v34, v27 row_shr:2 row_mask:0xf bank_mask:0xf
	v_cndmask_b32_e64 v30, 0, v31, s[28:29]
	s_and_b64 s[26:27], s[28:29], s[26:27]
	v_add_u32_e32 v26, v30, v26
	v_cndmask_b32_e64 v30, 0, v34, s[26:27]
	v_add_u32_e32 v27, v30, v27
	ds_write_b64 v4, v[26:27] offset:2064
.LBB1123_123:
	s_or_b64 exec, exec, s[30:31]
	v_cmp_lt_u32_e64 s[26:27], 63, v0
	v_mov_b32_e32 v26, 0
	v_mov_b32_e32 v4, 0
	s_waitcnt vmcnt(0)
	v_mov_b32_e32 v27, v6
	s_waitcnt lgkmcnt(0)
	s_barrier
	s_and_saveexec_b64 s[28:29], s[26:27]
	s_cbranch_execz .LBB1123_125
; %bb.124:
	ds_read_b64 v[4:5], v5 offset:2056
	s_waitcnt lgkmcnt(0)
	v_cmp_eq_u32_e64 s[26:27], 0, v4
	v_cndmask_b32_e64 v27, 0, v6, s[26:27]
	v_add_u32_e32 v27, v27, v5
.LBB1123_125:
	s_or_b64 exec, exec, s[28:29]
	v_cmp_eq_u32_e64 s[26:27], 0, v2
	v_add_u32_e32 v5, v4, v2
	v_cndmask_b32_e64 v2, 0, v27, s[26:27]
	v_add_u32_e32 v2, v2, v3
	v_add_u32_e32 v3, -1, v7
	v_and_b32_e32 v30, 64, v7
	v_cmp_lt_i32_e64 s[26:27], v3, v30
	v_cndmask_b32_e64 v3, v3, v7, s[26:27]
	v_lshlrev_b32_e32 v3, 2, v3
	ds_bpermute_b32 v2, v3, v2
	ds_bpermute_b32 v5, v3, v5
	v_cmp_eq_u32_e64 s[26:27], 0, v7
	s_waitcnt lgkmcnt(1)
	v_cndmask_b32_e64 v2, v2, v27, s[26:27]
	s_waitcnt lgkmcnt(0)
	v_cndmask_b32_e64 v3, v5, v4, s[26:27]
	v_cndmask_b32_e64 v65, v2, v6, s[0:1]
	v_cmp_eq_u32_e64 s[26:27], 0, v81
	v_cndmask_b32_e64 v2, 0, v65, s[26:27]
	v_add_u32_e32 v63, v2, v48
	v_cndmask_b32_e64 v2, 0, v63, s[2:3]
	v_add_u32_e32 v61, v2, v49
	;; [unrolled: 2-line block ×8, first 2 shown]
	v_cndmask_b32_e64 v64, v3, 0, s[0:1]
	v_cndmask_b32_e64 v2, 0, v47, s[16:17]
	v_add_u32_e32 v62, v64, v81
	v_add_u32_e32 v45, v2, v28
	v_add_u32_e32 v60, v62, v79
	v_cndmask_b32_e64 v2, 0, v45, s[18:19]
	v_add_u32_e32 v58, v60, v78
	v_add_u32_e32 v41, v2, v29
	v_add_u32_e32 v56, v58, v77
	;; [unrolled: 4-line block ×3, first 2 shown]
	v_cndmask_b32_e64 v2, 0, v39, s[22:23]
	v_add_u32_e32 v50, v52, v74
	v_add_u32_e32 v35, v2, v25
	ds_read_b64 v[2:3], v26 offset:2088
	v_add_u32_e32 v46, v50, v73
	v_add_u32_e32 v44, v46, v72
	;; [unrolled: 1-line block ×3, first 2 shown]
	v_cndmask_b32_e64 v4, 0, v35, s[24:25]
	v_add_u32_e32 v38, v40, v70
	v_add_u32_e32 v31, v4, v22
	;; [unrolled: 1-line block ×3, first 2 shown]
	v_cndmask_b32_e32 v4, 0, v31, vcc
	s_waitcnt lgkmcnt(0)
	v_cmp_eq_u32_e32 vcc, 0, v2
	v_add_u32_e32 v30, v34, v68
	v_add_u32_e32 v27, v4, v23
	v_cndmask_b32_e32 v4, 0, v6, vcc
	v_add_u32_e32 v26, v30, v67
	v_add_u32_e32 v80, v4, v3
	s_and_saveexec_b64 s[2:3], s[0:1]
	s_cbranch_execz .LBB1123_127
; %bb.126:
	s_add_u32 s4, s44, 0x400
	v_and_b32_e32 v3, 0xff000000, v80
	v_and_b32_e32 v4, 0xff0000, v80
	s_addc_u32 s5, s45, 0
	v_or_b32_e32 v3, v4, v3
	v_and_b32_e32 v4, 0xff00, v80
	v_and_b32_e32 v6, 0xff, v80
	v_mov_b32_e32 v5, 0
	v_or3_b32 v3, v3, v4, v6
	v_mov_b32_e32 v4, 2
	v_pk_mov_b32 v[6:7], s[4:5], s[4:5] op_sel:[0,1]
	;;#ASMSTART
	global_store_dwordx4 v[6:7], v[2:5] off	
s_waitcnt vmcnt(0)
	;;#ASMEND
.LBB1123_127:
	s_or_b64 exec, exec, s[2:3]
	v_mov_b32_e32 v4, 0
.LBB1123_128:
	s_and_b64 s[2:3], s[34:35], exec
	s_cselect_b32 s3, 0, s59
	s_cselect_b32 s2, 0, s58
	s_cmp_eq_u64 s[2:3], 0
	v_pk_mov_b32 v[6:7], 0, 0
	s_barrier
	s_cbranch_scc1 .LBB1123_130
; %bb.129:
	v_mov_b32_e32 v3, 0
	global_load_dwordx2 v[6:7], v3, s[2:3]
.LBB1123_130:
	s_waitcnt vmcnt(0)
	v_lshlrev_b64 v[22:23], 2, v[6:7]
	v_mov_b32_e32 v3, s43
	v_add_co_u32_e32 v28, vcc, s42, v22
	v_mov_b32_e32 v5, 0
	v_addc_co_u32_e32 v29, vcc, v3, v23, vcc
	v_lshlrev_b64 v[24:25], 2, v[4:5]
	v_add_co_u32_e32 v3, vcc, v28, v24
	v_addc_co_u32_e32 v5, vcc, v29, v25, vcc
	v_cmp_eq_u32_e32 vcc, 0, v81
	v_cndmask_b32_e64 v28, 1, 2, vcc
	v_cmp_eq_u32_e32 vcc, 0, v79
	v_cndmask_b32_e64 v29, 1, 2, vcc
	v_cmp_eq_u32_e32 vcc, 0, v78
	v_and_b32_e32 v28, v29, v28
	v_cndmask_b32_e64 v29, 1, 2, vcc
	v_cmp_eq_u32_e32 vcc, 0, v77
	v_and_b32_e32 v28, v28, v29
	;; [unrolled: 3-line block ×13, first 2 shown]
	v_cndmask_b32_e64 v29, 1, 2, vcc
	s_movk_i32 s34, 0x100
	v_and_b32_e32 v28, v28, v29
	v_cmp_gt_u32_e32 vcc, s34, v2
	v_cmp_ne_u32_e64 s[30:31], 0, v81
	v_cmp_ne_u32_e64 s[28:29], 0, v79
	v_cmp_ne_u32_e64 s[26:27], 0, v78
	v_cmp_ne_u32_e64 s[24:25], 0, v77
	v_cmp_ne_u32_e64 s[22:23], 0, v76
	v_cmp_ne_u32_e64 s[20:21], 0, v75
	v_cmp_ne_u32_e64 s[18:19], 0, v74
	v_cmp_ne_u32_e64 s[16:17], 0, v73
	v_cmp_ne_u32_e64 s[14:15], 0, v72
	v_cmp_ne_u32_e64 s[12:13], 0, v71
	v_cmp_ne_u32_e64 s[10:11], 0, v70
	v_cmp_ne_u32_e64 s[8:9], 0, v69
	v_cmp_ne_u32_e64 s[6:7], 0, v68
	v_cmp_ne_u32_e64 s[4:5], 0, v67
	v_cmp_ne_u32_e64 s[2:3], 0, v66
	s_mov_b64 s[40:41], -1
	v_cmp_gt_i16_e64 s[34:35], 2, v28
	s_cbranch_vccz .LBB1123_137
; %bb.131:
	s_and_saveexec_b64 s[40:41], s[34:35]
	s_cbranch_execz .LBB1123_136
; %bb.132:
	v_cmp_ne_u16_e32 vcc, 1, v28
	s_mov_b64 s[42:43], 0
	s_and_saveexec_b64 s[34:35], vcc
	s_xor_b64 s[34:35], exec, s[34:35]
	s_cbranch_execnz .LBB1123_193
; %bb.133:
	s_andn2_saveexec_b64 s[34:35], s[34:35]
	s_cbranch_execnz .LBB1123_209
.LBB1123_134:
	s_or_b64 exec, exec, s[34:35]
	s_and_b64 exec, exec, s[42:43]
	s_cbranch_execz .LBB1123_136
.LBB1123_135:
	v_sub_u32_e32 v32, v26, v4
	v_mov_b32_e32 v33, 0
	v_lshlrev_b64 v[32:33], 2, v[32:33]
	v_add_co_u32_e32 v32, vcc, v3, v32
	v_addc_co_u32_e32 v33, vcc, v5, v33, vcc
	global_store_dword v[32:33], v1, off
.LBB1123_136:
	s_or_b64 exec, exec, s[40:41]
	s_mov_b64 s[40:41], 0
.LBB1123_137:
	s_and_b64 vcc, exec, s[40:41]
	s_cbranch_vccz .LBB1123_159
; %bb.138:
	v_cmp_gt_i16_e32 vcc, 2, v28
	s_and_saveexec_b64 s[34:35], vcc
	s_cbranch_execz .LBB1123_143
; %bb.139:
	v_cmp_ne_u16_e32 vcc, 1, v28
	s_mov_b64 s[42:43], 0
	s_and_saveexec_b64 s[40:41], vcc
	s_xor_b64 s[40:41], exec, s[40:41]
	s_cbranch_execnz .LBB1123_210
; %bb.140:
	s_andn2_saveexec_b64 s[2:3], s[40:41]
	s_cbranch_execnz .LBB1123_226
.LBB1123_141:
	s_or_b64 exec, exec, s[2:3]
	s_and_b64 exec, exec, s[42:43]
	s_cbranch_execz .LBB1123_143
.LBB1123_142:
	v_sub_u32_e32 v8, v26, v4
	v_lshlrev_b32_e32 v8, 2, v8
	ds_write_b32 v8, v1
.LBB1123_143:
	s_or_b64 exec, exec, s[34:35]
	v_cmp_lt_u32_e32 vcc, v0, v2
	s_waitcnt lgkmcnt(0)
	s_barrier
	s_and_saveexec_b64 s[4:5], vcc
	s_cbranch_execz .LBB1123_158
; %bb.144:
	v_xad_u32 v1, v0, -1, v2
	s_movk_i32 s2, 0x1700
	v_cmp_gt_u32_e64 s[6:7], s2, v1
	s_movk_i32 s2, 0x16ff
	v_cmp_lt_u32_e32 vcc, s2, v1
	v_mov_b32_e32 v8, v0
	s_and_saveexec_b64 s[8:9], vcc
	s_cbranch_execz .LBB1123_155
; %bb.145:
	v_sub_u32_e32 v8, v0, v2
	v_or_b32_e32 v8, 0xff, v8
	v_cmp_ge_u32_e32 vcc, v8, v0
	s_mov_b64 s[2:3], -1
	v_mov_b32_e32 v8, v0
	s_and_saveexec_b64 s[10:11], vcc
	s_cbranch_execz .LBB1123_154
; %bb.146:
	v_lshrrev_b32_e32 v12, 8, v1
	v_add_u32_e32 v8, -1, v12
	v_or_b32_e32 v1, 0x100, v0
	v_lshrrev_b32_e32 v9, 1, v8
	v_add_u32_e32 v13, 1, v9
	v_cmp_lt_u32_e32 vcc, 13, v8
	v_mov_b32_e32 v16, 0
	v_pk_mov_b32 v[8:9], v[0:1], v[0:1] op_sel:[0,1]
	s_and_saveexec_b64 s[12:13], vcc
	s_cbranch_execz .LBB1123_150
; %bb.147:
	v_and_b32_e32 v14, -8, v13
	v_lshlrev_b32_e32 v15, 2, v0
	s_mov_b32 s16, 0
	s_mov_b64 s[14:15], 0
	v_mov_b32_e32 v11, 0
	v_pk_mov_b32 v[8:9], v[0:1], v[0:1] op_sel:[0,1]
.LBB1123_148:                           ; =>This Inner Loop Header: Depth=1
	v_mov_b32_e32 v10, v8
	v_add_u32_e32 v14, -8, v14
	v_lshlrev_b64 v[96:97], 2, v[10:11]
	v_mov_b32_e32 v10, v9
	ds_read2st64_b32 v[18:19], v15 offset1:4
	s_add_i32 s16, s16, 16
	v_cmp_eq_u32_e32 vcc, 0, v14
	v_lshlrev_b64 v[100:101], 2, v[10:11]
	v_add_u32_e32 v10, 0x200, v8
	s_or_b64 s[14:15], vcc, s[14:15]
	v_add_co_u32_e32 v100, vcc, v3, v100
	v_add_u32_e32 v16, 0x200, v9
	v_mov_b32_e32 v17, v11
	ds_read2st64_b32 v[20:21], v15 offset0:8 offset1:12
	ds_read2st64_b32 v[32:33], v15 offset0:16 offset1:20
	v_add_co_u32_e64 v96, s[2:3], v3, v96
	v_addc_co_u32_e32 v101, vcc, v5, v101, vcc
	v_lshlrev_b64 v[102:103], 2, v[10:11]
	v_lshlrev_b64 v[98:99], 2, v[16:17]
	v_addc_co_u32_e64 v97, s[2:3], v5, v97, s[2:3]
	v_add_u32_e32 v10, 0x400, v8
	v_add_co_u32_e32 v102, vcc, v3, v102
	v_add_u32_e32 v28, 0x400, v9
	v_mov_b32_e32 v29, v11
	ds_read2st64_b32 v[42:43], v15 offset0:24 offset1:28
	v_add_co_u32_e64 v98, s[2:3], v3, v98
	v_addc_co_u32_e32 v103, vcc, v5, v103, vcc
	v_lshlrev_b64 v[104:105], 2, v[10:11]
	ds_read2st64_b32 v[82:83], v15 offset0:32 offset1:36
	ds_read2st64_b32 v[86:87], v15 offset0:40 offset1:44
	;; [unrolled: 1-line block ×4, first 2 shown]
	v_lshlrev_b64 v[28:29], 2, v[28:29]
	v_addc_co_u32_e64 v99, s[2:3], v5, v99, s[2:3]
	v_add_u32_e32 v10, 0x600, v8
	s_waitcnt lgkmcnt(7)
	global_store_dword v[96:97], v18, off
	global_store_dword v[100:101], v19, off
	s_waitcnt lgkmcnt(6)
	global_store_dword v[102:103], v20, off
	global_store_dword v[98:99], v21, off
	v_add_co_u32_e32 v18, vcc, v3, v104
	v_add_u32_e32 v36, 0x600, v9
	v_mov_b32_e32 v37, v11
	v_add_co_u32_e64 v28, s[2:3], v3, v28
	v_addc_co_u32_e32 v19, vcc, v5, v105, vcc
	v_lshlrev_b64 v[20:21], 2, v[10:11]
	v_lshlrev_b64 v[36:37], 2, v[36:37]
	v_addc_co_u32_e64 v29, s[2:3], v5, v29, s[2:3]
	v_add_u32_e32 v10, 0x800, v8
	s_waitcnt lgkmcnt(5)
	global_store_dword v[18:19], v32, off
	global_store_dword v[28:29], v33, off
	v_add_co_u32_e32 v18, vcc, v3, v20
	v_add_u32_e32 v48, 0x800, v9
	v_mov_b32_e32 v49, v11
	v_add_co_u32_e64 v36, s[2:3], v3, v36
	v_addc_co_u32_e32 v19, vcc, v5, v21, vcc
	v_lshlrev_b64 v[20:21], 2, v[10:11]
	v_lshlrev_b64 v[48:49], 2, v[48:49]
	v_addc_co_u32_e64 v37, s[2:3], v5, v37, s[2:3]
	v_add_u32_e32 v10, 0xa00, v8
	;; [unrolled: 12-line block ×4, first 2 shown]
	s_waitcnt lgkmcnt(2)
	global_store_dword v[18:19], v86, off
	global_store_dword v[84:85], v87, off
	v_add_co_u32_e32 v18, vcc, v3, v20
	v_add_u32_e32 v92, 0xe00, v9
	v_mov_b32_e32 v93, v11
	v_add_co_u32_e64 v88, s[2:3], v3, v88
	v_addc_co_u32_e32 v19, vcc, v5, v21, vcc
	v_lshlrev_b64 v[20:21], 2, v[10:11]
	v_lshlrev_b64 v[92:93], 2, v[92:93]
	v_addc_co_u32_e64 v89, s[2:3], v5, v89, s[2:3]
	s_waitcnt lgkmcnt(1)
	global_store_dword v[18:19], v90, off
	global_store_dword v[88:89], v91, off
	v_add_co_u32_e32 v18, vcc, v3, v20
	v_add_u32_e32 v15, 0x4000, v15
	v_add_u32_e32 v9, 0x1000, v9
	v_mov_b32_e32 v16, s16
	v_add_co_u32_e64 v92, s[2:3], v3, v92
	v_add_u32_e32 v8, 0x1000, v8
	v_addc_co_u32_e32 v19, vcc, v5, v21, vcc
	v_addc_co_u32_e64 v93, s[2:3], v5, v93, s[2:3]
	s_waitcnt lgkmcnt(0)
	global_store_dword v[18:19], v94, off
	global_store_dword v[92:93], v95, off
	s_andn2_b64 exec, exec, s[14:15]
	s_cbranch_execnz .LBB1123_148
; %bb.149:
	s_or_b64 exec, exec, s[14:15]
.LBB1123_150:
	s_or_b64 exec, exec, s[12:13]
	v_and_b32_e32 v1, 7, v13
	v_cmp_ne_u32_e32 vcc, 0, v1
	s_and_saveexec_b64 s[12:13], vcc
	s_cbranch_execz .LBB1123_153
; %bb.151:
	v_lshlrev_b32_e32 v10, 2, v0
	v_lshl_or_b32 v13, v16, 10, v10
	s_mov_b64 s[14:15], 0
	v_mov_b32_e32 v11, 0
.LBB1123_152:                           ; =>This Inner Loop Header: Depth=1
	ds_read2st64_b32 v[14:15], v13 offset1:4
	v_mov_b32_e32 v10, v8
	v_add_u32_e32 v1, -1, v1
	v_lshlrev_b64 v[16:17], 2, v[10:11]
	v_mov_b32_e32 v10, v9
	v_cmp_eq_u32_e32 vcc, 0, v1
	v_add_co_u32_e64 v16, s[2:3], v3, v16
	v_lshlrev_b64 v[18:19], 2, v[10:11]
	v_add_u32_e32 v8, 0x200, v8
	v_add_u32_e32 v13, 0x800, v13
	;; [unrolled: 1-line block ×3, first 2 shown]
	v_addc_co_u32_e64 v17, s[2:3], v5, v17, s[2:3]
	s_or_b64 s[14:15], vcc, s[14:15]
	v_add_co_u32_e32 v18, vcc, v3, v18
	v_addc_co_u32_e32 v19, vcc, v5, v19, vcc
	s_waitcnt lgkmcnt(0)
	global_store_dword v[16:17], v14, off
	global_store_dword v[18:19], v15, off
	s_andn2_b64 exec, exec, s[14:15]
	s_cbranch_execnz .LBB1123_152
.LBB1123_153:
	s_or_b64 exec, exec, s[12:13]
	v_add_u32_e32 v1, 1, v12
	v_and_b32_e32 v9, 0x1fffffe, v1
	v_cmp_ne_u32_e32 vcc, v1, v9
	v_lshl_or_b32 v8, v9, 8, v0
	s_orn2_b64 s[2:3], vcc, exec
.LBB1123_154:
	s_or_b64 exec, exec, s[10:11]
	s_andn2_b64 s[6:7], s[6:7], exec
	s_and_b64 s[2:3], s[2:3], exec
	s_or_b64 s[6:7], s[6:7], s[2:3]
.LBB1123_155:
	s_or_b64 exec, exec, s[8:9]
	s_and_b64 exec, exec, s[6:7]
	s_cbranch_execz .LBB1123_158
; %bb.156:
	v_lshlrev_b32_e32 v1, 2, v8
	s_mov_b64 s[2:3], 0
	v_mov_b32_e32 v9, 0
.LBB1123_157:                           ; =>This Inner Loop Header: Depth=1
	v_lshlrev_b64 v[10:11], 2, v[8:9]
	ds_read_b32 v12, v1
	v_add_co_u32_e32 v10, vcc, v3, v10
	v_add_u32_e32 v8, 0x100, v8
	v_addc_co_u32_e32 v11, vcc, v5, v11, vcc
	v_cmp_ge_u32_e32 vcc, v8, v2
	v_add_u32_e32 v1, 0x400, v1
	s_or_b64 s[2:3], vcc, s[2:3]
	s_waitcnt lgkmcnt(0)
	global_store_dword v[10:11], v12, off
	s_andn2_b64 exec, exec, s[2:3]
	s_cbranch_execnz .LBB1123_157
.LBB1123_158:
	s_or_b64 exec, exec, s[4:5]
.LBB1123_159:
	s_cmpk_lg_i32 s33, 0xf00
	s_cselect_b64 s[2:3], -1, 0
	s_and_b64 s[0:1], s[0:1], s[38:39]
	v_cndmask_b32_e64 v5, v81, 0, s[0:1]
	s_mul_hi_u32 s0, s33, 0x88888889
	s_lshr_b32 s0, s0, 3
	v_mad_i32_i24 v9, v0, -15, s33
	v_cmp_eq_u32_e32 vcc, s0, v0
	v_cmp_ne_u32_e64 s[0:1], 0, v9
	v_cndmask_b32_e64 v10, 1, v5, s[0:1]
	v_cmp_ne_u32_e64 s[0:1], 1, v9
	v_cndmask_b32_e64 v11, 1, v79, s[0:1]
	;; [unrolled: 2-line block ×15, first 2 shown]
	s_and_b64 vcc, vcc, s[36:37]
	v_cndmask_b32_e32 v32, v66, v9, vcc
	v_cndmask_b32_e32 v29, v67, v29, vcc
	;; [unrolled: 1-line block ×15, first 2 shown]
	v_mov_b32_e32 v5, s53
	v_add_co_u32_e32 v9, vcc, s52, v22
	v_addc_co_u32_e32 v12, vcc, v5, v23, vcc
	v_cndmask_b32_e64 v1, 0, 1, s[38:39]
	v_add_co_u32_e32 v5, vcc, v9, v24
	v_addc_co_u32_e32 v12, vcc, v12, v25, vcc
	v_lshlrev_b32_e32 v9, 2, v1
	v_add_co_u32_e32 v9, vcc, v9, v5
	v_addc_co_u32_e32 v14, vcc, 0, v12, vcc
	v_add_co_u32_e32 v13, vcc, -4, v9
	v_addc_co_u32_e32 v14, vcc, -1, v14, vcc
	v_cmp_eq_u32_e32 vcc, 0, v10
	v_cmp_ne_u32_e64 s[28:29], 0, v10
	v_cndmask_b32_e64 v10, 1, 2, vcc
	v_cmp_eq_u32_e32 vcc, 0, v11
	v_cmp_ne_u32_e64 s[26:27], 0, v11
	v_cndmask_b32_e64 v11, 1, 2, vcc
	v_cmp_eq_u32_e32 vcc, 0, v37
	v_and_b32_e32 v10, v11, v10
	v_cndmask_b32_e64 v11, 1, 2, vcc
	v_cmp_eq_u32_e32 vcc, 0, v36
	v_and_b32_e32 v10, v10, v11
	;; [unrolled: 3-line block ×10, first 2 shown]
	v_cndmask_b32_e64 v11, 1, 2, vcc
	v_cmp_eq_u32_e32 vcc, 0, v28
	s_and_b64 s[2:3], s[2:3], s[36:37]
	v_and_b32_e32 v10, v10, v11
	v_cndmask_b32_e64 v11, 1, 2, vcc
	v_cmp_eq_u32_e32 vcc, 0, v29
	v_sub_u32_e32 v3, v2, v1
	v_cndmask_b32_e64 v8, 0, 1, s[2:3]
	v_and_b32_e32 v10, v10, v11
	v_cndmask_b32_e64 v11, 1, 2, vcc
	v_cmp_eq_u32_e32 vcc, 0, v32
	v_add_u32_e32 v3, v3, v8
	v_and_b32_e32 v10, v10, v11
	v_cndmask_b32_e64 v11, 1, 2, vcc
	s_movk_i32 s30, 0x100
	v_and_b32_e32 v10, v10, v11
	v_cmp_gt_u32_e32 vcc, s30, v3
	v_add_u32_e32 v9, v4, v1
	v_cmp_ne_u32_e64 s[24:25], 0, v37
	v_cmp_ne_u32_e64 s[22:23], 0, v36
	;; [unrolled: 1-line block ×13, first 2 shown]
	s_mov_b64 s[34:35], -1
	v_cmp_gt_i16_e64 s[30:31], 2, v10
	s_barrier
	s_cbranch_vccz .LBB1123_166
; %bb.160:
	s_and_saveexec_b64 s[34:35], s[30:31]
	s_cbranch_execz .LBB1123_165
; %bb.161:
	v_cmp_ne_u16_e32 vcc, 1, v10
	s_mov_b64 s[38:39], 0
	s_and_saveexec_b64 s[30:31], vcc
	s_xor_b64 s[30:31], exec, s[30:31]
	s_cbranch_execnz .LBB1123_227
; %bb.162:
	s_andn2_saveexec_b64 s[30:31], s[30:31]
	s_cbranch_execnz .LBB1123_243
.LBB1123_163:
	s_or_b64 exec, exec, s[30:31]
	s_and_b64 exec, exec, s[38:39]
	s_cbranch_execz .LBB1123_165
.LBB1123_164:
	v_sub_u32_e32 v16, v26, v9
	v_mov_b32_e32 v17, 0
	v_lshlrev_b64 v[16:17], 2, v[16:17]
	v_add_co_u32_e32 v16, vcc, v13, v16
	v_addc_co_u32_e32 v17, vcc, v14, v17, vcc
	global_store_dword v[16:17], v27, off
.LBB1123_165:
	s_or_b64 exec, exec, s[34:35]
	s_mov_b64 s[34:35], 0
.LBB1123_166:
	s_and_b64 vcc, exec, s[34:35]
	s_cbranch_vccz .LBB1123_188
; %bb.167:
	v_cmp_gt_i16_e32 vcc, 2, v10
	s_and_saveexec_b64 s[30:31], vcc
	s_cbranch_execz .LBB1123_172
; %bb.168:
	v_cmp_ne_u16_e32 vcc, 1, v10
	s_mov_b64 s[38:39], 0
	s_and_saveexec_b64 s[34:35], vcc
	s_xor_b64 s[34:35], exec, s[34:35]
	s_cbranch_execnz .LBB1123_244
; %bb.169:
	s_andn2_saveexec_b64 s[0:1], s[34:35]
	s_cbranch_execnz .LBB1123_260
.LBB1123_170:
	s_or_b64 exec, exec, s[0:1]
	s_and_b64 exec, exec, s[38:39]
	s_cbranch_execz .LBB1123_172
.LBB1123_171:
	v_sub_u32_e32 v9, v26, v9
	v_lshlrev_b32_e32 v9, 2, v9
	ds_write_b32 v9, v27
.LBB1123_172:
	s_or_b64 exec, exec, s[30:31]
	v_cmp_lt_u32_e32 vcc, v0, v3
	s_waitcnt lgkmcnt(0)
	s_barrier
	s_and_saveexec_b64 s[2:3], vcc
	s_cbranch_execz .LBB1123_187
; %bb.173:
	v_add_u32_e32 v10, v2, v8
	v_xad_u32 v8, v0, -1, v10
	v_sub_u32_e32 v9, v8, v1
	s_movk_i32 s0, 0x1900
	v_cmp_gt_u32_e64 s[4:5], s0, v9
	s_movk_i32 s0, 0x18ff
	v_cmp_lt_u32_e32 vcc, s0, v9
	v_mov_b32_e32 v8, v0
	s_and_saveexec_b64 s[6:7], vcc
	s_cbranch_execz .LBB1123_184
; %bb.174:
	v_sub_u32_e32 v8, v0, v10
	v_add_u32_e32 v1, v8, v1
	v_or_b32_e32 v1, 0xff, v1
	v_cmp_ge_u32_e32 vcc, v1, v0
	s_mov_b64 s[0:1], -1
	v_mov_b32_e32 v8, v0
	s_and_saveexec_b64 s[8:9], vcc
	s_cbranch_execz .LBB1123_183
; %bb.175:
	v_lshrrev_b32_e32 v15, 8, v9
	v_add_u32_e32 v8, -1, v15
	v_or_b32_e32 v1, 0x100, v0
	v_lshrrev_b32_e32 v9, 1, v8
	v_add_u32_e32 v17, 1, v9
	v_cmp_lt_u32_e32 vcc, 13, v8
	v_mov_b32_e32 v20, 0
	v_lshlrev_b32_e32 v16, 2, v0
	v_pk_mov_b32 v[8:9], v[0:1], v[0:1] op_sel:[0,1]
	s_and_saveexec_b64 s[10:11], vcc
	s_cbranch_execz .LBB1123_179
; %bb.176:
	v_and_b32_e32 v18, -8, v17
	s_mov_b32 s14, 0
	s_mov_b64 s[12:13], 0
	v_mov_b32_e32 v11, 0
	v_mov_b32_e32 v19, v16
	v_pk_mov_b32 v[8:9], v[0:1], v[0:1] op_sel:[0,1]
.LBB1123_177:                           ; =>This Inner Loop Header: Depth=1
	v_mov_b32_e32 v10, v8
	v_add_u32_e32 v18, -8, v18
	v_lshlrev_b64 v[50:51], 2, v[10:11]
	v_mov_b32_e32 v10, v9
	ds_read2st64_b32 v[22:23], v19 offset1:4
	s_add_i32 s14, s14, 16
	v_cmp_eq_u32_e32 vcc, 0, v18
	v_lshlrev_b64 v[54:55], 2, v[10:11]
	v_add_u32_e32 v10, 0x200, v8
	s_or_b64 s[12:13], vcc, s[12:13]
	v_add_co_u32_e32 v54, vcc, v13, v54
	v_add_u32_e32 v20, 0x200, v9
	v_mov_b32_e32 v21, v11
	ds_read2st64_b32 v[24:25], v19 offset0:8 offset1:12
	ds_read2st64_b32 v[28:29], v19 offset0:16 offset1:20
	v_add_co_u32_e64 v50, s[0:1], v13, v50
	v_addc_co_u32_e32 v55, vcc, v14, v55, vcc
	v_lshlrev_b64 v[56:57], 2, v[10:11]
	v_lshlrev_b64 v[52:53], 2, v[20:21]
	v_addc_co_u32_e64 v51, s[0:1], v14, v51, s[0:1]
	v_add_u32_e32 v10, 0x400, v8
	v_add_co_u32_e32 v56, vcc, v13, v56
	v_add_u32_e32 v26, 0x400, v9
	v_mov_b32_e32 v27, v11
	ds_read2st64_b32 v[32:33], v19 offset0:24 offset1:28
	v_add_co_u32_e64 v52, s[0:1], v13, v52
	v_addc_co_u32_e32 v57, vcc, v14, v57, vcc
	v_lshlrev_b64 v[58:59], 2, v[10:11]
	ds_read2st64_b32 v[36:37], v19 offset0:32 offset1:36
	ds_read2st64_b32 v[40:41], v19 offset0:40 offset1:44
	;; [unrolled: 1-line block ×4, first 2 shown]
	v_lshlrev_b64 v[26:27], 2, v[26:27]
	v_addc_co_u32_e64 v53, s[0:1], v14, v53, s[0:1]
	v_add_u32_e32 v10, 0x600, v8
	s_waitcnt lgkmcnt(7)
	global_store_dword v[50:51], v22, off
	global_store_dword v[54:55], v23, off
	s_waitcnt lgkmcnt(6)
	global_store_dword v[56:57], v24, off
	global_store_dword v[52:53], v25, off
	v_add_co_u32_e32 v22, vcc, v13, v58
	v_add_u32_e32 v30, 0x600, v9
	v_mov_b32_e32 v31, v11
	v_add_co_u32_e64 v26, s[0:1], v13, v26
	v_addc_co_u32_e32 v23, vcc, v14, v59, vcc
	v_lshlrev_b64 v[24:25], 2, v[10:11]
	v_lshlrev_b64 v[30:31], 2, v[30:31]
	v_addc_co_u32_e64 v27, s[0:1], v14, v27, s[0:1]
	v_add_u32_e32 v10, 0x800, v8
	s_waitcnt lgkmcnt(5)
	global_store_dword v[22:23], v28, off
	global_store_dword v[26:27], v29, off
	v_add_co_u32_e32 v22, vcc, v13, v24
	v_add_u32_e32 v34, 0x800, v9
	v_mov_b32_e32 v35, v11
	v_add_co_u32_e64 v30, s[0:1], v13, v30
	v_addc_co_u32_e32 v23, vcc, v14, v25, vcc
	v_lshlrev_b64 v[24:25], 2, v[10:11]
	v_lshlrev_b64 v[34:35], 2, v[34:35]
	v_addc_co_u32_e64 v31, s[0:1], v14, v31, s[0:1]
	v_add_u32_e32 v10, 0xa00, v8
	;; [unrolled: 12-line block ×4, first 2 shown]
	s_waitcnt lgkmcnt(2)
	global_store_dword v[22:23], v40, off
	global_store_dword v[38:39], v41, off
	v_add_co_u32_e32 v22, vcc, v13, v24
	v_add_u32_e32 v46, 0xe00, v9
	v_mov_b32_e32 v47, v11
	v_add_co_u32_e64 v42, s[0:1], v13, v42
	v_addc_co_u32_e32 v23, vcc, v14, v25, vcc
	v_lshlrev_b64 v[24:25], 2, v[10:11]
	v_lshlrev_b64 v[46:47], 2, v[46:47]
	v_addc_co_u32_e64 v43, s[0:1], v14, v43, s[0:1]
	s_waitcnt lgkmcnt(1)
	global_store_dword v[22:23], v44, off
	global_store_dword v[42:43], v45, off
	v_add_co_u32_e32 v22, vcc, v13, v24
	v_add_u32_e32 v19, 0x4000, v19
	v_add_u32_e32 v9, 0x1000, v9
	v_mov_b32_e32 v20, s14
	v_add_co_u32_e64 v46, s[0:1], v13, v46
	v_add_u32_e32 v8, 0x1000, v8
	v_addc_co_u32_e32 v23, vcc, v14, v25, vcc
	v_addc_co_u32_e64 v47, s[0:1], v14, v47, s[0:1]
	s_waitcnt lgkmcnt(0)
	global_store_dword v[22:23], v48, off
	global_store_dword v[46:47], v49, off
	s_andn2_b64 exec, exec, s[12:13]
	s_cbranch_execnz .LBB1123_177
; %bb.178:
	s_or_b64 exec, exec, s[12:13]
.LBB1123_179:
	s_or_b64 exec, exec, s[10:11]
	v_and_b32_e32 v1, 7, v17
	v_cmp_ne_u32_e32 vcc, 0, v1
	s_and_saveexec_b64 s[10:11], vcc
	s_cbranch_execz .LBB1123_182
; %bb.180:
	v_lshl_or_b32 v16, v20, 10, v16
	s_mov_b64 s[12:13], 0
	v_mov_b32_e32 v11, 0
.LBB1123_181:                           ; =>This Inner Loop Header: Depth=1
	ds_read2st64_b32 v[18:19], v16 offset1:4
	v_mov_b32_e32 v10, v8
	v_add_u32_e32 v1, -1, v1
	v_lshlrev_b64 v[20:21], 2, v[10:11]
	v_mov_b32_e32 v10, v9
	v_cmp_eq_u32_e32 vcc, 0, v1
	v_add_co_u32_e64 v20, s[0:1], v13, v20
	v_lshlrev_b64 v[22:23], 2, v[10:11]
	v_add_u32_e32 v8, 0x200, v8
	v_add_u32_e32 v16, 0x800, v16
	;; [unrolled: 1-line block ×3, first 2 shown]
	v_addc_co_u32_e64 v21, s[0:1], v14, v21, s[0:1]
	s_or_b64 s[12:13], vcc, s[12:13]
	v_add_co_u32_e32 v22, vcc, v13, v22
	v_addc_co_u32_e32 v23, vcc, v14, v23, vcc
	s_waitcnt lgkmcnt(0)
	global_store_dword v[20:21], v18, off
	global_store_dword v[22:23], v19, off
	s_andn2_b64 exec, exec, s[12:13]
	s_cbranch_execnz .LBB1123_181
.LBB1123_182:
	s_or_b64 exec, exec, s[10:11]
	v_add_u32_e32 v1, 1, v15
	v_and_b32_e32 v9, 0x1fffffe, v1
	v_cmp_ne_u32_e32 vcc, v1, v9
	v_lshl_or_b32 v8, v9, 8, v0
	s_orn2_b64 s[0:1], vcc, exec
.LBB1123_183:
	s_or_b64 exec, exec, s[8:9]
	s_andn2_b64 s[4:5], s[4:5], exec
	s_and_b64 s[0:1], s[0:1], exec
	s_or_b64 s[4:5], s[4:5], s[0:1]
.LBB1123_184:
	s_or_b64 exec, exec, s[6:7]
	s_and_b64 exec, exec, s[4:5]
	s_cbranch_execz .LBB1123_187
; %bb.185:
	v_lshlrev_b32_e32 v1, 2, v8
	s_mov_b64 s[0:1], 0
	v_mov_b32_e32 v9, 0
.LBB1123_186:                           ; =>This Inner Loop Header: Depth=1
	v_lshlrev_b64 v[10:11], 2, v[8:9]
	ds_read_b32 v15, v1
	v_add_co_u32_e32 v10, vcc, v13, v10
	v_add_u32_e32 v8, 0x100, v8
	v_addc_co_u32_e32 v11, vcc, v14, v11, vcc
	v_cmp_ge_u32_e32 vcc, v8, v3
	v_add_u32_e32 v1, 0x400, v1
	s_or_b64 s[0:1], vcc, s[0:1]
	s_waitcnt lgkmcnt(0)
	global_store_dword v[10:11], v15, off
	s_andn2_b64 exec, exec, s[0:1]
	s_cbranch_execnz .LBB1123_186
.LBB1123_187:
	s_or_b64 exec, exec, s[2:3]
.LBB1123_188:
	s_movk_i32 s0, 0xff
	v_cmp_eq_u32_e32 vcc, s0, v0
	s_and_b64 s[0:1], vcc, s[36:37]
	s_and_saveexec_b64 s[2:3], s[0:1]
	s_cbranch_execz .LBB1123_191
; %bb.189:
	v_add_co_u32_e32 v0, vcc, v2, v4
	v_addc_co_u32_e64 v1, s[0:1], 0, 0, vcc
	v_add_co_u32_e32 v0, vcc, v0, v6
	v_mov_b32_e32 v3, 0
	v_addc_co_u32_e32 v1, vcc, v1, v7, vcc
	s_cmpk_lg_i32 s33, 0xf00
	global_store_dwordx2 v3, v[0:1], s[54:55]
	s_cbranch_scc1 .LBB1123_191
; %bb.190:
	v_lshlrev_b64 v[0:1], 2, v[2:3]
	v_add_co_u32_e32 v0, vcc, v5, v0
	v_addc_co_u32_e32 v1, vcc, v12, v1, vcc
	global_store_dword v[0:1], v80, off offset:-4
.LBB1123_191:
	s_endpgm
.LBB1123_192:
	s_or_b64 exec, exec, s[6:7]
	v_mov_b32_e32 v81, s10
	s_and_saveexec_b64 s[2:3], s[34:35]
	s_cbranch_execnz .LBB1123_88
	s_branch .LBB1123_89
.LBB1123_193:
	s_and_saveexec_b64 s[42:43], s[30:31]
	s_cbranch_execnz .LBB1123_261
; %bb.194:
	s_or_b64 exec, exec, s[42:43]
	s_and_saveexec_b64 s[42:43], s[28:29]
	s_cbranch_execnz .LBB1123_262
.LBB1123_195:
	s_or_b64 exec, exec, s[42:43]
	s_and_saveexec_b64 s[42:43], s[26:27]
	s_cbranch_execnz .LBB1123_263
.LBB1123_196:
	s_or_b64 exec, exec, s[42:43]
	s_and_saveexec_b64 s[42:43], s[24:25]
	s_cbranch_execnz .LBB1123_264
.LBB1123_197:
	s_or_b64 exec, exec, s[42:43]
	s_and_saveexec_b64 s[42:43], s[22:23]
	s_cbranch_execnz .LBB1123_265
.LBB1123_198:
	s_or_b64 exec, exec, s[42:43]
	s_and_saveexec_b64 s[42:43], s[20:21]
	s_cbranch_execnz .LBB1123_266
.LBB1123_199:
	s_or_b64 exec, exec, s[42:43]
	s_and_saveexec_b64 s[42:43], s[18:19]
	s_cbranch_execnz .LBB1123_267
.LBB1123_200:
	s_or_b64 exec, exec, s[42:43]
	s_and_saveexec_b64 s[42:43], s[16:17]
	s_cbranch_execnz .LBB1123_268
.LBB1123_201:
	s_or_b64 exec, exec, s[42:43]
	s_and_saveexec_b64 s[42:43], s[14:15]
	s_cbranch_execnz .LBB1123_269
.LBB1123_202:
	s_or_b64 exec, exec, s[42:43]
	s_and_saveexec_b64 s[42:43], s[12:13]
	s_cbranch_execnz .LBB1123_270
.LBB1123_203:
	s_or_b64 exec, exec, s[42:43]
	s_and_saveexec_b64 s[42:43], s[10:11]
	s_cbranch_execnz .LBB1123_271
.LBB1123_204:
	s_or_b64 exec, exec, s[42:43]
	s_and_saveexec_b64 s[42:43], s[8:9]
	s_cbranch_execnz .LBB1123_272
.LBB1123_205:
	s_or_b64 exec, exec, s[42:43]
	s_and_saveexec_b64 s[42:43], s[6:7]
	s_cbranch_execnz .LBB1123_273
.LBB1123_206:
	s_or_b64 exec, exec, s[42:43]
	s_and_saveexec_b64 s[42:43], s[4:5]
	s_cbranch_execz .LBB1123_208
.LBB1123_207:
	v_sub_u32_e32 v32, v30, v4
	v_mov_b32_e32 v33, 0
	v_lshlrev_b64 v[32:33], 2, v[32:33]
	v_add_co_u32_e32 v32, vcc, v3, v32
	v_addc_co_u32_e32 v33, vcc, v5, v33, vcc
	global_store_dword v[32:33], v9, off
.LBB1123_208:
	s_or_b64 exec, exec, s[42:43]
	s_and_b64 s[42:43], s[2:3], exec
	s_andn2_saveexec_b64 s[34:35], s[34:35]
	s_cbranch_execz .LBB1123_134
.LBB1123_209:
	v_sub_u32_e32 v32, v64, v4
	v_mov_b32_e32 v33, 0
	v_lshlrev_b64 v[36:37], 2, v[32:33]
	v_add_co_u32_e32 v36, vcc, v3, v36
	v_addc_co_u32_e32 v37, vcc, v5, v37, vcc
	v_sub_u32_e32 v32, v62, v4
	global_store_dword v[36:37], v20, off
	v_lshlrev_b64 v[36:37], 2, v[32:33]
	v_add_co_u32_e32 v36, vcc, v3, v36
	v_addc_co_u32_e32 v37, vcc, v5, v37, vcc
	v_sub_u32_e32 v32, v60, v4
	global_store_dword v[36:37], v21, off
	;; [unrolled: 5-line block ×12, first 2 shown]
	v_lshlrev_b64 v[36:37], 2, v[32:33]
	v_add_co_u32_e32 v36, vcc, v3, v36
	v_sub_u32_e32 v32, v30, v4
	v_addc_co_u32_e32 v37, vcc, v5, v37, vcc
	v_lshlrev_b64 v[32:33], 2, v[32:33]
	v_add_co_u32_e32 v32, vcc, v3, v32
	v_addc_co_u32_e32 v33, vcc, v5, v33, vcc
	s_or_b64 s[42:43], s[42:43], exec
	global_store_dword v[36:37], v8, off
	global_store_dword v[32:33], v9, off
	s_or_b64 exec, exec, s[34:35]
	s_and_b64 exec, exec, s[42:43]
	s_cbranch_execnz .LBB1123_135
	s_branch .LBB1123_136
.LBB1123_210:
	s_and_saveexec_b64 s[42:43], s[30:31]
	s_cbranch_execnz .LBB1123_274
; %bb.211:
	s_or_b64 exec, exec, s[42:43]
	s_and_saveexec_b64 s[30:31], s[28:29]
	s_cbranch_execnz .LBB1123_275
.LBB1123_212:
	s_or_b64 exec, exec, s[30:31]
	s_and_saveexec_b64 s[28:29], s[26:27]
	s_cbranch_execnz .LBB1123_276
.LBB1123_213:
	s_or_b64 exec, exec, s[28:29]
	s_and_saveexec_b64 s[26:27], s[24:25]
	s_cbranch_execnz .LBB1123_277
.LBB1123_214:
	s_or_b64 exec, exec, s[26:27]
	s_and_saveexec_b64 s[24:25], s[22:23]
	s_cbranch_execnz .LBB1123_278
.LBB1123_215:
	s_or_b64 exec, exec, s[24:25]
	s_and_saveexec_b64 s[22:23], s[20:21]
	s_cbranch_execnz .LBB1123_279
.LBB1123_216:
	s_or_b64 exec, exec, s[22:23]
	s_and_saveexec_b64 s[20:21], s[18:19]
	s_cbranch_execnz .LBB1123_280
.LBB1123_217:
	s_or_b64 exec, exec, s[20:21]
	s_and_saveexec_b64 s[18:19], s[16:17]
	s_cbranch_execnz .LBB1123_281
.LBB1123_218:
	s_or_b64 exec, exec, s[18:19]
	s_and_saveexec_b64 s[16:17], s[14:15]
	s_cbranch_execnz .LBB1123_282
.LBB1123_219:
	s_or_b64 exec, exec, s[16:17]
	s_and_saveexec_b64 s[14:15], s[12:13]
	s_cbranch_execnz .LBB1123_283
.LBB1123_220:
	s_or_b64 exec, exec, s[14:15]
	s_and_saveexec_b64 s[12:13], s[10:11]
	s_cbranch_execnz .LBB1123_284
.LBB1123_221:
	s_or_b64 exec, exec, s[12:13]
	s_and_saveexec_b64 s[10:11], s[8:9]
	s_cbranch_execnz .LBB1123_285
.LBB1123_222:
	s_or_b64 exec, exec, s[10:11]
	s_and_saveexec_b64 s[8:9], s[6:7]
	s_cbranch_execnz .LBB1123_286
.LBB1123_223:
	s_or_b64 exec, exec, s[8:9]
	s_and_saveexec_b64 s[6:7], s[4:5]
	s_cbranch_execz .LBB1123_225
.LBB1123_224:
	v_sub_u32_e32 v8, v30, v4
	v_lshlrev_b32_e32 v8, 2, v8
	ds_write_b32 v8, v9
.LBB1123_225:
	s_or_b64 exec, exec, s[6:7]
	s_and_b64 s[42:43], s[2:3], exec
                                        ; implicit-def: $vgpr8
                                        ; implicit-def: $vgpr10
                                        ; implicit-def: $vgpr12
                                        ; implicit-def: $vgpr14
                                        ; implicit-def: $vgpr16
                                        ; implicit-def: $vgpr18
                                        ; implicit-def: $vgpr20
	s_andn2_saveexec_b64 s[2:3], s[40:41]
	s_cbranch_execz .LBB1123_141
.LBB1123_226:
	v_sub_u32_e32 v28, v64, v4
	v_lshlrev_b32_e32 v28, 2, v28
	ds_write_b32 v28, v20
	v_sub_u32_e32 v20, v62, v4
	v_lshlrev_b32_e32 v20, 2, v20
	ds_write_b32 v20, v21
	;; [unrolled: 3-line block ×13, first 2 shown]
	v_sub_u32_e32 v8, v30, v4
	v_lshlrev_b32_e32 v8, 2, v8
	s_or_b64 s[42:43], s[42:43], exec
	ds_write_b32 v8, v9
	s_or_b64 exec, exec, s[2:3]
	s_and_b64 exec, exec, s[42:43]
	s_cbranch_execnz .LBB1123_142
	s_branch .LBB1123_143
.LBB1123_227:
	s_and_saveexec_b64 s[38:39], s[28:29]
	s_cbranch_execnz .LBB1123_287
; %bb.228:
	s_or_b64 exec, exec, s[38:39]
	s_and_saveexec_b64 s[38:39], s[26:27]
	s_cbranch_execnz .LBB1123_288
.LBB1123_229:
	s_or_b64 exec, exec, s[38:39]
	s_and_saveexec_b64 s[38:39], s[24:25]
	s_cbranch_execnz .LBB1123_289
.LBB1123_230:
	s_or_b64 exec, exec, s[38:39]
	s_and_saveexec_b64 s[38:39], s[22:23]
	s_cbranch_execnz .LBB1123_290
.LBB1123_231:
	s_or_b64 exec, exec, s[38:39]
	s_and_saveexec_b64 s[38:39], s[20:21]
	s_cbranch_execnz .LBB1123_291
.LBB1123_232:
	s_or_b64 exec, exec, s[38:39]
	s_and_saveexec_b64 s[38:39], s[18:19]
	s_cbranch_execnz .LBB1123_292
.LBB1123_233:
	s_or_b64 exec, exec, s[38:39]
	s_and_saveexec_b64 s[38:39], s[16:17]
	s_cbranch_execnz .LBB1123_293
.LBB1123_234:
	s_or_b64 exec, exec, s[38:39]
	s_and_saveexec_b64 s[38:39], s[14:15]
	s_cbranch_execnz .LBB1123_294
.LBB1123_235:
	s_or_b64 exec, exec, s[38:39]
	s_and_saveexec_b64 s[38:39], s[12:13]
	s_cbranch_execnz .LBB1123_295
.LBB1123_236:
	s_or_b64 exec, exec, s[38:39]
	s_and_saveexec_b64 s[38:39], s[10:11]
	s_cbranch_execnz .LBB1123_296
.LBB1123_237:
	s_or_b64 exec, exec, s[38:39]
	s_and_saveexec_b64 s[38:39], s[8:9]
	s_cbranch_execnz .LBB1123_297
.LBB1123_238:
	s_or_b64 exec, exec, s[38:39]
	s_and_saveexec_b64 s[38:39], s[6:7]
	s_cbranch_execnz .LBB1123_298
.LBB1123_239:
	s_or_b64 exec, exec, s[38:39]
	s_and_saveexec_b64 s[38:39], s[4:5]
	s_cbranch_execnz .LBB1123_299
.LBB1123_240:
	s_or_b64 exec, exec, s[38:39]
	s_and_saveexec_b64 s[38:39], s[2:3]
	s_cbranch_execz .LBB1123_242
.LBB1123_241:
	v_sub_u32_e32 v16, v30, v9
	v_mov_b32_e32 v17, 0
	v_lshlrev_b64 v[16:17], 2, v[16:17]
	v_add_co_u32_e32 v16, vcc, v13, v16
	v_addc_co_u32_e32 v17, vcc, v14, v17, vcc
	global_store_dword v[16:17], v31, off
.LBB1123_242:
	s_or_b64 exec, exec, s[38:39]
	s_and_b64 s[38:39], s[0:1], exec
	s_andn2_saveexec_b64 s[30:31], s[30:31]
	s_cbranch_execz .LBB1123_163
.LBB1123_243:
	v_sub_u32_e32 v16, v64, v9
	v_mov_b32_e32 v17, 0
	v_lshlrev_b64 v[18:19], 2, v[16:17]
	v_add_co_u32_e32 v18, vcc, v13, v18
	v_addc_co_u32_e32 v19, vcc, v14, v19, vcc
	v_sub_u32_e32 v16, v62, v9
	global_store_dword v[18:19], v65, off
	v_lshlrev_b64 v[18:19], 2, v[16:17]
	v_add_co_u32_e32 v18, vcc, v13, v18
	v_addc_co_u32_e32 v19, vcc, v14, v19, vcc
	v_sub_u32_e32 v16, v60, v9
	global_store_dword v[18:19], v63, off
	;; [unrolled: 5-line block ×12, first 2 shown]
	v_lshlrev_b64 v[18:19], 2, v[16:17]
	v_add_co_u32_e32 v18, vcc, v13, v18
	v_sub_u32_e32 v16, v30, v9
	v_addc_co_u32_e32 v19, vcc, v14, v19, vcc
	v_lshlrev_b64 v[16:17], 2, v[16:17]
	v_add_co_u32_e32 v16, vcc, v13, v16
	v_addc_co_u32_e32 v17, vcc, v14, v17, vcc
	s_or_b64 s[38:39], s[38:39], exec
	global_store_dword v[18:19], v35, off
	global_store_dword v[16:17], v31, off
	s_or_b64 exec, exec, s[30:31]
	s_and_b64 exec, exec, s[38:39]
	s_cbranch_execnz .LBB1123_164
	s_branch .LBB1123_165
.LBB1123_244:
	s_and_saveexec_b64 s[38:39], s[28:29]
	s_cbranch_execnz .LBB1123_300
; %bb.245:
	s_or_b64 exec, exec, s[38:39]
	s_and_saveexec_b64 s[28:29], s[26:27]
	s_cbranch_execnz .LBB1123_301
.LBB1123_246:
	s_or_b64 exec, exec, s[28:29]
	s_and_saveexec_b64 s[26:27], s[24:25]
	s_cbranch_execnz .LBB1123_302
.LBB1123_247:
	s_or_b64 exec, exec, s[26:27]
	s_and_saveexec_b64 s[24:25], s[22:23]
	s_cbranch_execnz .LBB1123_303
.LBB1123_248:
	s_or_b64 exec, exec, s[24:25]
	s_and_saveexec_b64 s[22:23], s[20:21]
	s_cbranch_execnz .LBB1123_304
.LBB1123_249:
	s_or_b64 exec, exec, s[22:23]
	s_and_saveexec_b64 s[20:21], s[18:19]
	s_cbranch_execnz .LBB1123_305
.LBB1123_250:
	s_or_b64 exec, exec, s[20:21]
	s_and_saveexec_b64 s[18:19], s[16:17]
	s_cbranch_execnz .LBB1123_306
.LBB1123_251:
	s_or_b64 exec, exec, s[18:19]
	s_and_saveexec_b64 s[16:17], s[14:15]
	s_cbranch_execnz .LBB1123_307
.LBB1123_252:
	s_or_b64 exec, exec, s[16:17]
	s_and_saveexec_b64 s[14:15], s[12:13]
	s_cbranch_execnz .LBB1123_308
.LBB1123_253:
	s_or_b64 exec, exec, s[14:15]
	s_and_saveexec_b64 s[12:13], s[10:11]
	s_cbranch_execnz .LBB1123_309
.LBB1123_254:
	s_or_b64 exec, exec, s[12:13]
	s_and_saveexec_b64 s[10:11], s[8:9]
	s_cbranch_execnz .LBB1123_310
.LBB1123_255:
	s_or_b64 exec, exec, s[10:11]
	s_and_saveexec_b64 s[8:9], s[6:7]
	s_cbranch_execnz .LBB1123_311
.LBB1123_256:
	s_or_b64 exec, exec, s[8:9]
	s_and_saveexec_b64 s[6:7], s[4:5]
	s_cbranch_execnz .LBB1123_312
.LBB1123_257:
	s_or_b64 exec, exec, s[6:7]
	s_and_saveexec_b64 s[4:5], s[2:3]
	s_cbranch_execz .LBB1123_259
.LBB1123_258:
	v_sub_u32_e32 v10, v30, v9
	v_lshlrev_b32_e32 v10, 2, v10
	ds_write_b32 v10, v31
.LBB1123_259:
	s_or_b64 exec, exec, s[4:5]
	s_and_b64 s[38:39], s[0:1], exec
                                        ; implicit-def: $vgpr64_vgpr65
                                        ; implicit-def: $vgpr62_vgpr63
                                        ; implicit-def: $vgpr60_vgpr61
                                        ; implicit-def: $vgpr58_vgpr59
                                        ; implicit-def: $vgpr56_vgpr57
                                        ; implicit-def: $vgpr54_vgpr55
                                        ; implicit-def: $vgpr52_vgpr53
                                        ; implicit-def: $vgpr50_vgpr51
                                        ; implicit-def: $vgpr46_vgpr47
                                        ; implicit-def: $vgpr44_vgpr45
                                        ; implicit-def: $vgpr40_vgpr41
                                        ; implicit-def: $vgpr38_vgpr39
                                        ; implicit-def: $vgpr34_vgpr35
                                        ; implicit-def: $vgpr30_vgpr31
	s_andn2_saveexec_b64 s[0:1], s[34:35]
	s_cbranch_execz .LBB1123_170
.LBB1123_260:
	v_sub_u32_e32 v10, v64, v9
	v_lshlrev_b32_e32 v10, 2, v10
	ds_write_b32 v10, v65
	v_sub_u32_e32 v10, v62, v9
	v_lshlrev_b32_e32 v10, 2, v10
	ds_write_b32 v10, v63
	;; [unrolled: 3-line block ×13, first 2 shown]
	v_sub_u32_e32 v10, v30, v9
	v_lshlrev_b32_e32 v10, 2, v10
	s_or_b64 s[38:39], s[38:39], exec
	ds_write_b32 v10, v31
	s_or_b64 exec, exec, s[0:1]
	s_and_b64 exec, exec, s[38:39]
	s_cbranch_execnz .LBB1123_171
	s_branch .LBB1123_172
.LBB1123_261:
	v_sub_u32_e32 v32, v64, v4
	v_mov_b32_e32 v33, 0
	v_lshlrev_b64 v[32:33], 2, v[32:33]
	v_add_co_u32_e32 v32, vcc, v3, v32
	v_addc_co_u32_e32 v33, vcc, v5, v33, vcc
	global_store_dword v[32:33], v20, off
	s_or_b64 exec, exec, s[42:43]
	s_and_saveexec_b64 s[42:43], s[28:29]
	s_cbranch_execz .LBB1123_195
.LBB1123_262:
	v_sub_u32_e32 v32, v62, v4
	v_mov_b32_e32 v33, 0
	v_lshlrev_b64 v[32:33], 2, v[32:33]
	v_add_co_u32_e32 v32, vcc, v3, v32
	v_addc_co_u32_e32 v33, vcc, v5, v33, vcc
	global_store_dword v[32:33], v21, off
	s_or_b64 exec, exec, s[42:43]
	s_and_saveexec_b64 s[42:43], s[26:27]
	s_cbranch_execz .LBB1123_196
.LBB1123_263:
	v_sub_u32_e32 v32, v60, v4
	v_mov_b32_e32 v33, 0
	v_lshlrev_b64 v[32:33], 2, v[32:33]
	v_add_co_u32_e32 v32, vcc, v3, v32
	v_addc_co_u32_e32 v33, vcc, v5, v33, vcc
	global_store_dword v[32:33], v18, off
	s_or_b64 exec, exec, s[42:43]
	s_and_saveexec_b64 s[42:43], s[24:25]
	s_cbranch_execz .LBB1123_197
.LBB1123_264:
	v_sub_u32_e32 v32, v58, v4
	v_mov_b32_e32 v33, 0
	v_lshlrev_b64 v[32:33], 2, v[32:33]
	v_add_co_u32_e32 v32, vcc, v3, v32
	v_addc_co_u32_e32 v33, vcc, v5, v33, vcc
	global_store_dword v[32:33], v19, off
	s_or_b64 exec, exec, s[42:43]
	s_and_saveexec_b64 s[42:43], s[22:23]
	s_cbranch_execz .LBB1123_198
.LBB1123_265:
	v_sub_u32_e32 v32, v56, v4
	v_mov_b32_e32 v33, 0
	v_lshlrev_b64 v[32:33], 2, v[32:33]
	v_add_co_u32_e32 v32, vcc, v3, v32
	v_addc_co_u32_e32 v33, vcc, v5, v33, vcc
	global_store_dword v[32:33], v16, off
	s_or_b64 exec, exec, s[42:43]
	s_and_saveexec_b64 s[42:43], s[20:21]
	s_cbranch_execz .LBB1123_199
.LBB1123_266:
	v_sub_u32_e32 v32, v54, v4
	v_mov_b32_e32 v33, 0
	v_lshlrev_b64 v[32:33], 2, v[32:33]
	v_add_co_u32_e32 v32, vcc, v3, v32
	v_addc_co_u32_e32 v33, vcc, v5, v33, vcc
	global_store_dword v[32:33], v17, off
	s_or_b64 exec, exec, s[42:43]
	s_and_saveexec_b64 s[42:43], s[18:19]
	s_cbranch_execz .LBB1123_200
.LBB1123_267:
	v_sub_u32_e32 v32, v52, v4
	v_mov_b32_e32 v33, 0
	v_lshlrev_b64 v[32:33], 2, v[32:33]
	v_add_co_u32_e32 v32, vcc, v3, v32
	v_addc_co_u32_e32 v33, vcc, v5, v33, vcc
	global_store_dword v[32:33], v14, off
	s_or_b64 exec, exec, s[42:43]
	s_and_saveexec_b64 s[42:43], s[16:17]
	s_cbranch_execz .LBB1123_201
.LBB1123_268:
	v_sub_u32_e32 v32, v50, v4
	v_mov_b32_e32 v33, 0
	v_lshlrev_b64 v[32:33], 2, v[32:33]
	v_add_co_u32_e32 v32, vcc, v3, v32
	v_addc_co_u32_e32 v33, vcc, v5, v33, vcc
	global_store_dword v[32:33], v15, off
	s_or_b64 exec, exec, s[42:43]
	s_and_saveexec_b64 s[42:43], s[14:15]
	s_cbranch_execz .LBB1123_202
.LBB1123_269:
	v_sub_u32_e32 v32, v46, v4
	v_mov_b32_e32 v33, 0
	v_lshlrev_b64 v[32:33], 2, v[32:33]
	v_add_co_u32_e32 v32, vcc, v3, v32
	v_addc_co_u32_e32 v33, vcc, v5, v33, vcc
	global_store_dword v[32:33], v12, off
	s_or_b64 exec, exec, s[42:43]
	s_and_saveexec_b64 s[42:43], s[12:13]
	s_cbranch_execz .LBB1123_203
.LBB1123_270:
	v_sub_u32_e32 v32, v44, v4
	v_mov_b32_e32 v33, 0
	v_lshlrev_b64 v[32:33], 2, v[32:33]
	v_add_co_u32_e32 v32, vcc, v3, v32
	v_addc_co_u32_e32 v33, vcc, v5, v33, vcc
	global_store_dword v[32:33], v13, off
	s_or_b64 exec, exec, s[42:43]
	s_and_saveexec_b64 s[42:43], s[10:11]
	s_cbranch_execz .LBB1123_204
.LBB1123_271:
	v_sub_u32_e32 v32, v40, v4
	v_mov_b32_e32 v33, 0
	v_lshlrev_b64 v[32:33], 2, v[32:33]
	v_add_co_u32_e32 v32, vcc, v3, v32
	v_addc_co_u32_e32 v33, vcc, v5, v33, vcc
	global_store_dword v[32:33], v10, off
	s_or_b64 exec, exec, s[42:43]
	s_and_saveexec_b64 s[42:43], s[8:9]
	s_cbranch_execz .LBB1123_205
.LBB1123_272:
	v_sub_u32_e32 v32, v38, v4
	v_mov_b32_e32 v33, 0
	v_lshlrev_b64 v[32:33], 2, v[32:33]
	v_add_co_u32_e32 v32, vcc, v3, v32
	v_addc_co_u32_e32 v33, vcc, v5, v33, vcc
	global_store_dword v[32:33], v11, off
	s_or_b64 exec, exec, s[42:43]
	s_and_saveexec_b64 s[42:43], s[6:7]
	s_cbranch_execz .LBB1123_206
.LBB1123_273:
	v_sub_u32_e32 v32, v34, v4
	v_mov_b32_e32 v33, 0
	v_lshlrev_b64 v[32:33], 2, v[32:33]
	v_add_co_u32_e32 v32, vcc, v3, v32
	v_addc_co_u32_e32 v33, vcc, v5, v33, vcc
	global_store_dword v[32:33], v8, off
	s_or_b64 exec, exec, s[42:43]
	s_and_saveexec_b64 s[42:43], s[4:5]
	s_cbranch_execnz .LBB1123_207
	s_branch .LBB1123_208
.LBB1123_274:
	v_sub_u32_e32 v28, v64, v4
	v_lshlrev_b32_e32 v28, 2, v28
	ds_write_b32 v28, v20
	s_or_b64 exec, exec, s[42:43]
	s_and_saveexec_b64 s[30:31], s[28:29]
	s_cbranch_execz .LBB1123_212
.LBB1123_275:
	v_sub_u32_e32 v20, v62, v4
	v_lshlrev_b32_e32 v20, 2, v20
	ds_write_b32 v20, v21
	s_or_b64 exec, exec, s[30:31]
	s_and_saveexec_b64 s[28:29], s[26:27]
	s_cbranch_execz .LBB1123_213
.LBB1123_276:
	v_sub_u32_e32 v20, v60, v4
	v_lshlrev_b32_e32 v20, 2, v20
	ds_write_b32 v20, v18
	s_or_b64 exec, exec, s[28:29]
	s_and_saveexec_b64 s[26:27], s[24:25]
	s_cbranch_execz .LBB1123_214
.LBB1123_277:
	v_sub_u32_e32 v18, v58, v4
	v_lshlrev_b32_e32 v18, 2, v18
	ds_write_b32 v18, v19
	s_or_b64 exec, exec, s[26:27]
	s_and_saveexec_b64 s[24:25], s[22:23]
	s_cbranch_execz .LBB1123_215
.LBB1123_278:
	v_sub_u32_e32 v18, v56, v4
	v_lshlrev_b32_e32 v18, 2, v18
	ds_write_b32 v18, v16
	s_or_b64 exec, exec, s[24:25]
	s_and_saveexec_b64 s[22:23], s[20:21]
	s_cbranch_execz .LBB1123_216
.LBB1123_279:
	v_sub_u32_e32 v16, v54, v4
	v_lshlrev_b32_e32 v16, 2, v16
	ds_write_b32 v16, v17
	s_or_b64 exec, exec, s[22:23]
	s_and_saveexec_b64 s[20:21], s[18:19]
	s_cbranch_execz .LBB1123_217
.LBB1123_280:
	v_sub_u32_e32 v16, v52, v4
	v_lshlrev_b32_e32 v16, 2, v16
	ds_write_b32 v16, v14
	s_or_b64 exec, exec, s[20:21]
	s_and_saveexec_b64 s[18:19], s[16:17]
	s_cbranch_execz .LBB1123_218
.LBB1123_281:
	v_sub_u32_e32 v14, v50, v4
	v_lshlrev_b32_e32 v14, 2, v14
	ds_write_b32 v14, v15
	s_or_b64 exec, exec, s[18:19]
	s_and_saveexec_b64 s[16:17], s[14:15]
	s_cbranch_execz .LBB1123_219
.LBB1123_282:
	v_sub_u32_e32 v14, v46, v4
	v_lshlrev_b32_e32 v14, 2, v14
	ds_write_b32 v14, v12
	s_or_b64 exec, exec, s[16:17]
	s_and_saveexec_b64 s[14:15], s[12:13]
	s_cbranch_execz .LBB1123_220
.LBB1123_283:
	v_sub_u32_e32 v12, v44, v4
	v_lshlrev_b32_e32 v12, 2, v12
	ds_write_b32 v12, v13
	s_or_b64 exec, exec, s[14:15]
	s_and_saveexec_b64 s[12:13], s[10:11]
	s_cbranch_execz .LBB1123_221
.LBB1123_284:
	v_sub_u32_e32 v12, v40, v4
	v_lshlrev_b32_e32 v12, 2, v12
	ds_write_b32 v12, v10
	s_or_b64 exec, exec, s[12:13]
	s_and_saveexec_b64 s[10:11], s[8:9]
	s_cbranch_execz .LBB1123_222
.LBB1123_285:
	v_sub_u32_e32 v10, v38, v4
	v_lshlrev_b32_e32 v10, 2, v10
	ds_write_b32 v10, v11
	s_or_b64 exec, exec, s[10:11]
	s_and_saveexec_b64 s[8:9], s[6:7]
	s_cbranch_execz .LBB1123_223
.LBB1123_286:
	v_sub_u32_e32 v10, v34, v4
	v_lshlrev_b32_e32 v10, 2, v10
	ds_write_b32 v10, v8
	s_or_b64 exec, exec, s[8:9]
	s_and_saveexec_b64 s[6:7], s[4:5]
	s_cbranch_execnz .LBB1123_224
	s_branch .LBB1123_225
.LBB1123_287:
	v_sub_u32_e32 v16, v64, v9
	v_mov_b32_e32 v17, 0
	v_lshlrev_b64 v[16:17], 2, v[16:17]
	v_add_co_u32_e32 v16, vcc, v13, v16
	v_addc_co_u32_e32 v17, vcc, v14, v17, vcc
	global_store_dword v[16:17], v65, off
	s_or_b64 exec, exec, s[38:39]
	s_and_saveexec_b64 s[38:39], s[26:27]
	s_cbranch_execz .LBB1123_229
.LBB1123_288:
	v_sub_u32_e32 v16, v62, v9
	v_mov_b32_e32 v17, 0
	v_lshlrev_b64 v[16:17], 2, v[16:17]
	v_add_co_u32_e32 v16, vcc, v13, v16
	v_addc_co_u32_e32 v17, vcc, v14, v17, vcc
	global_store_dword v[16:17], v63, off
	s_or_b64 exec, exec, s[38:39]
	s_and_saveexec_b64 s[38:39], s[24:25]
	s_cbranch_execz .LBB1123_230
.LBB1123_289:
	v_sub_u32_e32 v16, v60, v9
	v_mov_b32_e32 v17, 0
	v_lshlrev_b64 v[16:17], 2, v[16:17]
	v_add_co_u32_e32 v16, vcc, v13, v16
	v_addc_co_u32_e32 v17, vcc, v14, v17, vcc
	global_store_dword v[16:17], v61, off
	s_or_b64 exec, exec, s[38:39]
	s_and_saveexec_b64 s[38:39], s[22:23]
	s_cbranch_execz .LBB1123_231
.LBB1123_290:
	v_sub_u32_e32 v16, v58, v9
	v_mov_b32_e32 v17, 0
	v_lshlrev_b64 v[16:17], 2, v[16:17]
	v_add_co_u32_e32 v16, vcc, v13, v16
	v_addc_co_u32_e32 v17, vcc, v14, v17, vcc
	global_store_dword v[16:17], v59, off
	s_or_b64 exec, exec, s[38:39]
	s_and_saveexec_b64 s[38:39], s[20:21]
	s_cbranch_execz .LBB1123_232
.LBB1123_291:
	v_sub_u32_e32 v16, v56, v9
	v_mov_b32_e32 v17, 0
	v_lshlrev_b64 v[16:17], 2, v[16:17]
	v_add_co_u32_e32 v16, vcc, v13, v16
	v_addc_co_u32_e32 v17, vcc, v14, v17, vcc
	global_store_dword v[16:17], v57, off
	s_or_b64 exec, exec, s[38:39]
	s_and_saveexec_b64 s[38:39], s[18:19]
	s_cbranch_execz .LBB1123_233
.LBB1123_292:
	v_sub_u32_e32 v16, v54, v9
	v_mov_b32_e32 v17, 0
	v_lshlrev_b64 v[16:17], 2, v[16:17]
	v_add_co_u32_e32 v16, vcc, v13, v16
	v_addc_co_u32_e32 v17, vcc, v14, v17, vcc
	global_store_dword v[16:17], v55, off
	s_or_b64 exec, exec, s[38:39]
	s_and_saveexec_b64 s[38:39], s[16:17]
	s_cbranch_execz .LBB1123_234
.LBB1123_293:
	v_sub_u32_e32 v16, v52, v9
	v_mov_b32_e32 v17, 0
	v_lshlrev_b64 v[16:17], 2, v[16:17]
	v_add_co_u32_e32 v16, vcc, v13, v16
	v_addc_co_u32_e32 v17, vcc, v14, v17, vcc
	global_store_dword v[16:17], v53, off
	s_or_b64 exec, exec, s[38:39]
	s_and_saveexec_b64 s[38:39], s[14:15]
	s_cbranch_execz .LBB1123_235
.LBB1123_294:
	v_sub_u32_e32 v16, v50, v9
	v_mov_b32_e32 v17, 0
	v_lshlrev_b64 v[16:17], 2, v[16:17]
	v_add_co_u32_e32 v16, vcc, v13, v16
	v_addc_co_u32_e32 v17, vcc, v14, v17, vcc
	global_store_dword v[16:17], v51, off
	s_or_b64 exec, exec, s[38:39]
	s_and_saveexec_b64 s[38:39], s[12:13]
	s_cbranch_execz .LBB1123_236
.LBB1123_295:
	v_sub_u32_e32 v16, v46, v9
	v_mov_b32_e32 v17, 0
	v_lshlrev_b64 v[16:17], 2, v[16:17]
	v_add_co_u32_e32 v16, vcc, v13, v16
	v_addc_co_u32_e32 v17, vcc, v14, v17, vcc
	global_store_dword v[16:17], v47, off
	s_or_b64 exec, exec, s[38:39]
	s_and_saveexec_b64 s[38:39], s[10:11]
	s_cbranch_execz .LBB1123_237
.LBB1123_296:
	v_sub_u32_e32 v16, v44, v9
	v_mov_b32_e32 v17, 0
	v_lshlrev_b64 v[16:17], 2, v[16:17]
	v_add_co_u32_e32 v16, vcc, v13, v16
	v_addc_co_u32_e32 v17, vcc, v14, v17, vcc
	global_store_dword v[16:17], v45, off
	s_or_b64 exec, exec, s[38:39]
	s_and_saveexec_b64 s[38:39], s[8:9]
	s_cbranch_execz .LBB1123_238
.LBB1123_297:
	v_sub_u32_e32 v16, v40, v9
	v_mov_b32_e32 v17, 0
	v_lshlrev_b64 v[16:17], 2, v[16:17]
	v_add_co_u32_e32 v16, vcc, v13, v16
	v_addc_co_u32_e32 v17, vcc, v14, v17, vcc
	global_store_dword v[16:17], v41, off
	s_or_b64 exec, exec, s[38:39]
	s_and_saveexec_b64 s[38:39], s[6:7]
	s_cbranch_execz .LBB1123_239
.LBB1123_298:
	v_sub_u32_e32 v16, v38, v9
	v_mov_b32_e32 v17, 0
	v_lshlrev_b64 v[16:17], 2, v[16:17]
	v_add_co_u32_e32 v16, vcc, v13, v16
	v_addc_co_u32_e32 v17, vcc, v14, v17, vcc
	global_store_dword v[16:17], v39, off
	s_or_b64 exec, exec, s[38:39]
	s_and_saveexec_b64 s[38:39], s[4:5]
	s_cbranch_execz .LBB1123_240
.LBB1123_299:
	v_sub_u32_e32 v16, v34, v9
	v_mov_b32_e32 v17, 0
	v_lshlrev_b64 v[16:17], 2, v[16:17]
	v_add_co_u32_e32 v16, vcc, v13, v16
	v_addc_co_u32_e32 v17, vcc, v14, v17, vcc
	global_store_dword v[16:17], v35, off
	s_or_b64 exec, exec, s[38:39]
	s_and_saveexec_b64 s[38:39], s[2:3]
	s_cbranch_execnz .LBB1123_241
	s_branch .LBB1123_242
.LBB1123_300:
	v_sub_u32_e32 v10, v64, v9
	v_lshlrev_b32_e32 v10, 2, v10
	ds_write_b32 v10, v65
	s_or_b64 exec, exec, s[38:39]
	s_and_saveexec_b64 s[28:29], s[26:27]
	s_cbranch_execz .LBB1123_246
.LBB1123_301:
	v_sub_u32_e32 v10, v62, v9
	v_lshlrev_b32_e32 v10, 2, v10
	ds_write_b32 v10, v63
	s_or_b64 exec, exec, s[28:29]
	s_and_saveexec_b64 s[26:27], s[24:25]
	s_cbranch_execz .LBB1123_247
.LBB1123_302:
	v_sub_u32_e32 v10, v60, v9
	v_lshlrev_b32_e32 v10, 2, v10
	ds_write_b32 v10, v61
	s_or_b64 exec, exec, s[26:27]
	s_and_saveexec_b64 s[24:25], s[22:23]
	s_cbranch_execz .LBB1123_248
.LBB1123_303:
	v_sub_u32_e32 v10, v58, v9
	v_lshlrev_b32_e32 v10, 2, v10
	ds_write_b32 v10, v59
	s_or_b64 exec, exec, s[24:25]
	s_and_saveexec_b64 s[22:23], s[20:21]
	s_cbranch_execz .LBB1123_249
.LBB1123_304:
	v_sub_u32_e32 v10, v56, v9
	v_lshlrev_b32_e32 v10, 2, v10
	ds_write_b32 v10, v57
	s_or_b64 exec, exec, s[22:23]
	s_and_saveexec_b64 s[20:21], s[18:19]
	s_cbranch_execz .LBB1123_250
.LBB1123_305:
	v_sub_u32_e32 v10, v54, v9
	v_lshlrev_b32_e32 v10, 2, v10
	ds_write_b32 v10, v55
	s_or_b64 exec, exec, s[20:21]
	s_and_saveexec_b64 s[18:19], s[16:17]
	s_cbranch_execz .LBB1123_251
.LBB1123_306:
	v_sub_u32_e32 v10, v52, v9
	v_lshlrev_b32_e32 v10, 2, v10
	ds_write_b32 v10, v53
	s_or_b64 exec, exec, s[18:19]
	s_and_saveexec_b64 s[16:17], s[14:15]
	s_cbranch_execz .LBB1123_252
.LBB1123_307:
	v_sub_u32_e32 v10, v50, v9
	v_lshlrev_b32_e32 v10, 2, v10
	ds_write_b32 v10, v51
	s_or_b64 exec, exec, s[16:17]
	s_and_saveexec_b64 s[14:15], s[12:13]
	s_cbranch_execz .LBB1123_253
.LBB1123_308:
	v_sub_u32_e32 v10, v46, v9
	v_lshlrev_b32_e32 v10, 2, v10
	ds_write_b32 v10, v47
	s_or_b64 exec, exec, s[14:15]
	s_and_saveexec_b64 s[12:13], s[10:11]
	s_cbranch_execz .LBB1123_254
.LBB1123_309:
	v_sub_u32_e32 v10, v44, v9
	v_lshlrev_b32_e32 v10, 2, v10
	ds_write_b32 v10, v45
	s_or_b64 exec, exec, s[12:13]
	s_and_saveexec_b64 s[10:11], s[8:9]
	s_cbranch_execz .LBB1123_255
.LBB1123_310:
	v_sub_u32_e32 v10, v40, v9
	v_lshlrev_b32_e32 v10, 2, v10
	ds_write_b32 v10, v41
	s_or_b64 exec, exec, s[10:11]
	s_and_saveexec_b64 s[8:9], s[6:7]
	s_cbranch_execz .LBB1123_256
.LBB1123_311:
	v_sub_u32_e32 v10, v38, v9
	v_lshlrev_b32_e32 v10, 2, v10
	ds_write_b32 v10, v39
	s_or_b64 exec, exec, s[8:9]
	s_and_saveexec_b64 s[6:7], s[4:5]
	s_cbranch_execz .LBB1123_257
.LBB1123_312:
	v_sub_u32_e32 v10, v34, v9
	v_lshlrev_b32_e32 v10, 2, v10
	ds_write_b32 v10, v35
	s_or_b64 exec, exec, s[6:7]
	s_and_saveexec_b64 s[4:5], s[2:3]
	s_cbranch_execnz .LBB1123_258
	s_branch .LBB1123_259
	.section	.rodata,"a",@progbits
	.p2align	6, 0x0
	.amdhsa_kernel _ZN7rocprim17ROCPRIM_400000_NS6detail17trampoline_kernelINS0_14default_configENS1_29reduce_by_key_config_selectorIiiN6thrust23THRUST_200600_302600_NS4plusIiEEEEZZNS1_33reduce_by_key_impl_wrapped_configILNS1_25lookback_scan_determinismE0ES3_S9_NS6_10device_ptrIiEESD_SD_SD_PmS8_NS6_8equal_toIiEEEE10hipError_tPvRmT2_T3_mT4_T5_T6_T7_T8_P12ihipStream_tbENKUlT_T0_E_clISt17integral_constantIbLb0EESX_IbLb1EEEEDaST_SU_EUlST_E_NS1_11comp_targetILNS1_3genE4ELNS1_11target_archE910ELNS1_3gpuE8ELNS1_3repE0EEENS1_30default_config_static_selectorELNS0_4arch9wavefront6targetE1EEEvT1_
		.amdhsa_group_segment_fixed_size 15360
		.amdhsa_private_segment_fixed_size 0
		.amdhsa_kernarg_size 120
		.amdhsa_user_sgpr_count 6
		.amdhsa_user_sgpr_private_segment_buffer 1
		.amdhsa_user_sgpr_dispatch_ptr 0
		.amdhsa_user_sgpr_queue_ptr 0
		.amdhsa_user_sgpr_kernarg_segment_ptr 1
		.amdhsa_user_sgpr_dispatch_id 0
		.amdhsa_user_sgpr_flat_scratch_init 0
		.amdhsa_user_sgpr_kernarg_preload_length 0
		.amdhsa_user_sgpr_kernarg_preload_offset 0
		.amdhsa_user_sgpr_private_segment_size 0
		.amdhsa_uses_dynamic_stack 0
		.amdhsa_system_sgpr_private_segment_wavefront_offset 0
		.amdhsa_system_sgpr_workgroup_id_x 1
		.amdhsa_system_sgpr_workgroup_id_y 0
		.amdhsa_system_sgpr_workgroup_id_z 0
		.amdhsa_system_sgpr_workgroup_info 0
		.amdhsa_system_vgpr_workitem_id 0
		.amdhsa_next_free_vgpr 106
		.amdhsa_next_free_sgpr 66
		.amdhsa_accum_offset 108
		.amdhsa_reserve_vcc 1
		.amdhsa_reserve_flat_scratch 0
		.amdhsa_float_round_mode_32 0
		.amdhsa_float_round_mode_16_64 0
		.amdhsa_float_denorm_mode_32 3
		.amdhsa_float_denorm_mode_16_64 3
		.amdhsa_dx10_clamp 1
		.amdhsa_ieee_mode 1
		.amdhsa_fp16_overflow 0
		.amdhsa_tg_split 0
		.amdhsa_exception_fp_ieee_invalid_op 0
		.amdhsa_exception_fp_denorm_src 0
		.amdhsa_exception_fp_ieee_div_zero 0
		.amdhsa_exception_fp_ieee_overflow 0
		.amdhsa_exception_fp_ieee_underflow 0
		.amdhsa_exception_fp_ieee_inexact 0
		.amdhsa_exception_int_div_zero 0
	.end_amdhsa_kernel
	.section	.text._ZN7rocprim17ROCPRIM_400000_NS6detail17trampoline_kernelINS0_14default_configENS1_29reduce_by_key_config_selectorIiiN6thrust23THRUST_200600_302600_NS4plusIiEEEEZZNS1_33reduce_by_key_impl_wrapped_configILNS1_25lookback_scan_determinismE0ES3_S9_NS6_10device_ptrIiEESD_SD_SD_PmS8_NS6_8equal_toIiEEEE10hipError_tPvRmT2_T3_mT4_T5_T6_T7_T8_P12ihipStream_tbENKUlT_T0_E_clISt17integral_constantIbLb0EESX_IbLb1EEEEDaST_SU_EUlST_E_NS1_11comp_targetILNS1_3genE4ELNS1_11target_archE910ELNS1_3gpuE8ELNS1_3repE0EEENS1_30default_config_static_selectorELNS0_4arch9wavefront6targetE1EEEvT1_,"axG",@progbits,_ZN7rocprim17ROCPRIM_400000_NS6detail17trampoline_kernelINS0_14default_configENS1_29reduce_by_key_config_selectorIiiN6thrust23THRUST_200600_302600_NS4plusIiEEEEZZNS1_33reduce_by_key_impl_wrapped_configILNS1_25lookback_scan_determinismE0ES3_S9_NS6_10device_ptrIiEESD_SD_SD_PmS8_NS6_8equal_toIiEEEE10hipError_tPvRmT2_T3_mT4_T5_T6_T7_T8_P12ihipStream_tbENKUlT_T0_E_clISt17integral_constantIbLb0EESX_IbLb1EEEEDaST_SU_EUlST_E_NS1_11comp_targetILNS1_3genE4ELNS1_11target_archE910ELNS1_3gpuE8ELNS1_3repE0EEENS1_30default_config_static_selectorELNS0_4arch9wavefront6targetE1EEEvT1_,comdat
.Lfunc_end1123:
	.size	_ZN7rocprim17ROCPRIM_400000_NS6detail17trampoline_kernelINS0_14default_configENS1_29reduce_by_key_config_selectorIiiN6thrust23THRUST_200600_302600_NS4plusIiEEEEZZNS1_33reduce_by_key_impl_wrapped_configILNS1_25lookback_scan_determinismE0ES3_S9_NS6_10device_ptrIiEESD_SD_SD_PmS8_NS6_8equal_toIiEEEE10hipError_tPvRmT2_T3_mT4_T5_T6_T7_T8_P12ihipStream_tbENKUlT_T0_E_clISt17integral_constantIbLb0EESX_IbLb1EEEEDaST_SU_EUlST_E_NS1_11comp_targetILNS1_3genE4ELNS1_11target_archE910ELNS1_3gpuE8ELNS1_3repE0EEENS1_30default_config_static_selectorELNS0_4arch9wavefront6targetE1EEEvT1_, .Lfunc_end1123-_ZN7rocprim17ROCPRIM_400000_NS6detail17trampoline_kernelINS0_14default_configENS1_29reduce_by_key_config_selectorIiiN6thrust23THRUST_200600_302600_NS4plusIiEEEEZZNS1_33reduce_by_key_impl_wrapped_configILNS1_25lookback_scan_determinismE0ES3_S9_NS6_10device_ptrIiEESD_SD_SD_PmS8_NS6_8equal_toIiEEEE10hipError_tPvRmT2_T3_mT4_T5_T6_T7_T8_P12ihipStream_tbENKUlT_T0_E_clISt17integral_constantIbLb0EESX_IbLb1EEEEDaST_SU_EUlST_E_NS1_11comp_targetILNS1_3genE4ELNS1_11target_archE910ELNS1_3gpuE8ELNS1_3repE0EEENS1_30default_config_static_selectorELNS0_4arch9wavefront6targetE1EEEvT1_
                                        ; -- End function
	.section	.AMDGPU.csdata,"",@progbits
; Kernel info:
; codeLenInByte = 17120
; NumSgprs: 70
; NumVgprs: 106
; NumAgprs: 0
; TotalNumVgprs: 106
; ScratchSize: 0
; MemoryBound: 0
; FloatMode: 240
; IeeeMode: 1
; LDSByteSize: 15360 bytes/workgroup (compile time only)
; SGPRBlocks: 8
; VGPRBlocks: 13
; NumSGPRsForWavesPerEU: 70
; NumVGPRsForWavesPerEU: 106
; AccumOffset: 108
; Occupancy: 4
; WaveLimiterHint : 1
; COMPUTE_PGM_RSRC2:SCRATCH_EN: 0
; COMPUTE_PGM_RSRC2:USER_SGPR: 6
; COMPUTE_PGM_RSRC2:TRAP_HANDLER: 0
; COMPUTE_PGM_RSRC2:TGID_X_EN: 1
; COMPUTE_PGM_RSRC2:TGID_Y_EN: 0
; COMPUTE_PGM_RSRC2:TGID_Z_EN: 0
; COMPUTE_PGM_RSRC2:TIDIG_COMP_CNT: 0
; COMPUTE_PGM_RSRC3_GFX90A:ACCUM_OFFSET: 26
; COMPUTE_PGM_RSRC3_GFX90A:TG_SPLIT: 0
	.section	.text._ZN7rocprim17ROCPRIM_400000_NS6detail17trampoline_kernelINS0_14default_configENS1_29reduce_by_key_config_selectorIiiN6thrust23THRUST_200600_302600_NS4plusIiEEEEZZNS1_33reduce_by_key_impl_wrapped_configILNS1_25lookback_scan_determinismE0ES3_S9_NS6_10device_ptrIiEESD_SD_SD_PmS8_NS6_8equal_toIiEEEE10hipError_tPvRmT2_T3_mT4_T5_T6_T7_T8_P12ihipStream_tbENKUlT_T0_E_clISt17integral_constantIbLb0EESX_IbLb1EEEEDaST_SU_EUlST_E_NS1_11comp_targetILNS1_3genE3ELNS1_11target_archE908ELNS1_3gpuE7ELNS1_3repE0EEENS1_30default_config_static_selectorELNS0_4arch9wavefront6targetE1EEEvT1_,"axG",@progbits,_ZN7rocprim17ROCPRIM_400000_NS6detail17trampoline_kernelINS0_14default_configENS1_29reduce_by_key_config_selectorIiiN6thrust23THRUST_200600_302600_NS4plusIiEEEEZZNS1_33reduce_by_key_impl_wrapped_configILNS1_25lookback_scan_determinismE0ES3_S9_NS6_10device_ptrIiEESD_SD_SD_PmS8_NS6_8equal_toIiEEEE10hipError_tPvRmT2_T3_mT4_T5_T6_T7_T8_P12ihipStream_tbENKUlT_T0_E_clISt17integral_constantIbLb0EESX_IbLb1EEEEDaST_SU_EUlST_E_NS1_11comp_targetILNS1_3genE3ELNS1_11target_archE908ELNS1_3gpuE7ELNS1_3repE0EEENS1_30default_config_static_selectorELNS0_4arch9wavefront6targetE1EEEvT1_,comdat
	.protected	_ZN7rocprim17ROCPRIM_400000_NS6detail17trampoline_kernelINS0_14default_configENS1_29reduce_by_key_config_selectorIiiN6thrust23THRUST_200600_302600_NS4plusIiEEEEZZNS1_33reduce_by_key_impl_wrapped_configILNS1_25lookback_scan_determinismE0ES3_S9_NS6_10device_ptrIiEESD_SD_SD_PmS8_NS6_8equal_toIiEEEE10hipError_tPvRmT2_T3_mT4_T5_T6_T7_T8_P12ihipStream_tbENKUlT_T0_E_clISt17integral_constantIbLb0EESX_IbLb1EEEEDaST_SU_EUlST_E_NS1_11comp_targetILNS1_3genE3ELNS1_11target_archE908ELNS1_3gpuE7ELNS1_3repE0EEENS1_30default_config_static_selectorELNS0_4arch9wavefront6targetE1EEEvT1_ ; -- Begin function _ZN7rocprim17ROCPRIM_400000_NS6detail17trampoline_kernelINS0_14default_configENS1_29reduce_by_key_config_selectorIiiN6thrust23THRUST_200600_302600_NS4plusIiEEEEZZNS1_33reduce_by_key_impl_wrapped_configILNS1_25lookback_scan_determinismE0ES3_S9_NS6_10device_ptrIiEESD_SD_SD_PmS8_NS6_8equal_toIiEEEE10hipError_tPvRmT2_T3_mT4_T5_T6_T7_T8_P12ihipStream_tbENKUlT_T0_E_clISt17integral_constantIbLb0EESX_IbLb1EEEEDaST_SU_EUlST_E_NS1_11comp_targetILNS1_3genE3ELNS1_11target_archE908ELNS1_3gpuE7ELNS1_3repE0EEENS1_30default_config_static_selectorELNS0_4arch9wavefront6targetE1EEEvT1_
	.globl	_ZN7rocprim17ROCPRIM_400000_NS6detail17trampoline_kernelINS0_14default_configENS1_29reduce_by_key_config_selectorIiiN6thrust23THRUST_200600_302600_NS4plusIiEEEEZZNS1_33reduce_by_key_impl_wrapped_configILNS1_25lookback_scan_determinismE0ES3_S9_NS6_10device_ptrIiEESD_SD_SD_PmS8_NS6_8equal_toIiEEEE10hipError_tPvRmT2_T3_mT4_T5_T6_T7_T8_P12ihipStream_tbENKUlT_T0_E_clISt17integral_constantIbLb0EESX_IbLb1EEEEDaST_SU_EUlST_E_NS1_11comp_targetILNS1_3genE3ELNS1_11target_archE908ELNS1_3gpuE7ELNS1_3repE0EEENS1_30default_config_static_selectorELNS0_4arch9wavefront6targetE1EEEvT1_
	.p2align	8
	.type	_ZN7rocprim17ROCPRIM_400000_NS6detail17trampoline_kernelINS0_14default_configENS1_29reduce_by_key_config_selectorIiiN6thrust23THRUST_200600_302600_NS4plusIiEEEEZZNS1_33reduce_by_key_impl_wrapped_configILNS1_25lookback_scan_determinismE0ES3_S9_NS6_10device_ptrIiEESD_SD_SD_PmS8_NS6_8equal_toIiEEEE10hipError_tPvRmT2_T3_mT4_T5_T6_T7_T8_P12ihipStream_tbENKUlT_T0_E_clISt17integral_constantIbLb0EESX_IbLb1EEEEDaST_SU_EUlST_E_NS1_11comp_targetILNS1_3genE3ELNS1_11target_archE908ELNS1_3gpuE7ELNS1_3repE0EEENS1_30default_config_static_selectorELNS0_4arch9wavefront6targetE1EEEvT1_,@function
_ZN7rocprim17ROCPRIM_400000_NS6detail17trampoline_kernelINS0_14default_configENS1_29reduce_by_key_config_selectorIiiN6thrust23THRUST_200600_302600_NS4plusIiEEEEZZNS1_33reduce_by_key_impl_wrapped_configILNS1_25lookback_scan_determinismE0ES3_S9_NS6_10device_ptrIiEESD_SD_SD_PmS8_NS6_8equal_toIiEEEE10hipError_tPvRmT2_T3_mT4_T5_T6_T7_T8_P12ihipStream_tbENKUlT_T0_E_clISt17integral_constantIbLb0EESX_IbLb1EEEEDaST_SU_EUlST_E_NS1_11comp_targetILNS1_3genE3ELNS1_11target_archE908ELNS1_3gpuE7ELNS1_3repE0EEENS1_30default_config_static_selectorELNS0_4arch9wavefront6targetE1EEEvT1_: ; @_ZN7rocprim17ROCPRIM_400000_NS6detail17trampoline_kernelINS0_14default_configENS1_29reduce_by_key_config_selectorIiiN6thrust23THRUST_200600_302600_NS4plusIiEEEEZZNS1_33reduce_by_key_impl_wrapped_configILNS1_25lookback_scan_determinismE0ES3_S9_NS6_10device_ptrIiEESD_SD_SD_PmS8_NS6_8equal_toIiEEEE10hipError_tPvRmT2_T3_mT4_T5_T6_T7_T8_P12ihipStream_tbENKUlT_T0_E_clISt17integral_constantIbLb0EESX_IbLb1EEEEDaST_SU_EUlST_E_NS1_11comp_targetILNS1_3genE3ELNS1_11target_archE908ELNS1_3gpuE7ELNS1_3repE0EEENS1_30default_config_static_selectorELNS0_4arch9wavefront6targetE1EEEvT1_
; %bb.0:
	.section	.rodata,"a",@progbits
	.p2align	6, 0x0
	.amdhsa_kernel _ZN7rocprim17ROCPRIM_400000_NS6detail17trampoline_kernelINS0_14default_configENS1_29reduce_by_key_config_selectorIiiN6thrust23THRUST_200600_302600_NS4plusIiEEEEZZNS1_33reduce_by_key_impl_wrapped_configILNS1_25lookback_scan_determinismE0ES3_S9_NS6_10device_ptrIiEESD_SD_SD_PmS8_NS6_8equal_toIiEEEE10hipError_tPvRmT2_T3_mT4_T5_T6_T7_T8_P12ihipStream_tbENKUlT_T0_E_clISt17integral_constantIbLb0EESX_IbLb1EEEEDaST_SU_EUlST_E_NS1_11comp_targetILNS1_3genE3ELNS1_11target_archE908ELNS1_3gpuE7ELNS1_3repE0EEENS1_30default_config_static_selectorELNS0_4arch9wavefront6targetE1EEEvT1_
		.amdhsa_group_segment_fixed_size 0
		.amdhsa_private_segment_fixed_size 0
		.amdhsa_kernarg_size 120
		.amdhsa_user_sgpr_count 6
		.amdhsa_user_sgpr_private_segment_buffer 1
		.amdhsa_user_sgpr_dispatch_ptr 0
		.amdhsa_user_sgpr_queue_ptr 0
		.amdhsa_user_sgpr_kernarg_segment_ptr 1
		.amdhsa_user_sgpr_dispatch_id 0
		.amdhsa_user_sgpr_flat_scratch_init 0
		.amdhsa_user_sgpr_kernarg_preload_length 0
		.amdhsa_user_sgpr_kernarg_preload_offset 0
		.amdhsa_user_sgpr_private_segment_size 0
		.amdhsa_uses_dynamic_stack 0
		.amdhsa_system_sgpr_private_segment_wavefront_offset 0
		.amdhsa_system_sgpr_workgroup_id_x 1
		.amdhsa_system_sgpr_workgroup_id_y 0
		.amdhsa_system_sgpr_workgroup_id_z 0
		.amdhsa_system_sgpr_workgroup_info 0
		.amdhsa_system_vgpr_workitem_id 0
		.amdhsa_next_free_vgpr 1
		.amdhsa_next_free_sgpr 0
		.amdhsa_accum_offset 4
		.amdhsa_reserve_vcc 0
		.amdhsa_reserve_flat_scratch 0
		.amdhsa_float_round_mode_32 0
		.amdhsa_float_round_mode_16_64 0
		.amdhsa_float_denorm_mode_32 3
		.amdhsa_float_denorm_mode_16_64 3
		.amdhsa_dx10_clamp 1
		.amdhsa_ieee_mode 1
		.amdhsa_fp16_overflow 0
		.amdhsa_tg_split 0
		.amdhsa_exception_fp_ieee_invalid_op 0
		.amdhsa_exception_fp_denorm_src 0
		.amdhsa_exception_fp_ieee_div_zero 0
		.amdhsa_exception_fp_ieee_overflow 0
		.amdhsa_exception_fp_ieee_underflow 0
		.amdhsa_exception_fp_ieee_inexact 0
		.amdhsa_exception_int_div_zero 0
	.end_amdhsa_kernel
	.section	.text._ZN7rocprim17ROCPRIM_400000_NS6detail17trampoline_kernelINS0_14default_configENS1_29reduce_by_key_config_selectorIiiN6thrust23THRUST_200600_302600_NS4plusIiEEEEZZNS1_33reduce_by_key_impl_wrapped_configILNS1_25lookback_scan_determinismE0ES3_S9_NS6_10device_ptrIiEESD_SD_SD_PmS8_NS6_8equal_toIiEEEE10hipError_tPvRmT2_T3_mT4_T5_T6_T7_T8_P12ihipStream_tbENKUlT_T0_E_clISt17integral_constantIbLb0EESX_IbLb1EEEEDaST_SU_EUlST_E_NS1_11comp_targetILNS1_3genE3ELNS1_11target_archE908ELNS1_3gpuE7ELNS1_3repE0EEENS1_30default_config_static_selectorELNS0_4arch9wavefront6targetE1EEEvT1_,"axG",@progbits,_ZN7rocprim17ROCPRIM_400000_NS6detail17trampoline_kernelINS0_14default_configENS1_29reduce_by_key_config_selectorIiiN6thrust23THRUST_200600_302600_NS4plusIiEEEEZZNS1_33reduce_by_key_impl_wrapped_configILNS1_25lookback_scan_determinismE0ES3_S9_NS6_10device_ptrIiEESD_SD_SD_PmS8_NS6_8equal_toIiEEEE10hipError_tPvRmT2_T3_mT4_T5_T6_T7_T8_P12ihipStream_tbENKUlT_T0_E_clISt17integral_constantIbLb0EESX_IbLb1EEEEDaST_SU_EUlST_E_NS1_11comp_targetILNS1_3genE3ELNS1_11target_archE908ELNS1_3gpuE7ELNS1_3repE0EEENS1_30default_config_static_selectorELNS0_4arch9wavefront6targetE1EEEvT1_,comdat
.Lfunc_end1124:
	.size	_ZN7rocprim17ROCPRIM_400000_NS6detail17trampoline_kernelINS0_14default_configENS1_29reduce_by_key_config_selectorIiiN6thrust23THRUST_200600_302600_NS4plusIiEEEEZZNS1_33reduce_by_key_impl_wrapped_configILNS1_25lookback_scan_determinismE0ES3_S9_NS6_10device_ptrIiEESD_SD_SD_PmS8_NS6_8equal_toIiEEEE10hipError_tPvRmT2_T3_mT4_T5_T6_T7_T8_P12ihipStream_tbENKUlT_T0_E_clISt17integral_constantIbLb0EESX_IbLb1EEEEDaST_SU_EUlST_E_NS1_11comp_targetILNS1_3genE3ELNS1_11target_archE908ELNS1_3gpuE7ELNS1_3repE0EEENS1_30default_config_static_selectorELNS0_4arch9wavefront6targetE1EEEvT1_, .Lfunc_end1124-_ZN7rocprim17ROCPRIM_400000_NS6detail17trampoline_kernelINS0_14default_configENS1_29reduce_by_key_config_selectorIiiN6thrust23THRUST_200600_302600_NS4plusIiEEEEZZNS1_33reduce_by_key_impl_wrapped_configILNS1_25lookback_scan_determinismE0ES3_S9_NS6_10device_ptrIiEESD_SD_SD_PmS8_NS6_8equal_toIiEEEE10hipError_tPvRmT2_T3_mT4_T5_T6_T7_T8_P12ihipStream_tbENKUlT_T0_E_clISt17integral_constantIbLb0EESX_IbLb1EEEEDaST_SU_EUlST_E_NS1_11comp_targetILNS1_3genE3ELNS1_11target_archE908ELNS1_3gpuE7ELNS1_3repE0EEENS1_30default_config_static_selectorELNS0_4arch9wavefront6targetE1EEEvT1_
                                        ; -- End function
	.section	.AMDGPU.csdata,"",@progbits
; Kernel info:
; codeLenInByte = 0
; NumSgprs: 4
; NumVgprs: 0
; NumAgprs: 0
; TotalNumVgprs: 0
; ScratchSize: 0
; MemoryBound: 0
; FloatMode: 240
; IeeeMode: 1
; LDSByteSize: 0 bytes/workgroup (compile time only)
; SGPRBlocks: 0
; VGPRBlocks: 0
; NumSGPRsForWavesPerEU: 4
; NumVGPRsForWavesPerEU: 1
; AccumOffset: 4
; Occupancy: 8
; WaveLimiterHint : 0
; COMPUTE_PGM_RSRC2:SCRATCH_EN: 0
; COMPUTE_PGM_RSRC2:USER_SGPR: 6
; COMPUTE_PGM_RSRC2:TRAP_HANDLER: 0
; COMPUTE_PGM_RSRC2:TGID_X_EN: 1
; COMPUTE_PGM_RSRC2:TGID_Y_EN: 0
; COMPUTE_PGM_RSRC2:TGID_Z_EN: 0
; COMPUTE_PGM_RSRC2:TIDIG_COMP_CNT: 0
; COMPUTE_PGM_RSRC3_GFX90A:ACCUM_OFFSET: 0
; COMPUTE_PGM_RSRC3_GFX90A:TG_SPLIT: 0
	.section	.text._ZN7rocprim17ROCPRIM_400000_NS6detail17trampoline_kernelINS0_14default_configENS1_29reduce_by_key_config_selectorIiiN6thrust23THRUST_200600_302600_NS4plusIiEEEEZZNS1_33reduce_by_key_impl_wrapped_configILNS1_25lookback_scan_determinismE0ES3_S9_NS6_10device_ptrIiEESD_SD_SD_PmS8_NS6_8equal_toIiEEEE10hipError_tPvRmT2_T3_mT4_T5_T6_T7_T8_P12ihipStream_tbENKUlT_T0_E_clISt17integral_constantIbLb0EESX_IbLb1EEEEDaST_SU_EUlST_E_NS1_11comp_targetILNS1_3genE2ELNS1_11target_archE906ELNS1_3gpuE6ELNS1_3repE0EEENS1_30default_config_static_selectorELNS0_4arch9wavefront6targetE1EEEvT1_,"axG",@progbits,_ZN7rocprim17ROCPRIM_400000_NS6detail17trampoline_kernelINS0_14default_configENS1_29reduce_by_key_config_selectorIiiN6thrust23THRUST_200600_302600_NS4plusIiEEEEZZNS1_33reduce_by_key_impl_wrapped_configILNS1_25lookback_scan_determinismE0ES3_S9_NS6_10device_ptrIiEESD_SD_SD_PmS8_NS6_8equal_toIiEEEE10hipError_tPvRmT2_T3_mT4_T5_T6_T7_T8_P12ihipStream_tbENKUlT_T0_E_clISt17integral_constantIbLb0EESX_IbLb1EEEEDaST_SU_EUlST_E_NS1_11comp_targetILNS1_3genE2ELNS1_11target_archE906ELNS1_3gpuE6ELNS1_3repE0EEENS1_30default_config_static_selectorELNS0_4arch9wavefront6targetE1EEEvT1_,comdat
	.protected	_ZN7rocprim17ROCPRIM_400000_NS6detail17trampoline_kernelINS0_14default_configENS1_29reduce_by_key_config_selectorIiiN6thrust23THRUST_200600_302600_NS4plusIiEEEEZZNS1_33reduce_by_key_impl_wrapped_configILNS1_25lookback_scan_determinismE0ES3_S9_NS6_10device_ptrIiEESD_SD_SD_PmS8_NS6_8equal_toIiEEEE10hipError_tPvRmT2_T3_mT4_T5_T6_T7_T8_P12ihipStream_tbENKUlT_T0_E_clISt17integral_constantIbLb0EESX_IbLb1EEEEDaST_SU_EUlST_E_NS1_11comp_targetILNS1_3genE2ELNS1_11target_archE906ELNS1_3gpuE6ELNS1_3repE0EEENS1_30default_config_static_selectorELNS0_4arch9wavefront6targetE1EEEvT1_ ; -- Begin function _ZN7rocprim17ROCPRIM_400000_NS6detail17trampoline_kernelINS0_14default_configENS1_29reduce_by_key_config_selectorIiiN6thrust23THRUST_200600_302600_NS4plusIiEEEEZZNS1_33reduce_by_key_impl_wrapped_configILNS1_25lookback_scan_determinismE0ES3_S9_NS6_10device_ptrIiEESD_SD_SD_PmS8_NS6_8equal_toIiEEEE10hipError_tPvRmT2_T3_mT4_T5_T6_T7_T8_P12ihipStream_tbENKUlT_T0_E_clISt17integral_constantIbLb0EESX_IbLb1EEEEDaST_SU_EUlST_E_NS1_11comp_targetILNS1_3genE2ELNS1_11target_archE906ELNS1_3gpuE6ELNS1_3repE0EEENS1_30default_config_static_selectorELNS0_4arch9wavefront6targetE1EEEvT1_
	.globl	_ZN7rocprim17ROCPRIM_400000_NS6detail17trampoline_kernelINS0_14default_configENS1_29reduce_by_key_config_selectorIiiN6thrust23THRUST_200600_302600_NS4plusIiEEEEZZNS1_33reduce_by_key_impl_wrapped_configILNS1_25lookback_scan_determinismE0ES3_S9_NS6_10device_ptrIiEESD_SD_SD_PmS8_NS6_8equal_toIiEEEE10hipError_tPvRmT2_T3_mT4_T5_T6_T7_T8_P12ihipStream_tbENKUlT_T0_E_clISt17integral_constantIbLb0EESX_IbLb1EEEEDaST_SU_EUlST_E_NS1_11comp_targetILNS1_3genE2ELNS1_11target_archE906ELNS1_3gpuE6ELNS1_3repE0EEENS1_30default_config_static_selectorELNS0_4arch9wavefront6targetE1EEEvT1_
	.p2align	8
	.type	_ZN7rocprim17ROCPRIM_400000_NS6detail17trampoline_kernelINS0_14default_configENS1_29reduce_by_key_config_selectorIiiN6thrust23THRUST_200600_302600_NS4plusIiEEEEZZNS1_33reduce_by_key_impl_wrapped_configILNS1_25lookback_scan_determinismE0ES3_S9_NS6_10device_ptrIiEESD_SD_SD_PmS8_NS6_8equal_toIiEEEE10hipError_tPvRmT2_T3_mT4_T5_T6_T7_T8_P12ihipStream_tbENKUlT_T0_E_clISt17integral_constantIbLb0EESX_IbLb1EEEEDaST_SU_EUlST_E_NS1_11comp_targetILNS1_3genE2ELNS1_11target_archE906ELNS1_3gpuE6ELNS1_3repE0EEENS1_30default_config_static_selectorELNS0_4arch9wavefront6targetE1EEEvT1_,@function
_ZN7rocprim17ROCPRIM_400000_NS6detail17trampoline_kernelINS0_14default_configENS1_29reduce_by_key_config_selectorIiiN6thrust23THRUST_200600_302600_NS4plusIiEEEEZZNS1_33reduce_by_key_impl_wrapped_configILNS1_25lookback_scan_determinismE0ES3_S9_NS6_10device_ptrIiEESD_SD_SD_PmS8_NS6_8equal_toIiEEEE10hipError_tPvRmT2_T3_mT4_T5_T6_T7_T8_P12ihipStream_tbENKUlT_T0_E_clISt17integral_constantIbLb0EESX_IbLb1EEEEDaST_SU_EUlST_E_NS1_11comp_targetILNS1_3genE2ELNS1_11target_archE906ELNS1_3gpuE6ELNS1_3repE0EEENS1_30default_config_static_selectorELNS0_4arch9wavefront6targetE1EEEvT1_: ; @_ZN7rocprim17ROCPRIM_400000_NS6detail17trampoline_kernelINS0_14default_configENS1_29reduce_by_key_config_selectorIiiN6thrust23THRUST_200600_302600_NS4plusIiEEEEZZNS1_33reduce_by_key_impl_wrapped_configILNS1_25lookback_scan_determinismE0ES3_S9_NS6_10device_ptrIiEESD_SD_SD_PmS8_NS6_8equal_toIiEEEE10hipError_tPvRmT2_T3_mT4_T5_T6_T7_T8_P12ihipStream_tbENKUlT_T0_E_clISt17integral_constantIbLb0EESX_IbLb1EEEEDaST_SU_EUlST_E_NS1_11comp_targetILNS1_3genE2ELNS1_11target_archE906ELNS1_3gpuE6ELNS1_3repE0EEENS1_30default_config_static_selectorELNS0_4arch9wavefront6targetE1EEEvT1_
; %bb.0:
	.section	.rodata,"a",@progbits
	.p2align	6, 0x0
	.amdhsa_kernel _ZN7rocprim17ROCPRIM_400000_NS6detail17trampoline_kernelINS0_14default_configENS1_29reduce_by_key_config_selectorIiiN6thrust23THRUST_200600_302600_NS4plusIiEEEEZZNS1_33reduce_by_key_impl_wrapped_configILNS1_25lookback_scan_determinismE0ES3_S9_NS6_10device_ptrIiEESD_SD_SD_PmS8_NS6_8equal_toIiEEEE10hipError_tPvRmT2_T3_mT4_T5_T6_T7_T8_P12ihipStream_tbENKUlT_T0_E_clISt17integral_constantIbLb0EESX_IbLb1EEEEDaST_SU_EUlST_E_NS1_11comp_targetILNS1_3genE2ELNS1_11target_archE906ELNS1_3gpuE6ELNS1_3repE0EEENS1_30default_config_static_selectorELNS0_4arch9wavefront6targetE1EEEvT1_
		.amdhsa_group_segment_fixed_size 0
		.amdhsa_private_segment_fixed_size 0
		.amdhsa_kernarg_size 120
		.amdhsa_user_sgpr_count 6
		.amdhsa_user_sgpr_private_segment_buffer 1
		.amdhsa_user_sgpr_dispatch_ptr 0
		.amdhsa_user_sgpr_queue_ptr 0
		.amdhsa_user_sgpr_kernarg_segment_ptr 1
		.amdhsa_user_sgpr_dispatch_id 0
		.amdhsa_user_sgpr_flat_scratch_init 0
		.amdhsa_user_sgpr_kernarg_preload_length 0
		.amdhsa_user_sgpr_kernarg_preload_offset 0
		.amdhsa_user_sgpr_private_segment_size 0
		.amdhsa_uses_dynamic_stack 0
		.amdhsa_system_sgpr_private_segment_wavefront_offset 0
		.amdhsa_system_sgpr_workgroup_id_x 1
		.amdhsa_system_sgpr_workgroup_id_y 0
		.amdhsa_system_sgpr_workgroup_id_z 0
		.amdhsa_system_sgpr_workgroup_info 0
		.amdhsa_system_vgpr_workitem_id 0
		.amdhsa_next_free_vgpr 1
		.amdhsa_next_free_sgpr 0
		.amdhsa_accum_offset 4
		.amdhsa_reserve_vcc 0
		.amdhsa_reserve_flat_scratch 0
		.amdhsa_float_round_mode_32 0
		.amdhsa_float_round_mode_16_64 0
		.amdhsa_float_denorm_mode_32 3
		.amdhsa_float_denorm_mode_16_64 3
		.amdhsa_dx10_clamp 1
		.amdhsa_ieee_mode 1
		.amdhsa_fp16_overflow 0
		.amdhsa_tg_split 0
		.amdhsa_exception_fp_ieee_invalid_op 0
		.amdhsa_exception_fp_denorm_src 0
		.amdhsa_exception_fp_ieee_div_zero 0
		.amdhsa_exception_fp_ieee_overflow 0
		.amdhsa_exception_fp_ieee_underflow 0
		.amdhsa_exception_fp_ieee_inexact 0
		.amdhsa_exception_int_div_zero 0
	.end_amdhsa_kernel
	.section	.text._ZN7rocprim17ROCPRIM_400000_NS6detail17trampoline_kernelINS0_14default_configENS1_29reduce_by_key_config_selectorIiiN6thrust23THRUST_200600_302600_NS4plusIiEEEEZZNS1_33reduce_by_key_impl_wrapped_configILNS1_25lookback_scan_determinismE0ES3_S9_NS6_10device_ptrIiEESD_SD_SD_PmS8_NS6_8equal_toIiEEEE10hipError_tPvRmT2_T3_mT4_T5_T6_T7_T8_P12ihipStream_tbENKUlT_T0_E_clISt17integral_constantIbLb0EESX_IbLb1EEEEDaST_SU_EUlST_E_NS1_11comp_targetILNS1_3genE2ELNS1_11target_archE906ELNS1_3gpuE6ELNS1_3repE0EEENS1_30default_config_static_selectorELNS0_4arch9wavefront6targetE1EEEvT1_,"axG",@progbits,_ZN7rocprim17ROCPRIM_400000_NS6detail17trampoline_kernelINS0_14default_configENS1_29reduce_by_key_config_selectorIiiN6thrust23THRUST_200600_302600_NS4plusIiEEEEZZNS1_33reduce_by_key_impl_wrapped_configILNS1_25lookback_scan_determinismE0ES3_S9_NS6_10device_ptrIiEESD_SD_SD_PmS8_NS6_8equal_toIiEEEE10hipError_tPvRmT2_T3_mT4_T5_T6_T7_T8_P12ihipStream_tbENKUlT_T0_E_clISt17integral_constantIbLb0EESX_IbLb1EEEEDaST_SU_EUlST_E_NS1_11comp_targetILNS1_3genE2ELNS1_11target_archE906ELNS1_3gpuE6ELNS1_3repE0EEENS1_30default_config_static_selectorELNS0_4arch9wavefront6targetE1EEEvT1_,comdat
.Lfunc_end1125:
	.size	_ZN7rocprim17ROCPRIM_400000_NS6detail17trampoline_kernelINS0_14default_configENS1_29reduce_by_key_config_selectorIiiN6thrust23THRUST_200600_302600_NS4plusIiEEEEZZNS1_33reduce_by_key_impl_wrapped_configILNS1_25lookback_scan_determinismE0ES3_S9_NS6_10device_ptrIiEESD_SD_SD_PmS8_NS6_8equal_toIiEEEE10hipError_tPvRmT2_T3_mT4_T5_T6_T7_T8_P12ihipStream_tbENKUlT_T0_E_clISt17integral_constantIbLb0EESX_IbLb1EEEEDaST_SU_EUlST_E_NS1_11comp_targetILNS1_3genE2ELNS1_11target_archE906ELNS1_3gpuE6ELNS1_3repE0EEENS1_30default_config_static_selectorELNS0_4arch9wavefront6targetE1EEEvT1_, .Lfunc_end1125-_ZN7rocprim17ROCPRIM_400000_NS6detail17trampoline_kernelINS0_14default_configENS1_29reduce_by_key_config_selectorIiiN6thrust23THRUST_200600_302600_NS4plusIiEEEEZZNS1_33reduce_by_key_impl_wrapped_configILNS1_25lookback_scan_determinismE0ES3_S9_NS6_10device_ptrIiEESD_SD_SD_PmS8_NS6_8equal_toIiEEEE10hipError_tPvRmT2_T3_mT4_T5_T6_T7_T8_P12ihipStream_tbENKUlT_T0_E_clISt17integral_constantIbLb0EESX_IbLb1EEEEDaST_SU_EUlST_E_NS1_11comp_targetILNS1_3genE2ELNS1_11target_archE906ELNS1_3gpuE6ELNS1_3repE0EEENS1_30default_config_static_selectorELNS0_4arch9wavefront6targetE1EEEvT1_
                                        ; -- End function
	.section	.AMDGPU.csdata,"",@progbits
; Kernel info:
; codeLenInByte = 0
; NumSgprs: 4
; NumVgprs: 0
; NumAgprs: 0
; TotalNumVgprs: 0
; ScratchSize: 0
; MemoryBound: 0
; FloatMode: 240
; IeeeMode: 1
; LDSByteSize: 0 bytes/workgroup (compile time only)
; SGPRBlocks: 0
; VGPRBlocks: 0
; NumSGPRsForWavesPerEU: 4
; NumVGPRsForWavesPerEU: 1
; AccumOffset: 4
; Occupancy: 8
; WaveLimiterHint : 0
; COMPUTE_PGM_RSRC2:SCRATCH_EN: 0
; COMPUTE_PGM_RSRC2:USER_SGPR: 6
; COMPUTE_PGM_RSRC2:TRAP_HANDLER: 0
; COMPUTE_PGM_RSRC2:TGID_X_EN: 1
; COMPUTE_PGM_RSRC2:TGID_Y_EN: 0
; COMPUTE_PGM_RSRC2:TGID_Z_EN: 0
; COMPUTE_PGM_RSRC2:TIDIG_COMP_CNT: 0
; COMPUTE_PGM_RSRC3_GFX90A:ACCUM_OFFSET: 0
; COMPUTE_PGM_RSRC3_GFX90A:TG_SPLIT: 0
	.section	.text._ZN7rocprim17ROCPRIM_400000_NS6detail17trampoline_kernelINS0_14default_configENS1_29reduce_by_key_config_selectorIiiN6thrust23THRUST_200600_302600_NS4plusIiEEEEZZNS1_33reduce_by_key_impl_wrapped_configILNS1_25lookback_scan_determinismE0ES3_S9_NS6_10device_ptrIiEESD_SD_SD_PmS8_NS6_8equal_toIiEEEE10hipError_tPvRmT2_T3_mT4_T5_T6_T7_T8_P12ihipStream_tbENKUlT_T0_E_clISt17integral_constantIbLb0EESX_IbLb1EEEEDaST_SU_EUlST_E_NS1_11comp_targetILNS1_3genE10ELNS1_11target_archE1201ELNS1_3gpuE5ELNS1_3repE0EEENS1_30default_config_static_selectorELNS0_4arch9wavefront6targetE1EEEvT1_,"axG",@progbits,_ZN7rocprim17ROCPRIM_400000_NS6detail17trampoline_kernelINS0_14default_configENS1_29reduce_by_key_config_selectorIiiN6thrust23THRUST_200600_302600_NS4plusIiEEEEZZNS1_33reduce_by_key_impl_wrapped_configILNS1_25lookback_scan_determinismE0ES3_S9_NS6_10device_ptrIiEESD_SD_SD_PmS8_NS6_8equal_toIiEEEE10hipError_tPvRmT2_T3_mT4_T5_T6_T7_T8_P12ihipStream_tbENKUlT_T0_E_clISt17integral_constantIbLb0EESX_IbLb1EEEEDaST_SU_EUlST_E_NS1_11comp_targetILNS1_3genE10ELNS1_11target_archE1201ELNS1_3gpuE5ELNS1_3repE0EEENS1_30default_config_static_selectorELNS0_4arch9wavefront6targetE1EEEvT1_,comdat
	.protected	_ZN7rocprim17ROCPRIM_400000_NS6detail17trampoline_kernelINS0_14default_configENS1_29reduce_by_key_config_selectorIiiN6thrust23THRUST_200600_302600_NS4plusIiEEEEZZNS1_33reduce_by_key_impl_wrapped_configILNS1_25lookback_scan_determinismE0ES3_S9_NS6_10device_ptrIiEESD_SD_SD_PmS8_NS6_8equal_toIiEEEE10hipError_tPvRmT2_T3_mT4_T5_T6_T7_T8_P12ihipStream_tbENKUlT_T0_E_clISt17integral_constantIbLb0EESX_IbLb1EEEEDaST_SU_EUlST_E_NS1_11comp_targetILNS1_3genE10ELNS1_11target_archE1201ELNS1_3gpuE5ELNS1_3repE0EEENS1_30default_config_static_selectorELNS0_4arch9wavefront6targetE1EEEvT1_ ; -- Begin function _ZN7rocprim17ROCPRIM_400000_NS6detail17trampoline_kernelINS0_14default_configENS1_29reduce_by_key_config_selectorIiiN6thrust23THRUST_200600_302600_NS4plusIiEEEEZZNS1_33reduce_by_key_impl_wrapped_configILNS1_25lookback_scan_determinismE0ES3_S9_NS6_10device_ptrIiEESD_SD_SD_PmS8_NS6_8equal_toIiEEEE10hipError_tPvRmT2_T3_mT4_T5_T6_T7_T8_P12ihipStream_tbENKUlT_T0_E_clISt17integral_constantIbLb0EESX_IbLb1EEEEDaST_SU_EUlST_E_NS1_11comp_targetILNS1_3genE10ELNS1_11target_archE1201ELNS1_3gpuE5ELNS1_3repE0EEENS1_30default_config_static_selectorELNS0_4arch9wavefront6targetE1EEEvT1_
	.globl	_ZN7rocprim17ROCPRIM_400000_NS6detail17trampoline_kernelINS0_14default_configENS1_29reduce_by_key_config_selectorIiiN6thrust23THRUST_200600_302600_NS4plusIiEEEEZZNS1_33reduce_by_key_impl_wrapped_configILNS1_25lookback_scan_determinismE0ES3_S9_NS6_10device_ptrIiEESD_SD_SD_PmS8_NS6_8equal_toIiEEEE10hipError_tPvRmT2_T3_mT4_T5_T6_T7_T8_P12ihipStream_tbENKUlT_T0_E_clISt17integral_constantIbLb0EESX_IbLb1EEEEDaST_SU_EUlST_E_NS1_11comp_targetILNS1_3genE10ELNS1_11target_archE1201ELNS1_3gpuE5ELNS1_3repE0EEENS1_30default_config_static_selectorELNS0_4arch9wavefront6targetE1EEEvT1_
	.p2align	8
	.type	_ZN7rocprim17ROCPRIM_400000_NS6detail17trampoline_kernelINS0_14default_configENS1_29reduce_by_key_config_selectorIiiN6thrust23THRUST_200600_302600_NS4plusIiEEEEZZNS1_33reduce_by_key_impl_wrapped_configILNS1_25lookback_scan_determinismE0ES3_S9_NS6_10device_ptrIiEESD_SD_SD_PmS8_NS6_8equal_toIiEEEE10hipError_tPvRmT2_T3_mT4_T5_T6_T7_T8_P12ihipStream_tbENKUlT_T0_E_clISt17integral_constantIbLb0EESX_IbLb1EEEEDaST_SU_EUlST_E_NS1_11comp_targetILNS1_3genE10ELNS1_11target_archE1201ELNS1_3gpuE5ELNS1_3repE0EEENS1_30default_config_static_selectorELNS0_4arch9wavefront6targetE1EEEvT1_,@function
_ZN7rocprim17ROCPRIM_400000_NS6detail17trampoline_kernelINS0_14default_configENS1_29reduce_by_key_config_selectorIiiN6thrust23THRUST_200600_302600_NS4plusIiEEEEZZNS1_33reduce_by_key_impl_wrapped_configILNS1_25lookback_scan_determinismE0ES3_S9_NS6_10device_ptrIiEESD_SD_SD_PmS8_NS6_8equal_toIiEEEE10hipError_tPvRmT2_T3_mT4_T5_T6_T7_T8_P12ihipStream_tbENKUlT_T0_E_clISt17integral_constantIbLb0EESX_IbLb1EEEEDaST_SU_EUlST_E_NS1_11comp_targetILNS1_3genE10ELNS1_11target_archE1201ELNS1_3gpuE5ELNS1_3repE0EEENS1_30default_config_static_selectorELNS0_4arch9wavefront6targetE1EEEvT1_: ; @_ZN7rocprim17ROCPRIM_400000_NS6detail17trampoline_kernelINS0_14default_configENS1_29reduce_by_key_config_selectorIiiN6thrust23THRUST_200600_302600_NS4plusIiEEEEZZNS1_33reduce_by_key_impl_wrapped_configILNS1_25lookback_scan_determinismE0ES3_S9_NS6_10device_ptrIiEESD_SD_SD_PmS8_NS6_8equal_toIiEEEE10hipError_tPvRmT2_T3_mT4_T5_T6_T7_T8_P12ihipStream_tbENKUlT_T0_E_clISt17integral_constantIbLb0EESX_IbLb1EEEEDaST_SU_EUlST_E_NS1_11comp_targetILNS1_3genE10ELNS1_11target_archE1201ELNS1_3gpuE5ELNS1_3repE0EEENS1_30default_config_static_selectorELNS0_4arch9wavefront6targetE1EEEvT1_
; %bb.0:
	.section	.rodata,"a",@progbits
	.p2align	6, 0x0
	.amdhsa_kernel _ZN7rocprim17ROCPRIM_400000_NS6detail17trampoline_kernelINS0_14default_configENS1_29reduce_by_key_config_selectorIiiN6thrust23THRUST_200600_302600_NS4plusIiEEEEZZNS1_33reduce_by_key_impl_wrapped_configILNS1_25lookback_scan_determinismE0ES3_S9_NS6_10device_ptrIiEESD_SD_SD_PmS8_NS6_8equal_toIiEEEE10hipError_tPvRmT2_T3_mT4_T5_T6_T7_T8_P12ihipStream_tbENKUlT_T0_E_clISt17integral_constantIbLb0EESX_IbLb1EEEEDaST_SU_EUlST_E_NS1_11comp_targetILNS1_3genE10ELNS1_11target_archE1201ELNS1_3gpuE5ELNS1_3repE0EEENS1_30default_config_static_selectorELNS0_4arch9wavefront6targetE1EEEvT1_
		.amdhsa_group_segment_fixed_size 0
		.amdhsa_private_segment_fixed_size 0
		.amdhsa_kernarg_size 120
		.amdhsa_user_sgpr_count 6
		.amdhsa_user_sgpr_private_segment_buffer 1
		.amdhsa_user_sgpr_dispatch_ptr 0
		.amdhsa_user_sgpr_queue_ptr 0
		.amdhsa_user_sgpr_kernarg_segment_ptr 1
		.amdhsa_user_sgpr_dispatch_id 0
		.amdhsa_user_sgpr_flat_scratch_init 0
		.amdhsa_user_sgpr_kernarg_preload_length 0
		.amdhsa_user_sgpr_kernarg_preload_offset 0
		.amdhsa_user_sgpr_private_segment_size 0
		.amdhsa_uses_dynamic_stack 0
		.amdhsa_system_sgpr_private_segment_wavefront_offset 0
		.amdhsa_system_sgpr_workgroup_id_x 1
		.amdhsa_system_sgpr_workgroup_id_y 0
		.amdhsa_system_sgpr_workgroup_id_z 0
		.amdhsa_system_sgpr_workgroup_info 0
		.amdhsa_system_vgpr_workitem_id 0
		.amdhsa_next_free_vgpr 1
		.amdhsa_next_free_sgpr 0
		.amdhsa_accum_offset 4
		.amdhsa_reserve_vcc 0
		.amdhsa_reserve_flat_scratch 0
		.amdhsa_float_round_mode_32 0
		.amdhsa_float_round_mode_16_64 0
		.amdhsa_float_denorm_mode_32 3
		.amdhsa_float_denorm_mode_16_64 3
		.amdhsa_dx10_clamp 1
		.amdhsa_ieee_mode 1
		.amdhsa_fp16_overflow 0
		.amdhsa_tg_split 0
		.amdhsa_exception_fp_ieee_invalid_op 0
		.amdhsa_exception_fp_denorm_src 0
		.amdhsa_exception_fp_ieee_div_zero 0
		.amdhsa_exception_fp_ieee_overflow 0
		.amdhsa_exception_fp_ieee_underflow 0
		.amdhsa_exception_fp_ieee_inexact 0
		.amdhsa_exception_int_div_zero 0
	.end_amdhsa_kernel
	.section	.text._ZN7rocprim17ROCPRIM_400000_NS6detail17trampoline_kernelINS0_14default_configENS1_29reduce_by_key_config_selectorIiiN6thrust23THRUST_200600_302600_NS4plusIiEEEEZZNS1_33reduce_by_key_impl_wrapped_configILNS1_25lookback_scan_determinismE0ES3_S9_NS6_10device_ptrIiEESD_SD_SD_PmS8_NS6_8equal_toIiEEEE10hipError_tPvRmT2_T3_mT4_T5_T6_T7_T8_P12ihipStream_tbENKUlT_T0_E_clISt17integral_constantIbLb0EESX_IbLb1EEEEDaST_SU_EUlST_E_NS1_11comp_targetILNS1_3genE10ELNS1_11target_archE1201ELNS1_3gpuE5ELNS1_3repE0EEENS1_30default_config_static_selectorELNS0_4arch9wavefront6targetE1EEEvT1_,"axG",@progbits,_ZN7rocprim17ROCPRIM_400000_NS6detail17trampoline_kernelINS0_14default_configENS1_29reduce_by_key_config_selectorIiiN6thrust23THRUST_200600_302600_NS4plusIiEEEEZZNS1_33reduce_by_key_impl_wrapped_configILNS1_25lookback_scan_determinismE0ES3_S9_NS6_10device_ptrIiEESD_SD_SD_PmS8_NS6_8equal_toIiEEEE10hipError_tPvRmT2_T3_mT4_T5_T6_T7_T8_P12ihipStream_tbENKUlT_T0_E_clISt17integral_constantIbLb0EESX_IbLb1EEEEDaST_SU_EUlST_E_NS1_11comp_targetILNS1_3genE10ELNS1_11target_archE1201ELNS1_3gpuE5ELNS1_3repE0EEENS1_30default_config_static_selectorELNS0_4arch9wavefront6targetE1EEEvT1_,comdat
.Lfunc_end1126:
	.size	_ZN7rocprim17ROCPRIM_400000_NS6detail17trampoline_kernelINS0_14default_configENS1_29reduce_by_key_config_selectorIiiN6thrust23THRUST_200600_302600_NS4plusIiEEEEZZNS1_33reduce_by_key_impl_wrapped_configILNS1_25lookback_scan_determinismE0ES3_S9_NS6_10device_ptrIiEESD_SD_SD_PmS8_NS6_8equal_toIiEEEE10hipError_tPvRmT2_T3_mT4_T5_T6_T7_T8_P12ihipStream_tbENKUlT_T0_E_clISt17integral_constantIbLb0EESX_IbLb1EEEEDaST_SU_EUlST_E_NS1_11comp_targetILNS1_3genE10ELNS1_11target_archE1201ELNS1_3gpuE5ELNS1_3repE0EEENS1_30default_config_static_selectorELNS0_4arch9wavefront6targetE1EEEvT1_, .Lfunc_end1126-_ZN7rocprim17ROCPRIM_400000_NS6detail17trampoline_kernelINS0_14default_configENS1_29reduce_by_key_config_selectorIiiN6thrust23THRUST_200600_302600_NS4plusIiEEEEZZNS1_33reduce_by_key_impl_wrapped_configILNS1_25lookback_scan_determinismE0ES3_S9_NS6_10device_ptrIiEESD_SD_SD_PmS8_NS6_8equal_toIiEEEE10hipError_tPvRmT2_T3_mT4_T5_T6_T7_T8_P12ihipStream_tbENKUlT_T0_E_clISt17integral_constantIbLb0EESX_IbLb1EEEEDaST_SU_EUlST_E_NS1_11comp_targetILNS1_3genE10ELNS1_11target_archE1201ELNS1_3gpuE5ELNS1_3repE0EEENS1_30default_config_static_selectorELNS0_4arch9wavefront6targetE1EEEvT1_
                                        ; -- End function
	.section	.AMDGPU.csdata,"",@progbits
; Kernel info:
; codeLenInByte = 0
; NumSgprs: 4
; NumVgprs: 0
; NumAgprs: 0
; TotalNumVgprs: 0
; ScratchSize: 0
; MemoryBound: 0
; FloatMode: 240
; IeeeMode: 1
; LDSByteSize: 0 bytes/workgroup (compile time only)
; SGPRBlocks: 0
; VGPRBlocks: 0
; NumSGPRsForWavesPerEU: 4
; NumVGPRsForWavesPerEU: 1
; AccumOffset: 4
; Occupancy: 8
; WaveLimiterHint : 0
; COMPUTE_PGM_RSRC2:SCRATCH_EN: 0
; COMPUTE_PGM_RSRC2:USER_SGPR: 6
; COMPUTE_PGM_RSRC2:TRAP_HANDLER: 0
; COMPUTE_PGM_RSRC2:TGID_X_EN: 1
; COMPUTE_PGM_RSRC2:TGID_Y_EN: 0
; COMPUTE_PGM_RSRC2:TGID_Z_EN: 0
; COMPUTE_PGM_RSRC2:TIDIG_COMP_CNT: 0
; COMPUTE_PGM_RSRC3_GFX90A:ACCUM_OFFSET: 0
; COMPUTE_PGM_RSRC3_GFX90A:TG_SPLIT: 0
	.section	.text._ZN7rocprim17ROCPRIM_400000_NS6detail17trampoline_kernelINS0_14default_configENS1_29reduce_by_key_config_selectorIiiN6thrust23THRUST_200600_302600_NS4plusIiEEEEZZNS1_33reduce_by_key_impl_wrapped_configILNS1_25lookback_scan_determinismE0ES3_S9_NS6_10device_ptrIiEESD_SD_SD_PmS8_NS6_8equal_toIiEEEE10hipError_tPvRmT2_T3_mT4_T5_T6_T7_T8_P12ihipStream_tbENKUlT_T0_E_clISt17integral_constantIbLb0EESX_IbLb1EEEEDaST_SU_EUlST_E_NS1_11comp_targetILNS1_3genE10ELNS1_11target_archE1200ELNS1_3gpuE4ELNS1_3repE0EEENS1_30default_config_static_selectorELNS0_4arch9wavefront6targetE1EEEvT1_,"axG",@progbits,_ZN7rocprim17ROCPRIM_400000_NS6detail17trampoline_kernelINS0_14default_configENS1_29reduce_by_key_config_selectorIiiN6thrust23THRUST_200600_302600_NS4plusIiEEEEZZNS1_33reduce_by_key_impl_wrapped_configILNS1_25lookback_scan_determinismE0ES3_S9_NS6_10device_ptrIiEESD_SD_SD_PmS8_NS6_8equal_toIiEEEE10hipError_tPvRmT2_T3_mT4_T5_T6_T7_T8_P12ihipStream_tbENKUlT_T0_E_clISt17integral_constantIbLb0EESX_IbLb1EEEEDaST_SU_EUlST_E_NS1_11comp_targetILNS1_3genE10ELNS1_11target_archE1200ELNS1_3gpuE4ELNS1_3repE0EEENS1_30default_config_static_selectorELNS0_4arch9wavefront6targetE1EEEvT1_,comdat
	.protected	_ZN7rocprim17ROCPRIM_400000_NS6detail17trampoline_kernelINS0_14default_configENS1_29reduce_by_key_config_selectorIiiN6thrust23THRUST_200600_302600_NS4plusIiEEEEZZNS1_33reduce_by_key_impl_wrapped_configILNS1_25lookback_scan_determinismE0ES3_S9_NS6_10device_ptrIiEESD_SD_SD_PmS8_NS6_8equal_toIiEEEE10hipError_tPvRmT2_T3_mT4_T5_T6_T7_T8_P12ihipStream_tbENKUlT_T0_E_clISt17integral_constantIbLb0EESX_IbLb1EEEEDaST_SU_EUlST_E_NS1_11comp_targetILNS1_3genE10ELNS1_11target_archE1200ELNS1_3gpuE4ELNS1_3repE0EEENS1_30default_config_static_selectorELNS0_4arch9wavefront6targetE1EEEvT1_ ; -- Begin function _ZN7rocprim17ROCPRIM_400000_NS6detail17trampoline_kernelINS0_14default_configENS1_29reduce_by_key_config_selectorIiiN6thrust23THRUST_200600_302600_NS4plusIiEEEEZZNS1_33reduce_by_key_impl_wrapped_configILNS1_25lookback_scan_determinismE0ES3_S9_NS6_10device_ptrIiEESD_SD_SD_PmS8_NS6_8equal_toIiEEEE10hipError_tPvRmT2_T3_mT4_T5_T6_T7_T8_P12ihipStream_tbENKUlT_T0_E_clISt17integral_constantIbLb0EESX_IbLb1EEEEDaST_SU_EUlST_E_NS1_11comp_targetILNS1_3genE10ELNS1_11target_archE1200ELNS1_3gpuE4ELNS1_3repE0EEENS1_30default_config_static_selectorELNS0_4arch9wavefront6targetE1EEEvT1_
	.globl	_ZN7rocprim17ROCPRIM_400000_NS6detail17trampoline_kernelINS0_14default_configENS1_29reduce_by_key_config_selectorIiiN6thrust23THRUST_200600_302600_NS4plusIiEEEEZZNS1_33reduce_by_key_impl_wrapped_configILNS1_25lookback_scan_determinismE0ES3_S9_NS6_10device_ptrIiEESD_SD_SD_PmS8_NS6_8equal_toIiEEEE10hipError_tPvRmT2_T3_mT4_T5_T6_T7_T8_P12ihipStream_tbENKUlT_T0_E_clISt17integral_constantIbLb0EESX_IbLb1EEEEDaST_SU_EUlST_E_NS1_11comp_targetILNS1_3genE10ELNS1_11target_archE1200ELNS1_3gpuE4ELNS1_3repE0EEENS1_30default_config_static_selectorELNS0_4arch9wavefront6targetE1EEEvT1_
	.p2align	8
	.type	_ZN7rocprim17ROCPRIM_400000_NS6detail17trampoline_kernelINS0_14default_configENS1_29reduce_by_key_config_selectorIiiN6thrust23THRUST_200600_302600_NS4plusIiEEEEZZNS1_33reduce_by_key_impl_wrapped_configILNS1_25lookback_scan_determinismE0ES3_S9_NS6_10device_ptrIiEESD_SD_SD_PmS8_NS6_8equal_toIiEEEE10hipError_tPvRmT2_T3_mT4_T5_T6_T7_T8_P12ihipStream_tbENKUlT_T0_E_clISt17integral_constantIbLb0EESX_IbLb1EEEEDaST_SU_EUlST_E_NS1_11comp_targetILNS1_3genE10ELNS1_11target_archE1200ELNS1_3gpuE4ELNS1_3repE0EEENS1_30default_config_static_selectorELNS0_4arch9wavefront6targetE1EEEvT1_,@function
_ZN7rocprim17ROCPRIM_400000_NS6detail17trampoline_kernelINS0_14default_configENS1_29reduce_by_key_config_selectorIiiN6thrust23THRUST_200600_302600_NS4plusIiEEEEZZNS1_33reduce_by_key_impl_wrapped_configILNS1_25lookback_scan_determinismE0ES3_S9_NS6_10device_ptrIiEESD_SD_SD_PmS8_NS6_8equal_toIiEEEE10hipError_tPvRmT2_T3_mT4_T5_T6_T7_T8_P12ihipStream_tbENKUlT_T0_E_clISt17integral_constantIbLb0EESX_IbLb1EEEEDaST_SU_EUlST_E_NS1_11comp_targetILNS1_3genE10ELNS1_11target_archE1200ELNS1_3gpuE4ELNS1_3repE0EEENS1_30default_config_static_selectorELNS0_4arch9wavefront6targetE1EEEvT1_: ; @_ZN7rocprim17ROCPRIM_400000_NS6detail17trampoline_kernelINS0_14default_configENS1_29reduce_by_key_config_selectorIiiN6thrust23THRUST_200600_302600_NS4plusIiEEEEZZNS1_33reduce_by_key_impl_wrapped_configILNS1_25lookback_scan_determinismE0ES3_S9_NS6_10device_ptrIiEESD_SD_SD_PmS8_NS6_8equal_toIiEEEE10hipError_tPvRmT2_T3_mT4_T5_T6_T7_T8_P12ihipStream_tbENKUlT_T0_E_clISt17integral_constantIbLb0EESX_IbLb1EEEEDaST_SU_EUlST_E_NS1_11comp_targetILNS1_3genE10ELNS1_11target_archE1200ELNS1_3gpuE4ELNS1_3repE0EEENS1_30default_config_static_selectorELNS0_4arch9wavefront6targetE1EEEvT1_
; %bb.0:
	.section	.rodata,"a",@progbits
	.p2align	6, 0x0
	.amdhsa_kernel _ZN7rocprim17ROCPRIM_400000_NS6detail17trampoline_kernelINS0_14default_configENS1_29reduce_by_key_config_selectorIiiN6thrust23THRUST_200600_302600_NS4plusIiEEEEZZNS1_33reduce_by_key_impl_wrapped_configILNS1_25lookback_scan_determinismE0ES3_S9_NS6_10device_ptrIiEESD_SD_SD_PmS8_NS6_8equal_toIiEEEE10hipError_tPvRmT2_T3_mT4_T5_T6_T7_T8_P12ihipStream_tbENKUlT_T0_E_clISt17integral_constantIbLb0EESX_IbLb1EEEEDaST_SU_EUlST_E_NS1_11comp_targetILNS1_3genE10ELNS1_11target_archE1200ELNS1_3gpuE4ELNS1_3repE0EEENS1_30default_config_static_selectorELNS0_4arch9wavefront6targetE1EEEvT1_
		.amdhsa_group_segment_fixed_size 0
		.amdhsa_private_segment_fixed_size 0
		.amdhsa_kernarg_size 120
		.amdhsa_user_sgpr_count 6
		.amdhsa_user_sgpr_private_segment_buffer 1
		.amdhsa_user_sgpr_dispatch_ptr 0
		.amdhsa_user_sgpr_queue_ptr 0
		.amdhsa_user_sgpr_kernarg_segment_ptr 1
		.amdhsa_user_sgpr_dispatch_id 0
		.amdhsa_user_sgpr_flat_scratch_init 0
		.amdhsa_user_sgpr_kernarg_preload_length 0
		.amdhsa_user_sgpr_kernarg_preload_offset 0
		.amdhsa_user_sgpr_private_segment_size 0
		.amdhsa_uses_dynamic_stack 0
		.amdhsa_system_sgpr_private_segment_wavefront_offset 0
		.amdhsa_system_sgpr_workgroup_id_x 1
		.amdhsa_system_sgpr_workgroup_id_y 0
		.amdhsa_system_sgpr_workgroup_id_z 0
		.amdhsa_system_sgpr_workgroup_info 0
		.amdhsa_system_vgpr_workitem_id 0
		.amdhsa_next_free_vgpr 1
		.amdhsa_next_free_sgpr 0
		.amdhsa_accum_offset 4
		.amdhsa_reserve_vcc 0
		.amdhsa_reserve_flat_scratch 0
		.amdhsa_float_round_mode_32 0
		.amdhsa_float_round_mode_16_64 0
		.amdhsa_float_denorm_mode_32 3
		.amdhsa_float_denorm_mode_16_64 3
		.amdhsa_dx10_clamp 1
		.amdhsa_ieee_mode 1
		.amdhsa_fp16_overflow 0
		.amdhsa_tg_split 0
		.amdhsa_exception_fp_ieee_invalid_op 0
		.amdhsa_exception_fp_denorm_src 0
		.amdhsa_exception_fp_ieee_div_zero 0
		.amdhsa_exception_fp_ieee_overflow 0
		.amdhsa_exception_fp_ieee_underflow 0
		.amdhsa_exception_fp_ieee_inexact 0
		.amdhsa_exception_int_div_zero 0
	.end_amdhsa_kernel
	.section	.text._ZN7rocprim17ROCPRIM_400000_NS6detail17trampoline_kernelINS0_14default_configENS1_29reduce_by_key_config_selectorIiiN6thrust23THRUST_200600_302600_NS4plusIiEEEEZZNS1_33reduce_by_key_impl_wrapped_configILNS1_25lookback_scan_determinismE0ES3_S9_NS6_10device_ptrIiEESD_SD_SD_PmS8_NS6_8equal_toIiEEEE10hipError_tPvRmT2_T3_mT4_T5_T6_T7_T8_P12ihipStream_tbENKUlT_T0_E_clISt17integral_constantIbLb0EESX_IbLb1EEEEDaST_SU_EUlST_E_NS1_11comp_targetILNS1_3genE10ELNS1_11target_archE1200ELNS1_3gpuE4ELNS1_3repE0EEENS1_30default_config_static_selectorELNS0_4arch9wavefront6targetE1EEEvT1_,"axG",@progbits,_ZN7rocprim17ROCPRIM_400000_NS6detail17trampoline_kernelINS0_14default_configENS1_29reduce_by_key_config_selectorIiiN6thrust23THRUST_200600_302600_NS4plusIiEEEEZZNS1_33reduce_by_key_impl_wrapped_configILNS1_25lookback_scan_determinismE0ES3_S9_NS6_10device_ptrIiEESD_SD_SD_PmS8_NS6_8equal_toIiEEEE10hipError_tPvRmT2_T3_mT4_T5_T6_T7_T8_P12ihipStream_tbENKUlT_T0_E_clISt17integral_constantIbLb0EESX_IbLb1EEEEDaST_SU_EUlST_E_NS1_11comp_targetILNS1_3genE10ELNS1_11target_archE1200ELNS1_3gpuE4ELNS1_3repE0EEENS1_30default_config_static_selectorELNS0_4arch9wavefront6targetE1EEEvT1_,comdat
.Lfunc_end1127:
	.size	_ZN7rocprim17ROCPRIM_400000_NS6detail17trampoline_kernelINS0_14default_configENS1_29reduce_by_key_config_selectorIiiN6thrust23THRUST_200600_302600_NS4plusIiEEEEZZNS1_33reduce_by_key_impl_wrapped_configILNS1_25lookback_scan_determinismE0ES3_S9_NS6_10device_ptrIiEESD_SD_SD_PmS8_NS6_8equal_toIiEEEE10hipError_tPvRmT2_T3_mT4_T5_T6_T7_T8_P12ihipStream_tbENKUlT_T0_E_clISt17integral_constantIbLb0EESX_IbLb1EEEEDaST_SU_EUlST_E_NS1_11comp_targetILNS1_3genE10ELNS1_11target_archE1200ELNS1_3gpuE4ELNS1_3repE0EEENS1_30default_config_static_selectorELNS0_4arch9wavefront6targetE1EEEvT1_, .Lfunc_end1127-_ZN7rocprim17ROCPRIM_400000_NS6detail17trampoline_kernelINS0_14default_configENS1_29reduce_by_key_config_selectorIiiN6thrust23THRUST_200600_302600_NS4plusIiEEEEZZNS1_33reduce_by_key_impl_wrapped_configILNS1_25lookback_scan_determinismE0ES3_S9_NS6_10device_ptrIiEESD_SD_SD_PmS8_NS6_8equal_toIiEEEE10hipError_tPvRmT2_T3_mT4_T5_T6_T7_T8_P12ihipStream_tbENKUlT_T0_E_clISt17integral_constantIbLb0EESX_IbLb1EEEEDaST_SU_EUlST_E_NS1_11comp_targetILNS1_3genE10ELNS1_11target_archE1200ELNS1_3gpuE4ELNS1_3repE0EEENS1_30default_config_static_selectorELNS0_4arch9wavefront6targetE1EEEvT1_
                                        ; -- End function
	.section	.AMDGPU.csdata,"",@progbits
; Kernel info:
; codeLenInByte = 0
; NumSgprs: 4
; NumVgprs: 0
; NumAgprs: 0
; TotalNumVgprs: 0
; ScratchSize: 0
; MemoryBound: 0
; FloatMode: 240
; IeeeMode: 1
; LDSByteSize: 0 bytes/workgroup (compile time only)
; SGPRBlocks: 0
; VGPRBlocks: 0
; NumSGPRsForWavesPerEU: 4
; NumVGPRsForWavesPerEU: 1
; AccumOffset: 4
; Occupancy: 8
; WaveLimiterHint : 0
; COMPUTE_PGM_RSRC2:SCRATCH_EN: 0
; COMPUTE_PGM_RSRC2:USER_SGPR: 6
; COMPUTE_PGM_RSRC2:TRAP_HANDLER: 0
; COMPUTE_PGM_RSRC2:TGID_X_EN: 1
; COMPUTE_PGM_RSRC2:TGID_Y_EN: 0
; COMPUTE_PGM_RSRC2:TGID_Z_EN: 0
; COMPUTE_PGM_RSRC2:TIDIG_COMP_CNT: 0
; COMPUTE_PGM_RSRC3_GFX90A:ACCUM_OFFSET: 0
; COMPUTE_PGM_RSRC3_GFX90A:TG_SPLIT: 0
	.section	.text._ZN7rocprim17ROCPRIM_400000_NS6detail17trampoline_kernelINS0_14default_configENS1_29reduce_by_key_config_selectorIiiN6thrust23THRUST_200600_302600_NS4plusIiEEEEZZNS1_33reduce_by_key_impl_wrapped_configILNS1_25lookback_scan_determinismE0ES3_S9_NS6_10device_ptrIiEESD_SD_SD_PmS8_NS6_8equal_toIiEEEE10hipError_tPvRmT2_T3_mT4_T5_T6_T7_T8_P12ihipStream_tbENKUlT_T0_E_clISt17integral_constantIbLb0EESX_IbLb1EEEEDaST_SU_EUlST_E_NS1_11comp_targetILNS1_3genE9ELNS1_11target_archE1100ELNS1_3gpuE3ELNS1_3repE0EEENS1_30default_config_static_selectorELNS0_4arch9wavefront6targetE1EEEvT1_,"axG",@progbits,_ZN7rocprim17ROCPRIM_400000_NS6detail17trampoline_kernelINS0_14default_configENS1_29reduce_by_key_config_selectorIiiN6thrust23THRUST_200600_302600_NS4plusIiEEEEZZNS1_33reduce_by_key_impl_wrapped_configILNS1_25lookback_scan_determinismE0ES3_S9_NS6_10device_ptrIiEESD_SD_SD_PmS8_NS6_8equal_toIiEEEE10hipError_tPvRmT2_T3_mT4_T5_T6_T7_T8_P12ihipStream_tbENKUlT_T0_E_clISt17integral_constantIbLb0EESX_IbLb1EEEEDaST_SU_EUlST_E_NS1_11comp_targetILNS1_3genE9ELNS1_11target_archE1100ELNS1_3gpuE3ELNS1_3repE0EEENS1_30default_config_static_selectorELNS0_4arch9wavefront6targetE1EEEvT1_,comdat
	.protected	_ZN7rocprim17ROCPRIM_400000_NS6detail17trampoline_kernelINS0_14default_configENS1_29reduce_by_key_config_selectorIiiN6thrust23THRUST_200600_302600_NS4plusIiEEEEZZNS1_33reduce_by_key_impl_wrapped_configILNS1_25lookback_scan_determinismE0ES3_S9_NS6_10device_ptrIiEESD_SD_SD_PmS8_NS6_8equal_toIiEEEE10hipError_tPvRmT2_T3_mT4_T5_T6_T7_T8_P12ihipStream_tbENKUlT_T0_E_clISt17integral_constantIbLb0EESX_IbLb1EEEEDaST_SU_EUlST_E_NS1_11comp_targetILNS1_3genE9ELNS1_11target_archE1100ELNS1_3gpuE3ELNS1_3repE0EEENS1_30default_config_static_selectorELNS0_4arch9wavefront6targetE1EEEvT1_ ; -- Begin function _ZN7rocprim17ROCPRIM_400000_NS6detail17trampoline_kernelINS0_14default_configENS1_29reduce_by_key_config_selectorIiiN6thrust23THRUST_200600_302600_NS4plusIiEEEEZZNS1_33reduce_by_key_impl_wrapped_configILNS1_25lookback_scan_determinismE0ES3_S9_NS6_10device_ptrIiEESD_SD_SD_PmS8_NS6_8equal_toIiEEEE10hipError_tPvRmT2_T3_mT4_T5_T6_T7_T8_P12ihipStream_tbENKUlT_T0_E_clISt17integral_constantIbLb0EESX_IbLb1EEEEDaST_SU_EUlST_E_NS1_11comp_targetILNS1_3genE9ELNS1_11target_archE1100ELNS1_3gpuE3ELNS1_3repE0EEENS1_30default_config_static_selectorELNS0_4arch9wavefront6targetE1EEEvT1_
	.globl	_ZN7rocprim17ROCPRIM_400000_NS6detail17trampoline_kernelINS0_14default_configENS1_29reduce_by_key_config_selectorIiiN6thrust23THRUST_200600_302600_NS4plusIiEEEEZZNS1_33reduce_by_key_impl_wrapped_configILNS1_25lookback_scan_determinismE0ES3_S9_NS6_10device_ptrIiEESD_SD_SD_PmS8_NS6_8equal_toIiEEEE10hipError_tPvRmT2_T3_mT4_T5_T6_T7_T8_P12ihipStream_tbENKUlT_T0_E_clISt17integral_constantIbLb0EESX_IbLb1EEEEDaST_SU_EUlST_E_NS1_11comp_targetILNS1_3genE9ELNS1_11target_archE1100ELNS1_3gpuE3ELNS1_3repE0EEENS1_30default_config_static_selectorELNS0_4arch9wavefront6targetE1EEEvT1_
	.p2align	8
	.type	_ZN7rocprim17ROCPRIM_400000_NS6detail17trampoline_kernelINS0_14default_configENS1_29reduce_by_key_config_selectorIiiN6thrust23THRUST_200600_302600_NS4plusIiEEEEZZNS1_33reduce_by_key_impl_wrapped_configILNS1_25lookback_scan_determinismE0ES3_S9_NS6_10device_ptrIiEESD_SD_SD_PmS8_NS6_8equal_toIiEEEE10hipError_tPvRmT2_T3_mT4_T5_T6_T7_T8_P12ihipStream_tbENKUlT_T0_E_clISt17integral_constantIbLb0EESX_IbLb1EEEEDaST_SU_EUlST_E_NS1_11comp_targetILNS1_3genE9ELNS1_11target_archE1100ELNS1_3gpuE3ELNS1_3repE0EEENS1_30default_config_static_selectorELNS0_4arch9wavefront6targetE1EEEvT1_,@function
_ZN7rocprim17ROCPRIM_400000_NS6detail17trampoline_kernelINS0_14default_configENS1_29reduce_by_key_config_selectorIiiN6thrust23THRUST_200600_302600_NS4plusIiEEEEZZNS1_33reduce_by_key_impl_wrapped_configILNS1_25lookback_scan_determinismE0ES3_S9_NS6_10device_ptrIiEESD_SD_SD_PmS8_NS6_8equal_toIiEEEE10hipError_tPvRmT2_T3_mT4_T5_T6_T7_T8_P12ihipStream_tbENKUlT_T0_E_clISt17integral_constantIbLb0EESX_IbLb1EEEEDaST_SU_EUlST_E_NS1_11comp_targetILNS1_3genE9ELNS1_11target_archE1100ELNS1_3gpuE3ELNS1_3repE0EEENS1_30default_config_static_selectorELNS0_4arch9wavefront6targetE1EEEvT1_: ; @_ZN7rocprim17ROCPRIM_400000_NS6detail17trampoline_kernelINS0_14default_configENS1_29reduce_by_key_config_selectorIiiN6thrust23THRUST_200600_302600_NS4plusIiEEEEZZNS1_33reduce_by_key_impl_wrapped_configILNS1_25lookback_scan_determinismE0ES3_S9_NS6_10device_ptrIiEESD_SD_SD_PmS8_NS6_8equal_toIiEEEE10hipError_tPvRmT2_T3_mT4_T5_T6_T7_T8_P12ihipStream_tbENKUlT_T0_E_clISt17integral_constantIbLb0EESX_IbLb1EEEEDaST_SU_EUlST_E_NS1_11comp_targetILNS1_3genE9ELNS1_11target_archE1100ELNS1_3gpuE3ELNS1_3repE0EEENS1_30default_config_static_selectorELNS0_4arch9wavefront6targetE1EEEvT1_
; %bb.0:
	.section	.rodata,"a",@progbits
	.p2align	6, 0x0
	.amdhsa_kernel _ZN7rocprim17ROCPRIM_400000_NS6detail17trampoline_kernelINS0_14default_configENS1_29reduce_by_key_config_selectorIiiN6thrust23THRUST_200600_302600_NS4plusIiEEEEZZNS1_33reduce_by_key_impl_wrapped_configILNS1_25lookback_scan_determinismE0ES3_S9_NS6_10device_ptrIiEESD_SD_SD_PmS8_NS6_8equal_toIiEEEE10hipError_tPvRmT2_T3_mT4_T5_T6_T7_T8_P12ihipStream_tbENKUlT_T0_E_clISt17integral_constantIbLb0EESX_IbLb1EEEEDaST_SU_EUlST_E_NS1_11comp_targetILNS1_3genE9ELNS1_11target_archE1100ELNS1_3gpuE3ELNS1_3repE0EEENS1_30default_config_static_selectorELNS0_4arch9wavefront6targetE1EEEvT1_
		.amdhsa_group_segment_fixed_size 0
		.amdhsa_private_segment_fixed_size 0
		.amdhsa_kernarg_size 120
		.amdhsa_user_sgpr_count 6
		.amdhsa_user_sgpr_private_segment_buffer 1
		.amdhsa_user_sgpr_dispatch_ptr 0
		.amdhsa_user_sgpr_queue_ptr 0
		.amdhsa_user_sgpr_kernarg_segment_ptr 1
		.amdhsa_user_sgpr_dispatch_id 0
		.amdhsa_user_sgpr_flat_scratch_init 0
		.amdhsa_user_sgpr_kernarg_preload_length 0
		.amdhsa_user_sgpr_kernarg_preload_offset 0
		.amdhsa_user_sgpr_private_segment_size 0
		.amdhsa_uses_dynamic_stack 0
		.amdhsa_system_sgpr_private_segment_wavefront_offset 0
		.amdhsa_system_sgpr_workgroup_id_x 1
		.amdhsa_system_sgpr_workgroup_id_y 0
		.amdhsa_system_sgpr_workgroup_id_z 0
		.amdhsa_system_sgpr_workgroup_info 0
		.amdhsa_system_vgpr_workitem_id 0
		.amdhsa_next_free_vgpr 1
		.amdhsa_next_free_sgpr 0
		.amdhsa_accum_offset 4
		.amdhsa_reserve_vcc 0
		.amdhsa_reserve_flat_scratch 0
		.amdhsa_float_round_mode_32 0
		.amdhsa_float_round_mode_16_64 0
		.amdhsa_float_denorm_mode_32 3
		.amdhsa_float_denorm_mode_16_64 3
		.amdhsa_dx10_clamp 1
		.amdhsa_ieee_mode 1
		.amdhsa_fp16_overflow 0
		.amdhsa_tg_split 0
		.amdhsa_exception_fp_ieee_invalid_op 0
		.amdhsa_exception_fp_denorm_src 0
		.amdhsa_exception_fp_ieee_div_zero 0
		.amdhsa_exception_fp_ieee_overflow 0
		.amdhsa_exception_fp_ieee_underflow 0
		.amdhsa_exception_fp_ieee_inexact 0
		.amdhsa_exception_int_div_zero 0
	.end_amdhsa_kernel
	.section	.text._ZN7rocprim17ROCPRIM_400000_NS6detail17trampoline_kernelINS0_14default_configENS1_29reduce_by_key_config_selectorIiiN6thrust23THRUST_200600_302600_NS4plusIiEEEEZZNS1_33reduce_by_key_impl_wrapped_configILNS1_25lookback_scan_determinismE0ES3_S9_NS6_10device_ptrIiEESD_SD_SD_PmS8_NS6_8equal_toIiEEEE10hipError_tPvRmT2_T3_mT4_T5_T6_T7_T8_P12ihipStream_tbENKUlT_T0_E_clISt17integral_constantIbLb0EESX_IbLb1EEEEDaST_SU_EUlST_E_NS1_11comp_targetILNS1_3genE9ELNS1_11target_archE1100ELNS1_3gpuE3ELNS1_3repE0EEENS1_30default_config_static_selectorELNS0_4arch9wavefront6targetE1EEEvT1_,"axG",@progbits,_ZN7rocprim17ROCPRIM_400000_NS6detail17trampoline_kernelINS0_14default_configENS1_29reduce_by_key_config_selectorIiiN6thrust23THRUST_200600_302600_NS4plusIiEEEEZZNS1_33reduce_by_key_impl_wrapped_configILNS1_25lookback_scan_determinismE0ES3_S9_NS6_10device_ptrIiEESD_SD_SD_PmS8_NS6_8equal_toIiEEEE10hipError_tPvRmT2_T3_mT4_T5_T6_T7_T8_P12ihipStream_tbENKUlT_T0_E_clISt17integral_constantIbLb0EESX_IbLb1EEEEDaST_SU_EUlST_E_NS1_11comp_targetILNS1_3genE9ELNS1_11target_archE1100ELNS1_3gpuE3ELNS1_3repE0EEENS1_30default_config_static_selectorELNS0_4arch9wavefront6targetE1EEEvT1_,comdat
.Lfunc_end1128:
	.size	_ZN7rocprim17ROCPRIM_400000_NS6detail17trampoline_kernelINS0_14default_configENS1_29reduce_by_key_config_selectorIiiN6thrust23THRUST_200600_302600_NS4plusIiEEEEZZNS1_33reduce_by_key_impl_wrapped_configILNS1_25lookback_scan_determinismE0ES3_S9_NS6_10device_ptrIiEESD_SD_SD_PmS8_NS6_8equal_toIiEEEE10hipError_tPvRmT2_T3_mT4_T5_T6_T7_T8_P12ihipStream_tbENKUlT_T0_E_clISt17integral_constantIbLb0EESX_IbLb1EEEEDaST_SU_EUlST_E_NS1_11comp_targetILNS1_3genE9ELNS1_11target_archE1100ELNS1_3gpuE3ELNS1_3repE0EEENS1_30default_config_static_selectorELNS0_4arch9wavefront6targetE1EEEvT1_, .Lfunc_end1128-_ZN7rocprim17ROCPRIM_400000_NS6detail17trampoline_kernelINS0_14default_configENS1_29reduce_by_key_config_selectorIiiN6thrust23THRUST_200600_302600_NS4plusIiEEEEZZNS1_33reduce_by_key_impl_wrapped_configILNS1_25lookback_scan_determinismE0ES3_S9_NS6_10device_ptrIiEESD_SD_SD_PmS8_NS6_8equal_toIiEEEE10hipError_tPvRmT2_T3_mT4_T5_T6_T7_T8_P12ihipStream_tbENKUlT_T0_E_clISt17integral_constantIbLb0EESX_IbLb1EEEEDaST_SU_EUlST_E_NS1_11comp_targetILNS1_3genE9ELNS1_11target_archE1100ELNS1_3gpuE3ELNS1_3repE0EEENS1_30default_config_static_selectorELNS0_4arch9wavefront6targetE1EEEvT1_
                                        ; -- End function
	.section	.AMDGPU.csdata,"",@progbits
; Kernel info:
; codeLenInByte = 0
; NumSgprs: 4
; NumVgprs: 0
; NumAgprs: 0
; TotalNumVgprs: 0
; ScratchSize: 0
; MemoryBound: 0
; FloatMode: 240
; IeeeMode: 1
; LDSByteSize: 0 bytes/workgroup (compile time only)
; SGPRBlocks: 0
; VGPRBlocks: 0
; NumSGPRsForWavesPerEU: 4
; NumVGPRsForWavesPerEU: 1
; AccumOffset: 4
; Occupancy: 8
; WaveLimiterHint : 0
; COMPUTE_PGM_RSRC2:SCRATCH_EN: 0
; COMPUTE_PGM_RSRC2:USER_SGPR: 6
; COMPUTE_PGM_RSRC2:TRAP_HANDLER: 0
; COMPUTE_PGM_RSRC2:TGID_X_EN: 1
; COMPUTE_PGM_RSRC2:TGID_Y_EN: 0
; COMPUTE_PGM_RSRC2:TGID_Z_EN: 0
; COMPUTE_PGM_RSRC2:TIDIG_COMP_CNT: 0
; COMPUTE_PGM_RSRC3_GFX90A:ACCUM_OFFSET: 0
; COMPUTE_PGM_RSRC3_GFX90A:TG_SPLIT: 0
	.section	.text._ZN7rocprim17ROCPRIM_400000_NS6detail17trampoline_kernelINS0_14default_configENS1_29reduce_by_key_config_selectorIiiN6thrust23THRUST_200600_302600_NS4plusIiEEEEZZNS1_33reduce_by_key_impl_wrapped_configILNS1_25lookback_scan_determinismE0ES3_S9_NS6_10device_ptrIiEESD_SD_SD_PmS8_NS6_8equal_toIiEEEE10hipError_tPvRmT2_T3_mT4_T5_T6_T7_T8_P12ihipStream_tbENKUlT_T0_E_clISt17integral_constantIbLb0EESX_IbLb1EEEEDaST_SU_EUlST_E_NS1_11comp_targetILNS1_3genE8ELNS1_11target_archE1030ELNS1_3gpuE2ELNS1_3repE0EEENS1_30default_config_static_selectorELNS0_4arch9wavefront6targetE1EEEvT1_,"axG",@progbits,_ZN7rocprim17ROCPRIM_400000_NS6detail17trampoline_kernelINS0_14default_configENS1_29reduce_by_key_config_selectorIiiN6thrust23THRUST_200600_302600_NS4plusIiEEEEZZNS1_33reduce_by_key_impl_wrapped_configILNS1_25lookback_scan_determinismE0ES3_S9_NS6_10device_ptrIiEESD_SD_SD_PmS8_NS6_8equal_toIiEEEE10hipError_tPvRmT2_T3_mT4_T5_T6_T7_T8_P12ihipStream_tbENKUlT_T0_E_clISt17integral_constantIbLb0EESX_IbLb1EEEEDaST_SU_EUlST_E_NS1_11comp_targetILNS1_3genE8ELNS1_11target_archE1030ELNS1_3gpuE2ELNS1_3repE0EEENS1_30default_config_static_selectorELNS0_4arch9wavefront6targetE1EEEvT1_,comdat
	.protected	_ZN7rocprim17ROCPRIM_400000_NS6detail17trampoline_kernelINS0_14default_configENS1_29reduce_by_key_config_selectorIiiN6thrust23THRUST_200600_302600_NS4plusIiEEEEZZNS1_33reduce_by_key_impl_wrapped_configILNS1_25lookback_scan_determinismE0ES3_S9_NS6_10device_ptrIiEESD_SD_SD_PmS8_NS6_8equal_toIiEEEE10hipError_tPvRmT2_T3_mT4_T5_T6_T7_T8_P12ihipStream_tbENKUlT_T0_E_clISt17integral_constantIbLb0EESX_IbLb1EEEEDaST_SU_EUlST_E_NS1_11comp_targetILNS1_3genE8ELNS1_11target_archE1030ELNS1_3gpuE2ELNS1_3repE0EEENS1_30default_config_static_selectorELNS0_4arch9wavefront6targetE1EEEvT1_ ; -- Begin function _ZN7rocprim17ROCPRIM_400000_NS6detail17trampoline_kernelINS0_14default_configENS1_29reduce_by_key_config_selectorIiiN6thrust23THRUST_200600_302600_NS4plusIiEEEEZZNS1_33reduce_by_key_impl_wrapped_configILNS1_25lookback_scan_determinismE0ES3_S9_NS6_10device_ptrIiEESD_SD_SD_PmS8_NS6_8equal_toIiEEEE10hipError_tPvRmT2_T3_mT4_T5_T6_T7_T8_P12ihipStream_tbENKUlT_T0_E_clISt17integral_constantIbLb0EESX_IbLb1EEEEDaST_SU_EUlST_E_NS1_11comp_targetILNS1_3genE8ELNS1_11target_archE1030ELNS1_3gpuE2ELNS1_3repE0EEENS1_30default_config_static_selectorELNS0_4arch9wavefront6targetE1EEEvT1_
	.globl	_ZN7rocprim17ROCPRIM_400000_NS6detail17trampoline_kernelINS0_14default_configENS1_29reduce_by_key_config_selectorIiiN6thrust23THRUST_200600_302600_NS4plusIiEEEEZZNS1_33reduce_by_key_impl_wrapped_configILNS1_25lookback_scan_determinismE0ES3_S9_NS6_10device_ptrIiEESD_SD_SD_PmS8_NS6_8equal_toIiEEEE10hipError_tPvRmT2_T3_mT4_T5_T6_T7_T8_P12ihipStream_tbENKUlT_T0_E_clISt17integral_constantIbLb0EESX_IbLb1EEEEDaST_SU_EUlST_E_NS1_11comp_targetILNS1_3genE8ELNS1_11target_archE1030ELNS1_3gpuE2ELNS1_3repE0EEENS1_30default_config_static_selectorELNS0_4arch9wavefront6targetE1EEEvT1_
	.p2align	8
	.type	_ZN7rocprim17ROCPRIM_400000_NS6detail17trampoline_kernelINS0_14default_configENS1_29reduce_by_key_config_selectorIiiN6thrust23THRUST_200600_302600_NS4plusIiEEEEZZNS1_33reduce_by_key_impl_wrapped_configILNS1_25lookback_scan_determinismE0ES3_S9_NS6_10device_ptrIiEESD_SD_SD_PmS8_NS6_8equal_toIiEEEE10hipError_tPvRmT2_T3_mT4_T5_T6_T7_T8_P12ihipStream_tbENKUlT_T0_E_clISt17integral_constantIbLb0EESX_IbLb1EEEEDaST_SU_EUlST_E_NS1_11comp_targetILNS1_3genE8ELNS1_11target_archE1030ELNS1_3gpuE2ELNS1_3repE0EEENS1_30default_config_static_selectorELNS0_4arch9wavefront6targetE1EEEvT1_,@function
_ZN7rocprim17ROCPRIM_400000_NS6detail17trampoline_kernelINS0_14default_configENS1_29reduce_by_key_config_selectorIiiN6thrust23THRUST_200600_302600_NS4plusIiEEEEZZNS1_33reduce_by_key_impl_wrapped_configILNS1_25lookback_scan_determinismE0ES3_S9_NS6_10device_ptrIiEESD_SD_SD_PmS8_NS6_8equal_toIiEEEE10hipError_tPvRmT2_T3_mT4_T5_T6_T7_T8_P12ihipStream_tbENKUlT_T0_E_clISt17integral_constantIbLb0EESX_IbLb1EEEEDaST_SU_EUlST_E_NS1_11comp_targetILNS1_3genE8ELNS1_11target_archE1030ELNS1_3gpuE2ELNS1_3repE0EEENS1_30default_config_static_selectorELNS0_4arch9wavefront6targetE1EEEvT1_: ; @_ZN7rocprim17ROCPRIM_400000_NS6detail17trampoline_kernelINS0_14default_configENS1_29reduce_by_key_config_selectorIiiN6thrust23THRUST_200600_302600_NS4plusIiEEEEZZNS1_33reduce_by_key_impl_wrapped_configILNS1_25lookback_scan_determinismE0ES3_S9_NS6_10device_ptrIiEESD_SD_SD_PmS8_NS6_8equal_toIiEEEE10hipError_tPvRmT2_T3_mT4_T5_T6_T7_T8_P12ihipStream_tbENKUlT_T0_E_clISt17integral_constantIbLb0EESX_IbLb1EEEEDaST_SU_EUlST_E_NS1_11comp_targetILNS1_3genE8ELNS1_11target_archE1030ELNS1_3gpuE2ELNS1_3repE0EEENS1_30default_config_static_selectorELNS0_4arch9wavefront6targetE1EEEvT1_
; %bb.0:
	.section	.rodata,"a",@progbits
	.p2align	6, 0x0
	.amdhsa_kernel _ZN7rocprim17ROCPRIM_400000_NS6detail17trampoline_kernelINS0_14default_configENS1_29reduce_by_key_config_selectorIiiN6thrust23THRUST_200600_302600_NS4plusIiEEEEZZNS1_33reduce_by_key_impl_wrapped_configILNS1_25lookback_scan_determinismE0ES3_S9_NS6_10device_ptrIiEESD_SD_SD_PmS8_NS6_8equal_toIiEEEE10hipError_tPvRmT2_T3_mT4_T5_T6_T7_T8_P12ihipStream_tbENKUlT_T0_E_clISt17integral_constantIbLb0EESX_IbLb1EEEEDaST_SU_EUlST_E_NS1_11comp_targetILNS1_3genE8ELNS1_11target_archE1030ELNS1_3gpuE2ELNS1_3repE0EEENS1_30default_config_static_selectorELNS0_4arch9wavefront6targetE1EEEvT1_
		.amdhsa_group_segment_fixed_size 0
		.amdhsa_private_segment_fixed_size 0
		.amdhsa_kernarg_size 120
		.amdhsa_user_sgpr_count 6
		.amdhsa_user_sgpr_private_segment_buffer 1
		.amdhsa_user_sgpr_dispatch_ptr 0
		.amdhsa_user_sgpr_queue_ptr 0
		.amdhsa_user_sgpr_kernarg_segment_ptr 1
		.amdhsa_user_sgpr_dispatch_id 0
		.amdhsa_user_sgpr_flat_scratch_init 0
		.amdhsa_user_sgpr_kernarg_preload_length 0
		.amdhsa_user_sgpr_kernarg_preload_offset 0
		.amdhsa_user_sgpr_private_segment_size 0
		.amdhsa_uses_dynamic_stack 0
		.amdhsa_system_sgpr_private_segment_wavefront_offset 0
		.amdhsa_system_sgpr_workgroup_id_x 1
		.amdhsa_system_sgpr_workgroup_id_y 0
		.amdhsa_system_sgpr_workgroup_id_z 0
		.amdhsa_system_sgpr_workgroup_info 0
		.amdhsa_system_vgpr_workitem_id 0
		.amdhsa_next_free_vgpr 1
		.amdhsa_next_free_sgpr 0
		.amdhsa_accum_offset 4
		.amdhsa_reserve_vcc 0
		.amdhsa_reserve_flat_scratch 0
		.amdhsa_float_round_mode_32 0
		.amdhsa_float_round_mode_16_64 0
		.amdhsa_float_denorm_mode_32 3
		.amdhsa_float_denorm_mode_16_64 3
		.amdhsa_dx10_clamp 1
		.amdhsa_ieee_mode 1
		.amdhsa_fp16_overflow 0
		.amdhsa_tg_split 0
		.amdhsa_exception_fp_ieee_invalid_op 0
		.amdhsa_exception_fp_denorm_src 0
		.amdhsa_exception_fp_ieee_div_zero 0
		.amdhsa_exception_fp_ieee_overflow 0
		.amdhsa_exception_fp_ieee_underflow 0
		.amdhsa_exception_fp_ieee_inexact 0
		.amdhsa_exception_int_div_zero 0
	.end_amdhsa_kernel
	.section	.text._ZN7rocprim17ROCPRIM_400000_NS6detail17trampoline_kernelINS0_14default_configENS1_29reduce_by_key_config_selectorIiiN6thrust23THRUST_200600_302600_NS4plusIiEEEEZZNS1_33reduce_by_key_impl_wrapped_configILNS1_25lookback_scan_determinismE0ES3_S9_NS6_10device_ptrIiEESD_SD_SD_PmS8_NS6_8equal_toIiEEEE10hipError_tPvRmT2_T3_mT4_T5_T6_T7_T8_P12ihipStream_tbENKUlT_T0_E_clISt17integral_constantIbLb0EESX_IbLb1EEEEDaST_SU_EUlST_E_NS1_11comp_targetILNS1_3genE8ELNS1_11target_archE1030ELNS1_3gpuE2ELNS1_3repE0EEENS1_30default_config_static_selectorELNS0_4arch9wavefront6targetE1EEEvT1_,"axG",@progbits,_ZN7rocprim17ROCPRIM_400000_NS6detail17trampoline_kernelINS0_14default_configENS1_29reduce_by_key_config_selectorIiiN6thrust23THRUST_200600_302600_NS4plusIiEEEEZZNS1_33reduce_by_key_impl_wrapped_configILNS1_25lookback_scan_determinismE0ES3_S9_NS6_10device_ptrIiEESD_SD_SD_PmS8_NS6_8equal_toIiEEEE10hipError_tPvRmT2_T3_mT4_T5_T6_T7_T8_P12ihipStream_tbENKUlT_T0_E_clISt17integral_constantIbLb0EESX_IbLb1EEEEDaST_SU_EUlST_E_NS1_11comp_targetILNS1_3genE8ELNS1_11target_archE1030ELNS1_3gpuE2ELNS1_3repE0EEENS1_30default_config_static_selectorELNS0_4arch9wavefront6targetE1EEEvT1_,comdat
.Lfunc_end1129:
	.size	_ZN7rocprim17ROCPRIM_400000_NS6detail17trampoline_kernelINS0_14default_configENS1_29reduce_by_key_config_selectorIiiN6thrust23THRUST_200600_302600_NS4plusIiEEEEZZNS1_33reduce_by_key_impl_wrapped_configILNS1_25lookback_scan_determinismE0ES3_S9_NS6_10device_ptrIiEESD_SD_SD_PmS8_NS6_8equal_toIiEEEE10hipError_tPvRmT2_T3_mT4_T5_T6_T7_T8_P12ihipStream_tbENKUlT_T0_E_clISt17integral_constantIbLb0EESX_IbLb1EEEEDaST_SU_EUlST_E_NS1_11comp_targetILNS1_3genE8ELNS1_11target_archE1030ELNS1_3gpuE2ELNS1_3repE0EEENS1_30default_config_static_selectorELNS0_4arch9wavefront6targetE1EEEvT1_, .Lfunc_end1129-_ZN7rocprim17ROCPRIM_400000_NS6detail17trampoline_kernelINS0_14default_configENS1_29reduce_by_key_config_selectorIiiN6thrust23THRUST_200600_302600_NS4plusIiEEEEZZNS1_33reduce_by_key_impl_wrapped_configILNS1_25lookback_scan_determinismE0ES3_S9_NS6_10device_ptrIiEESD_SD_SD_PmS8_NS6_8equal_toIiEEEE10hipError_tPvRmT2_T3_mT4_T5_T6_T7_T8_P12ihipStream_tbENKUlT_T0_E_clISt17integral_constantIbLb0EESX_IbLb1EEEEDaST_SU_EUlST_E_NS1_11comp_targetILNS1_3genE8ELNS1_11target_archE1030ELNS1_3gpuE2ELNS1_3repE0EEENS1_30default_config_static_selectorELNS0_4arch9wavefront6targetE1EEEvT1_
                                        ; -- End function
	.section	.AMDGPU.csdata,"",@progbits
; Kernel info:
; codeLenInByte = 0
; NumSgprs: 4
; NumVgprs: 0
; NumAgprs: 0
; TotalNumVgprs: 0
; ScratchSize: 0
; MemoryBound: 0
; FloatMode: 240
; IeeeMode: 1
; LDSByteSize: 0 bytes/workgroup (compile time only)
; SGPRBlocks: 0
; VGPRBlocks: 0
; NumSGPRsForWavesPerEU: 4
; NumVGPRsForWavesPerEU: 1
; AccumOffset: 4
; Occupancy: 8
; WaveLimiterHint : 0
; COMPUTE_PGM_RSRC2:SCRATCH_EN: 0
; COMPUTE_PGM_RSRC2:USER_SGPR: 6
; COMPUTE_PGM_RSRC2:TRAP_HANDLER: 0
; COMPUTE_PGM_RSRC2:TGID_X_EN: 1
; COMPUTE_PGM_RSRC2:TGID_Y_EN: 0
; COMPUTE_PGM_RSRC2:TGID_Z_EN: 0
; COMPUTE_PGM_RSRC2:TIDIG_COMP_CNT: 0
; COMPUTE_PGM_RSRC3_GFX90A:ACCUM_OFFSET: 0
; COMPUTE_PGM_RSRC3_GFX90A:TG_SPLIT: 0
	.section	.text._ZN6thrust23THRUST_200600_302600_NS11hip_rocprim14__parallel_for6kernelILj256ENS1_20__uninitialized_fill7functorINS0_10device_ptrIlEElEEmLj1EEEvT0_T1_SA_,"axG",@progbits,_ZN6thrust23THRUST_200600_302600_NS11hip_rocprim14__parallel_for6kernelILj256ENS1_20__uninitialized_fill7functorINS0_10device_ptrIlEElEEmLj1EEEvT0_T1_SA_,comdat
	.protected	_ZN6thrust23THRUST_200600_302600_NS11hip_rocprim14__parallel_for6kernelILj256ENS1_20__uninitialized_fill7functorINS0_10device_ptrIlEElEEmLj1EEEvT0_T1_SA_ ; -- Begin function _ZN6thrust23THRUST_200600_302600_NS11hip_rocprim14__parallel_for6kernelILj256ENS1_20__uninitialized_fill7functorINS0_10device_ptrIlEElEEmLj1EEEvT0_T1_SA_
	.globl	_ZN6thrust23THRUST_200600_302600_NS11hip_rocprim14__parallel_for6kernelILj256ENS1_20__uninitialized_fill7functorINS0_10device_ptrIlEElEEmLj1EEEvT0_T1_SA_
	.p2align	8
	.type	_ZN6thrust23THRUST_200600_302600_NS11hip_rocprim14__parallel_for6kernelILj256ENS1_20__uninitialized_fill7functorINS0_10device_ptrIlEElEEmLj1EEEvT0_T1_SA_,@function
_ZN6thrust23THRUST_200600_302600_NS11hip_rocprim14__parallel_for6kernelILj256ENS1_20__uninitialized_fill7functorINS0_10device_ptrIlEElEEmLj1EEEvT0_T1_SA_: ; @_ZN6thrust23THRUST_200600_302600_NS11hip_rocprim14__parallel_for6kernelILj256ENS1_20__uninitialized_fill7functorINS0_10device_ptrIlEElEEmLj1EEEvT0_T1_SA_
; %bb.0:
	s_load_dwordx8 s[8:15], s[4:5], 0x0
	s_lshl_b32 s0, s6, 8
	v_mov_b32_e32 v2, 0x100
	v_mov_b32_e32 v3, 0
	s_waitcnt lgkmcnt(0)
	s_add_u32 s0, s0, s14
	s_addc_u32 s1, 0, s15
	s_sub_u32 s2, s12, s0
	s_subb_u32 s3, s13, s1
	v_cmp_lt_u64_e32 vcc, s[2:3], v[2:3]
	s_cbranch_vccz .LBB1130_2
; %bb.1:
	v_cmp_gt_u32_e32 vcc, s2, v0
	s_and_b64 s[2:3], vcc, exec
	s_cbranch_execz .LBB1130_3
	s_branch .LBB1130_4
.LBB1130_2:
	s_mov_b64 s[2:3], 0
.LBB1130_3:
	s_or_b64 s[2:3], s[2:3], exec
.LBB1130_4:
	s_and_saveexec_b64 s[4:5], s[2:3]
	s_cbranch_execnz .LBB1130_6
; %bb.5:
	s_endpgm
.LBB1130_6:
	s_lshl_b64 s[0:1], s[0:1], 3
	v_mov_b32_e32 v1, 0
	s_add_u32 s0, s8, s0
	s_addc_u32 s1, s9, s1
	v_lshlrev_b64 v[0:1], 3, v[0:1]
	v_mov_b32_e32 v4, s1
	v_add_co_u32_e32 v0, vcc, s0, v0
	v_mov_b32_e32 v2, s10
	v_mov_b32_e32 v3, s11
	v_addc_co_u32_e32 v1, vcc, v4, v1, vcc
	flat_store_dwordx2 v[0:1], v[2:3]
	s_endpgm
	.section	.rodata,"a",@progbits
	.p2align	6, 0x0
	.amdhsa_kernel _ZN6thrust23THRUST_200600_302600_NS11hip_rocprim14__parallel_for6kernelILj256ENS1_20__uninitialized_fill7functorINS0_10device_ptrIlEElEEmLj1EEEvT0_T1_SA_
		.amdhsa_group_segment_fixed_size 0
		.amdhsa_private_segment_fixed_size 0
		.amdhsa_kernarg_size 32
		.amdhsa_user_sgpr_count 6
		.amdhsa_user_sgpr_private_segment_buffer 1
		.amdhsa_user_sgpr_dispatch_ptr 0
		.amdhsa_user_sgpr_queue_ptr 0
		.amdhsa_user_sgpr_kernarg_segment_ptr 1
		.amdhsa_user_sgpr_dispatch_id 0
		.amdhsa_user_sgpr_flat_scratch_init 0
		.amdhsa_user_sgpr_kernarg_preload_length 0
		.amdhsa_user_sgpr_kernarg_preload_offset 0
		.amdhsa_user_sgpr_private_segment_size 0
		.amdhsa_uses_dynamic_stack 0
		.amdhsa_system_sgpr_private_segment_wavefront_offset 0
		.amdhsa_system_sgpr_workgroup_id_x 1
		.amdhsa_system_sgpr_workgroup_id_y 0
		.amdhsa_system_sgpr_workgroup_id_z 0
		.amdhsa_system_sgpr_workgroup_info 0
		.amdhsa_system_vgpr_workitem_id 0
		.amdhsa_next_free_vgpr 5
		.amdhsa_next_free_sgpr 16
		.amdhsa_accum_offset 8
		.amdhsa_reserve_vcc 1
		.amdhsa_reserve_flat_scratch 0
		.amdhsa_float_round_mode_32 0
		.amdhsa_float_round_mode_16_64 0
		.amdhsa_float_denorm_mode_32 3
		.amdhsa_float_denorm_mode_16_64 3
		.amdhsa_dx10_clamp 1
		.amdhsa_ieee_mode 1
		.amdhsa_fp16_overflow 0
		.amdhsa_tg_split 0
		.amdhsa_exception_fp_ieee_invalid_op 0
		.amdhsa_exception_fp_denorm_src 0
		.amdhsa_exception_fp_ieee_div_zero 0
		.amdhsa_exception_fp_ieee_overflow 0
		.amdhsa_exception_fp_ieee_underflow 0
		.amdhsa_exception_fp_ieee_inexact 0
		.amdhsa_exception_int_div_zero 0
	.end_amdhsa_kernel
	.section	.text._ZN6thrust23THRUST_200600_302600_NS11hip_rocprim14__parallel_for6kernelILj256ENS1_20__uninitialized_fill7functorINS0_10device_ptrIlEElEEmLj1EEEvT0_T1_SA_,"axG",@progbits,_ZN6thrust23THRUST_200600_302600_NS11hip_rocprim14__parallel_for6kernelILj256ENS1_20__uninitialized_fill7functorINS0_10device_ptrIlEElEEmLj1EEEvT0_T1_SA_,comdat
.Lfunc_end1130:
	.size	_ZN6thrust23THRUST_200600_302600_NS11hip_rocprim14__parallel_for6kernelILj256ENS1_20__uninitialized_fill7functorINS0_10device_ptrIlEElEEmLj1EEEvT0_T1_SA_, .Lfunc_end1130-_ZN6thrust23THRUST_200600_302600_NS11hip_rocprim14__parallel_for6kernelILj256ENS1_20__uninitialized_fill7functorINS0_10device_ptrIlEElEEmLj1EEEvT0_T1_SA_
                                        ; -- End function
	.section	.AMDGPU.csdata,"",@progbits
; Kernel info:
; codeLenInByte = 144
; NumSgprs: 20
; NumVgprs: 5
; NumAgprs: 0
; TotalNumVgprs: 5
; ScratchSize: 0
; MemoryBound: 0
; FloatMode: 240
; IeeeMode: 1
; LDSByteSize: 0 bytes/workgroup (compile time only)
; SGPRBlocks: 2
; VGPRBlocks: 0
; NumSGPRsForWavesPerEU: 20
; NumVGPRsForWavesPerEU: 5
; AccumOffset: 8
; Occupancy: 8
; WaveLimiterHint : 0
; COMPUTE_PGM_RSRC2:SCRATCH_EN: 0
; COMPUTE_PGM_RSRC2:USER_SGPR: 6
; COMPUTE_PGM_RSRC2:TRAP_HANDLER: 0
; COMPUTE_PGM_RSRC2:TGID_X_EN: 1
; COMPUTE_PGM_RSRC2:TGID_Y_EN: 0
; COMPUTE_PGM_RSRC2:TGID_Z_EN: 0
; COMPUTE_PGM_RSRC2:TIDIG_COMP_CNT: 0
; COMPUTE_PGM_RSRC3_GFX90A:ACCUM_OFFSET: 1
; COMPUTE_PGM_RSRC3_GFX90A:TG_SPLIT: 0
	.section	.text._ZN7rocprim17ROCPRIM_400000_NS6detail25reduce_by_key_init_kernelINS1_19lookback_scan_stateINS0_5tupleIJjlEEELb0ELb0EEElNS1_16block_id_wrapperIjLb0EEEEEvT_jbjPmPT0_T1_,"axG",@progbits,_ZN7rocprim17ROCPRIM_400000_NS6detail25reduce_by_key_init_kernelINS1_19lookback_scan_stateINS0_5tupleIJjlEEELb0ELb0EEElNS1_16block_id_wrapperIjLb0EEEEEvT_jbjPmPT0_T1_,comdat
	.protected	_ZN7rocprim17ROCPRIM_400000_NS6detail25reduce_by_key_init_kernelINS1_19lookback_scan_stateINS0_5tupleIJjlEEELb0ELb0EEElNS1_16block_id_wrapperIjLb0EEEEEvT_jbjPmPT0_T1_ ; -- Begin function _ZN7rocprim17ROCPRIM_400000_NS6detail25reduce_by_key_init_kernelINS1_19lookback_scan_stateINS0_5tupleIJjlEEELb0ELb0EEElNS1_16block_id_wrapperIjLb0EEEEEvT_jbjPmPT0_T1_
	.globl	_ZN7rocprim17ROCPRIM_400000_NS6detail25reduce_by_key_init_kernelINS1_19lookback_scan_stateINS0_5tupleIJjlEEELb0ELb0EEElNS1_16block_id_wrapperIjLb0EEEEEvT_jbjPmPT0_T1_
	.p2align	8
	.type	_ZN7rocprim17ROCPRIM_400000_NS6detail25reduce_by_key_init_kernelINS1_19lookback_scan_stateINS0_5tupleIJjlEEELb0ELb0EEElNS1_16block_id_wrapperIjLb0EEEEEvT_jbjPmPT0_T1_,@function
_ZN7rocprim17ROCPRIM_400000_NS6detail25reduce_by_key_init_kernelINS1_19lookback_scan_stateINS0_5tupleIJjlEEELb0ELb0EEElNS1_16block_id_wrapperIjLb0EEEEEvT_jbjPmPT0_T1_: ; @_ZN7rocprim17ROCPRIM_400000_NS6detail25reduce_by_key_init_kernelINS1_19lookback_scan_stateINS0_5tupleIJjlEEELb0ELb0EEElNS1_16block_id_wrapperIjLb0EEEEEvT_jbjPmPT0_T1_
; %bb.0:
	s_load_dwordx8 s[8:15], s[4:5], 0x18
	s_load_dword s0, s[4:5], 0x4c
	s_load_dwordx2 s[16:17], s[4:5], 0x10
	s_waitcnt lgkmcnt(0)
	s_and_b32 s1, s9, 1
	s_and_b32 s0, s0, 0xffff
	s_mul_i32 s6, s6, s0
	s_cmp_eq_u32 s1, 0
	v_add_u32_e32 v0, s6, v0
	s_mov_b64 s[0:1], -1
	s_cbranch_scc1 .LBB1131_5
; %bb.1:
	s_andn2_b64 vcc, exec, s[0:1]
	s_cbranch_vccz .LBB1131_11
.LBB1131_2:
	v_cmp_gt_u32_e32 vcc, s8, v0
	s_and_saveexec_b64 s[0:1], vcc
	s_cbranch_execnz .LBB1131_14
.LBB1131_3:
	s_or_b64 exec, exec, s[0:1]
	v_cmp_gt_u32_e32 vcc, 64, v0
	s_and_saveexec_b64 s[0:1], vcc
	s_cbranch_execnz .LBB1131_15
.LBB1131_4:
	s_endpgm
.LBB1131_5:
	s_cmp_lt_u32 s10, s8
	s_cselect_b32 s0, s10, 0
	v_cmp_eq_u32_e32 vcc, s0, v0
	s_and_saveexec_b64 s[6:7], vcc
	s_cbranch_execz .LBB1131_10
; %bb.6:
	s_add_i32 s10, s10, 64
	v_mov_b32_e32 v1, s10
	global_load_ubyte v1, v1, s[16:17] glc
	s_load_dwordx4 s[0:3], s[4:5], 0x0
	s_add_u32 s4, s16, s10
	s_mov_b32 s11, 0
	s_addc_u32 s5, s17, 0
	s_waitcnt vmcnt(0)
	v_cmp_ne_u16_e32 vcc, 0, v1
	v_readfirstlane_b32 s9, v1
	s_cbranch_vccnz .LBB1131_9
; %bb.7:
	v_mov_b32_e32 v1, 0
.LBB1131_8:                             ; =>This Inner Loop Header: Depth=1
	global_load_ubyte v2, v1, s[4:5] glc
	s_waitcnt vmcnt(0)
	v_cmp_eq_u16_e32 vcc, 0, v2
	v_readfirstlane_b32 s9, v2
	s_cbranch_vccnz .LBB1131_8
.LBB1131_9:
	s_and_b32 s4, 0xffff, s9
	s_cmp_eq_u32 s4, 1
	s_waitcnt lgkmcnt(0)
	s_cselect_b32 s3, s1, s3
	s_cselect_b32 s2, s0, s2
	s_lshl_b64 s[0:1], s[10:11], 4
	v_mov_b32_e32 v1, 0
	s_add_u32 s0, s2, s0
	buffer_wbinvl1_vol
	s_addc_u32 s1, s3, s1
	global_load_dwordx2 v[2:3], v1, s[12:13]
	global_load_dword v6, v1, s[0:1]
	global_load_dwordx2 v[4:5], v1, s[0:1] offset:8
	s_waitcnt vmcnt(1)
	v_add_co_u32_e32 v2, vcc, v2, v6
	v_addc_co_u32_e32 v3, vcc, 0, v3, vcc
	global_store_dwordx2 v1, v[2:3], s[12:13]
	s_waitcnt vmcnt(1)
	global_store_dwordx2 v1, v[4:5], s[14:15]
.LBB1131_10:
	s_or_b64 exec, exec, s[6:7]
	s_cbranch_execnz .LBB1131_2
.LBB1131_11:
	s_cmp_lg_u64 s[12:13], 0
	s_cselect_b64 s[0:1], -1, 0
	v_cmp_eq_u32_e32 vcc, 0, v0
	s_and_b64 s[2:3], s[0:1], vcc
	s_and_saveexec_b64 s[0:1], s[2:3]
	s_cbranch_execz .LBB1131_13
; %bb.12:
	v_mov_b32_e32 v2, 0
	v_mov_b32_e32 v3, v2
	global_store_dwordx2 v2, v[2:3], s[12:13]
.LBB1131_13:
	s_or_b64 exec, exec, s[0:1]
	v_cmp_gt_u32_e32 vcc, s8, v0
	s_and_saveexec_b64 s[0:1], vcc
	s_cbranch_execz .LBB1131_3
.LBB1131_14:
	v_add_u32_e32 v1, 64, v0
	v_mov_b32_e32 v2, 0
	global_store_byte v1, v2, s[16:17]
	s_or_b64 exec, exec, s[0:1]
	v_cmp_gt_u32_e32 vcc, 64, v0
	s_and_saveexec_b64 s[0:1], vcc
	s_cbranch_execz .LBB1131_4
.LBB1131_15:
	v_mov_b32_e32 v1, 0xff
	global_store_byte v0, v1, s[16:17]
	s_endpgm
	.section	.rodata,"a",@progbits
	.p2align	6, 0x0
	.amdhsa_kernel _ZN7rocprim17ROCPRIM_400000_NS6detail25reduce_by_key_init_kernelINS1_19lookback_scan_stateINS0_5tupleIJjlEEELb0ELb0EEElNS1_16block_id_wrapperIjLb0EEEEEvT_jbjPmPT0_T1_
		.amdhsa_group_segment_fixed_size 0
		.amdhsa_private_segment_fixed_size 0
		.amdhsa_kernarg_size 320
		.amdhsa_user_sgpr_count 6
		.amdhsa_user_sgpr_private_segment_buffer 1
		.amdhsa_user_sgpr_dispatch_ptr 0
		.amdhsa_user_sgpr_queue_ptr 0
		.amdhsa_user_sgpr_kernarg_segment_ptr 1
		.amdhsa_user_sgpr_dispatch_id 0
		.amdhsa_user_sgpr_flat_scratch_init 0
		.amdhsa_user_sgpr_kernarg_preload_length 0
		.amdhsa_user_sgpr_kernarg_preload_offset 0
		.amdhsa_user_sgpr_private_segment_size 0
		.amdhsa_uses_dynamic_stack 0
		.amdhsa_system_sgpr_private_segment_wavefront_offset 0
		.amdhsa_system_sgpr_workgroup_id_x 1
		.amdhsa_system_sgpr_workgroup_id_y 0
		.amdhsa_system_sgpr_workgroup_id_z 0
		.amdhsa_system_sgpr_workgroup_info 0
		.amdhsa_system_vgpr_workitem_id 0
		.amdhsa_next_free_vgpr 7
		.amdhsa_next_free_sgpr 18
		.amdhsa_accum_offset 8
		.amdhsa_reserve_vcc 1
		.amdhsa_reserve_flat_scratch 0
		.amdhsa_float_round_mode_32 0
		.amdhsa_float_round_mode_16_64 0
		.amdhsa_float_denorm_mode_32 3
		.amdhsa_float_denorm_mode_16_64 3
		.amdhsa_dx10_clamp 1
		.amdhsa_ieee_mode 1
		.amdhsa_fp16_overflow 0
		.amdhsa_tg_split 0
		.amdhsa_exception_fp_ieee_invalid_op 0
		.amdhsa_exception_fp_denorm_src 0
		.amdhsa_exception_fp_ieee_div_zero 0
		.amdhsa_exception_fp_ieee_overflow 0
		.amdhsa_exception_fp_ieee_underflow 0
		.amdhsa_exception_fp_ieee_inexact 0
		.amdhsa_exception_int_div_zero 0
	.end_amdhsa_kernel
	.section	.text._ZN7rocprim17ROCPRIM_400000_NS6detail25reduce_by_key_init_kernelINS1_19lookback_scan_stateINS0_5tupleIJjlEEELb0ELb0EEElNS1_16block_id_wrapperIjLb0EEEEEvT_jbjPmPT0_T1_,"axG",@progbits,_ZN7rocprim17ROCPRIM_400000_NS6detail25reduce_by_key_init_kernelINS1_19lookback_scan_stateINS0_5tupleIJjlEEELb0ELb0EEElNS1_16block_id_wrapperIjLb0EEEEEvT_jbjPmPT0_T1_,comdat
.Lfunc_end1131:
	.size	_ZN7rocprim17ROCPRIM_400000_NS6detail25reduce_by_key_init_kernelINS1_19lookback_scan_stateINS0_5tupleIJjlEEELb0ELb0EEElNS1_16block_id_wrapperIjLb0EEEEEvT_jbjPmPT0_T1_, .Lfunc_end1131-_ZN7rocprim17ROCPRIM_400000_NS6detail25reduce_by_key_init_kernelINS1_19lookback_scan_stateINS0_5tupleIJjlEEELb0ELb0EEElNS1_16block_id_wrapperIjLb0EEEEEvT_jbjPmPT0_T1_
                                        ; -- End function
	.section	.AMDGPU.csdata,"",@progbits
; Kernel info:
; codeLenInByte = 420
; NumSgprs: 22
; NumVgprs: 7
; NumAgprs: 0
; TotalNumVgprs: 7
; ScratchSize: 0
; MemoryBound: 0
; FloatMode: 240
; IeeeMode: 1
; LDSByteSize: 0 bytes/workgroup (compile time only)
; SGPRBlocks: 2
; VGPRBlocks: 0
; NumSGPRsForWavesPerEU: 22
; NumVGPRsForWavesPerEU: 7
; AccumOffset: 8
; Occupancy: 8
; WaveLimiterHint : 0
; COMPUTE_PGM_RSRC2:SCRATCH_EN: 0
; COMPUTE_PGM_RSRC2:USER_SGPR: 6
; COMPUTE_PGM_RSRC2:TRAP_HANDLER: 0
; COMPUTE_PGM_RSRC2:TGID_X_EN: 1
; COMPUTE_PGM_RSRC2:TGID_Y_EN: 0
; COMPUTE_PGM_RSRC2:TGID_Z_EN: 0
; COMPUTE_PGM_RSRC2:TIDIG_COMP_CNT: 0
; COMPUTE_PGM_RSRC3_GFX90A:ACCUM_OFFSET: 1
; COMPUTE_PGM_RSRC3_GFX90A:TG_SPLIT: 0
	.section	.text._ZN7rocprim17ROCPRIM_400000_NS6detail17trampoline_kernelINS0_14default_configENS1_29reduce_by_key_config_selectorIllN6thrust23THRUST_200600_302600_NS4plusIlEEEEZZNS1_33reduce_by_key_impl_wrapped_configILNS1_25lookback_scan_determinismE0ES3_S9_NS6_18transform_iteratorI6div_opNS6_17counting_iteratorIlNS6_11use_defaultESF_SF_EESF_SF_EENSC_I6mod_opSG_SF_SF_EENS6_6detail15normal_iteratorINS6_10device_ptrIlEEEESO_PmS8_NS6_8equal_toIlEEEE10hipError_tPvRmT2_T3_mT4_T5_T6_T7_T8_P12ihipStream_tbENKUlT_T0_E_clISt17integral_constantIbLb0EES19_EEDaS14_S15_EUlS14_E_NS1_11comp_targetILNS1_3genE0ELNS1_11target_archE4294967295ELNS1_3gpuE0ELNS1_3repE0EEENS1_30default_config_static_selectorELNS0_4arch9wavefront6targetE1EEEvT1_,"axG",@progbits,_ZN7rocprim17ROCPRIM_400000_NS6detail17trampoline_kernelINS0_14default_configENS1_29reduce_by_key_config_selectorIllN6thrust23THRUST_200600_302600_NS4plusIlEEEEZZNS1_33reduce_by_key_impl_wrapped_configILNS1_25lookback_scan_determinismE0ES3_S9_NS6_18transform_iteratorI6div_opNS6_17counting_iteratorIlNS6_11use_defaultESF_SF_EESF_SF_EENSC_I6mod_opSG_SF_SF_EENS6_6detail15normal_iteratorINS6_10device_ptrIlEEEESO_PmS8_NS6_8equal_toIlEEEE10hipError_tPvRmT2_T3_mT4_T5_T6_T7_T8_P12ihipStream_tbENKUlT_T0_E_clISt17integral_constantIbLb0EES19_EEDaS14_S15_EUlS14_E_NS1_11comp_targetILNS1_3genE0ELNS1_11target_archE4294967295ELNS1_3gpuE0ELNS1_3repE0EEENS1_30default_config_static_selectorELNS0_4arch9wavefront6targetE1EEEvT1_,comdat
	.protected	_ZN7rocprim17ROCPRIM_400000_NS6detail17trampoline_kernelINS0_14default_configENS1_29reduce_by_key_config_selectorIllN6thrust23THRUST_200600_302600_NS4plusIlEEEEZZNS1_33reduce_by_key_impl_wrapped_configILNS1_25lookback_scan_determinismE0ES3_S9_NS6_18transform_iteratorI6div_opNS6_17counting_iteratorIlNS6_11use_defaultESF_SF_EESF_SF_EENSC_I6mod_opSG_SF_SF_EENS6_6detail15normal_iteratorINS6_10device_ptrIlEEEESO_PmS8_NS6_8equal_toIlEEEE10hipError_tPvRmT2_T3_mT4_T5_T6_T7_T8_P12ihipStream_tbENKUlT_T0_E_clISt17integral_constantIbLb0EES19_EEDaS14_S15_EUlS14_E_NS1_11comp_targetILNS1_3genE0ELNS1_11target_archE4294967295ELNS1_3gpuE0ELNS1_3repE0EEENS1_30default_config_static_selectorELNS0_4arch9wavefront6targetE1EEEvT1_ ; -- Begin function _ZN7rocprim17ROCPRIM_400000_NS6detail17trampoline_kernelINS0_14default_configENS1_29reduce_by_key_config_selectorIllN6thrust23THRUST_200600_302600_NS4plusIlEEEEZZNS1_33reduce_by_key_impl_wrapped_configILNS1_25lookback_scan_determinismE0ES3_S9_NS6_18transform_iteratorI6div_opNS6_17counting_iteratorIlNS6_11use_defaultESF_SF_EESF_SF_EENSC_I6mod_opSG_SF_SF_EENS6_6detail15normal_iteratorINS6_10device_ptrIlEEEESO_PmS8_NS6_8equal_toIlEEEE10hipError_tPvRmT2_T3_mT4_T5_T6_T7_T8_P12ihipStream_tbENKUlT_T0_E_clISt17integral_constantIbLb0EES19_EEDaS14_S15_EUlS14_E_NS1_11comp_targetILNS1_3genE0ELNS1_11target_archE4294967295ELNS1_3gpuE0ELNS1_3repE0EEENS1_30default_config_static_selectorELNS0_4arch9wavefront6targetE1EEEvT1_
	.globl	_ZN7rocprim17ROCPRIM_400000_NS6detail17trampoline_kernelINS0_14default_configENS1_29reduce_by_key_config_selectorIllN6thrust23THRUST_200600_302600_NS4plusIlEEEEZZNS1_33reduce_by_key_impl_wrapped_configILNS1_25lookback_scan_determinismE0ES3_S9_NS6_18transform_iteratorI6div_opNS6_17counting_iteratorIlNS6_11use_defaultESF_SF_EESF_SF_EENSC_I6mod_opSG_SF_SF_EENS6_6detail15normal_iteratorINS6_10device_ptrIlEEEESO_PmS8_NS6_8equal_toIlEEEE10hipError_tPvRmT2_T3_mT4_T5_T6_T7_T8_P12ihipStream_tbENKUlT_T0_E_clISt17integral_constantIbLb0EES19_EEDaS14_S15_EUlS14_E_NS1_11comp_targetILNS1_3genE0ELNS1_11target_archE4294967295ELNS1_3gpuE0ELNS1_3repE0EEENS1_30default_config_static_selectorELNS0_4arch9wavefront6targetE1EEEvT1_
	.p2align	8
	.type	_ZN7rocprim17ROCPRIM_400000_NS6detail17trampoline_kernelINS0_14default_configENS1_29reduce_by_key_config_selectorIllN6thrust23THRUST_200600_302600_NS4plusIlEEEEZZNS1_33reduce_by_key_impl_wrapped_configILNS1_25lookback_scan_determinismE0ES3_S9_NS6_18transform_iteratorI6div_opNS6_17counting_iteratorIlNS6_11use_defaultESF_SF_EESF_SF_EENSC_I6mod_opSG_SF_SF_EENS6_6detail15normal_iteratorINS6_10device_ptrIlEEEESO_PmS8_NS6_8equal_toIlEEEE10hipError_tPvRmT2_T3_mT4_T5_T6_T7_T8_P12ihipStream_tbENKUlT_T0_E_clISt17integral_constantIbLb0EES19_EEDaS14_S15_EUlS14_E_NS1_11comp_targetILNS1_3genE0ELNS1_11target_archE4294967295ELNS1_3gpuE0ELNS1_3repE0EEENS1_30default_config_static_selectorELNS0_4arch9wavefront6targetE1EEEvT1_,@function
_ZN7rocprim17ROCPRIM_400000_NS6detail17trampoline_kernelINS0_14default_configENS1_29reduce_by_key_config_selectorIllN6thrust23THRUST_200600_302600_NS4plusIlEEEEZZNS1_33reduce_by_key_impl_wrapped_configILNS1_25lookback_scan_determinismE0ES3_S9_NS6_18transform_iteratorI6div_opNS6_17counting_iteratorIlNS6_11use_defaultESF_SF_EESF_SF_EENSC_I6mod_opSG_SF_SF_EENS6_6detail15normal_iteratorINS6_10device_ptrIlEEEESO_PmS8_NS6_8equal_toIlEEEE10hipError_tPvRmT2_T3_mT4_T5_T6_T7_T8_P12ihipStream_tbENKUlT_T0_E_clISt17integral_constantIbLb0EES19_EEDaS14_S15_EUlS14_E_NS1_11comp_targetILNS1_3genE0ELNS1_11target_archE4294967295ELNS1_3gpuE0ELNS1_3repE0EEENS1_30default_config_static_selectorELNS0_4arch9wavefront6targetE1EEEvT1_: ; @_ZN7rocprim17ROCPRIM_400000_NS6detail17trampoline_kernelINS0_14default_configENS1_29reduce_by_key_config_selectorIllN6thrust23THRUST_200600_302600_NS4plusIlEEEEZZNS1_33reduce_by_key_impl_wrapped_configILNS1_25lookback_scan_determinismE0ES3_S9_NS6_18transform_iteratorI6div_opNS6_17counting_iteratorIlNS6_11use_defaultESF_SF_EESF_SF_EENSC_I6mod_opSG_SF_SF_EENS6_6detail15normal_iteratorINS6_10device_ptrIlEEEESO_PmS8_NS6_8equal_toIlEEEE10hipError_tPvRmT2_T3_mT4_T5_T6_T7_T8_P12ihipStream_tbENKUlT_T0_E_clISt17integral_constantIbLb0EES19_EEDaS14_S15_EUlS14_E_NS1_11comp_targetILNS1_3genE0ELNS1_11target_archE4294967295ELNS1_3gpuE0ELNS1_3repE0EEENS1_30default_config_static_selectorELNS0_4arch9wavefront6targetE1EEEvT1_
; %bb.0:
	.section	.rodata,"a",@progbits
	.p2align	6, 0x0
	.amdhsa_kernel _ZN7rocprim17ROCPRIM_400000_NS6detail17trampoline_kernelINS0_14default_configENS1_29reduce_by_key_config_selectorIllN6thrust23THRUST_200600_302600_NS4plusIlEEEEZZNS1_33reduce_by_key_impl_wrapped_configILNS1_25lookback_scan_determinismE0ES3_S9_NS6_18transform_iteratorI6div_opNS6_17counting_iteratorIlNS6_11use_defaultESF_SF_EESF_SF_EENSC_I6mod_opSG_SF_SF_EENS6_6detail15normal_iteratorINS6_10device_ptrIlEEEESO_PmS8_NS6_8equal_toIlEEEE10hipError_tPvRmT2_T3_mT4_T5_T6_T7_T8_P12ihipStream_tbENKUlT_T0_E_clISt17integral_constantIbLb0EES19_EEDaS14_S15_EUlS14_E_NS1_11comp_targetILNS1_3genE0ELNS1_11target_archE4294967295ELNS1_3gpuE0ELNS1_3repE0EEENS1_30default_config_static_selectorELNS0_4arch9wavefront6targetE1EEEvT1_
		.amdhsa_group_segment_fixed_size 0
		.amdhsa_private_segment_fixed_size 0
		.amdhsa_kernarg_size 152
		.amdhsa_user_sgpr_count 6
		.amdhsa_user_sgpr_private_segment_buffer 1
		.amdhsa_user_sgpr_dispatch_ptr 0
		.amdhsa_user_sgpr_queue_ptr 0
		.amdhsa_user_sgpr_kernarg_segment_ptr 1
		.amdhsa_user_sgpr_dispatch_id 0
		.amdhsa_user_sgpr_flat_scratch_init 0
		.amdhsa_user_sgpr_kernarg_preload_length 0
		.amdhsa_user_sgpr_kernarg_preload_offset 0
		.amdhsa_user_sgpr_private_segment_size 0
		.amdhsa_uses_dynamic_stack 0
		.amdhsa_system_sgpr_private_segment_wavefront_offset 0
		.amdhsa_system_sgpr_workgroup_id_x 1
		.amdhsa_system_sgpr_workgroup_id_y 0
		.amdhsa_system_sgpr_workgroup_id_z 0
		.amdhsa_system_sgpr_workgroup_info 0
		.amdhsa_system_vgpr_workitem_id 0
		.amdhsa_next_free_vgpr 1
		.amdhsa_next_free_sgpr 0
		.amdhsa_accum_offset 4
		.amdhsa_reserve_vcc 0
		.amdhsa_reserve_flat_scratch 0
		.amdhsa_float_round_mode_32 0
		.amdhsa_float_round_mode_16_64 0
		.amdhsa_float_denorm_mode_32 3
		.amdhsa_float_denorm_mode_16_64 3
		.amdhsa_dx10_clamp 1
		.amdhsa_ieee_mode 1
		.amdhsa_fp16_overflow 0
		.amdhsa_tg_split 0
		.amdhsa_exception_fp_ieee_invalid_op 0
		.amdhsa_exception_fp_denorm_src 0
		.amdhsa_exception_fp_ieee_div_zero 0
		.amdhsa_exception_fp_ieee_overflow 0
		.amdhsa_exception_fp_ieee_underflow 0
		.amdhsa_exception_fp_ieee_inexact 0
		.amdhsa_exception_int_div_zero 0
	.end_amdhsa_kernel
	.section	.text._ZN7rocprim17ROCPRIM_400000_NS6detail17trampoline_kernelINS0_14default_configENS1_29reduce_by_key_config_selectorIllN6thrust23THRUST_200600_302600_NS4plusIlEEEEZZNS1_33reduce_by_key_impl_wrapped_configILNS1_25lookback_scan_determinismE0ES3_S9_NS6_18transform_iteratorI6div_opNS6_17counting_iteratorIlNS6_11use_defaultESF_SF_EESF_SF_EENSC_I6mod_opSG_SF_SF_EENS6_6detail15normal_iteratorINS6_10device_ptrIlEEEESO_PmS8_NS6_8equal_toIlEEEE10hipError_tPvRmT2_T3_mT4_T5_T6_T7_T8_P12ihipStream_tbENKUlT_T0_E_clISt17integral_constantIbLb0EES19_EEDaS14_S15_EUlS14_E_NS1_11comp_targetILNS1_3genE0ELNS1_11target_archE4294967295ELNS1_3gpuE0ELNS1_3repE0EEENS1_30default_config_static_selectorELNS0_4arch9wavefront6targetE1EEEvT1_,"axG",@progbits,_ZN7rocprim17ROCPRIM_400000_NS6detail17trampoline_kernelINS0_14default_configENS1_29reduce_by_key_config_selectorIllN6thrust23THRUST_200600_302600_NS4plusIlEEEEZZNS1_33reduce_by_key_impl_wrapped_configILNS1_25lookback_scan_determinismE0ES3_S9_NS6_18transform_iteratorI6div_opNS6_17counting_iteratorIlNS6_11use_defaultESF_SF_EESF_SF_EENSC_I6mod_opSG_SF_SF_EENS6_6detail15normal_iteratorINS6_10device_ptrIlEEEESO_PmS8_NS6_8equal_toIlEEEE10hipError_tPvRmT2_T3_mT4_T5_T6_T7_T8_P12ihipStream_tbENKUlT_T0_E_clISt17integral_constantIbLb0EES19_EEDaS14_S15_EUlS14_E_NS1_11comp_targetILNS1_3genE0ELNS1_11target_archE4294967295ELNS1_3gpuE0ELNS1_3repE0EEENS1_30default_config_static_selectorELNS0_4arch9wavefront6targetE1EEEvT1_,comdat
.Lfunc_end1132:
	.size	_ZN7rocprim17ROCPRIM_400000_NS6detail17trampoline_kernelINS0_14default_configENS1_29reduce_by_key_config_selectorIllN6thrust23THRUST_200600_302600_NS4plusIlEEEEZZNS1_33reduce_by_key_impl_wrapped_configILNS1_25lookback_scan_determinismE0ES3_S9_NS6_18transform_iteratorI6div_opNS6_17counting_iteratorIlNS6_11use_defaultESF_SF_EESF_SF_EENSC_I6mod_opSG_SF_SF_EENS6_6detail15normal_iteratorINS6_10device_ptrIlEEEESO_PmS8_NS6_8equal_toIlEEEE10hipError_tPvRmT2_T3_mT4_T5_T6_T7_T8_P12ihipStream_tbENKUlT_T0_E_clISt17integral_constantIbLb0EES19_EEDaS14_S15_EUlS14_E_NS1_11comp_targetILNS1_3genE0ELNS1_11target_archE4294967295ELNS1_3gpuE0ELNS1_3repE0EEENS1_30default_config_static_selectorELNS0_4arch9wavefront6targetE1EEEvT1_, .Lfunc_end1132-_ZN7rocprim17ROCPRIM_400000_NS6detail17trampoline_kernelINS0_14default_configENS1_29reduce_by_key_config_selectorIllN6thrust23THRUST_200600_302600_NS4plusIlEEEEZZNS1_33reduce_by_key_impl_wrapped_configILNS1_25lookback_scan_determinismE0ES3_S9_NS6_18transform_iteratorI6div_opNS6_17counting_iteratorIlNS6_11use_defaultESF_SF_EESF_SF_EENSC_I6mod_opSG_SF_SF_EENS6_6detail15normal_iteratorINS6_10device_ptrIlEEEESO_PmS8_NS6_8equal_toIlEEEE10hipError_tPvRmT2_T3_mT4_T5_T6_T7_T8_P12ihipStream_tbENKUlT_T0_E_clISt17integral_constantIbLb0EES19_EEDaS14_S15_EUlS14_E_NS1_11comp_targetILNS1_3genE0ELNS1_11target_archE4294967295ELNS1_3gpuE0ELNS1_3repE0EEENS1_30default_config_static_selectorELNS0_4arch9wavefront6targetE1EEEvT1_
                                        ; -- End function
	.section	.AMDGPU.csdata,"",@progbits
; Kernel info:
; codeLenInByte = 0
; NumSgprs: 4
; NumVgprs: 0
; NumAgprs: 0
; TotalNumVgprs: 0
; ScratchSize: 0
; MemoryBound: 0
; FloatMode: 240
; IeeeMode: 1
; LDSByteSize: 0 bytes/workgroup (compile time only)
; SGPRBlocks: 0
; VGPRBlocks: 0
; NumSGPRsForWavesPerEU: 4
; NumVGPRsForWavesPerEU: 1
; AccumOffset: 4
; Occupancy: 8
; WaveLimiterHint : 0
; COMPUTE_PGM_RSRC2:SCRATCH_EN: 0
; COMPUTE_PGM_RSRC2:USER_SGPR: 6
; COMPUTE_PGM_RSRC2:TRAP_HANDLER: 0
; COMPUTE_PGM_RSRC2:TGID_X_EN: 1
; COMPUTE_PGM_RSRC2:TGID_Y_EN: 0
; COMPUTE_PGM_RSRC2:TGID_Z_EN: 0
; COMPUTE_PGM_RSRC2:TIDIG_COMP_CNT: 0
; COMPUTE_PGM_RSRC3_GFX90A:ACCUM_OFFSET: 0
; COMPUTE_PGM_RSRC3_GFX90A:TG_SPLIT: 0
	.section	.text._ZN7rocprim17ROCPRIM_400000_NS6detail17trampoline_kernelINS0_14default_configENS1_29reduce_by_key_config_selectorIllN6thrust23THRUST_200600_302600_NS4plusIlEEEEZZNS1_33reduce_by_key_impl_wrapped_configILNS1_25lookback_scan_determinismE0ES3_S9_NS6_18transform_iteratorI6div_opNS6_17counting_iteratorIlNS6_11use_defaultESF_SF_EESF_SF_EENSC_I6mod_opSG_SF_SF_EENS6_6detail15normal_iteratorINS6_10device_ptrIlEEEESO_PmS8_NS6_8equal_toIlEEEE10hipError_tPvRmT2_T3_mT4_T5_T6_T7_T8_P12ihipStream_tbENKUlT_T0_E_clISt17integral_constantIbLb0EES19_EEDaS14_S15_EUlS14_E_NS1_11comp_targetILNS1_3genE5ELNS1_11target_archE942ELNS1_3gpuE9ELNS1_3repE0EEENS1_30default_config_static_selectorELNS0_4arch9wavefront6targetE1EEEvT1_,"axG",@progbits,_ZN7rocprim17ROCPRIM_400000_NS6detail17trampoline_kernelINS0_14default_configENS1_29reduce_by_key_config_selectorIllN6thrust23THRUST_200600_302600_NS4plusIlEEEEZZNS1_33reduce_by_key_impl_wrapped_configILNS1_25lookback_scan_determinismE0ES3_S9_NS6_18transform_iteratorI6div_opNS6_17counting_iteratorIlNS6_11use_defaultESF_SF_EESF_SF_EENSC_I6mod_opSG_SF_SF_EENS6_6detail15normal_iteratorINS6_10device_ptrIlEEEESO_PmS8_NS6_8equal_toIlEEEE10hipError_tPvRmT2_T3_mT4_T5_T6_T7_T8_P12ihipStream_tbENKUlT_T0_E_clISt17integral_constantIbLb0EES19_EEDaS14_S15_EUlS14_E_NS1_11comp_targetILNS1_3genE5ELNS1_11target_archE942ELNS1_3gpuE9ELNS1_3repE0EEENS1_30default_config_static_selectorELNS0_4arch9wavefront6targetE1EEEvT1_,comdat
	.protected	_ZN7rocprim17ROCPRIM_400000_NS6detail17trampoline_kernelINS0_14default_configENS1_29reduce_by_key_config_selectorIllN6thrust23THRUST_200600_302600_NS4plusIlEEEEZZNS1_33reduce_by_key_impl_wrapped_configILNS1_25lookback_scan_determinismE0ES3_S9_NS6_18transform_iteratorI6div_opNS6_17counting_iteratorIlNS6_11use_defaultESF_SF_EESF_SF_EENSC_I6mod_opSG_SF_SF_EENS6_6detail15normal_iteratorINS6_10device_ptrIlEEEESO_PmS8_NS6_8equal_toIlEEEE10hipError_tPvRmT2_T3_mT4_T5_T6_T7_T8_P12ihipStream_tbENKUlT_T0_E_clISt17integral_constantIbLb0EES19_EEDaS14_S15_EUlS14_E_NS1_11comp_targetILNS1_3genE5ELNS1_11target_archE942ELNS1_3gpuE9ELNS1_3repE0EEENS1_30default_config_static_selectorELNS0_4arch9wavefront6targetE1EEEvT1_ ; -- Begin function _ZN7rocprim17ROCPRIM_400000_NS6detail17trampoline_kernelINS0_14default_configENS1_29reduce_by_key_config_selectorIllN6thrust23THRUST_200600_302600_NS4plusIlEEEEZZNS1_33reduce_by_key_impl_wrapped_configILNS1_25lookback_scan_determinismE0ES3_S9_NS6_18transform_iteratorI6div_opNS6_17counting_iteratorIlNS6_11use_defaultESF_SF_EESF_SF_EENSC_I6mod_opSG_SF_SF_EENS6_6detail15normal_iteratorINS6_10device_ptrIlEEEESO_PmS8_NS6_8equal_toIlEEEE10hipError_tPvRmT2_T3_mT4_T5_T6_T7_T8_P12ihipStream_tbENKUlT_T0_E_clISt17integral_constantIbLb0EES19_EEDaS14_S15_EUlS14_E_NS1_11comp_targetILNS1_3genE5ELNS1_11target_archE942ELNS1_3gpuE9ELNS1_3repE0EEENS1_30default_config_static_selectorELNS0_4arch9wavefront6targetE1EEEvT1_
	.globl	_ZN7rocprim17ROCPRIM_400000_NS6detail17trampoline_kernelINS0_14default_configENS1_29reduce_by_key_config_selectorIllN6thrust23THRUST_200600_302600_NS4plusIlEEEEZZNS1_33reduce_by_key_impl_wrapped_configILNS1_25lookback_scan_determinismE0ES3_S9_NS6_18transform_iteratorI6div_opNS6_17counting_iteratorIlNS6_11use_defaultESF_SF_EESF_SF_EENSC_I6mod_opSG_SF_SF_EENS6_6detail15normal_iteratorINS6_10device_ptrIlEEEESO_PmS8_NS6_8equal_toIlEEEE10hipError_tPvRmT2_T3_mT4_T5_T6_T7_T8_P12ihipStream_tbENKUlT_T0_E_clISt17integral_constantIbLb0EES19_EEDaS14_S15_EUlS14_E_NS1_11comp_targetILNS1_3genE5ELNS1_11target_archE942ELNS1_3gpuE9ELNS1_3repE0EEENS1_30default_config_static_selectorELNS0_4arch9wavefront6targetE1EEEvT1_
	.p2align	8
	.type	_ZN7rocprim17ROCPRIM_400000_NS6detail17trampoline_kernelINS0_14default_configENS1_29reduce_by_key_config_selectorIllN6thrust23THRUST_200600_302600_NS4plusIlEEEEZZNS1_33reduce_by_key_impl_wrapped_configILNS1_25lookback_scan_determinismE0ES3_S9_NS6_18transform_iteratorI6div_opNS6_17counting_iteratorIlNS6_11use_defaultESF_SF_EESF_SF_EENSC_I6mod_opSG_SF_SF_EENS6_6detail15normal_iteratorINS6_10device_ptrIlEEEESO_PmS8_NS6_8equal_toIlEEEE10hipError_tPvRmT2_T3_mT4_T5_T6_T7_T8_P12ihipStream_tbENKUlT_T0_E_clISt17integral_constantIbLb0EES19_EEDaS14_S15_EUlS14_E_NS1_11comp_targetILNS1_3genE5ELNS1_11target_archE942ELNS1_3gpuE9ELNS1_3repE0EEENS1_30default_config_static_selectorELNS0_4arch9wavefront6targetE1EEEvT1_,@function
_ZN7rocprim17ROCPRIM_400000_NS6detail17trampoline_kernelINS0_14default_configENS1_29reduce_by_key_config_selectorIllN6thrust23THRUST_200600_302600_NS4plusIlEEEEZZNS1_33reduce_by_key_impl_wrapped_configILNS1_25lookback_scan_determinismE0ES3_S9_NS6_18transform_iteratorI6div_opNS6_17counting_iteratorIlNS6_11use_defaultESF_SF_EESF_SF_EENSC_I6mod_opSG_SF_SF_EENS6_6detail15normal_iteratorINS6_10device_ptrIlEEEESO_PmS8_NS6_8equal_toIlEEEE10hipError_tPvRmT2_T3_mT4_T5_T6_T7_T8_P12ihipStream_tbENKUlT_T0_E_clISt17integral_constantIbLb0EES19_EEDaS14_S15_EUlS14_E_NS1_11comp_targetILNS1_3genE5ELNS1_11target_archE942ELNS1_3gpuE9ELNS1_3repE0EEENS1_30default_config_static_selectorELNS0_4arch9wavefront6targetE1EEEvT1_: ; @_ZN7rocprim17ROCPRIM_400000_NS6detail17trampoline_kernelINS0_14default_configENS1_29reduce_by_key_config_selectorIllN6thrust23THRUST_200600_302600_NS4plusIlEEEEZZNS1_33reduce_by_key_impl_wrapped_configILNS1_25lookback_scan_determinismE0ES3_S9_NS6_18transform_iteratorI6div_opNS6_17counting_iteratorIlNS6_11use_defaultESF_SF_EESF_SF_EENSC_I6mod_opSG_SF_SF_EENS6_6detail15normal_iteratorINS6_10device_ptrIlEEEESO_PmS8_NS6_8equal_toIlEEEE10hipError_tPvRmT2_T3_mT4_T5_T6_T7_T8_P12ihipStream_tbENKUlT_T0_E_clISt17integral_constantIbLb0EES19_EEDaS14_S15_EUlS14_E_NS1_11comp_targetILNS1_3genE5ELNS1_11target_archE942ELNS1_3gpuE9ELNS1_3repE0EEENS1_30default_config_static_selectorELNS0_4arch9wavefront6targetE1EEEvT1_
; %bb.0:
	.section	.rodata,"a",@progbits
	.p2align	6, 0x0
	.amdhsa_kernel _ZN7rocprim17ROCPRIM_400000_NS6detail17trampoline_kernelINS0_14default_configENS1_29reduce_by_key_config_selectorIllN6thrust23THRUST_200600_302600_NS4plusIlEEEEZZNS1_33reduce_by_key_impl_wrapped_configILNS1_25lookback_scan_determinismE0ES3_S9_NS6_18transform_iteratorI6div_opNS6_17counting_iteratorIlNS6_11use_defaultESF_SF_EESF_SF_EENSC_I6mod_opSG_SF_SF_EENS6_6detail15normal_iteratorINS6_10device_ptrIlEEEESO_PmS8_NS6_8equal_toIlEEEE10hipError_tPvRmT2_T3_mT4_T5_T6_T7_T8_P12ihipStream_tbENKUlT_T0_E_clISt17integral_constantIbLb0EES19_EEDaS14_S15_EUlS14_E_NS1_11comp_targetILNS1_3genE5ELNS1_11target_archE942ELNS1_3gpuE9ELNS1_3repE0EEENS1_30default_config_static_selectorELNS0_4arch9wavefront6targetE1EEEvT1_
		.amdhsa_group_segment_fixed_size 0
		.amdhsa_private_segment_fixed_size 0
		.amdhsa_kernarg_size 152
		.amdhsa_user_sgpr_count 6
		.amdhsa_user_sgpr_private_segment_buffer 1
		.amdhsa_user_sgpr_dispatch_ptr 0
		.amdhsa_user_sgpr_queue_ptr 0
		.amdhsa_user_sgpr_kernarg_segment_ptr 1
		.amdhsa_user_sgpr_dispatch_id 0
		.amdhsa_user_sgpr_flat_scratch_init 0
		.amdhsa_user_sgpr_kernarg_preload_length 0
		.amdhsa_user_sgpr_kernarg_preload_offset 0
		.amdhsa_user_sgpr_private_segment_size 0
		.amdhsa_uses_dynamic_stack 0
		.amdhsa_system_sgpr_private_segment_wavefront_offset 0
		.amdhsa_system_sgpr_workgroup_id_x 1
		.amdhsa_system_sgpr_workgroup_id_y 0
		.amdhsa_system_sgpr_workgroup_id_z 0
		.amdhsa_system_sgpr_workgroup_info 0
		.amdhsa_system_vgpr_workitem_id 0
		.amdhsa_next_free_vgpr 1
		.amdhsa_next_free_sgpr 0
		.amdhsa_accum_offset 4
		.amdhsa_reserve_vcc 0
		.amdhsa_reserve_flat_scratch 0
		.amdhsa_float_round_mode_32 0
		.amdhsa_float_round_mode_16_64 0
		.amdhsa_float_denorm_mode_32 3
		.amdhsa_float_denorm_mode_16_64 3
		.amdhsa_dx10_clamp 1
		.amdhsa_ieee_mode 1
		.amdhsa_fp16_overflow 0
		.amdhsa_tg_split 0
		.amdhsa_exception_fp_ieee_invalid_op 0
		.amdhsa_exception_fp_denorm_src 0
		.amdhsa_exception_fp_ieee_div_zero 0
		.amdhsa_exception_fp_ieee_overflow 0
		.amdhsa_exception_fp_ieee_underflow 0
		.amdhsa_exception_fp_ieee_inexact 0
		.amdhsa_exception_int_div_zero 0
	.end_amdhsa_kernel
	.section	.text._ZN7rocprim17ROCPRIM_400000_NS6detail17trampoline_kernelINS0_14default_configENS1_29reduce_by_key_config_selectorIllN6thrust23THRUST_200600_302600_NS4plusIlEEEEZZNS1_33reduce_by_key_impl_wrapped_configILNS1_25lookback_scan_determinismE0ES3_S9_NS6_18transform_iteratorI6div_opNS6_17counting_iteratorIlNS6_11use_defaultESF_SF_EESF_SF_EENSC_I6mod_opSG_SF_SF_EENS6_6detail15normal_iteratorINS6_10device_ptrIlEEEESO_PmS8_NS6_8equal_toIlEEEE10hipError_tPvRmT2_T3_mT4_T5_T6_T7_T8_P12ihipStream_tbENKUlT_T0_E_clISt17integral_constantIbLb0EES19_EEDaS14_S15_EUlS14_E_NS1_11comp_targetILNS1_3genE5ELNS1_11target_archE942ELNS1_3gpuE9ELNS1_3repE0EEENS1_30default_config_static_selectorELNS0_4arch9wavefront6targetE1EEEvT1_,"axG",@progbits,_ZN7rocprim17ROCPRIM_400000_NS6detail17trampoline_kernelINS0_14default_configENS1_29reduce_by_key_config_selectorIllN6thrust23THRUST_200600_302600_NS4plusIlEEEEZZNS1_33reduce_by_key_impl_wrapped_configILNS1_25lookback_scan_determinismE0ES3_S9_NS6_18transform_iteratorI6div_opNS6_17counting_iteratorIlNS6_11use_defaultESF_SF_EESF_SF_EENSC_I6mod_opSG_SF_SF_EENS6_6detail15normal_iteratorINS6_10device_ptrIlEEEESO_PmS8_NS6_8equal_toIlEEEE10hipError_tPvRmT2_T3_mT4_T5_T6_T7_T8_P12ihipStream_tbENKUlT_T0_E_clISt17integral_constantIbLb0EES19_EEDaS14_S15_EUlS14_E_NS1_11comp_targetILNS1_3genE5ELNS1_11target_archE942ELNS1_3gpuE9ELNS1_3repE0EEENS1_30default_config_static_selectorELNS0_4arch9wavefront6targetE1EEEvT1_,comdat
.Lfunc_end1133:
	.size	_ZN7rocprim17ROCPRIM_400000_NS6detail17trampoline_kernelINS0_14default_configENS1_29reduce_by_key_config_selectorIllN6thrust23THRUST_200600_302600_NS4plusIlEEEEZZNS1_33reduce_by_key_impl_wrapped_configILNS1_25lookback_scan_determinismE0ES3_S9_NS6_18transform_iteratorI6div_opNS6_17counting_iteratorIlNS6_11use_defaultESF_SF_EESF_SF_EENSC_I6mod_opSG_SF_SF_EENS6_6detail15normal_iteratorINS6_10device_ptrIlEEEESO_PmS8_NS6_8equal_toIlEEEE10hipError_tPvRmT2_T3_mT4_T5_T6_T7_T8_P12ihipStream_tbENKUlT_T0_E_clISt17integral_constantIbLb0EES19_EEDaS14_S15_EUlS14_E_NS1_11comp_targetILNS1_3genE5ELNS1_11target_archE942ELNS1_3gpuE9ELNS1_3repE0EEENS1_30default_config_static_selectorELNS0_4arch9wavefront6targetE1EEEvT1_, .Lfunc_end1133-_ZN7rocprim17ROCPRIM_400000_NS6detail17trampoline_kernelINS0_14default_configENS1_29reduce_by_key_config_selectorIllN6thrust23THRUST_200600_302600_NS4plusIlEEEEZZNS1_33reduce_by_key_impl_wrapped_configILNS1_25lookback_scan_determinismE0ES3_S9_NS6_18transform_iteratorI6div_opNS6_17counting_iteratorIlNS6_11use_defaultESF_SF_EESF_SF_EENSC_I6mod_opSG_SF_SF_EENS6_6detail15normal_iteratorINS6_10device_ptrIlEEEESO_PmS8_NS6_8equal_toIlEEEE10hipError_tPvRmT2_T3_mT4_T5_T6_T7_T8_P12ihipStream_tbENKUlT_T0_E_clISt17integral_constantIbLb0EES19_EEDaS14_S15_EUlS14_E_NS1_11comp_targetILNS1_3genE5ELNS1_11target_archE942ELNS1_3gpuE9ELNS1_3repE0EEENS1_30default_config_static_selectorELNS0_4arch9wavefront6targetE1EEEvT1_
                                        ; -- End function
	.section	.AMDGPU.csdata,"",@progbits
; Kernel info:
; codeLenInByte = 0
; NumSgprs: 4
; NumVgprs: 0
; NumAgprs: 0
; TotalNumVgprs: 0
; ScratchSize: 0
; MemoryBound: 0
; FloatMode: 240
; IeeeMode: 1
; LDSByteSize: 0 bytes/workgroup (compile time only)
; SGPRBlocks: 0
; VGPRBlocks: 0
; NumSGPRsForWavesPerEU: 4
; NumVGPRsForWavesPerEU: 1
; AccumOffset: 4
; Occupancy: 8
; WaveLimiterHint : 0
; COMPUTE_PGM_RSRC2:SCRATCH_EN: 0
; COMPUTE_PGM_RSRC2:USER_SGPR: 6
; COMPUTE_PGM_RSRC2:TRAP_HANDLER: 0
; COMPUTE_PGM_RSRC2:TGID_X_EN: 1
; COMPUTE_PGM_RSRC2:TGID_Y_EN: 0
; COMPUTE_PGM_RSRC2:TGID_Z_EN: 0
; COMPUTE_PGM_RSRC2:TIDIG_COMP_CNT: 0
; COMPUTE_PGM_RSRC3_GFX90A:ACCUM_OFFSET: 0
; COMPUTE_PGM_RSRC3_GFX90A:TG_SPLIT: 0
	.section	.text._ZN7rocprim17ROCPRIM_400000_NS6detail17trampoline_kernelINS0_14default_configENS1_29reduce_by_key_config_selectorIllN6thrust23THRUST_200600_302600_NS4plusIlEEEEZZNS1_33reduce_by_key_impl_wrapped_configILNS1_25lookback_scan_determinismE0ES3_S9_NS6_18transform_iteratorI6div_opNS6_17counting_iteratorIlNS6_11use_defaultESF_SF_EESF_SF_EENSC_I6mod_opSG_SF_SF_EENS6_6detail15normal_iteratorINS6_10device_ptrIlEEEESO_PmS8_NS6_8equal_toIlEEEE10hipError_tPvRmT2_T3_mT4_T5_T6_T7_T8_P12ihipStream_tbENKUlT_T0_E_clISt17integral_constantIbLb0EES19_EEDaS14_S15_EUlS14_E_NS1_11comp_targetILNS1_3genE4ELNS1_11target_archE910ELNS1_3gpuE8ELNS1_3repE0EEENS1_30default_config_static_selectorELNS0_4arch9wavefront6targetE1EEEvT1_,"axG",@progbits,_ZN7rocprim17ROCPRIM_400000_NS6detail17trampoline_kernelINS0_14default_configENS1_29reduce_by_key_config_selectorIllN6thrust23THRUST_200600_302600_NS4plusIlEEEEZZNS1_33reduce_by_key_impl_wrapped_configILNS1_25lookback_scan_determinismE0ES3_S9_NS6_18transform_iteratorI6div_opNS6_17counting_iteratorIlNS6_11use_defaultESF_SF_EESF_SF_EENSC_I6mod_opSG_SF_SF_EENS6_6detail15normal_iteratorINS6_10device_ptrIlEEEESO_PmS8_NS6_8equal_toIlEEEE10hipError_tPvRmT2_T3_mT4_T5_T6_T7_T8_P12ihipStream_tbENKUlT_T0_E_clISt17integral_constantIbLb0EES19_EEDaS14_S15_EUlS14_E_NS1_11comp_targetILNS1_3genE4ELNS1_11target_archE910ELNS1_3gpuE8ELNS1_3repE0EEENS1_30default_config_static_selectorELNS0_4arch9wavefront6targetE1EEEvT1_,comdat
	.protected	_ZN7rocprim17ROCPRIM_400000_NS6detail17trampoline_kernelINS0_14default_configENS1_29reduce_by_key_config_selectorIllN6thrust23THRUST_200600_302600_NS4plusIlEEEEZZNS1_33reduce_by_key_impl_wrapped_configILNS1_25lookback_scan_determinismE0ES3_S9_NS6_18transform_iteratorI6div_opNS6_17counting_iteratorIlNS6_11use_defaultESF_SF_EESF_SF_EENSC_I6mod_opSG_SF_SF_EENS6_6detail15normal_iteratorINS6_10device_ptrIlEEEESO_PmS8_NS6_8equal_toIlEEEE10hipError_tPvRmT2_T3_mT4_T5_T6_T7_T8_P12ihipStream_tbENKUlT_T0_E_clISt17integral_constantIbLb0EES19_EEDaS14_S15_EUlS14_E_NS1_11comp_targetILNS1_3genE4ELNS1_11target_archE910ELNS1_3gpuE8ELNS1_3repE0EEENS1_30default_config_static_selectorELNS0_4arch9wavefront6targetE1EEEvT1_ ; -- Begin function _ZN7rocprim17ROCPRIM_400000_NS6detail17trampoline_kernelINS0_14default_configENS1_29reduce_by_key_config_selectorIllN6thrust23THRUST_200600_302600_NS4plusIlEEEEZZNS1_33reduce_by_key_impl_wrapped_configILNS1_25lookback_scan_determinismE0ES3_S9_NS6_18transform_iteratorI6div_opNS6_17counting_iteratorIlNS6_11use_defaultESF_SF_EESF_SF_EENSC_I6mod_opSG_SF_SF_EENS6_6detail15normal_iteratorINS6_10device_ptrIlEEEESO_PmS8_NS6_8equal_toIlEEEE10hipError_tPvRmT2_T3_mT4_T5_T6_T7_T8_P12ihipStream_tbENKUlT_T0_E_clISt17integral_constantIbLb0EES19_EEDaS14_S15_EUlS14_E_NS1_11comp_targetILNS1_3genE4ELNS1_11target_archE910ELNS1_3gpuE8ELNS1_3repE0EEENS1_30default_config_static_selectorELNS0_4arch9wavefront6targetE1EEEvT1_
	.globl	_ZN7rocprim17ROCPRIM_400000_NS6detail17trampoline_kernelINS0_14default_configENS1_29reduce_by_key_config_selectorIllN6thrust23THRUST_200600_302600_NS4plusIlEEEEZZNS1_33reduce_by_key_impl_wrapped_configILNS1_25lookback_scan_determinismE0ES3_S9_NS6_18transform_iteratorI6div_opNS6_17counting_iteratorIlNS6_11use_defaultESF_SF_EESF_SF_EENSC_I6mod_opSG_SF_SF_EENS6_6detail15normal_iteratorINS6_10device_ptrIlEEEESO_PmS8_NS6_8equal_toIlEEEE10hipError_tPvRmT2_T3_mT4_T5_T6_T7_T8_P12ihipStream_tbENKUlT_T0_E_clISt17integral_constantIbLb0EES19_EEDaS14_S15_EUlS14_E_NS1_11comp_targetILNS1_3genE4ELNS1_11target_archE910ELNS1_3gpuE8ELNS1_3repE0EEENS1_30default_config_static_selectorELNS0_4arch9wavefront6targetE1EEEvT1_
	.p2align	8
	.type	_ZN7rocprim17ROCPRIM_400000_NS6detail17trampoline_kernelINS0_14default_configENS1_29reduce_by_key_config_selectorIllN6thrust23THRUST_200600_302600_NS4plusIlEEEEZZNS1_33reduce_by_key_impl_wrapped_configILNS1_25lookback_scan_determinismE0ES3_S9_NS6_18transform_iteratorI6div_opNS6_17counting_iteratorIlNS6_11use_defaultESF_SF_EESF_SF_EENSC_I6mod_opSG_SF_SF_EENS6_6detail15normal_iteratorINS6_10device_ptrIlEEEESO_PmS8_NS6_8equal_toIlEEEE10hipError_tPvRmT2_T3_mT4_T5_T6_T7_T8_P12ihipStream_tbENKUlT_T0_E_clISt17integral_constantIbLb0EES19_EEDaS14_S15_EUlS14_E_NS1_11comp_targetILNS1_3genE4ELNS1_11target_archE910ELNS1_3gpuE8ELNS1_3repE0EEENS1_30default_config_static_selectorELNS0_4arch9wavefront6targetE1EEEvT1_,@function
_ZN7rocprim17ROCPRIM_400000_NS6detail17trampoline_kernelINS0_14default_configENS1_29reduce_by_key_config_selectorIllN6thrust23THRUST_200600_302600_NS4plusIlEEEEZZNS1_33reduce_by_key_impl_wrapped_configILNS1_25lookback_scan_determinismE0ES3_S9_NS6_18transform_iteratorI6div_opNS6_17counting_iteratorIlNS6_11use_defaultESF_SF_EESF_SF_EENSC_I6mod_opSG_SF_SF_EENS6_6detail15normal_iteratorINS6_10device_ptrIlEEEESO_PmS8_NS6_8equal_toIlEEEE10hipError_tPvRmT2_T3_mT4_T5_T6_T7_T8_P12ihipStream_tbENKUlT_T0_E_clISt17integral_constantIbLb0EES19_EEDaS14_S15_EUlS14_E_NS1_11comp_targetILNS1_3genE4ELNS1_11target_archE910ELNS1_3gpuE8ELNS1_3repE0EEENS1_30default_config_static_selectorELNS0_4arch9wavefront6targetE1EEEvT1_: ; @_ZN7rocprim17ROCPRIM_400000_NS6detail17trampoline_kernelINS0_14default_configENS1_29reduce_by_key_config_selectorIllN6thrust23THRUST_200600_302600_NS4plusIlEEEEZZNS1_33reduce_by_key_impl_wrapped_configILNS1_25lookback_scan_determinismE0ES3_S9_NS6_18transform_iteratorI6div_opNS6_17counting_iteratorIlNS6_11use_defaultESF_SF_EESF_SF_EENSC_I6mod_opSG_SF_SF_EENS6_6detail15normal_iteratorINS6_10device_ptrIlEEEESO_PmS8_NS6_8equal_toIlEEEE10hipError_tPvRmT2_T3_mT4_T5_T6_T7_T8_P12ihipStream_tbENKUlT_T0_E_clISt17integral_constantIbLb0EES19_EEDaS14_S15_EUlS14_E_NS1_11comp_targetILNS1_3genE4ELNS1_11target_archE910ELNS1_3gpuE8ELNS1_3repE0EEENS1_30default_config_static_selectorELNS0_4arch9wavefront6targetE1EEEvT1_
; %bb.0:
	s_load_dwordx16 s[52:67], s[4:5], 0x48
	s_load_dwordx16 s[36:51], s[4:5], 0x0
	s_mul_i32 s2, s6, 0xf00
	s_waitcnt lgkmcnt(0)
	s_mul_i32 s0, s60, s59
	s_mul_hi_u32 s1, s60, s58
	s_add_i32 s0, s1, s0
	s_mul_i32 s1, s61, s58
	s_add_i32 s0, s0, s1
	s_add_u32 s2, s40, s2
	s_addc_u32 s3, s41, 0
	s_add_u32 s7, s2, s36
	s_addc_u32 s33, s3, s37
	s_add_u32 s74, s2, s42
	s_mul_i32 s1, s60, s58
	s_addc_u32 s75, s3, s43
	s_add_u32 s40, s1, s6
	s_addc_u32 s41, s0, 0
	s_add_u32 s2, s62, -1
	s_addc_u32 s3, s63, -1
	s_cmp_eq_u64 s[40:41], s[2:3]
	s_cselect_b64 s[36:37], -1, 0
	s_cmp_lg_u64 s[40:41], s[2:3]
	s_mov_b64 s[0:1], -1
	s_cselect_b64 s[42:43], -1, 0
	s_mul_i32 s76, s2, 0xfffff100
	s_and_b64 vcc, exec, s[36:37]
	s_cbranch_vccnz .LBB1134_122
; %bb.1:
	v_mov_b32_e32 v1, s33
	v_add_co_u32_e32 v30, vcc, s7, v0
	v_addc_co_u32_e32 v1, vcc, 0, v1, vcc
	v_mov_b32_e32 v2, 0
	v_or_b32_e32 v3, s39, v1
	v_cmp_ne_u64_e32 vcc, 0, v[2:3]
                                        ; implicit-def: $vgpr2_vgpr3
	s_and_saveexec_b64 s[0:1], vcc
	s_xor_b64 s[2:3], exec, s[0:1]
	s_cbranch_execz .LBB1134_3
; %bb.2:
	s_ashr_i32 s8, s39, 31
	s_add_u32 s0, s38, s8
	s_mov_b32 s9, s8
	s_addc_u32 s1, s39, s8
	s_xor_b64 s[10:11], s[0:1], s[8:9]
	v_cvt_f32_u32_e32 v2, s10
	v_cvt_f32_u32_e32 v3, s11
	s_sub_u32 s0, 0, s10
	s_subb_u32 s1, 0, s11
	v_madmk_f32 v2, v3, 0x4f800000, v2
	v_rcp_f32_e32 v2, v2
	v_mul_f32_e32 v2, 0x5f7ffffc, v2
	v_mul_f32_e32 v3, 0x2f800000, v2
	v_trunc_f32_e32 v3, v3
	v_madmk_f32 v2, v3, 0xcf800000, v2
	v_cvt_u32_f32_e32 v3, v3
	v_cvt_u32_f32_e32 v2, v2
	v_mul_lo_u32 v4, s0, v3
	v_mul_hi_u32 v6, s0, v2
	v_mul_lo_u32 v5, s1, v2
	v_add_u32_e32 v4, v6, v4
	v_mul_lo_u32 v7, s0, v2
	v_add_u32_e32 v4, v4, v5
	v_mul_lo_u32 v6, v2, v4
	v_mul_hi_u32 v8, v2, v7
	v_mul_hi_u32 v5, v2, v4
	v_add_co_u32_e32 v6, vcc, v8, v6
	v_addc_co_u32_e32 v5, vcc, 0, v5, vcc
	v_mul_hi_u32 v9, v3, v7
	v_mul_lo_u32 v7, v3, v7
	v_add_co_u32_e32 v6, vcc, v6, v7
	v_mul_hi_u32 v8, v3, v4
	v_addc_co_u32_e32 v5, vcc, v5, v9, vcc
	v_addc_co_u32_e32 v6, vcc, 0, v8, vcc
	v_mul_lo_u32 v4, v3, v4
	v_add_co_u32_e32 v4, vcc, v5, v4
	v_addc_co_u32_e32 v5, vcc, 0, v6, vcc
	v_add_co_u32_e32 v2, vcc, v2, v4
	v_addc_co_u32_e32 v3, vcc, v3, v5, vcc
	v_mul_lo_u32 v4, s0, v3
	v_mul_hi_u32 v5, s0, v2
	v_add_u32_e32 v4, v5, v4
	v_mul_lo_u32 v5, s1, v2
	v_add_u32_e32 v4, v4, v5
	v_mul_lo_u32 v6, s0, v2
	v_mul_hi_u32 v7, v3, v6
	v_mul_lo_u32 v8, v3, v6
	v_mul_lo_u32 v10, v2, v4
	v_mul_hi_u32 v6, v2, v6
	v_mul_hi_u32 v9, v2, v4
	v_add_co_u32_e32 v6, vcc, v6, v10
	v_addc_co_u32_e32 v9, vcc, 0, v9, vcc
	v_add_co_u32_e32 v6, vcc, v6, v8
	v_mul_hi_u32 v5, v3, v4
	v_addc_co_u32_e32 v6, vcc, v9, v7, vcc
	v_addc_co_u32_e32 v5, vcc, 0, v5, vcc
	v_mul_lo_u32 v4, v3, v4
	v_add_co_u32_e32 v4, vcc, v6, v4
	v_addc_co_u32_e32 v5, vcc, 0, v5, vcc
	v_add_co_u32_e32 v4, vcc, v2, v4
	v_addc_co_u32_e32 v5, vcc, v3, v5, vcc
	v_ashrrev_i32_e32 v6, 31, v1
	v_add_co_u32_e32 v2, vcc, v30, v6
	v_addc_co_u32_e32 v3, vcc, v1, v6, vcc
	v_xor_b32_e32 v8, v2, v6
	v_xor_b32_e32 v7, v3, v6
	v_mad_u64_u32 v[2:3], s[0:1], v8, v5, 0
	v_mul_hi_u32 v9, v8, v4
	v_add_co_u32_e32 v9, vcc, v9, v2
	v_addc_co_u32_e32 v10, vcc, 0, v3, vcc
	v_mad_u64_u32 v[2:3], s[0:1], v7, v5, 0
	v_mad_u64_u32 v[4:5], s[0:1], v7, v4, 0
	v_add_co_u32_e32 v4, vcc, v9, v4
	v_addc_co_u32_e32 v4, vcc, v10, v5, vcc
	v_addc_co_u32_e32 v3, vcc, 0, v3, vcc
	v_add_co_u32_e32 v4, vcc, v4, v2
	v_addc_co_u32_e32 v5, vcc, 0, v3, vcc
	v_mul_lo_u32 v9, s11, v4
	v_mul_lo_u32 v10, s10, v5
	v_mad_u64_u32 v[2:3], s[0:1], s10, v4, 0
	v_add3_u32 v3, v3, v10, v9
	v_sub_u32_e32 v9, v7, v3
	v_mov_b32_e32 v10, s11
	v_sub_co_u32_e32 v2, vcc, v8, v2
	v_subb_co_u32_e64 v8, s[0:1], v9, v10, vcc
	v_subrev_co_u32_e64 v9, s[0:1], s10, v2
	v_subbrev_co_u32_e64 v8, s[0:1], 0, v8, s[0:1]
	v_cmp_le_u32_e64 s[0:1], s11, v8
	v_cndmask_b32_e64 v10, 0, -1, s[0:1]
	v_cmp_le_u32_e64 s[0:1], s10, v9
	v_cndmask_b32_e64 v9, 0, -1, s[0:1]
	v_cmp_eq_u32_e64 s[0:1], s11, v8
	v_cndmask_b32_e64 v8, v10, v9, s[0:1]
	v_add_co_u32_e64 v9, s[0:1], 2, v4
	v_subb_co_u32_e32 v3, vcc, v7, v3, vcc
	v_addc_co_u32_e64 v10, s[0:1], 0, v5, s[0:1]
	v_cmp_le_u32_e32 vcc, s11, v3
	v_add_co_u32_e64 v11, s[0:1], 1, v4
	v_cndmask_b32_e64 v7, 0, -1, vcc
	v_cmp_le_u32_e32 vcc, s10, v2
	v_addc_co_u32_e64 v12, s[0:1], 0, v5, s[0:1]
	v_cndmask_b32_e64 v2, 0, -1, vcc
	v_cmp_eq_u32_e32 vcc, s11, v3
	v_cmp_ne_u32_e64 s[0:1], 0, v8
	v_cndmask_b32_e32 v2, v7, v2, vcc
	v_cndmask_b32_e64 v8, v12, v10, s[0:1]
	v_cmp_ne_u32_e32 vcc, 0, v2
	v_cndmask_b32_e64 v3, v11, v9, s[0:1]
	v_cndmask_b32_e32 v2, v5, v8, vcc
	v_cndmask_b32_e32 v3, v4, v3, vcc
	v_xor_b32_e32 v4, s8, v6
	v_xor_b32_e32 v5, v2, v4
	;; [unrolled: 1-line block ×3, first 2 shown]
	v_sub_co_u32_e32 v2, vcc, v2, v4
	v_subb_co_u32_e32 v3, vcc, v5, v4, vcc
.LBB1134_3:
	s_andn2_saveexec_b64 s[0:1], s[2:3]
	s_cbranch_execz .LBB1134_5
; %bb.4:
	v_cvt_f32_u32_e32 v2, s38
	s_sub_i32 s2, 0, s38
	v_rcp_iflag_f32_e32 v2, v2
	v_mul_f32_e32 v2, 0x4f7ffffe, v2
	v_cvt_u32_f32_e32 v2, v2
	v_mul_lo_u32 v3, s2, v2
	v_mul_hi_u32 v3, v2, v3
	v_add_u32_e32 v2, v2, v3
	v_mul_hi_u32 v2, v30, v2
	v_mul_lo_u32 v3, v2, s38
	v_sub_u32_e32 v3, v30, v3
	v_add_u32_e32 v4, 1, v2
	v_subrev_u32_e32 v5, s38, v3
	v_cmp_le_u32_e32 vcc, s38, v3
	v_cndmask_b32_e32 v3, v3, v5, vcc
	v_cndmask_b32_e32 v2, v2, v4, vcc
	v_add_u32_e32 v4, 1, v2
	v_cmp_le_u32_e32 vcc, s38, v3
	v_cndmask_b32_e32 v2, v2, v4, vcc
	v_mov_b32_e32 v3, 0
.LBB1134_5:
	s_or_b64 exec, exec, s[0:1]
	v_add_co_u32_e32 v6, vcc, 0x100, v30
	v_addc_co_u32_e32 v7, vcc, 0, v1, vcc
	v_or_b32_e32 v5, s39, v7
	v_mov_b32_e32 v4, 0
	v_cmp_ne_u64_e32 vcc, 0, v[4:5]
                                        ; implicit-def: $vgpr4_vgpr5
	s_and_saveexec_b64 s[0:1], vcc
	s_xor_b64 s[2:3], exec, s[0:1]
	s_cbranch_execz .LBB1134_7
; %bb.6:
	s_ashr_i32 s8, s39, 31
	s_add_u32 s0, s38, s8
	s_mov_b32 s9, s8
	s_addc_u32 s1, s39, s8
	s_xor_b64 s[10:11], s[0:1], s[8:9]
	v_cvt_f32_u32_e32 v4, s10
	v_cvt_f32_u32_e32 v5, s11
	s_sub_u32 s0, 0, s10
	s_subb_u32 s1, 0, s11
	v_madmk_f32 v4, v5, 0x4f800000, v4
	v_rcp_f32_e32 v4, v4
	v_mul_f32_e32 v4, 0x5f7ffffc, v4
	v_mul_f32_e32 v5, 0x2f800000, v4
	v_trunc_f32_e32 v5, v5
	v_madmk_f32 v4, v5, 0xcf800000, v4
	v_cvt_u32_f32_e32 v5, v5
	v_cvt_u32_f32_e32 v4, v4
	v_mul_lo_u32 v8, s0, v5
	v_mul_hi_u32 v10, s0, v4
	v_mul_lo_u32 v9, s1, v4
	v_add_u32_e32 v8, v10, v8
	v_mul_lo_u32 v11, s0, v4
	v_add_u32_e32 v8, v8, v9
	v_mul_lo_u32 v10, v4, v8
	v_mul_hi_u32 v12, v4, v11
	v_mul_hi_u32 v9, v4, v8
	v_add_co_u32_e32 v10, vcc, v12, v10
	v_addc_co_u32_e32 v9, vcc, 0, v9, vcc
	v_mul_hi_u32 v13, v5, v11
	v_mul_lo_u32 v11, v5, v11
	v_add_co_u32_e32 v10, vcc, v10, v11
	v_mul_hi_u32 v12, v5, v8
	v_addc_co_u32_e32 v9, vcc, v9, v13, vcc
	v_addc_co_u32_e32 v10, vcc, 0, v12, vcc
	v_mul_lo_u32 v8, v5, v8
	v_add_co_u32_e32 v8, vcc, v9, v8
	v_addc_co_u32_e32 v9, vcc, 0, v10, vcc
	v_add_co_u32_e32 v4, vcc, v4, v8
	v_addc_co_u32_e32 v5, vcc, v5, v9, vcc
	v_mul_lo_u32 v8, s0, v5
	v_mul_hi_u32 v9, s0, v4
	v_add_u32_e32 v8, v9, v8
	v_mul_lo_u32 v9, s1, v4
	v_add_u32_e32 v8, v8, v9
	v_mul_lo_u32 v10, s0, v4
	v_mul_hi_u32 v11, v5, v10
	v_mul_lo_u32 v12, v5, v10
	v_mul_lo_u32 v14, v4, v8
	v_mul_hi_u32 v10, v4, v10
	v_mul_hi_u32 v13, v4, v8
	v_add_co_u32_e32 v10, vcc, v10, v14
	v_addc_co_u32_e32 v13, vcc, 0, v13, vcc
	v_add_co_u32_e32 v10, vcc, v10, v12
	v_mul_hi_u32 v9, v5, v8
	v_addc_co_u32_e32 v10, vcc, v13, v11, vcc
	v_addc_co_u32_e32 v9, vcc, 0, v9, vcc
	v_mul_lo_u32 v8, v5, v8
	v_add_co_u32_e32 v8, vcc, v10, v8
	v_addc_co_u32_e32 v9, vcc, 0, v9, vcc
	v_add_co_u32_e32 v8, vcc, v4, v8
	v_addc_co_u32_e32 v9, vcc, v5, v9, vcc
	v_ashrrev_i32_e32 v10, 31, v7
	v_add_co_u32_e32 v4, vcc, v6, v10
	v_addc_co_u32_e32 v5, vcc, v7, v10, vcc
	v_xor_b32_e32 v12, v4, v10
	v_xor_b32_e32 v11, v5, v10
	v_mad_u64_u32 v[4:5], s[0:1], v12, v9, 0
	v_mul_hi_u32 v6, v12, v8
	v_add_co_u32_e32 v13, vcc, v6, v4
	v_addc_co_u32_e32 v14, vcc, 0, v5, vcc
	v_mad_u64_u32 v[6:7], s[0:1], v11, v8, 0
	v_add_co_u32_e32 v6, vcc, v13, v6
	v_mad_u64_u32 v[4:5], s[0:1], v11, v9, 0
	v_addc_co_u32_e32 v6, vcc, v14, v7, vcc
	v_addc_co_u32_e32 v5, vcc, 0, v5, vcc
	v_add_co_u32_e32 v6, vcc, v6, v4
	v_addc_co_u32_e32 v7, vcc, 0, v5, vcc
	v_mul_lo_u32 v8, s11, v6
	v_mul_lo_u32 v9, s10, v7
	v_mad_u64_u32 v[4:5], s[0:1], s10, v6, 0
	v_add3_u32 v5, v5, v9, v8
	v_sub_u32_e32 v8, v11, v5
	v_mov_b32_e32 v9, s11
	v_sub_co_u32_e32 v4, vcc, v12, v4
	v_subb_co_u32_e64 v8, s[0:1], v8, v9, vcc
	v_subrev_co_u32_e64 v9, s[0:1], s10, v4
	v_subbrev_co_u32_e64 v8, s[0:1], 0, v8, s[0:1]
	v_cmp_le_u32_e64 s[0:1], s11, v8
	v_cndmask_b32_e64 v12, 0, -1, s[0:1]
	v_cmp_le_u32_e64 s[0:1], s10, v9
	v_cndmask_b32_e64 v9, 0, -1, s[0:1]
	v_cmp_eq_u32_e64 s[0:1], s11, v8
	v_cndmask_b32_e64 v8, v12, v9, s[0:1]
	v_add_co_u32_e64 v9, s[0:1], 2, v6
	v_subb_co_u32_e32 v5, vcc, v11, v5, vcc
	v_addc_co_u32_e64 v12, s[0:1], 0, v7, s[0:1]
	v_cmp_le_u32_e32 vcc, s11, v5
	v_add_co_u32_e64 v13, s[0:1], 1, v6
	v_cndmask_b32_e64 v11, 0, -1, vcc
	v_cmp_le_u32_e32 vcc, s10, v4
	v_addc_co_u32_e64 v14, s[0:1], 0, v7, s[0:1]
	v_cndmask_b32_e64 v4, 0, -1, vcc
	v_cmp_eq_u32_e32 vcc, s11, v5
	v_cmp_ne_u32_e64 s[0:1], 0, v8
	v_cndmask_b32_e32 v4, v11, v4, vcc
	v_cndmask_b32_e64 v8, v14, v12, s[0:1]
	v_cmp_ne_u32_e32 vcc, 0, v4
	v_cndmask_b32_e64 v5, v13, v9, s[0:1]
	v_cndmask_b32_e32 v4, v7, v8, vcc
	v_cndmask_b32_e32 v5, v6, v5, vcc
	v_xor_b32_e32 v6, s8, v10
	v_xor_b32_e32 v7, v4, v6
	;; [unrolled: 1-line block ×3, first 2 shown]
	v_sub_co_u32_e32 v4, vcc, v4, v6
	v_subb_co_u32_e32 v5, vcc, v7, v6, vcc
                                        ; implicit-def: $vgpr6
.LBB1134_7:
	s_andn2_saveexec_b64 s[0:1], s[2:3]
	s_cbranch_execz .LBB1134_9
; %bb.8:
	v_cvt_f32_u32_e32 v4, s38
	s_sub_i32 s2, 0, s38
	v_rcp_iflag_f32_e32 v4, v4
	v_mul_f32_e32 v4, 0x4f7ffffe, v4
	v_cvt_u32_f32_e32 v4, v4
	v_mul_lo_u32 v5, s2, v4
	v_mul_hi_u32 v5, v4, v5
	v_add_u32_e32 v4, v4, v5
	v_mul_hi_u32 v4, v6, v4
	v_mul_lo_u32 v5, v4, s38
	v_sub_u32_e32 v5, v6, v5
	v_add_u32_e32 v7, 1, v4
	v_subrev_u32_e32 v6, s38, v5
	v_cmp_le_u32_e32 vcc, s38, v5
	v_cndmask_b32_e32 v5, v5, v6, vcc
	v_cndmask_b32_e32 v4, v4, v7, vcc
	v_add_u32_e32 v6, 1, v4
	v_cmp_le_u32_e32 vcc, s38, v5
	v_cndmask_b32_e32 v4, v4, v6, vcc
	v_mov_b32_e32 v5, 0
.LBB1134_9:
	s_or_b64 exec, exec, s[0:1]
	v_add_co_u32_e32 v8, vcc, 0x200, v30
	v_addc_co_u32_e32 v9, vcc, 0, v1, vcc
	v_or_b32_e32 v7, s39, v9
	v_mov_b32_e32 v6, 0
	v_cmp_ne_u64_e32 vcc, 0, v[6:7]
                                        ; implicit-def: $vgpr6_vgpr7
	s_and_saveexec_b64 s[0:1], vcc
	s_xor_b64 s[2:3], exec, s[0:1]
	s_cbranch_execz .LBB1134_11
; %bb.10:
	s_ashr_i32 s8, s39, 31
	s_add_u32 s0, s38, s8
	s_mov_b32 s9, s8
	s_addc_u32 s1, s39, s8
	s_xor_b64 s[10:11], s[0:1], s[8:9]
	v_cvt_f32_u32_e32 v6, s10
	v_cvt_f32_u32_e32 v7, s11
	s_sub_u32 s0, 0, s10
	s_subb_u32 s1, 0, s11
	v_madmk_f32 v6, v7, 0x4f800000, v6
	v_rcp_f32_e32 v6, v6
	v_mul_f32_e32 v6, 0x5f7ffffc, v6
	v_mul_f32_e32 v7, 0x2f800000, v6
	v_trunc_f32_e32 v7, v7
	v_madmk_f32 v6, v7, 0xcf800000, v6
	v_cvt_u32_f32_e32 v7, v7
	v_cvt_u32_f32_e32 v6, v6
	v_mul_lo_u32 v10, s0, v7
	v_mul_hi_u32 v12, s0, v6
	v_mul_lo_u32 v11, s1, v6
	v_add_u32_e32 v10, v12, v10
	v_mul_lo_u32 v13, s0, v6
	v_add_u32_e32 v10, v10, v11
	v_mul_lo_u32 v12, v6, v10
	v_mul_hi_u32 v14, v6, v13
	v_mul_hi_u32 v11, v6, v10
	v_add_co_u32_e32 v12, vcc, v14, v12
	v_addc_co_u32_e32 v11, vcc, 0, v11, vcc
	v_mul_hi_u32 v15, v7, v13
	v_mul_lo_u32 v13, v7, v13
	v_add_co_u32_e32 v12, vcc, v12, v13
	v_mul_hi_u32 v14, v7, v10
	v_addc_co_u32_e32 v11, vcc, v11, v15, vcc
	v_addc_co_u32_e32 v12, vcc, 0, v14, vcc
	v_mul_lo_u32 v10, v7, v10
	v_add_co_u32_e32 v10, vcc, v11, v10
	v_addc_co_u32_e32 v11, vcc, 0, v12, vcc
	v_add_co_u32_e32 v6, vcc, v6, v10
	v_addc_co_u32_e32 v7, vcc, v7, v11, vcc
	v_mul_lo_u32 v10, s0, v7
	v_mul_hi_u32 v11, s0, v6
	v_add_u32_e32 v10, v11, v10
	v_mul_lo_u32 v11, s1, v6
	v_add_u32_e32 v10, v10, v11
	v_mul_lo_u32 v12, s0, v6
	v_mul_hi_u32 v13, v7, v12
	v_mul_lo_u32 v14, v7, v12
	v_mul_lo_u32 v16, v6, v10
	v_mul_hi_u32 v12, v6, v12
	v_mul_hi_u32 v15, v6, v10
	v_add_co_u32_e32 v12, vcc, v12, v16
	v_addc_co_u32_e32 v15, vcc, 0, v15, vcc
	v_add_co_u32_e32 v12, vcc, v12, v14
	v_mul_hi_u32 v11, v7, v10
	v_addc_co_u32_e32 v12, vcc, v15, v13, vcc
	v_addc_co_u32_e32 v11, vcc, 0, v11, vcc
	v_mul_lo_u32 v10, v7, v10
	v_add_co_u32_e32 v10, vcc, v12, v10
	v_addc_co_u32_e32 v11, vcc, 0, v11, vcc
	v_add_co_u32_e32 v10, vcc, v6, v10
	v_addc_co_u32_e32 v11, vcc, v7, v11, vcc
	v_ashrrev_i32_e32 v12, 31, v9
	v_add_co_u32_e32 v6, vcc, v8, v12
	v_addc_co_u32_e32 v7, vcc, v9, v12, vcc
	v_xor_b32_e32 v14, v6, v12
	v_xor_b32_e32 v13, v7, v12
	v_mad_u64_u32 v[6:7], s[0:1], v14, v11, 0
	v_mul_hi_u32 v8, v14, v10
	v_add_co_u32_e32 v15, vcc, v8, v6
	v_addc_co_u32_e32 v16, vcc, 0, v7, vcc
	v_mad_u64_u32 v[8:9], s[0:1], v13, v10, 0
	v_add_co_u32_e32 v8, vcc, v15, v8
	v_mad_u64_u32 v[6:7], s[0:1], v13, v11, 0
	v_addc_co_u32_e32 v8, vcc, v16, v9, vcc
	v_addc_co_u32_e32 v7, vcc, 0, v7, vcc
	v_add_co_u32_e32 v8, vcc, v8, v6
	v_addc_co_u32_e32 v9, vcc, 0, v7, vcc
	v_mul_lo_u32 v10, s11, v8
	v_mul_lo_u32 v11, s10, v9
	v_mad_u64_u32 v[6:7], s[0:1], s10, v8, 0
	v_add3_u32 v7, v7, v11, v10
	v_sub_u32_e32 v10, v13, v7
	v_mov_b32_e32 v11, s11
	v_sub_co_u32_e32 v6, vcc, v14, v6
	v_subb_co_u32_e64 v10, s[0:1], v10, v11, vcc
	v_subrev_co_u32_e64 v11, s[0:1], s10, v6
	v_subbrev_co_u32_e64 v10, s[0:1], 0, v10, s[0:1]
	v_cmp_le_u32_e64 s[0:1], s11, v10
	v_cndmask_b32_e64 v14, 0, -1, s[0:1]
	v_cmp_le_u32_e64 s[0:1], s10, v11
	v_cndmask_b32_e64 v11, 0, -1, s[0:1]
	v_cmp_eq_u32_e64 s[0:1], s11, v10
	v_cndmask_b32_e64 v10, v14, v11, s[0:1]
	v_add_co_u32_e64 v11, s[0:1], 2, v8
	v_subb_co_u32_e32 v7, vcc, v13, v7, vcc
	v_addc_co_u32_e64 v14, s[0:1], 0, v9, s[0:1]
	v_cmp_le_u32_e32 vcc, s11, v7
	v_add_co_u32_e64 v15, s[0:1], 1, v8
	v_cndmask_b32_e64 v13, 0, -1, vcc
	v_cmp_le_u32_e32 vcc, s10, v6
	v_addc_co_u32_e64 v16, s[0:1], 0, v9, s[0:1]
	v_cndmask_b32_e64 v6, 0, -1, vcc
	v_cmp_eq_u32_e32 vcc, s11, v7
	v_cmp_ne_u32_e64 s[0:1], 0, v10
	v_cndmask_b32_e32 v6, v13, v6, vcc
	v_cndmask_b32_e64 v10, v16, v14, s[0:1]
	v_cmp_ne_u32_e32 vcc, 0, v6
	v_cndmask_b32_e64 v7, v15, v11, s[0:1]
	v_cndmask_b32_e32 v6, v9, v10, vcc
	v_cndmask_b32_e32 v7, v8, v7, vcc
	v_xor_b32_e32 v8, s8, v12
	v_xor_b32_e32 v9, v6, v8
	v_xor_b32_e32 v6, v7, v8
	v_sub_co_u32_e32 v6, vcc, v6, v8
	v_subb_co_u32_e32 v7, vcc, v9, v8, vcc
                                        ; implicit-def: $vgpr8
.LBB1134_11:
	s_andn2_saveexec_b64 s[0:1], s[2:3]
	s_cbranch_execz .LBB1134_13
; %bb.12:
	v_cvt_f32_u32_e32 v6, s38
	s_sub_i32 s2, 0, s38
	v_rcp_iflag_f32_e32 v6, v6
	v_mul_f32_e32 v6, 0x4f7ffffe, v6
	v_cvt_u32_f32_e32 v6, v6
	v_mul_lo_u32 v7, s2, v6
	v_mul_hi_u32 v7, v6, v7
	v_add_u32_e32 v6, v6, v7
	v_mul_hi_u32 v6, v8, v6
	v_mul_lo_u32 v7, v6, s38
	v_sub_u32_e32 v7, v8, v7
	v_add_u32_e32 v9, 1, v6
	v_subrev_u32_e32 v8, s38, v7
	v_cmp_le_u32_e32 vcc, s38, v7
	v_cndmask_b32_e32 v7, v7, v8, vcc
	v_cndmask_b32_e32 v6, v6, v9, vcc
	v_add_u32_e32 v8, 1, v6
	v_cmp_le_u32_e32 vcc, s38, v7
	v_cndmask_b32_e32 v6, v6, v8, vcc
	v_mov_b32_e32 v7, 0
.LBB1134_13:
	s_or_b64 exec, exec, s[0:1]
	v_add_co_u32_e32 v10, vcc, 0x300, v30
	v_addc_co_u32_e32 v11, vcc, 0, v1, vcc
	v_or_b32_e32 v9, s39, v11
	v_mov_b32_e32 v8, 0
	v_cmp_ne_u64_e32 vcc, 0, v[8:9]
                                        ; implicit-def: $vgpr8_vgpr9
	s_and_saveexec_b64 s[0:1], vcc
	s_xor_b64 s[2:3], exec, s[0:1]
	s_cbranch_execz .LBB1134_15
; %bb.14:
	s_ashr_i32 s8, s39, 31
	s_add_u32 s0, s38, s8
	s_mov_b32 s9, s8
	s_addc_u32 s1, s39, s8
	s_xor_b64 s[10:11], s[0:1], s[8:9]
	v_cvt_f32_u32_e32 v8, s10
	v_cvt_f32_u32_e32 v9, s11
	s_sub_u32 s0, 0, s10
	s_subb_u32 s1, 0, s11
	v_madmk_f32 v8, v9, 0x4f800000, v8
	v_rcp_f32_e32 v8, v8
	v_mul_f32_e32 v8, 0x5f7ffffc, v8
	v_mul_f32_e32 v9, 0x2f800000, v8
	v_trunc_f32_e32 v9, v9
	v_madmk_f32 v8, v9, 0xcf800000, v8
	v_cvt_u32_f32_e32 v9, v9
	v_cvt_u32_f32_e32 v8, v8
	v_mul_lo_u32 v12, s0, v9
	v_mul_hi_u32 v14, s0, v8
	v_mul_lo_u32 v13, s1, v8
	v_add_u32_e32 v12, v14, v12
	v_mul_lo_u32 v15, s0, v8
	v_add_u32_e32 v12, v12, v13
	v_mul_lo_u32 v14, v8, v12
	v_mul_hi_u32 v16, v8, v15
	v_mul_hi_u32 v13, v8, v12
	v_add_co_u32_e32 v14, vcc, v16, v14
	v_addc_co_u32_e32 v13, vcc, 0, v13, vcc
	v_mul_hi_u32 v17, v9, v15
	v_mul_lo_u32 v15, v9, v15
	v_add_co_u32_e32 v14, vcc, v14, v15
	v_mul_hi_u32 v16, v9, v12
	v_addc_co_u32_e32 v13, vcc, v13, v17, vcc
	v_addc_co_u32_e32 v14, vcc, 0, v16, vcc
	v_mul_lo_u32 v12, v9, v12
	v_add_co_u32_e32 v12, vcc, v13, v12
	v_addc_co_u32_e32 v13, vcc, 0, v14, vcc
	v_add_co_u32_e32 v8, vcc, v8, v12
	v_addc_co_u32_e32 v9, vcc, v9, v13, vcc
	v_mul_lo_u32 v12, s0, v9
	v_mul_hi_u32 v13, s0, v8
	v_add_u32_e32 v12, v13, v12
	v_mul_lo_u32 v13, s1, v8
	v_add_u32_e32 v12, v12, v13
	v_mul_lo_u32 v14, s0, v8
	v_mul_hi_u32 v15, v9, v14
	v_mul_lo_u32 v16, v9, v14
	v_mul_lo_u32 v18, v8, v12
	v_mul_hi_u32 v14, v8, v14
	v_mul_hi_u32 v17, v8, v12
	v_add_co_u32_e32 v14, vcc, v14, v18
	v_addc_co_u32_e32 v17, vcc, 0, v17, vcc
	v_add_co_u32_e32 v14, vcc, v14, v16
	v_mul_hi_u32 v13, v9, v12
	v_addc_co_u32_e32 v14, vcc, v17, v15, vcc
	v_addc_co_u32_e32 v13, vcc, 0, v13, vcc
	v_mul_lo_u32 v12, v9, v12
	v_add_co_u32_e32 v12, vcc, v14, v12
	v_addc_co_u32_e32 v13, vcc, 0, v13, vcc
	v_add_co_u32_e32 v12, vcc, v8, v12
	v_addc_co_u32_e32 v13, vcc, v9, v13, vcc
	v_ashrrev_i32_e32 v14, 31, v11
	v_add_co_u32_e32 v8, vcc, v10, v14
	v_addc_co_u32_e32 v9, vcc, v11, v14, vcc
	v_xor_b32_e32 v16, v8, v14
	v_xor_b32_e32 v15, v9, v14
	v_mad_u64_u32 v[8:9], s[0:1], v16, v13, 0
	v_mul_hi_u32 v10, v16, v12
	v_add_co_u32_e32 v17, vcc, v10, v8
	v_addc_co_u32_e32 v18, vcc, 0, v9, vcc
	v_mad_u64_u32 v[10:11], s[0:1], v15, v12, 0
	v_add_co_u32_e32 v10, vcc, v17, v10
	v_mad_u64_u32 v[8:9], s[0:1], v15, v13, 0
	v_addc_co_u32_e32 v10, vcc, v18, v11, vcc
	v_addc_co_u32_e32 v9, vcc, 0, v9, vcc
	v_add_co_u32_e32 v10, vcc, v10, v8
	v_addc_co_u32_e32 v11, vcc, 0, v9, vcc
	v_mul_lo_u32 v12, s11, v10
	v_mul_lo_u32 v13, s10, v11
	v_mad_u64_u32 v[8:9], s[0:1], s10, v10, 0
	v_add3_u32 v9, v9, v13, v12
	v_sub_u32_e32 v12, v15, v9
	v_mov_b32_e32 v13, s11
	v_sub_co_u32_e32 v8, vcc, v16, v8
	v_subb_co_u32_e64 v12, s[0:1], v12, v13, vcc
	v_subrev_co_u32_e64 v13, s[0:1], s10, v8
	v_subbrev_co_u32_e64 v12, s[0:1], 0, v12, s[0:1]
	v_cmp_le_u32_e64 s[0:1], s11, v12
	v_cndmask_b32_e64 v16, 0, -1, s[0:1]
	v_cmp_le_u32_e64 s[0:1], s10, v13
	v_cndmask_b32_e64 v13, 0, -1, s[0:1]
	v_cmp_eq_u32_e64 s[0:1], s11, v12
	v_cndmask_b32_e64 v12, v16, v13, s[0:1]
	v_add_co_u32_e64 v13, s[0:1], 2, v10
	v_subb_co_u32_e32 v9, vcc, v15, v9, vcc
	v_addc_co_u32_e64 v16, s[0:1], 0, v11, s[0:1]
	v_cmp_le_u32_e32 vcc, s11, v9
	v_add_co_u32_e64 v17, s[0:1], 1, v10
	v_cndmask_b32_e64 v15, 0, -1, vcc
	v_cmp_le_u32_e32 vcc, s10, v8
	v_addc_co_u32_e64 v18, s[0:1], 0, v11, s[0:1]
	v_cndmask_b32_e64 v8, 0, -1, vcc
	v_cmp_eq_u32_e32 vcc, s11, v9
	v_cmp_ne_u32_e64 s[0:1], 0, v12
	v_cndmask_b32_e32 v8, v15, v8, vcc
	v_cndmask_b32_e64 v12, v18, v16, s[0:1]
	v_cmp_ne_u32_e32 vcc, 0, v8
	v_cndmask_b32_e64 v9, v17, v13, s[0:1]
	v_cndmask_b32_e32 v8, v11, v12, vcc
	v_cndmask_b32_e32 v9, v10, v9, vcc
	v_xor_b32_e32 v10, s8, v14
	v_xor_b32_e32 v11, v8, v10
	;; [unrolled: 1-line block ×3, first 2 shown]
	v_sub_co_u32_e32 v8, vcc, v8, v10
	v_subb_co_u32_e32 v9, vcc, v11, v10, vcc
                                        ; implicit-def: $vgpr10
.LBB1134_15:
	s_andn2_saveexec_b64 s[0:1], s[2:3]
	s_cbranch_execz .LBB1134_17
; %bb.16:
	v_cvt_f32_u32_e32 v8, s38
	s_sub_i32 s2, 0, s38
	v_rcp_iflag_f32_e32 v8, v8
	v_mul_f32_e32 v8, 0x4f7ffffe, v8
	v_cvt_u32_f32_e32 v8, v8
	v_mul_lo_u32 v9, s2, v8
	v_mul_hi_u32 v9, v8, v9
	v_add_u32_e32 v8, v8, v9
	v_mul_hi_u32 v8, v10, v8
	v_mul_lo_u32 v9, v8, s38
	v_sub_u32_e32 v9, v10, v9
	v_add_u32_e32 v11, 1, v8
	v_subrev_u32_e32 v10, s38, v9
	v_cmp_le_u32_e32 vcc, s38, v9
	v_cndmask_b32_e32 v9, v9, v10, vcc
	v_cndmask_b32_e32 v8, v8, v11, vcc
	v_add_u32_e32 v10, 1, v8
	v_cmp_le_u32_e32 vcc, s38, v9
	v_cndmask_b32_e32 v8, v8, v10, vcc
	v_mov_b32_e32 v9, 0
.LBB1134_17:
	s_or_b64 exec, exec, s[0:1]
	v_add_co_u32_e32 v12, vcc, 0x400, v30
	v_addc_co_u32_e32 v13, vcc, 0, v1, vcc
	v_or_b32_e32 v11, s39, v13
	v_mov_b32_e32 v10, 0
	v_cmp_ne_u64_e32 vcc, 0, v[10:11]
                                        ; implicit-def: $vgpr10_vgpr11
	s_and_saveexec_b64 s[0:1], vcc
	s_xor_b64 s[2:3], exec, s[0:1]
	s_cbranch_execz .LBB1134_19
; %bb.18:
	s_ashr_i32 s8, s39, 31
	s_add_u32 s0, s38, s8
	s_mov_b32 s9, s8
	s_addc_u32 s1, s39, s8
	s_xor_b64 s[10:11], s[0:1], s[8:9]
	v_cvt_f32_u32_e32 v10, s10
	v_cvt_f32_u32_e32 v11, s11
	s_sub_u32 s0, 0, s10
	s_subb_u32 s1, 0, s11
	v_madmk_f32 v10, v11, 0x4f800000, v10
	v_rcp_f32_e32 v10, v10
	v_mul_f32_e32 v10, 0x5f7ffffc, v10
	v_mul_f32_e32 v11, 0x2f800000, v10
	v_trunc_f32_e32 v11, v11
	v_madmk_f32 v10, v11, 0xcf800000, v10
	v_cvt_u32_f32_e32 v11, v11
	v_cvt_u32_f32_e32 v10, v10
	v_mul_lo_u32 v14, s0, v11
	v_mul_hi_u32 v16, s0, v10
	v_mul_lo_u32 v15, s1, v10
	v_add_u32_e32 v14, v16, v14
	v_mul_lo_u32 v17, s0, v10
	v_add_u32_e32 v14, v14, v15
	v_mul_lo_u32 v16, v10, v14
	v_mul_hi_u32 v18, v10, v17
	v_mul_hi_u32 v15, v10, v14
	v_add_co_u32_e32 v16, vcc, v18, v16
	v_addc_co_u32_e32 v15, vcc, 0, v15, vcc
	v_mul_hi_u32 v19, v11, v17
	v_mul_lo_u32 v17, v11, v17
	v_add_co_u32_e32 v16, vcc, v16, v17
	v_mul_hi_u32 v18, v11, v14
	v_addc_co_u32_e32 v15, vcc, v15, v19, vcc
	v_addc_co_u32_e32 v16, vcc, 0, v18, vcc
	v_mul_lo_u32 v14, v11, v14
	v_add_co_u32_e32 v14, vcc, v15, v14
	v_addc_co_u32_e32 v15, vcc, 0, v16, vcc
	v_add_co_u32_e32 v10, vcc, v10, v14
	v_addc_co_u32_e32 v11, vcc, v11, v15, vcc
	v_mul_lo_u32 v14, s0, v11
	v_mul_hi_u32 v15, s0, v10
	v_add_u32_e32 v14, v15, v14
	v_mul_lo_u32 v15, s1, v10
	v_add_u32_e32 v14, v14, v15
	v_mul_lo_u32 v16, s0, v10
	v_mul_hi_u32 v17, v11, v16
	v_mul_lo_u32 v18, v11, v16
	v_mul_lo_u32 v20, v10, v14
	v_mul_hi_u32 v16, v10, v16
	v_mul_hi_u32 v19, v10, v14
	v_add_co_u32_e32 v16, vcc, v16, v20
	v_addc_co_u32_e32 v19, vcc, 0, v19, vcc
	v_add_co_u32_e32 v16, vcc, v16, v18
	v_mul_hi_u32 v15, v11, v14
	v_addc_co_u32_e32 v16, vcc, v19, v17, vcc
	v_addc_co_u32_e32 v15, vcc, 0, v15, vcc
	v_mul_lo_u32 v14, v11, v14
	v_add_co_u32_e32 v14, vcc, v16, v14
	v_addc_co_u32_e32 v15, vcc, 0, v15, vcc
	v_add_co_u32_e32 v14, vcc, v10, v14
	v_addc_co_u32_e32 v15, vcc, v11, v15, vcc
	v_ashrrev_i32_e32 v16, 31, v13
	v_add_co_u32_e32 v10, vcc, v12, v16
	v_addc_co_u32_e32 v11, vcc, v13, v16, vcc
	v_xor_b32_e32 v18, v10, v16
	v_xor_b32_e32 v17, v11, v16
	v_mad_u64_u32 v[10:11], s[0:1], v18, v15, 0
	v_mul_hi_u32 v12, v18, v14
	v_add_co_u32_e32 v19, vcc, v12, v10
	v_addc_co_u32_e32 v20, vcc, 0, v11, vcc
	v_mad_u64_u32 v[12:13], s[0:1], v17, v14, 0
	v_add_co_u32_e32 v12, vcc, v19, v12
	v_mad_u64_u32 v[10:11], s[0:1], v17, v15, 0
	v_addc_co_u32_e32 v12, vcc, v20, v13, vcc
	v_addc_co_u32_e32 v11, vcc, 0, v11, vcc
	v_add_co_u32_e32 v12, vcc, v12, v10
	v_addc_co_u32_e32 v13, vcc, 0, v11, vcc
	v_mul_lo_u32 v14, s11, v12
	v_mul_lo_u32 v15, s10, v13
	v_mad_u64_u32 v[10:11], s[0:1], s10, v12, 0
	v_add3_u32 v11, v11, v15, v14
	v_sub_u32_e32 v14, v17, v11
	v_mov_b32_e32 v15, s11
	v_sub_co_u32_e32 v10, vcc, v18, v10
	v_subb_co_u32_e64 v14, s[0:1], v14, v15, vcc
	v_subrev_co_u32_e64 v15, s[0:1], s10, v10
	v_subbrev_co_u32_e64 v14, s[0:1], 0, v14, s[0:1]
	v_cmp_le_u32_e64 s[0:1], s11, v14
	v_cndmask_b32_e64 v18, 0, -1, s[0:1]
	v_cmp_le_u32_e64 s[0:1], s10, v15
	v_cndmask_b32_e64 v15, 0, -1, s[0:1]
	v_cmp_eq_u32_e64 s[0:1], s11, v14
	v_cndmask_b32_e64 v14, v18, v15, s[0:1]
	v_add_co_u32_e64 v15, s[0:1], 2, v12
	v_subb_co_u32_e32 v11, vcc, v17, v11, vcc
	v_addc_co_u32_e64 v18, s[0:1], 0, v13, s[0:1]
	v_cmp_le_u32_e32 vcc, s11, v11
	v_add_co_u32_e64 v19, s[0:1], 1, v12
	v_cndmask_b32_e64 v17, 0, -1, vcc
	v_cmp_le_u32_e32 vcc, s10, v10
	v_addc_co_u32_e64 v20, s[0:1], 0, v13, s[0:1]
	v_cndmask_b32_e64 v10, 0, -1, vcc
	v_cmp_eq_u32_e32 vcc, s11, v11
	v_cmp_ne_u32_e64 s[0:1], 0, v14
	v_cndmask_b32_e32 v10, v17, v10, vcc
	v_cndmask_b32_e64 v14, v20, v18, s[0:1]
	v_cmp_ne_u32_e32 vcc, 0, v10
	v_cndmask_b32_e64 v11, v19, v15, s[0:1]
	v_cndmask_b32_e32 v10, v13, v14, vcc
	v_cndmask_b32_e32 v11, v12, v11, vcc
	v_xor_b32_e32 v12, s8, v16
	v_xor_b32_e32 v13, v10, v12
	;; [unrolled: 1-line block ×3, first 2 shown]
	v_sub_co_u32_e32 v10, vcc, v10, v12
	v_subb_co_u32_e32 v11, vcc, v13, v12, vcc
                                        ; implicit-def: $vgpr12
.LBB1134_19:
	s_andn2_saveexec_b64 s[0:1], s[2:3]
	s_cbranch_execz .LBB1134_21
; %bb.20:
	v_cvt_f32_u32_e32 v10, s38
	s_sub_i32 s2, 0, s38
	v_rcp_iflag_f32_e32 v10, v10
	v_mul_f32_e32 v10, 0x4f7ffffe, v10
	v_cvt_u32_f32_e32 v10, v10
	v_mul_lo_u32 v11, s2, v10
	v_mul_hi_u32 v11, v10, v11
	v_add_u32_e32 v10, v10, v11
	v_mul_hi_u32 v10, v12, v10
	v_mul_lo_u32 v11, v10, s38
	v_sub_u32_e32 v11, v12, v11
	v_add_u32_e32 v13, 1, v10
	v_subrev_u32_e32 v12, s38, v11
	v_cmp_le_u32_e32 vcc, s38, v11
	v_cndmask_b32_e32 v11, v11, v12, vcc
	v_cndmask_b32_e32 v10, v10, v13, vcc
	v_add_u32_e32 v12, 1, v10
	v_cmp_le_u32_e32 vcc, s38, v11
	v_cndmask_b32_e32 v10, v10, v12, vcc
	v_mov_b32_e32 v11, 0
.LBB1134_21:
	s_or_b64 exec, exec, s[0:1]
	v_add_co_u32_e32 v14, vcc, 0x500, v30
	v_addc_co_u32_e32 v15, vcc, 0, v1, vcc
	v_or_b32_e32 v13, s39, v15
	v_mov_b32_e32 v12, 0
	v_cmp_ne_u64_e32 vcc, 0, v[12:13]
                                        ; implicit-def: $vgpr12_vgpr13
	s_and_saveexec_b64 s[0:1], vcc
	s_xor_b64 s[2:3], exec, s[0:1]
	s_cbranch_execz .LBB1134_23
; %bb.22:
	s_ashr_i32 s8, s39, 31
	s_add_u32 s0, s38, s8
	s_mov_b32 s9, s8
	s_addc_u32 s1, s39, s8
	s_xor_b64 s[10:11], s[0:1], s[8:9]
	v_cvt_f32_u32_e32 v12, s10
	v_cvt_f32_u32_e32 v13, s11
	s_sub_u32 s0, 0, s10
	s_subb_u32 s1, 0, s11
	v_madmk_f32 v12, v13, 0x4f800000, v12
	v_rcp_f32_e32 v12, v12
	v_mul_f32_e32 v12, 0x5f7ffffc, v12
	v_mul_f32_e32 v13, 0x2f800000, v12
	v_trunc_f32_e32 v13, v13
	v_madmk_f32 v12, v13, 0xcf800000, v12
	v_cvt_u32_f32_e32 v13, v13
	v_cvt_u32_f32_e32 v12, v12
	v_mul_lo_u32 v16, s0, v13
	v_mul_hi_u32 v18, s0, v12
	v_mul_lo_u32 v17, s1, v12
	v_add_u32_e32 v16, v18, v16
	v_mul_lo_u32 v19, s0, v12
	v_add_u32_e32 v16, v16, v17
	v_mul_lo_u32 v18, v12, v16
	v_mul_hi_u32 v20, v12, v19
	v_mul_hi_u32 v17, v12, v16
	v_add_co_u32_e32 v18, vcc, v20, v18
	v_addc_co_u32_e32 v17, vcc, 0, v17, vcc
	v_mul_hi_u32 v21, v13, v19
	v_mul_lo_u32 v19, v13, v19
	v_add_co_u32_e32 v18, vcc, v18, v19
	v_mul_hi_u32 v20, v13, v16
	v_addc_co_u32_e32 v17, vcc, v17, v21, vcc
	v_addc_co_u32_e32 v18, vcc, 0, v20, vcc
	v_mul_lo_u32 v16, v13, v16
	v_add_co_u32_e32 v16, vcc, v17, v16
	v_addc_co_u32_e32 v17, vcc, 0, v18, vcc
	v_add_co_u32_e32 v12, vcc, v12, v16
	v_addc_co_u32_e32 v13, vcc, v13, v17, vcc
	v_mul_lo_u32 v16, s0, v13
	v_mul_hi_u32 v17, s0, v12
	v_add_u32_e32 v16, v17, v16
	v_mul_lo_u32 v17, s1, v12
	v_add_u32_e32 v16, v16, v17
	v_mul_lo_u32 v18, s0, v12
	v_mul_hi_u32 v19, v13, v18
	v_mul_lo_u32 v20, v13, v18
	v_mul_lo_u32 v22, v12, v16
	v_mul_hi_u32 v18, v12, v18
	v_mul_hi_u32 v21, v12, v16
	v_add_co_u32_e32 v18, vcc, v18, v22
	v_addc_co_u32_e32 v21, vcc, 0, v21, vcc
	v_add_co_u32_e32 v18, vcc, v18, v20
	v_mul_hi_u32 v17, v13, v16
	v_addc_co_u32_e32 v18, vcc, v21, v19, vcc
	v_addc_co_u32_e32 v17, vcc, 0, v17, vcc
	v_mul_lo_u32 v16, v13, v16
	v_add_co_u32_e32 v16, vcc, v18, v16
	v_addc_co_u32_e32 v17, vcc, 0, v17, vcc
	v_add_co_u32_e32 v16, vcc, v12, v16
	v_addc_co_u32_e32 v17, vcc, v13, v17, vcc
	v_ashrrev_i32_e32 v18, 31, v15
	v_add_co_u32_e32 v12, vcc, v14, v18
	v_addc_co_u32_e32 v13, vcc, v15, v18, vcc
	v_xor_b32_e32 v20, v12, v18
	v_xor_b32_e32 v19, v13, v18
	v_mad_u64_u32 v[12:13], s[0:1], v20, v17, 0
	v_mul_hi_u32 v14, v20, v16
	v_add_co_u32_e32 v21, vcc, v14, v12
	v_addc_co_u32_e32 v22, vcc, 0, v13, vcc
	v_mad_u64_u32 v[14:15], s[0:1], v19, v16, 0
	v_add_co_u32_e32 v14, vcc, v21, v14
	v_mad_u64_u32 v[12:13], s[0:1], v19, v17, 0
	v_addc_co_u32_e32 v14, vcc, v22, v15, vcc
	v_addc_co_u32_e32 v13, vcc, 0, v13, vcc
	v_add_co_u32_e32 v14, vcc, v14, v12
	v_addc_co_u32_e32 v15, vcc, 0, v13, vcc
	v_mul_lo_u32 v16, s11, v14
	v_mul_lo_u32 v17, s10, v15
	v_mad_u64_u32 v[12:13], s[0:1], s10, v14, 0
	v_add3_u32 v13, v13, v17, v16
	v_sub_u32_e32 v16, v19, v13
	v_mov_b32_e32 v17, s11
	v_sub_co_u32_e32 v12, vcc, v20, v12
	v_subb_co_u32_e64 v16, s[0:1], v16, v17, vcc
	v_subrev_co_u32_e64 v17, s[0:1], s10, v12
	v_subbrev_co_u32_e64 v16, s[0:1], 0, v16, s[0:1]
	v_cmp_le_u32_e64 s[0:1], s11, v16
	v_cndmask_b32_e64 v20, 0, -1, s[0:1]
	v_cmp_le_u32_e64 s[0:1], s10, v17
	v_cndmask_b32_e64 v17, 0, -1, s[0:1]
	v_cmp_eq_u32_e64 s[0:1], s11, v16
	v_cndmask_b32_e64 v16, v20, v17, s[0:1]
	v_add_co_u32_e64 v17, s[0:1], 2, v14
	v_subb_co_u32_e32 v13, vcc, v19, v13, vcc
	v_addc_co_u32_e64 v20, s[0:1], 0, v15, s[0:1]
	v_cmp_le_u32_e32 vcc, s11, v13
	v_add_co_u32_e64 v21, s[0:1], 1, v14
	v_cndmask_b32_e64 v19, 0, -1, vcc
	v_cmp_le_u32_e32 vcc, s10, v12
	v_addc_co_u32_e64 v22, s[0:1], 0, v15, s[0:1]
	v_cndmask_b32_e64 v12, 0, -1, vcc
	v_cmp_eq_u32_e32 vcc, s11, v13
	v_cmp_ne_u32_e64 s[0:1], 0, v16
	v_cndmask_b32_e32 v12, v19, v12, vcc
	v_cndmask_b32_e64 v16, v22, v20, s[0:1]
	v_cmp_ne_u32_e32 vcc, 0, v12
	v_cndmask_b32_e64 v13, v21, v17, s[0:1]
	v_cndmask_b32_e32 v12, v15, v16, vcc
	v_cndmask_b32_e32 v13, v14, v13, vcc
	v_xor_b32_e32 v14, s8, v18
	v_xor_b32_e32 v15, v12, v14
	;; [unrolled: 1-line block ×3, first 2 shown]
	v_sub_co_u32_e32 v12, vcc, v12, v14
	v_subb_co_u32_e32 v13, vcc, v15, v14, vcc
                                        ; implicit-def: $vgpr14
.LBB1134_23:
	s_andn2_saveexec_b64 s[0:1], s[2:3]
	s_cbranch_execz .LBB1134_25
; %bb.24:
	v_cvt_f32_u32_e32 v12, s38
	s_sub_i32 s2, 0, s38
	v_rcp_iflag_f32_e32 v12, v12
	v_mul_f32_e32 v12, 0x4f7ffffe, v12
	v_cvt_u32_f32_e32 v12, v12
	v_mul_lo_u32 v13, s2, v12
	v_mul_hi_u32 v13, v12, v13
	v_add_u32_e32 v12, v12, v13
	v_mul_hi_u32 v12, v14, v12
	v_mul_lo_u32 v13, v12, s38
	v_sub_u32_e32 v13, v14, v13
	v_add_u32_e32 v15, 1, v12
	v_subrev_u32_e32 v14, s38, v13
	v_cmp_le_u32_e32 vcc, s38, v13
	v_cndmask_b32_e32 v13, v13, v14, vcc
	v_cndmask_b32_e32 v12, v12, v15, vcc
	v_add_u32_e32 v14, 1, v12
	v_cmp_le_u32_e32 vcc, s38, v13
	v_cndmask_b32_e32 v12, v12, v14, vcc
	v_mov_b32_e32 v13, 0
.LBB1134_25:
	s_or_b64 exec, exec, s[0:1]
	v_add_co_u32_e32 v16, vcc, 0x600, v30
	v_addc_co_u32_e32 v17, vcc, 0, v1, vcc
	v_or_b32_e32 v15, s39, v17
	v_mov_b32_e32 v14, 0
	v_cmp_ne_u64_e32 vcc, 0, v[14:15]
                                        ; implicit-def: $vgpr14_vgpr15
	s_and_saveexec_b64 s[0:1], vcc
	s_xor_b64 s[2:3], exec, s[0:1]
	s_cbranch_execz .LBB1134_27
; %bb.26:
	s_ashr_i32 s8, s39, 31
	s_add_u32 s0, s38, s8
	s_mov_b32 s9, s8
	s_addc_u32 s1, s39, s8
	s_xor_b64 s[10:11], s[0:1], s[8:9]
	v_cvt_f32_u32_e32 v14, s10
	v_cvt_f32_u32_e32 v15, s11
	s_sub_u32 s0, 0, s10
	s_subb_u32 s1, 0, s11
	v_madmk_f32 v14, v15, 0x4f800000, v14
	v_rcp_f32_e32 v14, v14
	v_mul_f32_e32 v14, 0x5f7ffffc, v14
	v_mul_f32_e32 v15, 0x2f800000, v14
	v_trunc_f32_e32 v15, v15
	v_madmk_f32 v14, v15, 0xcf800000, v14
	v_cvt_u32_f32_e32 v15, v15
	v_cvt_u32_f32_e32 v14, v14
	v_mul_lo_u32 v18, s0, v15
	v_mul_hi_u32 v20, s0, v14
	v_mul_lo_u32 v19, s1, v14
	v_add_u32_e32 v18, v20, v18
	v_mul_lo_u32 v21, s0, v14
	v_add_u32_e32 v18, v18, v19
	v_mul_lo_u32 v20, v14, v18
	v_mul_hi_u32 v22, v14, v21
	v_mul_hi_u32 v19, v14, v18
	v_add_co_u32_e32 v20, vcc, v22, v20
	v_addc_co_u32_e32 v19, vcc, 0, v19, vcc
	v_mul_hi_u32 v23, v15, v21
	v_mul_lo_u32 v21, v15, v21
	v_add_co_u32_e32 v20, vcc, v20, v21
	v_mul_hi_u32 v22, v15, v18
	v_addc_co_u32_e32 v19, vcc, v19, v23, vcc
	v_addc_co_u32_e32 v20, vcc, 0, v22, vcc
	v_mul_lo_u32 v18, v15, v18
	v_add_co_u32_e32 v18, vcc, v19, v18
	v_addc_co_u32_e32 v19, vcc, 0, v20, vcc
	v_add_co_u32_e32 v14, vcc, v14, v18
	v_addc_co_u32_e32 v15, vcc, v15, v19, vcc
	v_mul_lo_u32 v18, s0, v15
	v_mul_hi_u32 v19, s0, v14
	v_add_u32_e32 v18, v19, v18
	v_mul_lo_u32 v19, s1, v14
	v_add_u32_e32 v18, v18, v19
	v_mul_lo_u32 v20, s0, v14
	v_mul_hi_u32 v21, v15, v20
	v_mul_lo_u32 v22, v15, v20
	v_mul_lo_u32 v24, v14, v18
	v_mul_hi_u32 v20, v14, v20
	v_mul_hi_u32 v23, v14, v18
	v_add_co_u32_e32 v20, vcc, v20, v24
	v_addc_co_u32_e32 v23, vcc, 0, v23, vcc
	v_add_co_u32_e32 v20, vcc, v20, v22
	v_mul_hi_u32 v19, v15, v18
	v_addc_co_u32_e32 v20, vcc, v23, v21, vcc
	v_addc_co_u32_e32 v19, vcc, 0, v19, vcc
	v_mul_lo_u32 v18, v15, v18
	v_add_co_u32_e32 v18, vcc, v20, v18
	v_addc_co_u32_e32 v19, vcc, 0, v19, vcc
	v_add_co_u32_e32 v18, vcc, v14, v18
	v_addc_co_u32_e32 v19, vcc, v15, v19, vcc
	v_ashrrev_i32_e32 v20, 31, v17
	v_add_co_u32_e32 v14, vcc, v16, v20
	v_addc_co_u32_e32 v15, vcc, v17, v20, vcc
	v_xor_b32_e32 v22, v14, v20
	v_xor_b32_e32 v21, v15, v20
	v_mad_u64_u32 v[14:15], s[0:1], v22, v19, 0
	v_mul_hi_u32 v16, v22, v18
	v_add_co_u32_e32 v23, vcc, v16, v14
	v_addc_co_u32_e32 v24, vcc, 0, v15, vcc
	v_mad_u64_u32 v[16:17], s[0:1], v21, v18, 0
	v_add_co_u32_e32 v16, vcc, v23, v16
	v_mad_u64_u32 v[14:15], s[0:1], v21, v19, 0
	v_addc_co_u32_e32 v16, vcc, v24, v17, vcc
	v_addc_co_u32_e32 v15, vcc, 0, v15, vcc
	v_add_co_u32_e32 v16, vcc, v16, v14
	v_addc_co_u32_e32 v17, vcc, 0, v15, vcc
	v_mul_lo_u32 v18, s11, v16
	v_mul_lo_u32 v19, s10, v17
	v_mad_u64_u32 v[14:15], s[0:1], s10, v16, 0
	v_add3_u32 v15, v15, v19, v18
	v_sub_u32_e32 v18, v21, v15
	v_mov_b32_e32 v19, s11
	v_sub_co_u32_e32 v14, vcc, v22, v14
	v_subb_co_u32_e64 v18, s[0:1], v18, v19, vcc
	v_subrev_co_u32_e64 v19, s[0:1], s10, v14
	v_subbrev_co_u32_e64 v18, s[0:1], 0, v18, s[0:1]
	v_cmp_le_u32_e64 s[0:1], s11, v18
	v_cndmask_b32_e64 v22, 0, -1, s[0:1]
	v_cmp_le_u32_e64 s[0:1], s10, v19
	v_cndmask_b32_e64 v19, 0, -1, s[0:1]
	v_cmp_eq_u32_e64 s[0:1], s11, v18
	v_cndmask_b32_e64 v18, v22, v19, s[0:1]
	v_add_co_u32_e64 v19, s[0:1], 2, v16
	v_subb_co_u32_e32 v15, vcc, v21, v15, vcc
	v_addc_co_u32_e64 v22, s[0:1], 0, v17, s[0:1]
	v_cmp_le_u32_e32 vcc, s11, v15
	v_add_co_u32_e64 v23, s[0:1], 1, v16
	v_cndmask_b32_e64 v21, 0, -1, vcc
	v_cmp_le_u32_e32 vcc, s10, v14
	v_addc_co_u32_e64 v24, s[0:1], 0, v17, s[0:1]
	v_cndmask_b32_e64 v14, 0, -1, vcc
	v_cmp_eq_u32_e32 vcc, s11, v15
	v_cmp_ne_u32_e64 s[0:1], 0, v18
	v_cndmask_b32_e32 v14, v21, v14, vcc
	v_cndmask_b32_e64 v18, v24, v22, s[0:1]
	v_cmp_ne_u32_e32 vcc, 0, v14
	v_cndmask_b32_e64 v15, v23, v19, s[0:1]
	v_cndmask_b32_e32 v14, v17, v18, vcc
	v_cndmask_b32_e32 v15, v16, v15, vcc
	v_xor_b32_e32 v16, s8, v20
	v_xor_b32_e32 v17, v14, v16
	;; [unrolled: 1-line block ×3, first 2 shown]
	v_sub_co_u32_e32 v14, vcc, v14, v16
	v_subb_co_u32_e32 v15, vcc, v17, v16, vcc
                                        ; implicit-def: $vgpr16
.LBB1134_27:
	s_andn2_saveexec_b64 s[0:1], s[2:3]
	s_cbranch_execz .LBB1134_29
; %bb.28:
	v_cvt_f32_u32_e32 v14, s38
	s_sub_i32 s2, 0, s38
	v_rcp_iflag_f32_e32 v14, v14
	v_mul_f32_e32 v14, 0x4f7ffffe, v14
	v_cvt_u32_f32_e32 v14, v14
	v_mul_lo_u32 v15, s2, v14
	v_mul_hi_u32 v15, v14, v15
	v_add_u32_e32 v14, v14, v15
	v_mul_hi_u32 v14, v16, v14
	v_mul_lo_u32 v15, v14, s38
	v_sub_u32_e32 v15, v16, v15
	v_add_u32_e32 v17, 1, v14
	v_subrev_u32_e32 v16, s38, v15
	v_cmp_le_u32_e32 vcc, s38, v15
	v_cndmask_b32_e32 v15, v15, v16, vcc
	v_cndmask_b32_e32 v14, v14, v17, vcc
	v_add_u32_e32 v16, 1, v14
	v_cmp_le_u32_e32 vcc, s38, v15
	v_cndmask_b32_e32 v14, v14, v16, vcc
	v_mov_b32_e32 v15, 0
.LBB1134_29:
	s_or_b64 exec, exec, s[0:1]
	v_add_co_u32_e32 v18, vcc, 0x700, v30
	v_addc_co_u32_e32 v19, vcc, 0, v1, vcc
	v_or_b32_e32 v17, s39, v19
	v_mov_b32_e32 v16, 0
	v_cmp_ne_u64_e32 vcc, 0, v[16:17]
                                        ; implicit-def: $vgpr16_vgpr17
	s_and_saveexec_b64 s[0:1], vcc
	s_xor_b64 s[2:3], exec, s[0:1]
	s_cbranch_execz .LBB1134_31
; %bb.30:
	s_ashr_i32 s8, s39, 31
	s_add_u32 s0, s38, s8
	s_mov_b32 s9, s8
	s_addc_u32 s1, s39, s8
	s_xor_b64 s[10:11], s[0:1], s[8:9]
	v_cvt_f32_u32_e32 v16, s10
	v_cvt_f32_u32_e32 v17, s11
	s_sub_u32 s0, 0, s10
	s_subb_u32 s1, 0, s11
	v_madmk_f32 v16, v17, 0x4f800000, v16
	v_rcp_f32_e32 v16, v16
	v_mul_f32_e32 v16, 0x5f7ffffc, v16
	v_mul_f32_e32 v17, 0x2f800000, v16
	v_trunc_f32_e32 v17, v17
	v_madmk_f32 v16, v17, 0xcf800000, v16
	v_cvt_u32_f32_e32 v17, v17
	v_cvt_u32_f32_e32 v16, v16
	v_mul_lo_u32 v20, s0, v17
	v_mul_hi_u32 v22, s0, v16
	v_mul_lo_u32 v21, s1, v16
	v_add_u32_e32 v20, v22, v20
	v_mul_lo_u32 v23, s0, v16
	v_add_u32_e32 v20, v20, v21
	v_mul_lo_u32 v22, v16, v20
	v_mul_hi_u32 v24, v16, v23
	v_mul_hi_u32 v21, v16, v20
	v_add_co_u32_e32 v22, vcc, v24, v22
	v_addc_co_u32_e32 v21, vcc, 0, v21, vcc
	v_mul_hi_u32 v25, v17, v23
	v_mul_lo_u32 v23, v17, v23
	v_add_co_u32_e32 v22, vcc, v22, v23
	v_mul_hi_u32 v24, v17, v20
	v_addc_co_u32_e32 v21, vcc, v21, v25, vcc
	v_addc_co_u32_e32 v22, vcc, 0, v24, vcc
	v_mul_lo_u32 v20, v17, v20
	v_add_co_u32_e32 v20, vcc, v21, v20
	v_addc_co_u32_e32 v21, vcc, 0, v22, vcc
	v_add_co_u32_e32 v16, vcc, v16, v20
	v_addc_co_u32_e32 v17, vcc, v17, v21, vcc
	v_mul_lo_u32 v20, s0, v17
	v_mul_hi_u32 v21, s0, v16
	v_add_u32_e32 v20, v21, v20
	v_mul_lo_u32 v21, s1, v16
	v_add_u32_e32 v20, v20, v21
	v_mul_lo_u32 v22, s0, v16
	v_mul_hi_u32 v23, v17, v22
	v_mul_lo_u32 v24, v17, v22
	v_mul_lo_u32 v26, v16, v20
	v_mul_hi_u32 v22, v16, v22
	v_mul_hi_u32 v25, v16, v20
	v_add_co_u32_e32 v22, vcc, v22, v26
	v_addc_co_u32_e32 v25, vcc, 0, v25, vcc
	v_add_co_u32_e32 v22, vcc, v22, v24
	v_mul_hi_u32 v21, v17, v20
	v_addc_co_u32_e32 v22, vcc, v25, v23, vcc
	v_addc_co_u32_e32 v21, vcc, 0, v21, vcc
	v_mul_lo_u32 v20, v17, v20
	v_add_co_u32_e32 v20, vcc, v22, v20
	v_addc_co_u32_e32 v21, vcc, 0, v21, vcc
	v_add_co_u32_e32 v20, vcc, v16, v20
	v_addc_co_u32_e32 v21, vcc, v17, v21, vcc
	v_ashrrev_i32_e32 v22, 31, v19
	v_add_co_u32_e32 v16, vcc, v18, v22
	v_addc_co_u32_e32 v17, vcc, v19, v22, vcc
	v_xor_b32_e32 v24, v16, v22
	v_xor_b32_e32 v23, v17, v22
	v_mad_u64_u32 v[16:17], s[0:1], v24, v21, 0
	v_mul_hi_u32 v18, v24, v20
	v_add_co_u32_e32 v25, vcc, v18, v16
	v_addc_co_u32_e32 v26, vcc, 0, v17, vcc
	v_mad_u64_u32 v[18:19], s[0:1], v23, v20, 0
	v_add_co_u32_e32 v18, vcc, v25, v18
	v_mad_u64_u32 v[16:17], s[0:1], v23, v21, 0
	v_addc_co_u32_e32 v18, vcc, v26, v19, vcc
	v_addc_co_u32_e32 v17, vcc, 0, v17, vcc
	v_add_co_u32_e32 v18, vcc, v18, v16
	v_addc_co_u32_e32 v19, vcc, 0, v17, vcc
	v_mul_lo_u32 v20, s11, v18
	v_mul_lo_u32 v21, s10, v19
	v_mad_u64_u32 v[16:17], s[0:1], s10, v18, 0
	v_add3_u32 v17, v17, v21, v20
	v_sub_u32_e32 v20, v23, v17
	v_mov_b32_e32 v21, s11
	v_sub_co_u32_e32 v16, vcc, v24, v16
	v_subb_co_u32_e64 v20, s[0:1], v20, v21, vcc
	v_subrev_co_u32_e64 v21, s[0:1], s10, v16
	v_subbrev_co_u32_e64 v20, s[0:1], 0, v20, s[0:1]
	v_cmp_le_u32_e64 s[0:1], s11, v20
	v_cndmask_b32_e64 v24, 0, -1, s[0:1]
	v_cmp_le_u32_e64 s[0:1], s10, v21
	v_cndmask_b32_e64 v21, 0, -1, s[0:1]
	v_cmp_eq_u32_e64 s[0:1], s11, v20
	v_cndmask_b32_e64 v20, v24, v21, s[0:1]
	v_add_co_u32_e64 v21, s[0:1], 2, v18
	v_subb_co_u32_e32 v17, vcc, v23, v17, vcc
	v_addc_co_u32_e64 v24, s[0:1], 0, v19, s[0:1]
	v_cmp_le_u32_e32 vcc, s11, v17
	v_add_co_u32_e64 v25, s[0:1], 1, v18
	v_cndmask_b32_e64 v23, 0, -1, vcc
	v_cmp_le_u32_e32 vcc, s10, v16
	v_addc_co_u32_e64 v26, s[0:1], 0, v19, s[0:1]
	v_cndmask_b32_e64 v16, 0, -1, vcc
	v_cmp_eq_u32_e32 vcc, s11, v17
	v_cmp_ne_u32_e64 s[0:1], 0, v20
	v_cndmask_b32_e32 v16, v23, v16, vcc
	v_cndmask_b32_e64 v20, v26, v24, s[0:1]
	v_cmp_ne_u32_e32 vcc, 0, v16
	v_cndmask_b32_e64 v17, v25, v21, s[0:1]
	v_cndmask_b32_e32 v16, v19, v20, vcc
	v_cndmask_b32_e32 v17, v18, v17, vcc
	v_xor_b32_e32 v18, s8, v22
	v_xor_b32_e32 v19, v16, v18
	;; [unrolled: 1-line block ×3, first 2 shown]
	v_sub_co_u32_e32 v16, vcc, v16, v18
	v_subb_co_u32_e32 v17, vcc, v19, v18, vcc
                                        ; implicit-def: $vgpr18
.LBB1134_31:
	s_andn2_saveexec_b64 s[0:1], s[2:3]
	s_cbranch_execz .LBB1134_33
; %bb.32:
	v_cvt_f32_u32_e32 v16, s38
	s_sub_i32 s2, 0, s38
	v_rcp_iflag_f32_e32 v16, v16
	v_mul_f32_e32 v16, 0x4f7ffffe, v16
	v_cvt_u32_f32_e32 v16, v16
	v_mul_lo_u32 v17, s2, v16
	v_mul_hi_u32 v17, v16, v17
	v_add_u32_e32 v16, v16, v17
	v_mul_hi_u32 v16, v18, v16
	v_mul_lo_u32 v17, v16, s38
	v_sub_u32_e32 v17, v18, v17
	v_add_u32_e32 v19, 1, v16
	v_subrev_u32_e32 v18, s38, v17
	v_cmp_le_u32_e32 vcc, s38, v17
	v_cndmask_b32_e32 v17, v17, v18, vcc
	v_cndmask_b32_e32 v16, v16, v19, vcc
	v_add_u32_e32 v18, 1, v16
	v_cmp_le_u32_e32 vcc, s38, v17
	v_cndmask_b32_e32 v16, v16, v18, vcc
	v_mov_b32_e32 v17, 0
.LBB1134_33:
	s_or_b64 exec, exec, s[0:1]
	v_add_co_u32_e32 v20, vcc, 0x800, v30
	v_addc_co_u32_e32 v21, vcc, 0, v1, vcc
	v_or_b32_e32 v19, s39, v21
	v_mov_b32_e32 v18, 0
	v_cmp_ne_u64_e32 vcc, 0, v[18:19]
                                        ; implicit-def: $vgpr18_vgpr19
	s_and_saveexec_b64 s[0:1], vcc
	s_xor_b64 s[2:3], exec, s[0:1]
	s_cbranch_execz .LBB1134_35
; %bb.34:
	s_ashr_i32 s8, s39, 31
	s_add_u32 s0, s38, s8
	s_mov_b32 s9, s8
	s_addc_u32 s1, s39, s8
	s_xor_b64 s[10:11], s[0:1], s[8:9]
	v_cvt_f32_u32_e32 v18, s10
	v_cvt_f32_u32_e32 v19, s11
	s_sub_u32 s0, 0, s10
	s_subb_u32 s1, 0, s11
	v_madmk_f32 v18, v19, 0x4f800000, v18
	v_rcp_f32_e32 v18, v18
	v_mul_f32_e32 v18, 0x5f7ffffc, v18
	v_mul_f32_e32 v19, 0x2f800000, v18
	v_trunc_f32_e32 v19, v19
	v_madmk_f32 v18, v19, 0xcf800000, v18
	v_cvt_u32_f32_e32 v19, v19
	v_cvt_u32_f32_e32 v18, v18
	v_mul_lo_u32 v22, s0, v19
	v_mul_hi_u32 v24, s0, v18
	v_mul_lo_u32 v23, s1, v18
	v_add_u32_e32 v22, v24, v22
	v_mul_lo_u32 v25, s0, v18
	v_add_u32_e32 v22, v22, v23
	v_mul_lo_u32 v24, v18, v22
	v_mul_hi_u32 v26, v18, v25
	v_mul_hi_u32 v23, v18, v22
	v_add_co_u32_e32 v24, vcc, v26, v24
	v_addc_co_u32_e32 v23, vcc, 0, v23, vcc
	v_mul_hi_u32 v27, v19, v25
	v_mul_lo_u32 v25, v19, v25
	v_add_co_u32_e32 v24, vcc, v24, v25
	v_mul_hi_u32 v26, v19, v22
	v_addc_co_u32_e32 v23, vcc, v23, v27, vcc
	v_addc_co_u32_e32 v24, vcc, 0, v26, vcc
	v_mul_lo_u32 v22, v19, v22
	v_add_co_u32_e32 v22, vcc, v23, v22
	v_addc_co_u32_e32 v23, vcc, 0, v24, vcc
	v_add_co_u32_e32 v18, vcc, v18, v22
	v_addc_co_u32_e32 v19, vcc, v19, v23, vcc
	v_mul_lo_u32 v22, s0, v19
	v_mul_hi_u32 v23, s0, v18
	v_add_u32_e32 v22, v23, v22
	v_mul_lo_u32 v23, s1, v18
	v_add_u32_e32 v22, v22, v23
	v_mul_lo_u32 v24, s0, v18
	v_mul_hi_u32 v25, v19, v24
	v_mul_lo_u32 v26, v19, v24
	v_mul_lo_u32 v28, v18, v22
	v_mul_hi_u32 v24, v18, v24
	v_mul_hi_u32 v27, v18, v22
	v_add_co_u32_e32 v24, vcc, v24, v28
	v_addc_co_u32_e32 v27, vcc, 0, v27, vcc
	v_add_co_u32_e32 v24, vcc, v24, v26
	v_mul_hi_u32 v23, v19, v22
	v_addc_co_u32_e32 v24, vcc, v27, v25, vcc
	v_addc_co_u32_e32 v23, vcc, 0, v23, vcc
	v_mul_lo_u32 v22, v19, v22
	v_add_co_u32_e32 v22, vcc, v24, v22
	v_addc_co_u32_e32 v23, vcc, 0, v23, vcc
	v_add_co_u32_e32 v22, vcc, v18, v22
	v_addc_co_u32_e32 v23, vcc, v19, v23, vcc
	v_ashrrev_i32_e32 v24, 31, v21
	v_add_co_u32_e32 v18, vcc, v20, v24
	v_addc_co_u32_e32 v19, vcc, v21, v24, vcc
	v_xor_b32_e32 v26, v18, v24
	v_xor_b32_e32 v25, v19, v24
	v_mad_u64_u32 v[18:19], s[0:1], v26, v23, 0
	v_mul_hi_u32 v20, v26, v22
	v_add_co_u32_e32 v27, vcc, v20, v18
	v_addc_co_u32_e32 v28, vcc, 0, v19, vcc
	v_mad_u64_u32 v[20:21], s[0:1], v25, v22, 0
	v_add_co_u32_e32 v20, vcc, v27, v20
	v_mad_u64_u32 v[18:19], s[0:1], v25, v23, 0
	v_addc_co_u32_e32 v20, vcc, v28, v21, vcc
	v_addc_co_u32_e32 v19, vcc, 0, v19, vcc
	v_add_co_u32_e32 v20, vcc, v20, v18
	v_addc_co_u32_e32 v21, vcc, 0, v19, vcc
	v_mul_lo_u32 v22, s11, v20
	v_mul_lo_u32 v23, s10, v21
	v_mad_u64_u32 v[18:19], s[0:1], s10, v20, 0
	v_add3_u32 v19, v19, v23, v22
	v_sub_u32_e32 v22, v25, v19
	v_mov_b32_e32 v23, s11
	v_sub_co_u32_e32 v18, vcc, v26, v18
	v_subb_co_u32_e64 v22, s[0:1], v22, v23, vcc
	v_subrev_co_u32_e64 v23, s[0:1], s10, v18
	v_subbrev_co_u32_e64 v22, s[0:1], 0, v22, s[0:1]
	v_cmp_le_u32_e64 s[0:1], s11, v22
	v_cndmask_b32_e64 v26, 0, -1, s[0:1]
	v_cmp_le_u32_e64 s[0:1], s10, v23
	v_cndmask_b32_e64 v23, 0, -1, s[0:1]
	v_cmp_eq_u32_e64 s[0:1], s11, v22
	v_cndmask_b32_e64 v22, v26, v23, s[0:1]
	v_add_co_u32_e64 v23, s[0:1], 2, v20
	v_subb_co_u32_e32 v19, vcc, v25, v19, vcc
	v_addc_co_u32_e64 v26, s[0:1], 0, v21, s[0:1]
	v_cmp_le_u32_e32 vcc, s11, v19
	v_add_co_u32_e64 v27, s[0:1], 1, v20
	v_cndmask_b32_e64 v25, 0, -1, vcc
	v_cmp_le_u32_e32 vcc, s10, v18
	v_addc_co_u32_e64 v28, s[0:1], 0, v21, s[0:1]
	v_cndmask_b32_e64 v18, 0, -1, vcc
	v_cmp_eq_u32_e32 vcc, s11, v19
	v_cmp_ne_u32_e64 s[0:1], 0, v22
	v_cndmask_b32_e32 v18, v25, v18, vcc
	v_cndmask_b32_e64 v22, v28, v26, s[0:1]
	v_cmp_ne_u32_e32 vcc, 0, v18
	v_cndmask_b32_e64 v19, v27, v23, s[0:1]
	v_cndmask_b32_e32 v18, v21, v22, vcc
	v_cndmask_b32_e32 v19, v20, v19, vcc
	v_xor_b32_e32 v20, s8, v24
	v_xor_b32_e32 v21, v18, v20
	;; [unrolled: 1-line block ×3, first 2 shown]
	v_sub_co_u32_e32 v18, vcc, v18, v20
	v_subb_co_u32_e32 v19, vcc, v21, v20, vcc
                                        ; implicit-def: $vgpr20
.LBB1134_35:
	s_andn2_saveexec_b64 s[0:1], s[2:3]
	s_cbranch_execz .LBB1134_37
; %bb.36:
	v_cvt_f32_u32_e32 v18, s38
	s_sub_i32 s2, 0, s38
	v_rcp_iflag_f32_e32 v18, v18
	v_mul_f32_e32 v18, 0x4f7ffffe, v18
	v_cvt_u32_f32_e32 v18, v18
	v_mul_lo_u32 v19, s2, v18
	v_mul_hi_u32 v19, v18, v19
	v_add_u32_e32 v18, v18, v19
	v_mul_hi_u32 v18, v20, v18
	v_mul_lo_u32 v19, v18, s38
	v_sub_u32_e32 v19, v20, v19
	v_add_u32_e32 v21, 1, v18
	v_subrev_u32_e32 v20, s38, v19
	v_cmp_le_u32_e32 vcc, s38, v19
	v_cndmask_b32_e32 v19, v19, v20, vcc
	v_cndmask_b32_e32 v18, v18, v21, vcc
	v_add_u32_e32 v20, 1, v18
	v_cmp_le_u32_e32 vcc, s38, v19
	v_cndmask_b32_e32 v18, v18, v20, vcc
	v_mov_b32_e32 v19, 0
.LBB1134_37:
	s_or_b64 exec, exec, s[0:1]
	v_add_co_u32_e32 v22, vcc, 0x900, v30
	v_addc_co_u32_e32 v23, vcc, 0, v1, vcc
	v_or_b32_e32 v21, s39, v23
	v_mov_b32_e32 v20, 0
	v_cmp_ne_u64_e32 vcc, 0, v[20:21]
                                        ; implicit-def: $vgpr20_vgpr21
	s_and_saveexec_b64 s[0:1], vcc
	s_xor_b64 s[2:3], exec, s[0:1]
	s_cbranch_execz .LBB1134_39
; %bb.38:
	s_ashr_i32 s8, s39, 31
	s_add_u32 s0, s38, s8
	s_mov_b32 s9, s8
	s_addc_u32 s1, s39, s8
	s_xor_b64 s[10:11], s[0:1], s[8:9]
	v_cvt_f32_u32_e32 v20, s10
	v_cvt_f32_u32_e32 v21, s11
	s_sub_u32 s0, 0, s10
	s_subb_u32 s1, 0, s11
	v_madmk_f32 v20, v21, 0x4f800000, v20
	v_rcp_f32_e32 v20, v20
	v_mul_f32_e32 v20, 0x5f7ffffc, v20
	v_mul_f32_e32 v21, 0x2f800000, v20
	v_trunc_f32_e32 v21, v21
	v_madmk_f32 v20, v21, 0xcf800000, v20
	v_cvt_u32_f32_e32 v21, v21
	v_cvt_u32_f32_e32 v20, v20
	v_mul_lo_u32 v24, s0, v21
	v_mul_hi_u32 v26, s0, v20
	v_mul_lo_u32 v25, s1, v20
	v_add_u32_e32 v24, v26, v24
	v_mul_lo_u32 v27, s0, v20
	v_add_u32_e32 v24, v24, v25
	v_mul_lo_u32 v26, v20, v24
	v_mul_hi_u32 v28, v20, v27
	v_mul_hi_u32 v25, v20, v24
	v_add_co_u32_e32 v26, vcc, v28, v26
	v_addc_co_u32_e32 v25, vcc, 0, v25, vcc
	v_mul_hi_u32 v29, v21, v27
	v_mul_lo_u32 v27, v21, v27
	v_add_co_u32_e32 v26, vcc, v26, v27
	v_mul_hi_u32 v28, v21, v24
	v_addc_co_u32_e32 v25, vcc, v25, v29, vcc
	v_addc_co_u32_e32 v26, vcc, 0, v28, vcc
	v_mul_lo_u32 v24, v21, v24
	v_add_co_u32_e32 v24, vcc, v25, v24
	v_addc_co_u32_e32 v25, vcc, 0, v26, vcc
	v_add_co_u32_e32 v20, vcc, v20, v24
	v_addc_co_u32_e32 v21, vcc, v21, v25, vcc
	v_mul_lo_u32 v24, s0, v21
	v_mul_hi_u32 v25, s0, v20
	v_add_u32_e32 v24, v25, v24
	v_mul_lo_u32 v25, s1, v20
	v_add_u32_e32 v24, v24, v25
	v_mul_lo_u32 v26, s0, v20
	v_mul_hi_u32 v27, v21, v26
	v_mul_lo_u32 v28, v21, v26
	v_mul_lo_u32 v31, v20, v24
	v_mul_hi_u32 v26, v20, v26
	v_mul_hi_u32 v29, v20, v24
	v_add_co_u32_e32 v26, vcc, v26, v31
	v_addc_co_u32_e32 v29, vcc, 0, v29, vcc
	v_add_co_u32_e32 v26, vcc, v26, v28
	v_mul_hi_u32 v25, v21, v24
	v_addc_co_u32_e32 v26, vcc, v29, v27, vcc
	v_addc_co_u32_e32 v25, vcc, 0, v25, vcc
	v_mul_lo_u32 v24, v21, v24
	v_add_co_u32_e32 v24, vcc, v26, v24
	v_addc_co_u32_e32 v25, vcc, 0, v25, vcc
	v_add_co_u32_e32 v24, vcc, v20, v24
	v_addc_co_u32_e32 v25, vcc, v21, v25, vcc
	v_ashrrev_i32_e32 v26, 31, v23
	v_add_co_u32_e32 v20, vcc, v22, v26
	v_addc_co_u32_e32 v21, vcc, v23, v26, vcc
	v_xor_b32_e32 v28, v20, v26
	v_xor_b32_e32 v27, v21, v26
	v_mad_u64_u32 v[20:21], s[0:1], v28, v25, 0
	v_mul_hi_u32 v22, v28, v24
	v_add_co_u32_e32 v29, vcc, v22, v20
	v_addc_co_u32_e32 v31, vcc, 0, v21, vcc
	v_mad_u64_u32 v[22:23], s[0:1], v27, v24, 0
	v_add_co_u32_e32 v22, vcc, v29, v22
	v_mad_u64_u32 v[20:21], s[0:1], v27, v25, 0
	v_addc_co_u32_e32 v22, vcc, v31, v23, vcc
	v_addc_co_u32_e32 v21, vcc, 0, v21, vcc
	v_add_co_u32_e32 v22, vcc, v22, v20
	v_addc_co_u32_e32 v23, vcc, 0, v21, vcc
	v_mul_lo_u32 v24, s11, v22
	v_mul_lo_u32 v25, s10, v23
	v_mad_u64_u32 v[20:21], s[0:1], s10, v22, 0
	v_add3_u32 v21, v21, v25, v24
	v_sub_u32_e32 v24, v27, v21
	v_mov_b32_e32 v25, s11
	v_sub_co_u32_e32 v20, vcc, v28, v20
	v_subb_co_u32_e64 v24, s[0:1], v24, v25, vcc
	v_subrev_co_u32_e64 v25, s[0:1], s10, v20
	v_subbrev_co_u32_e64 v24, s[0:1], 0, v24, s[0:1]
	v_cmp_le_u32_e64 s[0:1], s11, v24
	v_cndmask_b32_e64 v28, 0, -1, s[0:1]
	v_cmp_le_u32_e64 s[0:1], s10, v25
	v_cndmask_b32_e64 v25, 0, -1, s[0:1]
	v_cmp_eq_u32_e64 s[0:1], s11, v24
	v_cndmask_b32_e64 v24, v28, v25, s[0:1]
	v_add_co_u32_e64 v25, s[0:1], 2, v22
	v_subb_co_u32_e32 v21, vcc, v27, v21, vcc
	v_addc_co_u32_e64 v28, s[0:1], 0, v23, s[0:1]
	v_cmp_le_u32_e32 vcc, s11, v21
	v_add_co_u32_e64 v29, s[0:1], 1, v22
	v_cndmask_b32_e64 v27, 0, -1, vcc
	v_cmp_le_u32_e32 vcc, s10, v20
	v_addc_co_u32_e64 v31, s[0:1], 0, v23, s[0:1]
	v_cndmask_b32_e64 v20, 0, -1, vcc
	v_cmp_eq_u32_e32 vcc, s11, v21
	v_cmp_ne_u32_e64 s[0:1], 0, v24
	v_cndmask_b32_e32 v20, v27, v20, vcc
	v_cndmask_b32_e64 v24, v31, v28, s[0:1]
	v_cmp_ne_u32_e32 vcc, 0, v20
	v_cndmask_b32_e64 v21, v29, v25, s[0:1]
	v_cndmask_b32_e32 v20, v23, v24, vcc
	v_cndmask_b32_e32 v21, v22, v21, vcc
	v_xor_b32_e32 v22, s8, v26
	v_xor_b32_e32 v23, v20, v22
	v_xor_b32_e32 v20, v21, v22
	v_sub_co_u32_e32 v20, vcc, v20, v22
	v_subb_co_u32_e32 v21, vcc, v23, v22, vcc
                                        ; implicit-def: $vgpr22
.LBB1134_39:
	s_andn2_saveexec_b64 s[0:1], s[2:3]
	s_cbranch_execz .LBB1134_41
; %bb.40:
	v_cvt_f32_u32_e32 v20, s38
	s_sub_i32 s2, 0, s38
	v_rcp_iflag_f32_e32 v20, v20
	v_mul_f32_e32 v20, 0x4f7ffffe, v20
	v_cvt_u32_f32_e32 v20, v20
	v_mul_lo_u32 v21, s2, v20
	v_mul_hi_u32 v21, v20, v21
	v_add_u32_e32 v20, v20, v21
	v_mul_hi_u32 v20, v22, v20
	v_mul_lo_u32 v21, v20, s38
	v_sub_u32_e32 v21, v22, v21
	v_add_u32_e32 v23, 1, v20
	v_subrev_u32_e32 v22, s38, v21
	v_cmp_le_u32_e32 vcc, s38, v21
	v_cndmask_b32_e32 v21, v21, v22, vcc
	v_cndmask_b32_e32 v20, v20, v23, vcc
	v_add_u32_e32 v22, 1, v20
	v_cmp_le_u32_e32 vcc, s38, v21
	v_cndmask_b32_e32 v20, v20, v22, vcc
	v_mov_b32_e32 v21, 0
.LBB1134_41:
	s_or_b64 exec, exec, s[0:1]
	v_add_co_u32_e32 v24, vcc, 0xa00, v30
	v_addc_co_u32_e32 v25, vcc, 0, v1, vcc
	v_or_b32_e32 v23, s39, v25
	v_mov_b32_e32 v22, 0
	v_cmp_ne_u64_e32 vcc, 0, v[22:23]
                                        ; implicit-def: $vgpr22_vgpr23
	s_and_saveexec_b64 s[0:1], vcc
	s_xor_b64 s[2:3], exec, s[0:1]
	s_cbranch_execz .LBB1134_43
; %bb.42:
	s_ashr_i32 s8, s39, 31
	s_add_u32 s0, s38, s8
	s_mov_b32 s9, s8
	s_addc_u32 s1, s39, s8
	s_xor_b64 s[10:11], s[0:1], s[8:9]
	v_cvt_f32_u32_e32 v22, s10
	v_cvt_f32_u32_e32 v23, s11
	s_sub_u32 s0, 0, s10
	s_subb_u32 s1, 0, s11
	v_madmk_f32 v22, v23, 0x4f800000, v22
	v_rcp_f32_e32 v22, v22
	v_mul_f32_e32 v22, 0x5f7ffffc, v22
	v_mul_f32_e32 v23, 0x2f800000, v22
	v_trunc_f32_e32 v23, v23
	v_madmk_f32 v22, v23, 0xcf800000, v22
	v_cvt_u32_f32_e32 v23, v23
	v_cvt_u32_f32_e32 v22, v22
	v_mul_lo_u32 v26, s0, v23
	v_mul_hi_u32 v28, s0, v22
	v_mul_lo_u32 v27, s1, v22
	v_add_u32_e32 v26, v28, v26
	v_mul_lo_u32 v29, s0, v22
	v_add_u32_e32 v26, v26, v27
	v_mul_lo_u32 v28, v22, v26
	v_mul_hi_u32 v31, v22, v29
	v_mul_hi_u32 v27, v22, v26
	v_add_co_u32_e32 v28, vcc, v31, v28
	v_addc_co_u32_e32 v27, vcc, 0, v27, vcc
	v_mul_hi_u32 v32, v23, v29
	v_mul_lo_u32 v29, v23, v29
	v_add_co_u32_e32 v28, vcc, v28, v29
	v_mul_hi_u32 v31, v23, v26
	v_addc_co_u32_e32 v27, vcc, v27, v32, vcc
	v_addc_co_u32_e32 v28, vcc, 0, v31, vcc
	v_mul_lo_u32 v26, v23, v26
	v_add_co_u32_e32 v26, vcc, v27, v26
	v_addc_co_u32_e32 v27, vcc, 0, v28, vcc
	v_add_co_u32_e32 v22, vcc, v22, v26
	v_addc_co_u32_e32 v23, vcc, v23, v27, vcc
	v_mul_lo_u32 v26, s0, v23
	v_mul_hi_u32 v27, s0, v22
	v_add_u32_e32 v26, v27, v26
	v_mul_lo_u32 v27, s1, v22
	v_add_u32_e32 v26, v26, v27
	v_mul_lo_u32 v28, s0, v22
	v_mul_hi_u32 v29, v23, v28
	v_mul_lo_u32 v31, v23, v28
	v_mul_lo_u32 v33, v22, v26
	v_mul_hi_u32 v28, v22, v28
	v_mul_hi_u32 v32, v22, v26
	v_add_co_u32_e32 v28, vcc, v28, v33
	v_addc_co_u32_e32 v32, vcc, 0, v32, vcc
	v_add_co_u32_e32 v28, vcc, v28, v31
	v_mul_hi_u32 v27, v23, v26
	v_addc_co_u32_e32 v28, vcc, v32, v29, vcc
	v_addc_co_u32_e32 v27, vcc, 0, v27, vcc
	v_mul_lo_u32 v26, v23, v26
	v_add_co_u32_e32 v26, vcc, v28, v26
	v_addc_co_u32_e32 v27, vcc, 0, v27, vcc
	v_add_co_u32_e32 v26, vcc, v22, v26
	v_addc_co_u32_e32 v27, vcc, v23, v27, vcc
	v_ashrrev_i32_e32 v28, 31, v25
	v_add_co_u32_e32 v22, vcc, v24, v28
	v_addc_co_u32_e32 v23, vcc, v25, v28, vcc
	v_xor_b32_e32 v31, v22, v28
	v_xor_b32_e32 v29, v23, v28
	v_mad_u64_u32 v[22:23], s[0:1], v31, v27, 0
	v_mul_hi_u32 v24, v31, v26
	v_add_co_u32_e32 v32, vcc, v24, v22
	v_addc_co_u32_e32 v33, vcc, 0, v23, vcc
	v_mad_u64_u32 v[24:25], s[0:1], v29, v26, 0
	v_add_co_u32_e32 v24, vcc, v32, v24
	v_mad_u64_u32 v[22:23], s[0:1], v29, v27, 0
	v_addc_co_u32_e32 v24, vcc, v33, v25, vcc
	v_addc_co_u32_e32 v23, vcc, 0, v23, vcc
	v_add_co_u32_e32 v24, vcc, v24, v22
	v_addc_co_u32_e32 v25, vcc, 0, v23, vcc
	v_mul_lo_u32 v26, s11, v24
	v_mul_lo_u32 v27, s10, v25
	v_mad_u64_u32 v[22:23], s[0:1], s10, v24, 0
	v_add3_u32 v23, v23, v27, v26
	v_sub_u32_e32 v26, v29, v23
	v_mov_b32_e32 v27, s11
	v_sub_co_u32_e32 v22, vcc, v31, v22
	v_subb_co_u32_e64 v26, s[0:1], v26, v27, vcc
	v_subrev_co_u32_e64 v27, s[0:1], s10, v22
	v_subbrev_co_u32_e64 v26, s[0:1], 0, v26, s[0:1]
	v_cmp_le_u32_e64 s[0:1], s11, v26
	v_cndmask_b32_e64 v31, 0, -1, s[0:1]
	v_cmp_le_u32_e64 s[0:1], s10, v27
	v_cndmask_b32_e64 v27, 0, -1, s[0:1]
	v_cmp_eq_u32_e64 s[0:1], s11, v26
	v_cndmask_b32_e64 v26, v31, v27, s[0:1]
	v_add_co_u32_e64 v27, s[0:1], 2, v24
	v_subb_co_u32_e32 v23, vcc, v29, v23, vcc
	v_addc_co_u32_e64 v31, s[0:1], 0, v25, s[0:1]
	v_cmp_le_u32_e32 vcc, s11, v23
	v_add_co_u32_e64 v32, s[0:1], 1, v24
	v_cndmask_b32_e64 v29, 0, -1, vcc
	v_cmp_le_u32_e32 vcc, s10, v22
	v_addc_co_u32_e64 v33, s[0:1], 0, v25, s[0:1]
	v_cndmask_b32_e64 v22, 0, -1, vcc
	v_cmp_eq_u32_e32 vcc, s11, v23
	v_cmp_ne_u32_e64 s[0:1], 0, v26
	v_cndmask_b32_e32 v22, v29, v22, vcc
	v_cndmask_b32_e64 v26, v33, v31, s[0:1]
	v_cmp_ne_u32_e32 vcc, 0, v22
	v_cndmask_b32_e64 v23, v32, v27, s[0:1]
	v_cndmask_b32_e32 v22, v25, v26, vcc
	v_cndmask_b32_e32 v23, v24, v23, vcc
	v_xor_b32_e32 v24, s8, v28
	v_xor_b32_e32 v25, v22, v24
	;; [unrolled: 1-line block ×3, first 2 shown]
	v_sub_co_u32_e32 v22, vcc, v22, v24
	v_subb_co_u32_e32 v23, vcc, v25, v24, vcc
                                        ; implicit-def: $vgpr24
.LBB1134_43:
	s_andn2_saveexec_b64 s[0:1], s[2:3]
	s_cbranch_execz .LBB1134_45
; %bb.44:
	v_cvt_f32_u32_e32 v22, s38
	s_sub_i32 s2, 0, s38
	v_rcp_iflag_f32_e32 v22, v22
	v_mul_f32_e32 v22, 0x4f7ffffe, v22
	v_cvt_u32_f32_e32 v22, v22
	v_mul_lo_u32 v23, s2, v22
	v_mul_hi_u32 v23, v22, v23
	v_add_u32_e32 v22, v22, v23
	v_mul_hi_u32 v22, v24, v22
	v_mul_lo_u32 v23, v22, s38
	v_sub_u32_e32 v23, v24, v23
	v_add_u32_e32 v25, 1, v22
	v_subrev_u32_e32 v24, s38, v23
	v_cmp_le_u32_e32 vcc, s38, v23
	v_cndmask_b32_e32 v23, v23, v24, vcc
	v_cndmask_b32_e32 v22, v22, v25, vcc
	v_add_u32_e32 v24, 1, v22
	v_cmp_le_u32_e32 vcc, s38, v23
	v_cndmask_b32_e32 v22, v22, v24, vcc
	v_mov_b32_e32 v23, 0
.LBB1134_45:
	s_or_b64 exec, exec, s[0:1]
	v_add_co_u32_e32 v26, vcc, 0xb00, v30
	v_addc_co_u32_e32 v27, vcc, 0, v1, vcc
	v_or_b32_e32 v25, s39, v27
	v_mov_b32_e32 v24, 0
	v_cmp_ne_u64_e32 vcc, 0, v[24:25]
                                        ; implicit-def: $vgpr24_vgpr25
	s_and_saveexec_b64 s[0:1], vcc
	s_xor_b64 s[2:3], exec, s[0:1]
	s_cbranch_execz .LBB1134_47
; %bb.46:
	s_ashr_i32 s8, s39, 31
	s_add_u32 s0, s38, s8
	s_mov_b32 s9, s8
	s_addc_u32 s1, s39, s8
	s_xor_b64 s[10:11], s[0:1], s[8:9]
	v_cvt_f32_u32_e32 v24, s10
	v_cvt_f32_u32_e32 v25, s11
	s_sub_u32 s0, 0, s10
	s_subb_u32 s1, 0, s11
	v_madmk_f32 v24, v25, 0x4f800000, v24
	v_rcp_f32_e32 v24, v24
	v_mul_f32_e32 v24, 0x5f7ffffc, v24
	v_mul_f32_e32 v25, 0x2f800000, v24
	v_trunc_f32_e32 v25, v25
	v_madmk_f32 v24, v25, 0xcf800000, v24
	v_cvt_u32_f32_e32 v25, v25
	v_cvt_u32_f32_e32 v24, v24
	v_mul_lo_u32 v28, s0, v25
	v_mul_hi_u32 v31, s0, v24
	v_mul_lo_u32 v29, s1, v24
	v_add_u32_e32 v28, v31, v28
	v_mul_lo_u32 v32, s0, v24
	v_add_u32_e32 v28, v28, v29
	v_mul_lo_u32 v31, v24, v28
	v_mul_hi_u32 v33, v24, v32
	v_mul_hi_u32 v29, v24, v28
	v_add_co_u32_e32 v31, vcc, v33, v31
	v_addc_co_u32_e32 v29, vcc, 0, v29, vcc
	v_mul_hi_u32 v34, v25, v32
	v_mul_lo_u32 v32, v25, v32
	v_add_co_u32_e32 v31, vcc, v31, v32
	v_mul_hi_u32 v33, v25, v28
	v_addc_co_u32_e32 v29, vcc, v29, v34, vcc
	v_addc_co_u32_e32 v31, vcc, 0, v33, vcc
	v_mul_lo_u32 v28, v25, v28
	v_add_co_u32_e32 v28, vcc, v29, v28
	v_addc_co_u32_e32 v29, vcc, 0, v31, vcc
	v_add_co_u32_e32 v24, vcc, v24, v28
	v_addc_co_u32_e32 v25, vcc, v25, v29, vcc
	v_mul_lo_u32 v28, s0, v25
	v_mul_hi_u32 v29, s0, v24
	v_add_u32_e32 v28, v29, v28
	v_mul_lo_u32 v29, s1, v24
	v_add_u32_e32 v28, v28, v29
	v_mul_lo_u32 v31, s0, v24
	v_mul_hi_u32 v32, v25, v31
	v_mul_lo_u32 v33, v25, v31
	v_mul_lo_u32 v35, v24, v28
	v_mul_hi_u32 v31, v24, v31
	v_mul_hi_u32 v34, v24, v28
	v_add_co_u32_e32 v31, vcc, v31, v35
	v_addc_co_u32_e32 v34, vcc, 0, v34, vcc
	v_add_co_u32_e32 v31, vcc, v31, v33
	v_mul_hi_u32 v29, v25, v28
	v_addc_co_u32_e32 v31, vcc, v34, v32, vcc
	v_addc_co_u32_e32 v29, vcc, 0, v29, vcc
	v_mul_lo_u32 v28, v25, v28
	v_add_co_u32_e32 v28, vcc, v31, v28
	v_addc_co_u32_e32 v29, vcc, 0, v29, vcc
	v_add_co_u32_e32 v28, vcc, v24, v28
	v_addc_co_u32_e32 v29, vcc, v25, v29, vcc
	v_ashrrev_i32_e32 v31, 31, v27
	v_add_co_u32_e32 v24, vcc, v26, v31
	v_addc_co_u32_e32 v25, vcc, v27, v31, vcc
	v_xor_b32_e32 v33, v24, v31
	v_xor_b32_e32 v32, v25, v31
	v_mad_u64_u32 v[24:25], s[0:1], v33, v29, 0
	v_mul_hi_u32 v26, v33, v28
	v_add_co_u32_e32 v34, vcc, v26, v24
	v_addc_co_u32_e32 v35, vcc, 0, v25, vcc
	v_mad_u64_u32 v[26:27], s[0:1], v32, v28, 0
	v_add_co_u32_e32 v26, vcc, v34, v26
	v_mad_u64_u32 v[24:25], s[0:1], v32, v29, 0
	v_addc_co_u32_e32 v26, vcc, v35, v27, vcc
	v_addc_co_u32_e32 v25, vcc, 0, v25, vcc
	v_add_co_u32_e32 v26, vcc, v26, v24
	v_addc_co_u32_e32 v27, vcc, 0, v25, vcc
	v_mul_lo_u32 v28, s11, v26
	v_mul_lo_u32 v29, s10, v27
	v_mad_u64_u32 v[24:25], s[0:1], s10, v26, 0
	v_add3_u32 v25, v25, v29, v28
	v_sub_u32_e32 v28, v32, v25
	v_mov_b32_e32 v29, s11
	v_sub_co_u32_e32 v24, vcc, v33, v24
	v_subb_co_u32_e64 v28, s[0:1], v28, v29, vcc
	v_subrev_co_u32_e64 v29, s[0:1], s10, v24
	v_subbrev_co_u32_e64 v28, s[0:1], 0, v28, s[0:1]
	v_cmp_le_u32_e64 s[0:1], s11, v28
	v_cndmask_b32_e64 v33, 0, -1, s[0:1]
	v_cmp_le_u32_e64 s[0:1], s10, v29
	v_cndmask_b32_e64 v29, 0, -1, s[0:1]
	v_cmp_eq_u32_e64 s[0:1], s11, v28
	v_cndmask_b32_e64 v28, v33, v29, s[0:1]
	v_add_co_u32_e64 v29, s[0:1], 2, v26
	v_subb_co_u32_e32 v25, vcc, v32, v25, vcc
	v_addc_co_u32_e64 v33, s[0:1], 0, v27, s[0:1]
	v_cmp_le_u32_e32 vcc, s11, v25
	v_add_co_u32_e64 v34, s[0:1], 1, v26
	v_cndmask_b32_e64 v32, 0, -1, vcc
	v_cmp_le_u32_e32 vcc, s10, v24
	v_addc_co_u32_e64 v35, s[0:1], 0, v27, s[0:1]
	v_cndmask_b32_e64 v24, 0, -1, vcc
	v_cmp_eq_u32_e32 vcc, s11, v25
	v_cmp_ne_u32_e64 s[0:1], 0, v28
	v_cndmask_b32_e32 v24, v32, v24, vcc
	v_cndmask_b32_e64 v28, v35, v33, s[0:1]
	v_cmp_ne_u32_e32 vcc, 0, v24
	v_cndmask_b32_e64 v25, v34, v29, s[0:1]
	v_cndmask_b32_e32 v24, v27, v28, vcc
	v_cndmask_b32_e32 v25, v26, v25, vcc
	v_xor_b32_e32 v26, s8, v31
	v_xor_b32_e32 v27, v24, v26
	;; [unrolled: 1-line block ×3, first 2 shown]
	v_sub_co_u32_e32 v24, vcc, v24, v26
	v_subb_co_u32_e32 v25, vcc, v27, v26, vcc
                                        ; implicit-def: $vgpr26
.LBB1134_47:
	s_andn2_saveexec_b64 s[0:1], s[2:3]
	s_cbranch_execz .LBB1134_49
; %bb.48:
	v_cvt_f32_u32_e32 v24, s38
	s_sub_i32 s2, 0, s38
	v_rcp_iflag_f32_e32 v24, v24
	v_mul_f32_e32 v24, 0x4f7ffffe, v24
	v_cvt_u32_f32_e32 v24, v24
	v_mul_lo_u32 v25, s2, v24
	v_mul_hi_u32 v25, v24, v25
	v_add_u32_e32 v24, v24, v25
	v_mul_hi_u32 v24, v26, v24
	v_mul_lo_u32 v25, v24, s38
	v_sub_u32_e32 v25, v26, v25
	v_add_u32_e32 v27, 1, v24
	v_subrev_u32_e32 v26, s38, v25
	v_cmp_le_u32_e32 vcc, s38, v25
	v_cndmask_b32_e32 v25, v25, v26, vcc
	v_cndmask_b32_e32 v24, v24, v27, vcc
	v_add_u32_e32 v26, 1, v24
	v_cmp_le_u32_e32 vcc, s38, v25
	v_cndmask_b32_e32 v24, v24, v26, vcc
	v_mov_b32_e32 v25, 0
.LBB1134_49:
	s_or_b64 exec, exec, s[0:1]
	v_add_co_u32_e32 v28, vcc, 0xc00, v30
	v_addc_co_u32_e32 v29, vcc, 0, v1, vcc
	v_or_b32_e32 v27, s39, v29
	v_mov_b32_e32 v26, 0
	v_cmp_ne_u64_e32 vcc, 0, v[26:27]
                                        ; implicit-def: $vgpr26_vgpr27
	s_and_saveexec_b64 s[0:1], vcc
	s_xor_b64 s[2:3], exec, s[0:1]
	s_cbranch_execz .LBB1134_51
; %bb.50:
	s_ashr_i32 s8, s39, 31
	s_add_u32 s0, s38, s8
	s_mov_b32 s9, s8
	s_addc_u32 s1, s39, s8
	s_xor_b64 s[10:11], s[0:1], s[8:9]
	v_cvt_f32_u32_e32 v26, s10
	v_cvt_f32_u32_e32 v27, s11
	s_sub_u32 s0, 0, s10
	s_subb_u32 s1, 0, s11
	v_madmk_f32 v26, v27, 0x4f800000, v26
	v_rcp_f32_e32 v26, v26
	v_mul_f32_e32 v26, 0x5f7ffffc, v26
	v_mul_f32_e32 v27, 0x2f800000, v26
	v_trunc_f32_e32 v27, v27
	v_madmk_f32 v26, v27, 0xcf800000, v26
	v_cvt_u32_f32_e32 v27, v27
	v_cvt_u32_f32_e32 v26, v26
	v_mul_lo_u32 v31, s0, v27
	v_mul_hi_u32 v33, s0, v26
	v_mul_lo_u32 v32, s1, v26
	v_add_u32_e32 v31, v33, v31
	v_mul_lo_u32 v34, s0, v26
	v_add_u32_e32 v31, v31, v32
	v_mul_lo_u32 v33, v26, v31
	v_mul_hi_u32 v35, v26, v34
	v_mul_hi_u32 v32, v26, v31
	v_add_co_u32_e32 v33, vcc, v35, v33
	v_addc_co_u32_e32 v32, vcc, 0, v32, vcc
	v_mul_hi_u32 v36, v27, v34
	v_mul_lo_u32 v34, v27, v34
	v_add_co_u32_e32 v33, vcc, v33, v34
	v_mul_hi_u32 v35, v27, v31
	v_addc_co_u32_e32 v32, vcc, v32, v36, vcc
	v_addc_co_u32_e32 v33, vcc, 0, v35, vcc
	v_mul_lo_u32 v31, v27, v31
	v_add_co_u32_e32 v31, vcc, v32, v31
	v_addc_co_u32_e32 v32, vcc, 0, v33, vcc
	v_add_co_u32_e32 v26, vcc, v26, v31
	v_addc_co_u32_e32 v27, vcc, v27, v32, vcc
	v_mul_lo_u32 v31, s0, v27
	v_mul_hi_u32 v32, s0, v26
	v_add_u32_e32 v31, v32, v31
	v_mul_lo_u32 v32, s1, v26
	v_add_u32_e32 v31, v31, v32
	v_mul_lo_u32 v33, s0, v26
	v_mul_hi_u32 v34, v27, v33
	v_mul_lo_u32 v35, v27, v33
	v_mul_lo_u32 v37, v26, v31
	v_mul_hi_u32 v33, v26, v33
	v_mul_hi_u32 v36, v26, v31
	v_add_co_u32_e32 v33, vcc, v33, v37
	v_addc_co_u32_e32 v36, vcc, 0, v36, vcc
	v_add_co_u32_e32 v33, vcc, v33, v35
	v_mul_hi_u32 v32, v27, v31
	v_addc_co_u32_e32 v33, vcc, v36, v34, vcc
	v_addc_co_u32_e32 v32, vcc, 0, v32, vcc
	v_mul_lo_u32 v31, v27, v31
	v_add_co_u32_e32 v31, vcc, v33, v31
	v_addc_co_u32_e32 v32, vcc, 0, v32, vcc
	v_add_co_u32_e32 v31, vcc, v26, v31
	v_addc_co_u32_e32 v32, vcc, v27, v32, vcc
	v_ashrrev_i32_e32 v33, 31, v29
	v_add_co_u32_e32 v26, vcc, v28, v33
	v_addc_co_u32_e32 v27, vcc, v29, v33, vcc
	v_xor_b32_e32 v35, v26, v33
	v_xor_b32_e32 v34, v27, v33
	v_mad_u64_u32 v[26:27], s[0:1], v35, v32, 0
	v_mul_hi_u32 v28, v35, v31
	v_add_co_u32_e32 v36, vcc, v28, v26
	v_addc_co_u32_e32 v37, vcc, 0, v27, vcc
	v_mad_u64_u32 v[28:29], s[0:1], v34, v31, 0
	v_add_co_u32_e32 v28, vcc, v36, v28
	v_mad_u64_u32 v[26:27], s[0:1], v34, v32, 0
	v_addc_co_u32_e32 v28, vcc, v37, v29, vcc
	v_addc_co_u32_e32 v27, vcc, 0, v27, vcc
	v_add_co_u32_e32 v28, vcc, v28, v26
	v_addc_co_u32_e32 v29, vcc, 0, v27, vcc
	v_mul_lo_u32 v31, s11, v28
	v_mul_lo_u32 v32, s10, v29
	v_mad_u64_u32 v[26:27], s[0:1], s10, v28, 0
	v_add3_u32 v27, v27, v32, v31
	v_sub_u32_e32 v31, v34, v27
	v_mov_b32_e32 v32, s11
	v_sub_co_u32_e32 v26, vcc, v35, v26
	v_subb_co_u32_e64 v31, s[0:1], v31, v32, vcc
	v_subrev_co_u32_e64 v32, s[0:1], s10, v26
	v_subbrev_co_u32_e64 v31, s[0:1], 0, v31, s[0:1]
	v_cmp_le_u32_e64 s[0:1], s11, v31
	v_cndmask_b32_e64 v35, 0, -1, s[0:1]
	v_cmp_le_u32_e64 s[0:1], s10, v32
	v_cndmask_b32_e64 v32, 0, -1, s[0:1]
	v_cmp_eq_u32_e64 s[0:1], s11, v31
	v_cndmask_b32_e64 v31, v35, v32, s[0:1]
	v_add_co_u32_e64 v32, s[0:1], 2, v28
	v_subb_co_u32_e32 v27, vcc, v34, v27, vcc
	v_addc_co_u32_e64 v35, s[0:1], 0, v29, s[0:1]
	v_cmp_le_u32_e32 vcc, s11, v27
	v_add_co_u32_e64 v36, s[0:1], 1, v28
	v_cndmask_b32_e64 v34, 0, -1, vcc
	v_cmp_le_u32_e32 vcc, s10, v26
	v_addc_co_u32_e64 v37, s[0:1], 0, v29, s[0:1]
	v_cndmask_b32_e64 v26, 0, -1, vcc
	v_cmp_eq_u32_e32 vcc, s11, v27
	v_cmp_ne_u32_e64 s[0:1], 0, v31
	v_cndmask_b32_e32 v26, v34, v26, vcc
	v_cndmask_b32_e64 v31, v37, v35, s[0:1]
	v_cmp_ne_u32_e32 vcc, 0, v26
	v_cndmask_b32_e64 v27, v36, v32, s[0:1]
	v_cndmask_b32_e32 v26, v29, v31, vcc
	v_cndmask_b32_e32 v27, v28, v27, vcc
	v_xor_b32_e32 v28, s8, v33
	v_xor_b32_e32 v29, v26, v28
	;; [unrolled: 1-line block ×3, first 2 shown]
	v_sub_co_u32_e32 v26, vcc, v26, v28
	v_subb_co_u32_e32 v27, vcc, v29, v28, vcc
                                        ; implicit-def: $vgpr28
.LBB1134_51:
	s_andn2_saveexec_b64 s[0:1], s[2:3]
	s_cbranch_execz .LBB1134_53
; %bb.52:
	v_cvt_f32_u32_e32 v26, s38
	s_sub_i32 s2, 0, s38
	v_rcp_iflag_f32_e32 v26, v26
	v_mul_f32_e32 v26, 0x4f7ffffe, v26
	v_cvt_u32_f32_e32 v26, v26
	v_mul_lo_u32 v27, s2, v26
	v_mul_hi_u32 v27, v26, v27
	v_add_u32_e32 v26, v26, v27
	v_mul_hi_u32 v26, v28, v26
	v_mul_lo_u32 v27, v26, s38
	v_sub_u32_e32 v27, v28, v27
	v_add_u32_e32 v29, 1, v26
	v_subrev_u32_e32 v28, s38, v27
	v_cmp_le_u32_e32 vcc, s38, v27
	v_cndmask_b32_e32 v27, v27, v28, vcc
	v_cndmask_b32_e32 v26, v26, v29, vcc
	v_add_u32_e32 v28, 1, v26
	v_cmp_le_u32_e32 vcc, s38, v27
	v_cndmask_b32_e32 v26, v26, v28, vcc
	v_mov_b32_e32 v27, 0
.LBB1134_53:
	s_or_b64 exec, exec, s[0:1]
	v_add_co_u32_e32 v31, vcc, 0xd00, v30
	v_addc_co_u32_e32 v32, vcc, 0, v1, vcc
	v_or_b32_e32 v29, s39, v32
	v_mov_b32_e32 v28, 0
	v_cmp_ne_u64_e32 vcc, 0, v[28:29]
                                        ; implicit-def: $vgpr28_vgpr29
	s_and_saveexec_b64 s[0:1], vcc
	s_xor_b64 s[2:3], exec, s[0:1]
	s_cbranch_execz .LBB1134_55
; %bb.54:
	s_ashr_i32 s8, s39, 31
	s_add_u32 s0, s38, s8
	s_mov_b32 s9, s8
	s_addc_u32 s1, s39, s8
	s_xor_b64 s[10:11], s[0:1], s[8:9]
	v_cvt_f32_u32_e32 v28, s10
	v_cvt_f32_u32_e32 v29, s11
	s_sub_u32 s0, 0, s10
	s_subb_u32 s1, 0, s11
	v_madmk_f32 v28, v29, 0x4f800000, v28
	v_rcp_f32_e32 v28, v28
	v_mul_f32_e32 v28, 0x5f7ffffc, v28
	v_mul_f32_e32 v29, 0x2f800000, v28
	v_trunc_f32_e32 v29, v29
	v_madmk_f32 v28, v29, 0xcf800000, v28
	v_cvt_u32_f32_e32 v29, v29
	v_cvt_u32_f32_e32 v28, v28
	v_mul_lo_u32 v33, s0, v29
	v_mul_hi_u32 v35, s0, v28
	v_mul_lo_u32 v34, s1, v28
	v_add_u32_e32 v33, v35, v33
	v_mul_lo_u32 v36, s0, v28
	v_add_u32_e32 v33, v33, v34
	v_mul_lo_u32 v35, v28, v33
	v_mul_hi_u32 v37, v28, v36
	v_mul_hi_u32 v34, v28, v33
	v_add_co_u32_e32 v35, vcc, v37, v35
	v_addc_co_u32_e32 v34, vcc, 0, v34, vcc
	v_mul_hi_u32 v38, v29, v36
	v_mul_lo_u32 v36, v29, v36
	v_add_co_u32_e32 v35, vcc, v35, v36
	v_mul_hi_u32 v37, v29, v33
	v_addc_co_u32_e32 v34, vcc, v34, v38, vcc
	v_addc_co_u32_e32 v35, vcc, 0, v37, vcc
	v_mul_lo_u32 v33, v29, v33
	v_add_co_u32_e32 v33, vcc, v34, v33
	v_addc_co_u32_e32 v34, vcc, 0, v35, vcc
	v_add_co_u32_e32 v28, vcc, v28, v33
	v_addc_co_u32_e32 v29, vcc, v29, v34, vcc
	v_mul_lo_u32 v33, s0, v29
	v_mul_hi_u32 v34, s0, v28
	v_add_u32_e32 v33, v34, v33
	v_mul_lo_u32 v34, s1, v28
	v_add_u32_e32 v33, v33, v34
	v_mul_lo_u32 v35, s0, v28
	v_mul_hi_u32 v36, v29, v35
	v_mul_lo_u32 v37, v29, v35
	v_mul_lo_u32 v39, v28, v33
	v_mul_hi_u32 v35, v28, v35
	v_mul_hi_u32 v38, v28, v33
	v_add_co_u32_e32 v35, vcc, v35, v39
	v_addc_co_u32_e32 v38, vcc, 0, v38, vcc
	v_add_co_u32_e32 v35, vcc, v35, v37
	v_mul_hi_u32 v34, v29, v33
	v_addc_co_u32_e32 v35, vcc, v38, v36, vcc
	v_addc_co_u32_e32 v34, vcc, 0, v34, vcc
	v_mul_lo_u32 v33, v29, v33
	v_add_co_u32_e32 v33, vcc, v35, v33
	v_addc_co_u32_e32 v34, vcc, 0, v34, vcc
	v_add_co_u32_e32 v33, vcc, v28, v33
	v_addc_co_u32_e32 v34, vcc, v29, v34, vcc
	v_ashrrev_i32_e32 v35, 31, v32
	v_add_co_u32_e32 v28, vcc, v31, v35
	v_addc_co_u32_e32 v29, vcc, v32, v35, vcc
	v_xor_b32_e32 v36, v28, v35
	v_xor_b32_e32 v31, v29, v35
	v_mad_u64_u32 v[28:29], s[0:1], v36, v34, 0
	v_mul_hi_u32 v32, v36, v33
	v_add_co_u32_e32 v37, vcc, v32, v28
	v_addc_co_u32_e32 v38, vcc, 0, v29, vcc
	v_mad_u64_u32 v[32:33], s[0:1], v31, v33, 0
	v_add_co_u32_e32 v32, vcc, v37, v32
	v_mad_u64_u32 v[28:29], s[0:1], v31, v34, 0
	v_addc_co_u32_e32 v32, vcc, v38, v33, vcc
	v_addc_co_u32_e32 v29, vcc, 0, v29, vcc
	v_add_co_u32_e32 v32, vcc, v32, v28
	v_addc_co_u32_e32 v33, vcc, 0, v29, vcc
	v_mul_lo_u32 v34, s11, v32
	v_mul_lo_u32 v37, s10, v33
	v_mad_u64_u32 v[28:29], s[0:1], s10, v32, 0
	v_add3_u32 v29, v29, v37, v34
	v_sub_u32_e32 v34, v31, v29
	v_mov_b32_e32 v37, s11
	v_sub_co_u32_e32 v28, vcc, v36, v28
	v_subb_co_u32_e64 v34, s[0:1], v34, v37, vcc
	v_subrev_co_u32_e64 v36, s[0:1], s10, v28
	v_subbrev_co_u32_e64 v34, s[0:1], 0, v34, s[0:1]
	v_cmp_le_u32_e64 s[0:1], s11, v34
	v_cndmask_b32_e64 v37, 0, -1, s[0:1]
	v_cmp_le_u32_e64 s[0:1], s10, v36
	v_cndmask_b32_e64 v36, 0, -1, s[0:1]
	v_cmp_eq_u32_e64 s[0:1], s11, v34
	v_cndmask_b32_e64 v34, v37, v36, s[0:1]
	v_add_co_u32_e64 v36, s[0:1], 2, v32
	v_subb_co_u32_e32 v29, vcc, v31, v29, vcc
	v_addc_co_u32_e64 v37, s[0:1], 0, v33, s[0:1]
	v_cmp_le_u32_e32 vcc, s11, v29
	v_add_co_u32_e64 v38, s[0:1], 1, v32
	v_cndmask_b32_e64 v31, 0, -1, vcc
	v_cmp_le_u32_e32 vcc, s10, v28
	v_addc_co_u32_e64 v39, s[0:1], 0, v33, s[0:1]
	v_cndmask_b32_e64 v28, 0, -1, vcc
	v_cmp_eq_u32_e32 vcc, s11, v29
	v_cmp_ne_u32_e64 s[0:1], 0, v34
	v_cndmask_b32_e32 v28, v31, v28, vcc
	v_cndmask_b32_e64 v34, v39, v37, s[0:1]
	v_cmp_ne_u32_e32 vcc, 0, v28
	v_cndmask_b32_e64 v29, v38, v36, s[0:1]
	v_cndmask_b32_e32 v28, v33, v34, vcc
	v_cndmask_b32_e32 v29, v32, v29, vcc
	v_xor_b32_e32 v31, s8, v35
	v_xor_b32_e32 v32, v28, v31
	;; [unrolled: 1-line block ×3, first 2 shown]
	v_sub_co_u32_e32 v28, vcc, v28, v31
	v_subb_co_u32_e32 v29, vcc, v32, v31, vcc
                                        ; implicit-def: $vgpr31
.LBB1134_55:
	s_andn2_saveexec_b64 s[0:1], s[2:3]
	s_cbranch_execz .LBB1134_57
; %bb.56:
	v_cvt_f32_u32_e32 v28, s38
	s_sub_i32 s2, 0, s38
	v_rcp_iflag_f32_e32 v28, v28
	v_mul_f32_e32 v28, 0x4f7ffffe, v28
	v_cvt_u32_f32_e32 v28, v28
	v_mul_lo_u32 v29, s2, v28
	v_mul_hi_u32 v29, v28, v29
	v_add_u32_e32 v28, v28, v29
	v_mul_hi_u32 v28, v31, v28
	v_mul_lo_u32 v29, v28, s38
	v_sub_u32_e32 v29, v31, v29
	v_add_u32_e32 v32, 1, v28
	v_subrev_u32_e32 v31, s38, v29
	v_cmp_le_u32_e32 vcc, s38, v29
	v_cndmask_b32_e32 v29, v29, v31, vcc
	v_cndmask_b32_e32 v28, v28, v32, vcc
	v_add_u32_e32 v31, 1, v28
	v_cmp_le_u32_e32 vcc, s38, v29
	v_cndmask_b32_e32 v28, v28, v31, vcc
	v_mov_b32_e32 v29, 0
.LBB1134_57:
	s_or_b64 exec, exec, s[0:1]
	v_add_co_u32_e32 v32, vcc, 0xe00, v30
	v_addc_co_u32_e32 v1, vcc, 0, v1, vcc
	v_or_b32_e32 v31, s39, v1
	v_mov_b32_e32 v30, 0
	v_cmp_ne_u64_e32 vcc, 0, v[30:31]
                                        ; implicit-def: $vgpr30_vgpr31
	s_and_saveexec_b64 s[0:1], vcc
	s_xor_b64 s[2:3], exec, s[0:1]
	s_cbranch_execz .LBB1134_59
; %bb.58:
	s_ashr_i32 s8, s39, 31
	s_add_u32 s0, s38, s8
	s_mov_b32 s9, s8
	s_addc_u32 s1, s39, s8
	s_xor_b64 s[10:11], s[0:1], s[8:9]
	v_cvt_f32_u32_e32 v30, s10
	v_cvt_f32_u32_e32 v31, s11
	s_sub_u32 s0, 0, s10
	s_subb_u32 s1, 0, s11
	v_madmk_f32 v30, v31, 0x4f800000, v30
	v_rcp_f32_e32 v30, v30
	v_mul_f32_e32 v30, 0x5f7ffffc, v30
	v_mul_f32_e32 v31, 0x2f800000, v30
	v_trunc_f32_e32 v31, v31
	v_madmk_f32 v30, v31, 0xcf800000, v30
	v_cvt_u32_f32_e32 v31, v31
	v_cvt_u32_f32_e32 v30, v30
	v_mul_lo_u32 v33, s0, v31
	v_mul_hi_u32 v35, s0, v30
	v_mul_lo_u32 v34, s1, v30
	v_add_u32_e32 v33, v35, v33
	v_mul_lo_u32 v36, s0, v30
	v_add_u32_e32 v33, v33, v34
	v_mul_lo_u32 v35, v30, v33
	v_mul_hi_u32 v37, v30, v36
	v_mul_hi_u32 v34, v30, v33
	v_add_co_u32_e32 v35, vcc, v37, v35
	v_addc_co_u32_e32 v34, vcc, 0, v34, vcc
	v_mul_hi_u32 v38, v31, v36
	v_mul_lo_u32 v36, v31, v36
	v_add_co_u32_e32 v35, vcc, v35, v36
	v_mul_hi_u32 v37, v31, v33
	v_addc_co_u32_e32 v34, vcc, v34, v38, vcc
	v_addc_co_u32_e32 v35, vcc, 0, v37, vcc
	v_mul_lo_u32 v33, v31, v33
	v_add_co_u32_e32 v33, vcc, v34, v33
	v_addc_co_u32_e32 v34, vcc, 0, v35, vcc
	v_add_co_u32_e32 v30, vcc, v30, v33
	v_addc_co_u32_e32 v31, vcc, v31, v34, vcc
	v_mul_lo_u32 v33, s0, v31
	v_mul_hi_u32 v34, s0, v30
	v_add_u32_e32 v33, v34, v33
	v_mul_lo_u32 v34, s1, v30
	v_add_u32_e32 v33, v33, v34
	v_mul_lo_u32 v35, s0, v30
	v_mul_hi_u32 v36, v31, v35
	v_mul_lo_u32 v37, v31, v35
	v_mul_lo_u32 v39, v30, v33
	v_mul_hi_u32 v35, v30, v35
	v_mul_hi_u32 v38, v30, v33
	v_add_co_u32_e32 v35, vcc, v35, v39
	v_addc_co_u32_e32 v38, vcc, 0, v38, vcc
	v_add_co_u32_e32 v35, vcc, v35, v37
	v_mul_hi_u32 v34, v31, v33
	v_addc_co_u32_e32 v35, vcc, v38, v36, vcc
	v_addc_co_u32_e32 v34, vcc, 0, v34, vcc
	v_mul_lo_u32 v33, v31, v33
	v_add_co_u32_e32 v33, vcc, v35, v33
	v_addc_co_u32_e32 v34, vcc, 0, v34, vcc
	v_add_co_u32_e32 v33, vcc, v30, v33
	v_addc_co_u32_e32 v34, vcc, v31, v34, vcc
	v_ashrrev_i32_e32 v35, 31, v1
	v_add_co_u32_e32 v30, vcc, v32, v35
	v_xor_b32_e32 v36, v30, v35
	v_addc_co_u32_e32 v1, vcc, v1, v35, vcc
	v_mad_u64_u32 v[30:31], s[0:1], v36, v34, 0
	v_mul_hi_u32 v32, v36, v33
	v_xor_b32_e32 v1, v1, v35
	v_add_co_u32_e32 v37, vcc, v32, v30
	v_addc_co_u32_e32 v38, vcc, 0, v31, vcc
	v_mad_u64_u32 v[32:33], s[0:1], v1, v33, 0
	v_add_co_u32_e32 v32, vcc, v37, v32
	v_mad_u64_u32 v[30:31], s[0:1], v1, v34, 0
	v_addc_co_u32_e32 v32, vcc, v38, v33, vcc
	v_addc_co_u32_e32 v31, vcc, 0, v31, vcc
	v_add_co_u32_e32 v32, vcc, v32, v30
	v_addc_co_u32_e32 v33, vcc, 0, v31, vcc
	v_mul_lo_u32 v34, s11, v32
	v_mul_lo_u32 v37, s10, v33
	v_mad_u64_u32 v[30:31], s[0:1], s10, v32, 0
	v_add3_u32 v31, v31, v37, v34
	v_sub_u32_e32 v34, v1, v31
	v_mov_b32_e32 v37, s11
	v_sub_co_u32_e32 v30, vcc, v36, v30
	v_subb_co_u32_e64 v34, s[0:1], v34, v37, vcc
	v_subrev_co_u32_e64 v36, s[0:1], s10, v30
	v_subbrev_co_u32_e64 v34, s[0:1], 0, v34, s[0:1]
	v_cmp_le_u32_e64 s[0:1], s11, v34
	v_cndmask_b32_e64 v37, 0, -1, s[0:1]
	v_cmp_le_u32_e64 s[0:1], s10, v36
	v_cndmask_b32_e64 v36, 0, -1, s[0:1]
	v_cmp_eq_u32_e64 s[0:1], s11, v34
	v_cndmask_b32_e64 v34, v37, v36, s[0:1]
	v_add_co_u32_e64 v36, s[0:1], 2, v32
	v_subb_co_u32_e32 v1, vcc, v1, v31, vcc
	v_addc_co_u32_e64 v37, s[0:1], 0, v33, s[0:1]
	v_cmp_le_u32_e32 vcc, s11, v1
	v_add_co_u32_e64 v38, s[0:1], 1, v32
	v_cndmask_b32_e64 v31, 0, -1, vcc
	v_cmp_le_u32_e32 vcc, s10, v30
	v_addc_co_u32_e64 v39, s[0:1], 0, v33, s[0:1]
	v_cndmask_b32_e64 v30, 0, -1, vcc
	v_cmp_eq_u32_e32 vcc, s11, v1
	v_cmp_ne_u32_e64 s[0:1], 0, v34
	v_cndmask_b32_e32 v1, v31, v30, vcc
	v_cmp_ne_u32_e32 vcc, 0, v1
	v_cndmask_b32_e64 v30, v38, v36, s[0:1]
	v_cndmask_b32_e64 v34, v39, v37, s[0:1]
	v_cndmask_b32_e32 v30, v32, v30, vcc
	v_xor_b32_e32 v31, s8, v35
	v_cndmask_b32_e32 v1, v33, v34, vcc
	v_xor_b32_e32 v30, v30, v31
	v_xor_b32_e32 v1, v1, v31
	v_sub_co_u32_e32 v30, vcc, v30, v31
	v_subb_co_u32_e32 v31, vcc, v1, v31, vcc
                                        ; implicit-def: $vgpr32
.LBB1134_59:
	s_andn2_saveexec_b64 s[0:1], s[2:3]
	s_cbranch_execz .LBB1134_61
; %bb.60:
	v_cvt_f32_u32_e32 v1, s38
	s_sub_i32 s2, 0, s38
	v_rcp_iflag_f32_e32 v1, v1
	v_mul_f32_e32 v1, 0x4f7ffffe, v1
	v_cvt_u32_f32_e32 v1, v1
	v_mul_lo_u32 v30, s2, v1
	v_mul_hi_u32 v30, v1, v30
	v_add_u32_e32 v1, v1, v30
	v_mul_hi_u32 v1, v32, v1
	v_mul_lo_u32 v30, v1, s38
	v_sub_u32_e32 v30, v32, v30
	v_add_u32_e32 v31, 1, v1
	v_subrev_u32_e32 v32, s38, v30
	v_cmp_le_u32_e32 vcc, s38, v30
	v_cndmask_b32_e32 v30, v30, v32, vcc
	v_cndmask_b32_e32 v1, v1, v31, vcc
	v_add_u32_e32 v31, 1, v1
	v_cmp_le_u32_e32 vcc, s38, v30
	v_cndmask_b32_e32 v30, v1, v31, vcc
	v_mov_b32_e32 v31, 0
.LBB1134_61:
	s_or_b64 exec, exec, s[0:1]
	v_lshlrev_b32_e32 v62, 3, v0
	s_movk_i32 s0, 0x70
	v_mad_u32_u24 v76, v0, s0, v62
	ds_write2st64_b64 v62, v[2:3], v[4:5] offset1:4
	ds_write2st64_b64 v62, v[6:7], v[8:9] offset0:8 offset1:12
	ds_write2st64_b64 v62, v[10:11], v[12:13] offset0:16 offset1:20
	;; [unrolled: 1-line block ×6, first 2 shown]
	ds_write_b64 v62, v[30:31] offset:28672
	s_waitcnt lgkmcnt(0)
	s_barrier
	ds_read2_b64 v[26:29], v76 offset1:1
	ds_read2_b64 v[22:25], v76 offset0:2 offset1:3
	ds_read2_b64 v[18:21], v76 offset0:4 offset1:5
	;; [unrolled: 1-line block ×6, first 2 shown]
	ds_read_b64 v[74:75], v76 offset:112
	v_mov_b32_e32 v1, s75
	v_add_co_u32_e32 v30, vcc, s74, v0
	v_addc_co_u32_e32 v1, vcc, 0, v1, vcc
	v_or_b32_e32 v33, s45, v1
	v_mov_b32_e32 v32, 0
	v_cmp_ne_u64_e32 vcc, 0, v[32:33]
	s_waitcnt lgkmcnt(0)
	s_barrier
	s_waitcnt lgkmcnt(0)
                                        ; implicit-def: $vgpr32_vgpr33
	s_and_saveexec_b64 s[0:1], vcc
	s_xor_b64 s[2:3], exec, s[0:1]
	s_cbranch_execz .LBB1134_63
; %bb.62:
	s_ashr_i32 s8, s45, 31
	s_add_u32 s0, s44, s8
	s_mov_b32 s9, s8
	s_addc_u32 s1, s45, s8
	s_xor_b64 s[10:11], s[0:1], s[8:9]
	v_cvt_f32_u32_e32 v31, s10
	v_cvt_f32_u32_e32 v32, s11
	s_sub_u32 s0, 0, s10
	s_subb_u32 s1, 0, s11
	v_madmk_f32 v31, v32, 0x4f800000, v31
	v_rcp_f32_e32 v31, v31
	v_mul_f32_e32 v31, 0x5f7ffffc, v31
	v_mul_f32_e32 v32, 0x2f800000, v31
	v_trunc_f32_e32 v32, v32
	v_madmk_f32 v31, v32, 0xcf800000, v31
	v_cvt_u32_f32_e32 v32, v32
	v_cvt_u32_f32_e32 v31, v31
	v_mul_lo_u32 v33, s0, v32
	v_mul_hi_u32 v35, s0, v31
	v_mul_lo_u32 v34, s1, v31
	v_add_u32_e32 v33, v35, v33
	v_mul_lo_u32 v36, s0, v31
	v_add_u32_e32 v33, v33, v34
	v_mul_lo_u32 v35, v31, v33
	v_mul_hi_u32 v37, v31, v36
	v_mul_hi_u32 v34, v31, v33
	v_add_co_u32_e32 v35, vcc, v37, v35
	v_addc_co_u32_e32 v34, vcc, 0, v34, vcc
	v_mul_hi_u32 v38, v32, v36
	v_mul_lo_u32 v36, v32, v36
	v_add_co_u32_e32 v35, vcc, v35, v36
	v_mul_hi_u32 v37, v32, v33
	v_addc_co_u32_e32 v34, vcc, v34, v38, vcc
	v_addc_co_u32_e32 v35, vcc, 0, v37, vcc
	v_mul_lo_u32 v33, v32, v33
	v_add_co_u32_e32 v33, vcc, v34, v33
	v_addc_co_u32_e32 v34, vcc, 0, v35, vcc
	v_add_co_u32_e32 v31, vcc, v31, v33
	v_addc_co_u32_e32 v32, vcc, v32, v34, vcc
	v_mul_lo_u32 v33, s0, v32
	v_mul_hi_u32 v34, s0, v31
	v_add_u32_e32 v33, v34, v33
	v_mul_lo_u32 v34, s1, v31
	v_add_u32_e32 v33, v33, v34
	v_mul_lo_u32 v35, s0, v31
	v_mul_hi_u32 v36, v32, v35
	v_mul_lo_u32 v37, v32, v35
	v_mul_lo_u32 v39, v31, v33
	v_mul_hi_u32 v35, v31, v35
	v_mul_hi_u32 v38, v31, v33
	v_add_co_u32_e32 v35, vcc, v35, v39
	v_addc_co_u32_e32 v38, vcc, 0, v38, vcc
	v_add_co_u32_e32 v35, vcc, v35, v37
	v_mul_hi_u32 v34, v32, v33
	v_addc_co_u32_e32 v35, vcc, v38, v36, vcc
	v_addc_co_u32_e32 v34, vcc, 0, v34, vcc
	v_mul_lo_u32 v33, v32, v33
	v_add_co_u32_e32 v33, vcc, v35, v33
	v_addc_co_u32_e32 v34, vcc, 0, v34, vcc
	v_add_co_u32_e32 v31, vcc, v31, v33
	v_addc_co_u32_e32 v34, vcc, v32, v34, vcc
	v_ashrrev_i32_e32 v36, 31, v1
	v_add_co_u32_e32 v32, vcc, v30, v36
	v_addc_co_u32_e32 v33, vcc, v1, v36, vcc
	v_xor_b32_e32 v38, v32, v36
	v_xor_b32_e32 v37, v33, v36
	v_mad_u64_u32 v[32:33], s[0:1], v38, v34, 0
	v_mul_hi_u32 v35, v38, v31
	v_add_co_u32_e32 v39, vcc, v35, v32
	v_addc_co_u32_e32 v40, vcc, 0, v33, vcc
	v_mad_u64_u32 v[32:33], s[0:1], v37, v34, 0
	v_mad_u64_u32 v[34:35], s[0:1], v37, v31, 0
	v_add_co_u32_e32 v31, vcc, v39, v34
	v_addc_co_u32_e32 v31, vcc, v40, v35, vcc
	v_addc_co_u32_e32 v33, vcc, 0, v33, vcc
	v_add_co_u32_e32 v31, vcc, v31, v32
	v_addc_co_u32_e32 v34, vcc, 0, v33, vcc
	v_mul_lo_u32 v35, s11, v31
	v_mul_lo_u32 v39, s10, v34
	v_mad_u64_u32 v[32:33], s[0:1], s10, v31, 0
	v_add3_u32 v33, v33, v39, v35
	v_sub_u32_e32 v35, v37, v33
	v_mov_b32_e32 v39, s11
	v_sub_co_u32_e32 v32, vcc, v38, v32
	v_subb_co_u32_e64 v35, s[0:1], v35, v39, vcc
	v_subrev_co_u32_e64 v38, s[0:1], s10, v32
	v_subbrev_co_u32_e64 v35, s[0:1], 0, v35, s[0:1]
	v_cmp_le_u32_e64 s[0:1], s11, v35
	v_cndmask_b32_e64 v39, 0, -1, s[0:1]
	v_cmp_le_u32_e64 s[0:1], s10, v38
	v_cndmask_b32_e64 v38, 0, -1, s[0:1]
	v_cmp_eq_u32_e64 s[0:1], s11, v35
	v_cndmask_b32_e64 v35, v39, v38, s[0:1]
	v_add_co_u32_e64 v38, s[0:1], 2, v31
	v_subb_co_u32_e32 v33, vcc, v37, v33, vcc
	v_addc_co_u32_e64 v39, s[0:1], 0, v34, s[0:1]
	v_cmp_le_u32_e32 vcc, s11, v33
	v_add_co_u32_e64 v40, s[0:1], 1, v31
	v_cndmask_b32_e64 v37, 0, -1, vcc
	v_cmp_le_u32_e32 vcc, s10, v32
	v_addc_co_u32_e64 v41, s[0:1], 0, v34, s[0:1]
	v_cndmask_b32_e64 v32, 0, -1, vcc
	v_cmp_eq_u32_e32 vcc, s11, v33
	v_cmp_ne_u32_e64 s[0:1], 0, v35
	v_cndmask_b32_e32 v32, v37, v32, vcc
	v_cmp_ne_u32_e32 vcc, 0, v32
	v_cndmask_b32_e64 v33, v40, v38, s[0:1]
	v_cndmask_b32_e64 v35, v41, v39, s[0:1]
	v_cndmask_b32_e32 v31, v31, v33, vcc
	v_xor_b32_e32 v33, s8, v36
	v_cndmask_b32_e32 v32, v34, v35, vcc
	v_xor_b32_e32 v31, v31, v33
	v_xor_b32_e32 v34, v32, v33
	v_sub_co_u32_e32 v32, vcc, v31, v33
	v_subb_co_u32_e32 v33, vcc, v34, v33, vcc
.LBB1134_63:
	s_or_saveexec_b64 s[0:1], s[2:3]
	v_cvt_f32_u32_e32 v66, s44
	s_xor_b64 exec, exec, s[0:1]
	s_cbranch_execz .LBB1134_65
; %bb.64:
	v_rcp_iflag_f32_e32 v31, v66
	s_sub_i32 s2, 0, s44
	v_mul_f32_e32 v31, 0x4f7ffffe, v31
	v_cvt_u32_f32_e32 v31, v31
	v_mul_lo_u32 v32, s2, v31
	v_mul_hi_u32 v32, v31, v32
	v_add_u32_e32 v31, v31, v32
	v_mul_hi_u32 v31, v30, v31
	v_mul_lo_u32 v32, v31, s44
	v_sub_u32_e32 v32, v30, v32
	v_add_u32_e32 v33, 1, v31
	v_subrev_u32_e32 v34, s44, v32
	v_cmp_le_u32_e32 vcc, s44, v32
	v_cndmask_b32_e32 v32, v32, v34, vcc
	v_cndmask_b32_e32 v31, v31, v33, vcc
	v_add_u32_e32 v33, 1, v31
	v_cmp_le_u32_e32 vcc, s44, v32
	v_cndmask_b32_e32 v32, v31, v33, vcc
	v_mov_b32_e32 v33, 0
.LBB1134_65:
	s_or_b64 exec, exec, s[0:1]
	v_add_co_u32_e32 v31, vcc, 0x100, v30
	v_addc_co_u32_e32 v63, vcc, 0, v1, vcc
	v_or_b32_e32 v35, s45, v63
	v_mov_b32_e32 v34, 0
	v_cmp_ne_u64_e32 vcc, 0, v[34:35]
                                        ; implicit-def: $vgpr34_vgpr35
	s_and_saveexec_b64 s[0:1], vcc
	s_xor_b64 s[2:3], exec, s[0:1]
	s_cbranch_execz .LBB1134_67
; %bb.66:
	s_ashr_i32 s8, s45, 31
	s_add_u32 s0, s44, s8
	s_mov_b32 s9, s8
	s_addc_u32 s1, s45, s8
	s_xor_b64 s[10:11], s[0:1], s[8:9]
	v_cvt_f32_u32_e32 v34, s10
	v_cvt_f32_u32_e32 v35, s11
	s_sub_u32 s0, 0, s10
	s_subb_u32 s1, 0, s11
	v_madmk_f32 v34, v35, 0x4f800000, v34
	v_rcp_f32_e32 v34, v34
	v_mul_f32_e32 v34, 0x5f7ffffc, v34
	v_mul_f32_e32 v35, 0x2f800000, v34
	v_trunc_f32_e32 v35, v35
	v_madmk_f32 v34, v35, 0xcf800000, v34
	v_cvt_u32_f32_e32 v35, v35
	v_cvt_u32_f32_e32 v34, v34
	v_mul_lo_u32 v36, s0, v35
	v_mul_hi_u32 v38, s0, v34
	v_mul_lo_u32 v37, s1, v34
	v_add_u32_e32 v36, v38, v36
	v_mul_lo_u32 v39, s0, v34
	v_add_u32_e32 v36, v36, v37
	v_mul_lo_u32 v38, v34, v36
	v_mul_hi_u32 v40, v34, v39
	v_mul_hi_u32 v37, v34, v36
	v_add_co_u32_e32 v38, vcc, v40, v38
	v_addc_co_u32_e32 v37, vcc, 0, v37, vcc
	v_mul_hi_u32 v41, v35, v39
	v_mul_lo_u32 v39, v35, v39
	v_add_co_u32_e32 v38, vcc, v38, v39
	v_mul_hi_u32 v40, v35, v36
	v_addc_co_u32_e32 v37, vcc, v37, v41, vcc
	v_addc_co_u32_e32 v38, vcc, 0, v40, vcc
	v_mul_lo_u32 v36, v35, v36
	v_add_co_u32_e32 v36, vcc, v37, v36
	v_addc_co_u32_e32 v37, vcc, 0, v38, vcc
	v_add_co_u32_e32 v34, vcc, v34, v36
	v_addc_co_u32_e32 v35, vcc, v35, v37, vcc
	v_mul_lo_u32 v36, s0, v35
	v_mul_hi_u32 v37, s0, v34
	v_add_u32_e32 v36, v37, v36
	v_mul_lo_u32 v37, s1, v34
	v_add_u32_e32 v36, v36, v37
	v_mul_lo_u32 v38, s0, v34
	v_mul_hi_u32 v39, v35, v38
	v_mul_lo_u32 v40, v35, v38
	v_mul_lo_u32 v42, v34, v36
	v_mul_hi_u32 v38, v34, v38
	v_mul_hi_u32 v41, v34, v36
	v_add_co_u32_e32 v38, vcc, v38, v42
	v_addc_co_u32_e32 v41, vcc, 0, v41, vcc
	v_add_co_u32_e32 v38, vcc, v38, v40
	v_mul_hi_u32 v37, v35, v36
	v_addc_co_u32_e32 v38, vcc, v41, v39, vcc
	v_addc_co_u32_e32 v37, vcc, 0, v37, vcc
	v_mul_lo_u32 v36, v35, v36
	v_add_co_u32_e32 v36, vcc, v38, v36
	v_addc_co_u32_e32 v37, vcc, 0, v37, vcc
	v_add_co_u32_e32 v36, vcc, v34, v36
	v_addc_co_u32_e32 v37, vcc, v35, v37, vcc
	v_ashrrev_i32_e32 v38, 31, v63
	v_add_co_u32_e32 v34, vcc, v31, v38
	v_addc_co_u32_e32 v35, vcc, v63, v38, vcc
	v_xor_b32_e32 v40, v34, v38
	v_xor_b32_e32 v39, v35, v38
	v_mad_u64_u32 v[34:35], s[0:1], v40, v37, 0
	v_mul_hi_u32 v41, v40, v36
	v_add_co_u32_e32 v41, vcc, v41, v34
	v_addc_co_u32_e32 v42, vcc, 0, v35, vcc
	v_mad_u64_u32 v[34:35], s[0:1], v39, v37, 0
	v_mad_u64_u32 v[36:37], s[0:1], v39, v36, 0
	v_add_co_u32_e32 v36, vcc, v41, v36
	v_addc_co_u32_e32 v36, vcc, v42, v37, vcc
	v_addc_co_u32_e32 v35, vcc, 0, v35, vcc
	v_add_co_u32_e32 v36, vcc, v36, v34
	v_addc_co_u32_e32 v37, vcc, 0, v35, vcc
	v_mul_lo_u32 v41, s11, v36
	v_mul_lo_u32 v42, s10, v37
	v_mad_u64_u32 v[34:35], s[0:1], s10, v36, 0
	v_add3_u32 v35, v35, v42, v41
	v_sub_u32_e32 v41, v39, v35
	v_mov_b32_e32 v42, s11
	v_sub_co_u32_e32 v34, vcc, v40, v34
	v_subb_co_u32_e64 v40, s[0:1], v41, v42, vcc
	v_subrev_co_u32_e64 v41, s[0:1], s10, v34
	v_subbrev_co_u32_e64 v40, s[0:1], 0, v40, s[0:1]
	v_cmp_le_u32_e64 s[0:1], s11, v40
	v_cndmask_b32_e64 v42, 0, -1, s[0:1]
	v_cmp_le_u32_e64 s[0:1], s10, v41
	v_cndmask_b32_e64 v41, 0, -1, s[0:1]
	v_cmp_eq_u32_e64 s[0:1], s11, v40
	v_cndmask_b32_e64 v40, v42, v41, s[0:1]
	v_add_co_u32_e64 v41, s[0:1], 2, v36
	v_subb_co_u32_e32 v35, vcc, v39, v35, vcc
	v_addc_co_u32_e64 v42, s[0:1], 0, v37, s[0:1]
	v_cmp_le_u32_e32 vcc, s11, v35
	v_add_co_u32_e64 v43, s[0:1], 1, v36
	v_cndmask_b32_e64 v39, 0, -1, vcc
	v_cmp_le_u32_e32 vcc, s10, v34
	v_addc_co_u32_e64 v44, s[0:1], 0, v37, s[0:1]
	v_cndmask_b32_e64 v34, 0, -1, vcc
	v_cmp_eq_u32_e32 vcc, s11, v35
	v_cmp_ne_u32_e64 s[0:1], 0, v40
	v_cndmask_b32_e32 v34, v39, v34, vcc
	v_cndmask_b32_e64 v40, v44, v42, s[0:1]
	v_cmp_ne_u32_e32 vcc, 0, v34
	v_cndmask_b32_e64 v35, v43, v41, s[0:1]
	v_cndmask_b32_e32 v34, v37, v40, vcc
	v_cndmask_b32_e32 v35, v36, v35, vcc
	v_xor_b32_e32 v36, s8, v38
	v_xor_b32_e32 v37, v34, v36
	;; [unrolled: 1-line block ×3, first 2 shown]
	v_sub_co_u32_e32 v34, vcc, v34, v36
	v_subb_co_u32_e32 v35, vcc, v37, v36, vcc
.LBB1134_67:
	s_andn2_saveexec_b64 s[0:1], s[2:3]
	s_cbranch_execz .LBB1134_69
; %bb.68:
	v_rcp_iflag_f32_e32 v34, v66
	s_sub_i32 s2, 0, s44
	v_mul_f32_e32 v34, 0x4f7ffffe, v34
	v_cvt_u32_f32_e32 v34, v34
	v_mul_lo_u32 v35, s2, v34
	v_mul_hi_u32 v35, v34, v35
	v_add_u32_e32 v34, v34, v35
	v_mul_hi_u32 v34, v31, v34
	v_mul_lo_u32 v35, v34, s44
	v_sub_u32_e32 v35, v31, v35
	v_add_u32_e32 v36, 1, v34
	v_subrev_u32_e32 v37, s44, v35
	v_cmp_le_u32_e32 vcc, s44, v35
	v_cndmask_b32_e32 v35, v35, v37, vcc
	v_cndmask_b32_e32 v34, v34, v36, vcc
	v_add_u32_e32 v36, 1, v34
	v_cmp_le_u32_e32 vcc, s44, v35
	v_cndmask_b32_e32 v34, v34, v36, vcc
	v_mov_b32_e32 v35, 0
.LBB1134_69:
	s_or_b64 exec, exec, s[0:1]
	v_add_co_u32_e32 v64, vcc, 0x200, v30
	v_addc_co_u32_e32 v65, vcc, 0, v1, vcc
	v_or_b32_e32 v37, s45, v65
	v_mov_b32_e32 v36, 0
	v_cmp_ne_u64_e32 vcc, 0, v[36:37]
                                        ; implicit-def: $vgpr36_vgpr37
	s_and_saveexec_b64 s[0:1], vcc
	s_xor_b64 s[2:3], exec, s[0:1]
	s_cbranch_execz .LBB1134_71
; %bb.70:
	s_ashr_i32 s8, s45, 31
	s_add_u32 s0, s44, s8
	s_mov_b32 s9, s8
	s_addc_u32 s1, s45, s8
	s_xor_b64 s[10:11], s[0:1], s[8:9]
	v_cvt_f32_u32_e32 v36, s10
	v_cvt_f32_u32_e32 v37, s11
	s_sub_u32 s0, 0, s10
	s_subb_u32 s1, 0, s11
	v_madmk_f32 v36, v37, 0x4f800000, v36
	v_rcp_f32_e32 v36, v36
	v_mul_f32_e32 v36, 0x5f7ffffc, v36
	v_mul_f32_e32 v37, 0x2f800000, v36
	v_trunc_f32_e32 v37, v37
	v_madmk_f32 v36, v37, 0xcf800000, v36
	v_cvt_u32_f32_e32 v37, v37
	v_cvt_u32_f32_e32 v36, v36
	v_mul_lo_u32 v38, s0, v37
	v_mul_hi_u32 v40, s0, v36
	v_mul_lo_u32 v39, s1, v36
	v_add_u32_e32 v38, v40, v38
	v_mul_lo_u32 v41, s0, v36
	v_add_u32_e32 v38, v38, v39
	v_mul_lo_u32 v40, v36, v38
	v_mul_hi_u32 v42, v36, v41
	v_mul_hi_u32 v39, v36, v38
	v_add_co_u32_e32 v40, vcc, v42, v40
	v_addc_co_u32_e32 v39, vcc, 0, v39, vcc
	v_mul_hi_u32 v43, v37, v41
	v_mul_lo_u32 v41, v37, v41
	v_add_co_u32_e32 v40, vcc, v40, v41
	v_mul_hi_u32 v42, v37, v38
	v_addc_co_u32_e32 v39, vcc, v39, v43, vcc
	v_addc_co_u32_e32 v40, vcc, 0, v42, vcc
	v_mul_lo_u32 v38, v37, v38
	v_add_co_u32_e32 v38, vcc, v39, v38
	v_addc_co_u32_e32 v39, vcc, 0, v40, vcc
	v_add_co_u32_e32 v36, vcc, v36, v38
	v_addc_co_u32_e32 v37, vcc, v37, v39, vcc
	v_mul_lo_u32 v38, s0, v37
	v_mul_hi_u32 v39, s0, v36
	v_add_u32_e32 v38, v39, v38
	v_mul_lo_u32 v39, s1, v36
	v_add_u32_e32 v38, v38, v39
	v_mul_lo_u32 v40, s0, v36
	v_mul_hi_u32 v41, v37, v40
	v_mul_lo_u32 v42, v37, v40
	v_mul_lo_u32 v44, v36, v38
	v_mul_hi_u32 v40, v36, v40
	v_mul_hi_u32 v43, v36, v38
	v_add_co_u32_e32 v40, vcc, v40, v44
	v_addc_co_u32_e32 v43, vcc, 0, v43, vcc
	v_add_co_u32_e32 v40, vcc, v40, v42
	v_mul_hi_u32 v39, v37, v38
	v_addc_co_u32_e32 v40, vcc, v43, v41, vcc
	v_addc_co_u32_e32 v39, vcc, 0, v39, vcc
	v_mul_lo_u32 v38, v37, v38
	v_add_co_u32_e32 v38, vcc, v40, v38
	v_addc_co_u32_e32 v39, vcc, 0, v39, vcc
	v_add_co_u32_e32 v38, vcc, v36, v38
	v_addc_co_u32_e32 v39, vcc, v37, v39, vcc
	v_ashrrev_i32_e32 v40, 31, v65
	v_add_co_u32_e32 v36, vcc, v64, v40
	v_addc_co_u32_e32 v37, vcc, v65, v40, vcc
	v_xor_b32_e32 v42, v36, v40
	v_xor_b32_e32 v41, v37, v40
	v_mad_u64_u32 v[36:37], s[0:1], v42, v39, 0
	v_mul_hi_u32 v43, v42, v38
	v_add_co_u32_e32 v43, vcc, v43, v36
	v_addc_co_u32_e32 v44, vcc, 0, v37, vcc
	v_mad_u64_u32 v[36:37], s[0:1], v41, v39, 0
	v_mad_u64_u32 v[38:39], s[0:1], v41, v38, 0
	v_add_co_u32_e32 v38, vcc, v43, v38
	v_addc_co_u32_e32 v38, vcc, v44, v39, vcc
	v_addc_co_u32_e32 v37, vcc, 0, v37, vcc
	v_add_co_u32_e32 v38, vcc, v38, v36
	v_addc_co_u32_e32 v39, vcc, 0, v37, vcc
	v_mul_lo_u32 v43, s11, v38
	v_mul_lo_u32 v44, s10, v39
	v_mad_u64_u32 v[36:37], s[0:1], s10, v38, 0
	v_add3_u32 v37, v37, v44, v43
	v_sub_u32_e32 v43, v41, v37
	v_mov_b32_e32 v44, s11
	v_sub_co_u32_e32 v36, vcc, v42, v36
	v_subb_co_u32_e64 v42, s[0:1], v43, v44, vcc
	v_subrev_co_u32_e64 v43, s[0:1], s10, v36
	v_subbrev_co_u32_e64 v42, s[0:1], 0, v42, s[0:1]
	v_cmp_le_u32_e64 s[0:1], s11, v42
	v_cndmask_b32_e64 v44, 0, -1, s[0:1]
	v_cmp_le_u32_e64 s[0:1], s10, v43
	v_cndmask_b32_e64 v43, 0, -1, s[0:1]
	v_cmp_eq_u32_e64 s[0:1], s11, v42
	v_cndmask_b32_e64 v42, v44, v43, s[0:1]
	v_add_co_u32_e64 v43, s[0:1], 2, v38
	v_subb_co_u32_e32 v37, vcc, v41, v37, vcc
	v_addc_co_u32_e64 v44, s[0:1], 0, v39, s[0:1]
	v_cmp_le_u32_e32 vcc, s11, v37
	v_add_co_u32_e64 v45, s[0:1], 1, v38
	v_cndmask_b32_e64 v41, 0, -1, vcc
	v_cmp_le_u32_e32 vcc, s10, v36
	v_addc_co_u32_e64 v46, s[0:1], 0, v39, s[0:1]
	v_cndmask_b32_e64 v36, 0, -1, vcc
	v_cmp_eq_u32_e32 vcc, s11, v37
	v_cmp_ne_u32_e64 s[0:1], 0, v42
	v_cndmask_b32_e32 v36, v41, v36, vcc
	v_cndmask_b32_e64 v42, v46, v44, s[0:1]
	v_cmp_ne_u32_e32 vcc, 0, v36
	v_cndmask_b32_e64 v37, v45, v43, s[0:1]
	v_cndmask_b32_e32 v36, v39, v42, vcc
	v_cndmask_b32_e32 v37, v38, v37, vcc
	v_xor_b32_e32 v38, s8, v40
	v_xor_b32_e32 v39, v36, v38
	;; [unrolled: 1-line block ×3, first 2 shown]
	v_sub_co_u32_e32 v36, vcc, v36, v38
	v_subb_co_u32_e32 v37, vcc, v39, v38, vcc
.LBB1134_71:
	s_andn2_saveexec_b64 s[0:1], s[2:3]
	s_cbranch_execz .LBB1134_73
; %bb.72:
	v_rcp_iflag_f32_e32 v36, v66
	s_sub_i32 s2, 0, s44
	v_mul_f32_e32 v36, 0x4f7ffffe, v36
	v_cvt_u32_f32_e32 v36, v36
	v_mul_lo_u32 v37, s2, v36
	v_mul_hi_u32 v37, v36, v37
	v_add_u32_e32 v36, v36, v37
	v_mul_hi_u32 v36, v64, v36
	v_mul_lo_u32 v37, v36, s44
	v_sub_u32_e32 v37, v64, v37
	v_add_u32_e32 v38, 1, v36
	v_subrev_u32_e32 v39, s44, v37
	v_cmp_le_u32_e32 vcc, s44, v37
	v_cndmask_b32_e32 v37, v37, v39, vcc
	v_cndmask_b32_e32 v36, v36, v38, vcc
	v_add_u32_e32 v38, 1, v36
	v_cmp_le_u32_e32 vcc, s44, v37
	v_cndmask_b32_e32 v36, v36, v38, vcc
	v_mov_b32_e32 v37, 0
.LBB1134_73:
	s_or_b64 exec, exec, s[0:1]
	v_add_co_u32_e32 v67, vcc, 0x300, v30
	v_addc_co_u32_e32 v68, vcc, 0, v1, vcc
	v_or_b32_e32 v39, s45, v68
	v_mov_b32_e32 v38, 0
	v_cmp_ne_u64_e32 vcc, 0, v[38:39]
                                        ; implicit-def: $vgpr38_vgpr39
	s_and_saveexec_b64 s[0:1], vcc
	s_xor_b64 s[2:3], exec, s[0:1]
	s_cbranch_execz .LBB1134_75
; %bb.74:
	s_ashr_i32 s8, s45, 31
	s_add_u32 s0, s44, s8
	s_mov_b32 s9, s8
	s_addc_u32 s1, s45, s8
	s_xor_b64 s[10:11], s[0:1], s[8:9]
	v_cvt_f32_u32_e32 v38, s10
	v_cvt_f32_u32_e32 v39, s11
	s_sub_u32 s0, 0, s10
	s_subb_u32 s1, 0, s11
	v_madmk_f32 v38, v39, 0x4f800000, v38
	v_rcp_f32_e32 v38, v38
	v_mul_f32_e32 v38, 0x5f7ffffc, v38
	v_mul_f32_e32 v39, 0x2f800000, v38
	v_trunc_f32_e32 v39, v39
	v_madmk_f32 v38, v39, 0xcf800000, v38
	v_cvt_u32_f32_e32 v39, v39
	v_cvt_u32_f32_e32 v38, v38
	v_mul_lo_u32 v40, s0, v39
	v_mul_hi_u32 v42, s0, v38
	v_mul_lo_u32 v41, s1, v38
	v_add_u32_e32 v40, v42, v40
	v_mul_lo_u32 v43, s0, v38
	v_add_u32_e32 v40, v40, v41
	v_mul_lo_u32 v42, v38, v40
	v_mul_hi_u32 v44, v38, v43
	v_mul_hi_u32 v41, v38, v40
	v_add_co_u32_e32 v42, vcc, v44, v42
	v_addc_co_u32_e32 v41, vcc, 0, v41, vcc
	v_mul_hi_u32 v45, v39, v43
	v_mul_lo_u32 v43, v39, v43
	v_add_co_u32_e32 v42, vcc, v42, v43
	v_mul_hi_u32 v44, v39, v40
	v_addc_co_u32_e32 v41, vcc, v41, v45, vcc
	v_addc_co_u32_e32 v42, vcc, 0, v44, vcc
	v_mul_lo_u32 v40, v39, v40
	v_add_co_u32_e32 v40, vcc, v41, v40
	v_addc_co_u32_e32 v41, vcc, 0, v42, vcc
	v_add_co_u32_e32 v38, vcc, v38, v40
	v_addc_co_u32_e32 v39, vcc, v39, v41, vcc
	v_mul_lo_u32 v40, s0, v39
	v_mul_hi_u32 v41, s0, v38
	v_add_u32_e32 v40, v41, v40
	v_mul_lo_u32 v41, s1, v38
	v_add_u32_e32 v40, v40, v41
	v_mul_lo_u32 v42, s0, v38
	v_mul_hi_u32 v43, v39, v42
	v_mul_lo_u32 v44, v39, v42
	v_mul_lo_u32 v46, v38, v40
	v_mul_hi_u32 v42, v38, v42
	v_mul_hi_u32 v45, v38, v40
	v_add_co_u32_e32 v42, vcc, v42, v46
	v_addc_co_u32_e32 v45, vcc, 0, v45, vcc
	v_add_co_u32_e32 v42, vcc, v42, v44
	v_mul_hi_u32 v41, v39, v40
	v_addc_co_u32_e32 v42, vcc, v45, v43, vcc
	v_addc_co_u32_e32 v41, vcc, 0, v41, vcc
	v_mul_lo_u32 v40, v39, v40
	v_add_co_u32_e32 v40, vcc, v42, v40
	v_addc_co_u32_e32 v41, vcc, 0, v41, vcc
	v_add_co_u32_e32 v40, vcc, v38, v40
	v_addc_co_u32_e32 v41, vcc, v39, v41, vcc
	v_ashrrev_i32_e32 v42, 31, v68
	v_add_co_u32_e32 v38, vcc, v67, v42
	v_addc_co_u32_e32 v39, vcc, v68, v42, vcc
	v_xor_b32_e32 v44, v38, v42
	v_xor_b32_e32 v43, v39, v42
	v_mad_u64_u32 v[38:39], s[0:1], v44, v41, 0
	v_mul_hi_u32 v45, v44, v40
	v_add_co_u32_e32 v45, vcc, v45, v38
	v_addc_co_u32_e32 v46, vcc, 0, v39, vcc
	v_mad_u64_u32 v[38:39], s[0:1], v43, v41, 0
	v_mad_u64_u32 v[40:41], s[0:1], v43, v40, 0
	v_add_co_u32_e32 v40, vcc, v45, v40
	v_addc_co_u32_e32 v40, vcc, v46, v41, vcc
	v_addc_co_u32_e32 v39, vcc, 0, v39, vcc
	v_add_co_u32_e32 v40, vcc, v40, v38
	v_addc_co_u32_e32 v41, vcc, 0, v39, vcc
	v_mul_lo_u32 v45, s11, v40
	v_mul_lo_u32 v46, s10, v41
	v_mad_u64_u32 v[38:39], s[0:1], s10, v40, 0
	v_add3_u32 v39, v39, v46, v45
	v_sub_u32_e32 v45, v43, v39
	v_mov_b32_e32 v46, s11
	v_sub_co_u32_e32 v38, vcc, v44, v38
	v_subb_co_u32_e64 v44, s[0:1], v45, v46, vcc
	v_subrev_co_u32_e64 v45, s[0:1], s10, v38
	v_subbrev_co_u32_e64 v44, s[0:1], 0, v44, s[0:1]
	v_cmp_le_u32_e64 s[0:1], s11, v44
	v_cndmask_b32_e64 v46, 0, -1, s[0:1]
	v_cmp_le_u32_e64 s[0:1], s10, v45
	v_cndmask_b32_e64 v45, 0, -1, s[0:1]
	v_cmp_eq_u32_e64 s[0:1], s11, v44
	v_cndmask_b32_e64 v44, v46, v45, s[0:1]
	v_add_co_u32_e64 v45, s[0:1], 2, v40
	v_subb_co_u32_e32 v39, vcc, v43, v39, vcc
	v_addc_co_u32_e64 v46, s[0:1], 0, v41, s[0:1]
	v_cmp_le_u32_e32 vcc, s11, v39
	v_add_co_u32_e64 v47, s[0:1], 1, v40
	v_cndmask_b32_e64 v43, 0, -1, vcc
	v_cmp_le_u32_e32 vcc, s10, v38
	v_addc_co_u32_e64 v48, s[0:1], 0, v41, s[0:1]
	v_cndmask_b32_e64 v38, 0, -1, vcc
	v_cmp_eq_u32_e32 vcc, s11, v39
	v_cmp_ne_u32_e64 s[0:1], 0, v44
	v_cndmask_b32_e32 v38, v43, v38, vcc
	v_cndmask_b32_e64 v44, v48, v46, s[0:1]
	v_cmp_ne_u32_e32 vcc, 0, v38
	v_cndmask_b32_e64 v39, v47, v45, s[0:1]
	v_cndmask_b32_e32 v38, v41, v44, vcc
	v_cndmask_b32_e32 v39, v40, v39, vcc
	v_xor_b32_e32 v40, s8, v42
	v_xor_b32_e32 v41, v38, v40
	;; [unrolled: 1-line block ×3, first 2 shown]
	v_sub_co_u32_e32 v38, vcc, v38, v40
	v_subb_co_u32_e32 v39, vcc, v41, v40, vcc
.LBB1134_75:
	s_andn2_saveexec_b64 s[0:1], s[2:3]
	s_cbranch_execz .LBB1134_77
; %bb.76:
	v_rcp_iflag_f32_e32 v38, v66
	s_sub_i32 s2, 0, s44
	v_mul_f32_e32 v38, 0x4f7ffffe, v38
	v_cvt_u32_f32_e32 v38, v38
	v_mul_lo_u32 v39, s2, v38
	v_mul_hi_u32 v39, v38, v39
	v_add_u32_e32 v38, v38, v39
	v_mul_hi_u32 v38, v67, v38
	v_mul_lo_u32 v39, v38, s44
	v_sub_u32_e32 v39, v67, v39
	v_add_u32_e32 v40, 1, v38
	v_subrev_u32_e32 v41, s44, v39
	v_cmp_le_u32_e32 vcc, s44, v39
	v_cndmask_b32_e32 v39, v39, v41, vcc
	v_cndmask_b32_e32 v38, v38, v40, vcc
	v_add_u32_e32 v40, 1, v38
	v_cmp_le_u32_e32 vcc, s44, v39
	v_cndmask_b32_e32 v38, v38, v40, vcc
	v_mov_b32_e32 v39, 0
.LBB1134_77:
	s_or_b64 exec, exec, s[0:1]
	v_add_co_u32_e32 v69, vcc, 0x400, v30
	v_addc_co_u32_e32 v70, vcc, 0, v1, vcc
	v_or_b32_e32 v41, s45, v70
	v_mov_b32_e32 v40, 0
	v_cmp_ne_u64_e32 vcc, 0, v[40:41]
                                        ; implicit-def: $vgpr40_vgpr41
	s_and_saveexec_b64 s[0:1], vcc
	s_xor_b64 s[2:3], exec, s[0:1]
	s_cbranch_execz .LBB1134_79
; %bb.78:
	s_ashr_i32 s8, s45, 31
	s_add_u32 s0, s44, s8
	s_mov_b32 s9, s8
	s_addc_u32 s1, s45, s8
	s_xor_b64 s[10:11], s[0:1], s[8:9]
	v_cvt_f32_u32_e32 v40, s10
	v_cvt_f32_u32_e32 v41, s11
	s_sub_u32 s0, 0, s10
	s_subb_u32 s1, 0, s11
	v_madmk_f32 v40, v41, 0x4f800000, v40
	v_rcp_f32_e32 v40, v40
	v_mul_f32_e32 v40, 0x5f7ffffc, v40
	v_mul_f32_e32 v41, 0x2f800000, v40
	v_trunc_f32_e32 v41, v41
	v_madmk_f32 v40, v41, 0xcf800000, v40
	v_cvt_u32_f32_e32 v41, v41
	v_cvt_u32_f32_e32 v40, v40
	v_mul_lo_u32 v42, s0, v41
	v_mul_hi_u32 v44, s0, v40
	v_mul_lo_u32 v43, s1, v40
	v_add_u32_e32 v42, v44, v42
	v_mul_lo_u32 v45, s0, v40
	v_add_u32_e32 v42, v42, v43
	v_mul_lo_u32 v44, v40, v42
	v_mul_hi_u32 v46, v40, v45
	v_mul_hi_u32 v43, v40, v42
	v_add_co_u32_e32 v44, vcc, v46, v44
	v_addc_co_u32_e32 v43, vcc, 0, v43, vcc
	v_mul_hi_u32 v47, v41, v45
	v_mul_lo_u32 v45, v41, v45
	v_add_co_u32_e32 v44, vcc, v44, v45
	v_mul_hi_u32 v46, v41, v42
	v_addc_co_u32_e32 v43, vcc, v43, v47, vcc
	v_addc_co_u32_e32 v44, vcc, 0, v46, vcc
	v_mul_lo_u32 v42, v41, v42
	v_add_co_u32_e32 v42, vcc, v43, v42
	v_addc_co_u32_e32 v43, vcc, 0, v44, vcc
	v_add_co_u32_e32 v40, vcc, v40, v42
	v_addc_co_u32_e32 v41, vcc, v41, v43, vcc
	v_mul_lo_u32 v42, s0, v41
	v_mul_hi_u32 v43, s0, v40
	v_add_u32_e32 v42, v43, v42
	v_mul_lo_u32 v43, s1, v40
	v_add_u32_e32 v42, v42, v43
	v_mul_lo_u32 v44, s0, v40
	v_mul_hi_u32 v45, v41, v44
	v_mul_lo_u32 v46, v41, v44
	v_mul_lo_u32 v48, v40, v42
	v_mul_hi_u32 v44, v40, v44
	v_mul_hi_u32 v47, v40, v42
	v_add_co_u32_e32 v44, vcc, v44, v48
	v_addc_co_u32_e32 v47, vcc, 0, v47, vcc
	v_add_co_u32_e32 v44, vcc, v44, v46
	v_mul_hi_u32 v43, v41, v42
	v_addc_co_u32_e32 v44, vcc, v47, v45, vcc
	v_addc_co_u32_e32 v43, vcc, 0, v43, vcc
	v_mul_lo_u32 v42, v41, v42
	v_add_co_u32_e32 v42, vcc, v44, v42
	v_addc_co_u32_e32 v43, vcc, 0, v43, vcc
	v_add_co_u32_e32 v42, vcc, v40, v42
	v_addc_co_u32_e32 v43, vcc, v41, v43, vcc
	v_ashrrev_i32_e32 v44, 31, v70
	v_add_co_u32_e32 v40, vcc, v69, v44
	v_addc_co_u32_e32 v41, vcc, v70, v44, vcc
	v_xor_b32_e32 v46, v40, v44
	v_xor_b32_e32 v45, v41, v44
	v_mad_u64_u32 v[40:41], s[0:1], v46, v43, 0
	v_mul_hi_u32 v47, v46, v42
	v_add_co_u32_e32 v47, vcc, v47, v40
	v_addc_co_u32_e32 v48, vcc, 0, v41, vcc
	v_mad_u64_u32 v[40:41], s[0:1], v45, v43, 0
	v_mad_u64_u32 v[42:43], s[0:1], v45, v42, 0
	v_add_co_u32_e32 v42, vcc, v47, v42
	v_addc_co_u32_e32 v42, vcc, v48, v43, vcc
	v_addc_co_u32_e32 v41, vcc, 0, v41, vcc
	v_add_co_u32_e32 v42, vcc, v42, v40
	v_addc_co_u32_e32 v43, vcc, 0, v41, vcc
	v_mul_lo_u32 v47, s11, v42
	v_mul_lo_u32 v48, s10, v43
	v_mad_u64_u32 v[40:41], s[0:1], s10, v42, 0
	v_add3_u32 v41, v41, v48, v47
	v_sub_u32_e32 v47, v45, v41
	v_mov_b32_e32 v48, s11
	v_sub_co_u32_e32 v40, vcc, v46, v40
	v_subb_co_u32_e64 v46, s[0:1], v47, v48, vcc
	v_subrev_co_u32_e64 v47, s[0:1], s10, v40
	v_subbrev_co_u32_e64 v46, s[0:1], 0, v46, s[0:1]
	v_cmp_le_u32_e64 s[0:1], s11, v46
	v_cndmask_b32_e64 v48, 0, -1, s[0:1]
	v_cmp_le_u32_e64 s[0:1], s10, v47
	v_cndmask_b32_e64 v47, 0, -1, s[0:1]
	v_cmp_eq_u32_e64 s[0:1], s11, v46
	v_cndmask_b32_e64 v46, v48, v47, s[0:1]
	v_add_co_u32_e64 v47, s[0:1], 2, v42
	v_subb_co_u32_e32 v41, vcc, v45, v41, vcc
	v_addc_co_u32_e64 v48, s[0:1], 0, v43, s[0:1]
	v_cmp_le_u32_e32 vcc, s11, v41
	v_add_co_u32_e64 v49, s[0:1], 1, v42
	v_cndmask_b32_e64 v45, 0, -1, vcc
	v_cmp_le_u32_e32 vcc, s10, v40
	v_addc_co_u32_e64 v50, s[0:1], 0, v43, s[0:1]
	v_cndmask_b32_e64 v40, 0, -1, vcc
	v_cmp_eq_u32_e32 vcc, s11, v41
	v_cmp_ne_u32_e64 s[0:1], 0, v46
	v_cndmask_b32_e32 v40, v45, v40, vcc
	v_cndmask_b32_e64 v46, v50, v48, s[0:1]
	v_cmp_ne_u32_e32 vcc, 0, v40
	v_cndmask_b32_e64 v41, v49, v47, s[0:1]
	v_cndmask_b32_e32 v40, v43, v46, vcc
	v_cndmask_b32_e32 v41, v42, v41, vcc
	v_xor_b32_e32 v42, s8, v44
	v_xor_b32_e32 v43, v40, v42
	;; [unrolled: 1-line block ×3, first 2 shown]
	v_sub_co_u32_e32 v40, vcc, v40, v42
	v_subb_co_u32_e32 v41, vcc, v43, v42, vcc
.LBB1134_79:
	s_andn2_saveexec_b64 s[0:1], s[2:3]
	s_cbranch_execz .LBB1134_81
; %bb.80:
	v_rcp_iflag_f32_e32 v40, v66
	s_sub_i32 s2, 0, s44
	v_mul_f32_e32 v40, 0x4f7ffffe, v40
	v_cvt_u32_f32_e32 v40, v40
	v_mul_lo_u32 v41, s2, v40
	v_mul_hi_u32 v41, v40, v41
	v_add_u32_e32 v40, v40, v41
	v_mul_hi_u32 v40, v69, v40
	v_mul_lo_u32 v41, v40, s44
	v_sub_u32_e32 v41, v69, v41
	v_add_u32_e32 v42, 1, v40
	v_subrev_u32_e32 v43, s44, v41
	v_cmp_le_u32_e32 vcc, s44, v41
	v_cndmask_b32_e32 v41, v41, v43, vcc
	v_cndmask_b32_e32 v40, v40, v42, vcc
	v_add_u32_e32 v42, 1, v40
	v_cmp_le_u32_e32 vcc, s44, v41
	v_cndmask_b32_e32 v40, v40, v42, vcc
	v_mov_b32_e32 v41, 0
.LBB1134_81:
	s_or_b64 exec, exec, s[0:1]
	v_add_co_u32_e32 v71, vcc, 0x500, v30
	v_addc_co_u32_e32 v72, vcc, 0, v1, vcc
	v_or_b32_e32 v43, s45, v72
	v_mov_b32_e32 v42, 0
	v_cmp_ne_u64_e32 vcc, 0, v[42:43]
                                        ; implicit-def: $vgpr42_vgpr43
	s_and_saveexec_b64 s[0:1], vcc
	s_xor_b64 s[2:3], exec, s[0:1]
	s_cbranch_execz .LBB1134_83
; %bb.82:
	s_ashr_i32 s8, s45, 31
	s_add_u32 s0, s44, s8
	s_mov_b32 s9, s8
	s_addc_u32 s1, s45, s8
	s_xor_b64 s[10:11], s[0:1], s[8:9]
	v_cvt_f32_u32_e32 v42, s10
	v_cvt_f32_u32_e32 v43, s11
	s_sub_u32 s0, 0, s10
	s_subb_u32 s1, 0, s11
	v_madmk_f32 v42, v43, 0x4f800000, v42
	v_rcp_f32_e32 v42, v42
	v_mul_f32_e32 v42, 0x5f7ffffc, v42
	v_mul_f32_e32 v43, 0x2f800000, v42
	v_trunc_f32_e32 v43, v43
	v_madmk_f32 v42, v43, 0xcf800000, v42
	v_cvt_u32_f32_e32 v43, v43
	v_cvt_u32_f32_e32 v42, v42
	v_mul_lo_u32 v44, s0, v43
	v_mul_hi_u32 v46, s0, v42
	v_mul_lo_u32 v45, s1, v42
	v_add_u32_e32 v44, v46, v44
	v_mul_lo_u32 v47, s0, v42
	v_add_u32_e32 v44, v44, v45
	v_mul_lo_u32 v46, v42, v44
	v_mul_hi_u32 v48, v42, v47
	v_mul_hi_u32 v45, v42, v44
	v_add_co_u32_e32 v46, vcc, v48, v46
	v_addc_co_u32_e32 v45, vcc, 0, v45, vcc
	v_mul_hi_u32 v49, v43, v47
	v_mul_lo_u32 v47, v43, v47
	v_add_co_u32_e32 v46, vcc, v46, v47
	v_mul_hi_u32 v48, v43, v44
	v_addc_co_u32_e32 v45, vcc, v45, v49, vcc
	v_addc_co_u32_e32 v46, vcc, 0, v48, vcc
	v_mul_lo_u32 v44, v43, v44
	v_add_co_u32_e32 v44, vcc, v45, v44
	v_addc_co_u32_e32 v45, vcc, 0, v46, vcc
	v_add_co_u32_e32 v42, vcc, v42, v44
	v_addc_co_u32_e32 v43, vcc, v43, v45, vcc
	v_mul_lo_u32 v44, s0, v43
	v_mul_hi_u32 v45, s0, v42
	v_add_u32_e32 v44, v45, v44
	v_mul_lo_u32 v45, s1, v42
	v_add_u32_e32 v44, v44, v45
	v_mul_lo_u32 v46, s0, v42
	v_mul_hi_u32 v47, v43, v46
	v_mul_lo_u32 v48, v43, v46
	v_mul_lo_u32 v50, v42, v44
	v_mul_hi_u32 v46, v42, v46
	v_mul_hi_u32 v49, v42, v44
	v_add_co_u32_e32 v46, vcc, v46, v50
	v_addc_co_u32_e32 v49, vcc, 0, v49, vcc
	v_add_co_u32_e32 v46, vcc, v46, v48
	v_mul_hi_u32 v45, v43, v44
	v_addc_co_u32_e32 v46, vcc, v49, v47, vcc
	v_addc_co_u32_e32 v45, vcc, 0, v45, vcc
	v_mul_lo_u32 v44, v43, v44
	v_add_co_u32_e32 v44, vcc, v46, v44
	v_addc_co_u32_e32 v45, vcc, 0, v45, vcc
	v_add_co_u32_e32 v44, vcc, v42, v44
	v_addc_co_u32_e32 v45, vcc, v43, v45, vcc
	v_ashrrev_i32_e32 v46, 31, v72
	v_add_co_u32_e32 v42, vcc, v71, v46
	v_addc_co_u32_e32 v43, vcc, v72, v46, vcc
	v_xor_b32_e32 v48, v42, v46
	v_xor_b32_e32 v47, v43, v46
	v_mad_u64_u32 v[42:43], s[0:1], v48, v45, 0
	v_mul_hi_u32 v49, v48, v44
	v_add_co_u32_e32 v49, vcc, v49, v42
	v_addc_co_u32_e32 v50, vcc, 0, v43, vcc
	v_mad_u64_u32 v[42:43], s[0:1], v47, v45, 0
	v_mad_u64_u32 v[44:45], s[0:1], v47, v44, 0
	v_add_co_u32_e32 v44, vcc, v49, v44
	v_addc_co_u32_e32 v44, vcc, v50, v45, vcc
	v_addc_co_u32_e32 v43, vcc, 0, v43, vcc
	v_add_co_u32_e32 v44, vcc, v44, v42
	v_addc_co_u32_e32 v45, vcc, 0, v43, vcc
	v_mul_lo_u32 v49, s11, v44
	v_mul_lo_u32 v50, s10, v45
	v_mad_u64_u32 v[42:43], s[0:1], s10, v44, 0
	v_add3_u32 v43, v43, v50, v49
	v_sub_u32_e32 v49, v47, v43
	v_mov_b32_e32 v50, s11
	v_sub_co_u32_e32 v42, vcc, v48, v42
	v_subb_co_u32_e64 v48, s[0:1], v49, v50, vcc
	v_subrev_co_u32_e64 v49, s[0:1], s10, v42
	v_subbrev_co_u32_e64 v48, s[0:1], 0, v48, s[0:1]
	v_cmp_le_u32_e64 s[0:1], s11, v48
	v_cndmask_b32_e64 v50, 0, -1, s[0:1]
	v_cmp_le_u32_e64 s[0:1], s10, v49
	v_cndmask_b32_e64 v49, 0, -1, s[0:1]
	v_cmp_eq_u32_e64 s[0:1], s11, v48
	v_cndmask_b32_e64 v48, v50, v49, s[0:1]
	v_add_co_u32_e64 v49, s[0:1], 2, v44
	v_subb_co_u32_e32 v43, vcc, v47, v43, vcc
	v_addc_co_u32_e64 v50, s[0:1], 0, v45, s[0:1]
	v_cmp_le_u32_e32 vcc, s11, v43
	v_add_co_u32_e64 v51, s[0:1], 1, v44
	v_cndmask_b32_e64 v47, 0, -1, vcc
	v_cmp_le_u32_e32 vcc, s10, v42
	v_addc_co_u32_e64 v52, s[0:1], 0, v45, s[0:1]
	v_cndmask_b32_e64 v42, 0, -1, vcc
	v_cmp_eq_u32_e32 vcc, s11, v43
	v_cmp_ne_u32_e64 s[0:1], 0, v48
	v_cndmask_b32_e32 v42, v47, v42, vcc
	v_cndmask_b32_e64 v48, v52, v50, s[0:1]
	v_cmp_ne_u32_e32 vcc, 0, v42
	v_cndmask_b32_e64 v43, v51, v49, s[0:1]
	v_cndmask_b32_e32 v42, v45, v48, vcc
	v_cndmask_b32_e32 v43, v44, v43, vcc
	v_xor_b32_e32 v44, s8, v46
	v_xor_b32_e32 v45, v42, v44
	;; [unrolled: 1-line block ×3, first 2 shown]
	v_sub_co_u32_e32 v42, vcc, v42, v44
	v_subb_co_u32_e32 v43, vcc, v45, v44, vcc
.LBB1134_83:
	s_andn2_saveexec_b64 s[0:1], s[2:3]
	s_cbranch_execz .LBB1134_85
; %bb.84:
	v_rcp_iflag_f32_e32 v42, v66
	s_sub_i32 s2, 0, s44
	v_mul_f32_e32 v42, 0x4f7ffffe, v42
	v_cvt_u32_f32_e32 v42, v42
	v_mul_lo_u32 v43, s2, v42
	v_mul_hi_u32 v43, v42, v43
	v_add_u32_e32 v42, v42, v43
	v_mul_hi_u32 v42, v71, v42
	v_mul_lo_u32 v43, v42, s44
	v_sub_u32_e32 v43, v71, v43
	v_add_u32_e32 v44, 1, v42
	v_subrev_u32_e32 v45, s44, v43
	v_cmp_le_u32_e32 vcc, s44, v43
	v_cndmask_b32_e32 v43, v43, v45, vcc
	v_cndmask_b32_e32 v42, v42, v44, vcc
	v_add_u32_e32 v44, 1, v42
	v_cmp_le_u32_e32 vcc, s44, v43
	v_cndmask_b32_e32 v42, v42, v44, vcc
	v_mov_b32_e32 v43, 0
.LBB1134_85:
	s_or_b64 exec, exec, s[0:1]
	v_add_co_u32_e32 v73, vcc, 0x600, v30
	v_addc_co_u32_e32 v77, vcc, 0, v1, vcc
	v_or_b32_e32 v45, s45, v77
	v_mov_b32_e32 v44, 0
	v_cmp_ne_u64_e32 vcc, 0, v[44:45]
                                        ; implicit-def: $vgpr44_vgpr45
	s_and_saveexec_b64 s[0:1], vcc
	s_xor_b64 s[2:3], exec, s[0:1]
	s_cbranch_execz .LBB1134_87
; %bb.86:
	s_ashr_i32 s8, s45, 31
	s_add_u32 s0, s44, s8
	s_mov_b32 s9, s8
	s_addc_u32 s1, s45, s8
	s_xor_b64 s[10:11], s[0:1], s[8:9]
	v_cvt_f32_u32_e32 v44, s10
	v_cvt_f32_u32_e32 v45, s11
	s_sub_u32 s0, 0, s10
	s_subb_u32 s1, 0, s11
	v_madmk_f32 v44, v45, 0x4f800000, v44
	v_rcp_f32_e32 v44, v44
	v_mul_f32_e32 v44, 0x5f7ffffc, v44
	v_mul_f32_e32 v45, 0x2f800000, v44
	v_trunc_f32_e32 v45, v45
	v_madmk_f32 v44, v45, 0xcf800000, v44
	v_cvt_u32_f32_e32 v45, v45
	v_cvt_u32_f32_e32 v44, v44
	v_mul_lo_u32 v46, s0, v45
	v_mul_hi_u32 v48, s0, v44
	v_mul_lo_u32 v47, s1, v44
	v_add_u32_e32 v46, v48, v46
	v_mul_lo_u32 v49, s0, v44
	v_add_u32_e32 v46, v46, v47
	v_mul_lo_u32 v48, v44, v46
	v_mul_hi_u32 v50, v44, v49
	v_mul_hi_u32 v47, v44, v46
	v_add_co_u32_e32 v48, vcc, v50, v48
	v_addc_co_u32_e32 v47, vcc, 0, v47, vcc
	v_mul_hi_u32 v51, v45, v49
	v_mul_lo_u32 v49, v45, v49
	v_add_co_u32_e32 v48, vcc, v48, v49
	v_mul_hi_u32 v50, v45, v46
	v_addc_co_u32_e32 v47, vcc, v47, v51, vcc
	v_addc_co_u32_e32 v48, vcc, 0, v50, vcc
	v_mul_lo_u32 v46, v45, v46
	v_add_co_u32_e32 v46, vcc, v47, v46
	v_addc_co_u32_e32 v47, vcc, 0, v48, vcc
	v_add_co_u32_e32 v44, vcc, v44, v46
	v_addc_co_u32_e32 v45, vcc, v45, v47, vcc
	v_mul_lo_u32 v46, s0, v45
	v_mul_hi_u32 v47, s0, v44
	v_add_u32_e32 v46, v47, v46
	v_mul_lo_u32 v47, s1, v44
	v_add_u32_e32 v46, v46, v47
	v_mul_lo_u32 v48, s0, v44
	v_mul_hi_u32 v49, v45, v48
	v_mul_lo_u32 v50, v45, v48
	v_mul_lo_u32 v52, v44, v46
	v_mul_hi_u32 v48, v44, v48
	v_mul_hi_u32 v51, v44, v46
	v_add_co_u32_e32 v48, vcc, v48, v52
	v_addc_co_u32_e32 v51, vcc, 0, v51, vcc
	v_add_co_u32_e32 v48, vcc, v48, v50
	v_mul_hi_u32 v47, v45, v46
	v_addc_co_u32_e32 v48, vcc, v51, v49, vcc
	v_addc_co_u32_e32 v47, vcc, 0, v47, vcc
	v_mul_lo_u32 v46, v45, v46
	v_add_co_u32_e32 v46, vcc, v48, v46
	v_addc_co_u32_e32 v47, vcc, 0, v47, vcc
	v_add_co_u32_e32 v46, vcc, v44, v46
	v_addc_co_u32_e32 v47, vcc, v45, v47, vcc
	v_ashrrev_i32_e32 v48, 31, v77
	v_add_co_u32_e32 v44, vcc, v73, v48
	v_addc_co_u32_e32 v45, vcc, v77, v48, vcc
	v_xor_b32_e32 v50, v44, v48
	v_xor_b32_e32 v49, v45, v48
	v_mad_u64_u32 v[44:45], s[0:1], v50, v47, 0
	v_mul_hi_u32 v51, v50, v46
	v_add_co_u32_e32 v51, vcc, v51, v44
	v_addc_co_u32_e32 v52, vcc, 0, v45, vcc
	v_mad_u64_u32 v[44:45], s[0:1], v49, v47, 0
	v_mad_u64_u32 v[46:47], s[0:1], v49, v46, 0
	v_add_co_u32_e32 v46, vcc, v51, v46
	v_addc_co_u32_e32 v46, vcc, v52, v47, vcc
	v_addc_co_u32_e32 v45, vcc, 0, v45, vcc
	v_add_co_u32_e32 v46, vcc, v46, v44
	v_addc_co_u32_e32 v47, vcc, 0, v45, vcc
	v_mul_lo_u32 v51, s11, v46
	v_mul_lo_u32 v52, s10, v47
	v_mad_u64_u32 v[44:45], s[0:1], s10, v46, 0
	v_add3_u32 v45, v45, v52, v51
	v_sub_u32_e32 v51, v49, v45
	v_mov_b32_e32 v52, s11
	v_sub_co_u32_e32 v44, vcc, v50, v44
	v_subb_co_u32_e64 v50, s[0:1], v51, v52, vcc
	v_subrev_co_u32_e64 v51, s[0:1], s10, v44
	v_subbrev_co_u32_e64 v50, s[0:1], 0, v50, s[0:1]
	v_cmp_le_u32_e64 s[0:1], s11, v50
	v_cndmask_b32_e64 v52, 0, -1, s[0:1]
	v_cmp_le_u32_e64 s[0:1], s10, v51
	v_cndmask_b32_e64 v51, 0, -1, s[0:1]
	v_cmp_eq_u32_e64 s[0:1], s11, v50
	v_cndmask_b32_e64 v50, v52, v51, s[0:1]
	v_add_co_u32_e64 v51, s[0:1], 2, v46
	v_subb_co_u32_e32 v45, vcc, v49, v45, vcc
	v_addc_co_u32_e64 v52, s[0:1], 0, v47, s[0:1]
	v_cmp_le_u32_e32 vcc, s11, v45
	v_add_co_u32_e64 v53, s[0:1], 1, v46
	v_cndmask_b32_e64 v49, 0, -1, vcc
	v_cmp_le_u32_e32 vcc, s10, v44
	v_addc_co_u32_e64 v54, s[0:1], 0, v47, s[0:1]
	v_cndmask_b32_e64 v44, 0, -1, vcc
	v_cmp_eq_u32_e32 vcc, s11, v45
	v_cmp_ne_u32_e64 s[0:1], 0, v50
	v_cndmask_b32_e32 v44, v49, v44, vcc
	v_cndmask_b32_e64 v50, v54, v52, s[0:1]
	v_cmp_ne_u32_e32 vcc, 0, v44
	v_cndmask_b32_e64 v45, v53, v51, s[0:1]
	v_cndmask_b32_e32 v44, v47, v50, vcc
	v_cndmask_b32_e32 v45, v46, v45, vcc
	v_xor_b32_e32 v46, s8, v48
	v_xor_b32_e32 v47, v44, v46
	v_xor_b32_e32 v44, v45, v46
	v_sub_co_u32_e32 v44, vcc, v44, v46
	v_subb_co_u32_e32 v45, vcc, v47, v46, vcc
.LBB1134_87:
	s_andn2_saveexec_b64 s[0:1], s[2:3]
	s_cbranch_execz .LBB1134_89
; %bb.88:
	v_rcp_iflag_f32_e32 v44, v66
	s_sub_i32 s2, 0, s44
	v_mul_f32_e32 v44, 0x4f7ffffe, v44
	v_cvt_u32_f32_e32 v44, v44
	v_mul_lo_u32 v45, s2, v44
	v_mul_hi_u32 v45, v44, v45
	v_add_u32_e32 v44, v44, v45
	v_mul_hi_u32 v44, v73, v44
	v_mul_lo_u32 v45, v44, s44
	v_sub_u32_e32 v45, v73, v45
	v_add_u32_e32 v46, 1, v44
	v_subrev_u32_e32 v47, s44, v45
	v_cmp_le_u32_e32 vcc, s44, v45
	v_cndmask_b32_e32 v45, v45, v47, vcc
	v_cndmask_b32_e32 v44, v44, v46, vcc
	v_add_u32_e32 v46, 1, v44
	v_cmp_le_u32_e32 vcc, s44, v45
	v_cndmask_b32_e32 v44, v44, v46, vcc
	v_mov_b32_e32 v45, 0
.LBB1134_89:
	s_or_b64 exec, exec, s[0:1]
	v_add_co_u32_e32 v78, vcc, 0x700, v30
	v_addc_co_u32_e32 v79, vcc, 0, v1, vcc
	v_or_b32_e32 v47, s45, v79
	v_mov_b32_e32 v46, 0
	v_cmp_ne_u64_e32 vcc, 0, v[46:47]
                                        ; implicit-def: $vgpr46_vgpr47
	s_and_saveexec_b64 s[0:1], vcc
	s_xor_b64 s[2:3], exec, s[0:1]
	s_cbranch_execz .LBB1134_91
; %bb.90:
	s_ashr_i32 s8, s45, 31
	s_add_u32 s0, s44, s8
	s_mov_b32 s9, s8
	s_addc_u32 s1, s45, s8
	s_xor_b64 s[10:11], s[0:1], s[8:9]
	v_cvt_f32_u32_e32 v46, s10
	v_cvt_f32_u32_e32 v47, s11
	s_sub_u32 s0, 0, s10
	s_subb_u32 s1, 0, s11
	v_madmk_f32 v46, v47, 0x4f800000, v46
	v_rcp_f32_e32 v46, v46
	v_mul_f32_e32 v46, 0x5f7ffffc, v46
	v_mul_f32_e32 v47, 0x2f800000, v46
	v_trunc_f32_e32 v47, v47
	v_madmk_f32 v46, v47, 0xcf800000, v46
	v_cvt_u32_f32_e32 v47, v47
	v_cvt_u32_f32_e32 v46, v46
	v_mul_lo_u32 v48, s0, v47
	v_mul_hi_u32 v50, s0, v46
	v_mul_lo_u32 v49, s1, v46
	v_add_u32_e32 v48, v50, v48
	v_mul_lo_u32 v51, s0, v46
	v_add_u32_e32 v48, v48, v49
	v_mul_lo_u32 v50, v46, v48
	v_mul_hi_u32 v52, v46, v51
	v_mul_hi_u32 v49, v46, v48
	v_add_co_u32_e32 v50, vcc, v52, v50
	v_addc_co_u32_e32 v49, vcc, 0, v49, vcc
	v_mul_hi_u32 v53, v47, v51
	v_mul_lo_u32 v51, v47, v51
	v_add_co_u32_e32 v50, vcc, v50, v51
	v_mul_hi_u32 v52, v47, v48
	v_addc_co_u32_e32 v49, vcc, v49, v53, vcc
	v_addc_co_u32_e32 v50, vcc, 0, v52, vcc
	v_mul_lo_u32 v48, v47, v48
	v_add_co_u32_e32 v48, vcc, v49, v48
	v_addc_co_u32_e32 v49, vcc, 0, v50, vcc
	v_add_co_u32_e32 v46, vcc, v46, v48
	v_addc_co_u32_e32 v47, vcc, v47, v49, vcc
	v_mul_lo_u32 v48, s0, v47
	v_mul_hi_u32 v49, s0, v46
	v_add_u32_e32 v48, v49, v48
	v_mul_lo_u32 v49, s1, v46
	v_add_u32_e32 v48, v48, v49
	v_mul_lo_u32 v50, s0, v46
	v_mul_hi_u32 v51, v47, v50
	v_mul_lo_u32 v52, v47, v50
	v_mul_lo_u32 v54, v46, v48
	v_mul_hi_u32 v50, v46, v50
	v_mul_hi_u32 v53, v46, v48
	v_add_co_u32_e32 v50, vcc, v50, v54
	v_addc_co_u32_e32 v53, vcc, 0, v53, vcc
	v_add_co_u32_e32 v50, vcc, v50, v52
	v_mul_hi_u32 v49, v47, v48
	v_addc_co_u32_e32 v50, vcc, v53, v51, vcc
	v_addc_co_u32_e32 v49, vcc, 0, v49, vcc
	v_mul_lo_u32 v48, v47, v48
	v_add_co_u32_e32 v48, vcc, v50, v48
	v_addc_co_u32_e32 v49, vcc, 0, v49, vcc
	v_add_co_u32_e32 v48, vcc, v46, v48
	v_addc_co_u32_e32 v49, vcc, v47, v49, vcc
	v_ashrrev_i32_e32 v50, 31, v79
	v_add_co_u32_e32 v46, vcc, v78, v50
	v_addc_co_u32_e32 v47, vcc, v79, v50, vcc
	v_xor_b32_e32 v52, v46, v50
	v_xor_b32_e32 v51, v47, v50
	v_mad_u64_u32 v[46:47], s[0:1], v52, v49, 0
	v_mul_hi_u32 v53, v52, v48
	v_add_co_u32_e32 v53, vcc, v53, v46
	v_addc_co_u32_e32 v54, vcc, 0, v47, vcc
	v_mad_u64_u32 v[46:47], s[0:1], v51, v49, 0
	v_mad_u64_u32 v[48:49], s[0:1], v51, v48, 0
	v_add_co_u32_e32 v48, vcc, v53, v48
	v_addc_co_u32_e32 v48, vcc, v54, v49, vcc
	v_addc_co_u32_e32 v47, vcc, 0, v47, vcc
	v_add_co_u32_e32 v48, vcc, v48, v46
	v_addc_co_u32_e32 v49, vcc, 0, v47, vcc
	v_mul_lo_u32 v53, s11, v48
	v_mul_lo_u32 v54, s10, v49
	v_mad_u64_u32 v[46:47], s[0:1], s10, v48, 0
	v_add3_u32 v47, v47, v54, v53
	v_sub_u32_e32 v53, v51, v47
	v_mov_b32_e32 v54, s11
	v_sub_co_u32_e32 v46, vcc, v52, v46
	v_subb_co_u32_e64 v52, s[0:1], v53, v54, vcc
	v_subrev_co_u32_e64 v53, s[0:1], s10, v46
	v_subbrev_co_u32_e64 v52, s[0:1], 0, v52, s[0:1]
	v_cmp_le_u32_e64 s[0:1], s11, v52
	v_cndmask_b32_e64 v54, 0, -1, s[0:1]
	v_cmp_le_u32_e64 s[0:1], s10, v53
	v_cndmask_b32_e64 v53, 0, -1, s[0:1]
	v_cmp_eq_u32_e64 s[0:1], s11, v52
	v_cndmask_b32_e64 v52, v54, v53, s[0:1]
	v_add_co_u32_e64 v53, s[0:1], 2, v48
	v_subb_co_u32_e32 v47, vcc, v51, v47, vcc
	v_addc_co_u32_e64 v54, s[0:1], 0, v49, s[0:1]
	v_cmp_le_u32_e32 vcc, s11, v47
	v_add_co_u32_e64 v55, s[0:1], 1, v48
	v_cndmask_b32_e64 v51, 0, -1, vcc
	v_cmp_le_u32_e32 vcc, s10, v46
	v_addc_co_u32_e64 v56, s[0:1], 0, v49, s[0:1]
	v_cndmask_b32_e64 v46, 0, -1, vcc
	v_cmp_eq_u32_e32 vcc, s11, v47
	v_cmp_ne_u32_e64 s[0:1], 0, v52
	v_cndmask_b32_e32 v46, v51, v46, vcc
	v_cndmask_b32_e64 v52, v56, v54, s[0:1]
	v_cmp_ne_u32_e32 vcc, 0, v46
	v_cndmask_b32_e64 v47, v55, v53, s[0:1]
	v_cndmask_b32_e32 v46, v49, v52, vcc
	v_cndmask_b32_e32 v47, v48, v47, vcc
	v_xor_b32_e32 v48, s8, v50
	v_xor_b32_e32 v49, v46, v48
	;; [unrolled: 1-line block ×3, first 2 shown]
	v_sub_co_u32_e32 v46, vcc, v46, v48
	v_subb_co_u32_e32 v47, vcc, v49, v48, vcc
.LBB1134_91:
	s_andn2_saveexec_b64 s[0:1], s[2:3]
	s_cbranch_execz .LBB1134_93
; %bb.92:
	v_rcp_iflag_f32_e32 v46, v66
	s_sub_i32 s2, 0, s44
	v_mul_f32_e32 v46, 0x4f7ffffe, v46
	v_cvt_u32_f32_e32 v46, v46
	v_mul_lo_u32 v47, s2, v46
	v_mul_hi_u32 v47, v46, v47
	v_add_u32_e32 v46, v46, v47
	v_mul_hi_u32 v46, v78, v46
	v_mul_lo_u32 v47, v46, s44
	v_sub_u32_e32 v47, v78, v47
	v_add_u32_e32 v48, 1, v46
	v_subrev_u32_e32 v49, s44, v47
	v_cmp_le_u32_e32 vcc, s44, v47
	v_cndmask_b32_e32 v47, v47, v49, vcc
	v_cndmask_b32_e32 v46, v46, v48, vcc
	v_add_u32_e32 v48, 1, v46
	v_cmp_le_u32_e32 vcc, s44, v47
	v_cndmask_b32_e32 v46, v46, v48, vcc
	v_mov_b32_e32 v47, 0
.LBB1134_93:
	s_or_b64 exec, exec, s[0:1]
	v_add_co_u32_e32 v80, vcc, 0x800, v30
	v_addc_co_u32_e32 v81, vcc, 0, v1, vcc
	v_or_b32_e32 v49, s45, v81
	v_mov_b32_e32 v48, 0
	v_cmp_ne_u64_e32 vcc, 0, v[48:49]
                                        ; implicit-def: $vgpr48_vgpr49
	s_and_saveexec_b64 s[0:1], vcc
	s_xor_b64 s[2:3], exec, s[0:1]
	s_cbranch_execz .LBB1134_95
; %bb.94:
	s_ashr_i32 s8, s45, 31
	s_add_u32 s0, s44, s8
	s_mov_b32 s9, s8
	s_addc_u32 s1, s45, s8
	s_xor_b64 s[10:11], s[0:1], s[8:9]
	v_cvt_f32_u32_e32 v48, s10
	v_cvt_f32_u32_e32 v49, s11
	s_sub_u32 s0, 0, s10
	s_subb_u32 s1, 0, s11
	v_madmk_f32 v48, v49, 0x4f800000, v48
	v_rcp_f32_e32 v48, v48
	v_mul_f32_e32 v48, 0x5f7ffffc, v48
	v_mul_f32_e32 v49, 0x2f800000, v48
	v_trunc_f32_e32 v49, v49
	v_madmk_f32 v48, v49, 0xcf800000, v48
	v_cvt_u32_f32_e32 v49, v49
	v_cvt_u32_f32_e32 v48, v48
	v_mul_lo_u32 v50, s0, v49
	v_mul_hi_u32 v52, s0, v48
	v_mul_lo_u32 v51, s1, v48
	v_add_u32_e32 v50, v52, v50
	v_mul_lo_u32 v53, s0, v48
	v_add_u32_e32 v50, v50, v51
	v_mul_lo_u32 v52, v48, v50
	v_mul_hi_u32 v54, v48, v53
	v_mul_hi_u32 v51, v48, v50
	v_add_co_u32_e32 v52, vcc, v54, v52
	v_addc_co_u32_e32 v51, vcc, 0, v51, vcc
	v_mul_hi_u32 v55, v49, v53
	v_mul_lo_u32 v53, v49, v53
	v_add_co_u32_e32 v52, vcc, v52, v53
	v_mul_hi_u32 v54, v49, v50
	v_addc_co_u32_e32 v51, vcc, v51, v55, vcc
	v_addc_co_u32_e32 v52, vcc, 0, v54, vcc
	v_mul_lo_u32 v50, v49, v50
	v_add_co_u32_e32 v50, vcc, v51, v50
	v_addc_co_u32_e32 v51, vcc, 0, v52, vcc
	v_add_co_u32_e32 v48, vcc, v48, v50
	v_addc_co_u32_e32 v49, vcc, v49, v51, vcc
	v_mul_lo_u32 v50, s0, v49
	v_mul_hi_u32 v51, s0, v48
	v_add_u32_e32 v50, v51, v50
	v_mul_lo_u32 v51, s1, v48
	v_add_u32_e32 v50, v50, v51
	v_mul_lo_u32 v52, s0, v48
	v_mul_hi_u32 v53, v49, v52
	v_mul_lo_u32 v54, v49, v52
	v_mul_lo_u32 v56, v48, v50
	v_mul_hi_u32 v52, v48, v52
	v_mul_hi_u32 v55, v48, v50
	v_add_co_u32_e32 v52, vcc, v52, v56
	v_addc_co_u32_e32 v55, vcc, 0, v55, vcc
	v_add_co_u32_e32 v52, vcc, v52, v54
	v_mul_hi_u32 v51, v49, v50
	v_addc_co_u32_e32 v52, vcc, v55, v53, vcc
	v_addc_co_u32_e32 v51, vcc, 0, v51, vcc
	v_mul_lo_u32 v50, v49, v50
	v_add_co_u32_e32 v50, vcc, v52, v50
	v_addc_co_u32_e32 v51, vcc, 0, v51, vcc
	v_add_co_u32_e32 v50, vcc, v48, v50
	v_addc_co_u32_e32 v51, vcc, v49, v51, vcc
	v_ashrrev_i32_e32 v52, 31, v81
	v_add_co_u32_e32 v48, vcc, v80, v52
	v_addc_co_u32_e32 v49, vcc, v81, v52, vcc
	v_xor_b32_e32 v54, v48, v52
	v_xor_b32_e32 v53, v49, v52
	v_mad_u64_u32 v[48:49], s[0:1], v54, v51, 0
	v_mul_hi_u32 v55, v54, v50
	v_add_co_u32_e32 v55, vcc, v55, v48
	v_addc_co_u32_e32 v56, vcc, 0, v49, vcc
	v_mad_u64_u32 v[48:49], s[0:1], v53, v51, 0
	v_mad_u64_u32 v[50:51], s[0:1], v53, v50, 0
	v_add_co_u32_e32 v50, vcc, v55, v50
	v_addc_co_u32_e32 v50, vcc, v56, v51, vcc
	v_addc_co_u32_e32 v49, vcc, 0, v49, vcc
	v_add_co_u32_e32 v50, vcc, v50, v48
	v_addc_co_u32_e32 v51, vcc, 0, v49, vcc
	v_mul_lo_u32 v55, s11, v50
	v_mul_lo_u32 v56, s10, v51
	v_mad_u64_u32 v[48:49], s[0:1], s10, v50, 0
	v_add3_u32 v49, v49, v56, v55
	v_sub_u32_e32 v55, v53, v49
	v_mov_b32_e32 v56, s11
	v_sub_co_u32_e32 v48, vcc, v54, v48
	v_subb_co_u32_e64 v54, s[0:1], v55, v56, vcc
	v_subrev_co_u32_e64 v55, s[0:1], s10, v48
	v_subbrev_co_u32_e64 v54, s[0:1], 0, v54, s[0:1]
	v_cmp_le_u32_e64 s[0:1], s11, v54
	v_cndmask_b32_e64 v56, 0, -1, s[0:1]
	v_cmp_le_u32_e64 s[0:1], s10, v55
	v_cndmask_b32_e64 v55, 0, -1, s[0:1]
	v_cmp_eq_u32_e64 s[0:1], s11, v54
	v_cndmask_b32_e64 v54, v56, v55, s[0:1]
	v_add_co_u32_e64 v55, s[0:1], 2, v50
	v_subb_co_u32_e32 v49, vcc, v53, v49, vcc
	v_addc_co_u32_e64 v56, s[0:1], 0, v51, s[0:1]
	v_cmp_le_u32_e32 vcc, s11, v49
	v_add_co_u32_e64 v57, s[0:1], 1, v50
	v_cndmask_b32_e64 v53, 0, -1, vcc
	v_cmp_le_u32_e32 vcc, s10, v48
	v_addc_co_u32_e64 v58, s[0:1], 0, v51, s[0:1]
	v_cndmask_b32_e64 v48, 0, -1, vcc
	v_cmp_eq_u32_e32 vcc, s11, v49
	v_cmp_ne_u32_e64 s[0:1], 0, v54
	v_cndmask_b32_e32 v48, v53, v48, vcc
	v_cndmask_b32_e64 v54, v58, v56, s[0:1]
	v_cmp_ne_u32_e32 vcc, 0, v48
	v_cndmask_b32_e64 v49, v57, v55, s[0:1]
	v_cndmask_b32_e32 v48, v51, v54, vcc
	v_cndmask_b32_e32 v49, v50, v49, vcc
	v_xor_b32_e32 v50, s8, v52
	v_xor_b32_e32 v51, v48, v50
	;; [unrolled: 1-line block ×3, first 2 shown]
	v_sub_co_u32_e32 v48, vcc, v48, v50
	v_subb_co_u32_e32 v49, vcc, v51, v50, vcc
.LBB1134_95:
	s_andn2_saveexec_b64 s[0:1], s[2:3]
	s_cbranch_execz .LBB1134_97
; %bb.96:
	v_rcp_iflag_f32_e32 v48, v66
	s_sub_i32 s2, 0, s44
	v_mul_f32_e32 v48, 0x4f7ffffe, v48
	v_cvt_u32_f32_e32 v48, v48
	v_mul_lo_u32 v49, s2, v48
	v_mul_hi_u32 v49, v48, v49
	v_add_u32_e32 v48, v48, v49
	v_mul_hi_u32 v48, v80, v48
	v_mul_lo_u32 v49, v48, s44
	v_sub_u32_e32 v49, v80, v49
	v_add_u32_e32 v50, 1, v48
	v_subrev_u32_e32 v51, s44, v49
	v_cmp_le_u32_e32 vcc, s44, v49
	v_cndmask_b32_e32 v49, v49, v51, vcc
	v_cndmask_b32_e32 v48, v48, v50, vcc
	v_add_u32_e32 v50, 1, v48
	v_cmp_le_u32_e32 vcc, s44, v49
	v_cndmask_b32_e32 v48, v48, v50, vcc
	v_mov_b32_e32 v49, 0
.LBB1134_97:
	s_or_b64 exec, exec, s[0:1]
	v_add_co_u32_e32 v82, vcc, 0x900, v30
	v_addc_co_u32_e32 v83, vcc, 0, v1, vcc
	v_or_b32_e32 v51, s45, v83
	v_mov_b32_e32 v50, 0
	v_cmp_ne_u64_e32 vcc, 0, v[50:51]
                                        ; implicit-def: $vgpr50_vgpr51
	s_and_saveexec_b64 s[0:1], vcc
	s_xor_b64 s[2:3], exec, s[0:1]
	s_cbranch_execz .LBB1134_99
; %bb.98:
	s_ashr_i32 s8, s45, 31
	s_add_u32 s0, s44, s8
	s_mov_b32 s9, s8
	s_addc_u32 s1, s45, s8
	s_xor_b64 s[10:11], s[0:1], s[8:9]
	v_cvt_f32_u32_e32 v50, s10
	v_cvt_f32_u32_e32 v51, s11
	s_sub_u32 s0, 0, s10
	s_subb_u32 s1, 0, s11
	v_madmk_f32 v50, v51, 0x4f800000, v50
	v_rcp_f32_e32 v50, v50
	v_mul_f32_e32 v50, 0x5f7ffffc, v50
	v_mul_f32_e32 v51, 0x2f800000, v50
	v_trunc_f32_e32 v51, v51
	v_madmk_f32 v50, v51, 0xcf800000, v50
	v_cvt_u32_f32_e32 v51, v51
	v_cvt_u32_f32_e32 v50, v50
	v_mul_lo_u32 v52, s0, v51
	v_mul_hi_u32 v54, s0, v50
	v_mul_lo_u32 v53, s1, v50
	v_add_u32_e32 v52, v54, v52
	v_mul_lo_u32 v55, s0, v50
	v_add_u32_e32 v52, v52, v53
	v_mul_lo_u32 v54, v50, v52
	v_mul_hi_u32 v56, v50, v55
	v_mul_hi_u32 v53, v50, v52
	v_add_co_u32_e32 v54, vcc, v56, v54
	v_addc_co_u32_e32 v53, vcc, 0, v53, vcc
	v_mul_hi_u32 v57, v51, v55
	v_mul_lo_u32 v55, v51, v55
	v_add_co_u32_e32 v54, vcc, v54, v55
	v_mul_hi_u32 v56, v51, v52
	v_addc_co_u32_e32 v53, vcc, v53, v57, vcc
	v_addc_co_u32_e32 v54, vcc, 0, v56, vcc
	v_mul_lo_u32 v52, v51, v52
	v_add_co_u32_e32 v52, vcc, v53, v52
	v_addc_co_u32_e32 v53, vcc, 0, v54, vcc
	v_add_co_u32_e32 v50, vcc, v50, v52
	v_addc_co_u32_e32 v51, vcc, v51, v53, vcc
	v_mul_lo_u32 v52, s0, v51
	v_mul_hi_u32 v53, s0, v50
	v_add_u32_e32 v52, v53, v52
	v_mul_lo_u32 v53, s1, v50
	v_add_u32_e32 v52, v52, v53
	v_mul_lo_u32 v54, s0, v50
	v_mul_hi_u32 v55, v51, v54
	v_mul_lo_u32 v56, v51, v54
	v_mul_lo_u32 v58, v50, v52
	v_mul_hi_u32 v54, v50, v54
	v_mul_hi_u32 v57, v50, v52
	v_add_co_u32_e32 v54, vcc, v54, v58
	v_addc_co_u32_e32 v57, vcc, 0, v57, vcc
	v_add_co_u32_e32 v54, vcc, v54, v56
	v_mul_hi_u32 v53, v51, v52
	v_addc_co_u32_e32 v54, vcc, v57, v55, vcc
	v_addc_co_u32_e32 v53, vcc, 0, v53, vcc
	v_mul_lo_u32 v52, v51, v52
	v_add_co_u32_e32 v52, vcc, v54, v52
	v_addc_co_u32_e32 v53, vcc, 0, v53, vcc
	v_add_co_u32_e32 v52, vcc, v50, v52
	v_addc_co_u32_e32 v53, vcc, v51, v53, vcc
	v_ashrrev_i32_e32 v54, 31, v83
	v_add_co_u32_e32 v50, vcc, v82, v54
	v_addc_co_u32_e32 v51, vcc, v83, v54, vcc
	v_xor_b32_e32 v56, v50, v54
	v_xor_b32_e32 v55, v51, v54
	v_mad_u64_u32 v[50:51], s[0:1], v56, v53, 0
	v_mul_hi_u32 v57, v56, v52
	v_add_co_u32_e32 v57, vcc, v57, v50
	v_addc_co_u32_e32 v58, vcc, 0, v51, vcc
	v_mad_u64_u32 v[50:51], s[0:1], v55, v53, 0
	v_mad_u64_u32 v[52:53], s[0:1], v55, v52, 0
	v_add_co_u32_e32 v52, vcc, v57, v52
	v_addc_co_u32_e32 v52, vcc, v58, v53, vcc
	v_addc_co_u32_e32 v51, vcc, 0, v51, vcc
	v_add_co_u32_e32 v52, vcc, v52, v50
	v_addc_co_u32_e32 v53, vcc, 0, v51, vcc
	v_mul_lo_u32 v57, s11, v52
	v_mul_lo_u32 v58, s10, v53
	v_mad_u64_u32 v[50:51], s[0:1], s10, v52, 0
	v_add3_u32 v51, v51, v58, v57
	v_sub_u32_e32 v57, v55, v51
	v_mov_b32_e32 v58, s11
	v_sub_co_u32_e32 v50, vcc, v56, v50
	v_subb_co_u32_e64 v56, s[0:1], v57, v58, vcc
	v_subrev_co_u32_e64 v57, s[0:1], s10, v50
	v_subbrev_co_u32_e64 v56, s[0:1], 0, v56, s[0:1]
	v_cmp_le_u32_e64 s[0:1], s11, v56
	v_cndmask_b32_e64 v58, 0, -1, s[0:1]
	v_cmp_le_u32_e64 s[0:1], s10, v57
	v_cndmask_b32_e64 v57, 0, -1, s[0:1]
	v_cmp_eq_u32_e64 s[0:1], s11, v56
	v_cndmask_b32_e64 v56, v58, v57, s[0:1]
	v_add_co_u32_e64 v57, s[0:1], 2, v52
	v_subb_co_u32_e32 v51, vcc, v55, v51, vcc
	v_addc_co_u32_e64 v58, s[0:1], 0, v53, s[0:1]
	v_cmp_le_u32_e32 vcc, s11, v51
	v_add_co_u32_e64 v59, s[0:1], 1, v52
	v_cndmask_b32_e64 v55, 0, -1, vcc
	v_cmp_le_u32_e32 vcc, s10, v50
	v_addc_co_u32_e64 v60, s[0:1], 0, v53, s[0:1]
	v_cndmask_b32_e64 v50, 0, -1, vcc
	v_cmp_eq_u32_e32 vcc, s11, v51
	v_cmp_ne_u32_e64 s[0:1], 0, v56
	v_cndmask_b32_e32 v50, v55, v50, vcc
	v_cndmask_b32_e64 v56, v60, v58, s[0:1]
	v_cmp_ne_u32_e32 vcc, 0, v50
	v_cndmask_b32_e64 v51, v59, v57, s[0:1]
	v_cndmask_b32_e32 v50, v53, v56, vcc
	v_cndmask_b32_e32 v51, v52, v51, vcc
	v_xor_b32_e32 v52, s8, v54
	v_xor_b32_e32 v53, v50, v52
	;; [unrolled: 1-line block ×3, first 2 shown]
	v_sub_co_u32_e32 v50, vcc, v50, v52
	v_subb_co_u32_e32 v51, vcc, v53, v52, vcc
.LBB1134_99:
	s_andn2_saveexec_b64 s[0:1], s[2:3]
	s_cbranch_execz .LBB1134_101
; %bb.100:
	v_rcp_iflag_f32_e32 v50, v66
	s_sub_i32 s2, 0, s44
	v_mul_f32_e32 v50, 0x4f7ffffe, v50
	v_cvt_u32_f32_e32 v50, v50
	v_mul_lo_u32 v51, s2, v50
	v_mul_hi_u32 v51, v50, v51
	v_add_u32_e32 v50, v50, v51
	v_mul_hi_u32 v50, v82, v50
	v_mul_lo_u32 v51, v50, s44
	v_sub_u32_e32 v51, v82, v51
	v_add_u32_e32 v52, 1, v50
	v_subrev_u32_e32 v53, s44, v51
	v_cmp_le_u32_e32 vcc, s44, v51
	v_cndmask_b32_e32 v51, v51, v53, vcc
	v_cndmask_b32_e32 v50, v50, v52, vcc
	v_add_u32_e32 v52, 1, v50
	v_cmp_le_u32_e32 vcc, s44, v51
	v_cndmask_b32_e32 v50, v50, v52, vcc
	v_mov_b32_e32 v51, 0
.LBB1134_101:
	s_or_b64 exec, exec, s[0:1]
	v_add_co_u32_e32 v84, vcc, 0xa00, v30
	v_addc_co_u32_e32 v85, vcc, 0, v1, vcc
	v_or_b32_e32 v53, s45, v85
	v_mov_b32_e32 v52, 0
	v_cmp_ne_u64_e32 vcc, 0, v[52:53]
                                        ; implicit-def: $vgpr52_vgpr53
	s_and_saveexec_b64 s[0:1], vcc
	s_xor_b64 s[2:3], exec, s[0:1]
	s_cbranch_execz .LBB1134_103
; %bb.102:
	s_ashr_i32 s8, s45, 31
	s_add_u32 s0, s44, s8
	s_mov_b32 s9, s8
	s_addc_u32 s1, s45, s8
	s_xor_b64 s[10:11], s[0:1], s[8:9]
	v_cvt_f32_u32_e32 v52, s10
	v_cvt_f32_u32_e32 v53, s11
	s_sub_u32 s0, 0, s10
	s_subb_u32 s1, 0, s11
	v_madmk_f32 v52, v53, 0x4f800000, v52
	v_rcp_f32_e32 v52, v52
	v_mul_f32_e32 v52, 0x5f7ffffc, v52
	v_mul_f32_e32 v53, 0x2f800000, v52
	v_trunc_f32_e32 v53, v53
	v_madmk_f32 v52, v53, 0xcf800000, v52
	v_cvt_u32_f32_e32 v53, v53
	v_cvt_u32_f32_e32 v52, v52
	v_mul_lo_u32 v54, s0, v53
	v_mul_hi_u32 v56, s0, v52
	v_mul_lo_u32 v55, s1, v52
	v_add_u32_e32 v54, v56, v54
	v_mul_lo_u32 v57, s0, v52
	v_add_u32_e32 v54, v54, v55
	v_mul_lo_u32 v56, v52, v54
	v_mul_hi_u32 v58, v52, v57
	v_mul_hi_u32 v55, v52, v54
	v_add_co_u32_e32 v56, vcc, v58, v56
	v_addc_co_u32_e32 v55, vcc, 0, v55, vcc
	v_mul_hi_u32 v59, v53, v57
	v_mul_lo_u32 v57, v53, v57
	v_add_co_u32_e32 v56, vcc, v56, v57
	v_mul_hi_u32 v58, v53, v54
	v_addc_co_u32_e32 v55, vcc, v55, v59, vcc
	v_addc_co_u32_e32 v56, vcc, 0, v58, vcc
	v_mul_lo_u32 v54, v53, v54
	v_add_co_u32_e32 v54, vcc, v55, v54
	v_addc_co_u32_e32 v55, vcc, 0, v56, vcc
	v_add_co_u32_e32 v52, vcc, v52, v54
	v_addc_co_u32_e32 v53, vcc, v53, v55, vcc
	v_mul_lo_u32 v54, s0, v53
	v_mul_hi_u32 v55, s0, v52
	v_add_u32_e32 v54, v55, v54
	v_mul_lo_u32 v55, s1, v52
	v_add_u32_e32 v54, v54, v55
	v_mul_lo_u32 v56, s0, v52
	v_mul_hi_u32 v57, v53, v56
	v_mul_lo_u32 v58, v53, v56
	v_mul_lo_u32 v60, v52, v54
	v_mul_hi_u32 v56, v52, v56
	v_mul_hi_u32 v59, v52, v54
	v_add_co_u32_e32 v56, vcc, v56, v60
	v_addc_co_u32_e32 v59, vcc, 0, v59, vcc
	v_add_co_u32_e32 v56, vcc, v56, v58
	v_mul_hi_u32 v55, v53, v54
	v_addc_co_u32_e32 v56, vcc, v59, v57, vcc
	v_addc_co_u32_e32 v55, vcc, 0, v55, vcc
	v_mul_lo_u32 v54, v53, v54
	v_add_co_u32_e32 v54, vcc, v56, v54
	v_addc_co_u32_e32 v55, vcc, 0, v55, vcc
	v_add_co_u32_e32 v54, vcc, v52, v54
	v_addc_co_u32_e32 v55, vcc, v53, v55, vcc
	v_ashrrev_i32_e32 v56, 31, v85
	v_add_co_u32_e32 v52, vcc, v84, v56
	v_addc_co_u32_e32 v53, vcc, v85, v56, vcc
	v_xor_b32_e32 v58, v52, v56
	v_xor_b32_e32 v57, v53, v56
	v_mad_u64_u32 v[52:53], s[0:1], v58, v55, 0
	v_mul_hi_u32 v59, v58, v54
	v_add_co_u32_e32 v59, vcc, v59, v52
	v_addc_co_u32_e32 v60, vcc, 0, v53, vcc
	v_mad_u64_u32 v[52:53], s[0:1], v57, v55, 0
	v_mad_u64_u32 v[54:55], s[0:1], v57, v54, 0
	v_add_co_u32_e32 v54, vcc, v59, v54
	v_addc_co_u32_e32 v54, vcc, v60, v55, vcc
	v_addc_co_u32_e32 v53, vcc, 0, v53, vcc
	v_add_co_u32_e32 v54, vcc, v54, v52
	v_addc_co_u32_e32 v55, vcc, 0, v53, vcc
	v_mul_lo_u32 v59, s11, v54
	v_mul_lo_u32 v60, s10, v55
	v_mad_u64_u32 v[52:53], s[0:1], s10, v54, 0
	v_add3_u32 v53, v53, v60, v59
	v_sub_u32_e32 v59, v57, v53
	v_mov_b32_e32 v60, s11
	v_sub_co_u32_e32 v52, vcc, v58, v52
	v_subb_co_u32_e64 v58, s[0:1], v59, v60, vcc
	v_subrev_co_u32_e64 v59, s[0:1], s10, v52
	v_subbrev_co_u32_e64 v58, s[0:1], 0, v58, s[0:1]
	v_cmp_le_u32_e64 s[0:1], s11, v58
	v_cndmask_b32_e64 v60, 0, -1, s[0:1]
	v_cmp_le_u32_e64 s[0:1], s10, v59
	v_cndmask_b32_e64 v59, 0, -1, s[0:1]
	v_cmp_eq_u32_e64 s[0:1], s11, v58
	v_cndmask_b32_e64 v58, v60, v59, s[0:1]
	v_add_co_u32_e64 v59, s[0:1], 2, v54
	v_subb_co_u32_e32 v53, vcc, v57, v53, vcc
	v_addc_co_u32_e64 v60, s[0:1], 0, v55, s[0:1]
	v_cmp_le_u32_e32 vcc, s11, v53
	v_add_co_u32_e64 v61, s[0:1], 1, v54
	v_cndmask_b32_e64 v57, 0, -1, vcc
	v_cmp_le_u32_e32 vcc, s10, v52
	v_addc_co_u32_e64 v86, s[0:1], 0, v55, s[0:1]
	v_cndmask_b32_e64 v52, 0, -1, vcc
	v_cmp_eq_u32_e32 vcc, s11, v53
	v_cmp_ne_u32_e64 s[0:1], 0, v58
	v_cndmask_b32_e32 v52, v57, v52, vcc
	v_cndmask_b32_e64 v58, v86, v60, s[0:1]
	v_cmp_ne_u32_e32 vcc, 0, v52
	v_cndmask_b32_e64 v53, v61, v59, s[0:1]
	v_cndmask_b32_e32 v52, v55, v58, vcc
	v_cndmask_b32_e32 v53, v54, v53, vcc
	v_xor_b32_e32 v54, s8, v56
	v_xor_b32_e32 v55, v52, v54
	;; [unrolled: 1-line block ×3, first 2 shown]
	v_sub_co_u32_e32 v52, vcc, v52, v54
	v_subb_co_u32_e32 v53, vcc, v55, v54, vcc
.LBB1134_103:
	s_andn2_saveexec_b64 s[0:1], s[2:3]
	s_cbranch_execz .LBB1134_105
; %bb.104:
	v_rcp_iflag_f32_e32 v52, v66
	s_sub_i32 s2, 0, s44
	v_mul_f32_e32 v52, 0x4f7ffffe, v52
	v_cvt_u32_f32_e32 v52, v52
	v_mul_lo_u32 v53, s2, v52
	v_mul_hi_u32 v53, v52, v53
	v_add_u32_e32 v52, v52, v53
	v_mul_hi_u32 v52, v84, v52
	v_mul_lo_u32 v53, v52, s44
	v_sub_u32_e32 v53, v84, v53
	v_add_u32_e32 v54, 1, v52
	v_subrev_u32_e32 v55, s44, v53
	v_cmp_le_u32_e32 vcc, s44, v53
	v_cndmask_b32_e32 v53, v53, v55, vcc
	v_cndmask_b32_e32 v52, v52, v54, vcc
	v_add_u32_e32 v54, 1, v52
	v_cmp_le_u32_e32 vcc, s44, v53
	v_cndmask_b32_e32 v52, v52, v54, vcc
	v_mov_b32_e32 v53, 0
.LBB1134_105:
	s_or_b64 exec, exec, s[0:1]
	v_add_co_u32_e32 v86, vcc, 0xb00, v30
	v_addc_co_u32_e32 v87, vcc, 0, v1, vcc
	v_or_b32_e32 v55, s45, v87
	v_mov_b32_e32 v54, 0
	v_cmp_ne_u64_e32 vcc, 0, v[54:55]
                                        ; implicit-def: $vgpr54_vgpr55
	s_and_saveexec_b64 s[0:1], vcc
	s_xor_b64 s[2:3], exec, s[0:1]
	s_cbranch_execz .LBB1134_107
; %bb.106:
	s_ashr_i32 s8, s45, 31
	s_add_u32 s0, s44, s8
	s_mov_b32 s9, s8
	s_addc_u32 s1, s45, s8
	s_xor_b64 s[10:11], s[0:1], s[8:9]
	v_cvt_f32_u32_e32 v54, s10
	v_cvt_f32_u32_e32 v55, s11
	s_sub_u32 s0, 0, s10
	s_subb_u32 s1, 0, s11
	v_madmk_f32 v54, v55, 0x4f800000, v54
	v_rcp_f32_e32 v54, v54
	v_mul_f32_e32 v54, 0x5f7ffffc, v54
	v_mul_f32_e32 v55, 0x2f800000, v54
	v_trunc_f32_e32 v55, v55
	v_madmk_f32 v54, v55, 0xcf800000, v54
	v_cvt_u32_f32_e32 v55, v55
	v_cvt_u32_f32_e32 v54, v54
	v_mul_lo_u32 v56, s0, v55
	v_mul_hi_u32 v58, s0, v54
	v_mul_lo_u32 v57, s1, v54
	v_add_u32_e32 v56, v58, v56
	v_mul_lo_u32 v59, s0, v54
	v_add_u32_e32 v56, v56, v57
	v_mul_lo_u32 v58, v54, v56
	v_mul_hi_u32 v60, v54, v59
	v_mul_hi_u32 v57, v54, v56
	v_add_co_u32_e32 v58, vcc, v60, v58
	v_addc_co_u32_e32 v57, vcc, 0, v57, vcc
	v_mul_hi_u32 v61, v55, v59
	v_mul_lo_u32 v59, v55, v59
	v_add_co_u32_e32 v58, vcc, v58, v59
	v_mul_hi_u32 v60, v55, v56
	v_addc_co_u32_e32 v57, vcc, v57, v61, vcc
	v_addc_co_u32_e32 v58, vcc, 0, v60, vcc
	v_mul_lo_u32 v56, v55, v56
	v_add_co_u32_e32 v56, vcc, v57, v56
	v_addc_co_u32_e32 v57, vcc, 0, v58, vcc
	v_add_co_u32_e32 v54, vcc, v54, v56
	v_addc_co_u32_e32 v55, vcc, v55, v57, vcc
	v_mul_lo_u32 v56, s0, v55
	v_mul_hi_u32 v57, s0, v54
	v_add_u32_e32 v56, v57, v56
	v_mul_lo_u32 v57, s1, v54
	v_add_u32_e32 v56, v56, v57
	v_mul_lo_u32 v58, s0, v54
	v_mul_hi_u32 v59, v55, v58
	v_mul_lo_u32 v60, v55, v58
	v_mul_lo_u32 v88, v54, v56
	v_mul_hi_u32 v58, v54, v58
	v_mul_hi_u32 v61, v54, v56
	v_add_co_u32_e32 v58, vcc, v58, v88
	v_addc_co_u32_e32 v61, vcc, 0, v61, vcc
	v_add_co_u32_e32 v58, vcc, v58, v60
	v_mul_hi_u32 v57, v55, v56
	v_addc_co_u32_e32 v58, vcc, v61, v59, vcc
	v_addc_co_u32_e32 v57, vcc, 0, v57, vcc
	v_mul_lo_u32 v56, v55, v56
	v_add_co_u32_e32 v56, vcc, v58, v56
	v_addc_co_u32_e32 v57, vcc, 0, v57, vcc
	v_add_co_u32_e32 v56, vcc, v54, v56
	v_addc_co_u32_e32 v57, vcc, v55, v57, vcc
	v_ashrrev_i32_e32 v58, 31, v87
	v_add_co_u32_e32 v54, vcc, v86, v58
	v_addc_co_u32_e32 v55, vcc, v87, v58, vcc
	v_xor_b32_e32 v60, v54, v58
	v_xor_b32_e32 v59, v55, v58
	v_mad_u64_u32 v[54:55], s[0:1], v60, v57, 0
	v_mul_hi_u32 v61, v60, v56
	v_add_co_u32_e32 v61, vcc, v61, v54
	v_addc_co_u32_e32 v88, vcc, 0, v55, vcc
	v_mad_u64_u32 v[54:55], s[0:1], v59, v57, 0
	v_mad_u64_u32 v[56:57], s[0:1], v59, v56, 0
	v_add_co_u32_e32 v56, vcc, v61, v56
	v_addc_co_u32_e32 v56, vcc, v88, v57, vcc
	v_addc_co_u32_e32 v55, vcc, 0, v55, vcc
	v_add_co_u32_e32 v56, vcc, v56, v54
	v_addc_co_u32_e32 v57, vcc, 0, v55, vcc
	v_mul_lo_u32 v61, s11, v56
	v_mul_lo_u32 v88, s10, v57
	v_mad_u64_u32 v[54:55], s[0:1], s10, v56, 0
	v_add3_u32 v55, v55, v88, v61
	v_sub_u32_e32 v61, v59, v55
	v_mov_b32_e32 v88, s11
	v_sub_co_u32_e32 v54, vcc, v60, v54
	v_subb_co_u32_e64 v60, s[0:1], v61, v88, vcc
	v_subrev_co_u32_e64 v61, s[0:1], s10, v54
	v_subbrev_co_u32_e64 v60, s[0:1], 0, v60, s[0:1]
	v_cmp_le_u32_e64 s[0:1], s11, v60
	v_cndmask_b32_e64 v88, 0, -1, s[0:1]
	v_cmp_le_u32_e64 s[0:1], s10, v61
	v_cndmask_b32_e64 v61, 0, -1, s[0:1]
	v_cmp_eq_u32_e64 s[0:1], s11, v60
	v_cndmask_b32_e64 v60, v88, v61, s[0:1]
	v_add_co_u32_e64 v61, s[0:1], 2, v56
	v_subb_co_u32_e32 v55, vcc, v59, v55, vcc
	v_addc_co_u32_e64 v88, s[0:1], 0, v57, s[0:1]
	v_cmp_le_u32_e32 vcc, s11, v55
	v_add_co_u32_e64 v89, s[0:1], 1, v56
	v_cndmask_b32_e64 v59, 0, -1, vcc
	v_cmp_le_u32_e32 vcc, s10, v54
	v_addc_co_u32_e64 v90, s[0:1], 0, v57, s[0:1]
	v_cndmask_b32_e64 v54, 0, -1, vcc
	v_cmp_eq_u32_e32 vcc, s11, v55
	v_cmp_ne_u32_e64 s[0:1], 0, v60
	v_cndmask_b32_e32 v54, v59, v54, vcc
	v_cndmask_b32_e64 v60, v90, v88, s[0:1]
	v_cmp_ne_u32_e32 vcc, 0, v54
	v_cndmask_b32_e64 v55, v89, v61, s[0:1]
	v_cndmask_b32_e32 v54, v57, v60, vcc
	v_cndmask_b32_e32 v55, v56, v55, vcc
	v_xor_b32_e32 v56, s8, v58
	v_xor_b32_e32 v57, v54, v56
	;; [unrolled: 1-line block ×3, first 2 shown]
	v_sub_co_u32_e32 v54, vcc, v54, v56
	v_subb_co_u32_e32 v55, vcc, v57, v56, vcc
.LBB1134_107:
	s_andn2_saveexec_b64 s[0:1], s[2:3]
	s_cbranch_execz .LBB1134_109
; %bb.108:
	v_rcp_iflag_f32_e32 v54, v66
	s_sub_i32 s2, 0, s44
	v_mul_f32_e32 v54, 0x4f7ffffe, v54
	v_cvt_u32_f32_e32 v54, v54
	v_mul_lo_u32 v55, s2, v54
	v_mul_hi_u32 v55, v54, v55
	v_add_u32_e32 v54, v54, v55
	v_mul_hi_u32 v54, v86, v54
	v_mul_lo_u32 v55, v54, s44
	v_sub_u32_e32 v55, v86, v55
	v_add_u32_e32 v56, 1, v54
	v_subrev_u32_e32 v57, s44, v55
	v_cmp_le_u32_e32 vcc, s44, v55
	v_cndmask_b32_e32 v55, v55, v57, vcc
	v_cndmask_b32_e32 v54, v54, v56, vcc
	v_add_u32_e32 v56, 1, v54
	v_cmp_le_u32_e32 vcc, s44, v55
	v_cndmask_b32_e32 v54, v54, v56, vcc
	v_mov_b32_e32 v55, 0
.LBB1134_109:
	s_or_b64 exec, exec, s[0:1]
	v_add_co_u32_e32 v88, vcc, 0xc00, v30
	v_addc_co_u32_e32 v89, vcc, 0, v1, vcc
	v_or_b32_e32 v57, s45, v89
	v_mov_b32_e32 v56, 0
	v_cmp_ne_u64_e32 vcc, 0, v[56:57]
                                        ; implicit-def: $vgpr56_vgpr57
	s_and_saveexec_b64 s[0:1], vcc
	s_xor_b64 s[2:3], exec, s[0:1]
	s_cbranch_execz .LBB1134_111
; %bb.110:
	s_ashr_i32 s8, s45, 31
	s_add_u32 s0, s44, s8
	s_mov_b32 s9, s8
	s_addc_u32 s1, s45, s8
	s_xor_b64 s[10:11], s[0:1], s[8:9]
	v_cvt_f32_u32_e32 v56, s10
	v_cvt_f32_u32_e32 v57, s11
	s_sub_u32 s0, 0, s10
	s_subb_u32 s1, 0, s11
	v_madmk_f32 v56, v57, 0x4f800000, v56
	v_rcp_f32_e32 v56, v56
	v_mul_f32_e32 v56, 0x5f7ffffc, v56
	v_mul_f32_e32 v57, 0x2f800000, v56
	v_trunc_f32_e32 v57, v57
	v_madmk_f32 v56, v57, 0xcf800000, v56
	v_cvt_u32_f32_e32 v57, v57
	v_cvt_u32_f32_e32 v56, v56
	v_mul_lo_u32 v58, s0, v57
	v_mul_hi_u32 v60, s0, v56
	v_mul_lo_u32 v59, s1, v56
	v_add_u32_e32 v58, v60, v58
	v_mul_lo_u32 v61, s0, v56
	v_add_u32_e32 v58, v58, v59
	v_mul_lo_u32 v60, v56, v58
	v_mul_hi_u32 v90, v56, v61
	v_mul_hi_u32 v59, v56, v58
	v_add_co_u32_e32 v60, vcc, v90, v60
	v_addc_co_u32_e32 v59, vcc, 0, v59, vcc
	v_mul_hi_u32 v91, v57, v61
	v_mul_lo_u32 v61, v57, v61
	v_add_co_u32_e32 v60, vcc, v60, v61
	v_mul_hi_u32 v90, v57, v58
	v_addc_co_u32_e32 v59, vcc, v59, v91, vcc
	v_addc_co_u32_e32 v60, vcc, 0, v90, vcc
	v_mul_lo_u32 v58, v57, v58
	v_add_co_u32_e32 v58, vcc, v59, v58
	v_addc_co_u32_e32 v59, vcc, 0, v60, vcc
	v_add_co_u32_e32 v56, vcc, v56, v58
	v_addc_co_u32_e32 v57, vcc, v57, v59, vcc
	v_mul_lo_u32 v58, s0, v57
	v_mul_hi_u32 v59, s0, v56
	v_add_u32_e32 v58, v59, v58
	v_mul_lo_u32 v59, s1, v56
	v_add_u32_e32 v58, v58, v59
	v_mul_lo_u32 v60, s0, v56
	v_mul_hi_u32 v61, v57, v60
	v_mul_lo_u32 v90, v57, v60
	v_mul_lo_u32 v92, v56, v58
	v_mul_hi_u32 v60, v56, v60
	v_mul_hi_u32 v91, v56, v58
	v_add_co_u32_e32 v60, vcc, v60, v92
	v_addc_co_u32_e32 v91, vcc, 0, v91, vcc
	v_add_co_u32_e32 v60, vcc, v60, v90
	v_mul_hi_u32 v59, v57, v58
	v_addc_co_u32_e32 v60, vcc, v91, v61, vcc
	v_addc_co_u32_e32 v59, vcc, 0, v59, vcc
	v_mul_lo_u32 v58, v57, v58
	v_add_co_u32_e32 v58, vcc, v60, v58
	v_addc_co_u32_e32 v59, vcc, 0, v59, vcc
	v_add_co_u32_e32 v58, vcc, v56, v58
	v_addc_co_u32_e32 v59, vcc, v57, v59, vcc
	v_ashrrev_i32_e32 v60, 31, v89
	v_add_co_u32_e32 v56, vcc, v88, v60
	v_addc_co_u32_e32 v57, vcc, v89, v60, vcc
	v_xor_b32_e32 v90, v56, v60
	v_xor_b32_e32 v61, v57, v60
	v_mad_u64_u32 v[56:57], s[0:1], v90, v59, 0
	v_mul_hi_u32 v91, v90, v58
	v_add_co_u32_e32 v91, vcc, v91, v56
	v_addc_co_u32_e32 v92, vcc, 0, v57, vcc
	v_mad_u64_u32 v[56:57], s[0:1], v61, v59, 0
	v_mad_u64_u32 v[58:59], s[0:1], v61, v58, 0
	v_add_co_u32_e32 v58, vcc, v91, v58
	v_addc_co_u32_e32 v58, vcc, v92, v59, vcc
	v_addc_co_u32_e32 v57, vcc, 0, v57, vcc
	v_add_co_u32_e32 v58, vcc, v58, v56
	v_addc_co_u32_e32 v59, vcc, 0, v57, vcc
	v_mul_lo_u32 v91, s11, v58
	v_mul_lo_u32 v92, s10, v59
	v_mad_u64_u32 v[56:57], s[0:1], s10, v58, 0
	v_add3_u32 v57, v57, v92, v91
	v_sub_u32_e32 v91, v61, v57
	v_mov_b32_e32 v92, s11
	v_sub_co_u32_e32 v56, vcc, v90, v56
	v_subb_co_u32_e64 v90, s[0:1], v91, v92, vcc
	v_subrev_co_u32_e64 v91, s[0:1], s10, v56
	v_subbrev_co_u32_e64 v90, s[0:1], 0, v90, s[0:1]
	v_cmp_le_u32_e64 s[0:1], s11, v90
	v_cndmask_b32_e64 v92, 0, -1, s[0:1]
	v_cmp_le_u32_e64 s[0:1], s10, v91
	v_cndmask_b32_e64 v91, 0, -1, s[0:1]
	v_cmp_eq_u32_e64 s[0:1], s11, v90
	v_cndmask_b32_e64 v90, v92, v91, s[0:1]
	v_add_co_u32_e64 v91, s[0:1], 2, v58
	v_subb_co_u32_e32 v57, vcc, v61, v57, vcc
	v_addc_co_u32_e64 v92, s[0:1], 0, v59, s[0:1]
	v_cmp_le_u32_e32 vcc, s11, v57
	v_add_co_u32_e64 v93, s[0:1], 1, v58
	v_cndmask_b32_e64 v61, 0, -1, vcc
	v_cmp_le_u32_e32 vcc, s10, v56
	v_addc_co_u32_e64 v94, s[0:1], 0, v59, s[0:1]
	v_cndmask_b32_e64 v56, 0, -1, vcc
	v_cmp_eq_u32_e32 vcc, s11, v57
	v_cmp_ne_u32_e64 s[0:1], 0, v90
	v_cndmask_b32_e32 v56, v61, v56, vcc
	v_cndmask_b32_e64 v90, v94, v92, s[0:1]
	v_cmp_ne_u32_e32 vcc, 0, v56
	v_cndmask_b32_e64 v57, v93, v91, s[0:1]
	v_cndmask_b32_e32 v56, v59, v90, vcc
	v_cndmask_b32_e32 v57, v58, v57, vcc
	v_xor_b32_e32 v58, s8, v60
	v_xor_b32_e32 v59, v56, v58
	;; [unrolled: 1-line block ×3, first 2 shown]
	v_sub_co_u32_e32 v56, vcc, v56, v58
	v_subb_co_u32_e32 v57, vcc, v59, v58, vcc
.LBB1134_111:
	s_andn2_saveexec_b64 s[0:1], s[2:3]
	s_cbranch_execz .LBB1134_113
; %bb.112:
	v_rcp_iflag_f32_e32 v56, v66
	s_sub_i32 s2, 0, s44
	v_mul_f32_e32 v56, 0x4f7ffffe, v56
	v_cvt_u32_f32_e32 v56, v56
	v_mul_lo_u32 v57, s2, v56
	v_mul_hi_u32 v57, v56, v57
	v_add_u32_e32 v56, v56, v57
	v_mul_hi_u32 v56, v88, v56
	v_mul_lo_u32 v57, v56, s44
	v_sub_u32_e32 v57, v88, v57
	v_add_u32_e32 v58, 1, v56
	v_subrev_u32_e32 v59, s44, v57
	v_cmp_le_u32_e32 vcc, s44, v57
	v_cndmask_b32_e32 v57, v57, v59, vcc
	v_cndmask_b32_e32 v56, v56, v58, vcc
	v_add_u32_e32 v58, 1, v56
	v_cmp_le_u32_e32 vcc, s44, v57
	v_cndmask_b32_e32 v56, v56, v58, vcc
	v_mov_b32_e32 v57, 0
.LBB1134_113:
	s_or_b64 exec, exec, s[0:1]
	v_add_co_u32_e32 v92, vcc, 0xd00, v30
	v_addc_co_u32_e32 v93, vcc, 0, v1, vcc
	v_or_b32_e32 v59, s45, v93
	v_mov_b32_e32 v58, 0
	v_cmp_ne_u64_e32 vcc, 0, v[58:59]
                                        ; implicit-def: $vgpr60_vgpr61
	s_and_saveexec_b64 s[0:1], vcc
	s_xor_b64 s[2:3], exec, s[0:1]
	s_cbranch_execz .LBB1134_115
; %bb.114:
	s_ashr_i32 s8, s45, 31
	s_add_u32 s0, s44, s8
	s_mov_b32 s9, s8
	s_addc_u32 s1, s45, s8
	s_xor_b64 s[10:11], s[0:1], s[8:9]
	v_cvt_f32_u32_e32 v58, s10
	v_cvt_f32_u32_e32 v59, s11
	s_sub_u32 s0, 0, s10
	s_subb_u32 s1, 0, s11
	v_madmk_f32 v58, v59, 0x4f800000, v58
	v_rcp_f32_e32 v58, v58
	v_mul_f32_e32 v58, 0x5f7ffffc, v58
	v_mul_f32_e32 v59, 0x2f800000, v58
	v_trunc_f32_e32 v59, v59
	v_madmk_f32 v58, v59, 0xcf800000, v58
	v_cvt_u32_f32_e32 v59, v59
	v_cvt_u32_f32_e32 v58, v58
	v_mul_lo_u32 v60, s0, v59
	v_mul_hi_u32 v90, s0, v58
	v_mul_lo_u32 v61, s1, v58
	v_add_u32_e32 v60, v90, v60
	v_mul_lo_u32 v91, s0, v58
	v_add_u32_e32 v60, v60, v61
	v_mul_lo_u32 v90, v58, v60
	v_mul_hi_u32 v94, v58, v91
	v_mul_hi_u32 v61, v58, v60
	v_add_co_u32_e32 v90, vcc, v94, v90
	v_addc_co_u32_e32 v61, vcc, 0, v61, vcc
	v_mul_hi_u32 v95, v59, v91
	v_mul_lo_u32 v91, v59, v91
	v_add_co_u32_e32 v90, vcc, v90, v91
	v_mul_hi_u32 v94, v59, v60
	v_addc_co_u32_e32 v61, vcc, v61, v95, vcc
	v_addc_co_u32_e32 v90, vcc, 0, v94, vcc
	v_mul_lo_u32 v60, v59, v60
	v_add_co_u32_e32 v60, vcc, v61, v60
	v_addc_co_u32_e32 v61, vcc, 0, v90, vcc
	v_add_co_u32_e32 v58, vcc, v58, v60
	v_addc_co_u32_e32 v59, vcc, v59, v61, vcc
	v_mul_lo_u32 v60, s0, v59
	v_mul_hi_u32 v61, s0, v58
	v_add_u32_e32 v60, v61, v60
	v_mul_lo_u32 v61, s1, v58
	v_add_u32_e32 v60, v60, v61
	v_mul_lo_u32 v90, s0, v58
	v_mul_hi_u32 v91, v59, v90
	v_mul_lo_u32 v94, v59, v90
	v_mul_lo_u32 v96, v58, v60
	v_mul_hi_u32 v90, v58, v90
	v_mul_hi_u32 v95, v58, v60
	v_add_co_u32_e32 v90, vcc, v90, v96
	v_addc_co_u32_e32 v95, vcc, 0, v95, vcc
	v_add_co_u32_e32 v90, vcc, v90, v94
	v_mul_hi_u32 v61, v59, v60
	v_addc_co_u32_e32 v90, vcc, v95, v91, vcc
	v_addc_co_u32_e32 v61, vcc, 0, v61, vcc
	v_mul_lo_u32 v60, v59, v60
	v_add_co_u32_e32 v60, vcc, v90, v60
	v_addc_co_u32_e32 v61, vcc, 0, v61, vcc
	v_add_co_u32_e32 v60, vcc, v58, v60
	v_addc_co_u32_e32 v61, vcc, v59, v61, vcc
	v_ashrrev_i32_e32 v90, 31, v93
	v_add_co_u32_e32 v58, vcc, v92, v90
	v_addc_co_u32_e32 v59, vcc, v93, v90, vcc
	v_xor_b32_e32 v94, v58, v90
	v_xor_b32_e32 v91, v59, v90
	v_mad_u64_u32 v[58:59], s[0:1], v94, v61, 0
	v_mul_hi_u32 v95, v94, v60
	v_add_co_u32_e32 v95, vcc, v95, v58
	v_addc_co_u32_e32 v96, vcc, 0, v59, vcc
	v_mad_u64_u32 v[58:59], s[0:1], v91, v61, 0
	v_mad_u64_u32 v[60:61], s[0:1], v91, v60, 0
	v_add_co_u32_e32 v60, vcc, v95, v60
	v_addc_co_u32_e32 v60, vcc, v96, v61, vcc
	v_addc_co_u32_e32 v59, vcc, 0, v59, vcc
	v_add_co_u32_e32 v60, vcc, v60, v58
	v_addc_co_u32_e32 v61, vcc, 0, v59, vcc
	v_mul_lo_u32 v95, s11, v60
	v_mul_lo_u32 v96, s10, v61
	v_mad_u64_u32 v[58:59], s[0:1], s10, v60, 0
	v_add3_u32 v59, v59, v96, v95
	v_sub_u32_e32 v95, v91, v59
	v_mov_b32_e32 v96, s11
	v_sub_co_u32_e32 v58, vcc, v94, v58
	v_subb_co_u32_e64 v94, s[0:1], v95, v96, vcc
	v_subrev_co_u32_e64 v95, s[0:1], s10, v58
	v_subbrev_co_u32_e64 v94, s[0:1], 0, v94, s[0:1]
	v_cmp_le_u32_e64 s[0:1], s11, v94
	v_cndmask_b32_e64 v96, 0, -1, s[0:1]
	v_cmp_le_u32_e64 s[0:1], s10, v95
	v_cndmask_b32_e64 v95, 0, -1, s[0:1]
	v_cmp_eq_u32_e64 s[0:1], s11, v94
	v_cndmask_b32_e64 v94, v96, v95, s[0:1]
	v_add_co_u32_e64 v95, s[0:1], 2, v60
	v_subb_co_u32_e32 v59, vcc, v91, v59, vcc
	v_addc_co_u32_e64 v96, s[0:1], 0, v61, s[0:1]
	v_cmp_le_u32_e32 vcc, s11, v59
	v_add_co_u32_e64 v97, s[0:1], 1, v60
	v_cndmask_b32_e64 v91, 0, -1, vcc
	v_cmp_le_u32_e32 vcc, s10, v58
	v_addc_co_u32_e64 v98, s[0:1], 0, v61, s[0:1]
	v_cndmask_b32_e64 v58, 0, -1, vcc
	v_cmp_eq_u32_e32 vcc, s11, v59
	v_cmp_ne_u32_e64 s[0:1], 0, v94
	v_cndmask_b32_e32 v58, v91, v58, vcc
	v_cndmask_b32_e64 v94, v98, v96, s[0:1]
	v_cmp_ne_u32_e32 vcc, 0, v58
	v_cndmask_b32_e64 v59, v97, v95, s[0:1]
	v_cndmask_b32_e32 v58, v61, v94, vcc
	v_cndmask_b32_e32 v59, v60, v59, vcc
	v_xor_b32_e32 v61, s8, v90
	v_xor_b32_e32 v59, v59, v61
	;; [unrolled: 1-line block ×3, first 2 shown]
	v_sub_co_u32_e32 v60, vcc, v59, v61
	v_subb_co_u32_e32 v61, vcc, v58, v61, vcc
.LBB1134_115:
	s_andn2_saveexec_b64 s[0:1], s[2:3]
	s_cbranch_execz .LBB1134_117
; %bb.116:
	v_rcp_iflag_f32_e32 v58, v66
	s_sub_i32 s2, 0, s44
	v_mul_f32_e32 v58, 0x4f7ffffe, v58
	v_cvt_u32_f32_e32 v58, v58
	v_mul_lo_u32 v59, s2, v58
	v_mul_hi_u32 v59, v58, v59
	v_add_u32_e32 v58, v58, v59
	v_mul_hi_u32 v58, v92, v58
	v_mul_lo_u32 v59, v58, s44
	v_sub_u32_e32 v59, v92, v59
	v_add_u32_e32 v60, 1, v58
	v_subrev_u32_e32 v61, s44, v59
	v_cmp_le_u32_e32 vcc, s44, v59
	v_cndmask_b32_e32 v59, v59, v61, vcc
	v_cndmask_b32_e32 v58, v58, v60, vcc
	v_add_u32_e32 v60, 1, v58
	v_cmp_le_u32_e32 vcc, s44, v59
	v_cndmask_b32_e32 v60, v58, v60, vcc
	v_mov_b32_e32 v61, 0
.LBB1134_117:
	s_or_b64 exec, exec, s[0:1]
	v_add_co_u32_e32 v90, vcc, 0xe00, v30
	v_addc_co_u32_e32 v91, vcc, 0, v1, vcc
	v_or_b32_e32 v59, s45, v91
	v_mov_b32_e32 v58, 0
	v_cmp_ne_u64_e32 vcc, 0, v[58:59]
                                        ; implicit-def: $vgpr58_vgpr59
	s_and_saveexec_b64 s[0:1], vcc
	s_xor_b64 s[2:3], exec, s[0:1]
	s_cbranch_execz .LBB1134_119
; %bb.118:
	s_ashr_i32 s8, s45, 31
	s_add_u32 s0, s44, s8
	s_mov_b32 s9, s8
	s_addc_u32 s1, s45, s8
	s_xor_b64 s[10:11], s[0:1], s[8:9]
	v_cvt_f32_u32_e32 v58, s10
	v_cvt_f32_u32_e32 v59, s11
	s_sub_u32 s0, 0, s10
	s_subb_u32 s1, 0, s11
	v_madmk_f32 v58, v59, 0x4f800000, v58
	v_rcp_f32_e32 v58, v58
	v_mul_f32_e32 v58, 0x5f7ffffc, v58
	v_mul_f32_e32 v59, 0x2f800000, v58
	v_trunc_f32_e32 v59, v59
	v_madmk_f32 v58, v59, 0xcf800000, v58
	v_cvt_u32_f32_e32 v59, v59
	v_cvt_u32_f32_e32 v58, v58
	v_mul_lo_u32 v66, s0, v59
	v_mul_hi_u32 v95, s0, v58
	v_mul_lo_u32 v94, s1, v58
	v_add_u32_e32 v66, v95, v66
	v_mul_lo_u32 v96, s0, v58
	v_add_u32_e32 v66, v66, v94
	v_mul_lo_u32 v95, v58, v66
	v_mul_hi_u32 v97, v58, v96
	v_mul_hi_u32 v94, v58, v66
	v_add_co_u32_e32 v95, vcc, v97, v95
	v_addc_co_u32_e32 v94, vcc, 0, v94, vcc
	v_mul_hi_u32 v98, v59, v96
	v_mul_lo_u32 v96, v59, v96
	v_add_co_u32_e32 v95, vcc, v95, v96
	v_mul_hi_u32 v97, v59, v66
	v_addc_co_u32_e32 v94, vcc, v94, v98, vcc
	v_addc_co_u32_e32 v95, vcc, 0, v97, vcc
	v_mul_lo_u32 v66, v59, v66
	v_add_co_u32_e32 v66, vcc, v94, v66
	v_addc_co_u32_e32 v94, vcc, 0, v95, vcc
	v_add_co_u32_e32 v58, vcc, v58, v66
	v_addc_co_u32_e32 v59, vcc, v59, v94, vcc
	v_mul_lo_u32 v66, s0, v59
	v_mul_hi_u32 v94, s0, v58
	v_add_u32_e32 v66, v94, v66
	v_mul_lo_u32 v94, s1, v58
	v_add_u32_e32 v66, v66, v94
	v_mul_lo_u32 v95, s0, v58
	v_mul_hi_u32 v96, v59, v95
	v_mul_lo_u32 v97, v59, v95
	v_mul_lo_u32 v99, v58, v66
	v_mul_hi_u32 v95, v58, v95
	v_mul_hi_u32 v98, v58, v66
	v_add_co_u32_e32 v95, vcc, v95, v99
	v_addc_co_u32_e32 v98, vcc, 0, v98, vcc
	v_add_co_u32_e32 v95, vcc, v95, v97
	v_mul_hi_u32 v94, v59, v66
	v_addc_co_u32_e32 v95, vcc, v98, v96, vcc
	v_addc_co_u32_e32 v94, vcc, 0, v94, vcc
	v_mul_lo_u32 v66, v59, v66
	v_add_co_u32_e32 v66, vcc, v95, v66
	v_addc_co_u32_e32 v94, vcc, 0, v94, vcc
	v_add_co_u32_e32 v66, vcc, v58, v66
	v_addc_co_u32_e32 v94, vcc, v59, v94, vcc
	v_ashrrev_i32_e32 v96, 31, v91
	v_add_co_u32_e32 v58, vcc, v90, v96
	v_addc_co_u32_e32 v59, vcc, v91, v96, vcc
	v_xor_b32_e32 v98, v58, v96
	v_xor_b32_e32 v97, v59, v96
	v_mad_u64_u32 v[58:59], s[0:1], v98, v94, 0
	v_mul_hi_u32 v95, v98, v66
	v_add_co_u32_e32 v99, vcc, v95, v58
	v_addc_co_u32_e32 v100, vcc, 0, v59, vcc
	v_mad_u64_u32 v[58:59], s[0:1], v97, v94, 0
	v_mad_u64_u32 v[94:95], s[0:1], v97, v66, 0
	v_add_co_u32_e32 v66, vcc, v99, v94
	v_addc_co_u32_e32 v66, vcc, v100, v95, vcc
	v_addc_co_u32_e32 v59, vcc, 0, v59, vcc
	v_add_co_u32_e32 v66, vcc, v66, v58
	v_addc_co_u32_e32 v94, vcc, 0, v59, vcc
	v_mul_lo_u32 v95, s11, v66
	v_mul_lo_u32 v99, s10, v94
	v_mad_u64_u32 v[58:59], s[0:1], s10, v66, 0
	v_add3_u32 v59, v59, v99, v95
	v_sub_u32_e32 v95, v97, v59
	v_mov_b32_e32 v99, s11
	v_sub_co_u32_e32 v58, vcc, v98, v58
	v_subb_co_u32_e64 v95, s[0:1], v95, v99, vcc
	v_subrev_co_u32_e64 v98, s[0:1], s10, v58
	v_subbrev_co_u32_e64 v95, s[0:1], 0, v95, s[0:1]
	v_cmp_le_u32_e64 s[0:1], s11, v95
	v_cndmask_b32_e64 v99, 0, -1, s[0:1]
	v_cmp_le_u32_e64 s[0:1], s10, v98
	v_cndmask_b32_e64 v98, 0, -1, s[0:1]
	v_cmp_eq_u32_e64 s[0:1], s11, v95
	v_cndmask_b32_e64 v95, v99, v98, s[0:1]
	v_add_co_u32_e64 v98, s[0:1], 2, v66
	v_subb_co_u32_e32 v59, vcc, v97, v59, vcc
	v_addc_co_u32_e64 v99, s[0:1], 0, v94, s[0:1]
	v_cmp_le_u32_e32 vcc, s11, v59
	v_add_co_u32_e64 v100, s[0:1], 1, v66
	v_cndmask_b32_e64 v97, 0, -1, vcc
	v_cmp_le_u32_e32 vcc, s10, v58
	v_addc_co_u32_e64 v101, s[0:1], 0, v94, s[0:1]
	v_cndmask_b32_e64 v58, 0, -1, vcc
	v_cmp_eq_u32_e32 vcc, s11, v59
	v_cmp_ne_u32_e64 s[0:1], 0, v95
	v_cndmask_b32_e32 v58, v97, v58, vcc
	v_cndmask_b32_e64 v95, v101, v99, s[0:1]
	v_cmp_ne_u32_e32 vcc, 0, v58
	v_cndmask_b32_e64 v59, v100, v98, s[0:1]
	v_cndmask_b32_e32 v58, v94, v95, vcc
	v_cndmask_b32_e32 v59, v66, v59, vcc
	v_xor_b32_e32 v66, s8, v96
	v_xor_b32_e32 v94, v58, v66
	;; [unrolled: 1-line block ×3, first 2 shown]
	v_sub_co_u32_e32 v58, vcc, v58, v66
	v_subb_co_u32_e32 v59, vcc, v94, v66, vcc
                                        ; implicit-def: $vgpr66
.LBB1134_119:
	s_andn2_saveexec_b64 s[0:1], s[2:3]
	s_cbranch_execz .LBB1134_121
; %bb.120:
	v_rcp_iflag_f32_e32 v58, v66
	s_sub_i32 s2, 0, s44
	v_mul_f32_e32 v58, 0x4f7ffffe, v58
	v_cvt_u32_f32_e32 v58, v58
	v_mul_lo_u32 v59, s2, v58
	v_mul_hi_u32 v59, v58, v59
	v_add_u32_e32 v58, v58, v59
	v_mul_hi_u32 v58, v90, v58
	v_mul_lo_u32 v59, v58, s44
	v_sub_u32_e32 v59, v90, v59
	v_add_u32_e32 v66, 1, v58
	v_subrev_u32_e32 v94, s44, v59
	v_cmp_le_u32_e32 vcc, s44, v59
	v_cndmask_b32_e32 v59, v59, v94, vcc
	v_cndmask_b32_e32 v58, v58, v66, vcc
	v_add_u32_e32 v66, 1, v58
	v_cmp_le_u32_e32 vcc, s44, v59
	v_cndmask_b32_e32 v58, v58, v66, vcc
	v_mov_b32_e32 v59, 0
.LBB1134_121:
	s_or_b64 exec, exec, s[0:1]
	v_mul_lo_u32 v66, v61, s44
	v_mul_lo_u32 v96, v60, s45
	v_mad_u64_u32 v[94:95], s[0:1], v60, s44, 0
	v_add3_u32 v66, v95, v96, v66
	v_sub_co_u32_e32 v92, vcc, v92, v94
	v_subb_co_u32_e32 v66, vcc, v93, v66, vcc
	v_add_co_u32_e32 v60, vcc, v60, v92
	v_addc_co_u32_e32 v61, vcc, v61, v66, vcc
	v_mul_lo_u32 v66, v57, s44
	v_mul_lo_u32 v94, v56, s45
	v_mad_u64_u32 v[92:93], s[0:1], v56, s44, 0
	v_add3_u32 v66, v93, v94, v66
	v_sub_co_u32_e32 v88, vcc, v88, v92
	v_subb_co_u32_e32 v66, vcc, v89, v66, vcc
	v_add_co_u32_e32 v56, vcc, v56, v88
	v_addc_co_u32_e32 v57, vcc, v57, v66, vcc
	;; [unrolled: 8-line block ×15, first 2 shown]
	ds_write2st64_b64 v62, v[30:31], v[34:35] offset1:4
	ds_write2st64_b64 v62, v[36:37], v[38:39] offset0:8 offset1:12
	ds_write2st64_b64 v62, v[40:41], v[42:43] offset0:16 offset1:20
	;; [unrolled: 1-line block ×6, first 2 shown]
	ds_write_b64 v62, v[32:33] offset:28672
	v_mov_b32_e32 v58, v26
	v_mov_b32_e32 v59, v27
	;; [unrolled: 1-line block ×14, first 2 shown]
	s_waitcnt lgkmcnt(0)
	s_barrier
	s_load_dwordx2 s[60:61], s[4:5], 0x88
	s_add_i32 s76, s76, s64
	s_branch .LBB1134_304
.LBB1134_122:
                                        ; implicit-def: $vgpr74_vgpr75
                                        ; implicit-def: $vgpr2_vgpr3
                                        ; implicit-def: $vgpr6_vgpr7
                                        ; implicit-def: $vgpr10_vgpr11
                                        ; implicit-def: $vgpr14_vgpr15
                                        ; implicit-def: $vgpr18_vgpr19
                                        ; implicit-def: $vgpr22_vgpr23
                                        ; implicit-def: $vgpr26_vgpr27
                                        ; implicit-def: $vgpr76
                                        ; implicit-def: $vgpr66_vgpr67_vgpr68_vgpr69
                                        ; implicit-def: $vgpr62_vgpr63_vgpr64_vgpr65
                                        ; implicit-def: $vgpr58_vgpr59_vgpr60_vgpr61
                                        ; implicit-def: $vgpr70_vgpr71_vgpr72_vgpr73
	s_load_dwordx2 s[60:61], s[4:5], 0x88
	s_add_i32 s76, s76, s64
	s_and_b64 vcc, exec, s[0:1]
	s_cbranch_vccz .LBB1134_304
; %bb.123:
	v_cmp_gt_u32_e64 s[28:29], s76, v0
                                        ; implicit-def: $vgpr2_vgpr3
	s_and_saveexec_b64 s[2:3], s[28:29]
	s_cbranch_execz .LBB1134_129
; %bb.124:
	v_mov_b32_e32 v3, s33
	v_add_co_u32_e32 v1, vcc, s7, v0
	v_addc_co_u32_e32 v4, vcc, 0, v3, vcc
	v_mov_b32_e32 v2, 0
	v_or_b32_e32 v3, s39, v4
	v_cmp_ne_u64_e32 vcc, 0, v[2:3]
                                        ; implicit-def: $vgpr2_vgpr3
	s_and_saveexec_b64 s[0:1], vcc
	s_xor_b64 s[4:5], exec, s[0:1]
	s_cbranch_execz .LBB1134_126
; %bb.125:
	s_ashr_i32 s8, s39, 31
	s_add_u32 s0, s38, s8
	s_mov_b32 s9, s8
	s_addc_u32 s1, s39, s8
	s_xor_b64 s[10:11], s[0:1], s[8:9]
	v_cvt_f32_u32_e32 v2, s10
	v_cvt_f32_u32_e32 v3, s11
	s_sub_u32 s0, 0, s10
	s_subb_u32 s1, 0, s11
	v_madmk_f32 v2, v3, 0x4f800000, v2
	v_rcp_f32_e32 v2, v2
	v_mul_f32_e32 v2, 0x5f7ffffc, v2
	v_mul_f32_e32 v3, 0x2f800000, v2
	v_trunc_f32_e32 v3, v3
	v_madmk_f32 v2, v3, 0xcf800000, v2
	v_cvt_u32_f32_e32 v3, v3
	v_cvt_u32_f32_e32 v2, v2
	v_mul_lo_u32 v5, s0, v3
	v_mul_hi_u32 v7, s0, v2
	v_mul_lo_u32 v6, s1, v2
	v_add_u32_e32 v5, v7, v5
	v_mul_lo_u32 v8, s0, v2
	v_add_u32_e32 v5, v5, v6
	v_mul_lo_u32 v7, v2, v5
	v_mul_hi_u32 v9, v2, v8
	v_mul_hi_u32 v6, v2, v5
	v_add_co_u32_e32 v7, vcc, v9, v7
	v_addc_co_u32_e32 v6, vcc, 0, v6, vcc
	v_mul_hi_u32 v10, v3, v8
	v_mul_lo_u32 v8, v3, v8
	v_add_co_u32_e32 v7, vcc, v7, v8
	v_mul_hi_u32 v9, v3, v5
	v_addc_co_u32_e32 v6, vcc, v6, v10, vcc
	v_addc_co_u32_e32 v7, vcc, 0, v9, vcc
	v_mul_lo_u32 v5, v3, v5
	v_add_co_u32_e32 v5, vcc, v6, v5
	v_addc_co_u32_e32 v6, vcc, 0, v7, vcc
	v_add_co_u32_e32 v2, vcc, v2, v5
	v_addc_co_u32_e32 v3, vcc, v3, v6, vcc
	v_mul_lo_u32 v5, s0, v3
	v_mul_hi_u32 v6, s0, v2
	v_add_u32_e32 v5, v6, v5
	v_mul_lo_u32 v6, s1, v2
	v_add_u32_e32 v5, v5, v6
	v_mul_lo_u32 v7, s0, v2
	v_mul_hi_u32 v8, v3, v7
	v_mul_lo_u32 v9, v3, v7
	v_mul_lo_u32 v11, v2, v5
	v_mul_hi_u32 v7, v2, v7
	v_mul_hi_u32 v10, v2, v5
	v_add_co_u32_e32 v7, vcc, v7, v11
	v_addc_co_u32_e32 v10, vcc, 0, v10, vcc
	v_add_co_u32_e32 v7, vcc, v7, v9
	v_mul_hi_u32 v6, v3, v5
	v_addc_co_u32_e32 v7, vcc, v10, v8, vcc
	v_addc_co_u32_e32 v6, vcc, 0, v6, vcc
	v_mul_lo_u32 v5, v3, v5
	v_add_co_u32_e32 v5, vcc, v7, v5
	v_addc_co_u32_e32 v6, vcc, 0, v6, vcc
	v_add_co_u32_e32 v5, vcc, v2, v5
	v_addc_co_u32_e32 v6, vcc, v3, v6, vcc
	v_ashrrev_i32_e32 v7, 31, v4
	v_add_co_u32_e32 v1, vcc, v1, v7
	v_addc_co_u32_e32 v2, vcc, v4, v7, vcc
	v_xor_b32_e32 v1, v1, v7
	v_xor_b32_e32 v8, v2, v7
	v_mad_u64_u32 v[2:3], s[0:1], v1, v6, 0
	v_mul_hi_u32 v4, v1, v5
	v_add_co_u32_e32 v9, vcc, v4, v2
	v_addc_co_u32_e32 v10, vcc, 0, v3, vcc
	v_mad_u64_u32 v[4:5], s[0:1], v8, v5, 0
	v_add_co_u32_e32 v4, vcc, v9, v4
	v_mad_u64_u32 v[2:3], s[0:1], v8, v6, 0
	v_addc_co_u32_e32 v4, vcc, v10, v5, vcc
	v_addc_co_u32_e32 v3, vcc, 0, v3, vcc
	v_add_co_u32_e32 v4, vcc, v4, v2
	v_addc_co_u32_e32 v5, vcc, 0, v3, vcc
	v_mul_lo_u32 v6, s11, v4
	v_mul_lo_u32 v9, s10, v5
	v_mad_u64_u32 v[2:3], s[0:1], s10, v4, 0
	v_add3_u32 v3, v3, v9, v6
	v_sub_u32_e32 v6, v8, v3
	v_mov_b32_e32 v9, s11
	v_sub_co_u32_e32 v1, vcc, v1, v2
	v_subb_co_u32_e64 v2, s[0:1], v6, v9, vcc
	v_subrev_co_u32_e64 v6, s[0:1], s10, v1
	v_subbrev_co_u32_e64 v2, s[0:1], 0, v2, s[0:1]
	v_cmp_le_u32_e64 s[0:1], s11, v2
	v_cndmask_b32_e64 v9, 0, -1, s[0:1]
	v_cmp_le_u32_e64 s[0:1], s10, v6
	v_cndmask_b32_e64 v6, 0, -1, s[0:1]
	v_cmp_eq_u32_e64 s[0:1], s11, v2
	v_cndmask_b32_e64 v2, v9, v6, s[0:1]
	v_add_co_u32_e64 v6, s[0:1], 2, v4
	v_subb_co_u32_e32 v3, vcc, v8, v3, vcc
	v_addc_co_u32_e64 v9, s[0:1], 0, v5, s[0:1]
	v_cmp_le_u32_e32 vcc, s11, v3
	v_add_co_u32_e64 v10, s[0:1], 1, v4
	v_cndmask_b32_e64 v8, 0, -1, vcc
	v_cmp_le_u32_e32 vcc, s10, v1
	v_addc_co_u32_e64 v11, s[0:1], 0, v5, s[0:1]
	v_cndmask_b32_e64 v1, 0, -1, vcc
	v_cmp_eq_u32_e32 vcc, s11, v3
	v_cmp_ne_u32_e64 s[0:1], 0, v2
	v_cndmask_b32_e32 v1, v8, v1, vcc
	v_cndmask_b32_e64 v2, v11, v9, s[0:1]
	v_cmp_ne_u32_e32 vcc, 0, v1
	v_cndmask_b32_e32 v1, v5, v2, vcc
	v_cndmask_b32_e64 v2, v10, v6, s[0:1]
	v_cndmask_b32_e32 v2, v4, v2, vcc
	v_xor_b32_e32 v3, s8, v7
	v_xor_b32_e32 v2, v2, v3
	;; [unrolled: 1-line block ×3, first 2 shown]
	v_sub_co_u32_e32 v2, vcc, v2, v3
	v_subb_co_u32_e32 v3, vcc, v1, v3, vcc
                                        ; implicit-def: $vgpr1
.LBB1134_126:
	s_andn2_saveexec_b64 s[0:1], s[4:5]
	s_cbranch_execz .LBB1134_128
; %bb.127:
	v_cvt_f32_u32_e32 v2, s38
	s_sub_i32 s4, 0, s38
	v_rcp_iflag_f32_e32 v2, v2
	v_mul_f32_e32 v2, 0x4f7ffffe, v2
	v_cvt_u32_f32_e32 v2, v2
	v_mul_lo_u32 v3, s4, v2
	v_mul_hi_u32 v3, v2, v3
	v_add_u32_e32 v2, v2, v3
	v_mul_hi_u32 v2, v1, v2
	v_mul_lo_u32 v3, v2, s38
	v_sub_u32_e32 v1, v1, v3
	v_add_u32_e32 v4, 1, v2
	v_subrev_u32_e32 v3, s38, v1
	v_cmp_le_u32_e32 vcc, s38, v1
	v_cndmask_b32_e32 v1, v1, v3, vcc
	v_cndmask_b32_e32 v2, v2, v4, vcc
	v_add_u32_e32 v3, 1, v2
	v_cmp_le_u32_e32 vcc, s38, v1
	v_cndmask_b32_e32 v2, v2, v3, vcc
	v_mov_b32_e32 v3, 0
.LBB1134_128:
	s_or_b64 exec, exec, s[0:1]
.LBB1134_129:
	s_or_b64 exec, exec, s[2:3]
	v_or_b32_e32 v34, 0x100, v0
	v_cmp_gt_u32_e64 s[26:27], s76, v34
                                        ; implicit-def: $vgpr4_vgpr5
	s_and_saveexec_b64 s[2:3], s[26:27]
	s_cbranch_execz .LBB1134_135
; %bb.130:
	v_mov_b32_e32 v5, s33
	v_add_co_u32_e32 v1, vcc, s7, v34
	v_addc_co_u32_e32 v6, vcc, 0, v5, vcc
	v_mov_b32_e32 v4, 0
	v_or_b32_e32 v5, s39, v6
	v_cmp_ne_u64_e32 vcc, 0, v[4:5]
                                        ; implicit-def: $vgpr4_vgpr5
	s_and_saveexec_b64 s[0:1], vcc
	s_xor_b64 s[4:5], exec, s[0:1]
	s_cbranch_execz .LBB1134_132
; %bb.131:
	s_ashr_i32 s8, s39, 31
	s_add_u32 s0, s38, s8
	s_mov_b32 s9, s8
	s_addc_u32 s1, s39, s8
	s_xor_b64 s[10:11], s[0:1], s[8:9]
	v_cvt_f32_u32_e32 v4, s10
	v_cvt_f32_u32_e32 v5, s11
	s_sub_u32 s0, 0, s10
	s_subb_u32 s1, 0, s11
	v_madmk_f32 v4, v5, 0x4f800000, v4
	v_rcp_f32_e32 v4, v4
	v_mul_f32_e32 v4, 0x5f7ffffc, v4
	v_mul_f32_e32 v5, 0x2f800000, v4
	v_trunc_f32_e32 v5, v5
	v_madmk_f32 v4, v5, 0xcf800000, v4
	v_cvt_u32_f32_e32 v5, v5
	v_cvt_u32_f32_e32 v4, v4
	v_mul_lo_u32 v7, s0, v5
	v_mul_hi_u32 v9, s0, v4
	v_mul_lo_u32 v8, s1, v4
	v_add_u32_e32 v7, v9, v7
	v_mul_lo_u32 v10, s0, v4
	v_add_u32_e32 v7, v7, v8
	v_mul_lo_u32 v9, v4, v7
	v_mul_hi_u32 v11, v4, v10
	v_mul_hi_u32 v8, v4, v7
	v_add_co_u32_e32 v9, vcc, v11, v9
	v_addc_co_u32_e32 v8, vcc, 0, v8, vcc
	v_mul_hi_u32 v12, v5, v10
	v_mul_lo_u32 v10, v5, v10
	v_add_co_u32_e32 v9, vcc, v9, v10
	v_mul_hi_u32 v11, v5, v7
	v_addc_co_u32_e32 v8, vcc, v8, v12, vcc
	v_addc_co_u32_e32 v9, vcc, 0, v11, vcc
	v_mul_lo_u32 v7, v5, v7
	v_add_co_u32_e32 v7, vcc, v8, v7
	v_addc_co_u32_e32 v8, vcc, 0, v9, vcc
	v_add_co_u32_e32 v4, vcc, v4, v7
	v_addc_co_u32_e32 v5, vcc, v5, v8, vcc
	v_mul_lo_u32 v7, s0, v5
	v_mul_hi_u32 v8, s0, v4
	v_add_u32_e32 v7, v8, v7
	v_mul_lo_u32 v8, s1, v4
	v_add_u32_e32 v7, v7, v8
	v_mul_lo_u32 v9, s0, v4
	v_mul_hi_u32 v10, v5, v9
	v_mul_lo_u32 v11, v5, v9
	v_mul_lo_u32 v13, v4, v7
	v_mul_hi_u32 v9, v4, v9
	v_mul_hi_u32 v12, v4, v7
	v_add_co_u32_e32 v9, vcc, v9, v13
	v_addc_co_u32_e32 v12, vcc, 0, v12, vcc
	v_add_co_u32_e32 v9, vcc, v9, v11
	v_mul_hi_u32 v8, v5, v7
	v_addc_co_u32_e32 v9, vcc, v12, v10, vcc
	v_addc_co_u32_e32 v8, vcc, 0, v8, vcc
	v_mul_lo_u32 v7, v5, v7
	v_add_co_u32_e32 v7, vcc, v9, v7
	v_addc_co_u32_e32 v8, vcc, 0, v8, vcc
	v_add_co_u32_e32 v7, vcc, v4, v7
	v_addc_co_u32_e32 v8, vcc, v5, v8, vcc
	v_ashrrev_i32_e32 v9, 31, v6
	v_add_co_u32_e32 v1, vcc, v1, v9
	v_addc_co_u32_e32 v4, vcc, v6, v9, vcc
	v_xor_b32_e32 v1, v1, v9
	v_xor_b32_e32 v10, v4, v9
	v_mad_u64_u32 v[4:5], s[0:1], v1, v8, 0
	v_mul_hi_u32 v6, v1, v7
	v_add_co_u32_e32 v11, vcc, v6, v4
	v_addc_co_u32_e32 v12, vcc, 0, v5, vcc
	v_mad_u64_u32 v[6:7], s[0:1], v10, v7, 0
	v_add_co_u32_e32 v6, vcc, v11, v6
	v_mad_u64_u32 v[4:5], s[0:1], v10, v8, 0
	v_addc_co_u32_e32 v6, vcc, v12, v7, vcc
	v_addc_co_u32_e32 v5, vcc, 0, v5, vcc
	v_add_co_u32_e32 v6, vcc, v6, v4
	v_addc_co_u32_e32 v7, vcc, 0, v5, vcc
	v_mul_lo_u32 v8, s11, v6
	v_mul_lo_u32 v11, s10, v7
	v_mad_u64_u32 v[4:5], s[0:1], s10, v6, 0
	v_add3_u32 v5, v5, v11, v8
	v_sub_u32_e32 v8, v10, v5
	v_mov_b32_e32 v11, s11
	v_sub_co_u32_e32 v1, vcc, v1, v4
	v_subb_co_u32_e64 v4, s[0:1], v8, v11, vcc
	v_subrev_co_u32_e64 v8, s[0:1], s10, v1
	v_subbrev_co_u32_e64 v4, s[0:1], 0, v4, s[0:1]
	v_cmp_le_u32_e64 s[0:1], s11, v4
	v_cndmask_b32_e64 v11, 0, -1, s[0:1]
	v_cmp_le_u32_e64 s[0:1], s10, v8
	v_cndmask_b32_e64 v8, 0, -1, s[0:1]
	v_cmp_eq_u32_e64 s[0:1], s11, v4
	v_cndmask_b32_e64 v4, v11, v8, s[0:1]
	v_add_co_u32_e64 v8, s[0:1], 2, v6
	v_subb_co_u32_e32 v5, vcc, v10, v5, vcc
	v_addc_co_u32_e64 v11, s[0:1], 0, v7, s[0:1]
	v_cmp_le_u32_e32 vcc, s11, v5
	v_add_co_u32_e64 v12, s[0:1], 1, v6
	v_cndmask_b32_e64 v10, 0, -1, vcc
	v_cmp_le_u32_e32 vcc, s10, v1
	v_addc_co_u32_e64 v13, s[0:1], 0, v7, s[0:1]
	v_cndmask_b32_e64 v1, 0, -1, vcc
	v_cmp_eq_u32_e32 vcc, s11, v5
	v_cmp_ne_u32_e64 s[0:1], 0, v4
	v_cndmask_b32_e32 v1, v10, v1, vcc
	v_cndmask_b32_e64 v4, v13, v11, s[0:1]
	v_cmp_ne_u32_e32 vcc, 0, v1
	v_cndmask_b32_e32 v1, v7, v4, vcc
	v_cndmask_b32_e64 v4, v12, v8, s[0:1]
	v_cndmask_b32_e32 v4, v6, v4, vcc
	v_xor_b32_e32 v5, s8, v9
	v_xor_b32_e32 v4, v4, v5
	;; [unrolled: 1-line block ×3, first 2 shown]
	v_sub_co_u32_e32 v4, vcc, v4, v5
	v_subb_co_u32_e32 v5, vcc, v1, v5, vcc
                                        ; implicit-def: $vgpr1
.LBB1134_132:
	s_andn2_saveexec_b64 s[0:1], s[4:5]
	s_cbranch_execz .LBB1134_134
; %bb.133:
	v_cvt_f32_u32_e32 v4, s38
	s_sub_i32 s4, 0, s38
	v_rcp_iflag_f32_e32 v4, v4
	v_mul_f32_e32 v4, 0x4f7ffffe, v4
	v_cvt_u32_f32_e32 v4, v4
	v_mul_lo_u32 v5, s4, v4
	v_mul_hi_u32 v5, v4, v5
	v_add_u32_e32 v4, v4, v5
	v_mul_hi_u32 v4, v1, v4
	v_mul_lo_u32 v5, v4, s38
	v_sub_u32_e32 v1, v1, v5
	v_add_u32_e32 v6, 1, v4
	v_subrev_u32_e32 v5, s38, v1
	v_cmp_le_u32_e32 vcc, s38, v1
	v_cndmask_b32_e32 v1, v1, v5, vcc
	v_cndmask_b32_e32 v4, v4, v6, vcc
	v_add_u32_e32 v5, 1, v4
	v_cmp_le_u32_e32 vcc, s38, v1
	v_cndmask_b32_e32 v4, v4, v5, vcc
	v_mov_b32_e32 v5, 0
.LBB1134_134:
	s_or_b64 exec, exec, s[0:1]
.LBB1134_135:
	s_or_b64 exec, exec, s[2:3]
	v_or_b32_e32 v36, 0x200, v0
	v_cmp_gt_u32_e64 s[24:25], s76, v36
                                        ; implicit-def: $vgpr6_vgpr7
	s_and_saveexec_b64 s[2:3], s[24:25]
	s_cbranch_execz .LBB1134_141
; %bb.136:
	v_mov_b32_e32 v7, s33
	v_add_co_u32_e32 v1, vcc, s7, v36
	v_addc_co_u32_e32 v8, vcc, 0, v7, vcc
	v_mov_b32_e32 v6, 0
	v_or_b32_e32 v7, s39, v8
	v_cmp_ne_u64_e32 vcc, 0, v[6:7]
                                        ; implicit-def: $vgpr6_vgpr7
	s_and_saveexec_b64 s[0:1], vcc
	s_xor_b64 s[4:5], exec, s[0:1]
	s_cbranch_execz .LBB1134_138
; %bb.137:
	s_ashr_i32 s8, s39, 31
	s_add_u32 s0, s38, s8
	s_mov_b32 s9, s8
	s_addc_u32 s1, s39, s8
	s_xor_b64 s[10:11], s[0:1], s[8:9]
	v_cvt_f32_u32_e32 v6, s10
	v_cvt_f32_u32_e32 v7, s11
	s_sub_u32 s0, 0, s10
	s_subb_u32 s1, 0, s11
	v_madmk_f32 v6, v7, 0x4f800000, v6
	v_rcp_f32_e32 v6, v6
	v_mul_f32_e32 v6, 0x5f7ffffc, v6
	v_mul_f32_e32 v7, 0x2f800000, v6
	v_trunc_f32_e32 v7, v7
	v_madmk_f32 v6, v7, 0xcf800000, v6
	v_cvt_u32_f32_e32 v7, v7
	v_cvt_u32_f32_e32 v6, v6
	v_mul_lo_u32 v9, s0, v7
	v_mul_hi_u32 v11, s0, v6
	v_mul_lo_u32 v10, s1, v6
	v_add_u32_e32 v9, v11, v9
	v_mul_lo_u32 v12, s0, v6
	v_add_u32_e32 v9, v9, v10
	v_mul_lo_u32 v11, v6, v9
	v_mul_hi_u32 v13, v6, v12
	v_mul_hi_u32 v10, v6, v9
	v_add_co_u32_e32 v11, vcc, v13, v11
	v_addc_co_u32_e32 v10, vcc, 0, v10, vcc
	v_mul_hi_u32 v14, v7, v12
	v_mul_lo_u32 v12, v7, v12
	v_add_co_u32_e32 v11, vcc, v11, v12
	v_mul_hi_u32 v13, v7, v9
	v_addc_co_u32_e32 v10, vcc, v10, v14, vcc
	v_addc_co_u32_e32 v11, vcc, 0, v13, vcc
	v_mul_lo_u32 v9, v7, v9
	v_add_co_u32_e32 v9, vcc, v10, v9
	v_addc_co_u32_e32 v10, vcc, 0, v11, vcc
	v_add_co_u32_e32 v6, vcc, v6, v9
	v_addc_co_u32_e32 v7, vcc, v7, v10, vcc
	v_mul_lo_u32 v9, s0, v7
	v_mul_hi_u32 v10, s0, v6
	v_add_u32_e32 v9, v10, v9
	v_mul_lo_u32 v10, s1, v6
	v_add_u32_e32 v9, v9, v10
	v_mul_lo_u32 v11, s0, v6
	v_mul_hi_u32 v12, v7, v11
	v_mul_lo_u32 v13, v7, v11
	v_mul_lo_u32 v15, v6, v9
	v_mul_hi_u32 v11, v6, v11
	v_mul_hi_u32 v14, v6, v9
	v_add_co_u32_e32 v11, vcc, v11, v15
	v_addc_co_u32_e32 v14, vcc, 0, v14, vcc
	v_add_co_u32_e32 v11, vcc, v11, v13
	v_mul_hi_u32 v10, v7, v9
	v_addc_co_u32_e32 v11, vcc, v14, v12, vcc
	v_addc_co_u32_e32 v10, vcc, 0, v10, vcc
	v_mul_lo_u32 v9, v7, v9
	v_add_co_u32_e32 v9, vcc, v11, v9
	v_addc_co_u32_e32 v10, vcc, 0, v10, vcc
	v_add_co_u32_e32 v9, vcc, v6, v9
	v_addc_co_u32_e32 v10, vcc, v7, v10, vcc
	v_ashrrev_i32_e32 v11, 31, v8
	v_add_co_u32_e32 v1, vcc, v1, v11
	v_addc_co_u32_e32 v6, vcc, v8, v11, vcc
	v_xor_b32_e32 v1, v1, v11
	v_xor_b32_e32 v12, v6, v11
	v_mad_u64_u32 v[6:7], s[0:1], v1, v10, 0
	v_mul_hi_u32 v8, v1, v9
	v_add_co_u32_e32 v13, vcc, v8, v6
	v_addc_co_u32_e32 v14, vcc, 0, v7, vcc
	v_mad_u64_u32 v[8:9], s[0:1], v12, v9, 0
	v_add_co_u32_e32 v8, vcc, v13, v8
	v_mad_u64_u32 v[6:7], s[0:1], v12, v10, 0
	v_addc_co_u32_e32 v8, vcc, v14, v9, vcc
	v_addc_co_u32_e32 v7, vcc, 0, v7, vcc
	v_add_co_u32_e32 v8, vcc, v8, v6
	v_addc_co_u32_e32 v9, vcc, 0, v7, vcc
	v_mul_lo_u32 v10, s11, v8
	v_mul_lo_u32 v13, s10, v9
	v_mad_u64_u32 v[6:7], s[0:1], s10, v8, 0
	v_add3_u32 v7, v7, v13, v10
	v_sub_u32_e32 v10, v12, v7
	v_mov_b32_e32 v13, s11
	v_sub_co_u32_e32 v1, vcc, v1, v6
	v_subb_co_u32_e64 v6, s[0:1], v10, v13, vcc
	v_subrev_co_u32_e64 v10, s[0:1], s10, v1
	v_subbrev_co_u32_e64 v6, s[0:1], 0, v6, s[0:1]
	v_cmp_le_u32_e64 s[0:1], s11, v6
	v_cndmask_b32_e64 v13, 0, -1, s[0:1]
	v_cmp_le_u32_e64 s[0:1], s10, v10
	v_cndmask_b32_e64 v10, 0, -1, s[0:1]
	v_cmp_eq_u32_e64 s[0:1], s11, v6
	v_cndmask_b32_e64 v6, v13, v10, s[0:1]
	v_add_co_u32_e64 v10, s[0:1], 2, v8
	v_subb_co_u32_e32 v7, vcc, v12, v7, vcc
	v_addc_co_u32_e64 v13, s[0:1], 0, v9, s[0:1]
	v_cmp_le_u32_e32 vcc, s11, v7
	v_add_co_u32_e64 v14, s[0:1], 1, v8
	v_cndmask_b32_e64 v12, 0, -1, vcc
	v_cmp_le_u32_e32 vcc, s10, v1
	v_addc_co_u32_e64 v15, s[0:1], 0, v9, s[0:1]
	v_cndmask_b32_e64 v1, 0, -1, vcc
	v_cmp_eq_u32_e32 vcc, s11, v7
	v_cmp_ne_u32_e64 s[0:1], 0, v6
	v_cndmask_b32_e32 v1, v12, v1, vcc
	v_cndmask_b32_e64 v6, v15, v13, s[0:1]
	v_cmp_ne_u32_e32 vcc, 0, v1
	v_cndmask_b32_e32 v1, v9, v6, vcc
	v_cndmask_b32_e64 v6, v14, v10, s[0:1]
	v_cndmask_b32_e32 v6, v8, v6, vcc
	v_xor_b32_e32 v7, s8, v11
	v_xor_b32_e32 v6, v6, v7
	v_xor_b32_e32 v1, v1, v7
	v_sub_co_u32_e32 v6, vcc, v6, v7
	v_subb_co_u32_e32 v7, vcc, v1, v7, vcc
                                        ; implicit-def: $vgpr1
.LBB1134_138:
	s_andn2_saveexec_b64 s[0:1], s[4:5]
	s_cbranch_execz .LBB1134_140
; %bb.139:
	v_cvt_f32_u32_e32 v6, s38
	s_sub_i32 s4, 0, s38
	v_rcp_iflag_f32_e32 v6, v6
	v_mul_f32_e32 v6, 0x4f7ffffe, v6
	v_cvt_u32_f32_e32 v6, v6
	v_mul_lo_u32 v7, s4, v6
	v_mul_hi_u32 v7, v6, v7
	v_add_u32_e32 v6, v6, v7
	v_mul_hi_u32 v6, v1, v6
	v_mul_lo_u32 v7, v6, s38
	v_sub_u32_e32 v1, v1, v7
	v_add_u32_e32 v8, 1, v6
	v_subrev_u32_e32 v7, s38, v1
	v_cmp_le_u32_e32 vcc, s38, v1
	v_cndmask_b32_e32 v1, v1, v7, vcc
	v_cndmask_b32_e32 v6, v6, v8, vcc
	v_add_u32_e32 v7, 1, v6
	v_cmp_le_u32_e32 vcc, s38, v1
	v_cndmask_b32_e32 v6, v6, v7, vcc
	v_mov_b32_e32 v7, 0
.LBB1134_140:
	s_or_b64 exec, exec, s[0:1]
.LBB1134_141:
	s_or_b64 exec, exec, s[2:3]
	v_or_b32_e32 v38, 0x300, v0
	v_cmp_gt_u32_e64 s[22:23], s76, v38
                                        ; implicit-def: $vgpr8_vgpr9
	s_and_saveexec_b64 s[2:3], s[22:23]
	s_cbranch_execz .LBB1134_147
; %bb.142:
	v_mov_b32_e32 v9, s33
	v_add_co_u32_e32 v1, vcc, s7, v38
	v_addc_co_u32_e32 v10, vcc, 0, v9, vcc
	v_mov_b32_e32 v8, 0
	v_or_b32_e32 v9, s39, v10
	v_cmp_ne_u64_e32 vcc, 0, v[8:9]
                                        ; implicit-def: $vgpr8_vgpr9
	s_and_saveexec_b64 s[0:1], vcc
	s_xor_b64 s[4:5], exec, s[0:1]
	s_cbranch_execz .LBB1134_144
; %bb.143:
	s_ashr_i32 s8, s39, 31
	s_add_u32 s0, s38, s8
	s_mov_b32 s9, s8
	s_addc_u32 s1, s39, s8
	s_xor_b64 s[10:11], s[0:1], s[8:9]
	v_cvt_f32_u32_e32 v8, s10
	v_cvt_f32_u32_e32 v9, s11
	s_sub_u32 s0, 0, s10
	s_subb_u32 s1, 0, s11
	v_madmk_f32 v8, v9, 0x4f800000, v8
	v_rcp_f32_e32 v8, v8
	v_mul_f32_e32 v8, 0x5f7ffffc, v8
	v_mul_f32_e32 v9, 0x2f800000, v8
	v_trunc_f32_e32 v9, v9
	v_madmk_f32 v8, v9, 0xcf800000, v8
	v_cvt_u32_f32_e32 v9, v9
	v_cvt_u32_f32_e32 v8, v8
	v_mul_lo_u32 v11, s0, v9
	v_mul_hi_u32 v13, s0, v8
	v_mul_lo_u32 v12, s1, v8
	v_add_u32_e32 v11, v13, v11
	v_mul_lo_u32 v14, s0, v8
	v_add_u32_e32 v11, v11, v12
	v_mul_lo_u32 v13, v8, v11
	v_mul_hi_u32 v15, v8, v14
	v_mul_hi_u32 v12, v8, v11
	v_add_co_u32_e32 v13, vcc, v15, v13
	v_addc_co_u32_e32 v12, vcc, 0, v12, vcc
	v_mul_hi_u32 v16, v9, v14
	v_mul_lo_u32 v14, v9, v14
	v_add_co_u32_e32 v13, vcc, v13, v14
	v_mul_hi_u32 v15, v9, v11
	v_addc_co_u32_e32 v12, vcc, v12, v16, vcc
	v_addc_co_u32_e32 v13, vcc, 0, v15, vcc
	v_mul_lo_u32 v11, v9, v11
	v_add_co_u32_e32 v11, vcc, v12, v11
	v_addc_co_u32_e32 v12, vcc, 0, v13, vcc
	v_add_co_u32_e32 v8, vcc, v8, v11
	v_addc_co_u32_e32 v9, vcc, v9, v12, vcc
	v_mul_lo_u32 v11, s0, v9
	v_mul_hi_u32 v12, s0, v8
	v_add_u32_e32 v11, v12, v11
	v_mul_lo_u32 v12, s1, v8
	v_add_u32_e32 v11, v11, v12
	v_mul_lo_u32 v13, s0, v8
	v_mul_hi_u32 v14, v9, v13
	v_mul_lo_u32 v15, v9, v13
	v_mul_lo_u32 v17, v8, v11
	v_mul_hi_u32 v13, v8, v13
	v_mul_hi_u32 v16, v8, v11
	v_add_co_u32_e32 v13, vcc, v13, v17
	v_addc_co_u32_e32 v16, vcc, 0, v16, vcc
	v_add_co_u32_e32 v13, vcc, v13, v15
	v_mul_hi_u32 v12, v9, v11
	v_addc_co_u32_e32 v13, vcc, v16, v14, vcc
	v_addc_co_u32_e32 v12, vcc, 0, v12, vcc
	v_mul_lo_u32 v11, v9, v11
	v_add_co_u32_e32 v11, vcc, v13, v11
	v_addc_co_u32_e32 v12, vcc, 0, v12, vcc
	v_add_co_u32_e32 v11, vcc, v8, v11
	v_addc_co_u32_e32 v12, vcc, v9, v12, vcc
	v_ashrrev_i32_e32 v13, 31, v10
	v_add_co_u32_e32 v1, vcc, v1, v13
	v_addc_co_u32_e32 v8, vcc, v10, v13, vcc
	v_xor_b32_e32 v1, v1, v13
	v_xor_b32_e32 v14, v8, v13
	v_mad_u64_u32 v[8:9], s[0:1], v1, v12, 0
	v_mul_hi_u32 v10, v1, v11
	v_add_co_u32_e32 v15, vcc, v10, v8
	v_addc_co_u32_e32 v16, vcc, 0, v9, vcc
	v_mad_u64_u32 v[10:11], s[0:1], v14, v11, 0
	v_add_co_u32_e32 v10, vcc, v15, v10
	v_mad_u64_u32 v[8:9], s[0:1], v14, v12, 0
	v_addc_co_u32_e32 v10, vcc, v16, v11, vcc
	v_addc_co_u32_e32 v9, vcc, 0, v9, vcc
	v_add_co_u32_e32 v10, vcc, v10, v8
	v_addc_co_u32_e32 v11, vcc, 0, v9, vcc
	v_mul_lo_u32 v12, s11, v10
	v_mul_lo_u32 v15, s10, v11
	v_mad_u64_u32 v[8:9], s[0:1], s10, v10, 0
	v_add3_u32 v9, v9, v15, v12
	v_sub_u32_e32 v12, v14, v9
	v_mov_b32_e32 v15, s11
	v_sub_co_u32_e32 v1, vcc, v1, v8
	v_subb_co_u32_e64 v8, s[0:1], v12, v15, vcc
	v_subrev_co_u32_e64 v12, s[0:1], s10, v1
	v_subbrev_co_u32_e64 v8, s[0:1], 0, v8, s[0:1]
	v_cmp_le_u32_e64 s[0:1], s11, v8
	v_cndmask_b32_e64 v15, 0, -1, s[0:1]
	v_cmp_le_u32_e64 s[0:1], s10, v12
	v_cndmask_b32_e64 v12, 0, -1, s[0:1]
	v_cmp_eq_u32_e64 s[0:1], s11, v8
	v_cndmask_b32_e64 v8, v15, v12, s[0:1]
	v_add_co_u32_e64 v12, s[0:1], 2, v10
	v_subb_co_u32_e32 v9, vcc, v14, v9, vcc
	v_addc_co_u32_e64 v15, s[0:1], 0, v11, s[0:1]
	v_cmp_le_u32_e32 vcc, s11, v9
	v_add_co_u32_e64 v16, s[0:1], 1, v10
	v_cndmask_b32_e64 v14, 0, -1, vcc
	v_cmp_le_u32_e32 vcc, s10, v1
	v_addc_co_u32_e64 v17, s[0:1], 0, v11, s[0:1]
	v_cndmask_b32_e64 v1, 0, -1, vcc
	v_cmp_eq_u32_e32 vcc, s11, v9
	v_cmp_ne_u32_e64 s[0:1], 0, v8
	v_cndmask_b32_e32 v1, v14, v1, vcc
	v_cndmask_b32_e64 v8, v17, v15, s[0:1]
	v_cmp_ne_u32_e32 vcc, 0, v1
	v_cndmask_b32_e32 v1, v11, v8, vcc
	v_cndmask_b32_e64 v8, v16, v12, s[0:1]
	v_cndmask_b32_e32 v8, v10, v8, vcc
	v_xor_b32_e32 v9, s8, v13
	v_xor_b32_e32 v8, v8, v9
	;; [unrolled: 1-line block ×3, first 2 shown]
	v_sub_co_u32_e32 v8, vcc, v8, v9
	v_subb_co_u32_e32 v9, vcc, v1, v9, vcc
                                        ; implicit-def: $vgpr1
.LBB1134_144:
	s_andn2_saveexec_b64 s[0:1], s[4:5]
	s_cbranch_execz .LBB1134_146
; %bb.145:
	v_cvt_f32_u32_e32 v8, s38
	s_sub_i32 s4, 0, s38
	v_rcp_iflag_f32_e32 v8, v8
	v_mul_f32_e32 v8, 0x4f7ffffe, v8
	v_cvt_u32_f32_e32 v8, v8
	v_mul_lo_u32 v9, s4, v8
	v_mul_hi_u32 v9, v8, v9
	v_add_u32_e32 v8, v8, v9
	v_mul_hi_u32 v8, v1, v8
	v_mul_lo_u32 v9, v8, s38
	v_sub_u32_e32 v1, v1, v9
	v_add_u32_e32 v10, 1, v8
	v_subrev_u32_e32 v9, s38, v1
	v_cmp_le_u32_e32 vcc, s38, v1
	v_cndmask_b32_e32 v1, v1, v9, vcc
	v_cndmask_b32_e32 v8, v8, v10, vcc
	v_add_u32_e32 v9, 1, v8
	v_cmp_le_u32_e32 vcc, s38, v1
	v_cndmask_b32_e32 v8, v8, v9, vcc
	v_mov_b32_e32 v9, 0
.LBB1134_146:
	s_or_b64 exec, exec, s[0:1]
.LBB1134_147:
	s_or_b64 exec, exec, s[2:3]
	v_or_b32_e32 v40, 0x400, v0
	v_cmp_gt_u32_e64 s[20:21], s76, v40
                                        ; implicit-def: $vgpr10_vgpr11
	s_and_saveexec_b64 s[2:3], s[20:21]
	s_cbranch_execz .LBB1134_153
; %bb.148:
	v_mov_b32_e32 v11, s33
	v_add_co_u32_e32 v1, vcc, s7, v40
	v_addc_co_u32_e32 v12, vcc, 0, v11, vcc
	v_mov_b32_e32 v10, 0
	v_or_b32_e32 v11, s39, v12
	v_cmp_ne_u64_e32 vcc, 0, v[10:11]
                                        ; implicit-def: $vgpr10_vgpr11
	s_and_saveexec_b64 s[0:1], vcc
	s_xor_b64 s[4:5], exec, s[0:1]
	s_cbranch_execz .LBB1134_150
; %bb.149:
	s_ashr_i32 s8, s39, 31
	s_add_u32 s0, s38, s8
	s_mov_b32 s9, s8
	s_addc_u32 s1, s39, s8
	s_xor_b64 s[10:11], s[0:1], s[8:9]
	v_cvt_f32_u32_e32 v10, s10
	v_cvt_f32_u32_e32 v11, s11
	s_sub_u32 s0, 0, s10
	s_subb_u32 s1, 0, s11
	v_madmk_f32 v10, v11, 0x4f800000, v10
	v_rcp_f32_e32 v10, v10
	v_mul_f32_e32 v10, 0x5f7ffffc, v10
	v_mul_f32_e32 v11, 0x2f800000, v10
	v_trunc_f32_e32 v11, v11
	v_madmk_f32 v10, v11, 0xcf800000, v10
	v_cvt_u32_f32_e32 v11, v11
	v_cvt_u32_f32_e32 v10, v10
	v_mul_lo_u32 v13, s0, v11
	v_mul_hi_u32 v15, s0, v10
	v_mul_lo_u32 v14, s1, v10
	v_add_u32_e32 v13, v15, v13
	v_mul_lo_u32 v16, s0, v10
	v_add_u32_e32 v13, v13, v14
	v_mul_lo_u32 v15, v10, v13
	v_mul_hi_u32 v17, v10, v16
	v_mul_hi_u32 v14, v10, v13
	v_add_co_u32_e32 v15, vcc, v17, v15
	v_addc_co_u32_e32 v14, vcc, 0, v14, vcc
	v_mul_hi_u32 v18, v11, v16
	v_mul_lo_u32 v16, v11, v16
	v_add_co_u32_e32 v15, vcc, v15, v16
	v_mul_hi_u32 v17, v11, v13
	v_addc_co_u32_e32 v14, vcc, v14, v18, vcc
	v_addc_co_u32_e32 v15, vcc, 0, v17, vcc
	v_mul_lo_u32 v13, v11, v13
	v_add_co_u32_e32 v13, vcc, v14, v13
	v_addc_co_u32_e32 v14, vcc, 0, v15, vcc
	v_add_co_u32_e32 v10, vcc, v10, v13
	v_addc_co_u32_e32 v11, vcc, v11, v14, vcc
	v_mul_lo_u32 v13, s0, v11
	v_mul_hi_u32 v14, s0, v10
	v_add_u32_e32 v13, v14, v13
	v_mul_lo_u32 v14, s1, v10
	v_add_u32_e32 v13, v13, v14
	v_mul_lo_u32 v15, s0, v10
	v_mul_hi_u32 v16, v11, v15
	v_mul_lo_u32 v17, v11, v15
	v_mul_lo_u32 v19, v10, v13
	v_mul_hi_u32 v15, v10, v15
	v_mul_hi_u32 v18, v10, v13
	v_add_co_u32_e32 v15, vcc, v15, v19
	v_addc_co_u32_e32 v18, vcc, 0, v18, vcc
	v_add_co_u32_e32 v15, vcc, v15, v17
	v_mul_hi_u32 v14, v11, v13
	v_addc_co_u32_e32 v15, vcc, v18, v16, vcc
	v_addc_co_u32_e32 v14, vcc, 0, v14, vcc
	v_mul_lo_u32 v13, v11, v13
	v_add_co_u32_e32 v13, vcc, v15, v13
	v_addc_co_u32_e32 v14, vcc, 0, v14, vcc
	v_add_co_u32_e32 v13, vcc, v10, v13
	v_addc_co_u32_e32 v14, vcc, v11, v14, vcc
	v_ashrrev_i32_e32 v15, 31, v12
	v_add_co_u32_e32 v1, vcc, v1, v15
	v_addc_co_u32_e32 v10, vcc, v12, v15, vcc
	v_xor_b32_e32 v1, v1, v15
	v_xor_b32_e32 v16, v10, v15
	v_mad_u64_u32 v[10:11], s[0:1], v1, v14, 0
	v_mul_hi_u32 v12, v1, v13
	v_add_co_u32_e32 v17, vcc, v12, v10
	v_addc_co_u32_e32 v18, vcc, 0, v11, vcc
	v_mad_u64_u32 v[12:13], s[0:1], v16, v13, 0
	v_add_co_u32_e32 v12, vcc, v17, v12
	v_mad_u64_u32 v[10:11], s[0:1], v16, v14, 0
	v_addc_co_u32_e32 v12, vcc, v18, v13, vcc
	v_addc_co_u32_e32 v11, vcc, 0, v11, vcc
	v_add_co_u32_e32 v12, vcc, v12, v10
	v_addc_co_u32_e32 v13, vcc, 0, v11, vcc
	v_mul_lo_u32 v14, s11, v12
	v_mul_lo_u32 v17, s10, v13
	v_mad_u64_u32 v[10:11], s[0:1], s10, v12, 0
	v_add3_u32 v11, v11, v17, v14
	v_sub_u32_e32 v14, v16, v11
	v_mov_b32_e32 v17, s11
	v_sub_co_u32_e32 v1, vcc, v1, v10
	v_subb_co_u32_e64 v10, s[0:1], v14, v17, vcc
	v_subrev_co_u32_e64 v14, s[0:1], s10, v1
	v_subbrev_co_u32_e64 v10, s[0:1], 0, v10, s[0:1]
	v_cmp_le_u32_e64 s[0:1], s11, v10
	v_cndmask_b32_e64 v17, 0, -1, s[0:1]
	v_cmp_le_u32_e64 s[0:1], s10, v14
	v_cndmask_b32_e64 v14, 0, -1, s[0:1]
	v_cmp_eq_u32_e64 s[0:1], s11, v10
	v_cndmask_b32_e64 v10, v17, v14, s[0:1]
	v_add_co_u32_e64 v14, s[0:1], 2, v12
	v_subb_co_u32_e32 v11, vcc, v16, v11, vcc
	v_addc_co_u32_e64 v17, s[0:1], 0, v13, s[0:1]
	v_cmp_le_u32_e32 vcc, s11, v11
	v_add_co_u32_e64 v18, s[0:1], 1, v12
	v_cndmask_b32_e64 v16, 0, -1, vcc
	v_cmp_le_u32_e32 vcc, s10, v1
	v_addc_co_u32_e64 v19, s[0:1], 0, v13, s[0:1]
	v_cndmask_b32_e64 v1, 0, -1, vcc
	v_cmp_eq_u32_e32 vcc, s11, v11
	v_cmp_ne_u32_e64 s[0:1], 0, v10
	v_cndmask_b32_e32 v1, v16, v1, vcc
	v_cndmask_b32_e64 v10, v19, v17, s[0:1]
	v_cmp_ne_u32_e32 vcc, 0, v1
	v_cndmask_b32_e32 v1, v13, v10, vcc
	v_cndmask_b32_e64 v10, v18, v14, s[0:1]
	v_cndmask_b32_e32 v10, v12, v10, vcc
	v_xor_b32_e32 v11, s8, v15
	v_xor_b32_e32 v10, v10, v11
	;; [unrolled: 1-line block ×3, first 2 shown]
	v_sub_co_u32_e32 v10, vcc, v10, v11
	v_subb_co_u32_e32 v11, vcc, v1, v11, vcc
                                        ; implicit-def: $vgpr1
.LBB1134_150:
	s_andn2_saveexec_b64 s[0:1], s[4:5]
	s_cbranch_execz .LBB1134_152
; %bb.151:
	v_cvt_f32_u32_e32 v10, s38
	s_sub_i32 s4, 0, s38
	v_rcp_iflag_f32_e32 v10, v10
	v_mul_f32_e32 v10, 0x4f7ffffe, v10
	v_cvt_u32_f32_e32 v10, v10
	v_mul_lo_u32 v11, s4, v10
	v_mul_hi_u32 v11, v10, v11
	v_add_u32_e32 v10, v10, v11
	v_mul_hi_u32 v10, v1, v10
	v_mul_lo_u32 v11, v10, s38
	v_sub_u32_e32 v1, v1, v11
	v_add_u32_e32 v12, 1, v10
	v_subrev_u32_e32 v11, s38, v1
	v_cmp_le_u32_e32 vcc, s38, v1
	v_cndmask_b32_e32 v1, v1, v11, vcc
	v_cndmask_b32_e32 v10, v10, v12, vcc
	v_add_u32_e32 v11, 1, v10
	v_cmp_le_u32_e32 vcc, s38, v1
	v_cndmask_b32_e32 v10, v10, v11, vcc
	v_mov_b32_e32 v11, 0
.LBB1134_152:
	s_or_b64 exec, exec, s[0:1]
.LBB1134_153:
	s_or_b64 exec, exec, s[2:3]
	v_or_b32_e32 v42, 0x500, v0
	v_cmp_gt_u32_e64 s[18:19], s76, v42
                                        ; implicit-def: $vgpr12_vgpr13
	s_and_saveexec_b64 s[2:3], s[18:19]
	s_cbranch_execz .LBB1134_159
; %bb.154:
	v_mov_b32_e32 v13, s33
	v_add_co_u32_e32 v1, vcc, s7, v42
	v_addc_co_u32_e32 v14, vcc, 0, v13, vcc
	v_mov_b32_e32 v12, 0
	v_or_b32_e32 v13, s39, v14
	v_cmp_ne_u64_e32 vcc, 0, v[12:13]
                                        ; implicit-def: $vgpr12_vgpr13
	s_and_saveexec_b64 s[0:1], vcc
	s_xor_b64 s[4:5], exec, s[0:1]
	s_cbranch_execz .LBB1134_156
; %bb.155:
	s_ashr_i32 s8, s39, 31
	s_add_u32 s0, s38, s8
	s_mov_b32 s9, s8
	s_addc_u32 s1, s39, s8
	s_xor_b64 s[10:11], s[0:1], s[8:9]
	v_cvt_f32_u32_e32 v12, s10
	v_cvt_f32_u32_e32 v13, s11
	s_sub_u32 s0, 0, s10
	s_subb_u32 s1, 0, s11
	v_madmk_f32 v12, v13, 0x4f800000, v12
	v_rcp_f32_e32 v12, v12
	v_mul_f32_e32 v12, 0x5f7ffffc, v12
	v_mul_f32_e32 v13, 0x2f800000, v12
	v_trunc_f32_e32 v13, v13
	v_madmk_f32 v12, v13, 0xcf800000, v12
	v_cvt_u32_f32_e32 v13, v13
	v_cvt_u32_f32_e32 v12, v12
	v_mul_lo_u32 v15, s0, v13
	v_mul_hi_u32 v17, s0, v12
	v_mul_lo_u32 v16, s1, v12
	v_add_u32_e32 v15, v17, v15
	v_mul_lo_u32 v18, s0, v12
	v_add_u32_e32 v15, v15, v16
	v_mul_lo_u32 v17, v12, v15
	v_mul_hi_u32 v19, v12, v18
	v_mul_hi_u32 v16, v12, v15
	v_add_co_u32_e32 v17, vcc, v19, v17
	v_addc_co_u32_e32 v16, vcc, 0, v16, vcc
	v_mul_hi_u32 v20, v13, v18
	v_mul_lo_u32 v18, v13, v18
	v_add_co_u32_e32 v17, vcc, v17, v18
	v_mul_hi_u32 v19, v13, v15
	v_addc_co_u32_e32 v16, vcc, v16, v20, vcc
	v_addc_co_u32_e32 v17, vcc, 0, v19, vcc
	v_mul_lo_u32 v15, v13, v15
	v_add_co_u32_e32 v15, vcc, v16, v15
	v_addc_co_u32_e32 v16, vcc, 0, v17, vcc
	v_add_co_u32_e32 v12, vcc, v12, v15
	v_addc_co_u32_e32 v13, vcc, v13, v16, vcc
	v_mul_lo_u32 v15, s0, v13
	v_mul_hi_u32 v16, s0, v12
	v_add_u32_e32 v15, v16, v15
	v_mul_lo_u32 v16, s1, v12
	v_add_u32_e32 v15, v15, v16
	v_mul_lo_u32 v17, s0, v12
	v_mul_hi_u32 v18, v13, v17
	v_mul_lo_u32 v19, v13, v17
	v_mul_lo_u32 v21, v12, v15
	v_mul_hi_u32 v17, v12, v17
	v_mul_hi_u32 v20, v12, v15
	v_add_co_u32_e32 v17, vcc, v17, v21
	v_addc_co_u32_e32 v20, vcc, 0, v20, vcc
	v_add_co_u32_e32 v17, vcc, v17, v19
	v_mul_hi_u32 v16, v13, v15
	v_addc_co_u32_e32 v17, vcc, v20, v18, vcc
	v_addc_co_u32_e32 v16, vcc, 0, v16, vcc
	v_mul_lo_u32 v15, v13, v15
	v_add_co_u32_e32 v15, vcc, v17, v15
	v_addc_co_u32_e32 v16, vcc, 0, v16, vcc
	v_add_co_u32_e32 v15, vcc, v12, v15
	v_addc_co_u32_e32 v16, vcc, v13, v16, vcc
	v_ashrrev_i32_e32 v17, 31, v14
	v_add_co_u32_e32 v1, vcc, v1, v17
	v_addc_co_u32_e32 v12, vcc, v14, v17, vcc
	v_xor_b32_e32 v1, v1, v17
	v_xor_b32_e32 v18, v12, v17
	v_mad_u64_u32 v[12:13], s[0:1], v1, v16, 0
	v_mul_hi_u32 v14, v1, v15
	v_add_co_u32_e32 v19, vcc, v14, v12
	v_addc_co_u32_e32 v20, vcc, 0, v13, vcc
	v_mad_u64_u32 v[14:15], s[0:1], v18, v15, 0
	v_add_co_u32_e32 v14, vcc, v19, v14
	v_mad_u64_u32 v[12:13], s[0:1], v18, v16, 0
	v_addc_co_u32_e32 v14, vcc, v20, v15, vcc
	v_addc_co_u32_e32 v13, vcc, 0, v13, vcc
	v_add_co_u32_e32 v14, vcc, v14, v12
	v_addc_co_u32_e32 v15, vcc, 0, v13, vcc
	v_mul_lo_u32 v16, s11, v14
	v_mul_lo_u32 v19, s10, v15
	v_mad_u64_u32 v[12:13], s[0:1], s10, v14, 0
	v_add3_u32 v13, v13, v19, v16
	v_sub_u32_e32 v16, v18, v13
	v_mov_b32_e32 v19, s11
	v_sub_co_u32_e32 v1, vcc, v1, v12
	v_subb_co_u32_e64 v12, s[0:1], v16, v19, vcc
	v_subrev_co_u32_e64 v16, s[0:1], s10, v1
	v_subbrev_co_u32_e64 v12, s[0:1], 0, v12, s[0:1]
	v_cmp_le_u32_e64 s[0:1], s11, v12
	v_cndmask_b32_e64 v19, 0, -1, s[0:1]
	v_cmp_le_u32_e64 s[0:1], s10, v16
	v_cndmask_b32_e64 v16, 0, -1, s[0:1]
	v_cmp_eq_u32_e64 s[0:1], s11, v12
	v_cndmask_b32_e64 v12, v19, v16, s[0:1]
	v_add_co_u32_e64 v16, s[0:1], 2, v14
	v_subb_co_u32_e32 v13, vcc, v18, v13, vcc
	v_addc_co_u32_e64 v19, s[0:1], 0, v15, s[0:1]
	v_cmp_le_u32_e32 vcc, s11, v13
	v_add_co_u32_e64 v20, s[0:1], 1, v14
	v_cndmask_b32_e64 v18, 0, -1, vcc
	v_cmp_le_u32_e32 vcc, s10, v1
	v_addc_co_u32_e64 v21, s[0:1], 0, v15, s[0:1]
	v_cndmask_b32_e64 v1, 0, -1, vcc
	v_cmp_eq_u32_e32 vcc, s11, v13
	v_cmp_ne_u32_e64 s[0:1], 0, v12
	v_cndmask_b32_e32 v1, v18, v1, vcc
	v_cndmask_b32_e64 v12, v21, v19, s[0:1]
	v_cmp_ne_u32_e32 vcc, 0, v1
	v_cndmask_b32_e32 v1, v15, v12, vcc
	v_cndmask_b32_e64 v12, v20, v16, s[0:1]
	v_cndmask_b32_e32 v12, v14, v12, vcc
	v_xor_b32_e32 v13, s8, v17
	v_xor_b32_e32 v12, v12, v13
	;; [unrolled: 1-line block ×3, first 2 shown]
	v_sub_co_u32_e32 v12, vcc, v12, v13
	v_subb_co_u32_e32 v13, vcc, v1, v13, vcc
                                        ; implicit-def: $vgpr1
.LBB1134_156:
	s_andn2_saveexec_b64 s[0:1], s[4:5]
	s_cbranch_execz .LBB1134_158
; %bb.157:
	v_cvt_f32_u32_e32 v12, s38
	s_sub_i32 s4, 0, s38
	v_rcp_iflag_f32_e32 v12, v12
	v_mul_f32_e32 v12, 0x4f7ffffe, v12
	v_cvt_u32_f32_e32 v12, v12
	v_mul_lo_u32 v13, s4, v12
	v_mul_hi_u32 v13, v12, v13
	v_add_u32_e32 v12, v12, v13
	v_mul_hi_u32 v12, v1, v12
	v_mul_lo_u32 v13, v12, s38
	v_sub_u32_e32 v1, v1, v13
	v_add_u32_e32 v14, 1, v12
	v_subrev_u32_e32 v13, s38, v1
	v_cmp_le_u32_e32 vcc, s38, v1
	v_cndmask_b32_e32 v1, v1, v13, vcc
	v_cndmask_b32_e32 v12, v12, v14, vcc
	v_add_u32_e32 v13, 1, v12
	v_cmp_le_u32_e32 vcc, s38, v1
	v_cndmask_b32_e32 v12, v12, v13, vcc
	v_mov_b32_e32 v13, 0
.LBB1134_158:
	s_or_b64 exec, exec, s[0:1]
.LBB1134_159:
	s_or_b64 exec, exec, s[2:3]
	v_or_b32_e32 v44, 0x600, v0
	v_cmp_gt_u32_e64 s[16:17], s76, v44
                                        ; implicit-def: $vgpr14_vgpr15
	s_and_saveexec_b64 s[2:3], s[16:17]
	s_cbranch_execz .LBB1134_165
; %bb.160:
	v_mov_b32_e32 v15, s33
	v_add_co_u32_e32 v1, vcc, s7, v44
	v_addc_co_u32_e32 v16, vcc, 0, v15, vcc
	v_mov_b32_e32 v14, 0
	v_or_b32_e32 v15, s39, v16
	v_cmp_ne_u64_e32 vcc, 0, v[14:15]
                                        ; implicit-def: $vgpr14_vgpr15
	s_and_saveexec_b64 s[0:1], vcc
	s_xor_b64 s[4:5], exec, s[0:1]
	s_cbranch_execz .LBB1134_162
; %bb.161:
	s_ashr_i32 s8, s39, 31
	s_add_u32 s0, s38, s8
	s_mov_b32 s9, s8
	s_addc_u32 s1, s39, s8
	s_xor_b64 s[10:11], s[0:1], s[8:9]
	v_cvt_f32_u32_e32 v14, s10
	v_cvt_f32_u32_e32 v15, s11
	s_sub_u32 s0, 0, s10
	s_subb_u32 s1, 0, s11
	v_madmk_f32 v14, v15, 0x4f800000, v14
	v_rcp_f32_e32 v14, v14
	v_mul_f32_e32 v14, 0x5f7ffffc, v14
	v_mul_f32_e32 v15, 0x2f800000, v14
	v_trunc_f32_e32 v15, v15
	v_madmk_f32 v14, v15, 0xcf800000, v14
	v_cvt_u32_f32_e32 v15, v15
	v_cvt_u32_f32_e32 v14, v14
	v_mul_lo_u32 v17, s0, v15
	v_mul_hi_u32 v19, s0, v14
	v_mul_lo_u32 v18, s1, v14
	v_add_u32_e32 v17, v19, v17
	v_mul_lo_u32 v20, s0, v14
	v_add_u32_e32 v17, v17, v18
	v_mul_lo_u32 v19, v14, v17
	v_mul_hi_u32 v21, v14, v20
	v_mul_hi_u32 v18, v14, v17
	v_add_co_u32_e32 v19, vcc, v21, v19
	v_addc_co_u32_e32 v18, vcc, 0, v18, vcc
	v_mul_hi_u32 v22, v15, v20
	v_mul_lo_u32 v20, v15, v20
	v_add_co_u32_e32 v19, vcc, v19, v20
	v_mul_hi_u32 v21, v15, v17
	v_addc_co_u32_e32 v18, vcc, v18, v22, vcc
	v_addc_co_u32_e32 v19, vcc, 0, v21, vcc
	v_mul_lo_u32 v17, v15, v17
	v_add_co_u32_e32 v17, vcc, v18, v17
	v_addc_co_u32_e32 v18, vcc, 0, v19, vcc
	v_add_co_u32_e32 v14, vcc, v14, v17
	v_addc_co_u32_e32 v15, vcc, v15, v18, vcc
	v_mul_lo_u32 v17, s0, v15
	v_mul_hi_u32 v18, s0, v14
	v_add_u32_e32 v17, v18, v17
	v_mul_lo_u32 v18, s1, v14
	v_add_u32_e32 v17, v17, v18
	v_mul_lo_u32 v19, s0, v14
	v_mul_hi_u32 v20, v15, v19
	v_mul_lo_u32 v21, v15, v19
	v_mul_lo_u32 v23, v14, v17
	v_mul_hi_u32 v19, v14, v19
	v_mul_hi_u32 v22, v14, v17
	v_add_co_u32_e32 v19, vcc, v19, v23
	v_addc_co_u32_e32 v22, vcc, 0, v22, vcc
	v_add_co_u32_e32 v19, vcc, v19, v21
	v_mul_hi_u32 v18, v15, v17
	v_addc_co_u32_e32 v19, vcc, v22, v20, vcc
	v_addc_co_u32_e32 v18, vcc, 0, v18, vcc
	v_mul_lo_u32 v17, v15, v17
	v_add_co_u32_e32 v17, vcc, v19, v17
	v_addc_co_u32_e32 v18, vcc, 0, v18, vcc
	v_add_co_u32_e32 v17, vcc, v14, v17
	v_addc_co_u32_e32 v18, vcc, v15, v18, vcc
	v_ashrrev_i32_e32 v19, 31, v16
	v_add_co_u32_e32 v1, vcc, v1, v19
	v_addc_co_u32_e32 v14, vcc, v16, v19, vcc
	v_xor_b32_e32 v1, v1, v19
	v_xor_b32_e32 v20, v14, v19
	v_mad_u64_u32 v[14:15], s[0:1], v1, v18, 0
	v_mul_hi_u32 v16, v1, v17
	v_add_co_u32_e32 v21, vcc, v16, v14
	v_addc_co_u32_e32 v22, vcc, 0, v15, vcc
	v_mad_u64_u32 v[16:17], s[0:1], v20, v17, 0
	v_add_co_u32_e32 v16, vcc, v21, v16
	v_mad_u64_u32 v[14:15], s[0:1], v20, v18, 0
	v_addc_co_u32_e32 v16, vcc, v22, v17, vcc
	v_addc_co_u32_e32 v15, vcc, 0, v15, vcc
	v_add_co_u32_e32 v16, vcc, v16, v14
	v_addc_co_u32_e32 v17, vcc, 0, v15, vcc
	v_mul_lo_u32 v18, s11, v16
	v_mul_lo_u32 v21, s10, v17
	v_mad_u64_u32 v[14:15], s[0:1], s10, v16, 0
	v_add3_u32 v15, v15, v21, v18
	v_sub_u32_e32 v18, v20, v15
	v_mov_b32_e32 v21, s11
	v_sub_co_u32_e32 v1, vcc, v1, v14
	v_subb_co_u32_e64 v14, s[0:1], v18, v21, vcc
	v_subrev_co_u32_e64 v18, s[0:1], s10, v1
	v_subbrev_co_u32_e64 v14, s[0:1], 0, v14, s[0:1]
	v_cmp_le_u32_e64 s[0:1], s11, v14
	v_cndmask_b32_e64 v21, 0, -1, s[0:1]
	v_cmp_le_u32_e64 s[0:1], s10, v18
	v_cndmask_b32_e64 v18, 0, -1, s[0:1]
	v_cmp_eq_u32_e64 s[0:1], s11, v14
	v_cndmask_b32_e64 v14, v21, v18, s[0:1]
	v_add_co_u32_e64 v18, s[0:1], 2, v16
	v_subb_co_u32_e32 v15, vcc, v20, v15, vcc
	v_addc_co_u32_e64 v21, s[0:1], 0, v17, s[0:1]
	v_cmp_le_u32_e32 vcc, s11, v15
	v_add_co_u32_e64 v22, s[0:1], 1, v16
	v_cndmask_b32_e64 v20, 0, -1, vcc
	v_cmp_le_u32_e32 vcc, s10, v1
	v_addc_co_u32_e64 v23, s[0:1], 0, v17, s[0:1]
	v_cndmask_b32_e64 v1, 0, -1, vcc
	v_cmp_eq_u32_e32 vcc, s11, v15
	v_cmp_ne_u32_e64 s[0:1], 0, v14
	v_cndmask_b32_e32 v1, v20, v1, vcc
	v_cndmask_b32_e64 v14, v23, v21, s[0:1]
	v_cmp_ne_u32_e32 vcc, 0, v1
	v_cndmask_b32_e32 v1, v17, v14, vcc
	v_cndmask_b32_e64 v14, v22, v18, s[0:1]
	v_cndmask_b32_e32 v14, v16, v14, vcc
	v_xor_b32_e32 v15, s8, v19
	v_xor_b32_e32 v14, v14, v15
	;; [unrolled: 1-line block ×3, first 2 shown]
	v_sub_co_u32_e32 v14, vcc, v14, v15
	v_subb_co_u32_e32 v15, vcc, v1, v15, vcc
                                        ; implicit-def: $vgpr1
.LBB1134_162:
	s_andn2_saveexec_b64 s[0:1], s[4:5]
	s_cbranch_execz .LBB1134_164
; %bb.163:
	v_cvt_f32_u32_e32 v14, s38
	s_sub_i32 s4, 0, s38
	v_rcp_iflag_f32_e32 v14, v14
	v_mul_f32_e32 v14, 0x4f7ffffe, v14
	v_cvt_u32_f32_e32 v14, v14
	v_mul_lo_u32 v15, s4, v14
	v_mul_hi_u32 v15, v14, v15
	v_add_u32_e32 v14, v14, v15
	v_mul_hi_u32 v14, v1, v14
	v_mul_lo_u32 v15, v14, s38
	v_sub_u32_e32 v1, v1, v15
	v_add_u32_e32 v16, 1, v14
	v_subrev_u32_e32 v15, s38, v1
	v_cmp_le_u32_e32 vcc, s38, v1
	v_cndmask_b32_e32 v1, v1, v15, vcc
	v_cndmask_b32_e32 v14, v14, v16, vcc
	v_add_u32_e32 v15, 1, v14
	v_cmp_le_u32_e32 vcc, s38, v1
	v_cndmask_b32_e32 v14, v14, v15, vcc
	v_mov_b32_e32 v15, 0
.LBB1134_164:
	s_or_b64 exec, exec, s[0:1]
.LBB1134_165:
	s_or_b64 exec, exec, s[2:3]
	v_or_b32_e32 v46, 0x700, v0
	v_cmp_gt_u32_e64 s[14:15], s76, v46
                                        ; implicit-def: $vgpr16_vgpr17
	s_and_saveexec_b64 s[2:3], s[14:15]
	s_cbranch_execz .LBB1134_171
; %bb.166:
	v_mov_b32_e32 v17, s33
	v_add_co_u32_e32 v1, vcc, s7, v46
	v_addc_co_u32_e32 v18, vcc, 0, v17, vcc
	v_mov_b32_e32 v16, 0
	v_or_b32_e32 v17, s39, v18
	v_cmp_ne_u64_e32 vcc, 0, v[16:17]
                                        ; implicit-def: $vgpr16_vgpr17
	s_and_saveexec_b64 s[0:1], vcc
	s_xor_b64 s[4:5], exec, s[0:1]
	s_cbranch_execz .LBB1134_168
; %bb.167:
	s_ashr_i32 s8, s39, 31
	s_add_u32 s0, s38, s8
	s_mov_b32 s9, s8
	s_addc_u32 s1, s39, s8
	s_xor_b64 s[10:11], s[0:1], s[8:9]
	v_cvt_f32_u32_e32 v16, s10
	v_cvt_f32_u32_e32 v17, s11
	s_sub_u32 s0, 0, s10
	s_subb_u32 s1, 0, s11
	v_madmk_f32 v16, v17, 0x4f800000, v16
	v_rcp_f32_e32 v16, v16
	v_mul_f32_e32 v16, 0x5f7ffffc, v16
	v_mul_f32_e32 v17, 0x2f800000, v16
	v_trunc_f32_e32 v17, v17
	v_madmk_f32 v16, v17, 0xcf800000, v16
	v_cvt_u32_f32_e32 v17, v17
	v_cvt_u32_f32_e32 v16, v16
	v_mul_lo_u32 v19, s0, v17
	v_mul_hi_u32 v21, s0, v16
	v_mul_lo_u32 v20, s1, v16
	v_add_u32_e32 v19, v21, v19
	v_mul_lo_u32 v22, s0, v16
	v_add_u32_e32 v19, v19, v20
	v_mul_lo_u32 v21, v16, v19
	v_mul_hi_u32 v23, v16, v22
	v_mul_hi_u32 v20, v16, v19
	v_add_co_u32_e32 v21, vcc, v23, v21
	v_addc_co_u32_e32 v20, vcc, 0, v20, vcc
	v_mul_hi_u32 v24, v17, v22
	v_mul_lo_u32 v22, v17, v22
	v_add_co_u32_e32 v21, vcc, v21, v22
	v_mul_hi_u32 v23, v17, v19
	v_addc_co_u32_e32 v20, vcc, v20, v24, vcc
	v_addc_co_u32_e32 v21, vcc, 0, v23, vcc
	v_mul_lo_u32 v19, v17, v19
	v_add_co_u32_e32 v19, vcc, v20, v19
	v_addc_co_u32_e32 v20, vcc, 0, v21, vcc
	v_add_co_u32_e32 v16, vcc, v16, v19
	v_addc_co_u32_e32 v17, vcc, v17, v20, vcc
	v_mul_lo_u32 v19, s0, v17
	v_mul_hi_u32 v20, s0, v16
	v_add_u32_e32 v19, v20, v19
	v_mul_lo_u32 v20, s1, v16
	v_add_u32_e32 v19, v19, v20
	v_mul_lo_u32 v21, s0, v16
	v_mul_hi_u32 v22, v17, v21
	v_mul_lo_u32 v23, v17, v21
	v_mul_lo_u32 v25, v16, v19
	v_mul_hi_u32 v21, v16, v21
	v_mul_hi_u32 v24, v16, v19
	v_add_co_u32_e32 v21, vcc, v21, v25
	v_addc_co_u32_e32 v24, vcc, 0, v24, vcc
	v_add_co_u32_e32 v21, vcc, v21, v23
	v_mul_hi_u32 v20, v17, v19
	v_addc_co_u32_e32 v21, vcc, v24, v22, vcc
	v_addc_co_u32_e32 v20, vcc, 0, v20, vcc
	v_mul_lo_u32 v19, v17, v19
	v_add_co_u32_e32 v19, vcc, v21, v19
	v_addc_co_u32_e32 v20, vcc, 0, v20, vcc
	v_add_co_u32_e32 v19, vcc, v16, v19
	v_addc_co_u32_e32 v20, vcc, v17, v20, vcc
	v_ashrrev_i32_e32 v21, 31, v18
	v_add_co_u32_e32 v1, vcc, v1, v21
	v_addc_co_u32_e32 v16, vcc, v18, v21, vcc
	v_xor_b32_e32 v1, v1, v21
	v_xor_b32_e32 v22, v16, v21
	v_mad_u64_u32 v[16:17], s[0:1], v1, v20, 0
	v_mul_hi_u32 v18, v1, v19
	v_add_co_u32_e32 v23, vcc, v18, v16
	v_addc_co_u32_e32 v24, vcc, 0, v17, vcc
	v_mad_u64_u32 v[18:19], s[0:1], v22, v19, 0
	v_add_co_u32_e32 v18, vcc, v23, v18
	v_mad_u64_u32 v[16:17], s[0:1], v22, v20, 0
	v_addc_co_u32_e32 v18, vcc, v24, v19, vcc
	v_addc_co_u32_e32 v17, vcc, 0, v17, vcc
	v_add_co_u32_e32 v18, vcc, v18, v16
	v_addc_co_u32_e32 v19, vcc, 0, v17, vcc
	v_mul_lo_u32 v20, s11, v18
	v_mul_lo_u32 v23, s10, v19
	v_mad_u64_u32 v[16:17], s[0:1], s10, v18, 0
	v_add3_u32 v17, v17, v23, v20
	v_sub_u32_e32 v20, v22, v17
	v_mov_b32_e32 v23, s11
	v_sub_co_u32_e32 v1, vcc, v1, v16
	v_subb_co_u32_e64 v16, s[0:1], v20, v23, vcc
	v_subrev_co_u32_e64 v20, s[0:1], s10, v1
	v_subbrev_co_u32_e64 v16, s[0:1], 0, v16, s[0:1]
	v_cmp_le_u32_e64 s[0:1], s11, v16
	v_cndmask_b32_e64 v23, 0, -1, s[0:1]
	v_cmp_le_u32_e64 s[0:1], s10, v20
	v_cndmask_b32_e64 v20, 0, -1, s[0:1]
	v_cmp_eq_u32_e64 s[0:1], s11, v16
	v_cndmask_b32_e64 v16, v23, v20, s[0:1]
	v_add_co_u32_e64 v20, s[0:1], 2, v18
	v_subb_co_u32_e32 v17, vcc, v22, v17, vcc
	v_addc_co_u32_e64 v23, s[0:1], 0, v19, s[0:1]
	v_cmp_le_u32_e32 vcc, s11, v17
	v_add_co_u32_e64 v24, s[0:1], 1, v18
	v_cndmask_b32_e64 v22, 0, -1, vcc
	v_cmp_le_u32_e32 vcc, s10, v1
	v_addc_co_u32_e64 v25, s[0:1], 0, v19, s[0:1]
	v_cndmask_b32_e64 v1, 0, -1, vcc
	v_cmp_eq_u32_e32 vcc, s11, v17
	v_cmp_ne_u32_e64 s[0:1], 0, v16
	v_cndmask_b32_e32 v1, v22, v1, vcc
	v_cndmask_b32_e64 v16, v25, v23, s[0:1]
	v_cmp_ne_u32_e32 vcc, 0, v1
	v_cndmask_b32_e32 v1, v19, v16, vcc
	v_cndmask_b32_e64 v16, v24, v20, s[0:1]
	v_cndmask_b32_e32 v16, v18, v16, vcc
	v_xor_b32_e32 v17, s8, v21
	v_xor_b32_e32 v16, v16, v17
	;; [unrolled: 1-line block ×3, first 2 shown]
	v_sub_co_u32_e32 v16, vcc, v16, v17
	v_subb_co_u32_e32 v17, vcc, v1, v17, vcc
                                        ; implicit-def: $vgpr1
.LBB1134_168:
	s_andn2_saveexec_b64 s[0:1], s[4:5]
	s_cbranch_execz .LBB1134_170
; %bb.169:
	v_cvt_f32_u32_e32 v16, s38
	s_sub_i32 s4, 0, s38
	v_rcp_iflag_f32_e32 v16, v16
	v_mul_f32_e32 v16, 0x4f7ffffe, v16
	v_cvt_u32_f32_e32 v16, v16
	v_mul_lo_u32 v17, s4, v16
	v_mul_hi_u32 v17, v16, v17
	v_add_u32_e32 v16, v16, v17
	v_mul_hi_u32 v16, v1, v16
	v_mul_lo_u32 v17, v16, s38
	v_sub_u32_e32 v1, v1, v17
	v_add_u32_e32 v18, 1, v16
	v_subrev_u32_e32 v17, s38, v1
	v_cmp_le_u32_e32 vcc, s38, v1
	v_cndmask_b32_e32 v1, v1, v17, vcc
	v_cndmask_b32_e32 v16, v16, v18, vcc
	v_add_u32_e32 v17, 1, v16
	v_cmp_le_u32_e32 vcc, s38, v1
	v_cndmask_b32_e32 v16, v16, v17, vcc
	v_mov_b32_e32 v17, 0
.LBB1134_170:
	s_or_b64 exec, exec, s[0:1]
.LBB1134_171:
	s_or_b64 exec, exec, s[2:3]
	v_or_b32_e32 v48, 0x800, v0
	v_cmp_gt_u32_e64 s[12:13], s76, v48
                                        ; implicit-def: $vgpr18_vgpr19
	s_and_saveexec_b64 s[2:3], s[12:13]
	s_cbranch_execz .LBB1134_177
; %bb.172:
	v_mov_b32_e32 v19, s33
	v_add_co_u32_e32 v1, vcc, s7, v48
	v_addc_co_u32_e32 v20, vcc, 0, v19, vcc
	v_mov_b32_e32 v18, 0
	v_or_b32_e32 v19, s39, v20
	v_cmp_ne_u64_e32 vcc, 0, v[18:19]
                                        ; implicit-def: $vgpr18_vgpr19
	s_and_saveexec_b64 s[0:1], vcc
	s_xor_b64 s[4:5], exec, s[0:1]
	s_cbranch_execz .LBB1134_174
; %bb.173:
	s_ashr_i32 s8, s39, 31
	s_add_u32 s0, s38, s8
	s_mov_b32 s9, s8
	s_addc_u32 s1, s39, s8
	s_xor_b64 s[10:11], s[0:1], s[8:9]
	v_cvt_f32_u32_e32 v18, s10
	v_cvt_f32_u32_e32 v19, s11
	s_sub_u32 s0, 0, s10
	s_subb_u32 s1, 0, s11
	v_madmk_f32 v18, v19, 0x4f800000, v18
	v_rcp_f32_e32 v18, v18
	v_mul_f32_e32 v18, 0x5f7ffffc, v18
	v_mul_f32_e32 v19, 0x2f800000, v18
	v_trunc_f32_e32 v19, v19
	v_madmk_f32 v18, v19, 0xcf800000, v18
	v_cvt_u32_f32_e32 v19, v19
	v_cvt_u32_f32_e32 v18, v18
	v_mul_lo_u32 v21, s0, v19
	v_mul_hi_u32 v23, s0, v18
	v_mul_lo_u32 v22, s1, v18
	v_add_u32_e32 v21, v23, v21
	v_mul_lo_u32 v24, s0, v18
	v_add_u32_e32 v21, v21, v22
	v_mul_lo_u32 v23, v18, v21
	v_mul_hi_u32 v25, v18, v24
	v_mul_hi_u32 v22, v18, v21
	v_add_co_u32_e32 v23, vcc, v25, v23
	v_addc_co_u32_e32 v22, vcc, 0, v22, vcc
	v_mul_hi_u32 v26, v19, v24
	v_mul_lo_u32 v24, v19, v24
	v_add_co_u32_e32 v23, vcc, v23, v24
	v_mul_hi_u32 v25, v19, v21
	v_addc_co_u32_e32 v22, vcc, v22, v26, vcc
	v_addc_co_u32_e32 v23, vcc, 0, v25, vcc
	v_mul_lo_u32 v21, v19, v21
	v_add_co_u32_e32 v21, vcc, v22, v21
	v_addc_co_u32_e32 v22, vcc, 0, v23, vcc
	v_add_co_u32_e32 v18, vcc, v18, v21
	v_addc_co_u32_e32 v19, vcc, v19, v22, vcc
	v_mul_lo_u32 v21, s0, v19
	v_mul_hi_u32 v22, s0, v18
	v_add_u32_e32 v21, v22, v21
	v_mul_lo_u32 v22, s1, v18
	v_add_u32_e32 v21, v21, v22
	v_mul_lo_u32 v23, s0, v18
	v_mul_hi_u32 v24, v19, v23
	v_mul_lo_u32 v25, v19, v23
	v_mul_lo_u32 v27, v18, v21
	v_mul_hi_u32 v23, v18, v23
	v_mul_hi_u32 v26, v18, v21
	v_add_co_u32_e32 v23, vcc, v23, v27
	v_addc_co_u32_e32 v26, vcc, 0, v26, vcc
	v_add_co_u32_e32 v23, vcc, v23, v25
	v_mul_hi_u32 v22, v19, v21
	v_addc_co_u32_e32 v23, vcc, v26, v24, vcc
	v_addc_co_u32_e32 v22, vcc, 0, v22, vcc
	v_mul_lo_u32 v21, v19, v21
	v_add_co_u32_e32 v21, vcc, v23, v21
	v_addc_co_u32_e32 v22, vcc, 0, v22, vcc
	v_add_co_u32_e32 v21, vcc, v18, v21
	v_addc_co_u32_e32 v22, vcc, v19, v22, vcc
	v_ashrrev_i32_e32 v23, 31, v20
	v_add_co_u32_e32 v1, vcc, v1, v23
	v_addc_co_u32_e32 v18, vcc, v20, v23, vcc
	v_xor_b32_e32 v1, v1, v23
	v_xor_b32_e32 v24, v18, v23
	v_mad_u64_u32 v[18:19], s[0:1], v1, v22, 0
	v_mul_hi_u32 v20, v1, v21
	v_add_co_u32_e32 v25, vcc, v20, v18
	v_addc_co_u32_e32 v26, vcc, 0, v19, vcc
	v_mad_u64_u32 v[20:21], s[0:1], v24, v21, 0
	v_add_co_u32_e32 v20, vcc, v25, v20
	v_mad_u64_u32 v[18:19], s[0:1], v24, v22, 0
	v_addc_co_u32_e32 v20, vcc, v26, v21, vcc
	v_addc_co_u32_e32 v19, vcc, 0, v19, vcc
	v_add_co_u32_e32 v20, vcc, v20, v18
	v_addc_co_u32_e32 v21, vcc, 0, v19, vcc
	v_mul_lo_u32 v22, s11, v20
	v_mul_lo_u32 v25, s10, v21
	v_mad_u64_u32 v[18:19], s[0:1], s10, v20, 0
	v_add3_u32 v19, v19, v25, v22
	v_sub_u32_e32 v22, v24, v19
	v_mov_b32_e32 v25, s11
	v_sub_co_u32_e32 v1, vcc, v1, v18
	v_subb_co_u32_e64 v18, s[0:1], v22, v25, vcc
	v_subrev_co_u32_e64 v22, s[0:1], s10, v1
	v_subbrev_co_u32_e64 v18, s[0:1], 0, v18, s[0:1]
	v_cmp_le_u32_e64 s[0:1], s11, v18
	v_cndmask_b32_e64 v25, 0, -1, s[0:1]
	v_cmp_le_u32_e64 s[0:1], s10, v22
	v_cndmask_b32_e64 v22, 0, -1, s[0:1]
	v_cmp_eq_u32_e64 s[0:1], s11, v18
	v_cndmask_b32_e64 v18, v25, v22, s[0:1]
	v_add_co_u32_e64 v22, s[0:1], 2, v20
	v_subb_co_u32_e32 v19, vcc, v24, v19, vcc
	v_addc_co_u32_e64 v25, s[0:1], 0, v21, s[0:1]
	v_cmp_le_u32_e32 vcc, s11, v19
	v_add_co_u32_e64 v26, s[0:1], 1, v20
	v_cndmask_b32_e64 v24, 0, -1, vcc
	v_cmp_le_u32_e32 vcc, s10, v1
	v_addc_co_u32_e64 v27, s[0:1], 0, v21, s[0:1]
	v_cndmask_b32_e64 v1, 0, -1, vcc
	v_cmp_eq_u32_e32 vcc, s11, v19
	v_cmp_ne_u32_e64 s[0:1], 0, v18
	v_cndmask_b32_e32 v1, v24, v1, vcc
	v_cndmask_b32_e64 v18, v27, v25, s[0:1]
	v_cmp_ne_u32_e32 vcc, 0, v1
	v_cndmask_b32_e32 v1, v21, v18, vcc
	v_cndmask_b32_e64 v18, v26, v22, s[0:1]
	v_cndmask_b32_e32 v18, v20, v18, vcc
	v_xor_b32_e32 v19, s8, v23
	v_xor_b32_e32 v18, v18, v19
	;; [unrolled: 1-line block ×3, first 2 shown]
	v_sub_co_u32_e32 v18, vcc, v18, v19
	v_subb_co_u32_e32 v19, vcc, v1, v19, vcc
                                        ; implicit-def: $vgpr1
.LBB1134_174:
	s_andn2_saveexec_b64 s[0:1], s[4:5]
	s_cbranch_execz .LBB1134_176
; %bb.175:
	v_cvt_f32_u32_e32 v18, s38
	s_sub_i32 s4, 0, s38
	v_rcp_iflag_f32_e32 v18, v18
	v_mul_f32_e32 v18, 0x4f7ffffe, v18
	v_cvt_u32_f32_e32 v18, v18
	v_mul_lo_u32 v19, s4, v18
	v_mul_hi_u32 v19, v18, v19
	v_add_u32_e32 v18, v18, v19
	v_mul_hi_u32 v18, v1, v18
	v_mul_lo_u32 v19, v18, s38
	v_sub_u32_e32 v1, v1, v19
	v_add_u32_e32 v20, 1, v18
	v_subrev_u32_e32 v19, s38, v1
	v_cmp_le_u32_e32 vcc, s38, v1
	v_cndmask_b32_e32 v1, v1, v19, vcc
	v_cndmask_b32_e32 v18, v18, v20, vcc
	v_add_u32_e32 v19, 1, v18
	v_cmp_le_u32_e32 vcc, s38, v1
	v_cndmask_b32_e32 v18, v18, v19, vcc
	v_mov_b32_e32 v19, 0
.LBB1134_176:
	s_or_b64 exec, exec, s[0:1]
.LBB1134_177:
	s_or_b64 exec, exec, s[2:3]
	v_or_b32_e32 v50, 0x900, v0
	v_cmp_gt_u32_e64 s[10:11], s76, v50
                                        ; implicit-def: $vgpr20_vgpr21
	s_and_saveexec_b64 s[2:3], s[10:11]
	s_cbranch_execz .LBB1134_183
; %bb.178:
	v_mov_b32_e32 v21, s33
	v_add_co_u32_e32 v1, vcc, s7, v50
	v_addc_co_u32_e32 v22, vcc, 0, v21, vcc
	v_mov_b32_e32 v20, 0
	v_or_b32_e32 v21, s39, v22
	v_cmp_ne_u64_e32 vcc, 0, v[20:21]
                                        ; implicit-def: $vgpr20_vgpr21
	s_and_saveexec_b64 s[0:1], vcc
	s_xor_b64 s[4:5], exec, s[0:1]
	s_cbranch_execz .LBB1134_180
; %bb.179:
	s_ashr_i32 s8, s39, 31
	s_add_u32 s0, s38, s8
	s_mov_b32 s9, s8
	s_addc_u32 s1, s39, s8
	s_xor_b64 s[30:31], s[0:1], s[8:9]
	v_cvt_f32_u32_e32 v20, s30
	v_cvt_f32_u32_e32 v21, s31
	s_sub_u32 s0, 0, s30
	s_subb_u32 s1, 0, s31
	v_madmk_f32 v20, v21, 0x4f800000, v20
	v_rcp_f32_e32 v20, v20
	v_mul_f32_e32 v20, 0x5f7ffffc, v20
	v_mul_f32_e32 v21, 0x2f800000, v20
	v_trunc_f32_e32 v21, v21
	v_madmk_f32 v20, v21, 0xcf800000, v20
	v_cvt_u32_f32_e32 v21, v21
	v_cvt_u32_f32_e32 v20, v20
	v_mul_lo_u32 v23, s0, v21
	v_mul_hi_u32 v25, s0, v20
	v_mul_lo_u32 v24, s1, v20
	v_add_u32_e32 v23, v25, v23
	v_mul_lo_u32 v26, s0, v20
	v_add_u32_e32 v23, v23, v24
	v_mul_lo_u32 v25, v20, v23
	v_mul_hi_u32 v27, v20, v26
	v_mul_hi_u32 v24, v20, v23
	v_add_co_u32_e32 v25, vcc, v27, v25
	v_addc_co_u32_e32 v24, vcc, 0, v24, vcc
	v_mul_hi_u32 v28, v21, v26
	v_mul_lo_u32 v26, v21, v26
	v_add_co_u32_e32 v25, vcc, v25, v26
	v_mul_hi_u32 v27, v21, v23
	v_addc_co_u32_e32 v24, vcc, v24, v28, vcc
	v_addc_co_u32_e32 v25, vcc, 0, v27, vcc
	v_mul_lo_u32 v23, v21, v23
	v_add_co_u32_e32 v23, vcc, v24, v23
	v_addc_co_u32_e32 v24, vcc, 0, v25, vcc
	v_add_co_u32_e32 v20, vcc, v20, v23
	v_addc_co_u32_e32 v21, vcc, v21, v24, vcc
	v_mul_lo_u32 v23, s0, v21
	v_mul_hi_u32 v24, s0, v20
	v_add_u32_e32 v23, v24, v23
	v_mul_lo_u32 v24, s1, v20
	v_add_u32_e32 v23, v23, v24
	v_mul_lo_u32 v25, s0, v20
	v_mul_hi_u32 v26, v21, v25
	v_mul_lo_u32 v27, v21, v25
	v_mul_lo_u32 v29, v20, v23
	v_mul_hi_u32 v25, v20, v25
	v_mul_hi_u32 v28, v20, v23
	v_add_co_u32_e32 v25, vcc, v25, v29
	v_addc_co_u32_e32 v28, vcc, 0, v28, vcc
	v_add_co_u32_e32 v25, vcc, v25, v27
	v_mul_hi_u32 v24, v21, v23
	v_addc_co_u32_e32 v25, vcc, v28, v26, vcc
	v_addc_co_u32_e32 v24, vcc, 0, v24, vcc
	v_mul_lo_u32 v23, v21, v23
	v_add_co_u32_e32 v23, vcc, v25, v23
	v_addc_co_u32_e32 v24, vcc, 0, v24, vcc
	v_add_co_u32_e32 v23, vcc, v20, v23
	v_addc_co_u32_e32 v24, vcc, v21, v24, vcc
	v_ashrrev_i32_e32 v25, 31, v22
	v_add_co_u32_e32 v1, vcc, v1, v25
	v_addc_co_u32_e32 v20, vcc, v22, v25, vcc
	v_xor_b32_e32 v1, v1, v25
	v_xor_b32_e32 v26, v20, v25
	v_mad_u64_u32 v[20:21], s[0:1], v1, v24, 0
	v_mul_hi_u32 v22, v1, v23
	v_add_co_u32_e32 v27, vcc, v22, v20
	v_addc_co_u32_e32 v28, vcc, 0, v21, vcc
	v_mad_u64_u32 v[22:23], s[0:1], v26, v23, 0
	v_add_co_u32_e32 v22, vcc, v27, v22
	v_mad_u64_u32 v[20:21], s[0:1], v26, v24, 0
	v_addc_co_u32_e32 v22, vcc, v28, v23, vcc
	v_addc_co_u32_e32 v21, vcc, 0, v21, vcc
	v_add_co_u32_e32 v22, vcc, v22, v20
	v_addc_co_u32_e32 v23, vcc, 0, v21, vcc
	v_mul_lo_u32 v24, s31, v22
	v_mul_lo_u32 v27, s30, v23
	v_mad_u64_u32 v[20:21], s[0:1], s30, v22, 0
	v_add3_u32 v21, v21, v27, v24
	v_sub_u32_e32 v24, v26, v21
	v_mov_b32_e32 v27, s31
	v_sub_co_u32_e32 v1, vcc, v1, v20
	v_subb_co_u32_e64 v20, s[0:1], v24, v27, vcc
	v_subrev_co_u32_e64 v24, s[0:1], s30, v1
	v_subbrev_co_u32_e64 v20, s[0:1], 0, v20, s[0:1]
	v_cmp_le_u32_e64 s[0:1], s31, v20
	v_cndmask_b32_e64 v27, 0, -1, s[0:1]
	v_cmp_le_u32_e64 s[0:1], s30, v24
	v_cndmask_b32_e64 v24, 0, -1, s[0:1]
	v_cmp_eq_u32_e64 s[0:1], s31, v20
	v_cndmask_b32_e64 v20, v27, v24, s[0:1]
	v_add_co_u32_e64 v24, s[0:1], 2, v22
	v_subb_co_u32_e32 v21, vcc, v26, v21, vcc
	v_addc_co_u32_e64 v27, s[0:1], 0, v23, s[0:1]
	v_cmp_le_u32_e32 vcc, s31, v21
	v_add_co_u32_e64 v28, s[0:1], 1, v22
	v_cndmask_b32_e64 v26, 0, -1, vcc
	v_cmp_le_u32_e32 vcc, s30, v1
	v_addc_co_u32_e64 v29, s[0:1], 0, v23, s[0:1]
	v_cndmask_b32_e64 v1, 0, -1, vcc
	v_cmp_eq_u32_e32 vcc, s31, v21
	v_cmp_ne_u32_e64 s[0:1], 0, v20
	v_cndmask_b32_e32 v1, v26, v1, vcc
	v_cndmask_b32_e64 v20, v29, v27, s[0:1]
	v_cmp_ne_u32_e32 vcc, 0, v1
	v_cndmask_b32_e32 v1, v23, v20, vcc
	v_cndmask_b32_e64 v20, v28, v24, s[0:1]
	v_cndmask_b32_e32 v20, v22, v20, vcc
	v_xor_b32_e32 v21, s8, v25
	v_xor_b32_e32 v20, v20, v21
	v_xor_b32_e32 v1, v1, v21
	v_sub_co_u32_e32 v20, vcc, v20, v21
	v_subb_co_u32_e32 v21, vcc, v1, v21, vcc
                                        ; implicit-def: $vgpr1
.LBB1134_180:
	s_andn2_saveexec_b64 s[0:1], s[4:5]
	s_cbranch_execz .LBB1134_182
; %bb.181:
	v_cvt_f32_u32_e32 v20, s38
	s_sub_i32 s4, 0, s38
	v_rcp_iflag_f32_e32 v20, v20
	v_mul_f32_e32 v20, 0x4f7ffffe, v20
	v_cvt_u32_f32_e32 v20, v20
	v_mul_lo_u32 v21, s4, v20
	v_mul_hi_u32 v21, v20, v21
	v_add_u32_e32 v20, v20, v21
	v_mul_hi_u32 v20, v1, v20
	v_mul_lo_u32 v21, v20, s38
	v_sub_u32_e32 v1, v1, v21
	v_add_u32_e32 v22, 1, v20
	v_subrev_u32_e32 v21, s38, v1
	v_cmp_le_u32_e32 vcc, s38, v1
	v_cndmask_b32_e32 v1, v1, v21, vcc
	v_cndmask_b32_e32 v20, v20, v22, vcc
	v_add_u32_e32 v21, 1, v20
	v_cmp_le_u32_e32 vcc, s38, v1
	v_cndmask_b32_e32 v20, v20, v21, vcc
	v_mov_b32_e32 v21, 0
.LBB1134_182:
	s_or_b64 exec, exec, s[0:1]
.LBB1134_183:
	s_or_b64 exec, exec, s[2:3]
	v_or_b32_e32 v52, 0xa00, v0
	v_cmp_gt_u32_e64 s[8:9], s76, v52
                                        ; implicit-def: $vgpr22_vgpr23
	s_and_saveexec_b64 s[2:3], s[8:9]
	s_cbranch_execz .LBB1134_189
; %bb.184:
	v_mov_b32_e32 v23, s33
	v_add_co_u32_e32 v1, vcc, s7, v52
	v_addc_co_u32_e32 v24, vcc, 0, v23, vcc
	v_mov_b32_e32 v22, 0
	v_or_b32_e32 v23, s39, v24
	v_cmp_ne_u64_e32 vcc, 0, v[22:23]
                                        ; implicit-def: $vgpr22_vgpr23
	s_and_saveexec_b64 s[0:1], vcc
	s_xor_b64 s[4:5], exec, s[0:1]
	s_cbranch_execz .LBB1134_186
; %bb.185:
	s_ashr_i32 s30, s39, 31
	s_add_u32 s0, s38, s30
	s_mov_b32 s31, s30
	s_addc_u32 s1, s39, s30
	s_xor_b64 s[34:35], s[0:1], s[30:31]
	v_cvt_f32_u32_e32 v22, s34
	v_cvt_f32_u32_e32 v23, s35
	s_sub_u32 s0, 0, s34
	s_subb_u32 s1, 0, s35
	v_madmk_f32 v22, v23, 0x4f800000, v22
	v_rcp_f32_e32 v22, v22
	v_mul_f32_e32 v22, 0x5f7ffffc, v22
	v_mul_f32_e32 v23, 0x2f800000, v22
	v_trunc_f32_e32 v23, v23
	v_madmk_f32 v22, v23, 0xcf800000, v22
	v_cvt_u32_f32_e32 v23, v23
	v_cvt_u32_f32_e32 v22, v22
	v_mul_lo_u32 v25, s0, v23
	v_mul_hi_u32 v27, s0, v22
	v_mul_lo_u32 v26, s1, v22
	v_add_u32_e32 v25, v27, v25
	v_mul_lo_u32 v28, s0, v22
	v_add_u32_e32 v25, v25, v26
	v_mul_lo_u32 v27, v22, v25
	v_mul_hi_u32 v29, v22, v28
	v_mul_hi_u32 v26, v22, v25
	v_add_co_u32_e32 v27, vcc, v29, v27
	v_addc_co_u32_e32 v26, vcc, 0, v26, vcc
	v_mul_hi_u32 v30, v23, v28
	v_mul_lo_u32 v28, v23, v28
	v_add_co_u32_e32 v27, vcc, v27, v28
	v_mul_hi_u32 v29, v23, v25
	v_addc_co_u32_e32 v26, vcc, v26, v30, vcc
	v_addc_co_u32_e32 v27, vcc, 0, v29, vcc
	v_mul_lo_u32 v25, v23, v25
	v_add_co_u32_e32 v25, vcc, v26, v25
	v_addc_co_u32_e32 v26, vcc, 0, v27, vcc
	v_add_co_u32_e32 v22, vcc, v22, v25
	v_addc_co_u32_e32 v23, vcc, v23, v26, vcc
	v_mul_lo_u32 v25, s0, v23
	v_mul_hi_u32 v26, s0, v22
	v_add_u32_e32 v25, v26, v25
	v_mul_lo_u32 v26, s1, v22
	v_add_u32_e32 v25, v25, v26
	v_mul_lo_u32 v27, s0, v22
	v_mul_hi_u32 v28, v23, v27
	v_mul_lo_u32 v29, v23, v27
	v_mul_lo_u32 v31, v22, v25
	v_mul_hi_u32 v27, v22, v27
	v_mul_hi_u32 v30, v22, v25
	v_add_co_u32_e32 v27, vcc, v27, v31
	v_addc_co_u32_e32 v30, vcc, 0, v30, vcc
	v_add_co_u32_e32 v27, vcc, v27, v29
	v_mul_hi_u32 v26, v23, v25
	v_addc_co_u32_e32 v27, vcc, v30, v28, vcc
	v_addc_co_u32_e32 v26, vcc, 0, v26, vcc
	v_mul_lo_u32 v25, v23, v25
	v_add_co_u32_e32 v25, vcc, v27, v25
	v_addc_co_u32_e32 v26, vcc, 0, v26, vcc
	v_add_co_u32_e32 v25, vcc, v22, v25
	v_addc_co_u32_e32 v26, vcc, v23, v26, vcc
	v_ashrrev_i32_e32 v27, 31, v24
	v_add_co_u32_e32 v1, vcc, v1, v27
	v_addc_co_u32_e32 v22, vcc, v24, v27, vcc
	v_xor_b32_e32 v1, v1, v27
	v_xor_b32_e32 v28, v22, v27
	v_mad_u64_u32 v[22:23], s[0:1], v1, v26, 0
	v_mul_hi_u32 v24, v1, v25
	v_add_co_u32_e32 v29, vcc, v24, v22
	v_addc_co_u32_e32 v30, vcc, 0, v23, vcc
	v_mad_u64_u32 v[24:25], s[0:1], v28, v25, 0
	v_add_co_u32_e32 v24, vcc, v29, v24
	v_mad_u64_u32 v[22:23], s[0:1], v28, v26, 0
	v_addc_co_u32_e32 v24, vcc, v30, v25, vcc
	v_addc_co_u32_e32 v23, vcc, 0, v23, vcc
	v_add_co_u32_e32 v24, vcc, v24, v22
	v_addc_co_u32_e32 v25, vcc, 0, v23, vcc
	v_mul_lo_u32 v26, s35, v24
	v_mul_lo_u32 v29, s34, v25
	v_mad_u64_u32 v[22:23], s[0:1], s34, v24, 0
	v_add3_u32 v23, v23, v29, v26
	v_sub_u32_e32 v26, v28, v23
	v_mov_b32_e32 v29, s35
	v_sub_co_u32_e32 v1, vcc, v1, v22
	v_subb_co_u32_e64 v22, s[0:1], v26, v29, vcc
	v_subrev_co_u32_e64 v26, s[0:1], s34, v1
	v_subbrev_co_u32_e64 v22, s[0:1], 0, v22, s[0:1]
	v_cmp_le_u32_e64 s[0:1], s35, v22
	v_cndmask_b32_e64 v29, 0, -1, s[0:1]
	v_cmp_le_u32_e64 s[0:1], s34, v26
	v_cndmask_b32_e64 v26, 0, -1, s[0:1]
	v_cmp_eq_u32_e64 s[0:1], s35, v22
	v_cndmask_b32_e64 v22, v29, v26, s[0:1]
	v_add_co_u32_e64 v26, s[0:1], 2, v24
	v_subb_co_u32_e32 v23, vcc, v28, v23, vcc
	v_addc_co_u32_e64 v29, s[0:1], 0, v25, s[0:1]
	v_cmp_le_u32_e32 vcc, s35, v23
	v_add_co_u32_e64 v30, s[0:1], 1, v24
	v_cndmask_b32_e64 v28, 0, -1, vcc
	v_cmp_le_u32_e32 vcc, s34, v1
	v_addc_co_u32_e64 v31, s[0:1], 0, v25, s[0:1]
	v_cndmask_b32_e64 v1, 0, -1, vcc
	v_cmp_eq_u32_e32 vcc, s35, v23
	v_cmp_ne_u32_e64 s[0:1], 0, v22
	v_cndmask_b32_e32 v1, v28, v1, vcc
	v_cndmask_b32_e64 v22, v31, v29, s[0:1]
	v_cmp_ne_u32_e32 vcc, 0, v1
	v_cndmask_b32_e32 v1, v25, v22, vcc
	v_cndmask_b32_e64 v22, v30, v26, s[0:1]
	v_cndmask_b32_e32 v22, v24, v22, vcc
	v_xor_b32_e32 v23, s30, v27
	v_xor_b32_e32 v22, v22, v23
	;; [unrolled: 1-line block ×3, first 2 shown]
	v_sub_co_u32_e32 v22, vcc, v22, v23
	v_subb_co_u32_e32 v23, vcc, v1, v23, vcc
                                        ; implicit-def: $vgpr1
.LBB1134_186:
	s_andn2_saveexec_b64 s[0:1], s[4:5]
	s_cbranch_execz .LBB1134_188
; %bb.187:
	v_cvt_f32_u32_e32 v22, s38
	s_sub_i32 s4, 0, s38
	v_rcp_iflag_f32_e32 v22, v22
	v_mul_f32_e32 v22, 0x4f7ffffe, v22
	v_cvt_u32_f32_e32 v22, v22
	v_mul_lo_u32 v23, s4, v22
	v_mul_hi_u32 v23, v22, v23
	v_add_u32_e32 v22, v22, v23
	v_mul_hi_u32 v22, v1, v22
	v_mul_lo_u32 v23, v22, s38
	v_sub_u32_e32 v1, v1, v23
	v_add_u32_e32 v24, 1, v22
	v_subrev_u32_e32 v23, s38, v1
	v_cmp_le_u32_e32 vcc, s38, v1
	v_cndmask_b32_e32 v1, v1, v23, vcc
	v_cndmask_b32_e32 v22, v22, v24, vcc
	v_add_u32_e32 v23, 1, v22
	v_cmp_le_u32_e32 vcc, s38, v1
	v_cndmask_b32_e32 v22, v22, v23, vcc
	v_mov_b32_e32 v23, 0
.LBB1134_188:
	s_or_b64 exec, exec, s[0:1]
.LBB1134_189:
	s_or_b64 exec, exec, s[2:3]
	v_or_b32_e32 v54, 0xb00, v0
	v_cmp_gt_u32_e64 s[30:31], s76, v54
                                        ; implicit-def: $vgpr24_vgpr25
	s_and_saveexec_b64 s[2:3], s[30:31]
	s_cbranch_execz .LBB1134_195
; %bb.190:
	v_mov_b32_e32 v25, s33
	v_add_co_u32_e32 v1, vcc, s7, v54
	v_addc_co_u32_e32 v26, vcc, 0, v25, vcc
	v_mov_b32_e32 v24, 0
	v_or_b32_e32 v25, s39, v26
	v_cmp_ne_u64_e32 vcc, 0, v[24:25]
                                        ; implicit-def: $vgpr24_vgpr25
	s_and_saveexec_b64 s[0:1], vcc
	s_xor_b64 s[4:5], exec, s[0:1]
	s_cbranch_execz .LBB1134_192
; %bb.191:
	s_ashr_i32 s34, s39, 31
	s_add_u32 s0, s38, s34
	s_mov_b32 s35, s34
	s_addc_u32 s1, s39, s34
	s_xor_b64 s[62:63], s[0:1], s[34:35]
	v_cvt_f32_u32_e32 v24, s62
	v_cvt_f32_u32_e32 v25, s63
	s_sub_u32 s0, 0, s62
	s_subb_u32 s1, 0, s63
	v_madmk_f32 v24, v25, 0x4f800000, v24
	v_rcp_f32_e32 v24, v24
	v_mul_f32_e32 v24, 0x5f7ffffc, v24
	v_mul_f32_e32 v25, 0x2f800000, v24
	v_trunc_f32_e32 v25, v25
	v_madmk_f32 v24, v25, 0xcf800000, v24
	v_cvt_u32_f32_e32 v25, v25
	v_cvt_u32_f32_e32 v24, v24
	v_mul_lo_u32 v27, s0, v25
	v_mul_hi_u32 v29, s0, v24
	v_mul_lo_u32 v28, s1, v24
	v_add_u32_e32 v27, v29, v27
	v_mul_lo_u32 v30, s0, v24
	v_add_u32_e32 v27, v27, v28
	v_mul_lo_u32 v29, v24, v27
	v_mul_hi_u32 v31, v24, v30
	v_mul_hi_u32 v28, v24, v27
	v_add_co_u32_e32 v29, vcc, v31, v29
	v_addc_co_u32_e32 v28, vcc, 0, v28, vcc
	v_mul_hi_u32 v32, v25, v30
	v_mul_lo_u32 v30, v25, v30
	v_add_co_u32_e32 v29, vcc, v29, v30
	v_mul_hi_u32 v31, v25, v27
	v_addc_co_u32_e32 v28, vcc, v28, v32, vcc
	v_addc_co_u32_e32 v29, vcc, 0, v31, vcc
	v_mul_lo_u32 v27, v25, v27
	v_add_co_u32_e32 v27, vcc, v28, v27
	v_addc_co_u32_e32 v28, vcc, 0, v29, vcc
	v_add_co_u32_e32 v24, vcc, v24, v27
	v_addc_co_u32_e32 v25, vcc, v25, v28, vcc
	v_mul_lo_u32 v27, s0, v25
	v_mul_hi_u32 v28, s0, v24
	v_add_u32_e32 v27, v28, v27
	v_mul_lo_u32 v28, s1, v24
	v_add_u32_e32 v27, v27, v28
	v_mul_lo_u32 v29, s0, v24
	v_mul_hi_u32 v30, v25, v29
	v_mul_lo_u32 v31, v25, v29
	v_mul_lo_u32 v33, v24, v27
	v_mul_hi_u32 v29, v24, v29
	v_mul_hi_u32 v32, v24, v27
	v_add_co_u32_e32 v29, vcc, v29, v33
	v_addc_co_u32_e32 v32, vcc, 0, v32, vcc
	v_add_co_u32_e32 v29, vcc, v29, v31
	v_mul_hi_u32 v28, v25, v27
	v_addc_co_u32_e32 v29, vcc, v32, v30, vcc
	v_addc_co_u32_e32 v28, vcc, 0, v28, vcc
	v_mul_lo_u32 v27, v25, v27
	v_add_co_u32_e32 v27, vcc, v29, v27
	v_addc_co_u32_e32 v28, vcc, 0, v28, vcc
	v_add_co_u32_e32 v27, vcc, v24, v27
	v_addc_co_u32_e32 v28, vcc, v25, v28, vcc
	v_ashrrev_i32_e32 v29, 31, v26
	v_add_co_u32_e32 v1, vcc, v1, v29
	v_addc_co_u32_e32 v24, vcc, v26, v29, vcc
	v_xor_b32_e32 v1, v1, v29
	v_xor_b32_e32 v30, v24, v29
	v_mad_u64_u32 v[24:25], s[0:1], v1, v28, 0
	v_mul_hi_u32 v26, v1, v27
	v_add_co_u32_e32 v31, vcc, v26, v24
	v_addc_co_u32_e32 v32, vcc, 0, v25, vcc
	v_mad_u64_u32 v[26:27], s[0:1], v30, v27, 0
	v_add_co_u32_e32 v26, vcc, v31, v26
	v_mad_u64_u32 v[24:25], s[0:1], v30, v28, 0
	v_addc_co_u32_e32 v26, vcc, v32, v27, vcc
	v_addc_co_u32_e32 v25, vcc, 0, v25, vcc
	v_add_co_u32_e32 v26, vcc, v26, v24
	v_addc_co_u32_e32 v27, vcc, 0, v25, vcc
	v_mul_lo_u32 v28, s63, v26
	v_mul_lo_u32 v31, s62, v27
	v_mad_u64_u32 v[24:25], s[0:1], s62, v26, 0
	v_add3_u32 v25, v25, v31, v28
	v_sub_u32_e32 v28, v30, v25
	v_mov_b32_e32 v31, s63
	v_sub_co_u32_e32 v1, vcc, v1, v24
	v_subb_co_u32_e64 v24, s[0:1], v28, v31, vcc
	v_subrev_co_u32_e64 v28, s[0:1], s62, v1
	v_subbrev_co_u32_e64 v24, s[0:1], 0, v24, s[0:1]
	v_cmp_le_u32_e64 s[0:1], s63, v24
	v_cndmask_b32_e64 v31, 0, -1, s[0:1]
	v_cmp_le_u32_e64 s[0:1], s62, v28
	v_cndmask_b32_e64 v28, 0, -1, s[0:1]
	v_cmp_eq_u32_e64 s[0:1], s63, v24
	v_cndmask_b32_e64 v24, v31, v28, s[0:1]
	v_add_co_u32_e64 v28, s[0:1], 2, v26
	v_subb_co_u32_e32 v25, vcc, v30, v25, vcc
	v_addc_co_u32_e64 v31, s[0:1], 0, v27, s[0:1]
	v_cmp_le_u32_e32 vcc, s63, v25
	v_add_co_u32_e64 v32, s[0:1], 1, v26
	v_cndmask_b32_e64 v30, 0, -1, vcc
	v_cmp_le_u32_e32 vcc, s62, v1
	v_addc_co_u32_e64 v33, s[0:1], 0, v27, s[0:1]
	v_cndmask_b32_e64 v1, 0, -1, vcc
	v_cmp_eq_u32_e32 vcc, s63, v25
	v_cmp_ne_u32_e64 s[0:1], 0, v24
	v_cndmask_b32_e32 v1, v30, v1, vcc
	v_cndmask_b32_e64 v24, v33, v31, s[0:1]
	v_cmp_ne_u32_e32 vcc, 0, v1
	v_cndmask_b32_e32 v1, v27, v24, vcc
	v_cndmask_b32_e64 v24, v32, v28, s[0:1]
	v_cndmask_b32_e32 v24, v26, v24, vcc
	v_xor_b32_e32 v25, s34, v29
	v_xor_b32_e32 v24, v24, v25
	;; [unrolled: 1-line block ×3, first 2 shown]
	v_sub_co_u32_e32 v24, vcc, v24, v25
	v_subb_co_u32_e32 v25, vcc, v1, v25, vcc
                                        ; implicit-def: $vgpr1
.LBB1134_192:
	s_andn2_saveexec_b64 s[0:1], s[4:5]
	s_cbranch_execz .LBB1134_194
; %bb.193:
	v_cvt_f32_u32_e32 v24, s38
	s_sub_i32 s4, 0, s38
	v_rcp_iflag_f32_e32 v24, v24
	v_mul_f32_e32 v24, 0x4f7ffffe, v24
	v_cvt_u32_f32_e32 v24, v24
	v_mul_lo_u32 v25, s4, v24
	v_mul_hi_u32 v25, v24, v25
	v_add_u32_e32 v24, v24, v25
	v_mul_hi_u32 v24, v1, v24
	v_mul_lo_u32 v25, v24, s38
	v_sub_u32_e32 v1, v1, v25
	v_add_u32_e32 v26, 1, v24
	v_subrev_u32_e32 v25, s38, v1
	v_cmp_le_u32_e32 vcc, s38, v1
	v_cndmask_b32_e32 v1, v1, v25, vcc
	v_cndmask_b32_e32 v24, v24, v26, vcc
	v_add_u32_e32 v25, 1, v24
	v_cmp_le_u32_e32 vcc, s38, v1
	v_cndmask_b32_e32 v24, v24, v25, vcc
	v_mov_b32_e32 v25, 0
.LBB1134_194:
	s_or_b64 exec, exec, s[0:1]
.LBB1134_195:
	s_or_b64 exec, exec, s[2:3]
	v_or_b32_e32 v56, 0xc00, v0
	v_cmp_gt_u32_e64 s[4:5], s76, v56
                                        ; implicit-def: $vgpr26_vgpr27
	s_and_saveexec_b64 s[2:3], s[4:5]
	s_cbranch_execz .LBB1134_201
; %bb.196:
	v_mov_b32_e32 v27, s33
	v_add_co_u32_e32 v1, vcc, s7, v56
	v_addc_co_u32_e32 v28, vcc, 0, v27, vcc
	v_mov_b32_e32 v26, 0
	v_or_b32_e32 v27, s39, v28
	v_cmp_ne_u64_e32 vcc, 0, v[26:27]
                                        ; implicit-def: $vgpr26_vgpr27
	s_and_saveexec_b64 s[0:1], vcc
	s_xor_b64 s[34:35], exec, s[0:1]
	s_cbranch_execz .LBB1134_198
; %bb.197:
	s_ashr_i32 s62, s39, 31
	s_add_u32 s0, s38, s62
	s_mov_b32 s63, s62
	s_addc_u32 s1, s39, s62
	s_xor_b64 s[68:69], s[0:1], s[62:63]
	v_cvt_f32_u32_e32 v26, s68
	v_cvt_f32_u32_e32 v27, s69
	s_sub_u32 s0, 0, s68
	s_subb_u32 s1, 0, s69
	v_madmk_f32 v26, v27, 0x4f800000, v26
	v_rcp_f32_e32 v26, v26
	v_mul_f32_e32 v26, 0x5f7ffffc, v26
	v_mul_f32_e32 v27, 0x2f800000, v26
	v_trunc_f32_e32 v27, v27
	v_madmk_f32 v26, v27, 0xcf800000, v26
	v_cvt_u32_f32_e32 v27, v27
	v_cvt_u32_f32_e32 v26, v26
	v_mul_lo_u32 v29, s0, v27
	v_mul_hi_u32 v31, s0, v26
	v_mul_lo_u32 v30, s1, v26
	v_add_u32_e32 v29, v31, v29
	v_mul_lo_u32 v32, s0, v26
	v_add_u32_e32 v29, v29, v30
	v_mul_lo_u32 v31, v26, v29
	v_mul_hi_u32 v33, v26, v32
	v_mul_hi_u32 v30, v26, v29
	v_add_co_u32_e32 v31, vcc, v33, v31
	v_addc_co_u32_e32 v30, vcc, 0, v30, vcc
	v_mul_hi_u32 v35, v27, v32
	v_mul_lo_u32 v32, v27, v32
	v_add_co_u32_e32 v31, vcc, v31, v32
	v_mul_hi_u32 v33, v27, v29
	v_addc_co_u32_e32 v30, vcc, v30, v35, vcc
	v_addc_co_u32_e32 v31, vcc, 0, v33, vcc
	v_mul_lo_u32 v29, v27, v29
	v_add_co_u32_e32 v29, vcc, v30, v29
	v_addc_co_u32_e32 v30, vcc, 0, v31, vcc
	v_add_co_u32_e32 v26, vcc, v26, v29
	v_addc_co_u32_e32 v27, vcc, v27, v30, vcc
	v_mul_lo_u32 v29, s0, v27
	v_mul_hi_u32 v30, s0, v26
	v_add_u32_e32 v29, v30, v29
	v_mul_lo_u32 v30, s1, v26
	v_add_u32_e32 v29, v29, v30
	v_mul_lo_u32 v31, s0, v26
	v_mul_hi_u32 v32, v27, v31
	v_mul_lo_u32 v33, v27, v31
	v_mul_lo_u32 v37, v26, v29
	v_mul_hi_u32 v31, v26, v31
	v_mul_hi_u32 v35, v26, v29
	v_add_co_u32_e32 v31, vcc, v31, v37
	v_addc_co_u32_e32 v35, vcc, 0, v35, vcc
	v_add_co_u32_e32 v31, vcc, v31, v33
	v_mul_hi_u32 v30, v27, v29
	v_addc_co_u32_e32 v31, vcc, v35, v32, vcc
	v_addc_co_u32_e32 v30, vcc, 0, v30, vcc
	v_mul_lo_u32 v29, v27, v29
	v_add_co_u32_e32 v29, vcc, v31, v29
	v_addc_co_u32_e32 v30, vcc, 0, v30, vcc
	v_add_co_u32_e32 v29, vcc, v26, v29
	v_addc_co_u32_e32 v30, vcc, v27, v30, vcc
	v_ashrrev_i32_e32 v31, 31, v28
	v_add_co_u32_e32 v1, vcc, v1, v31
	v_addc_co_u32_e32 v26, vcc, v28, v31, vcc
	v_xor_b32_e32 v1, v1, v31
	v_xor_b32_e32 v32, v26, v31
	v_mad_u64_u32 v[26:27], s[0:1], v1, v30, 0
	v_mul_hi_u32 v28, v1, v29
	v_add_co_u32_e32 v33, vcc, v28, v26
	v_addc_co_u32_e32 v35, vcc, 0, v27, vcc
	v_mad_u64_u32 v[28:29], s[0:1], v32, v29, 0
	v_add_co_u32_e32 v28, vcc, v33, v28
	v_mad_u64_u32 v[26:27], s[0:1], v32, v30, 0
	v_addc_co_u32_e32 v28, vcc, v35, v29, vcc
	v_addc_co_u32_e32 v27, vcc, 0, v27, vcc
	v_add_co_u32_e32 v28, vcc, v28, v26
	v_addc_co_u32_e32 v29, vcc, 0, v27, vcc
	v_mul_lo_u32 v30, s69, v28
	v_mul_lo_u32 v33, s68, v29
	v_mad_u64_u32 v[26:27], s[0:1], s68, v28, 0
	v_add3_u32 v27, v27, v33, v30
	v_sub_u32_e32 v30, v32, v27
	v_mov_b32_e32 v33, s69
	v_sub_co_u32_e32 v1, vcc, v1, v26
	v_subb_co_u32_e64 v26, s[0:1], v30, v33, vcc
	v_subrev_co_u32_e64 v30, s[0:1], s68, v1
	v_subbrev_co_u32_e64 v26, s[0:1], 0, v26, s[0:1]
	v_cmp_le_u32_e64 s[0:1], s69, v26
	v_cndmask_b32_e64 v33, 0, -1, s[0:1]
	v_cmp_le_u32_e64 s[0:1], s68, v30
	v_cndmask_b32_e64 v30, 0, -1, s[0:1]
	v_cmp_eq_u32_e64 s[0:1], s69, v26
	v_cndmask_b32_e64 v26, v33, v30, s[0:1]
	v_add_co_u32_e64 v30, s[0:1], 2, v28
	v_subb_co_u32_e32 v27, vcc, v32, v27, vcc
	v_addc_co_u32_e64 v33, s[0:1], 0, v29, s[0:1]
	v_cmp_le_u32_e32 vcc, s69, v27
	v_add_co_u32_e64 v35, s[0:1], 1, v28
	v_cndmask_b32_e64 v32, 0, -1, vcc
	v_cmp_le_u32_e32 vcc, s68, v1
	v_addc_co_u32_e64 v37, s[0:1], 0, v29, s[0:1]
	v_cndmask_b32_e64 v1, 0, -1, vcc
	v_cmp_eq_u32_e32 vcc, s69, v27
	v_cmp_ne_u32_e64 s[0:1], 0, v26
	v_cndmask_b32_e32 v1, v32, v1, vcc
	v_cndmask_b32_e64 v26, v37, v33, s[0:1]
	v_cmp_ne_u32_e32 vcc, 0, v1
	v_cndmask_b32_e32 v1, v29, v26, vcc
	v_cndmask_b32_e64 v26, v35, v30, s[0:1]
	v_cndmask_b32_e32 v26, v28, v26, vcc
	v_xor_b32_e32 v27, s62, v31
	v_xor_b32_e32 v26, v26, v27
	;; [unrolled: 1-line block ×3, first 2 shown]
	v_sub_co_u32_e32 v26, vcc, v26, v27
	v_subb_co_u32_e32 v27, vcc, v1, v27, vcc
                                        ; implicit-def: $vgpr1
.LBB1134_198:
	s_andn2_saveexec_b64 s[0:1], s[34:35]
	s_cbranch_execz .LBB1134_200
; %bb.199:
	v_cvt_f32_u32_e32 v26, s38
	s_sub_i32 s34, 0, s38
	v_rcp_iflag_f32_e32 v26, v26
	v_mul_f32_e32 v26, 0x4f7ffffe, v26
	v_cvt_u32_f32_e32 v26, v26
	v_mul_lo_u32 v27, s34, v26
	v_mul_hi_u32 v27, v26, v27
	v_add_u32_e32 v26, v26, v27
	v_mul_hi_u32 v26, v1, v26
	v_mul_lo_u32 v27, v26, s38
	v_sub_u32_e32 v1, v1, v27
	v_add_u32_e32 v28, 1, v26
	v_subrev_u32_e32 v27, s38, v1
	v_cmp_le_u32_e32 vcc, s38, v1
	v_cndmask_b32_e32 v1, v1, v27, vcc
	v_cndmask_b32_e32 v26, v26, v28, vcc
	v_add_u32_e32 v27, 1, v26
	v_cmp_le_u32_e32 vcc, s38, v1
	v_cndmask_b32_e32 v26, v26, v27, vcc
	v_mov_b32_e32 v27, 0
.LBB1134_200:
	s_or_b64 exec, exec, s[0:1]
.LBB1134_201:
	s_or_b64 exec, exec, s[2:3]
	v_or_b32_e32 v58, 0xd00, v0
	v_cmp_gt_u32_e64 s[2:3], s76, v58
                                        ; implicit-def: $vgpr28_vgpr29
	s_and_saveexec_b64 s[34:35], s[2:3]
	s_cbranch_execz .LBB1134_207
; %bb.202:
	v_mov_b32_e32 v29, s33
	v_add_co_u32_e32 v1, vcc, s7, v58
	v_addc_co_u32_e32 v30, vcc, 0, v29, vcc
	v_mov_b32_e32 v28, 0
	v_or_b32_e32 v29, s39, v30
	v_cmp_ne_u64_e32 vcc, 0, v[28:29]
                                        ; implicit-def: $vgpr28_vgpr29
	s_and_saveexec_b64 s[0:1], vcc
	s_xor_b64 s[62:63], exec, s[0:1]
	s_cbranch_execz .LBB1134_204
; %bb.203:
	s_ashr_i32 s68, s39, 31
	s_add_u32 s0, s38, s68
	s_mov_b32 s69, s68
	s_addc_u32 s1, s39, s68
	s_xor_b64 s[70:71], s[0:1], s[68:69]
	v_cvt_f32_u32_e32 v28, s70
	v_cvt_f32_u32_e32 v29, s71
	s_sub_u32 s0, 0, s70
	s_subb_u32 s1, 0, s71
	v_madmk_f32 v28, v29, 0x4f800000, v28
	v_rcp_f32_e32 v28, v28
	v_mul_f32_e32 v28, 0x5f7ffffc, v28
	v_mul_f32_e32 v29, 0x2f800000, v28
	v_trunc_f32_e32 v29, v29
	v_madmk_f32 v28, v29, 0xcf800000, v28
	v_cvt_u32_f32_e32 v29, v29
	v_cvt_u32_f32_e32 v28, v28
	v_mul_lo_u32 v31, s0, v29
	v_mul_hi_u32 v33, s0, v28
	v_mul_lo_u32 v32, s1, v28
	v_add_u32_e32 v31, v33, v31
	v_mul_lo_u32 v35, s0, v28
	v_add_u32_e32 v31, v31, v32
	v_mul_lo_u32 v33, v28, v31
	v_mul_hi_u32 v37, v28, v35
	v_mul_hi_u32 v32, v28, v31
	v_add_co_u32_e32 v33, vcc, v37, v33
	v_addc_co_u32_e32 v32, vcc, 0, v32, vcc
	v_mul_hi_u32 v39, v29, v35
	v_mul_lo_u32 v35, v29, v35
	v_add_co_u32_e32 v33, vcc, v33, v35
	v_mul_hi_u32 v37, v29, v31
	v_addc_co_u32_e32 v32, vcc, v32, v39, vcc
	v_addc_co_u32_e32 v33, vcc, 0, v37, vcc
	v_mul_lo_u32 v31, v29, v31
	v_add_co_u32_e32 v31, vcc, v32, v31
	v_addc_co_u32_e32 v32, vcc, 0, v33, vcc
	v_add_co_u32_e32 v28, vcc, v28, v31
	v_addc_co_u32_e32 v29, vcc, v29, v32, vcc
	v_mul_lo_u32 v31, s0, v29
	v_mul_hi_u32 v32, s0, v28
	v_add_u32_e32 v31, v32, v31
	v_mul_lo_u32 v32, s1, v28
	v_add_u32_e32 v31, v31, v32
	v_mul_lo_u32 v33, s0, v28
	v_mul_hi_u32 v35, v29, v33
	v_mul_lo_u32 v37, v29, v33
	v_mul_lo_u32 v41, v28, v31
	v_mul_hi_u32 v33, v28, v33
	v_mul_hi_u32 v39, v28, v31
	v_add_co_u32_e32 v33, vcc, v33, v41
	v_addc_co_u32_e32 v39, vcc, 0, v39, vcc
	v_add_co_u32_e32 v33, vcc, v33, v37
	v_mul_hi_u32 v32, v29, v31
	v_addc_co_u32_e32 v33, vcc, v39, v35, vcc
	v_addc_co_u32_e32 v32, vcc, 0, v32, vcc
	v_mul_lo_u32 v31, v29, v31
	v_add_co_u32_e32 v31, vcc, v33, v31
	v_addc_co_u32_e32 v32, vcc, 0, v32, vcc
	v_add_co_u32_e32 v31, vcc, v28, v31
	v_addc_co_u32_e32 v32, vcc, v29, v32, vcc
	v_ashrrev_i32_e32 v33, 31, v30
	v_add_co_u32_e32 v1, vcc, v1, v33
	v_addc_co_u32_e32 v28, vcc, v30, v33, vcc
	v_xor_b32_e32 v1, v1, v33
	v_xor_b32_e32 v35, v28, v33
	v_mad_u64_u32 v[28:29], s[0:1], v1, v32, 0
	v_mul_hi_u32 v30, v1, v31
	v_add_co_u32_e32 v37, vcc, v30, v28
	v_addc_co_u32_e32 v39, vcc, 0, v29, vcc
	v_mad_u64_u32 v[30:31], s[0:1], v35, v31, 0
	v_add_co_u32_e32 v30, vcc, v37, v30
	v_mad_u64_u32 v[28:29], s[0:1], v35, v32, 0
	v_addc_co_u32_e32 v30, vcc, v39, v31, vcc
	v_addc_co_u32_e32 v29, vcc, 0, v29, vcc
	v_add_co_u32_e32 v30, vcc, v30, v28
	v_addc_co_u32_e32 v31, vcc, 0, v29, vcc
	v_mul_lo_u32 v32, s71, v30
	v_mul_lo_u32 v37, s70, v31
	v_mad_u64_u32 v[28:29], s[0:1], s70, v30, 0
	v_add3_u32 v29, v29, v37, v32
	v_sub_u32_e32 v32, v35, v29
	v_mov_b32_e32 v37, s71
	v_sub_co_u32_e32 v1, vcc, v1, v28
	v_subb_co_u32_e64 v28, s[0:1], v32, v37, vcc
	v_subrev_co_u32_e64 v32, s[0:1], s70, v1
	v_subbrev_co_u32_e64 v28, s[0:1], 0, v28, s[0:1]
	v_cmp_le_u32_e64 s[0:1], s71, v28
	v_cndmask_b32_e64 v37, 0, -1, s[0:1]
	v_cmp_le_u32_e64 s[0:1], s70, v32
	v_cndmask_b32_e64 v32, 0, -1, s[0:1]
	v_cmp_eq_u32_e64 s[0:1], s71, v28
	v_cndmask_b32_e64 v28, v37, v32, s[0:1]
	v_add_co_u32_e64 v32, s[0:1], 2, v30
	v_subb_co_u32_e32 v29, vcc, v35, v29, vcc
	v_addc_co_u32_e64 v37, s[0:1], 0, v31, s[0:1]
	v_cmp_le_u32_e32 vcc, s71, v29
	v_add_co_u32_e64 v39, s[0:1], 1, v30
	v_cndmask_b32_e64 v35, 0, -1, vcc
	v_cmp_le_u32_e32 vcc, s70, v1
	v_addc_co_u32_e64 v41, s[0:1], 0, v31, s[0:1]
	v_cndmask_b32_e64 v1, 0, -1, vcc
	v_cmp_eq_u32_e32 vcc, s71, v29
	v_cmp_ne_u32_e64 s[0:1], 0, v28
	v_cndmask_b32_e32 v1, v35, v1, vcc
	v_cndmask_b32_e64 v28, v41, v37, s[0:1]
	v_cmp_ne_u32_e32 vcc, 0, v1
	v_cndmask_b32_e32 v1, v31, v28, vcc
	v_cndmask_b32_e64 v28, v39, v32, s[0:1]
	v_cndmask_b32_e32 v28, v30, v28, vcc
	v_xor_b32_e32 v29, s68, v33
	v_xor_b32_e32 v28, v28, v29
	;; [unrolled: 1-line block ×3, first 2 shown]
	v_sub_co_u32_e32 v28, vcc, v28, v29
	v_subb_co_u32_e32 v29, vcc, v1, v29, vcc
                                        ; implicit-def: $vgpr1
.LBB1134_204:
	s_andn2_saveexec_b64 s[0:1], s[62:63]
	s_cbranch_execz .LBB1134_206
; %bb.205:
	v_cvt_f32_u32_e32 v28, s38
	s_sub_i32 s62, 0, s38
	v_rcp_iflag_f32_e32 v28, v28
	v_mul_f32_e32 v28, 0x4f7ffffe, v28
	v_cvt_u32_f32_e32 v28, v28
	v_mul_lo_u32 v29, s62, v28
	v_mul_hi_u32 v29, v28, v29
	v_add_u32_e32 v28, v28, v29
	v_mul_hi_u32 v28, v1, v28
	v_mul_lo_u32 v29, v28, s38
	v_sub_u32_e32 v1, v1, v29
	v_add_u32_e32 v30, 1, v28
	v_subrev_u32_e32 v29, s38, v1
	v_cmp_le_u32_e32 vcc, s38, v1
	v_cndmask_b32_e32 v1, v1, v29, vcc
	v_cndmask_b32_e32 v28, v28, v30, vcc
	v_add_u32_e32 v29, 1, v28
	v_cmp_le_u32_e32 vcc, s38, v1
	v_cndmask_b32_e32 v28, v28, v29, vcc
	v_mov_b32_e32 v29, 0
.LBB1134_206:
	s_or_b64 exec, exec, s[0:1]
.LBB1134_207:
	s_or_b64 exec, exec, s[34:35]
	v_or_b32_e32 v60, 0xe00, v0
	v_cmp_gt_u32_e64 s[0:1], s76, v60
                                        ; implicit-def: $vgpr30_vgpr31
	s_and_saveexec_b64 s[62:63], s[0:1]
	s_cbranch_execz .LBB1134_213
; %bb.208:
	v_mov_b32_e32 v31, s33
	v_add_co_u32_e32 v1, vcc, s7, v60
	v_addc_co_u32_e32 v32, vcc, 0, v31, vcc
	v_mov_b32_e32 v30, 0
	v_or_b32_e32 v31, s39, v32
	v_cmp_ne_u64_e32 vcc, 0, v[30:31]
                                        ; implicit-def: $vgpr30_vgpr31
	s_and_saveexec_b64 s[34:35], vcc
	s_xor_b64 s[68:69], exec, s[34:35]
	s_cbranch_execz .LBB1134_210
; %bb.209:
	s_ashr_i32 s70, s39, 31
	s_add_u32 s34, s38, s70
	s_mov_b32 s71, s70
	s_addc_u32 s35, s39, s70
	s_xor_b64 s[72:73], s[34:35], s[70:71]
	v_cvt_f32_u32_e32 v30, s72
	v_cvt_f32_u32_e32 v31, s73
	s_sub_u32 s34, 0, s72
	s_subb_u32 s35, 0, s73
	v_madmk_f32 v30, v31, 0x4f800000, v30
	v_rcp_f32_e32 v30, v30
	v_mul_f32_e32 v30, 0x5f7ffffc, v30
	v_mul_f32_e32 v31, 0x2f800000, v30
	v_trunc_f32_e32 v31, v31
	v_madmk_f32 v30, v31, 0xcf800000, v30
	v_cvt_u32_f32_e32 v31, v31
	v_cvt_u32_f32_e32 v30, v30
	v_mul_lo_u32 v33, s34, v31
	v_mul_hi_u32 v37, s34, v30
	v_mul_lo_u32 v35, s35, v30
	v_add_u32_e32 v33, v37, v33
	v_mul_lo_u32 v39, s34, v30
	v_add_u32_e32 v33, v33, v35
	v_mul_lo_u32 v37, v30, v33
	v_mul_hi_u32 v41, v30, v39
	v_mul_hi_u32 v35, v30, v33
	v_add_co_u32_e32 v37, vcc, v41, v37
	v_addc_co_u32_e32 v35, vcc, 0, v35, vcc
	v_mul_hi_u32 v43, v31, v39
	v_mul_lo_u32 v39, v31, v39
	v_add_co_u32_e32 v37, vcc, v37, v39
	v_mul_hi_u32 v41, v31, v33
	v_addc_co_u32_e32 v35, vcc, v35, v43, vcc
	v_addc_co_u32_e32 v37, vcc, 0, v41, vcc
	v_mul_lo_u32 v33, v31, v33
	v_add_co_u32_e32 v33, vcc, v35, v33
	v_addc_co_u32_e32 v35, vcc, 0, v37, vcc
	v_add_co_u32_e32 v30, vcc, v30, v33
	v_addc_co_u32_e32 v31, vcc, v31, v35, vcc
	v_mul_lo_u32 v33, s34, v31
	v_mul_hi_u32 v35, s34, v30
	v_add_u32_e32 v33, v35, v33
	v_mul_lo_u32 v35, s35, v30
	v_add_u32_e32 v33, v33, v35
	v_mul_lo_u32 v37, s34, v30
	v_mul_hi_u32 v39, v31, v37
	v_mul_lo_u32 v41, v31, v37
	v_mul_lo_u32 v45, v30, v33
	v_mul_hi_u32 v37, v30, v37
	v_mul_hi_u32 v43, v30, v33
	v_add_co_u32_e32 v37, vcc, v37, v45
	v_addc_co_u32_e32 v43, vcc, 0, v43, vcc
	v_add_co_u32_e32 v37, vcc, v37, v41
	v_mul_hi_u32 v35, v31, v33
	v_addc_co_u32_e32 v37, vcc, v43, v39, vcc
	v_addc_co_u32_e32 v35, vcc, 0, v35, vcc
	v_mul_lo_u32 v33, v31, v33
	v_add_co_u32_e32 v33, vcc, v37, v33
	v_addc_co_u32_e32 v35, vcc, 0, v35, vcc
	v_add_co_u32_e32 v33, vcc, v30, v33
	v_addc_co_u32_e32 v35, vcc, v31, v35, vcc
	v_ashrrev_i32_e32 v37, 31, v32
	v_add_co_u32_e32 v1, vcc, v1, v37
	v_addc_co_u32_e32 v30, vcc, v32, v37, vcc
	v_xor_b32_e32 v1, v1, v37
	v_xor_b32_e32 v39, v30, v37
	v_mad_u64_u32 v[30:31], s[34:35], v1, v35, 0
	v_mul_hi_u32 v32, v1, v33
	v_add_co_u32_e32 v41, vcc, v32, v30
	v_addc_co_u32_e32 v43, vcc, 0, v31, vcc
	v_mad_u64_u32 v[32:33], s[34:35], v39, v33, 0
	v_add_co_u32_e32 v32, vcc, v41, v32
	v_mad_u64_u32 v[30:31], s[34:35], v39, v35, 0
	v_addc_co_u32_e32 v32, vcc, v43, v33, vcc
	v_addc_co_u32_e32 v31, vcc, 0, v31, vcc
	v_add_co_u32_e32 v32, vcc, v32, v30
	v_addc_co_u32_e32 v33, vcc, 0, v31, vcc
	v_mul_lo_u32 v35, s73, v32
	v_mul_lo_u32 v41, s72, v33
	v_mad_u64_u32 v[30:31], s[34:35], s72, v32, 0
	v_add3_u32 v31, v31, v41, v35
	v_sub_u32_e32 v35, v39, v31
	v_mov_b32_e32 v41, s73
	v_sub_co_u32_e32 v1, vcc, v1, v30
	v_subb_co_u32_e64 v30, s[34:35], v35, v41, vcc
	v_subrev_co_u32_e64 v35, s[34:35], s72, v1
	v_subbrev_co_u32_e64 v30, s[34:35], 0, v30, s[34:35]
	v_cmp_le_u32_e64 s[34:35], s73, v30
	v_cndmask_b32_e64 v41, 0, -1, s[34:35]
	v_cmp_le_u32_e64 s[34:35], s72, v35
	v_cndmask_b32_e64 v35, 0, -1, s[34:35]
	v_cmp_eq_u32_e64 s[34:35], s73, v30
	v_cndmask_b32_e64 v30, v41, v35, s[34:35]
	v_add_co_u32_e64 v35, s[34:35], 2, v32
	v_subb_co_u32_e32 v31, vcc, v39, v31, vcc
	v_addc_co_u32_e64 v41, s[34:35], 0, v33, s[34:35]
	v_cmp_le_u32_e32 vcc, s73, v31
	v_add_co_u32_e64 v43, s[34:35], 1, v32
	v_cndmask_b32_e64 v39, 0, -1, vcc
	v_cmp_le_u32_e32 vcc, s72, v1
	v_addc_co_u32_e64 v45, s[34:35], 0, v33, s[34:35]
	v_cndmask_b32_e64 v1, 0, -1, vcc
	v_cmp_eq_u32_e32 vcc, s73, v31
	v_cmp_ne_u32_e64 s[34:35], 0, v30
	v_cndmask_b32_e32 v1, v39, v1, vcc
	v_cndmask_b32_e64 v30, v45, v41, s[34:35]
	v_cmp_ne_u32_e32 vcc, 0, v1
	v_cndmask_b32_e32 v1, v33, v30, vcc
	v_cndmask_b32_e64 v30, v43, v35, s[34:35]
	v_cndmask_b32_e32 v30, v32, v30, vcc
	v_xor_b32_e32 v31, s70, v37
	v_xor_b32_e32 v30, v30, v31
	;; [unrolled: 1-line block ×3, first 2 shown]
	v_sub_co_u32_e32 v30, vcc, v30, v31
	v_subb_co_u32_e32 v31, vcc, v1, v31, vcc
                                        ; implicit-def: $vgpr1
.LBB1134_210:
	s_andn2_saveexec_b64 s[34:35], s[68:69]
	s_cbranch_execz .LBB1134_212
; %bb.211:
	v_cvt_f32_u32_e32 v30, s38
	s_sub_i32 s68, 0, s38
	v_rcp_iflag_f32_e32 v30, v30
	v_mul_f32_e32 v30, 0x4f7ffffe, v30
	v_cvt_u32_f32_e32 v30, v30
	v_mul_lo_u32 v31, s68, v30
	v_mul_hi_u32 v31, v30, v31
	v_add_u32_e32 v30, v30, v31
	v_mul_hi_u32 v30, v1, v30
	v_mul_lo_u32 v31, v30, s38
	v_sub_u32_e32 v1, v1, v31
	v_add_u32_e32 v32, 1, v30
	v_subrev_u32_e32 v31, s38, v1
	v_cmp_le_u32_e32 vcc, s38, v1
	v_cndmask_b32_e32 v1, v1, v31, vcc
	v_cndmask_b32_e32 v30, v30, v32, vcc
	v_add_u32_e32 v31, 1, v30
	v_cmp_le_u32_e32 vcc, s38, v1
	v_cndmask_b32_e32 v30, v30, v31, vcc
	v_mov_b32_e32 v31, 0
.LBB1134_212:
	s_or_b64 exec, exec, s[34:35]
.LBB1134_213:
	s_or_b64 exec, exec, s[62:63]
	v_lshlrev_b32_e32 v1, 3, v0
	s_movk_i32 s34, 0x70
	v_mad_u32_u24 v76, v0, s34, v1
	ds_write2st64_b64 v1, v[2:3], v[4:5] offset1:4
	ds_write2st64_b64 v1, v[6:7], v[8:9] offset0:8 offset1:12
	ds_write2st64_b64 v1, v[10:11], v[12:13] offset0:16 offset1:20
	;; [unrolled: 1-line block ×6, first 2 shown]
	ds_write_b64 v1, v[30:31] offset:28672
	s_waitcnt lgkmcnt(0)
	s_barrier
	ds_read2_b64 v[26:29], v76 offset1:1
	ds_read2_b64 v[22:25], v76 offset0:2 offset1:3
	ds_read2_b64 v[18:21], v76 offset0:4 offset1:5
	;; [unrolled: 1-line block ×6, first 2 shown]
	ds_read_b64 v[74:75], v76 offset:112
	s_waitcnt lgkmcnt(0)
	s_barrier
	s_waitcnt lgkmcnt(0)
                                        ; implicit-def: $vgpr30_vgpr31
	s_and_saveexec_b64 s[34:35], s[28:29]
	s_cbranch_execnz .LBB1134_228
; %bb.214:
	s_or_b64 exec, exec, s[34:35]
                                        ; implicit-def: $vgpr32_vgpr33
	s_and_saveexec_b64 s[28:29], s[26:27]
	s_cbranch_execnz .LBB1134_233
.LBB1134_215:
	s_or_b64 exec, exec, s[28:29]
                                        ; implicit-def: $vgpr34_vgpr35
	s_and_saveexec_b64 s[26:27], s[24:25]
	s_cbranch_execnz .LBB1134_238
.LBB1134_216:
	s_or_b64 exec, exec, s[26:27]
                                        ; implicit-def: $vgpr36_vgpr37
	s_and_saveexec_b64 s[24:25], s[22:23]
	s_cbranch_execnz .LBB1134_243
.LBB1134_217:
	s_or_b64 exec, exec, s[24:25]
                                        ; implicit-def: $vgpr38_vgpr39
	s_and_saveexec_b64 s[22:23], s[20:21]
	s_cbranch_execnz .LBB1134_248
.LBB1134_218:
	s_or_b64 exec, exec, s[22:23]
                                        ; implicit-def: $vgpr40_vgpr41
	s_and_saveexec_b64 s[20:21], s[18:19]
	s_cbranch_execnz .LBB1134_253
.LBB1134_219:
	s_or_b64 exec, exec, s[20:21]
                                        ; implicit-def: $vgpr42_vgpr43
	s_and_saveexec_b64 s[18:19], s[16:17]
	s_cbranch_execnz .LBB1134_258
.LBB1134_220:
	s_or_b64 exec, exec, s[18:19]
                                        ; implicit-def: $vgpr44_vgpr45
	s_and_saveexec_b64 s[16:17], s[14:15]
	s_cbranch_execnz .LBB1134_263
.LBB1134_221:
	s_or_b64 exec, exec, s[16:17]
                                        ; implicit-def: $vgpr46_vgpr47
	s_and_saveexec_b64 s[14:15], s[12:13]
	s_cbranch_execnz .LBB1134_268
.LBB1134_222:
	s_or_b64 exec, exec, s[14:15]
                                        ; implicit-def: $vgpr48_vgpr49
	s_and_saveexec_b64 s[12:13], s[10:11]
	s_cbranch_execnz .LBB1134_273
.LBB1134_223:
	s_or_b64 exec, exec, s[12:13]
                                        ; implicit-def: $vgpr50_vgpr51
	s_and_saveexec_b64 s[10:11], s[8:9]
	s_cbranch_execnz .LBB1134_278
.LBB1134_224:
	s_or_b64 exec, exec, s[10:11]
                                        ; implicit-def: $vgpr52_vgpr53
	s_and_saveexec_b64 s[10:11], s[30:31]
	s_cbranch_execnz .LBB1134_283
.LBB1134_225:
	s_or_b64 exec, exec, s[10:11]
                                        ; implicit-def: $vgpr54_vgpr55
	s_and_saveexec_b64 s[8:9], s[4:5]
	s_cbranch_execnz .LBB1134_288
.LBB1134_226:
	s_or_b64 exec, exec, s[8:9]
                                        ; implicit-def: $vgpr56_vgpr57
	s_and_saveexec_b64 s[4:5], s[2:3]
	s_cbranch_execnz .LBB1134_293
.LBB1134_227:
	s_or_b64 exec, exec, s[4:5]
                                        ; implicit-def: $vgpr58_vgpr59
	s_and_saveexec_b64 s[2:3], s[0:1]
	s_cbranch_execnz .LBB1134_298
	s_branch .LBB1134_303
.LBB1134_228:
	v_mov_b32_e32 v31, s75
	v_add_co_u32_e32 v32, vcc, s74, v0
	v_addc_co_u32_e32 v33, vcc, 0, v31, vcc
	v_mov_b32_e32 v30, 0
	v_or_b32_e32 v31, s45, v33
	v_cmp_ne_u64_e32 vcc, 0, v[30:31]
                                        ; implicit-def: $vgpr30_vgpr31
	s_and_saveexec_b64 s[28:29], vcc
	s_xor_b64 s[62:63], exec, s[28:29]
	s_cbranch_execz .LBB1134_230
; %bb.229:
	s_ashr_i32 s68, s45, 31
	s_add_u32 s28, s44, s68
	s_mov_b32 s69, s68
	s_addc_u32 s29, s45, s68
	s_xor_b64 s[70:71], s[28:29], s[68:69]
	v_cvt_f32_u32_e32 v30, s70
	v_cvt_f32_u32_e32 v31, s71
	s_sub_u32 s28, 0, s70
	s_subb_u32 s29, 0, s71
	v_madmk_f32 v30, v31, 0x4f800000, v30
	v_rcp_f32_e32 v30, v30
	v_mul_f32_e32 v30, 0x5f7ffffc, v30
	v_mul_f32_e32 v31, 0x2f800000, v30
	v_trunc_f32_e32 v31, v31
	v_madmk_f32 v30, v31, 0xcf800000, v30
	v_cvt_u32_f32_e32 v31, v31
	v_cvt_u32_f32_e32 v30, v30
	v_mul_lo_u32 v35, s28, v31
	v_mul_hi_u32 v39, s28, v30
	v_mul_lo_u32 v37, s29, v30
	v_add_u32_e32 v35, v39, v35
	v_mul_lo_u32 v41, s28, v30
	v_add_u32_e32 v35, v35, v37
	v_mul_lo_u32 v39, v30, v35
	v_mul_hi_u32 v43, v30, v41
	v_mul_hi_u32 v37, v30, v35
	v_add_co_u32_e32 v39, vcc, v43, v39
	v_addc_co_u32_e32 v37, vcc, 0, v37, vcc
	v_mul_hi_u32 v45, v31, v41
	v_mul_lo_u32 v41, v31, v41
	v_add_co_u32_e32 v39, vcc, v39, v41
	v_mul_hi_u32 v43, v31, v35
	v_addc_co_u32_e32 v37, vcc, v37, v45, vcc
	v_addc_co_u32_e32 v39, vcc, 0, v43, vcc
	v_mul_lo_u32 v35, v31, v35
	v_add_co_u32_e32 v35, vcc, v37, v35
	v_addc_co_u32_e32 v37, vcc, 0, v39, vcc
	v_add_co_u32_e32 v30, vcc, v30, v35
	v_addc_co_u32_e32 v31, vcc, v31, v37, vcc
	v_mul_lo_u32 v35, s28, v31
	v_mul_hi_u32 v37, s28, v30
	v_add_u32_e32 v35, v37, v35
	v_mul_lo_u32 v37, s29, v30
	v_add_u32_e32 v35, v35, v37
	v_mul_lo_u32 v39, s28, v30
	v_mul_hi_u32 v41, v31, v39
	v_mul_lo_u32 v43, v31, v39
	v_mul_lo_u32 v47, v30, v35
	v_mul_hi_u32 v39, v30, v39
	v_mul_hi_u32 v45, v30, v35
	v_add_co_u32_e32 v39, vcc, v39, v47
	v_addc_co_u32_e32 v45, vcc, 0, v45, vcc
	v_add_co_u32_e32 v39, vcc, v39, v43
	v_mul_hi_u32 v37, v31, v35
	v_addc_co_u32_e32 v39, vcc, v45, v41, vcc
	v_addc_co_u32_e32 v37, vcc, 0, v37, vcc
	v_mul_lo_u32 v35, v31, v35
	v_add_co_u32_e32 v35, vcc, v39, v35
	v_addc_co_u32_e32 v37, vcc, 0, v37, vcc
	v_add_co_u32_e32 v35, vcc, v30, v35
	v_addc_co_u32_e32 v37, vcc, v31, v37, vcc
	v_ashrrev_i32_e32 v39, 31, v33
	v_add_co_u32_e32 v30, vcc, v32, v39
	v_addc_co_u32_e32 v31, vcc, v33, v39, vcc
	v_xor_b32_e32 v43, v30, v39
	v_xor_b32_e32 v41, v31, v39
	v_mad_u64_u32 v[30:31], s[28:29], v43, v37, 0
	v_mul_hi_u32 v45, v43, v35
	v_add_co_u32_e32 v45, vcc, v45, v30
	v_addc_co_u32_e32 v47, vcc, 0, v31, vcc
	v_mad_u64_u32 v[62:63], s[28:29], v41, v35, 0
	v_add_co_u32_e32 v35, vcc, v45, v62
	v_mad_u64_u32 v[30:31], s[28:29], v41, v37, 0
	v_addc_co_u32_e32 v35, vcc, v47, v63, vcc
	v_addc_co_u32_e32 v31, vcc, 0, v31, vcc
	v_add_co_u32_e32 v35, vcc, v35, v30
	v_addc_co_u32_e32 v37, vcc, 0, v31, vcc
	v_mul_lo_u32 v45, s71, v35
	v_mul_lo_u32 v47, s70, v37
	v_mad_u64_u32 v[30:31], s[28:29], s70, v35, 0
	v_add3_u32 v31, v31, v47, v45
	v_sub_u32_e32 v45, v41, v31
	v_mov_b32_e32 v47, s71
	v_sub_co_u32_e32 v30, vcc, v43, v30
	v_subb_co_u32_e64 v43, s[28:29], v45, v47, vcc
	v_subrev_co_u32_e64 v45, s[28:29], s70, v30
	v_subbrev_co_u32_e64 v43, s[28:29], 0, v43, s[28:29]
	v_cmp_le_u32_e64 s[28:29], s71, v43
	v_cndmask_b32_e64 v47, 0, -1, s[28:29]
	v_cmp_le_u32_e64 s[28:29], s70, v45
	v_cndmask_b32_e64 v45, 0, -1, s[28:29]
	v_cmp_eq_u32_e64 s[28:29], s71, v43
	v_cndmask_b32_e64 v43, v47, v45, s[28:29]
	v_add_co_u32_e64 v45, s[28:29], 2, v35
	v_subb_co_u32_e32 v31, vcc, v41, v31, vcc
	v_addc_co_u32_e64 v47, s[28:29], 0, v37, s[28:29]
	v_cmp_le_u32_e32 vcc, s71, v31
	v_add_co_u32_e64 v49, s[28:29], 1, v35
	v_cndmask_b32_e64 v41, 0, -1, vcc
	v_cmp_le_u32_e32 vcc, s70, v30
	v_addc_co_u32_e64 v51, s[28:29], 0, v37, s[28:29]
	v_cndmask_b32_e64 v30, 0, -1, vcc
	v_cmp_eq_u32_e32 vcc, s71, v31
	v_cmp_ne_u32_e64 s[28:29], 0, v43
	v_cndmask_b32_e32 v30, v41, v30, vcc
	v_cndmask_b32_e64 v43, v51, v47, s[28:29]
	v_cmp_ne_u32_e32 vcc, 0, v30
	v_cndmask_b32_e64 v31, v49, v45, s[28:29]
	v_cndmask_b32_e32 v30, v37, v43, vcc
	v_cndmask_b32_e32 v31, v35, v31, vcc
	v_xor_b32_e32 v35, s68, v39
	v_xor_b32_e32 v37, v30, v35
	;; [unrolled: 1-line block ×3, first 2 shown]
	v_sub_co_u32_e32 v30, vcc, v30, v35
	v_subb_co_u32_e32 v31, vcc, v37, v35, vcc
.LBB1134_230:
	s_andn2_saveexec_b64 s[28:29], s[62:63]
	s_cbranch_execz .LBB1134_232
; %bb.231:
	v_cvt_f32_u32_e32 v30, s44
	s_sub_i32 s62, 0, s44
	v_rcp_iflag_f32_e32 v30, v30
	v_mul_f32_e32 v30, 0x4f7ffffe, v30
	v_cvt_u32_f32_e32 v30, v30
	v_mul_lo_u32 v31, s62, v30
	v_mul_hi_u32 v31, v30, v31
	v_add_u32_e32 v30, v30, v31
	v_mul_hi_u32 v30, v32, v30
	v_mul_lo_u32 v31, v30, s44
	v_sub_u32_e32 v31, v32, v31
	v_add_u32_e32 v35, 1, v30
	v_subrev_u32_e32 v37, s44, v31
	v_cmp_le_u32_e32 vcc, s44, v31
	v_cndmask_b32_e32 v31, v31, v37, vcc
	v_cndmask_b32_e32 v30, v30, v35, vcc
	v_add_u32_e32 v35, 1, v30
	v_cmp_le_u32_e32 vcc, s44, v31
	v_cndmask_b32_e32 v30, v30, v35, vcc
	v_mov_b32_e32 v31, 0
.LBB1134_232:
	s_or_b64 exec, exec, s[28:29]
	v_mul_lo_u32 v35, v31, s44
	v_mul_lo_u32 v37, v30, s45
	v_mad_u64_u32 v[62:63], s[28:29], v30, s44, 0
	v_add3_u32 v35, v63, v37, v35
	v_sub_co_u32_e32 v32, vcc, v32, v62
	v_subb_co_u32_e32 v33, vcc, v33, v35, vcc
	v_add_co_u32_e32 v30, vcc, v30, v32
	v_addc_co_u32_e32 v31, vcc, v31, v33, vcc
	s_or_b64 exec, exec, s[34:35]
                                        ; implicit-def: $vgpr32_vgpr33
	s_and_saveexec_b64 s[28:29], s[26:27]
	s_cbranch_execz .LBB1134_215
.LBB1134_233:
	v_mov_b32_e32 v33, s75
	v_add_co_u32_e32 v34, vcc, s74, v34
	v_addc_co_u32_e32 v35, vcc, 0, v33, vcc
	v_mov_b32_e32 v32, 0
	v_or_b32_e32 v33, s45, v35
	v_cmp_ne_u64_e32 vcc, 0, v[32:33]
                                        ; implicit-def: $vgpr32_vgpr33
	s_and_saveexec_b64 s[26:27], vcc
	s_xor_b64 s[34:35], exec, s[26:27]
	s_cbranch_execz .LBB1134_235
; %bb.234:
	s_ashr_i32 s62, s45, 31
	s_add_u32 s26, s44, s62
	s_mov_b32 s63, s62
	s_addc_u32 s27, s45, s62
	s_xor_b64 s[68:69], s[26:27], s[62:63]
	v_cvt_f32_u32_e32 v32, s68
	v_cvt_f32_u32_e32 v33, s69
	s_sub_u32 s26, 0, s68
	s_subb_u32 s27, 0, s69
	v_madmk_f32 v32, v33, 0x4f800000, v32
	v_rcp_f32_e32 v32, v32
	v_mul_f32_e32 v32, 0x5f7ffffc, v32
	v_mul_f32_e32 v33, 0x2f800000, v32
	v_trunc_f32_e32 v33, v33
	v_madmk_f32 v32, v33, 0xcf800000, v32
	v_cvt_u32_f32_e32 v33, v33
	v_cvt_u32_f32_e32 v32, v32
	v_mul_lo_u32 v37, s26, v33
	v_mul_hi_u32 v41, s26, v32
	v_mul_lo_u32 v39, s27, v32
	v_add_u32_e32 v37, v41, v37
	v_mul_lo_u32 v43, s26, v32
	v_add_u32_e32 v37, v37, v39
	v_mul_lo_u32 v41, v32, v37
	v_mul_hi_u32 v45, v32, v43
	v_mul_hi_u32 v39, v32, v37
	v_add_co_u32_e32 v41, vcc, v45, v41
	v_addc_co_u32_e32 v39, vcc, 0, v39, vcc
	v_mul_hi_u32 v47, v33, v43
	v_mul_lo_u32 v43, v33, v43
	v_add_co_u32_e32 v41, vcc, v41, v43
	v_mul_hi_u32 v45, v33, v37
	v_addc_co_u32_e32 v39, vcc, v39, v47, vcc
	v_addc_co_u32_e32 v41, vcc, 0, v45, vcc
	v_mul_lo_u32 v37, v33, v37
	v_add_co_u32_e32 v37, vcc, v39, v37
	v_addc_co_u32_e32 v39, vcc, 0, v41, vcc
	v_add_co_u32_e32 v32, vcc, v32, v37
	v_addc_co_u32_e32 v33, vcc, v33, v39, vcc
	v_mul_lo_u32 v37, s26, v33
	v_mul_hi_u32 v39, s26, v32
	v_add_u32_e32 v37, v39, v37
	v_mul_lo_u32 v39, s27, v32
	v_add_u32_e32 v37, v37, v39
	v_mul_lo_u32 v41, s26, v32
	v_mul_hi_u32 v43, v33, v41
	v_mul_lo_u32 v45, v33, v41
	v_mul_lo_u32 v49, v32, v37
	v_mul_hi_u32 v41, v32, v41
	v_mul_hi_u32 v47, v32, v37
	v_add_co_u32_e32 v41, vcc, v41, v49
	v_addc_co_u32_e32 v47, vcc, 0, v47, vcc
	v_add_co_u32_e32 v41, vcc, v41, v45
	v_mul_hi_u32 v39, v33, v37
	v_addc_co_u32_e32 v41, vcc, v47, v43, vcc
	v_addc_co_u32_e32 v39, vcc, 0, v39, vcc
	v_mul_lo_u32 v37, v33, v37
	v_add_co_u32_e32 v37, vcc, v41, v37
	v_addc_co_u32_e32 v39, vcc, 0, v39, vcc
	v_add_co_u32_e32 v37, vcc, v32, v37
	v_addc_co_u32_e32 v39, vcc, v33, v39, vcc
	v_ashrrev_i32_e32 v41, 31, v35
	v_add_co_u32_e32 v32, vcc, v34, v41
	v_addc_co_u32_e32 v33, vcc, v35, v41, vcc
	v_xor_b32_e32 v45, v32, v41
	v_xor_b32_e32 v43, v33, v41
	v_mad_u64_u32 v[32:33], s[26:27], v45, v39, 0
	v_mul_hi_u32 v47, v45, v37
	v_add_co_u32_e32 v47, vcc, v47, v32
	v_addc_co_u32_e32 v49, vcc, 0, v33, vcc
	v_mad_u64_u32 v[62:63], s[26:27], v43, v37, 0
	v_add_co_u32_e32 v37, vcc, v47, v62
	v_mad_u64_u32 v[32:33], s[26:27], v43, v39, 0
	v_addc_co_u32_e32 v37, vcc, v49, v63, vcc
	v_addc_co_u32_e32 v33, vcc, 0, v33, vcc
	v_add_co_u32_e32 v37, vcc, v37, v32
	v_addc_co_u32_e32 v39, vcc, 0, v33, vcc
	v_mul_lo_u32 v47, s69, v37
	v_mul_lo_u32 v49, s68, v39
	v_mad_u64_u32 v[32:33], s[26:27], s68, v37, 0
	v_add3_u32 v33, v33, v49, v47
	v_sub_u32_e32 v47, v43, v33
	v_mov_b32_e32 v49, s69
	v_sub_co_u32_e32 v32, vcc, v45, v32
	v_subb_co_u32_e64 v45, s[26:27], v47, v49, vcc
	v_subrev_co_u32_e64 v47, s[26:27], s68, v32
	v_subbrev_co_u32_e64 v45, s[26:27], 0, v45, s[26:27]
	v_cmp_le_u32_e64 s[26:27], s69, v45
	v_cndmask_b32_e64 v49, 0, -1, s[26:27]
	v_cmp_le_u32_e64 s[26:27], s68, v47
	v_cndmask_b32_e64 v47, 0, -1, s[26:27]
	v_cmp_eq_u32_e64 s[26:27], s69, v45
	v_cndmask_b32_e64 v45, v49, v47, s[26:27]
	v_add_co_u32_e64 v47, s[26:27], 2, v37
	v_subb_co_u32_e32 v33, vcc, v43, v33, vcc
	v_addc_co_u32_e64 v49, s[26:27], 0, v39, s[26:27]
	v_cmp_le_u32_e32 vcc, s69, v33
	v_add_co_u32_e64 v51, s[26:27], 1, v37
	v_cndmask_b32_e64 v43, 0, -1, vcc
	v_cmp_le_u32_e32 vcc, s68, v32
	v_addc_co_u32_e64 v53, s[26:27], 0, v39, s[26:27]
	v_cndmask_b32_e64 v32, 0, -1, vcc
	v_cmp_eq_u32_e32 vcc, s69, v33
	v_cmp_ne_u32_e64 s[26:27], 0, v45
	v_cndmask_b32_e32 v32, v43, v32, vcc
	v_cndmask_b32_e64 v45, v53, v49, s[26:27]
	v_cmp_ne_u32_e32 vcc, 0, v32
	v_cndmask_b32_e64 v33, v51, v47, s[26:27]
	v_cndmask_b32_e32 v32, v39, v45, vcc
	v_cndmask_b32_e32 v33, v37, v33, vcc
	v_xor_b32_e32 v37, s62, v41
	v_xor_b32_e32 v39, v32, v37
	v_xor_b32_e32 v32, v33, v37
	v_sub_co_u32_e32 v32, vcc, v32, v37
	v_subb_co_u32_e32 v33, vcc, v39, v37, vcc
.LBB1134_235:
	s_andn2_saveexec_b64 s[26:27], s[34:35]
	s_cbranch_execz .LBB1134_237
; %bb.236:
	v_cvt_f32_u32_e32 v32, s44
	s_sub_i32 s34, 0, s44
	v_rcp_iflag_f32_e32 v32, v32
	v_mul_f32_e32 v32, 0x4f7ffffe, v32
	v_cvt_u32_f32_e32 v32, v32
	v_mul_lo_u32 v33, s34, v32
	v_mul_hi_u32 v33, v32, v33
	v_add_u32_e32 v32, v32, v33
	v_mul_hi_u32 v32, v34, v32
	v_mul_lo_u32 v33, v32, s44
	v_sub_u32_e32 v33, v34, v33
	v_add_u32_e32 v37, 1, v32
	v_subrev_u32_e32 v39, s44, v33
	v_cmp_le_u32_e32 vcc, s44, v33
	v_cndmask_b32_e32 v33, v33, v39, vcc
	v_cndmask_b32_e32 v32, v32, v37, vcc
	v_add_u32_e32 v37, 1, v32
	v_cmp_le_u32_e32 vcc, s44, v33
	v_cndmask_b32_e32 v32, v32, v37, vcc
	v_mov_b32_e32 v33, 0
.LBB1134_237:
	s_or_b64 exec, exec, s[26:27]
	v_mul_lo_u32 v37, v33, s44
	v_mul_lo_u32 v39, v32, s45
	v_mad_u64_u32 v[62:63], s[26:27], v32, s44, 0
	v_add3_u32 v37, v63, v39, v37
	v_sub_co_u32_e32 v34, vcc, v34, v62
	v_subb_co_u32_e32 v35, vcc, v35, v37, vcc
	v_add_co_u32_e32 v32, vcc, v32, v34
	v_addc_co_u32_e32 v33, vcc, v33, v35, vcc
	s_or_b64 exec, exec, s[28:29]
                                        ; implicit-def: $vgpr34_vgpr35
	s_and_saveexec_b64 s[26:27], s[24:25]
	s_cbranch_execz .LBB1134_216
.LBB1134_238:
	v_mov_b32_e32 v35, s75
	v_add_co_u32_e32 v36, vcc, s74, v36
	v_addc_co_u32_e32 v37, vcc, 0, v35, vcc
	v_mov_b32_e32 v34, 0
	v_or_b32_e32 v35, s45, v37
	v_cmp_ne_u64_e32 vcc, 0, v[34:35]
                                        ; implicit-def: $vgpr34_vgpr35
	s_and_saveexec_b64 s[24:25], vcc
	s_xor_b64 s[28:29], exec, s[24:25]
	s_cbranch_execz .LBB1134_240
; %bb.239:
	s_ashr_i32 s34, s45, 31
	s_add_u32 s24, s44, s34
	s_mov_b32 s35, s34
	s_addc_u32 s25, s45, s34
	s_xor_b64 s[62:63], s[24:25], s[34:35]
	v_cvt_f32_u32_e32 v34, s62
	v_cvt_f32_u32_e32 v35, s63
	s_sub_u32 s24, 0, s62
	s_subb_u32 s25, 0, s63
	v_madmk_f32 v34, v35, 0x4f800000, v34
	v_rcp_f32_e32 v34, v34
	v_mul_f32_e32 v34, 0x5f7ffffc, v34
	v_mul_f32_e32 v35, 0x2f800000, v34
	v_trunc_f32_e32 v35, v35
	v_madmk_f32 v34, v35, 0xcf800000, v34
	v_cvt_u32_f32_e32 v35, v35
	v_cvt_u32_f32_e32 v34, v34
	v_mul_lo_u32 v39, s24, v35
	v_mul_hi_u32 v43, s24, v34
	v_mul_lo_u32 v41, s25, v34
	v_add_u32_e32 v39, v43, v39
	v_mul_lo_u32 v45, s24, v34
	v_add_u32_e32 v39, v39, v41
	v_mul_lo_u32 v43, v34, v39
	v_mul_hi_u32 v47, v34, v45
	v_mul_hi_u32 v41, v34, v39
	v_add_co_u32_e32 v43, vcc, v47, v43
	v_addc_co_u32_e32 v41, vcc, 0, v41, vcc
	v_mul_hi_u32 v49, v35, v45
	v_mul_lo_u32 v45, v35, v45
	v_add_co_u32_e32 v43, vcc, v43, v45
	v_mul_hi_u32 v47, v35, v39
	v_addc_co_u32_e32 v41, vcc, v41, v49, vcc
	v_addc_co_u32_e32 v43, vcc, 0, v47, vcc
	v_mul_lo_u32 v39, v35, v39
	v_add_co_u32_e32 v39, vcc, v41, v39
	v_addc_co_u32_e32 v41, vcc, 0, v43, vcc
	v_add_co_u32_e32 v34, vcc, v34, v39
	v_addc_co_u32_e32 v35, vcc, v35, v41, vcc
	v_mul_lo_u32 v39, s24, v35
	v_mul_hi_u32 v41, s24, v34
	v_add_u32_e32 v39, v41, v39
	v_mul_lo_u32 v41, s25, v34
	v_add_u32_e32 v39, v39, v41
	v_mul_lo_u32 v43, s24, v34
	v_mul_hi_u32 v45, v35, v43
	v_mul_lo_u32 v47, v35, v43
	v_mul_lo_u32 v51, v34, v39
	v_mul_hi_u32 v43, v34, v43
	v_mul_hi_u32 v49, v34, v39
	v_add_co_u32_e32 v43, vcc, v43, v51
	v_addc_co_u32_e32 v49, vcc, 0, v49, vcc
	v_add_co_u32_e32 v43, vcc, v43, v47
	v_mul_hi_u32 v41, v35, v39
	v_addc_co_u32_e32 v43, vcc, v49, v45, vcc
	v_addc_co_u32_e32 v41, vcc, 0, v41, vcc
	v_mul_lo_u32 v39, v35, v39
	v_add_co_u32_e32 v39, vcc, v43, v39
	v_addc_co_u32_e32 v41, vcc, 0, v41, vcc
	v_add_co_u32_e32 v39, vcc, v34, v39
	v_addc_co_u32_e32 v41, vcc, v35, v41, vcc
	v_ashrrev_i32_e32 v43, 31, v37
	v_add_co_u32_e32 v34, vcc, v36, v43
	v_addc_co_u32_e32 v35, vcc, v37, v43, vcc
	v_xor_b32_e32 v47, v34, v43
	v_xor_b32_e32 v45, v35, v43
	v_mad_u64_u32 v[34:35], s[24:25], v47, v41, 0
	v_mul_hi_u32 v49, v47, v39
	v_add_co_u32_e32 v49, vcc, v49, v34
	v_addc_co_u32_e32 v51, vcc, 0, v35, vcc
	v_mad_u64_u32 v[62:63], s[24:25], v45, v39, 0
	v_add_co_u32_e32 v39, vcc, v49, v62
	v_mad_u64_u32 v[34:35], s[24:25], v45, v41, 0
	v_addc_co_u32_e32 v39, vcc, v51, v63, vcc
	v_addc_co_u32_e32 v35, vcc, 0, v35, vcc
	v_add_co_u32_e32 v39, vcc, v39, v34
	v_addc_co_u32_e32 v41, vcc, 0, v35, vcc
	v_mul_lo_u32 v49, s63, v39
	v_mul_lo_u32 v51, s62, v41
	v_mad_u64_u32 v[34:35], s[24:25], s62, v39, 0
	v_add3_u32 v35, v35, v51, v49
	v_sub_u32_e32 v49, v45, v35
	v_mov_b32_e32 v51, s63
	v_sub_co_u32_e32 v34, vcc, v47, v34
	v_subb_co_u32_e64 v47, s[24:25], v49, v51, vcc
	v_subrev_co_u32_e64 v49, s[24:25], s62, v34
	v_subbrev_co_u32_e64 v47, s[24:25], 0, v47, s[24:25]
	v_cmp_le_u32_e64 s[24:25], s63, v47
	v_cndmask_b32_e64 v51, 0, -1, s[24:25]
	v_cmp_le_u32_e64 s[24:25], s62, v49
	v_cndmask_b32_e64 v49, 0, -1, s[24:25]
	v_cmp_eq_u32_e64 s[24:25], s63, v47
	v_cndmask_b32_e64 v47, v51, v49, s[24:25]
	v_add_co_u32_e64 v49, s[24:25], 2, v39
	v_subb_co_u32_e32 v35, vcc, v45, v35, vcc
	v_addc_co_u32_e64 v51, s[24:25], 0, v41, s[24:25]
	v_cmp_le_u32_e32 vcc, s63, v35
	v_add_co_u32_e64 v53, s[24:25], 1, v39
	v_cndmask_b32_e64 v45, 0, -1, vcc
	v_cmp_le_u32_e32 vcc, s62, v34
	v_addc_co_u32_e64 v55, s[24:25], 0, v41, s[24:25]
	v_cndmask_b32_e64 v34, 0, -1, vcc
	v_cmp_eq_u32_e32 vcc, s63, v35
	v_cmp_ne_u32_e64 s[24:25], 0, v47
	v_cndmask_b32_e32 v34, v45, v34, vcc
	v_cndmask_b32_e64 v47, v55, v51, s[24:25]
	v_cmp_ne_u32_e32 vcc, 0, v34
	v_cndmask_b32_e64 v35, v53, v49, s[24:25]
	v_cndmask_b32_e32 v34, v41, v47, vcc
	v_cndmask_b32_e32 v35, v39, v35, vcc
	v_xor_b32_e32 v39, s34, v43
	v_xor_b32_e32 v41, v34, v39
	;; [unrolled: 1-line block ×3, first 2 shown]
	v_sub_co_u32_e32 v34, vcc, v34, v39
	v_subb_co_u32_e32 v35, vcc, v41, v39, vcc
.LBB1134_240:
	s_andn2_saveexec_b64 s[24:25], s[28:29]
	s_cbranch_execz .LBB1134_242
; %bb.241:
	v_cvt_f32_u32_e32 v34, s44
	s_sub_i32 s28, 0, s44
	v_rcp_iflag_f32_e32 v34, v34
	v_mul_f32_e32 v34, 0x4f7ffffe, v34
	v_cvt_u32_f32_e32 v34, v34
	v_mul_lo_u32 v35, s28, v34
	v_mul_hi_u32 v35, v34, v35
	v_add_u32_e32 v34, v34, v35
	v_mul_hi_u32 v34, v36, v34
	v_mul_lo_u32 v35, v34, s44
	v_sub_u32_e32 v35, v36, v35
	v_add_u32_e32 v39, 1, v34
	v_subrev_u32_e32 v41, s44, v35
	v_cmp_le_u32_e32 vcc, s44, v35
	v_cndmask_b32_e32 v35, v35, v41, vcc
	v_cndmask_b32_e32 v34, v34, v39, vcc
	v_add_u32_e32 v39, 1, v34
	v_cmp_le_u32_e32 vcc, s44, v35
	v_cndmask_b32_e32 v34, v34, v39, vcc
	v_mov_b32_e32 v35, 0
.LBB1134_242:
	s_or_b64 exec, exec, s[24:25]
	v_mul_lo_u32 v39, v35, s44
	v_mul_lo_u32 v41, v34, s45
	v_mad_u64_u32 v[62:63], s[24:25], v34, s44, 0
	v_add3_u32 v39, v63, v41, v39
	v_sub_co_u32_e32 v36, vcc, v36, v62
	v_subb_co_u32_e32 v37, vcc, v37, v39, vcc
	v_add_co_u32_e32 v34, vcc, v34, v36
	v_addc_co_u32_e32 v35, vcc, v35, v37, vcc
	s_or_b64 exec, exec, s[26:27]
                                        ; implicit-def: $vgpr36_vgpr37
	s_and_saveexec_b64 s[24:25], s[22:23]
	s_cbranch_execz .LBB1134_217
.LBB1134_243:
	v_mov_b32_e32 v37, s75
	v_add_co_u32_e32 v38, vcc, s74, v38
	v_addc_co_u32_e32 v39, vcc, 0, v37, vcc
	v_mov_b32_e32 v36, 0
	v_or_b32_e32 v37, s45, v39
	v_cmp_ne_u64_e32 vcc, 0, v[36:37]
                                        ; implicit-def: $vgpr36_vgpr37
	s_and_saveexec_b64 s[22:23], vcc
	s_xor_b64 s[26:27], exec, s[22:23]
	s_cbranch_execz .LBB1134_245
; %bb.244:
	s_ashr_i32 s28, s45, 31
	s_add_u32 s22, s44, s28
	s_mov_b32 s29, s28
	s_addc_u32 s23, s45, s28
	s_xor_b64 s[34:35], s[22:23], s[28:29]
	v_cvt_f32_u32_e32 v36, s34
	v_cvt_f32_u32_e32 v37, s35
	s_sub_u32 s22, 0, s34
	s_subb_u32 s23, 0, s35
	v_madmk_f32 v36, v37, 0x4f800000, v36
	v_rcp_f32_e32 v36, v36
	v_mul_f32_e32 v36, 0x5f7ffffc, v36
	v_mul_f32_e32 v37, 0x2f800000, v36
	v_trunc_f32_e32 v37, v37
	v_madmk_f32 v36, v37, 0xcf800000, v36
	v_cvt_u32_f32_e32 v37, v37
	v_cvt_u32_f32_e32 v36, v36
	v_mul_lo_u32 v41, s22, v37
	v_mul_hi_u32 v45, s22, v36
	v_mul_lo_u32 v43, s23, v36
	v_add_u32_e32 v41, v45, v41
	v_mul_lo_u32 v47, s22, v36
	v_add_u32_e32 v41, v41, v43
	v_mul_lo_u32 v45, v36, v41
	v_mul_hi_u32 v49, v36, v47
	v_mul_hi_u32 v43, v36, v41
	v_add_co_u32_e32 v45, vcc, v49, v45
	v_addc_co_u32_e32 v43, vcc, 0, v43, vcc
	v_mul_hi_u32 v51, v37, v47
	v_mul_lo_u32 v47, v37, v47
	v_add_co_u32_e32 v45, vcc, v45, v47
	v_mul_hi_u32 v49, v37, v41
	v_addc_co_u32_e32 v43, vcc, v43, v51, vcc
	v_addc_co_u32_e32 v45, vcc, 0, v49, vcc
	v_mul_lo_u32 v41, v37, v41
	v_add_co_u32_e32 v41, vcc, v43, v41
	v_addc_co_u32_e32 v43, vcc, 0, v45, vcc
	v_add_co_u32_e32 v36, vcc, v36, v41
	v_addc_co_u32_e32 v37, vcc, v37, v43, vcc
	v_mul_lo_u32 v41, s22, v37
	v_mul_hi_u32 v43, s22, v36
	v_add_u32_e32 v41, v43, v41
	v_mul_lo_u32 v43, s23, v36
	v_add_u32_e32 v41, v41, v43
	v_mul_lo_u32 v45, s22, v36
	v_mul_hi_u32 v47, v37, v45
	v_mul_lo_u32 v49, v37, v45
	v_mul_lo_u32 v53, v36, v41
	v_mul_hi_u32 v45, v36, v45
	v_mul_hi_u32 v51, v36, v41
	v_add_co_u32_e32 v45, vcc, v45, v53
	v_addc_co_u32_e32 v51, vcc, 0, v51, vcc
	v_add_co_u32_e32 v45, vcc, v45, v49
	v_mul_hi_u32 v43, v37, v41
	v_addc_co_u32_e32 v45, vcc, v51, v47, vcc
	v_addc_co_u32_e32 v43, vcc, 0, v43, vcc
	v_mul_lo_u32 v41, v37, v41
	v_add_co_u32_e32 v41, vcc, v45, v41
	v_addc_co_u32_e32 v43, vcc, 0, v43, vcc
	v_add_co_u32_e32 v41, vcc, v36, v41
	v_addc_co_u32_e32 v43, vcc, v37, v43, vcc
	v_ashrrev_i32_e32 v45, 31, v39
	v_add_co_u32_e32 v36, vcc, v38, v45
	v_addc_co_u32_e32 v37, vcc, v39, v45, vcc
	v_xor_b32_e32 v49, v36, v45
	v_xor_b32_e32 v47, v37, v45
	v_mad_u64_u32 v[36:37], s[22:23], v49, v43, 0
	v_mul_hi_u32 v51, v49, v41
	v_add_co_u32_e32 v51, vcc, v51, v36
	v_addc_co_u32_e32 v53, vcc, 0, v37, vcc
	v_mad_u64_u32 v[62:63], s[22:23], v47, v41, 0
	v_add_co_u32_e32 v41, vcc, v51, v62
	v_mad_u64_u32 v[36:37], s[22:23], v47, v43, 0
	v_addc_co_u32_e32 v41, vcc, v53, v63, vcc
	v_addc_co_u32_e32 v37, vcc, 0, v37, vcc
	v_add_co_u32_e32 v41, vcc, v41, v36
	v_addc_co_u32_e32 v43, vcc, 0, v37, vcc
	v_mul_lo_u32 v51, s35, v41
	v_mul_lo_u32 v53, s34, v43
	v_mad_u64_u32 v[36:37], s[22:23], s34, v41, 0
	v_add3_u32 v37, v37, v53, v51
	v_sub_u32_e32 v51, v47, v37
	v_mov_b32_e32 v53, s35
	v_sub_co_u32_e32 v36, vcc, v49, v36
	v_subb_co_u32_e64 v49, s[22:23], v51, v53, vcc
	v_subrev_co_u32_e64 v51, s[22:23], s34, v36
	v_subbrev_co_u32_e64 v49, s[22:23], 0, v49, s[22:23]
	v_cmp_le_u32_e64 s[22:23], s35, v49
	v_cndmask_b32_e64 v53, 0, -1, s[22:23]
	v_cmp_le_u32_e64 s[22:23], s34, v51
	v_cndmask_b32_e64 v51, 0, -1, s[22:23]
	v_cmp_eq_u32_e64 s[22:23], s35, v49
	v_cndmask_b32_e64 v49, v53, v51, s[22:23]
	v_add_co_u32_e64 v51, s[22:23], 2, v41
	v_subb_co_u32_e32 v37, vcc, v47, v37, vcc
	v_addc_co_u32_e64 v53, s[22:23], 0, v43, s[22:23]
	v_cmp_le_u32_e32 vcc, s35, v37
	v_add_co_u32_e64 v55, s[22:23], 1, v41
	v_cndmask_b32_e64 v47, 0, -1, vcc
	v_cmp_le_u32_e32 vcc, s34, v36
	v_addc_co_u32_e64 v57, s[22:23], 0, v43, s[22:23]
	v_cndmask_b32_e64 v36, 0, -1, vcc
	v_cmp_eq_u32_e32 vcc, s35, v37
	v_cmp_ne_u32_e64 s[22:23], 0, v49
	v_cndmask_b32_e32 v36, v47, v36, vcc
	v_cndmask_b32_e64 v49, v57, v53, s[22:23]
	v_cmp_ne_u32_e32 vcc, 0, v36
	v_cndmask_b32_e64 v37, v55, v51, s[22:23]
	v_cndmask_b32_e32 v36, v43, v49, vcc
	v_cndmask_b32_e32 v37, v41, v37, vcc
	v_xor_b32_e32 v41, s28, v45
	v_xor_b32_e32 v43, v36, v41
	;; [unrolled: 1-line block ×3, first 2 shown]
	v_sub_co_u32_e32 v36, vcc, v36, v41
	v_subb_co_u32_e32 v37, vcc, v43, v41, vcc
.LBB1134_245:
	s_andn2_saveexec_b64 s[22:23], s[26:27]
	s_cbranch_execz .LBB1134_247
; %bb.246:
	v_cvt_f32_u32_e32 v36, s44
	s_sub_i32 s26, 0, s44
	v_rcp_iflag_f32_e32 v36, v36
	v_mul_f32_e32 v36, 0x4f7ffffe, v36
	v_cvt_u32_f32_e32 v36, v36
	v_mul_lo_u32 v37, s26, v36
	v_mul_hi_u32 v37, v36, v37
	v_add_u32_e32 v36, v36, v37
	v_mul_hi_u32 v36, v38, v36
	v_mul_lo_u32 v37, v36, s44
	v_sub_u32_e32 v37, v38, v37
	v_add_u32_e32 v41, 1, v36
	v_subrev_u32_e32 v43, s44, v37
	v_cmp_le_u32_e32 vcc, s44, v37
	v_cndmask_b32_e32 v37, v37, v43, vcc
	v_cndmask_b32_e32 v36, v36, v41, vcc
	v_add_u32_e32 v41, 1, v36
	v_cmp_le_u32_e32 vcc, s44, v37
	v_cndmask_b32_e32 v36, v36, v41, vcc
	v_mov_b32_e32 v37, 0
.LBB1134_247:
	s_or_b64 exec, exec, s[22:23]
	v_mul_lo_u32 v41, v37, s44
	v_mul_lo_u32 v43, v36, s45
	v_mad_u64_u32 v[62:63], s[22:23], v36, s44, 0
	v_add3_u32 v41, v63, v43, v41
	v_sub_co_u32_e32 v38, vcc, v38, v62
	v_subb_co_u32_e32 v39, vcc, v39, v41, vcc
	v_add_co_u32_e32 v36, vcc, v36, v38
	v_addc_co_u32_e32 v37, vcc, v37, v39, vcc
	s_or_b64 exec, exec, s[24:25]
                                        ; implicit-def: $vgpr38_vgpr39
	s_and_saveexec_b64 s[22:23], s[20:21]
	s_cbranch_execz .LBB1134_218
.LBB1134_248:
	v_mov_b32_e32 v39, s75
	v_add_co_u32_e32 v40, vcc, s74, v40
	v_addc_co_u32_e32 v41, vcc, 0, v39, vcc
	v_mov_b32_e32 v38, 0
	v_or_b32_e32 v39, s45, v41
	v_cmp_ne_u64_e32 vcc, 0, v[38:39]
                                        ; implicit-def: $vgpr38_vgpr39
	s_and_saveexec_b64 s[20:21], vcc
	s_xor_b64 s[24:25], exec, s[20:21]
	s_cbranch_execz .LBB1134_250
; %bb.249:
	s_ashr_i32 s26, s45, 31
	s_add_u32 s20, s44, s26
	s_mov_b32 s27, s26
	s_addc_u32 s21, s45, s26
	s_xor_b64 s[28:29], s[20:21], s[26:27]
	v_cvt_f32_u32_e32 v38, s28
	v_cvt_f32_u32_e32 v39, s29
	s_sub_u32 s20, 0, s28
	s_subb_u32 s21, 0, s29
	v_madmk_f32 v38, v39, 0x4f800000, v38
	v_rcp_f32_e32 v38, v38
	v_mul_f32_e32 v38, 0x5f7ffffc, v38
	v_mul_f32_e32 v39, 0x2f800000, v38
	v_trunc_f32_e32 v39, v39
	v_madmk_f32 v38, v39, 0xcf800000, v38
	v_cvt_u32_f32_e32 v39, v39
	v_cvt_u32_f32_e32 v38, v38
	v_mul_lo_u32 v43, s20, v39
	v_mul_hi_u32 v47, s20, v38
	v_mul_lo_u32 v45, s21, v38
	v_add_u32_e32 v43, v47, v43
	v_mul_lo_u32 v49, s20, v38
	v_add_u32_e32 v43, v43, v45
	v_mul_lo_u32 v47, v38, v43
	v_mul_hi_u32 v51, v38, v49
	v_mul_hi_u32 v45, v38, v43
	v_add_co_u32_e32 v47, vcc, v51, v47
	v_addc_co_u32_e32 v45, vcc, 0, v45, vcc
	v_mul_hi_u32 v53, v39, v49
	v_mul_lo_u32 v49, v39, v49
	v_add_co_u32_e32 v47, vcc, v47, v49
	v_mul_hi_u32 v51, v39, v43
	v_addc_co_u32_e32 v45, vcc, v45, v53, vcc
	v_addc_co_u32_e32 v47, vcc, 0, v51, vcc
	v_mul_lo_u32 v43, v39, v43
	v_add_co_u32_e32 v43, vcc, v45, v43
	v_addc_co_u32_e32 v45, vcc, 0, v47, vcc
	v_add_co_u32_e32 v38, vcc, v38, v43
	v_addc_co_u32_e32 v39, vcc, v39, v45, vcc
	v_mul_lo_u32 v43, s20, v39
	v_mul_hi_u32 v45, s20, v38
	v_add_u32_e32 v43, v45, v43
	v_mul_lo_u32 v45, s21, v38
	v_add_u32_e32 v43, v43, v45
	v_mul_lo_u32 v47, s20, v38
	v_mul_hi_u32 v49, v39, v47
	v_mul_lo_u32 v51, v39, v47
	v_mul_lo_u32 v55, v38, v43
	v_mul_hi_u32 v47, v38, v47
	v_mul_hi_u32 v53, v38, v43
	v_add_co_u32_e32 v47, vcc, v47, v55
	v_addc_co_u32_e32 v53, vcc, 0, v53, vcc
	v_add_co_u32_e32 v47, vcc, v47, v51
	v_mul_hi_u32 v45, v39, v43
	v_addc_co_u32_e32 v47, vcc, v53, v49, vcc
	v_addc_co_u32_e32 v45, vcc, 0, v45, vcc
	v_mul_lo_u32 v43, v39, v43
	v_add_co_u32_e32 v43, vcc, v47, v43
	v_addc_co_u32_e32 v45, vcc, 0, v45, vcc
	v_add_co_u32_e32 v43, vcc, v38, v43
	v_addc_co_u32_e32 v45, vcc, v39, v45, vcc
	v_ashrrev_i32_e32 v47, 31, v41
	v_add_co_u32_e32 v38, vcc, v40, v47
	v_addc_co_u32_e32 v39, vcc, v41, v47, vcc
	v_xor_b32_e32 v51, v38, v47
	v_xor_b32_e32 v49, v39, v47
	v_mad_u64_u32 v[38:39], s[20:21], v51, v45, 0
	v_mul_hi_u32 v53, v51, v43
	v_add_co_u32_e32 v53, vcc, v53, v38
	v_addc_co_u32_e32 v55, vcc, 0, v39, vcc
	v_mad_u64_u32 v[62:63], s[20:21], v49, v43, 0
	v_add_co_u32_e32 v43, vcc, v53, v62
	v_mad_u64_u32 v[38:39], s[20:21], v49, v45, 0
	v_addc_co_u32_e32 v43, vcc, v55, v63, vcc
	v_addc_co_u32_e32 v39, vcc, 0, v39, vcc
	v_add_co_u32_e32 v43, vcc, v43, v38
	v_addc_co_u32_e32 v45, vcc, 0, v39, vcc
	v_mul_lo_u32 v53, s29, v43
	v_mul_lo_u32 v55, s28, v45
	v_mad_u64_u32 v[38:39], s[20:21], s28, v43, 0
	v_add3_u32 v39, v39, v55, v53
	v_sub_u32_e32 v53, v49, v39
	v_mov_b32_e32 v55, s29
	v_sub_co_u32_e32 v38, vcc, v51, v38
	v_subb_co_u32_e64 v51, s[20:21], v53, v55, vcc
	v_subrev_co_u32_e64 v53, s[20:21], s28, v38
	v_subbrev_co_u32_e64 v51, s[20:21], 0, v51, s[20:21]
	v_cmp_le_u32_e64 s[20:21], s29, v51
	v_cndmask_b32_e64 v55, 0, -1, s[20:21]
	v_cmp_le_u32_e64 s[20:21], s28, v53
	v_cndmask_b32_e64 v53, 0, -1, s[20:21]
	v_cmp_eq_u32_e64 s[20:21], s29, v51
	v_cndmask_b32_e64 v51, v55, v53, s[20:21]
	v_add_co_u32_e64 v53, s[20:21], 2, v43
	v_subb_co_u32_e32 v39, vcc, v49, v39, vcc
	v_addc_co_u32_e64 v55, s[20:21], 0, v45, s[20:21]
	v_cmp_le_u32_e32 vcc, s29, v39
	v_add_co_u32_e64 v57, s[20:21], 1, v43
	v_cndmask_b32_e64 v49, 0, -1, vcc
	v_cmp_le_u32_e32 vcc, s28, v38
	v_addc_co_u32_e64 v59, s[20:21], 0, v45, s[20:21]
	v_cndmask_b32_e64 v38, 0, -1, vcc
	v_cmp_eq_u32_e32 vcc, s29, v39
	v_cmp_ne_u32_e64 s[20:21], 0, v51
	v_cndmask_b32_e32 v38, v49, v38, vcc
	v_cndmask_b32_e64 v51, v59, v55, s[20:21]
	v_cmp_ne_u32_e32 vcc, 0, v38
	v_cndmask_b32_e64 v39, v57, v53, s[20:21]
	v_cndmask_b32_e32 v38, v45, v51, vcc
	v_cndmask_b32_e32 v39, v43, v39, vcc
	v_xor_b32_e32 v43, s26, v47
	v_xor_b32_e32 v45, v38, v43
	;; [unrolled: 1-line block ×3, first 2 shown]
	v_sub_co_u32_e32 v38, vcc, v38, v43
	v_subb_co_u32_e32 v39, vcc, v45, v43, vcc
.LBB1134_250:
	s_andn2_saveexec_b64 s[20:21], s[24:25]
	s_cbranch_execz .LBB1134_252
; %bb.251:
	v_cvt_f32_u32_e32 v38, s44
	s_sub_i32 s24, 0, s44
	v_rcp_iflag_f32_e32 v38, v38
	v_mul_f32_e32 v38, 0x4f7ffffe, v38
	v_cvt_u32_f32_e32 v38, v38
	v_mul_lo_u32 v39, s24, v38
	v_mul_hi_u32 v39, v38, v39
	v_add_u32_e32 v38, v38, v39
	v_mul_hi_u32 v38, v40, v38
	v_mul_lo_u32 v39, v38, s44
	v_sub_u32_e32 v39, v40, v39
	v_add_u32_e32 v43, 1, v38
	v_subrev_u32_e32 v45, s44, v39
	v_cmp_le_u32_e32 vcc, s44, v39
	v_cndmask_b32_e32 v39, v39, v45, vcc
	v_cndmask_b32_e32 v38, v38, v43, vcc
	v_add_u32_e32 v43, 1, v38
	v_cmp_le_u32_e32 vcc, s44, v39
	v_cndmask_b32_e32 v38, v38, v43, vcc
	v_mov_b32_e32 v39, 0
.LBB1134_252:
	s_or_b64 exec, exec, s[20:21]
	v_mul_lo_u32 v43, v39, s44
	v_mul_lo_u32 v45, v38, s45
	v_mad_u64_u32 v[62:63], s[20:21], v38, s44, 0
	v_add3_u32 v43, v63, v45, v43
	v_sub_co_u32_e32 v40, vcc, v40, v62
	v_subb_co_u32_e32 v41, vcc, v41, v43, vcc
	v_add_co_u32_e32 v38, vcc, v38, v40
	v_addc_co_u32_e32 v39, vcc, v39, v41, vcc
	s_or_b64 exec, exec, s[22:23]
                                        ; implicit-def: $vgpr40_vgpr41
	s_and_saveexec_b64 s[20:21], s[18:19]
	s_cbranch_execz .LBB1134_219
.LBB1134_253:
	v_mov_b32_e32 v41, s75
	v_add_co_u32_e32 v42, vcc, s74, v42
	v_addc_co_u32_e32 v43, vcc, 0, v41, vcc
	v_mov_b32_e32 v40, 0
	v_or_b32_e32 v41, s45, v43
	v_cmp_ne_u64_e32 vcc, 0, v[40:41]
                                        ; implicit-def: $vgpr40_vgpr41
	s_and_saveexec_b64 s[18:19], vcc
	s_xor_b64 s[22:23], exec, s[18:19]
	s_cbranch_execz .LBB1134_255
; %bb.254:
	s_ashr_i32 s24, s45, 31
	s_add_u32 s18, s44, s24
	s_mov_b32 s25, s24
	s_addc_u32 s19, s45, s24
	s_xor_b64 s[26:27], s[18:19], s[24:25]
	v_cvt_f32_u32_e32 v40, s26
	v_cvt_f32_u32_e32 v41, s27
	s_sub_u32 s18, 0, s26
	s_subb_u32 s19, 0, s27
	v_madmk_f32 v40, v41, 0x4f800000, v40
	v_rcp_f32_e32 v40, v40
	v_mul_f32_e32 v40, 0x5f7ffffc, v40
	v_mul_f32_e32 v41, 0x2f800000, v40
	v_trunc_f32_e32 v41, v41
	v_madmk_f32 v40, v41, 0xcf800000, v40
	v_cvt_u32_f32_e32 v41, v41
	v_cvt_u32_f32_e32 v40, v40
	v_mul_lo_u32 v45, s18, v41
	v_mul_hi_u32 v49, s18, v40
	v_mul_lo_u32 v47, s19, v40
	v_add_u32_e32 v45, v49, v45
	v_mul_lo_u32 v51, s18, v40
	v_add_u32_e32 v45, v45, v47
	v_mul_lo_u32 v49, v40, v45
	v_mul_hi_u32 v53, v40, v51
	v_mul_hi_u32 v47, v40, v45
	v_add_co_u32_e32 v49, vcc, v53, v49
	v_addc_co_u32_e32 v47, vcc, 0, v47, vcc
	v_mul_hi_u32 v55, v41, v51
	v_mul_lo_u32 v51, v41, v51
	v_add_co_u32_e32 v49, vcc, v49, v51
	v_mul_hi_u32 v53, v41, v45
	v_addc_co_u32_e32 v47, vcc, v47, v55, vcc
	v_addc_co_u32_e32 v49, vcc, 0, v53, vcc
	v_mul_lo_u32 v45, v41, v45
	v_add_co_u32_e32 v45, vcc, v47, v45
	v_addc_co_u32_e32 v47, vcc, 0, v49, vcc
	v_add_co_u32_e32 v40, vcc, v40, v45
	v_addc_co_u32_e32 v41, vcc, v41, v47, vcc
	v_mul_lo_u32 v45, s18, v41
	v_mul_hi_u32 v47, s18, v40
	v_add_u32_e32 v45, v47, v45
	v_mul_lo_u32 v47, s19, v40
	v_add_u32_e32 v45, v45, v47
	v_mul_lo_u32 v49, s18, v40
	v_mul_hi_u32 v51, v41, v49
	v_mul_lo_u32 v53, v41, v49
	v_mul_lo_u32 v57, v40, v45
	v_mul_hi_u32 v49, v40, v49
	v_mul_hi_u32 v55, v40, v45
	v_add_co_u32_e32 v49, vcc, v49, v57
	v_addc_co_u32_e32 v55, vcc, 0, v55, vcc
	v_add_co_u32_e32 v49, vcc, v49, v53
	v_mul_hi_u32 v47, v41, v45
	v_addc_co_u32_e32 v49, vcc, v55, v51, vcc
	v_addc_co_u32_e32 v47, vcc, 0, v47, vcc
	v_mul_lo_u32 v45, v41, v45
	v_add_co_u32_e32 v45, vcc, v49, v45
	v_addc_co_u32_e32 v47, vcc, 0, v47, vcc
	v_add_co_u32_e32 v45, vcc, v40, v45
	v_addc_co_u32_e32 v47, vcc, v41, v47, vcc
	v_ashrrev_i32_e32 v49, 31, v43
	v_add_co_u32_e32 v40, vcc, v42, v49
	v_addc_co_u32_e32 v41, vcc, v43, v49, vcc
	v_xor_b32_e32 v53, v40, v49
	v_xor_b32_e32 v51, v41, v49
	v_mad_u64_u32 v[40:41], s[18:19], v53, v47, 0
	v_mul_hi_u32 v55, v53, v45
	v_add_co_u32_e32 v55, vcc, v55, v40
	v_addc_co_u32_e32 v57, vcc, 0, v41, vcc
	v_mad_u64_u32 v[62:63], s[18:19], v51, v45, 0
	v_add_co_u32_e32 v45, vcc, v55, v62
	v_mad_u64_u32 v[40:41], s[18:19], v51, v47, 0
	v_addc_co_u32_e32 v45, vcc, v57, v63, vcc
	v_addc_co_u32_e32 v41, vcc, 0, v41, vcc
	v_add_co_u32_e32 v45, vcc, v45, v40
	v_addc_co_u32_e32 v47, vcc, 0, v41, vcc
	v_mul_lo_u32 v55, s27, v45
	v_mul_lo_u32 v57, s26, v47
	v_mad_u64_u32 v[40:41], s[18:19], s26, v45, 0
	v_add3_u32 v41, v41, v57, v55
	v_sub_u32_e32 v55, v51, v41
	v_mov_b32_e32 v57, s27
	v_sub_co_u32_e32 v40, vcc, v53, v40
	v_subb_co_u32_e64 v53, s[18:19], v55, v57, vcc
	v_subrev_co_u32_e64 v55, s[18:19], s26, v40
	v_subbrev_co_u32_e64 v53, s[18:19], 0, v53, s[18:19]
	v_cmp_le_u32_e64 s[18:19], s27, v53
	v_cndmask_b32_e64 v57, 0, -1, s[18:19]
	v_cmp_le_u32_e64 s[18:19], s26, v55
	v_cndmask_b32_e64 v55, 0, -1, s[18:19]
	v_cmp_eq_u32_e64 s[18:19], s27, v53
	v_cndmask_b32_e64 v53, v57, v55, s[18:19]
	v_add_co_u32_e64 v55, s[18:19], 2, v45
	v_subb_co_u32_e32 v41, vcc, v51, v41, vcc
	v_addc_co_u32_e64 v57, s[18:19], 0, v47, s[18:19]
	v_cmp_le_u32_e32 vcc, s27, v41
	v_add_co_u32_e64 v59, s[18:19], 1, v45
	v_cndmask_b32_e64 v51, 0, -1, vcc
	v_cmp_le_u32_e32 vcc, s26, v40
	v_addc_co_u32_e64 v61, s[18:19], 0, v47, s[18:19]
	v_cndmask_b32_e64 v40, 0, -1, vcc
	v_cmp_eq_u32_e32 vcc, s27, v41
	v_cmp_ne_u32_e64 s[18:19], 0, v53
	v_cndmask_b32_e32 v40, v51, v40, vcc
	v_cndmask_b32_e64 v53, v61, v57, s[18:19]
	v_cmp_ne_u32_e32 vcc, 0, v40
	v_cndmask_b32_e64 v41, v59, v55, s[18:19]
	v_cndmask_b32_e32 v40, v47, v53, vcc
	v_cndmask_b32_e32 v41, v45, v41, vcc
	v_xor_b32_e32 v45, s24, v49
	v_xor_b32_e32 v47, v40, v45
	;; [unrolled: 1-line block ×3, first 2 shown]
	v_sub_co_u32_e32 v40, vcc, v40, v45
	v_subb_co_u32_e32 v41, vcc, v47, v45, vcc
.LBB1134_255:
	s_andn2_saveexec_b64 s[18:19], s[22:23]
	s_cbranch_execz .LBB1134_257
; %bb.256:
	v_cvt_f32_u32_e32 v40, s44
	s_sub_i32 s22, 0, s44
	v_rcp_iflag_f32_e32 v40, v40
	v_mul_f32_e32 v40, 0x4f7ffffe, v40
	v_cvt_u32_f32_e32 v40, v40
	v_mul_lo_u32 v41, s22, v40
	v_mul_hi_u32 v41, v40, v41
	v_add_u32_e32 v40, v40, v41
	v_mul_hi_u32 v40, v42, v40
	v_mul_lo_u32 v41, v40, s44
	v_sub_u32_e32 v41, v42, v41
	v_add_u32_e32 v45, 1, v40
	v_subrev_u32_e32 v47, s44, v41
	v_cmp_le_u32_e32 vcc, s44, v41
	v_cndmask_b32_e32 v41, v41, v47, vcc
	v_cndmask_b32_e32 v40, v40, v45, vcc
	v_add_u32_e32 v45, 1, v40
	v_cmp_le_u32_e32 vcc, s44, v41
	v_cndmask_b32_e32 v40, v40, v45, vcc
	v_mov_b32_e32 v41, 0
.LBB1134_257:
	s_or_b64 exec, exec, s[18:19]
	v_mul_lo_u32 v45, v41, s44
	v_mul_lo_u32 v47, v40, s45
	v_mad_u64_u32 v[62:63], s[18:19], v40, s44, 0
	v_add3_u32 v45, v63, v47, v45
	v_sub_co_u32_e32 v42, vcc, v42, v62
	v_subb_co_u32_e32 v43, vcc, v43, v45, vcc
	v_add_co_u32_e32 v40, vcc, v40, v42
	v_addc_co_u32_e32 v41, vcc, v41, v43, vcc
	s_or_b64 exec, exec, s[20:21]
                                        ; implicit-def: $vgpr42_vgpr43
	s_and_saveexec_b64 s[18:19], s[16:17]
	s_cbranch_execz .LBB1134_220
.LBB1134_258:
	v_mov_b32_e32 v43, s75
	v_add_co_u32_e32 v44, vcc, s74, v44
	v_addc_co_u32_e32 v45, vcc, 0, v43, vcc
	v_mov_b32_e32 v42, 0
	v_or_b32_e32 v43, s45, v45
	v_cmp_ne_u64_e32 vcc, 0, v[42:43]
                                        ; implicit-def: $vgpr42_vgpr43
	s_and_saveexec_b64 s[16:17], vcc
	s_xor_b64 s[20:21], exec, s[16:17]
	s_cbranch_execz .LBB1134_260
; %bb.259:
	s_ashr_i32 s22, s45, 31
	s_add_u32 s16, s44, s22
	s_mov_b32 s23, s22
	s_addc_u32 s17, s45, s22
	s_xor_b64 s[24:25], s[16:17], s[22:23]
	v_cvt_f32_u32_e32 v42, s24
	v_cvt_f32_u32_e32 v43, s25
	s_sub_u32 s16, 0, s24
	s_subb_u32 s17, 0, s25
	v_madmk_f32 v42, v43, 0x4f800000, v42
	v_rcp_f32_e32 v42, v42
	v_mul_f32_e32 v42, 0x5f7ffffc, v42
	v_mul_f32_e32 v43, 0x2f800000, v42
	v_trunc_f32_e32 v43, v43
	v_madmk_f32 v42, v43, 0xcf800000, v42
	v_cvt_u32_f32_e32 v43, v43
	v_cvt_u32_f32_e32 v42, v42
	v_mul_lo_u32 v47, s16, v43
	v_mul_hi_u32 v51, s16, v42
	v_mul_lo_u32 v49, s17, v42
	v_add_u32_e32 v47, v51, v47
	v_mul_lo_u32 v53, s16, v42
	v_add_u32_e32 v47, v47, v49
	v_mul_lo_u32 v51, v42, v47
	v_mul_hi_u32 v55, v42, v53
	v_mul_hi_u32 v49, v42, v47
	v_add_co_u32_e32 v51, vcc, v55, v51
	v_addc_co_u32_e32 v49, vcc, 0, v49, vcc
	v_mul_hi_u32 v57, v43, v53
	v_mul_lo_u32 v53, v43, v53
	v_add_co_u32_e32 v51, vcc, v51, v53
	v_mul_hi_u32 v55, v43, v47
	v_addc_co_u32_e32 v49, vcc, v49, v57, vcc
	v_addc_co_u32_e32 v51, vcc, 0, v55, vcc
	v_mul_lo_u32 v47, v43, v47
	v_add_co_u32_e32 v47, vcc, v49, v47
	v_addc_co_u32_e32 v49, vcc, 0, v51, vcc
	v_add_co_u32_e32 v42, vcc, v42, v47
	v_addc_co_u32_e32 v43, vcc, v43, v49, vcc
	v_mul_lo_u32 v47, s16, v43
	v_mul_hi_u32 v49, s16, v42
	v_add_u32_e32 v47, v49, v47
	v_mul_lo_u32 v49, s17, v42
	v_add_u32_e32 v47, v47, v49
	v_mul_lo_u32 v51, s16, v42
	v_mul_hi_u32 v53, v43, v51
	v_mul_lo_u32 v55, v43, v51
	v_mul_lo_u32 v59, v42, v47
	v_mul_hi_u32 v51, v42, v51
	v_mul_hi_u32 v57, v42, v47
	v_add_co_u32_e32 v51, vcc, v51, v59
	v_addc_co_u32_e32 v57, vcc, 0, v57, vcc
	v_add_co_u32_e32 v51, vcc, v51, v55
	v_mul_hi_u32 v49, v43, v47
	v_addc_co_u32_e32 v51, vcc, v57, v53, vcc
	v_addc_co_u32_e32 v49, vcc, 0, v49, vcc
	v_mul_lo_u32 v47, v43, v47
	v_add_co_u32_e32 v47, vcc, v51, v47
	v_addc_co_u32_e32 v49, vcc, 0, v49, vcc
	v_add_co_u32_e32 v47, vcc, v42, v47
	v_addc_co_u32_e32 v49, vcc, v43, v49, vcc
	v_ashrrev_i32_e32 v51, 31, v45
	v_add_co_u32_e32 v42, vcc, v44, v51
	v_addc_co_u32_e32 v43, vcc, v45, v51, vcc
	v_xor_b32_e32 v55, v42, v51
	v_xor_b32_e32 v53, v43, v51
	v_mad_u64_u32 v[42:43], s[16:17], v55, v49, 0
	v_mul_hi_u32 v57, v55, v47
	v_add_co_u32_e32 v57, vcc, v57, v42
	v_addc_co_u32_e32 v59, vcc, 0, v43, vcc
	v_mad_u64_u32 v[62:63], s[16:17], v53, v47, 0
	v_add_co_u32_e32 v47, vcc, v57, v62
	v_mad_u64_u32 v[42:43], s[16:17], v53, v49, 0
	v_addc_co_u32_e32 v47, vcc, v59, v63, vcc
	v_addc_co_u32_e32 v43, vcc, 0, v43, vcc
	v_add_co_u32_e32 v47, vcc, v47, v42
	v_addc_co_u32_e32 v49, vcc, 0, v43, vcc
	v_mul_lo_u32 v57, s25, v47
	v_mul_lo_u32 v59, s24, v49
	v_mad_u64_u32 v[42:43], s[16:17], s24, v47, 0
	v_add3_u32 v43, v43, v59, v57
	v_sub_u32_e32 v57, v53, v43
	v_mov_b32_e32 v59, s25
	v_sub_co_u32_e32 v42, vcc, v55, v42
	v_subb_co_u32_e64 v55, s[16:17], v57, v59, vcc
	v_subrev_co_u32_e64 v57, s[16:17], s24, v42
	v_subbrev_co_u32_e64 v55, s[16:17], 0, v55, s[16:17]
	v_cmp_le_u32_e64 s[16:17], s25, v55
	v_cndmask_b32_e64 v59, 0, -1, s[16:17]
	v_cmp_le_u32_e64 s[16:17], s24, v57
	v_cndmask_b32_e64 v57, 0, -1, s[16:17]
	v_cmp_eq_u32_e64 s[16:17], s25, v55
	v_cndmask_b32_e64 v55, v59, v57, s[16:17]
	v_add_co_u32_e64 v57, s[16:17], 2, v47
	v_subb_co_u32_e32 v43, vcc, v53, v43, vcc
	v_addc_co_u32_e64 v59, s[16:17], 0, v49, s[16:17]
	v_cmp_le_u32_e32 vcc, s25, v43
	v_add_co_u32_e64 v61, s[16:17], 1, v47
	v_cndmask_b32_e64 v53, 0, -1, vcc
	v_cmp_le_u32_e32 vcc, s24, v42
	v_addc_co_u32_e64 v62, s[16:17], 0, v49, s[16:17]
	v_cndmask_b32_e64 v42, 0, -1, vcc
	v_cmp_eq_u32_e32 vcc, s25, v43
	v_cmp_ne_u32_e64 s[16:17], 0, v55
	v_cndmask_b32_e32 v42, v53, v42, vcc
	v_cndmask_b32_e64 v55, v62, v59, s[16:17]
	v_cmp_ne_u32_e32 vcc, 0, v42
	v_cndmask_b32_e64 v43, v61, v57, s[16:17]
	v_cndmask_b32_e32 v42, v49, v55, vcc
	v_cndmask_b32_e32 v43, v47, v43, vcc
	v_xor_b32_e32 v47, s22, v51
	v_xor_b32_e32 v49, v42, v47
	;; [unrolled: 1-line block ×3, first 2 shown]
	v_sub_co_u32_e32 v42, vcc, v42, v47
	v_subb_co_u32_e32 v43, vcc, v49, v47, vcc
.LBB1134_260:
	s_andn2_saveexec_b64 s[16:17], s[20:21]
	s_cbranch_execz .LBB1134_262
; %bb.261:
	v_cvt_f32_u32_e32 v42, s44
	s_sub_i32 s20, 0, s44
	v_rcp_iflag_f32_e32 v42, v42
	v_mul_f32_e32 v42, 0x4f7ffffe, v42
	v_cvt_u32_f32_e32 v42, v42
	v_mul_lo_u32 v43, s20, v42
	v_mul_hi_u32 v43, v42, v43
	v_add_u32_e32 v42, v42, v43
	v_mul_hi_u32 v42, v44, v42
	v_mul_lo_u32 v43, v42, s44
	v_sub_u32_e32 v43, v44, v43
	v_add_u32_e32 v47, 1, v42
	v_subrev_u32_e32 v49, s44, v43
	v_cmp_le_u32_e32 vcc, s44, v43
	v_cndmask_b32_e32 v43, v43, v49, vcc
	v_cndmask_b32_e32 v42, v42, v47, vcc
	v_add_u32_e32 v47, 1, v42
	v_cmp_le_u32_e32 vcc, s44, v43
	v_cndmask_b32_e32 v42, v42, v47, vcc
	v_mov_b32_e32 v43, 0
.LBB1134_262:
	s_or_b64 exec, exec, s[16:17]
	v_mul_lo_u32 v47, v43, s44
	v_mul_lo_u32 v49, v42, s45
	v_mad_u64_u32 v[62:63], s[16:17], v42, s44, 0
	v_add3_u32 v47, v63, v49, v47
	v_sub_co_u32_e32 v44, vcc, v44, v62
	v_subb_co_u32_e32 v45, vcc, v45, v47, vcc
	v_add_co_u32_e32 v42, vcc, v42, v44
	v_addc_co_u32_e32 v43, vcc, v43, v45, vcc
	s_or_b64 exec, exec, s[18:19]
                                        ; implicit-def: $vgpr44_vgpr45
	s_and_saveexec_b64 s[16:17], s[14:15]
	s_cbranch_execz .LBB1134_221
.LBB1134_263:
	v_mov_b32_e32 v45, s75
	v_add_co_u32_e32 v46, vcc, s74, v46
	v_addc_co_u32_e32 v47, vcc, 0, v45, vcc
	v_mov_b32_e32 v44, 0
	v_or_b32_e32 v45, s45, v47
	v_cmp_ne_u64_e32 vcc, 0, v[44:45]
                                        ; implicit-def: $vgpr44_vgpr45
	s_and_saveexec_b64 s[14:15], vcc
	s_xor_b64 s[18:19], exec, s[14:15]
	s_cbranch_execz .LBB1134_265
; %bb.264:
	s_ashr_i32 s20, s45, 31
	s_add_u32 s14, s44, s20
	s_mov_b32 s21, s20
	s_addc_u32 s15, s45, s20
	s_xor_b64 s[22:23], s[14:15], s[20:21]
	v_cvt_f32_u32_e32 v44, s22
	v_cvt_f32_u32_e32 v45, s23
	s_sub_u32 s14, 0, s22
	s_subb_u32 s15, 0, s23
	v_madmk_f32 v44, v45, 0x4f800000, v44
	v_rcp_f32_e32 v44, v44
	v_mul_f32_e32 v44, 0x5f7ffffc, v44
	v_mul_f32_e32 v45, 0x2f800000, v44
	v_trunc_f32_e32 v45, v45
	v_madmk_f32 v44, v45, 0xcf800000, v44
	v_cvt_u32_f32_e32 v45, v45
	v_cvt_u32_f32_e32 v44, v44
	v_mul_lo_u32 v49, s14, v45
	v_mul_hi_u32 v53, s14, v44
	v_mul_lo_u32 v51, s15, v44
	v_add_u32_e32 v49, v53, v49
	v_mul_lo_u32 v55, s14, v44
	v_add_u32_e32 v49, v49, v51
	v_mul_lo_u32 v53, v44, v49
	v_mul_hi_u32 v57, v44, v55
	v_mul_hi_u32 v51, v44, v49
	v_add_co_u32_e32 v53, vcc, v57, v53
	v_addc_co_u32_e32 v51, vcc, 0, v51, vcc
	v_mul_hi_u32 v59, v45, v55
	v_mul_lo_u32 v55, v45, v55
	v_add_co_u32_e32 v53, vcc, v53, v55
	v_mul_hi_u32 v57, v45, v49
	v_addc_co_u32_e32 v51, vcc, v51, v59, vcc
	v_addc_co_u32_e32 v53, vcc, 0, v57, vcc
	v_mul_lo_u32 v49, v45, v49
	v_add_co_u32_e32 v49, vcc, v51, v49
	v_addc_co_u32_e32 v51, vcc, 0, v53, vcc
	v_add_co_u32_e32 v44, vcc, v44, v49
	v_addc_co_u32_e32 v45, vcc, v45, v51, vcc
	v_mul_lo_u32 v49, s14, v45
	v_mul_hi_u32 v51, s14, v44
	v_add_u32_e32 v49, v51, v49
	v_mul_lo_u32 v51, s15, v44
	v_add_u32_e32 v49, v49, v51
	v_mul_lo_u32 v53, s14, v44
	v_mul_hi_u32 v55, v45, v53
	v_mul_lo_u32 v57, v45, v53
	v_mul_lo_u32 v61, v44, v49
	v_mul_hi_u32 v53, v44, v53
	v_mul_hi_u32 v59, v44, v49
	v_add_co_u32_e32 v53, vcc, v53, v61
	v_addc_co_u32_e32 v59, vcc, 0, v59, vcc
	v_add_co_u32_e32 v53, vcc, v53, v57
	v_mul_hi_u32 v51, v45, v49
	v_addc_co_u32_e32 v53, vcc, v59, v55, vcc
	v_addc_co_u32_e32 v51, vcc, 0, v51, vcc
	v_mul_lo_u32 v49, v45, v49
	v_add_co_u32_e32 v49, vcc, v53, v49
	v_addc_co_u32_e32 v51, vcc, 0, v51, vcc
	v_add_co_u32_e32 v49, vcc, v44, v49
	v_addc_co_u32_e32 v51, vcc, v45, v51, vcc
	v_ashrrev_i32_e32 v53, 31, v47
	v_add_co_u32_e32 v44, vcc, v46, v53
	v_addc_co_u32_e32 v45, vcc, v47, v53, vcc
	v_xor_b32_e32 v57, v44, v53
	v_xor_b32_e32 v55, v45, v53
	v_mad_u64_u32 v[44:45], s[14:15], v57, v51, 0
	v_mul_hi_u32 v59, v57, v49
	v_add_co_u32_e32 v59, vcc, v59, v44
	v_addc_co_u32_e32 v61, vcc, 0, v45, vcc
	v_mad_u64_u32 v[62:63], s[14:15], v55, v49, 0
	v_add_co_u32_e32 v49, vcc, v59, v62
	v_mad_u64_u32 v[44:45], s[14:15], v55, v51, 0
	v_addc_co_u32_e32 v49, vcc, v61, v63, vcc
	v_addc_co_u32_e32 v45, vcc, 0, v45, vcc
	v_add_co_u32_e32 v49, vcc, v49, v44
	v_addc_co_u32_e32 v51, vcc, 0, v45, vcc
	v_mul_lo_u32 v59, s23, v49
	v_mul_lo_u32 v61, s22, v51
	v_mad_u64_u32 v[44:45], s[14:15], s22, v49, 0
	v_add3_u32 v45, v45, v61, v59
	v_sub_u32_e32 v59, v55, v45
	v_mov_b32_e32 v61, s23
	v_sub_co_u32_e32 v44, vcc, v57, v44
	v_subb_co_u32_e64 v57, s[14:15], v59, v61, vcc
	v_subrev_co_u32_e64 v59, s[14:15], s22, v44
	v_subbrev_co_u32_e64 v57, s[14:15], 0, v57, s[14:15]
	v_cmp_le_u32_e64 s[14:15], s23, v57
	v_cndmask_b32_e64 v61, 0, -1, s[14:15]
	v_cmp_le_u32_e64 s[14:15], s22, v59
	v_cndmask_b32_e64 v59, 0, -1, s[14:15]
	v_cmp_eq_u32_e64 s[14:15], s23, v57
	v_cndmask_b32_e64 v57, v61, v59, s[14:15]
	v_add_co_u32_e64 v59, s[14:15], 2, v49
	v_subb_co_u32_e32 v45, vcc, v55, v45, vcc
	v_addc_co_u32_e64 v61, s[14:15], 0, v51, s[14:15]
	v_cmp_le_u32_e32 vcc, s23, v45
	v_add_co_u32_e64 v62, s[14:15], 1, v49
	v_cndmask_b32_e64 v55, 0, -1, vcc
	v_cmp_le_u32_e32 vcc, s22, v44
	v_addc_co_u32_e64 v63, s[14:15], 0, v51, s[14:15]
	v_cndmask_b32_e64 v44, 0, -1, vcc
	v_cmp_eq_u32_e32 vcc, s23, v45
	v_cmp_ne_u32_e64 s[14:15], 0, v57
	v_cndmask_b32_e32 v44, v55, v44, vcc
	v_cndmask_b32_e64 v57, v63, v61, s[14:15]
	v_cmp_ne_u32_e32 vcc, 0, v44
	v_cndmask_b32_e64 v45, v62, v59, s[14:15]
	v_cndmask_b32_e32 v44, v51, v57, vcc
	v_cndmask_b32_e32 v45, v49, v45, vcc
	v_xor_b32_e32 v49, s20, v53
	v_xor_b32_e32 v51, v44, v49
	;; [unrolled: 1-line block ×3, first 2 shown]
	v_sub_co_u32_e32 v44, vcc, v44, v49
	v_subb_co_u32_e32 v45, vcc, v51, v49, vcc
.LBB1134_265:
	s_andn2_saveexec_b64 s[14:15], s[18:19]
	s_cbranch_execz .LBB1134_267
; %bb.266:
	v_cvt_f32_u32_e32 v44, s44
	s_sub_i32 s18, 0, s44
	v_rcp_iflag_f32_e32 v44, v44
	v_mul_f32_e32 v44, 0x4f7ffffe, v44
	v_cvt_u32_f32_e32 v44, v44
	v_mul_lo_u32 v45, s18, v44
	v_mul_hi_u32 v45, v44, v45
	v_add_u32_e32 v44, v44, v45
	v_mul_hi_u32 v44, v46, v44
	v_mul_lo_u32 v45, v44, s44
	v_sub_u32_e32 v45, v46, v45
	v_add_u32_e32 v49, 1, v44
	v_subrev_u32_e32 v51, s44, v45
	v_cmp_le_u32_e32 vcc, s44, v45
	v_cndmask_b32_e32 v45, v45, v51, vcc
	v_cndmask_b32_e32 v44, v44, v49, vcc
	v_add_u32_e32 v49, 1, v44
	v_cmp_le_u32_e32 vcc, s44, v45
	v_cndmask_b32_e32 v44, v44, v49, vcc
	v_mov_b32_e32 v45, 0
.LBB1134_267:
	s_or_b64 exec, exec, s[14:15]
	v_mul_lo_u32 v49, v45, s44
	v_mul_lo_u32 v51, v44, s45
	v_mad_u64_u32 v[62:63], s[14:15], v44, s44, 0
	v_add3_u32 v49, v63, v51, v49
	v_sub_co_u32_e32 v46, vcc, v46, v62
	v_subb_co_u32_e32 v47, vcc, v47, v49, vcc
	v_add_co_u32_e32 v44, vcc, v44, v46
	v_addc_co_u32_e32 v45, vcc, v45, v47, vcc
	s_or_b64 exec, exec, s[16:17]
                                        ; implicit-def: $vgpr46_vgpr47
	s_and_saveexec_b64 s[14:15], s[12:13]
	s_cbranch_execz .LBB1134_222
.LBB1134_268:
	v_mov_b32_e32 v47, s75
	v_add_co_u32_e32 v48, vcc, s74, v48
	v_addc_co_u32_e32 v49, vcc, 0, v47, vcc
	v_mov_b32_e32 v46, 0
	v_or_b32_e32 v47, s45, v49
	v_cmp_ne_u64_e32 vcc, 0, v[46:47]
                                        ; implicit-def: $vgpr46_vgpr47
	s_and_saveexec_b64 s[12:13], vcc
	s_xor_b64 s[16:17], exec, s[12:13]
	s_cbranch_execz .LBB1134_270
; %bb.269:
	s_ashr_i32 s18, s45, 31
	s_add_u32 s12, s44, s18
	s_mov_b32 s19, s18
	s_addc_u32 s13, s45, s18
	s_xor_b64 s[20:21], s[12:13], s[18:19]
	v_cvt_f32_u32_e32 v46, s20
	v_cvt_f32_u32_e32 v47, s21
	s_sub_u32 s12, 0, s20
	s_subb_u32 s13, 0, s21
	v_madmk_f32 v46, v47, 0x4f800000, v46
	v_rcp_f32_e32 v46, v46
	v_mul_f32_e32 v46, 0x5f7ffffc, v46
	v_mul_f32_e32 v47, 0x2f800000, v46
	v_trunc_f32_e32 v47, v47
	v_madmk_f32 v46, v47, 0xcf800000, v46
	v_cvt_u32_f32_e32 v47, v47
	v_cvt_u32_f32_e32 v46, v46
	v_mul_lo_u32 v51, s12, v47
	v_mul_hi_u32 v55, s12, v46
	v_mul_lo_u32 v53, s13, v46
	v_add_u32_e32 v51, v55, v51
	v_mul_lo_u32 v57, s12, v46
	v_add_u32_e32 v51, v51, v53
	v_mul_lo_u32 v55, v46, v51
	v_mul_hi_u32 v59, v46, v57
	v_mul_hi_u32 v53, v46, v51
	v_add_co_u32_e32 v55, vcc, v59, v55
	v_addc_co_u32_e32 v53, vcc, 0, v53, vcc
	v_mul_hi_u32 v61, v47, v57
	v_mul_lo_u32 v57, v47, v57
	v_add_co_u32_e32 v55, vcc, v55, v57
	v_mul_hi_u32 v59, v47, v51
	v_addc_co_u32_e32 v53, vcc, v53, v61, vcc
	v_addc_co_u32_e32 v55, vcc, 0, v59, vcc
	v_mul_lo_u32 v51, v47, v51
	v_add_co_u32_e32 v51, vcc, v53, v51
	v_addc_co_u32_e32 v53, vcc, 0, v55, vcc
	v_add_co_u32_e32 v46, vcc, v46, v51
	v_addc_co_u32_e32 v47, vcc, v47, v53, vcc
	v_mul_lo_u32 v51, s12, v47
	v_mul_hi_u32 v53, s12, v46
	v_add_u32_e32 v51, v53, v51
	v_mul_lo_u32 v53, s13, v46
	v_add_u32_e32 v51, v51, v53
	v_mul_lo_u32 v55, s12, v46
	v_mul_hi_u32 v57, v47, v55
	v_mul_lo_u32 v59, v47, v55
	v_mul_lo_u32 v62, v46, v51
	v_mul_hi_u32 v55, v46, v55
	v_mul_hi_u32 v61, v46, v51
	v_add_co_u32_e32 v55, vcc, v55, v62
	v_addc_co_u32_e32 v61, vcc, 0, v61, vcc
	v_add_co_u32_e32 v55, vcc, v55, v59
	v_mul_hi_u32 v53, v47, v51
	v_addc_co_u32_e32 v55, vcc, v61, v57, vcc
	v_addc_co_u32_e32 v53, vcc, 0, v53, vcc
	v_mul_lo_u32 v51, v47, v51
	v_add_co_u32_e32 v51, vcc, v55, v51
	v_addc_co_u32_e32 v53, vcc, 0, v53, vcc
	v_add_co_u32_e32 v51, vcc, v46, v51
	v_addc_co_u32_e32 v53, vcc, v47, v53, vcc
	v_ashrrev_i32_e32 v55, 31, v49
	v_add_co_u32_e32 v46, vcc, v48, v55
	v_addc_co_u32_e32 v47, vcc, v49, v55, vcc
	v_xor_b32_e32 v59, v46, v55
	v_xor_b32_e32 v57, v47, v55
	v_mad_u64_u32 v[46:47], s[12:13], v59, v53, 0
	v_mul_hi_u32 v61, v59, v51
	v_add_co_u32_e32 v61, vcc, v61, v46
	v_addc_co_u32_e32 v64, vcc, 0, v47, vcc
	v_mad_u64_u32 v[62:63], s[12:13], v57, v51, 0
	v_add_co_u32_e32 v51, vcc, v61, v62
	v_mad_u64_u32 v[46:47], s[12:13], v57, v53, 0
	v_addc_co_u32_e32 v51, vcc, v64, v63, vcc
	v_addc_co_u32_e32 v47, vcc, 0, v47, vcc
	v_add_co_u32_e32 v51, vcc, v51, v46
	v_addc_co_u32_e32 v53, vcc, 0, v47, vcc
	v_mul_lo_u32 v61, s21, v51
	v_mul_lo_u32 v62, s20, v53
	v_mad_u64_u32 v[46:47], s[12:13], s20, v51, 0
	v_add3_u32 v47, v47, v62, v61
	v_sub_u32_e32 v61, v57, v47
	v_mov_b32_e32 v62, s21
	v_sub_co_u32_e32 v46, vcc, v59, v46
	v_subb_co_u32_e64 v59, s[12:13], v61, v62, vcc
	v_subrev_co_u32_e64 v61, s[12:13], s20, v46
	v_subbrev_co_u32_e64 v59, s[12:13], 0, v59, s[12:13]
	v_cmp_le_u32_e64 s[12:13], s21, v59
	v_cndmask_b32_e64 v62, 0, -1, s[12:13]
	v_cmp_le_u32_e64 s[12:13], s20, v61
	v_cndmask_b32_e64 v61, 0, -1, s[12:13]
	v_cmp_eq_u32_e64 s[12:13], s21, v59
	v_cndmask_b32_e64 v59, v62, v61, s[12:13]
	v_add_co_u32_e64 v61, s[12:13], 2, v51
	v_subb_co_u32_e32 v47, vcc, v57, v47, vcc
	v_addc_co_u32_e64 v62, s[12:13], 0, v53, s[12:13]
	v_cmp_le_u32_e32 vcc, s21, v47
	v_add_co_u32_e64 v63, s[12:13], 1, v51
	v_cndmask_b32_e64 v57, 0, -1, vcc
	v_cmp_le_u32_e32 vcc, s20, v46
	v_addc_co_u32_e64 v64, s[12:13], 0, v53, s[12:13]
	v_cndmask_b32_e64 v46, 0, -1, vcc
	v_cmp_eq_u32_e32 vcc, s21, v47
	v_cmp_ne_u32_e64 s[12:13], 0, v59
	v_cndmask_b32_e32 v46, v57, v46, vcc
	v_cndmask_b32_e64 v59, v64, v62, s[12:13]
	v_cmp_ne_u32_e32 vcc, 0, v46
	v_cndmask_b32_e64 v47, v63, v61, s[12:13]
	v_cndmask_b32_e32 v46, v53, v59, vcc
	v_cndmask_b32_e32 v47, v51, v47, vcc
	v_xor_b32_e32 v51, s18, v55
	v_xor_b32_e32 v53, v46, v51
	;; [unrolled: 1-line block ×3, first 2 shown]
	v_sub_co_u32_e32 v46, vcc, v46, v51
	v_subb_co_u32_e32 v47, vcc, v53, v51, vcc
.LBB1134_270:
	s_andn2_saveexec_b64 s[12:13], s[16:17]
	s_cbranch_execz .LBB1134_272
; %bb.271:
	v_cvt_f32_u32_e32 v46, s44
	s_sub_i32 s16, 0, s44
	v_rcp_iflag_f32_e32 v46, v46
	v_mul_f32_e32 v46, 0x4f7ffffe, v46
	v_cvt_u32_f32_e32 v46, v46
	v_mul_lo_u32 v47, s16, v46
	v_mul_hi_u32 v47, v46, v47
	v_add_u32_e32 v46, v46, v47
	v_mul_hi_u32 v46, v48, v46
	v_mul_lo_u32 v47, v46, s44
	v_sub_u32_e32 v47, v48, v47
	v_add_u32_e32 v51, 1, v46
	v_subrev_u32_e32 v53, s44, v47
	v_cmp_le_u32_e32 vcc, s44, v47
	v_cndmask_b32_e32 v47, v47, v53, vcc
	v_cndmask_b32_e32 v46, v46, v51, vcc
	v_add_u32_e32 v51, 1, v46
	v_cmp_le_u32_e32 vcc, s44, v47
	v_cndmask_b32_e32 v46, v46, v51, vcc
	v_mov_b32_e32 v47, 0
.LBB1134_272:
	s_or_b64 exec, exec, s[12:13]
	v_mul_lo_u32 v51, v47, s44
	v_mul_lo_u32 v53, v46, s45
	v_mad_u64_u32 v[62:63], s[12:13], v46, s44, 0
	v_add3_u32 v51, v63, v53, v51
	v_sub_co_u32_e32 v48, vcc, v48, v62
	v_subb_co_u32_e32 v49, vcc, v49, v51, vcc
	v_add_co_u32_e32 v46, vcc, v46, v48
	v_addc_co_u32_e32 v47, vcc, v47, v49, vcc
	s_or_b64 exec, exec, s[14:15]
                                        ; implicit-def: $vgpr48_vgpr49
	s_and_saveexec_b64 s[12:13], s[10:11]
	s_cbranch_execz .LBB1134_223
.LBB1134_273:
	v_mov_b32_e32 v49, s75
	v_add_co_u32_e32 v50, vcc, s74, v50
	v_addc_co_u32_e32 v51, vcc, 0, v49, vcc
	v_mov_b32_e32 v48, 0
	v_or_b32_e32 v49, s45, v51
	v_cmp_ne_u64_e32 vcc, 0, v[48:49]
                                        ; implicit-def: $vgpr48_vgpr49
	s_and_saveexec_b64 s[10:11], vcc
	s_xor_b64 s[14:15], exec, s[10:11]
	s_cbranch_execz .LBB1134_275
; %bb.274:
	s_ashr_i32 s16, s45, 31
	s_add_u32 s10, s44, s16
	s_mov_b32 s17, s16
	s_addc_u32 s11, s45, s16
	s_xor_b64 s[18:19], s[10:11], s[16:17]
	v_cvt_f32_u32_e32 v48, s18
	v_cvt_f32_u32_e32 v49, s19
	s_sub_u32 s10, 0, s18
	s_subb_u32 s11, 0, s19
	v_madmk_f32 v48, v49, 0x4f800000, v48
	v_rcp_f32_e32 v48, v48
	v_mul_f32_e32 v48, 0x5f7ffffc, v48
	v_mul_f32_e32 v49, 0x2f800000, v48
	v_trunc_f32_e32 v49, v49
	v_madmk_f32 v48, v49, 0xcf800000, v48
	v_cvt_u32_f32_e32 v49, v49
	v_cvt_u32_f32_e32 v48, v48
	v_mul_lo_u32 v53, s10, v49
	v_mul_hi_u32 v57, s10, v48
	v_mul_lo_u32 v55, s11, v48
	v_add_u32_e32 v53, v57, v53
	v_mul_lo_u32 v59, s10, v48
	v_add_u32_e32 v53, v53, v55
	v_mul_lo_u32 v57, v48, v53
	v_mul_hi_u32 v61, v48, v59
	v_mul_hi_u32 v55, v48, v53
	v_add_co_u32_e32 v57, vcc, v61, v57
	v_addc_co_u32_e32 v55, vcc, 0, v55, vcc
	v_mul_hi_u32 v62, v49, v59
	v_mul_lo_u32 v59, v49, v59
	v_add_co_u32_e32 v57, vcc, v57, v59
	v_mul_hi_u32 v61, v49, v53
	v_addc_co_u32_e32 v55, vcc, v55, v62, vcc
	v_addc_co_u32_e32 v57, vcc, 0, v61, vcc
	v_mul_lo_u32 v53, v49, v53
	v_add_co_u32_e32 v53, vcc, v55, v53
	v_addc_co_u32_e32 v55, vcc, 0, v57, vcc
	v_add_co_u32_e32 v48, vcc, v48, v53
	v_addc_co_u32_e32 v49, vcc, v49, v55, vcc
	v_mul_lo_u32 v53, s10, v49
	v_mul_hi_u32 v55, s10, v48
	v_add_u32_e32 v53, v55, v53
	v_mul_lo_u32 v55, s11, v48
	v_add_u32_e32 v53, v53, v55
	v_mul_lo_u32 v57, s10, v48
	v_mul_hi_u32 v59, v49, v57
	v_mul_lo_u32 v61, v49, v57
	v_mul_lo_u32 v63, v48, v53
	v_mul_hi_u32 v57, v48, v57
	v_mul_hi_u32 v62, v48, v53
	v_add_co_u32_e32 v57, vcc, v57, v63
	v_addc_co_u32_e32 v62, vcc, 0, v62, vcc
	v_add_co_u32_e32 v57, vcc, v57, v61
	v_mul_hi_u32 v55, v49, v53
	v_addc_co_u32_e32 v57, vcc, v62, v59, vcc
	v_addc_co_u32_e32 v55, vcc, 0, v55, vcc
	v_mul_lo_u32 v53, v49, v53
	v_add_co_u32_e32 v53, vcc, v57, v53
	v_addc_co_u32_e32 v55, vcc, 0, v55, vcc
	v_add_co_u32_e32 v53, vcc, v48, v53
	v_addc_co_u32_e32 v55, vcc, v49, v55, vcc
	v_ashrrev_i32_e32 v57, 31, v51
	v_add_co_u32_e32 v48, vcc, v50, v57
	v_addc_co_u32_e32 v49, vcc, v51, v57, vcc
	v_xor_b32_e32 v61, v48, v57
	v_xor_b32_e32 v59, v49, v57
	v_mad_u64_u32 v[48:49], s[10:11], v61, v55, 0
	v_mul_hi_u32 v62, v61, v53
	v_add_co_u32_e32 v64, vcc, v62, v48
	v_addc_co_u32_e32 v65, vcc, 0, v49, vcc
	v_mad_u64_u32 v[62:63], s[10:11], v59, v53, 0
	v_add_co_u32_e32 v53, vcc, v64, v62
	v_mad_u64_u32 v[48:49], s[10:11], v59, v55, 0
	v_addc_co_u32_e32 v53, vcc, v65, v63, vcc
	v_addc_co_u32_e32 v49, vcc, 0, v49, vcc
	v_add_co_u32_e32 v53, vcc, v53, v48
	v_addc_co_u32_e32 v55, vcc, 0, v49, vcc
	v_mul_lo_u32 v62, s19, v53
	v_mul_lo_u32 v63, s18, v55
	v_mad_u64_u32 v[48:49], s[10:11], s18, v53, 0
	v_add3_u32 v49, v49, v63, v62
	v_sub_u32_e32 v62, v59, v49
	v_mov_b32_e32 v63, s19
	v_sub_co_u32_e32 v48, vcc, v61, v48
	v_subb_co_u32_e64 v61, s[10:11], v62, v63, vcc
	v_subrev_co_u32_e64 v62, s[10:11], s18, v48
	v_subbrev_co_u32_e64 v61, s[10:11], 0, v61, s[10:11]
	v_cmp_le_u32_e64 s[10:11], s19, v61
	v_cndmask_b32_e64 v63, 0, -1, s[10:11]
	v_cmp_le_u32_e64 s[10:11], s18, v62
	v_cndmask_b32_e64 v62, 0, -1, s[10:11]
	v_cmp_eq_u32_e64 s[10:11], s19, v61
	v_cndmask_b32_e64 v61, v63, v62, s[10:11]
	v_add_co_u32_e64 v62, s[10:11], 2, v53
	v_subb_co_u32_e32 v49, vcc, v59, v49, vcc
	v_addc_co_u32_e64 v63, s[10:11], 0, v55, s[10:11]
	v_cmp_le_u32_e32 vcc, s19, v49
	v_add_co_u32_e64 v64, s[10:11], 1, v53
	v_cndmask_b32_e64 v59, 0, -1, vcc
	v_cmp_le_u32_e32 vcc, s18, v48
	v_addc_co_u32_e64 v65, s[10:11], 0, v55, s[10:11]
	v_cndmask_b32_e64 v48, 0, -1, vcc
	v_cmp_eq_u32_e32 vcc, s19, v49
	v_cmp_ne_u32_e64 s[10:11], 0, v61
	v_cndmask_b32_e32 v48, v59, v48, vcc
	v_cndmask_b32_e64 v61, v65, v63, s[10:11]
	v_cmp_ne_u32_e32 vcc, 0, v48
	v_cndmask_b32_e64 v49, v64, v62, s[10:11]
	v_cndmask_b32_e32 v48, v55, v61, vcc
	v_cndmask_b32_e32 v49, v53, v49, vcc
	v_xor_b32_e32 v53, s16, v57
	v_xor_b32_e32 v55, v48, v53
	;; [unrolled: 1-line block ×3, first 2 shown]
	v_sub_co_u32_e32 v48, vcc, v48, v53
	v_subb_co_u32_e32 v49, vcc, v55, v53, vcc
.LBB1134_275:
	s_andn2_saveexec_b64 s[10:11], s[14:15]
	s_cbranch_execz .LBB1134_277
; %bb.276:
	v_cvt_f32_u32_e32 v48, s44
	s_sub_i32 s14, 0, s44
	v_rcp_iflag_f32_e32 v48, v48
	v_mul_f32_e32 v48, 0x4f7ffffe, v48
	v_cvt_u32_f32_e32 v48, v48
	v_mul_lo_u32 v49, s14, v48
	v_mul_hi_u32 v49, v48, v49
	v_add_u32_e32 v48, v48, v49
	v_mul_hi_u32 v48, v50, v48
	v_mul_lo_u32 v49, v48, s44
	v_sub_u32_e32 v49, v50, v49
	v_add_u32_e32 v53, 1, v48
	v_subrev_u32_e32 v55, s44, v49
	v_cmp_le_u32_e32 vcc, s44, v49
	v_cndmask_b32_e32 v49, v49, v55, vcc
	v_cndmask_b32_e32 v48, v48, v53, vcc
	v_add_u32_e32 v53, 1, v48
	v_cmp_le_u32_e32 vcc, s44, v49
	v_cndmask_b32_e32 v48, v48, v53, vcc
	v_mov_b32_e32 v49, 0
.LBB1134_277:
	s_or_b64 exec, exec, s[10:11]
	v_mul_lo_u32 v53, v49, s44
	v_mul_lo_u32 v55, v48, s45
	v_mad_u64_u32 v[62:63], s[10:11], v48, s44, 0
	v_add3_u32 v53, v63, v55, v53
	v_sub_co_u32_e32 v50, vcc, v50, v62
	v_subb_co_u32_e32 v51, vcc, v51, v53, vcc
	v_add_co_u32_e32 v48, vcc, v48, v50
	v_addc_co_u32_e32 v49, vcc, v49, v51, vcc
	s_or_b64 exec, exec, s[12:13]
                                        ; implicit-def: $vgpr50_vgpr51
	s_and_saveexec_b64 s[10:11], s[8:9]
	s_cbranch_execz .LBB1134_224
.LBB1134_278:
	v_mov_b32_e32 v51, s75
	v_add_co_u32_e32 v52, vcc, s74, v52
	v_addc_co_u32_e32 v53, vcc, 0, v51, vcc
	v_mov_b32_e32 v50, 0
	v_or_b32_e32 v51, s45, v53
	v_cmp_ne_u64_e32 vcc, 0, v[50:51]
                                        ; implicit-def: $vgpr50_vgpr51
	s_and_saveexec_b64 s[8:9], vcc
	s_xor_b64 s[12:13], exec, s[8:9]
	s_cbranch_execz .LBB1134_280
; %bb.279:
	s_ashr_i32 s14, s45, 31
	s_add_u32 s8, s44, s14
	s_mov_b32 s15, s14
	s_addc_u32 s9, s45, s14
	s_xor_b64 s[16:17], s[8:9], s[14:15]
	v_cvt_f32_u32_e32 v50, s16
	v_cvt_f32_u32_e32 v51, s17
	s_sub_u32 s8, 0, s16
	s_subb_u32 s9, 0, s17
	v_madmk_f32 v50, v51, 0x4f800000, v50
	v_rcp_f32_e32 v50, v50
	v_mul_f32_e32 v50, 0x5f7ffffc, v50
	v_mul_f32_e32 v51, 0x2f800000, v50
	v_trunc_f32_e32 v51, v51
	v_madmk_f32 v50, v51, 0xcf800000, v50
	v_cvt_u32_f32_e32 v51, v51
	v_cvt_u32_f32_e32 v50, v50
	v_mul_lo_u32 v55, s8, v51
	v_mul_hi_u32 v59, s8, v50
	v_mul_lo_u32 v57, s9, v50
	v_add_u32_e32 v55, v59, v55
	v_mul_lo_u32 v61, s8, v50
	v_add_u32_e32 v55, v55, v57
	v_mul_lo_u32 v59, v50, v55
	v_mul_hi_u32 v62, v50, v61
	v_mul_hi_u32 v57, v50, v55
	v_add_co_u32_e32 v59, vcc, v62, v59
	v_addc_co_u32_e32 v57, vcc, 0, v57, vcc
	v_mul_hi_u32 v63, v51, v61
	v_mul_lo_u32 v61, v51, v61
	v_add_co_u32_e32 v59, vcc, v59, v61
	v_mul_hi_u32 v62, v51, v55
	v_addc_co_u32_e32 v57, vcc, v57, v63, vcc
	v_addc_co_u32_e32 v59, vcc, 0, v62, vcc
	v_mul_lo_u32 v55, v51, v55
	v_add_co_u32_e32 v55, vcc, v57, v55
	v_addc_co_u32_e32 v57, vcc, 0, v59, vcc
	v_add_co_u32_e32 v50, vcc, v50, v55
	v_addc_co_u32_e32 v51, vcc, v51, v57, vcc
	v_mul_lo_u32 v55, s8, v51
	v_mul_hi_u32 v57, s8, v50
	v_add_u32_e32 v55, v57, v55
	v_mul_lo_u32 v57, s9, v50
	v_add_u32_e32 v55, v55, v57
	v_mul_lo_u32 v59, s8, v50
	v_mul_hi_u32 v61, v51, v59
	v_mul_lo_u32 v62, v51, v59
	v_mul_lo_u32 v64, v50, v55
	v_mul_hi_u32 v59, v50, v59
	v_mul_hi_u32 v63, v50, v55
	v_add_co_u32_e32 v59, vcc, v59, v64
	v_addc_co_u32_e32 v63, vcc, 0, v63, vcc
	v_add_co_u32_e32 v59, vcc, v59, v62
	v_mul_hi_u32 v57, v51, v55
	v_addc_co_u32_e32 v59, vcc, v63, v61, vcc
	v_addc_co_u32_e32 v57, vcc, 0, v57, vcc
	v_mul_lo_u32 v55, v51, v55
	v_add_co_u32_e32 v55, vcc, v59, v55
	v_addc_co_u32_e32 v57, vcc, 0, v57, vcc
	v_add_co_u32_e32 v55, vcc, v50, v55
	v_addc_co_u32_e32 v57, vcc, v51, v57, vcc
	v_ashrrev_i32_e32 v59, 31, v53
	v_add_co_u32_e32 v50, vcc, v52, v59
	v_addc_co_u32_e32 v51, vcc, v53, v59, vcc
	v_xor_b32_e32 v64, v50, v59
	v_xor_b32_e32 v61, v51, v59
	v_mad_u64_u32 v[50:51], s[8:9], v64, v57, 0
	v_mul_hi_u32 v62, v64, v55
	v_add_co_u32_e32 v65, vcc, v62, v50
	v_addc_co_u32_e32 v66, vcc, 0, v51, vcc
	v_mad_u64_u32 v[62:63], s[8:9], v61, v55, 0
	v_add_co_u32_e32 v55, vcc, v65, v62
	v_mad_u64_u32 v[50:51], s[8:9], v61, v57, 0
	v_addc_co_u32_e32 v55, vcc, v66, v63, vcc
	v_addc_co_u32_e32 v51, vcc, 0, v51, vcc
	v_add_co_u32_e32 v55, vcc, v55, v50
	v_addc_co_u32_e32 v57, vcc, 0, v51, vcc
	v_mul_lo_u32 v62, s17, v55
	v_mul_lo_u32 v63, s16, v57
	v_mad_u64_u32 v[50:51], s[8:9], s16, v55, 0
	v_add3_u32 v51, v51, v63, v62
	v_sub_u32_e32 v62, v61, v51
	v_mov_b32_e32 v63, s17
	v_sub_co_u32_e32 v50, vcc, v64, v50
	v_subb_co_u32_e64 v62, s[8:9], v62, v63, vcc
	v_subrev_co_u32_e64 v63, s[8:9], s16, v50
	v_subbrev_co_u32_e64 v62, s[8:9], 0, v62, s[8:9]
	v_cmp_le_u32_e64 s[8:9], s17, v62
	v_cndmask_b32_e64 v64, 0, -1, s[8:9]
	v_cmp_le_u32_e64 s[8:9], s16, v63
	v_cndmask_b32_e64 v63, 0, -1, s[8:9]
	v_cmp_eq_u32_e64 s[8:9], s17, v62
	v_cndmask_b32_e64 v62, v64, v63, s[8:9]
	v_add_co_u32_e64 v63, s[8:9], 2, v55
	v_subb_co_u32_e32 v51, vcc, v61, v51, vcc
	v_addc_co_u32_e64 v64, s[8:9], 0, v57, s[8:9]
	v_cmp_le_u32_e32 vcc, s17, v51
	v_add_co_u32_e64 v65, s[8:9], 1, v55
	v_cndmask_b32_e64 v61, 0, -1, vcc
	v_cmp_le_u32_e32 vcc, s16, v50
	v_addc_co_u32_e64 v66, s[8:9], 0, v57, s[8:9]
	v_cndmask_b32_e64 v50, 0, -1, vcc
	v_cmp_eq_u32_e32 vcc, s17, v51
	v_cmp_ne_u32_e64 s[8:9], 0, v62
	v_cndmask_b32_e32 v50, v61, v50, vcc
	v_cndmask_b32_e64 v62, v66, v64, s[8:9]
	v_cmp_ne_u32_e32 vcc, 0, v50
	v_cndmask_b32_e64 v51, v65, v63, s[8:9]
	v_cndmask_b32_e32 v50, v57, v62, vcc
	v_cndmask_b32_e32 v51, v55, v51, vcc
	v_xor_b32_e32 v55, s14, v59
	v_xor_b32_e32 v57, v50, v55
	;; [unrolled: 1-line block ×3, first 2 shown]
	v_sub_co_u32_e32 v50, vcc, v50, v55
	v_subb_co_u32_e32 v51, vcc, v57, v55, vcc
.LBB1134_280:
	s_andn2_saveexec_b64 s[8:9], s[12:13]
	s_cbranch_execz .LBB1134_282
; %bb.281:
	v_cvt_f32_u32_e32 v50, s44
	s_sub_i32 s12, 0, s44
	v_rcp_iflag_f32_e32 v50, v50
	v_mul_f32_e32 v50, 0x4f7ffffe, v50
	v_cvt_u32_f32_e32 v50, v50
	v_mul_lo_u32 v51, s12, v50
	v_mul_hi_u32 v51, v50, v51
	v_add_u32_e32 v50, v50, v51
	v_mul_hi_u32 v50, v52, v50
	v_mul_lo_u32 v51, v50, s44
	v_sub_u32_e32 v51, v52, v51
	v_add_u32_e32 v55, 1, v50
	v_subrev_u32_e32 v57, s44, v51
	v_cmp_le_u32_e32 vcc, s44, v51
	v_cndmask_b32_e32 v51, v51, v57, vcc
	v_cndmask_b32_e32 v50, v50, v55, vcc
	v_add_u32_e32 v55, 1, v50
	v_cmp_le_u32_e32 vcc, s44, v51
	v_cndmask_b32_e32 v50, v50, v55, vcc
	v_mov_b32_e32 v51, 0
.LBB1134_282:
	s_or_b64 exec, exec, s[8:9]
	v_mul_lo_u32 v55, v51, s44
	v_mul_lo_u32 v57, v50, s45
	v_mad_u64_u32 v[62:63], s[8:9], v50, s44, 0
	v_add3_u32 v55, v63, v57, v55
	v_sub_co_u32_e32 v52, vcc, v52, v62
	v_subb_co_u32_e32 v53, vcc, v53, v55, vcc
	v_add_co_u32_e32 v50, vcc, v50, v52
	v_addc_co_u32_e32 v51, vcc, v51, v53, vcc
	s_or_b64 exec, exec, s[10:11]
                                        ; implicit-def: $vgpr52_vgpr53
	s_and_saveexec_b64 s[10:11], s[30:31]
	s_cbranch_execz .LBB1134_225
.LBB1134_283:
	v_mov_b32_e32 v53, s75
	v_add_co_u32_e32 v54, vcc, s74, v54
	v_addc_co_u32_e32 v55, vcc, 0, v53, vcc
	v_mov_b32_e32 v52, 0
	v_or_b32_e32 v53, s45, v55
	v_cmp_ne_u64_e32 vcc, 0, v[52:53]
                                        ; implicit-def: $vgpr52_vgpr53
	s_and_saveexec_b64 s[8:9], vcc
	s_xor_b64 s[12:13], exec, s[8:9]
	s_cbranch_execz .LBB1134_285
; %bb.284:
	s_ashr_i32 s14, s45, 31
	s_add_u32 s8, s44, s14
	s_mov_b32 s15, s14
	s_addc_u32 s9, s45, s14
	s_xor_b64 s[16:17], s[8:9], s[14:15]
	v_cvt_f32_u32_e32 v52, s16
	v_cvt_f32_u32_e32 v53, s17
	s_sub_u32 s8, 0, s16
	s_subb_u32 s9, 0, s17
	v_madmk_f32 v52, v53, 0x4f800000, v52
	v_rcp_f32_e32 v52, v52
	v_mul_f32_e32 v52, 0x5f7ffffc, v52
	v_mul_f32_e32 v53, 0x2f800000, v52
	v_trunc_f32_e32 v53, v53
	v_madmk_f32 v52, v53, 0xcf800000, v52
	v_cvt_u32_f32_e32 v53, v53
	v_cvt_u32_f32_e32 v52, v52
	v_mul_lo_u32 v57, s8, v53
	v_mul_hi_u32 v61, s8, v52
	v_mul_lo_u32 v59, s9, v52
	v_add_u32_e32 v57, v61, v57
	v_mul_lo_u32 v62, s8, v52
	v_add_u32_e32 v57, v57, v59
	v_mul_lo_u32 v61, v52, v57
	v_mul_hi_u32 v63, v52, v62
	v_mul_hi_u32 v59, v52, v57
	v_add_co_u32_e32 v61, vcc, v63, v61
	v_addc_co_u32_e32 v59, vcc, 0, v59, vcc
	v_mul_hi_u32 v64, v53, v62
	v_mul_lo_u32 v62, v53, v62
	v_add_co_u32_e32 v61, vcc, v61, v62
	v_mul_hi_u32 v63, v53, v57
	v_addc_co_u32_e32 v59, vcc, v59, v64, vcc
	v_addc_co_u32_e32 v61, vcc, 0, v63, vcc
	v_mul_lo_u32 v57, v53, v57
	v_add_co_u32_e32 v57, vcc, v59, v57
	v_addc_co_u32_e32 v59, vcc, 0, v61, vcc
	v_add_co_u32_e32 v52, vcc, v52, v57
	v_addc_co_u32_e32 v53, vcc, v53, v59, vcc
	v_mul_lo_u32 v57, s8, v53
	v_mul_hi_u32 v59, s8, v52
	v_add_u32_e32 v57, v59, v57
	v_mul_lo_u32 v59, s9, v52
	v_add_u32_e32 v57, v57, v59
	v_mul_lo_u32 v61, s8, v52
	v_mul_hi_u32 v62, v53, v61
	v_mul_lo_u32 v63, v53, v61
	v_mul_lo_u32 v65, v52, v57
	v_mul_hi_u32 v61, v52, v61
	v_mul_hi_u32 v64, v52, v57
	v_add_co_u32_e32 v61, vcc, v61, v65
	v_addc_co_u32_e32 v64, vcc, 0, v64, vcc
	v_add_co_u32_e32 v61, vcc, v61, v63
	v_mul_hi_u32 v59, v53, v57
	v_addc_co_u32_e32 v61, vcc, v64, v62, vcc
	v_addc_co_u32_e32 v59, vcc, 0, v59, vcc
	v_mul_lo_u32 v57, v53, v57
	v_add_co_u32_e32 v57, vcc, v61, v57
	v_addc_co_u32_e32 v59, vcc, 0, v59, vcc
	v_add_co_u32_e32 v57, vcc, v52, v57
	v_addc_co_u32_e32 v59, vcc, v53, v59, vcc
	v_ashrrev_i32_e32 v61, 31, v55
	v_add_co_u32_e32 v52, vcc, v54, v61
	v_addc_co_u32_e32 v53, vcc, v55, v61, vcc
	v_xor_b32_e32 v65, v52, v61
	v_xor_b32_e32 v64, v53, v61
	v_mad_u64_u32 v[52:53], s[8:9], v65, v59, 0
	v_mul_hi_u32 v62, v65, v57
	v_add_co_u32_e32 v66, vcc, v62, v52
	v_addc_co_u32_e32 v67, vcc, 0, v53, vcc
	v_mad_u64_u32 v[62:63], s[8:9], v64, v57, 0
	v_add_co_u32_e32 v57, vcc, v66, v62
	v_mad_u64_u32 v[52:53], s[8:9], v64, v59, 0
	v_addc_co_u32_e32 v57, vcc, v67, v63, vcc
	v_addc_co_u32_e32 v53, vcc, 0, v53, vcc
	v_add_co_u32_e32 v57, vcc, v57, v52
	v_addc_co_u32_e32 v59, vcc, 0, v53, vcc
	v_mul_lo_u32 v62, s17, v57
	v_mul_lo_u32 v63, s16, v59
	v_mad_u64_u32 v[52:53], s[8:9], s16, v57, 0
	v_add3_u32 v53, v53, v63, v62
	v_sub_u32_e32 v62, v64, v53
	v_mov_b32_e32 v63, s17
	v_sub_co_u32_e32 v52, vcc, v65, v52
	v_subb_co_u32_e64 v62, s[8:9], v62, v63, vcc
	v_subrev_co_u32_e64 v63, s[8:9], s16, v52
	v_subbrev_co_u32_e64 v62, s[8:9], 0, v62, s[8:9]
	v_cmp_le_u32_e64 s[8:9], s17, v62
	v_cndmask_b32_e64 v65, 0, -1, s[8:9]
	v_cmp_le_u32_e64 s[8:9], s16, v63
	v_cndmask_b32_e64 v63, 0, -1, s[8:9]
	v_cmp_eq_u32_e64 s[8:9], s17, v62
	v_cndmask_b32_e64 v62, v65, v63, s[8:9]
	v_add_co_u32_e64 v63, s[8:9], 2, v57
	v_subb_co_u32_e32 v53, vcc, v64, v53, vcc
	v_addc_co_u32_e64 v65, s[8:9], 0, v59, s[8:9]
	v_cmp_le_u32_e32 vcc, s17, v53
	v_add_co_u32_e64 v66, s[8:9], 1, v57
	v_cndmask_b32_e64 v64, 0, -1, vcc
	v_cmp_le_u32_e32 vcc, s16, v52
	v_addc_co_u32_e64 v67, s[8:9], 0, v59, s[8:9]
	v_cndmask_b32_e64 v52, 0, -1, vcc
	v_cmp_eq_u32_e32 vcc, s17, v53
	v_cmp_ne_u32_e64 s[8:9], 0, v62
	v_cndmask_b32_e32 v52, v64, v52, vcc
	v_cndmask_b32_e64 v62, v67, v65, s[8:9]
	v_cmp_ne_u32_e32 vcc, 0, v52
	v_cndmask_b32_e64 v53, v66, v63, s[8:9]
	v_cndmask_b32_e32 v52, v59, v62, vcc
	v_cndmask_b32_e32 v53, v57, v53, vcc
	v_xor_b32_e32 v57, s14, v61
	v_xor_b32_e32 v59, v52, v57
	;; [unrolled: 1-line block ×3, first 2 shown]
	v_sub_co_u32_e32 v52, vcc, v52, v57
	v_subb_co_u32_e32 v53, vcc, v59, v57, vcc
.LBB1134_285:
	s_andn2_saveexec_b64 s[8:9], s[12:13]
	s_cbranch_execz .LBB1134_287
; %bb.286:
	v_cvt_f32_u32_e32 v52, s44
	s_sub_i32 s12, 0, s44
	v_rcp_iflag_f32_e32 v52, v52
	v_mul_f32_e32 v52, 0x4f7ffffe, v52
	v_cvt_u32_f32_e32 v52, v52
	v_mul_lo_u32 v53, s12, v52
	v_mul_hi_u32 v53, v52, v53
	v_add_u32_e32 v52, v52, v53
	v_mul_hi_u32 v52, v54, v52
	v_mul_lo_u32 v53, v52, s44
	v_sub_u32_e32 v53, v54, v53
	v_add_u32_e32 v57, 1, v52
	v_subrev_u32_e32 v59, s44, v53
	v_cmp_le_u32_e32 vcc, s44, v53
	v_cndmask_b32_e32 v53, v53, v59, vcc
	v_cndmask_b32_e32 v52, v52, v57, vcc
	v_add_u32_e32 v57, 1, v52
	v_cmp_le_u32_e32 vcc, s44, v53
	v_cndmask_b32_e32 v52, v52, v57, vcc
	v_mov_b32_e32 v53, 0
.LBB1134_287:
	s_or_b64 exec, exec, s[8:9]
	v_mul_lo_u32 v57, v53, s44
	v_mul_lo_u32 v59, v52, s45
	v_mad_u64_u32 v[62:63], s[8:9], v52, s44, 0
	v_add3_u32 v57, v63, v59, v57
	v_sub_co_u32_e32 v54, vcc, v54, v62
	v_subb_co_u32_e32 v55, vcc, v55, v57, vcc
	v_add_co_u32_e32 v52, vcc, v52, v54
	v_addc_co_u32_e32 v53, vcc, v53, v55, vcc
	s_or_b64 exec, exec, s[10:11]
                                        ; implicit-def: $vgpr54_vgpr55
	s_and_saveexec_b64 s[8:9], s[4:5]
	s_cbranch_execz .LBB1134_226
.LBB1134_288:
	v_mov_b32_e32 v55, s75
	v_add_co_u32_e32 v56, vcc, s74, v56
	v_addc_co_u32_e32 v57, vcc, 0, v55, vcc
	v_mov_b32_e32 v54, 0
	v_or_b32_e32 v55, s45, v57
	v_cmp_ne_u64_e32 vcc, 0, v[54:55]
                                        ; implicit-def: $vgpr54_vgpr55
	s_and_saveexec_b64 s[4:5], vcc
	s_xor_b64 s[10:11], exec, s[4:5]
	s_cbranch_execz .LBB1134_290
; %bb.289:
	s_ashr_i32 s12, s45, 31
	s_add_u32 s4, s44, s12
	s_mov_b32 s13, s12
	s_addc_u32 s5, s45, s12
	s_xor_b64 s[14:15], s[4:5], s[12:13]
	v_cvt_f32_u32_e32 v54, s14
	v_cvt_f32_u32_e32 v55, s15
	s_sub_u32 s4, 0, s14
	s_subb_u32 s5, 0, s15
	v_madmk_f32 v54, v55, 0x4f800000, v54
	v_rcp_f32_e32 v54, v54
	v_mul_f32_e32 v54, 0x5f7ffffc, v54
	v_mul_f32_e32 v55, 0x2f800000, v54
	v_trunc_f32_e32 v55, v55
	v_madmk_f32 v54, v55, 0xcf800000, v54
	v_cvt_u32_f32_e32 v55, v55
	v_cvt_u32_f32_e32 v54, v54
	v_mul_lo_u32 v59, s4, v55
	v_mul_hi_u32 v62, s4, v54
	v_mul_lo_u32 v61, s5, v54
	v_add_u32_e32 v59, v62, v59
	v_mul_lo_u32 v63, s4, v54
	v_add_u32_e32 v59, v59, v61
	v_mul_lo_u32 v62, v54, v59
	v_mul_hi_u32 v64, v54, v63
	v_mul_hi_u32 v61, v54, v59
	v_add_co_u32_e32 v62, vcc, v64, v62
	v_addc_co_u32_e32 v61, vcc, 0, v61, vcc
	v_mul_hi_u32 v65, v55, v63
	v_mul_lo_u32 v63, v55, v63
	v_add_co_u32_e32 v62, vcc, v62, v63
	v_mul_hi_u32 v64, v55, v59
	v_addc_co_u32_e32 v61, vcc, v61, v65, vcc
	v_addc_co_u32_e32 v62, vcc, 0, v64, vcc
	v_mul_lo_u32 v59, v55, v59
	v_add_co_u32_e32 v59, vcc, v61, v59
	v_addc_co_u32_e32 v61, vcc, 0, v62, vcc
	v_add_co_u32_e32 v54, vcc, v54, v59
	v_addc_co_u32_e32 v55, vcc, v55, v61, vcc
	v_mul_lo_u32 v59, s4, v55
	v_mul_hi_u32 v61, s4, v54
	v_add_u32_e32 v59, v61, v59
	v_mul_lo_u32 v61, s5, v54
	v_add_u32_e32 v59, v59, v61
	v_mul_lo_u32 v62, s4, v54
	v_mul_hi_u32 v63, v55, v62
	v_mul_lo_u32 v64, v55, v62
	v_mul_lo_u32 v66, v54, v59
	v_mul_hi_u32 v62, v54, v62
	v_mul_hi_u32 v65, v54, v59
	v_add_co_u32_e32 v62, vcc, v62, v66
	v_addc_co_u32_e32 v65, vcc, 0, v65, vcc
	v_add_co_u32_e32 v62, vcc, v62, v64
	v_mul_hi_u32 v61, v55, v59
	v_addc_co_u32_e32 v62, vcc, v65, v63, vcc
	v_addc_co_u32_e32 v61, vcc, 0, v61, vcc
	v_mul_lo_u32 v59, v55, v59
	v_add_co_u32_e32 v59, vcc, v62, v59
	v_addc_co_u32_e32 v61, vcc, 0, v61, vcc
	v_add_co_u32_e32 v59, vcc, v54, v59
	v_addc_co_u32_e32 v61, vcc, v55, v61, vcc
	v_ashrrev_i32_e32 v64, 31, v57
	v_add_co_u32_e32 v54, vcc, v56, v64
	v_addc_co_u32_e32 v55, vcc, v57, v64, vcc
	v_xor_b32_e32 v66, v54, v64
	v_xor_b32_e32 v65, v55, v64
	v_mad_u64_u32 v[54:55], s[4:5], v66, v61, 0
	v_mul_hi_u32 v62, v66, v59
	v_add_co_u32_e32 v67, vcc, v62, v54
	v_addc_co_u32_e32 v68, vcc, 0, v55, vcc
	v_mad_u64_u32 v[62:63], s[4:5], v65, v59, 0
	v_add_co_u32_e32 v59, vcc, v67, v62
	v_mad_u64_u32 v[54:55], s[4:5], v65, v61, 0
	v_addc_co_u32_e32 v59, vcc, v68, v63, vcc
	v_addc_co_u32_e32 v55, vcc, 0, v55, vcc
	v_add_co_u32_e32 v59, vcc, v59, v54
	v_addc_co_u32_e32 v61, vcc, 0, v55, vcc
	v_mul_lo_u32 v62, s15, v59
	v_mul_lo_u32 v63, s14, v61
	v_mad_u64_u32 v[54:55], s[4:5], s14, v59, 0
	v_add3_u32 v55, v55, v63, v62
	v_sub_u32_e32 v62, v65, v55
	v_mov_b32_e32 v63, s15
	v_sub_co_u32_e32 v54, vcc, v66, v54
	v_subb_co_u32_e64 v62, s[4:5], v62, v63, vcc
	v_subrev_co_u32_e64 v63, s[4:5], s14, v54
	v_subbrev_co_u32_e64 v62, s[4:5], 0, v62, s[4:5]
	v_cmp_le_u32_e64 s[4:5], s15, v62
	v_cndmask_b32_e64 v66, 0, -1, s[4:5]
	v_cmp_le_u32_e64 s[4:5], s14, v63
	v_cndmask_b32_e64 v63, 0, -1, s[4:5]
	v_cmp_eq_u32_e64 s[4:5], s15, v62
	v_cndmask_b32_e64 v62, v66, v63, s[4:5]
	v_add_co_u32_e64 v63, s[4:5], 2, v59
	v_subb_co_u32_e32 v55, vcc, v65, v55, vcc
	v_addc_co_u32_e64 v66, s[4:5], 0, v61, s[4:5]
	v_cmp_le_u32_e32 vcc, s15, v55
	v_add_co_u32_e64 v67, s[4:5], 1, v59
	v_cndmask_b32_e64 v65, 0, -1, vcc
	v_cmp_le_u32_e32 vcc, s14, v54
	v_addc_co_u32_e64 v68, s[4:5], 0, v61, s[4:5]
	v_cndmask_b32_e64 v54, 0, -1, vcc
	v_cmp_eq_u32_e32 vcc, s15, v55
	v_cmp_ne_u32_e64 s[4:5], 0, v62
	v_cndmask_b32_e32 v54, v65, v54, vcc
	v_cndmask_b32_e64 v62, v68, v66, s[4:5]
	v_cmp_ne_u32_e32 vcc, 0, v54
	v_cndmask_b32_e64 v55, v67, v63, s[4:5]
	v_cndmask_b32_e32 v54, v61, v62, vcc
	v_cndmask_b32_e32 v55, v59, v55, vcc
	v_xor_b32_e32 v59, s12, v64
	v_xor_b32_e32 v61, v54, v59
	;; [unrolled: 1-line block ×3, first 2 shown]
	v_sub_co_u32_e32 v54, vcc, v54, v59
	v_subb_co_u32_e32 v55, vcc, v61, v59, vcc
.LBB1134_290:
	s_andn2_saveexec_b64 s[4:5], s[10:11]
	s_cbranch_execz .LBB1134_292
; %bb.291:
	v_cvt_f32_u32_e32 v54, s44
	s_sub_i32 s10, 0, s44
	v_rcp_iflag_f32_e32 v54, v54
	v_mul_f32_e32 v54, 0x4f7ffffe, v54
	v_cvt_u32_f32_e32 v54, v54
	v_mul_lo_u32 v55, s10, v54
	v_mul_hi_u32 v55, v54, v55
	v_add_u32_e32 v54, v54, v55
	v_mul_hi_u32 v54, v56, v54
	v_mul_lo_u32 v55, v54, s44
	v_sub_u32_e32 v55, v56, v55
	v_add_u32_e32 v59, 1, v54
	v_subrev_u32_e32 v61, s44, v55
	v_cmp_le_u32_e32 vcc, s44, v55
	v_cndmask_b32_e32 v55, v55, v61, vcc
	v_cndmask_b32_e32 v54, v54, v59, vcc
	v_add_u32_e32 v59, 1, v54
	v_cmp_le_u32_e32 vcc, s44, v55
	v_cndmask_b32_e32 v54, v54, v59, vcc
	v_mov_b32_e32 v55, 0
.LBB1134_292:
	s_or_b64 exec, exec, s[4:5]
	v_mul_lo_u32 v59, v55, s44
	v_mul_lo_u32 v61, v54, s45
	v_mad_u64_u32 v[62:63], s[4:5], v54, s44, 0
	v_add3_u32 v59, v63, v61, v59
	v_sub_co_u32_e32 v56, vcc, v56, v62
	v_subb_co_u32_e32 v57, vcc, v57, v59, vcc
	v_add_co_u32_e32 v54, vcc, v54, v56
	v_addc_co_u32_e32 v55, vcc, v55, v57, vcc
	s_or_b64 exec, exec, s[8:9]
                                        ; implicit-def: $vgpr56_vgpr57
	s_and_saveexec_b64 s[4:5], s[2:3]
	s_cbranch_execz .LBB1134_227
.LBB1134_293:
	v_mov_b32_e32 v57, s75
	v_add_co_u32_e32 v58, vcc, s74, v58
	v_addc_co_u32_e32 v59, vcc, 0, v57, vcc
	v_mov_b32_e32 v56, 0
	v_or_b32_e32 v57, s45, v59
	v_cmp_ne_u64_e32 vcc, 0, v[56:57]
                                        ; implicit-def: $vgpr56_vgpr57
	s_and_saveexec_b64 s[2:3], vcc
	s_xor_b64 s[8:9], exec, s[2:3]
	s_cbranch_execz .LBB1134_295
; %bb.294:
	s_ashr_i32 s10, s45, 31
	s_add_u32 s2, s44, s10
	s_mov_b32 s11, s10
	s_addc_u32 s3, s45, s10
	s_xor_b64 s[12:13], s[2:3], s[10:11]
	v_cvt_f32_u32_e32 v56, s12
	v_cvt_f32_u32_e32 v57, s13
	s_sub_u32 s2, 0, s12
	s_subb_u32 s3, 0, s13
	v_madmk_f32 v56, v57, 0x4f800000, v56
	v_rcp_f32_e32 v56, v56
	v_mul_f32_e32 v56, 0x5f7ffffc, v56
	v_mul_f32_e32 v57, 0x2f800000, v56
	v_trunc_f32_e32 v57, v57
	v_madmk_f32 v56, v57, 0xcf800000, v56
	v_cvt_u32_f32_e32 v57, v57
	v_cvt_u32_f32_e32 v56, v56
	v_mul_lo_u32 v61, s2, v57
	v_mul_hi_u32 v63, s2, v56
	v_mul_lo_u32 v62, s3, v56
	v_add_u32_e32 v61, v63, v61
	v_mul_lo_u32 v64, s2, v56
	v_add_u32_e32 v61, v61, v62
	v_mul_lo_u32 v63, v56, v61
	v_mul_hi_u32 v65, v56, v64
	v_mul_hi_u32 v62, v56, v61
	v_add_co_u32_e32 v63, vcc, v65, v63
	v_addc_co_u32_e32 v62, vcc, 0, v62, vcc
	v_mul_hi_u32 v66, v57, v64
	v_mul_lo_u32 v64, v57, v64
	v_add_co_u32_e32 v63, vcc, v63, v64
	v_mul_hi_u32 v65, v57, v61
	v_addc_co_u32_e32 v62, vcc, v62, v66, vcc
	v_addc_co_u32_e32 v63, vcc, 0, v65, vcc
	v_mul_lo_u32 v61, v57, v61
	v_add_co_u32_e32 v61, vcc, v62, v61
	v_addc_co_u32_e32 v62, vcc, 0, v63, vcc
	v_add_co_u32_e32 v56, vcc, v56, v61
	v_addc_co_u32_e32 v57, vcc, v57, v62, vcc
	v_mul_lo_u32 v61, s2, v57
	v_mul_hi_u32 v62, s2, v56
	v_add_u32_e32 v61, v62, v61
	v_mul_lo_u32 v62, s3, v56
	v_add_u32_e32 v61, v61, v62
	v_mul_lo_u32 v63, s2, v56
	v_mul_hi_u32 v64, v57, v63
	v_mul_lo_u32 v65, v57, v63
	v_mul_lo_u32 v67, v56, v61
	v_mul_hi_u32 v63, v56, v63
	v_mul_hi_u32 v66, v56, v61
	v_add_co_u32_e32 v63, vcc, v63, v67
	v_addc_co_u32_e32 v66, vcc, 0, v66, vcc
	v_add_co_u32_e32 v63, vcc, v63, v65
	v_mul_hi_u32 v62, v57, v61
	v_addc_co_u32_e32 v63, vcc, v66, v64, vcc
	v_addc_co_u32_e32 v62, vcc, 0, v62, vcc
	v_mul_lo_u32 v61, v57, v61
	v_add_co_u32_e32 v61, vcc, v63, v61
	v_addc_co_u32_e32 v62, vcc, 0, v62, vcc
	v_add_co_u32_e32 v61, vcc, v56, v61
	v_addc_co_u32_e32 v62, vcc, v57, v62, vcc
	v_ashrrev_i32_e32 v64, 31, v59
	v_add_co_u32_e32 v56, vcc, v58, v64
	v_addc_co_u32_e32 v57, vcc, v59, v64, vcc
	v_xor_b32_e32 v66, v56, v64
	v_xor_b32_e32 v65, v57, v64
	v_mad_u64_u32 v[56:57], s[2:3], v66, v62, 0
	v_mul_hi_u32 v63, v66, v61
	v_add_co_u32_e32 v67, vcc, v63, v56
	v_addc_co_u32_e32 v68, vcc, 0, v57, vcc
	v_mad_u64_u32 v[56:57], s[2:3], v65, v62, 0
	v_mad_u64_u32 v[62:63], s[2:3], v65, v61, 0
	v_add_co_u32_e32 v61, vcc, v67, v62
	v_addc_co_u32_e32 v61, vcc, v68, v63, vcc
	v_addc_co_u32_e32 v57, vcc, 0, v57, vcc
	v_add_co_u32_e32 v61, vcc, v61, v56
	v_addc_co_u32_e32 v62, vcc, 0, v57, vcc
	v_mul_lo_u32 v63, s13, v61
	v_mul_lo_u32 v67, s12, v62
	v_mad_u64_u32 v[56:57], s[2:3], s12, v61, 0
	v_add3_u32 v57, v57, v67, v63
	v_sub_u32_e32 v63, v65, v57
	v_mov_b32_e32 v67, s13
	v_sub_co_u32_e32 v56, vcc, v66, v56
	v_subb_co_u32_e64 v63, s[2:3], v63, v67, vcc
	v_subrev_co_u32_e64 v66, s[2:3], s12, v56
	v_subbrev_co_u32_e64 v63, s[2:3], 0, v63, s[2:3]
	v_cmp_le_u32_e64 s[2:3], s13, v63
	v_cndmask_b32_e64 v67, 0, -1, s[2:3]
	v_cmp_le_u32_e64 s[2:3], s12, v66
	v_cndmask_b32_e64 v66, 0, -1, s[2:3]
	v_cmp_eq_u32_e64 s[2:3], s13, v63
	v_cndmask_b32_e64 v63, v67, v66, s[2:3]
	v_add_co_u32_e64 v66, s[2:3], 2, v61
	v_subb_co_u32_e32 v57, vcc, v65, v57, vcc
	v_addc_co_u32_e64 v67, s[2:3], 0, v62, s[2:3]
	v_cmp_le_u32_e32 vcc, s13, v57
	v_add_co_u32_e64 v68, s[2:3], 1, v61
	v_cndmask_b32_e64 v65, 0, -1, vcc
	v_cmp_le_u32_e32 vcc, s12, v56
	v_addc_co_u32_e64 v69, s[2:3], 0, v62, s[2:3]
	v_cndmask_b32_e64 v56, 0, -1, vcc
	v_cmp_eq_u32_e32 vcc, s13, v57
	v_cmp_ne_u32_e64 s[2:3], 0, v63
	v_cndmask_b32_e32 v56, v65, v56, vcc
	v_cndmask_b32_e64 v63, v69, v67, s[2:3]
	v_cmp_ne_u32_e32 vcc, 0, v56
	v_cndmask_b32_e64 v57, v68, v66, s[2:3]
	v_cndmask_b32_e32 v56, v62, v63, vcc
	v_cndmask_b32_e32 v57, v61, v57, vcc
	v_xor_b32_e32 v61, s10, v64
	v_xor_b32_e32 v62, v56, v61
	;; [unrolled: 1-line block ×3, first 2 shown]
	v_sub_co_u32_e32 v56, vcc, v56, v61
	v_subb_co_u32_e32 v57, vcc, v62, v61, vcc
.LBB1134_295:
	s_andn2_saveexec_b64 s[2:3], s[8:9]
	s_cbranch_execz .LBB1134_297
; %bb.296:
	v_cvt_f32_u32_e32 v56, s44
	s_sub_i32 s8, 0, s44
	v_rcp_iflag_f32_e32 v56, v56
	v_mul_f32_e32 v56, 0x4f7ffffe, v56
	v_cvt_u32_f32_e32 v56, v56
	v_mul_lo_u32 v57, s8, v56
	v_mul_hi_u32 v57, v56, v57
	v_add_u32_e32 v56, v56, v57
	v_mul_hi_u32 v56, v58, v56
	v_mul_lo_u32 v57, v56, s44
	v_sub_u32_e32 v57, v58, v57
	v_add_u32_e32 v61, 1, v56
	v_subrev_u32_e32 v62, s44, v57
	v_cmp_le_u32_e32 vcc, s44, v57
	v_cndmask_b32_e32 v57, v57, v62, vcc
	v_cndmask_b32_e32 v56, v56, v61, vcc
	v_add_u32_e32 v61, 1, v56
	v_cmp_le_u32_e32 vcc, s44, v57
	v_cndmask_b32_e32 v56, v56, v61, vcc
	v_mov_b32_e32 v57, 0
.LBB1134_297:
	s_or_b64 exec, exec, s[2:3]
	v_mul_lo_u32 v61, v57, s44
	v_mul_lo_u32 v64, v56, s45
	v_mad_u64_u32 v[62:63], s[2:3], v56, s44, 0
	v_add3_u32 v61, v63, v64, v61
	v_sub_co_u32_e32 v58, vcc, v58, v62
	v_subb_co_u32_e32 v59, vcc, v59, v61, vcc
	v_add_co_u32_e32 v56, vcc, v56, v58
	v_addc_co_u32_e32 v57, vcc, v57, v59, vcc
	s_or_b64 exec, exec, s[4:5]
                                        ; implicit-def: $vgpr58_vgpr59
	s_and_saveexec_b64 s[2:3], s[0:1]
	s_cbranch_execz .LBB1134_303
.LBB1134_298:
	v_mov_b32_e32 v59, s75
	v_add_co_u32_e32 v60, vcc, s74, v60
	v_addc_co_u32_e32 v61, vcc, 0, v59, vcc
	v_mov_b32_e32 v58, 0
	v_or_b32_e32 v59, s45, v61
	v_cmp_ne_u64_e32 vcc, 0, v[58:59]
                                        ; implicit-def: $vgpr58_vgpr59
	s_and_saveexec_b64 s[0:1], vcc
	s_xor_b64 s[4:5], exec, s[0:1]
	s_cbranch_execz .LBB1134_300
; %bb.299:
	s_ashr_i32 s8, s45, 31
	s_add_u32 s0, s44, s8
	s_mov_b32 s9, s8
	s_addc_u32 s1, s45, s8
	s_xor_b64 s[10:11], s[0:1], s[8:9]
	v_cvt_f32_u32_e32 v58, s10
	v_cvt_f32_u32_e32 v59, s11
	s_sub_u32 s0, 0, s10
	s_subb_u32 s1, 0, s11
	v_madmk_f32 v58, v59, 0x4f800000, v58
	v_rcp_f32_e32 v58, v58
	v_mul_f32_e32 v58, 0x5f7ffffc, v58
	v_mul_f32_e32 v59, 0x2f800000, v58
	v_trunc_f32_e32 v59, v59
	v_madmk_f32 v58, v59, 0xcf800000, v58
	v_cvt_u32_f32_e32 v59, v59
	v_cvt_u32_f32_e32 v58, v58
	v_mul_lo_u32 v62, s0, v59
	v_mul_hi_u32 v64, s0, v58
	v_mul_lo_u32 v63, s1, v58
	v_add_u32_e32 v62, v64, v62
	v_mul_lo_u32 v65, s0, v58
	v_add_u32_e32 v62, v62, v63
	v_mul_lo_u32 v64, v58, v62
	v_mul_hi_u32 v66, v58, v65
	v_mul_hi_u32 v63, v58, v62
	v_add_co_u32_e32 v64, vcc, v66, v64
	v_addc_co_u32_e32 v63, vcc, 0, v63, vcc
	v_mul_hi_u32 v67, v59, v65
	v_mul_lo_u32 v65, v59, v65
	v_add_co_u32_e32 v64, vcc, v64, v65
	v_mul_hi_u32 v66, v59, v62
	v_addc_co_u32_e32 v63, vcc, v63, v67, vcc
	v_addc_co_u32_e32 v64, vcc, 0, v66, vcc
	v_mul_lo_u32 v62, v59, v62
	v_add_co_u32_e32 v62, vcc, v63, v62
	v_addc_co_u32_e32 v63, vcc, 0, v64, vcc
	v_add_co_u32_e32 v58, vcc, v58, v62
	v_addc_co_u32_e32 v59, vcc, v59, v63, vcc
	v_mul_lo_u32 v62, s0, v59
	v_mul_hi_u32 v63, s0, v58
	v_add_u32_e32 v62, v63, v62
	v_mul_lo_u32 v63, s1, v58
	v_add_u32_e32 v62, v62, v63
	v_mul_lo_u32 v64, s0, v58
	v_mul_hi_u32 v65, v59, v64
	v_mul_lo_u32 v66, v59, v64
	v_mul_lo_u32 v68, v58, v62
	v_mul_hi_u32 v64, v58, v64
	v_mul_hi_u32 v67, v58, v62
	v_add_co_u32_e32 v64, vcc, v64, v68
	v_addc_co_u32_e32 v67, vcc, 0, v67, vcc
	v_add_co_u32_e32 v64, vcc, v64, v66
	v_mul_hi_u32 v63, v59, v62
	v_addc_co_u32_e32 v64, vcc, v67, v65, vcc
	v_addc_co_u32_e32 v63, vcc, 0, v63, vcc
	v_mul_lo_u32 v62, v59, v62
	v_add_co_u32_e32 v62, vcc, v64, v62
	v_addc_co_u32_e32 v63, vcc, 0, v63, vcc
	v_add_co_u32_e32 v62, vcc, v58, v62
	v_addc_co_u32_e32 v63, vcc, v59, v63, vcc
	v_ashrrev_i32_e32 v64, 31, v61
	v_add_co_u32_e32 v58, vcc, v60, v64
	v_addc_co_u32_e32 v59, vcc, v61, v64, vcc
	v_xor_b32_e32 v66, v58, v64
	v_xor_b32_e32 v65, v59, v64
	v_mad_u64_u32 v[58:59], s[0:1], v66, v63, 0
	v_mul_hi_u32 v67, v66, v62
	v_add_co_u32_e32 v67, vcc, v67, v58
	v_addc_co_u32_e32 v68, vcc, 0, v59, vcc
	v_mad_u64_u32 v[58:59], s[0:1], v65, v63, 0
	v_mad_u64_u32 v[62:63], s[0:1], v65, v62, 0
	v_add_co_u32_e32 v62, vcc, v67, v62
	v_addc_co_u32_e32 v62, vcc, v68, v63, vcc
	v_addc_co_u32_e32 v59, vcc, 0, v59, vcc
	v_add_co_u32_e32 v62, vcc, v62, v58
	v_addc_co_u32_e32 v63, vcc, 0, v59, vcc
	v_mul_lo_u32 v67, s11, v62
	v_mul_lo_u32 v68, s10, v63
	v_mad_u64_u32 v[58:59], s[0:1], s10, v62, 0
	v_add3_u32 v59, v59, v68, v67
	v_sub_u32_e32 v67, v65, v59
	v_mov_b32_e32 v68, s11
	v_sub_co_u32_e32 v58, vcc, v66, v58
	v_subb_co_u32_e64 v66, s[0:1], v67, v68, vcc
	v_subrev_co_u32_e64 v67, s[0:1], s10, v58
	v_subbrev_co_u32_e64 v66, s[0:1], 0, v66, s[0:1]
	v_cmp_le_u32_e64 s[0:1], s11, v66
	v_cndmask_b32_e64 v68, 0, -1, s[0:1]
	v_cmp_le_u32_e64 s[0:1], s10, v67
	v_cndmask_b32_e64 v67, 0, -1, s[0:1]
	v_cmp_eq_u32_e64 s[0:1], s11, v66
	v_cndmask_b32_e64 v66, v68, v67, s[0:1]
	v_add_co_u32_e64 v67, s[0:1], 2, v62
	v_subb_co_u32_e32 v59, vcc, v65, v59, vcc
	v_addc_co_u32_e64 v68, s[0:1], 0, v63, s[0:1]
	v_cmp_le_u32_e32 vcc, s11, v59
	v_add_co_u32_e64 v69, s[0:1], 1, v62
	v_cndmask_b32_e64 v65, 0, -1, vcc
	v_cmp_le_u32_e32 vcc, s10, v58
	v_addc_co_u32_e64 v70, s[0:1], 0, v63, s[0:1]
	v_cndmask_b32_e64 v58, 0, -1, vcc
	v_cmp_eq_u32_e32 vcc, s11, v59
	v_cmp_ne_u32_e64 s[0:1], 0, v66
	v_cndmask_b32_e32 v58, v65, v58, vcc
	v_cndmask_b32_e64 v66, v70, v68, s[0:1]
	v_cmp_ne_u32_e32 vcc, 0, v58
	v_cndmask_b32_e64 v59, v69, v67, s[0:1]
	v_cndmask_b32_e32 v58, v63, v66, vcc
	v_cndmask_b32_e32 v59, v62, v59, vcc
	v_xor_b32_e32 v62, s8, v64
	v_xor_b32_e32 v63, v58, v62
	;; [unrolled: 1-line block ×3, first 2 shown]
	v_sub_co_u32_e32 v58, vcc, v58, v62
	v_subb_co_u32_e32 v59, vcc, v63, v62, vcc
.LBB1134_300:
	s_andn2_saveexec_b64 s[0:1], s[4:5]
	s_cbranch_execz .LBB1134_302
; %bb.301:
	v_cvt_f32_u32_e32 v58, s44
	s_sub_i32 s4, 0, s44
	v_rcp_iflag_f32_e32 v58, v58
	v_mul_f32_e32 v58, 0x4f7ffffe, v58
	v_cvt_u32_f32_e32 v58, v58
	v_mul_lo_u32 v59, s4, v58
	v_mul_hi_u32 v59, v58, v59
	v_add_u32_e32 v58, v58, v59
	v_mul_hi_u32 v58, v60, v58
	v_mul_lo_u32 v59, v58, s44
	v_sub_u32_e32 v59, v60, v59
	v_add_u32_e32 v62, 1, v58
	v_subrev_u32_e32 v63, s44, v59
	v_cmp_le_u32_e32 vcc, s44, v59
	v_cndmask_b32_e32 v59, v59, v63, vcc
	v_cndmask_b32_e32 v58, v58, v62, vcc
	v_add_u32_e32 v62, 1, v58
	v_cmp_le_u32_e32 vcc, s44, v59
	v_cndmask_b32_e32 v58, v58, v62, vcc
	v_mov_b32_e32 v59, 0
.LBB1134_302:
	s_or_b64 exec, exec, s[0:1]
	v_mul_lo_u32 v64, v59, s44
	v_mul_lo_u32 v65, v58, s45
	v_mad_u64_u32 v[62:63], s[0:1], v58, s44, 0
	v_add3_u32 v63, v63, v65, v64
	v_sub_co_u32_e32 v60, vcc, v60, v62
	v_subb_co_u32_e32 v61, vcc, v61, v63, vcc
	v_add_co_u32_e32 v58, vcc, v58, v60
	v_addc_co_u32_e32 v59, vcc, v59, v61, vcc
.LBB1134_303:
	s_or_b64 exec, exec, s[2:3]
	ds_write2st64_b64 v1, v[30:31], v[32:33] offset1:4
	ds_write2st64_b64 v1, v[34:35], v[36:37] offset0:8 offset1:12
	ds_write2st64_b64 v1, v[38:39], v[40:41] offset0:16 offset1:20
	;; [unrolled: 1-line block ×6, first 2 shown]
	ds_write_b64 v1, v[58:59] offset:28672
	v_mov_b32_e32 v58, v26
	v_mov_b32_e32 v59, v27
	;; [unrolled: 1-line block ×14, first 2 shown]
	s_waitcnt lgkmcnt(0)
	s_barrier
.LBB1134_304:
	s_waitcnt lgkmcnt(0)
	ds_read2_b64 v[54:57], v76 offset1:1
	ds_read2_b64 v[50:53], v76 offset0:2 offset1:3
	ds_read2_b64 v[46:49], v76 offset0:4 offset1:5
	;; [unrolled: 1-line block ×6, first 2 shown]
	ds_read_b64 v[72:73], v76 offset:112
	s_cmp_eq_u64 s[40:41], 0
	s_cselect_b64 s[34:35], -1, 0
	s_cmp_lg_u64 s[40:41], 0
	s_mov_b64 s[2:3], 0
	s_cselect_b64 s[30:31], -1, 0
	s_and_b64 vcc, exec, s[42:43]
	s_waitcnt lgkmcnt(0)
	s_barrier
	s_cbranch_vccz .LBB1134_313
; %bb.305:
	s_and_b64 vcc, exec, s[30:31]
	s_cbranch_vccz .LBB1134_314
; %bb.306:
	s_add_u32 s2, s7, -1
	s_addc_u32 s3, s33, -1
	s_or_b64 s[0:1], s[2:3], s[38:39]
	s_mov_b32 s0, 0
	s_cmp_lg_u64 s[0:1], 0
	s_mov_b64 s[4:5], -1
	s_cbranch_scc0 .LBB1134_535
; %bb.307:
	s_ashr_i32 s8, s39, 31
	s_add_u32 s0, s38, s8
	s_mov_b32 s9, s8
	s_addc_u32 s1, s39, s8
	s_xor_b64 s[10:11], s[0:1], s[8:9]
	v_cvt_f32_u32_e32 v1, s10
	v_cvt_f32_u32_e32 v76, s11
	s_sub_u32 s0, 0, s10
	s_subb_u32 s1, 0, s11
	v_madmk_f32 v1, v76, 0x4f800000, v1
	v_rcp_f32_e32 v1, v1
	v_mul_f32_e32 v1, 0x5f7ffffc, v1
	v_mul_f32_e32 v76, 0x2f800000, v1
	v_trunc_f32_e32 v76, v76
	v_madmk_f32 v1, v76, 0xcf800000, v1
	v_cvt_u32_f32_e32 v76, v76
	v_cvt_u32_f32_e32 v1, v1
	v_readfirstlane_b32 s12, v76
	v_readfirstlane_b32 s13, v1
	s_mul_i32 s14, s0, s12
	s_mul_hi_u32 s16, s0, s13
	s_mul_i32 s15, s1, s13
	s_add_i32 s14, s16, s14
	s_add_i32 s14, s14, s15
	s_mul_i32 s17, s0, s13
	s_mul_hi_u32 s15, s13, s14
	s_mul_i32 s16, s13, s14
	s_mul_hi_u32 s13, s13, s17
	s_add_u32 s13, s13, s16
	s_addc_u32 s15, 0, s15
	s_mul_hi_u32 s18, s12, s17
	s_mul_i32 s17, s12, s17
	s_add_u32 s13, s13, s17
	s_mul_hi_u32 s16, s12, s14
	s_addc_u32 s13, s15, s18
	s_addc_u32 s15, s16, 0
	s_mul_i32 s14, s12, s14
	s_add_u32 s13, s13, s14
	s_addc_u32 s14, 0, s15
	v_add_co_u32_e32 v1, vcc, s13, v1
	s_cmp_lg_u64 vcc, 0
	s_addc_u32 s12, s12, s14
	v_readfirstlane_b32 s14, v1
	s_mul_i32 s13, s0, s12
	s_mul_hi_u32 s15, s0, s14
	s_add_i32 s13, s15, s13
	s_mul_i32 s1, s1, s14
	s_add_i32 s13, s13, s1
	s_mul_i32 s0, s0, s14
	s_mul_hi_u32 s15, s12, s0
	s_mul_i32 s16, s12, s0
	s_mul_i32 s18, s14, s13
	s_mul_hi_u32 s0, s14, s0
	s_mul_hi_u32 s17, s14, s13
	s_add_u32 s0, s0, s18
	s_addc_u32 s14, 0, s17
	s_add_u32 s0, s0, s16
	s_mul_hi_u32 s1, s12, s13
	s_addc_u32 s0, s14, s15
	s_addc_u32 s1, s1, 0
	s_mul_i32 s13, s12, s13
	s_add_u32 s0, s0, s13
	s_addc_u32 s1, 0, s1
	v_add_co_u32_e32 v1, vcc, s0, v1
	s_cmp_lg_u64 vcc, 0
	s_addc_u32 s16, s12, s1
	s_ashr_i32 s12, s3, 31
	s_add_u32 s0, s2, s12
	s_mov_b32 s13, s12
	s_addc_u32 s1, s3, s12
	s_xor_b64 s[14:15], s[0:1], s[12:13]
	v_readfirstlane_b32 s3, v1
	s_mul_i32 s1, s14, s16
	s_mul_hi_u32 s17, s14, s3
	s_mul_hi_u32 s0, s14, s16
	s_add_u32 s1, s17, s1
	s_addc_u32 s0, 0, s0
	s_mul_hi_u32 s18, s15, s3
	s_mul_i32 s3, s15, s3
	s_add_u32 s1, s1, s3
	s_mul_hi_u32 s17, s15, s16
	s_addc_u32 s0, s0, s18
	s_addc_u32 s1, s17, 0
	s_mul_i32 s3, s15, s16
	s_add_u32 s3, s0, s3
	s_addc_u32 s16, 0, s1
	s_mul_i32 s0, s10, s16
	s_mul_hi_u32 s1, s10, s3
	s_add_i32 s0, s1, s0
	s_mul_i32 s1, s11, s3
	s_add_i32 s17, s0, s1
	s_mul_i32 s1, s10, s3
	v_mov_b32_e32 v1, s1
	s_sub_i32 s0, s15, s17
	v_sub_co_u32_e32 v1, vcc, s14, v1
	s_cmp_lg_u64 vcc, 0
	s_subb_u32 s14, s0, s11
	v_subrev_co_u32_e64 v76, s[0:1], s10, v1
	s_cmp_lg_u64 s[0:1], 0
	s_subb_u32 s14, s14, 0
	s_cmp_ge_u32 s14, s11
	s_cselect_b32 s18, -1, 0
	v_cmp_le_u32_e64 s[0:1], s10, v76
	s_cmp_eq_u32 s14, s11
	v_cndmask_b32_e64 v76, 0, -1, s[0:1]
	v_mov_b32_e32 v77, s18
	s_cselect_b64 s[0:1], -1, 0
	v_cndmask_b32_e64 v76, v77, v76, s[0:1]
	s_add_u32 s0, s3, 1
	s_addc_u32 s14, s16, 0
	s_add_u32 s1, s3, 2
	s_addc_u32 s18, s16, 0
	v_mov_b32_e32 v77, s0
	v_mov_b32_e32 v78, s1
	v_cmp_ne_u32_e64 s[0:1], 0, v76
	v_cndmask_b32_e64 v76, v77, v78, s[0:1]
	v_mov_b32_e32 v77, s14
	v_mov_b32_e32 v78, s18
	s_cmp_lg_u64 vcc, 0
	v_cndmask_b32_e64 v77, v77, v78, s[0:1]
	s_subb_u32 s0, s15, s17
	s_cmp_ge_u32 s0, s11
	s_cselect_b32 s1, -1, 0
	v_cmp_le_u32_e32 vcc, s10, v1
	s_cmp_eq_u32 s0, s11
	v_cndmask_b32_e64 v1, 0, -1, vcc
	v_mov_b32_e32 v78, s1
	s_cselect_b64 vcc, -1, 0
	v_cndmask_b32_e32 v1, v78, v1, vcc
	v_mov_b32_e32 v78, s16
	v_cmp_ne_u32_e32 vcc, 0, v1
	v_cndmask_b32_e32 v1, v78, v77, vcc
	v_mov_b32_e32 v77, s3
	v_cndmask_b32_e32 v76, v77, v76, vcc
	s_xor_b64 s[0:1], s[12:13], s[8:9]
	v_xor_b32_e32 v76, s0, v76
	v_xor_b32_e32 v1, s1, v1
	v_mov_b32_e32 v77, s1
	v_subrev_co_u32_e32 v76, vcc, s0, v76
	v_subb_co_u32_e32 v77, vcc, v1, v77, vcc
	s_cbranch_execnz .LBB1134_309
.LBB1134_308:
	v_cvt_f32_u32_e32 v1, s38
	s_sub_i32 s0, 0, s38
	s_mov_b32 s1, 0
	v_rcp_iflag_f32_e32 v1, v1
	v_mul_f32_e32 v1, 0x4f7ffffe, v1
	v_cvt_u32_f32_e32 v1, v1
	v_readfirstlane_b32 s3, v1
	s_mul_i32 s0, s0, s3
	s_mul_hi_u32 s0, s3, s0
	s_add_i32 s3, s3, s0
	s_mul_hi_u32 s0, s2, s3
	s_mul_i32 s4, s0, s38
	s_sub_i32 s2, s2, s4
	s_add_i32 s3, s0, 1
	s_sub_i32 s4, s2, s38
	s_cmp_ge_u32 s2, s38
	s_cselect_b32 s0, s3, s0
	s_cselect_b32 s2, s4, s2
	s_add_i32 s3, s0, 1
	s_cmp_ge_u32 s2, s38
	s_cselect_b32 s0, s3, s0
	v_pk_mov_b32 v[76:77], s[0:1], s[0:1] op_sel:[0,1]
.LBB1134_309:
	v_lshlrev_b32_e32 v1, 3, v0
	v_cmp_ne_u64_e32 vcc, v[4:5], v[74:75]
	v_cmp_ne_u64_e64 s[0:1], v[2:3], v[4:5]
	v_cmp_ne_u64_e64 s[2:3], v[8:9], v[2:3]
	;; [unrolled: 1-line block ×13, first 2 shown]
	v_cmp_ne_u32_e64 s[28:29], 0, v0
	ds_write_b64 v1, v[74:75]
	s_waitcnt lgkmcnt(0)
	s_barrier
	s_and_saveexec_b64 s[42:43], s[28:29]
	s_cbranch_execz .LBB1134_311
; %bb.310:
	v_add_u32_e32 v1, -8, v1
	ds_read_b64 v[76:77], v1
.LBB1134_311:
	s_or_b64 exec, exec, s[42:43]
	v_cndmask_b32_e64 v1, 0, 1, vcc
	v_cndmask_b32_e64 v100, 0, 1, s[0:1]
	v_cndmask_b32_e64 v101, 0, 1, s[2:3]
	v_cndmask_b32_e64 v102, 0, 1, s[4:5]
	v_cndmask_b32_e64 v103, 0, 1, s[26:27]
	v_cndmask_b32_e64 v104, 0, 1, s[8:9]
	v_cndmask_b32_e64 v105, 0, 1, s[10:11]
	v_cndmask_b32_e64 v106, 0, 1, s[12:13]
	v_cndmask_b32_e64 v107, 0, 1, s[14:15]
	v_cndmask_b32_e64 v108, 0, 1, s[16:17]
	v_cndmask_b32_e64 v109, 0, 1, s[18:19]
	v_cndmask_b32_e64 v110, 0, 1, s[20:21]
	v_cndmask_b32_e64 v111, 0, 1, s[22:23]
	v_cndmask_b32_e64 v112, 0, 1, s[24:25]
	s_waitcnt lgkmcnt(0)
	v_cmp_ne_u64_e64 s[0:1], v[76:77], v[26:27]
	s_mov_b64 s[2:3], -1
.LBB1134_312:
                                        ; implicit-def: $sgpr10
	s_branch .LBB1134_329
.LBB1134_313:
                                        ; implicit-def: $sgpr0_sgpr1
                                        ; implicit-def: $vgpr1
                                        ; implicit-def: $vgpr100
                                        ; implicit-def: $vgpr101
                                        ; implicit-def: $vgpr102
                                        ; implicit-def: $vgpr103
                                        ; implicit-def: $vgpr104
                                        ; implicit-def: $vgpr105
                                        ; implicit-def: $vgpr106
                                        ; implicit-def: $vgpr107
                                        ; implicit-def: $vgpr108
                                        ; implicit-def: $vgpr109
                                        ; implicit-def: $vgpr110
                                        ; implicit-def: $vgpr111
                                        ; implicit-def: $vgpr112
                                        ; implicit-def: $sgpr10
	s_cbranch_execnz .LBB1134_318
	s_branch .LBB1134_329
.LBB1134_314:
                                        ; implicit-def: $sgpr0_sgpr1
                                        ; implicit-def: $vgpr1
                                        ; implicit-def: $vgpr100
                                        ; implicit-def: $vgpr101
                                        ; implicit-def: $vgpr102
                                        ; implicit-def: $vgpr103
                                        ; implicit-def: $vgpr104
                                        ; implicit-def: $vgpr105
                                        ; implicit-def: $vgpr106
                                        ; implicit-def: $vgpr107
                                        ; implicit-def: $vgpr108
                                        ; implicit-def: $vgpr109
                                        ; implicit-def: $vgpr110
                                        ; implicit-def: $vgpr111
                                        ; implicit-def: $vgpr112
	s_cbranch_execz .LBB1134_312
; %bb.315:
	v_cmp_ne_u64_e32 vcc, v[28:29], v[58:59]
	v_cndmask_b32_e64 v112, 0, 1, vcc
	v_cmp_ne_u64_e32 vcc, v[28:29], v[60:61]
	v_cndmask_b32_e64 v111, 0, 1, vcc
	;; [unrolled: 2-line block ×13, first 2 shown]
	v_cmp_ne_u64_e32 vcc, v[4:5], v[74:75]
	v_lshlrev_b32_e32 v76, 3, v0
	v_cndmask_b32_e64 v1, 0, 1, vcc
	v_cmp_ne_u32_e32 vcc, 0, v0
	ds_write_b64 v76, v[74:75]
	s_waitcnt lgkmcnt(0)
	s_barrier
	s_waitcnt lgkmcnt(0)
                                        ; implicit-def: $sgpr0_sgpr1
	s_and_saveexec_b64 s[4:5], vcc
	s_xor_b64 s[4:5], exec, s[4:5]
	s_cbranch_execz .LBB1134_317
; %bb.316:
	v_add_u32_e32 v58, -8, v76
	ds_read_b64 v[58:59], v58
	s_or_b64 s[2:3], s[2:3], exec
	s_waitcnt lgkmcnt(0)
	v_cmp_ne_u64_e32 vcc, v[58:59], v[26:27]
	s_and_b64 s[0:1], vcc, exec
.LBB1134_317:
	s_or_b64 exec, exec, s[4:5]
	s_mov_b32 s10, 1
	s_branch .LBB1134_329
.LBB1134_318:
	s_mul_hi_u32 s1, s40, 0xfffff100
	s_mul_i32 s0, s41, 0xfffff100
	s_sub_i32 s1, s1, s40
	s_add_i32 s1, s1, s0
	s_mul_i32 s0, s40, 0xfffff100
	s_add_u32 s4, s0, s64
	s_addc_u32 s5, s1, s65
	s_and_b64 vcc, exec, s[30:31]
	s_cbranch_vccz .LBB1134_326
; %bb.319:
	s_add_u32 s2, s7, -1
	s_addc_u32 s3, s33, -1
	s_or_b64 s[0:1], s[2:3], s[38:39]
	s_mov_b32 s0, 0
	s_cmp_lg_u64 s[0:1], 0
	s_mov_b64 s[8:9], -1
	s_cbranch_scc0 .LBB1134_536
; %bb.320:
	s_ashr_i32 s10, s39, 31
	s_add_u32 s0, s38, s10
	s_mov_b32 s11, s10
	s_addc_u32 s1, s39, s10
	s_xor_b64 s[12:13], s[0:1], s[10:11]
	v_cvt_f32_u32_e32 v1, s12
	v_cvt_f32_u32_e32 v58, s13
	s_sub_u32 s0, 0, s12
	s_subb_u32 s1, 0, s13
	v_madmk_f32 v1, v58, 0x4f800000, v1
	v_rcp_f32_e32 v1, v1
	v_mul_f32_e32 v1, 0x5f7ffffc, v1
	v_mul_f32_e32 v58, 0x2f800000, v1
	v_trunc_f32_e32 v58, v58
	v_madmk_f32 v1, v58, 0xcf800000, v1
	v_cvt_u32_f32_e32 v58, v58
	v_cvt_u32_f32_e32 v1, v1
	v_readfirstlane_b32 s7, v58
	v_readfirstlane_b32 s14, v1
	s_mul_i32 s15, s0, s7
	s_mul_hi_u32 s17, s0, s14
	s_mul_i32 s16, s1, s14
	s_add_i32 s15, s17, s15
	s_add_i32 s15, s15, s16
	s_mul_i32 s18, s0, s14
	s_mul_hi_u32 s16, s14, s15
	s_mul_i32 s17, s14, s15
	s_mul_hi_u32 s14, s14, s18
	s_add_u32 s14, s14, s17
	s_addc_u32 s16, 0, s16
	s_mul_hi_u32 s19, s7, s18
	s_mul_i32 s18, s7, s18
	s_add_u32 s14, s14, s18
	s_mul_hi_u32 s17, s7, s15
	s_addc_u32 s14, s16, s19
	s_addc_u32 s16, s17, 0
	s_mul_i32 s15, s7, s15
	s_add_u32 s14, s14, s15
	s_addc_u32 s15, 0, s16
	v_add_co_u32_e32 v1, vcc, s14, v1
	s_cmp_lg_u64 vcc, 0
	s_addc_u32 s7, s7, s15
	v_readfirstlane_b32 s15, v1
	s_mul_i32 s14, s0, s7
	s_mul_hi_u32 s16, s0, s15
	s_add_i32 s14, s16, s14
	s_mul_i32 s1, s1, s15
	s_add_i32 s14, s14, s1
	s_mul_i32 s0, s0, s15
	s_mul_hi_u32 s16, s7, s0
	s_mul_i32 s17, s7, s0
	s_mul_i32 s19, s15, s14
	s_mul_hi_u32 s0, s15, s0
	s_mul_hi_u32 s18, s15, s14
	s_add_u32 s0, s0, s19
	s_addc_u32 s15, 0, s18
	s_add_u32 s0, s0, s17
	s_mul_hi_u32 s1, s7, s14
	s_addc_u32 s0, s15, s16
	s_addc_u32 s1, s1, 0
	s_mul_i32 s14, s7, s14
	s_add_u32 s0, s0, s14
	s_addc_u32 s1, 0, s1
	v_add_co_u32_e32 v1, vcc, s0, v1
	s_cmp_lg_u64 vcc, 0
	s_addc_u32 s7, s7, s1
	s_ashr_i32 s14, s3, 31
	s_add_u32 s0, s2, s14
	s_mov_b32 s15, s14
	s_addc_u32 s1, s3, s14
	s_xor_b64 s[16:17], s[0:1], s[14:15]
	v_readfirstlane_b32 s3, v1
	s_mul_i32 s1, s16, s7
	s_mul_hi_u32 s18, s16, s3
	s_mul_hi_u32 s0, s16, s7
	s_add_u32 s1, s18, s1
	s_addc_u32 s0, 0, s0
	s_mul_hi_u32 s19, s17, s3
	s_mul_i32 s3, s17, s3
	s_add_u32 s1, s1, s3
	s_mul_hi_u32 s18, s17, s7
	s_addc_u32 s0, s0, s19
	s_addc_u32 s1, s18, 0
	s_mul_i32 s3, s17, s7
	s_add_u32 s3, s0, s3
	s_addc_u32 s7, 0, s1
	s_mul_i32 s0, s12, s7
	s_mul_hi_u32 s1, s12, s3
	s_add_i32 s0, s1, s0
	s_mul_i32 s1, s13, s3
	s_add_i32 s18, s0, s1
	s_mul_i32 s1, s12, s3
	v_mov_b32_e32 v1, s1
	s_sub_i32 s0, s17, s18
	v_sub_co_u32_e32 v1, vcc, s16, v1
	s_cmp_lg_u64 vcc, 0
	s_subb_u32 s16, s0, s13
	v_subrev_co_u32_e64 v58, s[0:1], s12, v1
	s_cmp_lg_u64 s[0:1], 0
	s_subb_u32 s16, s16, 0
	s_cmp_ge_u32 s16, s13
	s_cselect_b32 s19, -1, 0
	v_cmp_le_u32_e64 s[0:1], s12, v58
	s_cmp_eq_u32 s16, s13
	v_cndmask_b32_e64 v58, 0, -1, s[0:1]
	v_mov_b32_e32 v59, s19
	s_cselect_b64 s[0:1], -1, 0
	v_cndmask_b32_e64 v58, v59, v58, s[0:1]
	s_add_u32 s0, s3, 1
	s_addc_u32 s16, s7, 0
	s_add_u32 s1, s3, 2
	s_addc_u32 s19, s7, 0
	v_mov_b32_e32 v59, s0
	v_mov_b32_e32 v60, s1
	v_cmp_ne_u32_e64 s[0:1], 0, v58
	v_cndmask_b32_e64 v58, v59, v60, s[0:1]
	v_mov_b32_e32 v59, s16
	v_mov_b32_e32 v60, s19
	s_cmp_lg_u64 vcc, 0
	v_cndmask_b32_e64 v59, v59, v60, s[0:1]
	s_subb_u32 s0, s17, s18
	s_cmp_ge_u32 s0, s13
	s_cselect_b32 s1, -1, 0
	v_cmp_le_u32_e32 vcc, s12, v1
	s_cmp_eq_u32 s0, s13
	v_cndmask_b32_e64 v1, 0, -1, vcc
	v_mov_b32_e32 v60, s1
	s_cselect_b64 vcc, -1, 0
	v_cndmask_b32_e32 v1, v60, v1, vcc
	v_mov_b32_e32 v60, s7
	v_cmp_ne_u32_e32 vcc, 0, v1
	v_cndmask_b32_e32 v1, v60, v59, vcc
	v_mov_b32_e32 v59, s3
	v_cndmask_b32_e32 v58, v59, v58, vcc
	s_xor_b64 s[0:1], s[14:15], s[10:11]
	v_xor_b32_e32 v58, s0, v58
	v_xor_b32_e32 v1, s1, v1
	v_mov_b32_e32 v59, s1
	v_subrev_co_u32_e32 v58, vcc, s0, v58
	v_subb_co_u32_e32 v59, vcc, v1, v59, vcc
	s_cbranch_execnz .LBB1134_322
.LBB1134_321:
	v_cvt_f32_u32_e32 v1, s38
	s_sub_i32 s0, 0, s38
	s_mov_b32 s1, 0
	v_rcp_iflag_f32_e32 v1, v1
	v_mul_f32_e32 v1, 0x4f7ffffe, v1
	v_cvt_u32_f32_e32 v1, v1
	v_readfirstlane_b32 s3, v1
	s_mul_i32 s0, s0, s3
	s_mul_hi_u32 s0, s3, s0
	s_add_i32 s3, s3, s0
	s_mul_hi_u32 s0, s2, s3
	s_mul_i32 s7, s0, s38
	s_sub_i32 s2, s2, s7
	s_add_i32 s3, s0, 1
	s_sub_i32 s7, s2, s38
	s_cmp_ge_u32 s2, s38
	s_cselect_b32 s0, s3, s0
	s_cselect_b32 s2, s7, s2
	s_add_i32 s3, s0, 1
	s_cmp_ge_u32 s2, s38
	s_cselect_b32 s0, s3, s0
	v_pk_mov_b32 v[58:59], s[0:1], s[0:1] op_sel:[0,1]
.LBB1134_322:
	v_mad_u32_u24 v62, v0, 15, 14
	v_mov_b32_e32 v63, 0
	v_cmp_gt_u64_e32 vcc, s[4:5], v[62:63]
	v_cmp_ne_u64_e64 s[0:1], v[4:5], v[74:75]
	v_mad_u32_u24 v62, v0, 15, 13
	s_and_b64 s[2:3], vcc, s[0:1]
	v_cmp_gt_u64_e32 vcc, s[4:5], v[62:63]
	v_cmp_ne_u64_e64 s[0:1], v[2:3], v[4:5]
	v_mad_u32_u24 v62, v0, 15, 12
	s_and_b64 s[8:9], vcc, s[0:1]
	;; [unrolled: 4-line block ×13, first 2 shown]
	v_cmp_gt_u64_e32 vcc, s[4:5], v[62:63]
	v_cmp_ne_u64_e64 s[0:1], v[26:27], v[28:29]
	v_lshlrev_b32_e32 v1, 3, v0
	v_mul_u32_u24_e32 v60, 15, v0
	s_and_b64 s[0:1], vcc, s[0:1]
	v_cmp_ne_u32_e32 vcc, 0, v0
	ds_write_b64 v1, v[74:75]
	s_waitcnt lgkmcnt(0)
	s_barrier
	s_and_saveexec_b64 s[38:39], vcc
	s_cbranch_execz .LBB1134_324
; %bb.323:
	v_add_u32_e32 v1, -8, v1
	ds_read_b64 v[58:59], v1
.LBB1134_324:
	s_or_b64 exec, exec, s[38:39]
	v_mov_b32_e32 v61, v63
	v_cndmask_b32_e64 v112, 0, 1, s[0:1]
	v_cmp_gt_u64_e32 vcc, s[4:5], v[60:61]
	s_waitcnt lgkmcnt(0)
	v_cmp_ne_u64_e64 s[0:1], v[58:59], v[26:27]
	v_cndmask_b32_e64 v1, 0, 1, s[2:3]
	v_cndmask_b32_e64 v100, 0, 1, s[8:9]
	;; [unrolled: 1-line block ×13, first 2 shown]
	s_and_b64 s[0:1], vcc, s[0:1]
	s_mov_b64 s[2:3], -1
.LBB1134_325:
                                        ; implicit-def: $sgpr10
	v_mov_b32_e32 v113, s10
	s_and_saveexec_b64 s[4:5], s[2:3]
	s_cbranch_execnz .LBB1134_330
	s_branch .LBB1134_331
.LBB1134_326:
                                        ; implicit-def: $sgpr0_sgpr1
                                        ; implicit-def: $vgpr1
                                        ; implicit-def: $vgpr100
                                        ; implicit-def: $vgpr101
                                        ; implicit-def: $vgpr102
                                        ; implicit-def: $vgpr103
                                        ; implicit-def: $vgpr104
                                        ; implicit-def: $vgpr105
                                        ; implicit-def: $vgpr106
                                        ; implicit-def: $vgpr107
                                        ; implicit-def: $vgpr108
                                        ; implicit-def: $vgpr109
                                        ; implicit-def: $vgpr110
                                        ; implicit-def: $vgpr111
                                        ; implicit-def: $vgpr112
	s_cbranch_execz .LBB1134_325
; %bb.327:
	v_mad_u32_u24 v58, v0, 15, 14
	v_mov_b32_e32 v59, 0
	v_cmp_gt_u64_e32 vcc, s[4:5], v[58:59]
	v_cmp_ne_u64_e64 s[0:1], v[4:5], v[74:75]
	s_and_b64 s[0:1], vcc, s[0:1]
	v_mad_u32_u24 v58, v0, 15, 13
	v_cndmask_b32_e64 v1, 0, 1, s[0:1]
	v_cmp_gt_u64_e32 vcc, s[4:5], v[58:59]
	v_cmp_ne_u64_e64 s[0:1], v[2:3], v[4:5]
	s_and_b64 s[0:1], vcc, s[0:1]
	v_mad_u32_u24 v58, v0, 15, 12
	v_cndmask_b32_e64 v100, 0, 1, s[0:1]
	v_cmp_gt_u64_e32 vcc, s[4:5], v[58:59]
	v_cmp_ne_u64_e64 s[0:1], v[8:9], v[2:3]
	s_and_b64 s[0:1], vcc, s[0:1]
	v_mad_u32_u24 v58, v0, 15, 11
	v_cndmask_b32_e64 v101, 0, 1, s[0:1]
	v_cmp_gt_u64_e32 vcc, s[4:5], v[58:59]
	v_cmp_ne_u64_e64 s[0:1], v[6:7], v[8:9]
	s_and_b64 s[0:1], vcc, s[0:1]
	v_mad_u32_u24 v58, v0, 15, 10
	v_cndmask_b32_e64 v102, 0, 1, s[0:1]
	v_cmp_gt_u64_e32 vcc, s[4:5], v[58:59]
	v_cmp_ne_u64_e64 s[0:1], v[12:13], v[6:7]
	s_and_b64 s[0:1], vcc, s[0:1]
	v_mad_u32_u24 v58, v0, 15, 9
	v_cndmask_b32_e64 v103, 0, 1, s[0:1]
	v_cmp_gt_u64_e32 vcc, s[4:5], v[58:59]
	v_cmp_ne_u64_e64 s[0:1], v[10:11], v[12:13]
	s_and_b64 s[0:1], vcc, s[0:1]
	v_mad_u32_u24 v58, v0, 15, 8
	v_cndmask_b32_e64 v104, 0, 1, s[0:1]
	v_cmp_gt_u64_e32 vcc, s[4:5], v[58:59]
	v_cmp_ne_u64_e64 s[0:1], v[16:17], v[10:11]
	s_and_b64 s[0:1], vcc, s[0:1]
	v_mad_u32_u24 v58, v0, 15, 7
	v_cndmask_b32_e64 v105, 0, 1, s[0:1]
	v_cmp_gt_u64_e32 vcc, s[4:5], v[58:59]
	v_cmp_ne_u64_e64 s[0:1], v[14:15], v[16:17]
	s_and_b64 s[0:1], vcc, s[0:1]
	v_mad_u32_u24 v58, v0, 15, 6
	v_cndmask_b32_e64 v106, 0, 1, s[0:1]
	v_cmp_gt_u64_e32 vcc, s[4:5], v[58:59]
	v_cmp_ne_u64_e64 s[0:1], v[20:21], v[14:15]
	s_and_b64 s[0:1], vcc, s[0:1]
	v_mad_u32_u24 v58, v0, 15, 5
	v_cndmask_b32_e64 v107, 0, 1, s[0:1]
	v_cmp_gt_u64_e32 vcc, s[4:5], v[58:59]
	v_cmp_ne_u64_e64 s[0:1], v[18:19], v[20:21]
	s_and_b64 s[0:1], vcc, s[0:1]
	v_mad_u32_u24 v58, v0, 15, 4
	v_cndmask_b32_e64 v108, 0, 1, s[0:1]
	v_cmp_gt_u64_e32 vcc, s[4:5], v[58:59]
	v_cmp_ne_u64_e64 s[0:1], v[24:25], v[18:19]
	s_and_b64 s[0:1], vcc, s[0:1]
	v_mad_u32_u24 v58, v0, 15, 3
	v_cndmask_b32_e64 v109, 0, 1, s[0:1]
	v_cmp_gt_u64_e32 vcc, s[4:5], v[58:59]
	v_cmp_ne_u64_e64 s[0:1], v[22:23], v[24:25]
	s_and_b64 s[0:1], vcc, s[0:1]
	v_mad_u32_u24 v58, v0, 15, 2
	v_cndmask_b32_e64 v110, 0, 1, s[0:1]
	v_cmp_gt_u64_e32 vcc, s[4:5], v[58:59]
	v_cmp_ne_u64_e64 s[0:1], v[28:29], v[22:23]
	s_and_b64 s[0:1], vcc, s[0:1]
	v_mad_u32_u24 v58, v0, 15, 1
	v_cndmask_b32_e64 v111, 0, 1, s[0:1]
	v_cmp_gt_u64_e32 vcc, s[4:5], v[58:59]
	v_cmp_ne_u64_e64 s[0:1], v[26:27], v[28:29]
	s_and_b64 s[0:1], vcc, s[0:1]
	v_lshlrev_b32_e32 v60, 3, v0
	s_mov_b32 s10, 1
	v_cndmask_b32_e64 v112, 0, 1, s[0:1]
	v_cmp_ne_u32_e32 vcc, 0, v0
	ds_write_b64 v60, v[74:75]
	s_waitcnt lgkmcnt(0)
	s_barrier
	s_waitcnt lgkmcnt(0)
                                        ; implicit-def: $sgpr0_sgpr1
	s_and_saveexec_b64 s[8:9], vcc
	s_cbranch_execz .LBB1134_466
; %bb.328:
	v_add_u32_e32 v58, -8, v60
	ds_read_b64 v[60:61], v58
	v_mul_u32_u24_e32 v58, 15, v0
	v_cmp_gt_u64_e32 vcc, s[4:5], v[58:59]
	s_or_b64 s[2:3], s[2:3], exec
	s_waitcnt lgkmcnt(0)
	v_cmp_ne_u64_e64 s[0:1], v[60:61], v[26:27]
	s_and_b64 s[0:1], vcc, s[0:1]
	s_and_b64 s[0:1], s[0:1], exec
	s_or_b64 exec, exec, s[8:9]
.LBB1134_329:
	v_mov_b32_e32 v113, s10
	s_and_saveexec_b64 s[4:5], s[2:3]
.LBB1134_330:
	v_cndmask_b32_e64 v113, 0, 1, s[0:1]
.LBB1134_331:
	s_or_b64 exec, exec, s[4:5]
	s_cmp_eq_u64 s[58:59], 0
	v_add3_u32 v58, v112, v113, v111
	v_mov_b32_e32 v96, v54
	v_mov_b32_e32 v97, v55
	s_cselect_b64 s[30:31], -1, 0
	s_cmp_lg_u32 s6, 0
	v_cmp_eq_u32_e64 s[24:25], 0, v112
	v_cmp_eq_u32_e64 s[22:23], 0, v111
	;; [unrolled: 1-line block ×3, first 2 shown]
	v_add3_u32 v115, v58, v110, v109
	v_cmp_eq_u32_e64 s[18:19], 0, v109
	v_cmp_eq_u32_e64 s[16:17], 0, v108
	;; [unrolled: 1-line block ×10, first 2 shown]
	v_cmp_eq_u32_e32 vcc, 0, v1
	v_mbcnt_lo_u32_b32 v114, -1, 0
	s_cbranch_scc0 .LBB1134_398
; %bb.332:
	v_cndmask_b32_e64 v59, 0, v54, s[24:25]
	v_cndmask_b32_e64 v58, 0, v55, s[24:25]
	v_add_co_u32_e64 v59, s[26:27], v59, v56
	v_addc_co_u32_e64 v58, s[26:27], v58, v57, s[26:27]
	v_cndmask_b32_e64 v59, 0, v59, s[22:23]
	v_cndmask_b32_e64 v58, 0, v58, s[22:23]
	v_add_co_u32_e64 v59, s[26:27], v59, v50
	v_addc_co_u32_e64 v58, s[26:27], v58, v51, s[26:27]
	;; [unrolled: 4-line block ×11, first 2 shown]
	v_cndmask_b32_e64 v59, 0, v59, s[2:3]
	v_add3_u32 v60, v115, v108, v107
	v_cndmask_b32_e64 v58, 0, v58, s[2:3]
	v_add_co_u32_e64 v59, s[26:27], v59, v30
	v_add3_u32 v60, v60, v106, v105
	v_addc_co_u32_e64 v58, s[26:27], v58, v31, s[26:27]
	v_cndmask_b32_e64 v59, 0, v59, s[0:1]
	v_add3_u32 v60, v60, v104, v103
	v_cndmask_b32_e64 v58, 0, v58, s[0:1]
	v_add_co_u32_e64 v59, s[26:27], v59, v32
	v_add3_u32 v60, v60, v102, v101
	v_addc_co_u32_e64 v58, s[26:27], v58, v33, s[26:27]
	v_cndmask_b32_e32 v59, 0, v59, vcc
	v_add3_u32 v62, v60, v100, v1
	v_cndmask_b32_e32 v58, 0, v58, vcc
	v_add_co_u32_e32 v60, vcc, v59, v72
	v_mbcnt_hi_u32_b32 v63, -1, v114
	v_addc_co_u32_e32 v61, vcc, v58, v73, vcc
	v_and_b32_e32 v58, 15, v63
	v_mov_b32_dpp v64, v62 row_shr:1 row_mask:0xf bank_mask:0xf
	v_mov_b32_dpp v59, v60 row_shr:1 row_mask:0xf bank_mask:0xf
	;; [unrolled: 1-line block ×3, first 2 shown]
	v_cmp_ne_u32_e32 vcc, 0, v58
	s_and_saveexec_b64 s[26:27], vcc
; %bb.333:
	v_cmp_eq_u32_e32 vcc, 0, v62
	v_cndmask_b32_e32 v59, 0, v59, vcc
	v_add_u32_e32 v64, v64, v62
	v_cndmask_b32_e32 v62, 0, v65, vcc
	v_add_co_u32_e32 v60, vcc, v59, v60
	v_addc_co_u32_e32 v61, vcc, v62, v61, vcc
	v_mov_b32_e32 v62, v64
; %bb.334:
	s_or_b64 exec, exec, s[26:27]
	s_nop 0
	v_mov_b32_dpp v64, v62 row_shr:2 row_mask:0xf bank_mask:0xf
	v_mov_b32_dpp v59, v60 row_shr:2 row_mask:0xf bank_mask:0xf
	v_mov_b32_dpp v65, v61 row_shr:2 row_mask:0xf bank_mask:0xf
	v_cmp_lt_u32_e32 vcc, 1, v58
	s_and_saveexec_b64 s[26:27], vcc
; %bb.335:
	v_cmp_eq_u32_e32 vcc, 0, v62
	v_cndmask_b32_e32 v59, 0, v59, vcc
	v_add_u32_e32 v64, v64, v62
	v_cndmask_b32_e32 v62, 0, v65, vcc
	v_add_co_u32_e32 v60, vcc, v59, v60
	v_addc_co_u32_e32 v61, vcc, v62, v61, vcc
	v_mov_b32_e32 v62, v64
; %bb.336:
	s_or_b64 exec, exec, s[26:27]
	s_nop 0
	v_mov_b32_dpp v64, v62 row_shr:4 row_mask:0xf bank_mask:0xf
	v_mov_b32_dpp v59, v60 row_shr:4 row_mask:0xf bank_mask:0xf
	v_mov_b32_dpp v65, v61 row_shr:4 row_mask:0xf bank_mask:0xf
	v_cmp_lt_u32_e32 vcc, 3, v58
	s_and_saveexec_b64 s[26:27], vcc
; %bb.337:
	v_cmp_eq_u32_e32 vcc, 0, v62
	v_cndmask_b32_e32 v59, 0, v59, vcc
	v_add_u32_e32 v64, v64, v62
	v_cndmask_b32_e32 v62, 0, v65, vcc
	v_add_co_u32_e32 v60, vcc, v59, v60
	v_addc_co_u32_e32 v61, vcc, v62, v61, vcc
	v_mov_b32_e32 v62, v64
; %bb.338:
	s_or_b64 exec, exec, s[26:27]
	s_nop 0
	v_mov_b32_dpp v64, v62 row_shr:8 row_mask:0xf bank_mask:0xf
	v_mov_b32_dpp v59, v60 row_shr:8 row_mask:0xf bank_mask:0xf
	v_mov_b32_dpp v65, v61 row_shr:8 row_mask:0xf bank_mask:0xf
	v_cmp_lt_u32_e32 vcc, 7, v58
	s_and_saveexec_b64 s[26:27], vcc
; %bb.339:
	v_cmp_eq_u32_e32 vcc, 0, v62
	v_cndmask_b32_e32 v59, 0, v59, vcc
	v_add_u32_e32 v58, v64, v62
	v_cndmask_b32_e32 v62, 0, v65, vcc
	v_add_co_u32_e32 v60, vcc, v59, v60
	v_addc_co_u32_e32 v61, vcc, v62, v61, vcc
	v_mov_b32_e32 v62, v58
; %bb.340:
	s_or_b64 exec, exec, s[26:27]
	v_and_b32_e32 v65, 16, v63
	v_mov_b32_dpp v59, v62 row_bcast:15 row_mask:0xf bank_mask:0xf
	v_mov_b32_dpp v58, v60 row_bcast:15 row_mask:0xf bank_mask:0xf
	;; [unrolled: 1-line block ×3, first 2 shown]
	v_cmp_ne_u32_e32 vcc, 0, v65
	s_and_saveexec_b64 s[26:27], vcc
; %bb.341:
	v_cmp_eq_u32_e32 vcc, 0, v62
	v_cndmask_b32_e32 v58, 0, v58, vcc
	v_add_u32_e32 v59, v59, v62
	v_cndmask_b32_e32 v62, 0, v64, vcc
	v_add_co_u32_e32 v60, vcc, v58, v60
	v_addc_co_u32_e32 v61, vcc, v62, v61, vcc
	v_mov_b32_e32 v62, v59
; %bb.342:
	s_or_b64 exec, exec, s[26:27]
	s_nop 0
	v_mov_b32_dpp v59, v62 row_bcast:31 row_mask:0xf bank_mask:0xf
	v_mov_b32_dpp v58, v60 row_bcast:31 row_mask:0xf bank_mask:0xf
	;; [unrolled: 1-line block ×3, first 2 shown]
	v_cmp_lt_u32_e32 vcc, 31, v63
	s_and_saveexec_b64 s[26:27], vcc
; %bb.343:
	v_cmp_eq_u32_e32 vcc, 0, v62
	v_cndmask_b32_e32 v58, 0, v58, vcc
	v_add_u32_e32 v59, v59, v62
	v_cndmask_b32_e32 v62, 0, v64, vcc
	v_add_co_u32_e32 v60, vcc, v58, v60
	v_addc_co_u32_e32 v61, vcc, v62, v61, vcc
	v_mov_b32_e32 v62, v59
; %bb.344:
	s_or_b64 exec, exec, s[26:27]
	v_lshrrev_b32_e32 v58, 6, v0
	v_or_b32_e32 v59, 63, v0
	v_cmp_eq_u32_e32 vcc, v59, v0
	v_lshlrev_b32_e32 v64, 4, v58
	s_and_saveexec_b64 s[26:27], vcc
	s_cbranch_execz .LBB1134_346
; %bb.345:
	ds_write_b32 v64, v62 offset:4128
	ds_write_b64 v64, v[60:61] offset:4136
.LBB1134_346:
	s_or_b64 exec, exec, s[26:27]
	v_cmp_gt_u32_e32 vcc, 4, v0
	s_waitcnt lgkmcnt(0)
	s_barrier
	s_and_saveexec_b64 s[26:27], vcc
	s_cbranch_execz .LBB1134_352
; %bb.347:
	v_lshlrev_b32_e32 v65, 4, v0
	ds_read_b32 v66, v65 offset:4128
	ds_read_b64 v[58:59], v65 offset:4136
	v_and_b32_e32 v67, 3, v63
	v_cmp_ne_u32_e32 vcc, 0, v67
	s_waitcnt lgkmcnt(1)
	v_mov_b32_dpp v69, v66 row_shr:1 row_mask:0xf bank_mask:0xf
	s_waitcnt lgkmcnt(0)
	v_mov_b32_dpp v68, v58 row_shr:1 row_mask:0xf bank_mask:0xf
	v_mov_b32_dpp v70, v59 row_shr:1 row_mask:0xf bank_mask:0xf
	s_and_saveexec_b64 s[38:39], vcc
; %bb.348:
	v_cmp_eq_u32_e32 vcc, 0, v66
	v_cndmask_b32_e32 v68, 0, v68, vcc
	v_add_u32_e32 v69, v69, v66
	v_cndmask_b32_e32 v66, 0, v70, vcc
	v_add_co_u32_e32 v58, vcc, v68, v58
	v_addc_co_u32_e32 v59, vcc, v66, v59, vcc
	v_mov_b32_e32 v66, v69
; %bb.349:
	s_or_b64 exec, exec, s[38:39]
	s_nop 0
	v_mov_b32_dpp v69, v66 row_shr:2 row_mask:0xf bank_mask:0xf
	v_mov_b32_dpp v68, v58 row_shr:2 row_mask:0xf bank_mask:0xf
	;; [unrolled: 1-line block ×3, first 2 shown]
	v_cmp_lt_u32_e32 vcc, 1, v67
	s_and_saveexec_b64 s[38:39], vcc
; %bb.350:
	v_cmp_eq_u32_e32 vcc, 0, v66
	v_cndmask_b32_e32 v68, 0, v68, vcc
	v_add_u32_e32 v67, v69, v66
	v_cndmask_b32_e32 v66, 0, v70, vcc
	v_add_co_u32_e32 v58, vcc, v68, v58
	v_addc_co_u32_e32 v59, vcc, v66, v59, vcc
	v_mov_b32_e32 v66, v67
; %bb.351:
	s_or_b64 exec, exec, s[38:39]
	ds_write_b32 v65, v66 offset:4128
	ds_write_b64 v65, v[58:59] offset:4136
.LBB1134_352:
	s_or_b64 exec, exec, s[26:27]
	v_cmp_gt_u32_e32 vcc, 64, v0
	v_cmp_lt_u32_e64 s[26:27], 63, v0
	v_pk_mov_b32 v[58:59], 0, 0
	v_mov_b32_e32 v70, 0
	s_waitcnt lgkmcnt(0)
	s_barrier
	s_and_saveexec_b64 s[38:39], s[26:27]
	s_cbranch_execz .LBB1134_354
; %bb.353:
	ds_read_b32 v70, v64 offset:4112
	ds_read_b64 v[58:59], v64 offset:4120
	v_cmp_eq_u32_e64 s[26:27], 0, v62
	s_waitcnt lgkmcnt(1)
	v_add_u32_e32 v64, v70, v62
	s_waitcnt lgkmcnt(0)
	v_cndmask_b32_e64 v65, 0, v58, s[26:27]
	v_cndmask_b32_e64 v62, 0, v59, s[26:27]
	v_add_co_u32_e64 v60, s[26:27], v65, v60
	v_addc_co_u32_e64 v61, s[26:27], v62, v61, s[26:27]
	v_mov_b32_e32 v62, v64
.LBB1134_354:
	s_or_b64 exec, exec, s[38:39]
	v_add_u32_e32 v64, -1, v63
	v_and_b32_e32 v65, 64, v63
	v_cmp_lt_i32_e64 s[26:27], v64, v65
	v_cndmask_b32_e64 v64, v64, v63, s[26:27]
	v_lshlrev_b32_e32 v64, 2, v64
	ds_bpermute_b32 v71, v64, v62
	ds_bpermute_b32 v76, v64, v60
	;; [unrolled: 1-line block ×3, first 2 shown]
	v_cmp_eq_u32_e64 s[26:27], 0, v63
	s_and_saveexec_b64 s[38:39], vcc
	s_cbranch_execz .LBB1134_397
; %bb.355:
	v_mov_b32_e32 v65, 0
	ds_read_b32 v78, v65 offset:4176
	ds_read_b64 v[60:61], v65 offset:4184
	s_and_saveexec_b64 s[40:41], s[26:27]
	s_cbranch_execz .LBB1134_357
; %bb.356:
	s_add_i32 s42, s6, 64
	s_mov_b32 s43, 0
	s_lshl_b64 s[44:45], s[42:43], 4
	s_add_u32 s44, s52, s44
	s_addc_u32 s45, s53, s45
	v_mov_b32_e32 v62, s42
	v_mov_b32_e32 v64, 1
	s_waitcnt lgkmcnt(1)
	global_store_dword v65, v78, s[44:45]
	s_waitcnt lgkmcnt(0)
	global_store_dwordx2 v65, v[60:61], s[44:45] offset:8
	s_waitcnt vmcnt(0)
	buffer_wbinvl1_vol
	global_store_byte v62, v64, s[56:57]
.LBB1134_357:
	s_or_b64 exec, exec, s[40:41]
	v_xad_u32 v62, v63, -1, s6
	v_add_u32_e32 v64, 64, v62
	global_load_ubyte v79, v64, s[56:57] glc
	s_waitcnt vmcnt(0)
	v_cmp_eq_u16_e32 vcc, 0, v79
	s_and_saveexec_b64 s[40:41], vcc
	s_cbranch_execz .LBB1134_361
; %bb.358:
	v_mov_b32_e32 v67, s57
	v_add_co_u32_e32 v66, vcc, s56, v64
	v_addc_co_u32_e32 v67, vcc, 0, v67, vcc
	s_mov_b64 s[42:43], 0
.LBB1134_359:                           ; =>This Inner Loop Header: Depth=1
	global_load_ubyte v79, v[66:67], off glc
	s_waitcnt vmcnt(0)
	v_cmp_ne_u16_e32 vcc, 0, v79
	s_or_b64 s[42:43], vcc, s[42:43]
	s_andn2_b64 exec, exec, s[42:43]
	s_cbranch_execnz .LBB1134_359
; %bb.360:
	s_or_b64 exec, exec, s[42:43]
.LBB1134_361:
	s_or_b64 exec, exec, s[40:41]
	v_mov_b32_e32 v66, s55
	v_mov_b32_e32 v67, s53
	v_cmp_eq_u16_e32 vcc, 1, v79
	v_cndmask_b32_e32 v66, v66, v67, vcc
	v_mov_b32_e32 v67, s54
	v_mov_b32_e32 v68, s52
	v_cndmask_b32_e32 v67, v67, v68, vcc
	v_lshlrev_b64 v[64:65], 4, v[64:65]
	v_add_co_u32_e32 v64, vcc, v67, v64
	v_addc_co_u32_e32 v65, vcc, v66, v65, vcc
	s_waitcnt lgkmcnt(0)
	buffer_wbinvl1_vol
	global_load_dword v94, v[64:65], off
	global_load_dwordx2 v[68:69], v[64:65], off offset:8
	v_cmp_eq_u16_e32 vcc, 2, v79
	v_lshlrev_b64 v[64:65], v63, -1
	v_and_b32_e32 v80, 63, v63
	v_and_b32_e32 v66, vcc_hi, v65
	v_and_b32_e32 v84, vcc_lo, v64
	v_cmp_ne_u32_e32 vcc, 63, v80
	v_addc_co_u32_e32 v67, vcc, 0, v63, vcc
	v_lshlrev_b32_e32 v81, 2, v67
	v_or_b32_e32 v66, 0x80000000, v66
	v_ffbl_b32_e32 v66, v66
	v_add_u32_e32 v66, 32, v66
	v_ffbl_b32_e32 v84, v84
	v_min_u32_e32 v66, v84, v66
	v_cmp_lt_u32_e32 vcc, v80, v66
	s_waitcnt vmcnt(1)
	ds_bpermute_b32 v82, v81, v94
	s_waitcnt vmcnt(0)
	ds_bpermute_b32 v67, v81, v68
	ds_bpermute_b32 v83, v81, v69
	s_and_saveexec_b64 s[40:41], vcc
	s_cbranch_execz .LBB1134_363
; %bb.362:
	v_cmp_eq_u32_e32 vcc, 0, v94
	s_waitcnt lgkmcnt(1)
	v_cndmask_b32_e32 v67, 0, v67, vcc
	v_add_u32_e32 v82, v82, v94
	s_waitcnt lgkmcnt(0)
	v_cndmask_b32_e32 v83, 0, v83, vcc
	v_add_co_u32_e32 v68, vcc, v67, v68
	v_addc_co_u32_e32 v69, vcc, v83, v69, vcc
	v_mov_b32_e32 v94, v82
.LBB1134_363:
	s_or_b64 exec, exec, s[40:41]
	v_cmp_gt_u32_e32 vcc, 62, v80
	s_waitcnt lgkmcnt(1)
	v_cndmask_b32_e64 v67, 0, 1, vcc
	v_lshlrev_b32_e32 v67, 1, v67
	v_add_lshl_u32 v82, v67, v63, 2
	ds_bpermute_b32 v84, v82, v94
	ds_bpermute_b32 v67, v82, v68
	ds_bpermute_b32 v85, v82, v69
	s_waitcnt lgkmcnt(3)
	v_add_u32_e32 v83, 2, v80
	v_cmp_le_u32_e32 vcc, v83, v66
	s_and_saveexec_b64 s[40:41], vcc
	s_cbranch_execz .LBB1134_365
; %bb.364:
	v_cmp_eq_u32_e32 vcc, 0, v94
	s_waitcnt lgkmcnt(1)
	v_cndmask_b32_e32 v67, 0, v67, vcc
	v_add_u32_e32 v84, v84, v94
	s_waitcnt lgkmcnt(0)
	v_cndmask_b32_e32 v85, 0, v85, vcc
	v_add_co_u32_e32 v68, vcc, v67, v68
	v_addc_co_u32_e32 v69, vcc, v85, v69, vcc
	v_mov_b32_e32 v94, v84
.LBB1134_365:
	s_or_b64 exec, exec, s[40:41]
	v_cmp_gt_u32_e32 vcc, 60, v80
	s_waitcnt lgkmcnt(1)
	v_cndmask_b32_e64 v67, 0, 1, vcc
	v_lshlrev_b32_e32 v67, 2, v67
	v_add_lshl_u32 v84, v67, v63, 2
	ds_bpermute_b32 v86, v84, v94
	ds_bpermute_b32 v67, v84, v68
	ds_bpermute_b32 v87, v84, v69
	s_waitcnt lgkmcnt(3)
	v_add_u32_e32 v85, 4, v80
	v_cmp_le_u32_e32 vcc, v85, v66
	;; [unrolled: 25-line block ×4, first 2 shown]
	s_and_saveexec_b64 s[40:41], vcc
	s_cbranch_execz .LBB1134_371
; %bb.370:
	v_cmp_eq_u32_e32 vcc, 0, v94
	s_waitcnt lgkmcnt(1)
	v_cndmask_b32_e32 v67, 0, v67, vcc
	v_add_u32_e32 v90, v90, v94
	s_waitcnt lgkmcnt(0)
	v_cndmask_b32_e32 v91, 0, v91, vcc
	v_add_co_u32_e32 v68, vcc, v67, v68
	v_addc_co_u32_e32 v69, vcc, v91, v69, vcc
	v_mov_b32_e32 v94, v90
.LBB1134_371:
	s_or_b64 exec, exec, s[40:41]
	v_cmp_gt_u32_e32 vcc, 32, v80
	s_waitcnt lgkmcnt(1)
	v_cndmask_b32_e64 v67, 0, 1, vcc
	v_lshlrev_b32_e32 v67, 5, v67
	v_add_lshl_u32 v90, v67, v63, 2
	ds_bpermute_b32 v67, v90, v94
	ds_bpermute_b32 v63, v90, v68
	s_waitcnt lgkmcnt(2)
	ds_bpermute_b32 v91, v90, v69
	v_add_u32_e32 v92, 32, v80
	v_cmp_le_u32_e32 vcc, v92, v66
	s_and_saveexec_b64 s[40:41], vcc
	s_cbranch_execz .LBB1134_373
; %bb.372:
	v_cmp_eq_u32_e32 vcc, 0, v94
	s_waitcnt lgkmcnt(1)
	v_cndmask_b32_e32 v63, 0, v63, vcc
	v_add_u32_e32 v66, v67, v94
	s_waitcnt lgkmcnt(0)
	v_cndmask_b32_e32 v67, 0, v91, vcc
	v_add_co_u32_e32 v68, vcc, v63, v68
	v_addc_co_u32_e32 v69, vcc, v67, v69, vcc
	v_mov_b32_e32 v94, v66
.LBB1134_373:
	s_or_b64 exec, exec, s[40:41]
	s_waitcnt lgkmcnt(1)
	v_mov_b32_e32 v63, 0
	v_mov_b32_e32 v93, 2
	s_branch .LBB1134_375
.LBB1134_374:                           ;   in Loop: Header=BB1134_375 Depth=1
	s_or_b64 exec, exec, s[40:41]
	v_cmp_eq_u32_e32 vcc, 0, v91
	v_cndmask_b32_e32 v68, 0, v68, vcc
	v_cndmask_b32_e32 v69, 0, v69, vcc
	v_add_co_u32_e32 v68, vcc, v68, v66
	v_subrev_u32_e32 v62, 64, v62
	v_add_u32_e32 v94, v95, v91
	v_addc_co_u32_e32 v69, vcc, v69, v67, vcc
.LBB1134_375:                           ; =>This Loop Header: Depth=1
                                        ;     Child Loop BB1134_378 Depth 2
	v_cmp_ne_u16_sdwa s[40:41], v79, v93 src0_sel:BYTE_0 src1_sel:DWORD
	v_pk_mov_b32 v[66:67], v[68:69], v[68:69] op_sel:[0,1]
	v_cndmask_b32_e64 v68, 0, 1, s[40:41]
	;;#ASMSTART
	;;#ASMEND
	v_cmp_ne_u32_e32 vcc, 0, v68
	s_cmp_lg_u64 vcc, exec
	s_waitcnt lgkmcnt(0)
	v_mov_b32_e32 v91, v94
	s_cbranch_scc1 .LBB1134_392
; %bb.376:                              ;   in Loop: Header=BB1134_375 Depth=1
	global_load_ubyte v79, v62, s[56:57] glc
	s_waitcnt vmcnt(0)
	v_cmp_eq_u16_e32 vcc, 0, v79
	s_and_saveexec_b64 s[40:41], vcc
	s_cbranch_execz .LBB1134_380
; %bb.377:                              ;   in Loop: Header=BB1134_375 Depth=1
	v_mov_b32_e32 v69, s57
	v_add_co_u32_e32 v68, vcc, s56, v62
	v_addc_co_u32_e32 v69, vcc, 0, v69, vcc
	s_mov_b64 s[42:43], 0
.LBB1134_378:                           ;   Parent Loop BB1134_375 Depth=1
                                        ; =>  This Inner Loop Header: Depth=2
	global_load_ubyte v79, v[68:69], off glc
	s_waitcnt vmcnt(0)
	v_cmp_ne_u16_e32 vcc, 0, v79
	s_or_b64 s[42:43], vcc, s[42:43]
	s_andn2_b64 exec, exec, s[42:43]
	s_cbranch_execnz .LBB1134_378
; %bb.379:                              ;   in Loop: Header=BB1134_375 Depth=1
	s_or_b64 exec, exec, s[42:43]
.LBB1134_380:                           ;   in Loop: Header=BB1134_375 Depth=1
	s_or_b64 exec, exec, s[40:41]
	v_mov_b32_e32 v68, s55
	v_mov_b32_e32 v69, s53
	v_cmp_eq_u16_e32 vcc, 1, v79
	v_cndmask_b32_e32 v94, v68, v69, vcc
	v_mov_b32_e32 v68, s54
	v_mov_b32_e32 v69, s52
	v_cndmask_b32_e32 v95, v68, v69, vcc
	v_lshlrev_b64 v[68:69], 4, v[62:63]
	v_add_co_u32_e32 v68, vcc, v95, v68
	v_addc_co_u32_e32 v69, vcc, v94, v69, vcc
	buffer_wbinvl1_vol
	global_load_dword v95, v[68:69], off
	s_nop 0
	global_load_dwordx2 v[68:69], v[68:69], off offset:8
	v_cmp_eq_u16_e32 vcc, 2, v79
	v_and_b32_e32 v94, vcc_hi, v65
	v_or_b32_e32 v94, 0x80000000, v94
	v_and_b32_e32 v117, vcc_lo, v64
	v_ffbl_b32_e32 v94, v94
	v_add_u32_e32 v94, 32, v94
	v_ffbl_b32_e32 v117, v117
	v_min_u32_e32 v94, v117, v94
	v_cmp_lt_u32_e32 vcc, v80, v94
	s_waitcnt vmcnt(1)
	ds_bpermute_b32 v99, v81, v95
	s_waitcnt vmcnt(0)
	ds_bpermute_b32 v98, v81, v68
	ds_bpermute_b32 v116, v81, v69
	s_and_saveexec_b64 s[40:41], vcc
	s_cbranch_execz .LBB1134_382
; %bb.381:                              ;   in Loop: Header=BB1134_375 Depth=1
	v_cmp_eq_u32_e32 vcc, 0, v95
	s_waitcnt lgkmcnt(1)
	v_cndmask_b32_e32 v98, 0, v98, vcc
	v_add_u32_e32 v99, v99, v95
	s_waitcnt lgkmcnt(0)
	v_cndmask_b32_e32 v95, 0, v116, vcc
	v_add_co_u32_e32 v68, vcc, v98, v68
	v_addc_co_u32_e32 v69, vcc, v95, v69, vcc
	v_mov_b32_e32 v95, v99
.LBB1134_382:                           ;   in Loop: Header=BB1134_375 Depth=1
	s_or_b64 exec, exec, s[40:41]
	s_waitcnt lgkmcnt(2)
	ds_bpermute_b32 v99, v82, v95
	s_waitcnt lgkmcnt(2)
	ds_bpermute_b32 v98, v82, v68
	s_waitcnt lgkmcnt(2)
	ds_bpermute_b32 v116, v82, v69
	v_cmp_le_u32_e32 vcc, v83, v94
	s_and_saveexec_b64 s[40:41], vcc
	s_cbranch_execz .LBB1134_384
; %bb.383:                              ;   in Loop: Header=BB1134_375 Depth=1
	v_cmp_eq_u32_e32 vcc, 0, v95
	s_waitcnt lgkmcnt(1)
	v_cndmask_b32_e32 v98, 0, v98, vcc
	v_add_u32_e32 v99, v99, v95
	s_waitcnt lgkmcnt(0)
	v_cndmask_b32_e32 v95, 0, v116, vcc
	v_add_co_u32_e32 v68, vcc, v98, v68
	v_addc_co_u32_e32 v69, vcc, v95, v69, vcc
	v_mov_b32_e32 v95, v99
.LBB1134_384:                           ;   in Loop: Header=BB1134_375 Depth=1
	s_or_b64 exec, exec, s[40:41]
	s_waitcnt lgkmcnt(2)
	ds_bpermute_b32 v99, v84, v95
	s_waitcnt lgkmcnt(2)
	ds_bpermute_b32 v98, v84, v68
	s_waitcnt lgkmcnt(2)
	ds_bpermute_b32 v116, v84, v69
	v_cmp_le_u32_e32 vcc, v85, v94
	;; [unrolled: 21-line block ×5, first 2 shown]
	s_and_saveexec_b64 s[40:41], vcc
	s_cbranch_execz .LBB1134_374
; %bb.391:                              ;   in Loop: Header=BB1134_375 Depth=1
	v_cmp_eq_u32_e32 vcc, 0, v95
	s_waitcnt lgkmcnt(1)
	v_cndmask_b32_e32 v98, 0, v98, vcc
	v_add_u32_e32 v94, v99, v95
	s_waitcnt lgkmcnt(0)
	v_cndmask_b32_e32 v95, 0, v116, vcc
	v_add_co_u32_e32 v68, vcc, v98, v68
	v_addc_co_u32_e32 v69, vcc, v95, v69, vcc
	v_mov_b32_e32 v95, v94
	s_branch .LBB1134_374
.LBB1134_392:                           ;   in Loop: Header=BB1134_375 Depth=1
                                        ; implicit-def: $vgpr68_vgpr69
                                        ; implicit-def: $vgpr94
                                        ; implicit-def: $vgpr79
	s_cbranch_execz .LBB1134_375
; %bb.393:
	s_and_saveexec_b64 s[40:41], s[26:27]
	s_cbranch_execz .LBB1134_395
; %bb.394:
	s_mov_b32 s7, 0
	v_cmp_eq_u32_e32 vcc, 0, v78
	s_add_i32 s6, s6, 64
	v_cndmask_b32_e32 v62, 0, v66, vcc
	s_lshl_b64 s[42:43], s[6:7], 4
	v_cndmask_b32_e32 v63, 0, v67, vcc
	v_add_co_u32_e32 v62, vcc, v62, v60
	s_add_u32 s42, s54, s42
	v_add_u32_e32 v64, v91, v78
	v_addc_co_u32_e32 v63, vcc, v63, v61, vcc
	s_addc_u32 s43, s55, s43
	v_mov_b32_e32 v65, 0
	global_store_dword v65, v64, s[42:43]
	global_store_dwordx2 v65, v[62:63], s[42:43] offset:8
	v_mov_b32_e32 v62, s6
	v_mov_b32_e32 v63, 2
	s_waitcnt vmcnt(0) lgkmcnt(0)
	buffer_wbinvl1_vol
	global_store_byte v62, v63, s[56:57]
	ds_write_b32 v65, v78 offset:4096
	ds_write_b64 v65, v[60:61] offset:4104
	ds_write_b32 v65, v91 offset:4112
	ds_write_b64 v65, v[66:67] offset:4120
.LBB1134_395:
	s_or_b64 exec, exec, s[40:41]
	v_cmp_eq_u32_e32 vcc, 0, v0
	s_and_b64 exec, exec, vcc
	s_cbranch_execz .LBB1134_397
; %bb.396:
	v_mov_b32_e32 v60, 0
	ds_write_b32 v60, v91 offset:4176
	ds_write_b64 v60, v[66:67] offset:4184
.LBB1134_397:
	s_or_b64 exec, exec, s[38:39]
	v_mov_b32_e32 v63, 0
	s_waitcnt lgkmcnt(0)
	s_barrier
	ds_read_b32 v62, v63 offset:4176
	ds_read_b64 v[60:61], v63 offset:4184
	v_cndmask_b32_e64 v64, v71, v70, s[26:27]
	v_cmp_eq_u32_e32 vcc, 0, v64
	v_cndmask_b32_e64 v58, v76, v58, s[26:27]
	v_cndmask_b32_e64 v59, v77, v59, s[26:27]
	s_waitcnt lgkmcnt(0)
	v_cndmask_b32_e32 v66, 0, v60, vcc
	v_cndmask_b32_e32 v65, 0, v61, vcc
	v_add_co_u32_e32 v58, vcc, v66, v58
	v_addc_co_u32_e32 v65, vcc, v65, v59, vcc
	v_cmp_eq_u32_e32 vcc, 0, v0
	v_cndmask_b32_e64 v59, v64, 0, vcc
	v_cndmask_b32_e32 v93, v65, v61, vcc
	v_cndmask_b32_e32 v92, v58, v60, vcc
	v_cmp_eq_u32_e32 vcc, 0, v113
	v_cndmask_b32_e32 v60, 0, v92, vcc
	v_cndmask_b32_e32 v58, 0, v93, vcc
	v_add_co_u32_e32 v64, vcc, v60, v54
	v_addc_co_u32_e32 v65, vcc, v58, v55, vcc
	v_cndmask_b32_e64 v60, 0, v64, s[24:25]
	v_cndmask_b32_e64 v58, 0, v65, s[24:25]
	v_add_co_u32_e32 v66, vcc, v60, v56
	v_addc_co_u32_e32 v67, vcc, v58, v57, vcc
	v_cndmask_b32_e64 v60, 0, v66, s[22:23]
	v_cndmask_b32_e64 v58, 0, v67, s[22:23]
	;; [unrolled: 4-line block ×11, first 2 shown]
	v_add_co_u32_e32 v90, vcc, v60, v36
	v_add_u32_e32 v59, v62, v59
	v_addc_co_u32_e32 v91, vcc, v58, v37, vcc
	s_barrier
	ds_read_b32 v58, v63 offset:4096
	ds_read_b64 v[60:61], v63 offset:4104
	ds_read_b32 v62, v63 offset:4112
	ds_read_b64 v[116:117], v63 offset:4120
	v_cndmask_b32_e64 v94, 0, v90, s[2:3]
	v_cndmask_b32_e64 v95, 0, v91, s[2:3]
	v_add_co_u32_e32 v94, vcc, v94, v30
	v_addc_co_u32_e32 v95, vcc, v95, v31, vcc
	s_waitcnt lgkmcnt(3)
	v_cmp_eq_u32_e32 vcc, 0, v58
	s_waitcnt lgkmcnt(0)
	v_cndmask_b32_e32 v116, 0, v116, vcc
	v_cndmask_b32_e32 v63, 0, v117, vcc
	v_add_co_u32_e32 v60, vcc, v116, v60
	v_cndmask_b32_e64 v99, 0, v95, s[0:1]
	v_cndmask_b32_e64 v98, 0, v94, s[0:1]
	v_addc_co_u32_e32 v61, vcc, v63, v61, vcc
	s_branch .LBB1134_426
.LBB1134_398:
                                        ; implicit-def: $vgpr58
                                        ; implicit-def: $vgpr60_vgpr61
                                        ; implicit-def: $vgpr62
                                        ; implicit-def: $vgpr92_vgpr93
                                        ; implicit-def: $vgpr64_vgpr65
                                        ; implicit-def: $vgpr66_vgpr67
                                        ; implicit-def: $vgpr68_vgpr69
                                        ; implicit-def: $vgpr70_vgpr71
                                        ; implicit-def: $vgpr76_vgpr77
                                        ; implicit-def: $vgpr78_vgpr79
                                        ; implicit-def: $vgpr80_vgpr81
                                        ; implicit-def: $vgpr82_vgpr83
                                        ; implicit-def: $vgpr84_vgpr85
                                        ; implicit-def: $vgpr86_vgpr87
                                        ; implicit-def: $vgpr88_vgpr89
                                        ; implicit-def: $vgpr90_vgpr91
                                        ; implicit-def: $vgpr94_vgpr95
                                        ; implicit-def: $vgpr98_vgpr99
                                        ; implicit-def: $vgpr59
	s_cbranch_execz .LBB1134_426
; %bb.399:
	s_and_b64 s[0:1], s[30:31], exec
	s_cselect_b32 s1, 0, s61
	s_cselect_b32 s0, 0, s60
	s_cmp_eq_u64 s[0:1], 0
	s_cbranch_scc1 .LBB1134_401
; %bb.400:
	v_mov_b32_e32 v58, 0
	global_load_dwordx2 v[96:97], v58, s[0:1]
.LBB1134_401:
	v_cmp_eq_u32_e64 s[22:23], 0, v112
	v_cndmask_b32_e64 v59, 0, v54, s[22:23]
	v_cndmask_b32_e64 v58, 0, v55, s[22:23]
	v_add_co_u32_e32 v59, vcc, v59, v56
	v_cmp_eq_u32_e64 s[20:21], 0, v111
	v_addc_co_u32_e32 v58, vcc, v58, v57, vcc
	v_cndmask_b32_e64 v59, 0, v59, s[20:21]
	v_cndmask_b32_e64 v58, 0, v58, s[20:21]
	v_add_co_u32_e32 v59, vcc, v59, v50
	v_cmp_eq_u32_e64 s[18:19], 0, v110
	v_addc_co_u32_e32 v58, vcc, v58, v51, vcc
	;; [unrolled: 5-line block ×11, first 2 shown]
	v_cndmask_b32_e64 v59, 0, v59, s[2:3]
	v_cndmask_b32_e64 v58, 0, v58, s[2:3]
	v_add_co_u32_e32 v59, vcc, v59, v30
	v_addc_co_u32_e32 v58, vcc, v58, v31, vcc
	v_cmp_eq_u32_e32 vcc, 0, v100
	v_add3_u32 v60, v115, v108, v107
	v_cndmask_b32_e32 v59, 0, v59, vcc
	v_add3_u32 v60, v60, v106, v105
	v_cndmask_b32_e32 v58, 0, v58, vcc
	v_add_co_u32_e64 v59, s[24:25], v59, v32
	v_add3_u32 v60, v60, v104, v103
	v_addc_co_u32_e64 v58, s[24:25], v58, v33, s[24:25]
	v_add3_u32 v60, v60, v102, v101
	v_cmp_eq_u32_e64 s[24:25], 0, v1
	v_add3_u32 v63, v60, v100, v1
	v_cndmask_b32_e64 v60, 0, v58, s[24:25]
	v_cndmask_b32_e64 v58, 0, v59, s[24:25]
	v_add_co_u32_e64 v58, s[24:25], v58, v72
	v_mbcnt_hi_u32_b32 v62, -1, v114
	v_addc_co_u32_e64 v59, s[24:25], v60, v73, s[24:25]
	v_and_b32_e32 v60, 15, v62
	v_mov_b32_dpp v64, v63 row_shr:1 row_mask:0xf bank_mask:0xf
	v_mov_b32_dpp v61, v58 row_shr:1 row_mask:0xf bank_mask:0xf
	;; [unrolled: 1-line block ×3, first 2 shown]
	v_cmp_ne_u32_e64 s[24:25], 0, v60
	s_and_saveexec_b64 s[26:27], s[24:25]
; %bb.402:
	v_cmp_eq_u32_e64 s[24:25], 0, v63
	v_cndmask_b32_e64 v61, 0, v61, s[24:25]
	v_add_u32_e32 v64, v64, v63
	v_cndmask_b32_e64 v63, 0, v65, s[24:25]
	v_add_co_u32_e64 v58, s[24:25], v61, v58
	v_addc_co_u32_e64 v59, s[24:25], v63, v59, s[24:25]
	v_mov_b32_e32 v63, v64
; %bb.403:
	s_or_b64 exec, exec, s[26:27]
	s_nop 0
	v_mov_b32_dpp v64, v63 row_shr:2 row_mask:0xf bank_mask:0xf
	v_mov_b32_dpp v61, v58 row_shr:2 row_mask:0xf bank_mask:0xf
	v_mov_b32_dpp v65, v59 row_shr:2 row_mask:0xf bank_mask:0xf
	v_cmp_lt_u32_e64 s[24:25], 1, v60
	s_and_saveexec_b64 s[26:27], s[24:25]
; %bb.404:
	v_cmp_eq_u32_e64 s[24:25], 0, v63
	v_cndmask_b32_e64 v61, 0, v61, s[24:25]
	v_add_u32_e32 v64, v64, v63
	v_cndmask_b32_e64 v63, 0, v65, s[24:25]
	v_add_co_u32_e64 v58, s[24:25], v61, v58
	v_addc_co_u32_e64 v59, s[24:25], v63, v59, s[24:25]
	v_mov_b32_e32 v63, v64
; %bb.405:
	s_or_b64 exec, exec, s[26:27]
	s_nop 0
	v_mov_b32_dpp v64, v63 row_shr:4 row_mask:0xf bank_mask:0xf
	v_mov_b32_dpp v61, v58 row_shr:4 row_mask:0xf bank_mask:0xf
	v_mov_b32_dpp v65, v59 row_shr:4 row_mask:0xf bank_mask:0xf
	v_cmp_lt_u32_e64 s[24:25], 3, v60
	;; [unrolled: 16-line block ×3, first 2 shown]
	s_and_saveexec_b64 s[26:27], s[24:25]
; %bb.408:
	v_cmp_eq_u32_e64 s[24:25], 0, v63
	v_cndmask_b32_e64 v61, 0, v61, s[24:25]
	v_add_u32_e32 v60, v64, v63
	v_cndmask_b32_e64 v63, 0, v65, s[24:25]
	v_add_co_u32_e64 v58, s[24:25], v61, v58
	v_addc_co_u32_e64 v59, s[24:25], v63, v59, s[24:25]
	v_mov_b32_e32 v63, v60
; %bb.409:
	s_or_b64 exec, exec, s[26:27]
	v_and_b32_e32 v65, 16, v62
	v_mov_b32_dpp v61, v63 row_bcast:15 row_mask:0xf bank_mask:0xf
	v_mov_b32_dpp v60, v58 row_bcast:15 row_mask:0xf bank_mask:0xf
	;; [unrolled: 1-line block ×3, first 2 shown]
	v_cmp_ne_u32_e64 s[24:25], 0, v65
	s_and_saveexec_b64 s[26:27], s[24:25]
; %bb.410:
	v_cmp_eq_u32_e64 s[24:25], 0, v63
	v_cndmask_b32_e64 v60, 0, v60, s[24:25]
	v_add_u32_e32 v61, v61, v63
	v_cndmask_b32_e64 v63, 0, v64, s[24:25]
	v_add_co_u32_e64 v58, s[24:25], v60, v58
	v_addc_co_u32_e64 v59, s[24:25], v63, v59, s[24:25]
	v_mov_b32_e32 v63, v61
; %bb.411:
	s_or_b64 exec, exec, s[26:27]
	s_nop 0
	v_mov_b32_dpp v61, v63 row_bcast:31 row_mask:0xf bank_mask:0xf
	v_mov_b32_dpp v60, v58 row_bcast:31 row_mask:0xf bank_mask:0xf
	;; [unrolled: 1-line block ×3, first 2 shown]
	v_cmp_lt_u32_e64 s[24:25], 31, v62
	s_and_saveexec_b64 s[26:27], s[24:25]
; %bb.412:
	v_cmp_eq_u32_e64 s[24:25], 0, v63
	v_cndmask_b32_e64 v60, 0, v60, s[24:25]
	v_add_u32_e32 v61, v61, v63
	v_cndmask_b32_e64 v63, 0, v64, s[24:25]
	v_add_co_u32_e64 v58, s[24:25], v60, v58
	v_addc_co_u32_e64 v59, s[24:25], v63, v59, s[24:25]
	v_mov_b32_e32 v63, v61
; %bb.413:
	s_or_b64 exec, exec, s[26:27]
	v_lshrrev_b32_e32 v60, 6, v0
	v_or_b32_e32 v61, 63, v0
	v_cmp_eq_u32_e64 s[24:25], v61, v0
	v_lshlrev_b32_e32 v64, 4, v60
	s_and_saveexec_b64 s[26:27], s[24:25]
	s_cbranch_execz .LBB1134_415
; %bb.414:
	ds_write_b32 v64, v63 offset:4128
	ds_write_b64 v64, v[58:59] offset:4136
.LBB1134_415:
	s_or_b64 exec, exec, s[26:27]
	v_cmp_gt_u32_e64 s[24:25], 4, v0
	s_waitcnt lgkmcnt(0)
	s_barrier
	s_and_saveexec_b64 s[26:27], s[24:25]
	s_cbranch_execz .LBB1134_421
; %bb.416:
	v_lshlrev_b32_e32 v65, 4, v0
	ds_read_b32 v66, v65 offset:4128
	ds_read_b64 v[60:61], v65 offset:4136
	v_and_b32_e32 v67, 3, v62
	v_cmp_ne_u32_e64 s[24:25], 0, v67
	s_waitcnt lgkmcnt(1)
	v_mov_b32_dpp v69, v66 row_shr:1 row_mask:0xf bank_mask:0xf
	s_waitcnt lgkmcnt(0)
	v_mov_b32_dpp v68, v60 row_shr:1 row_mask:0xf bank_mask:0xf
	v_mov_b32_dpp v70, v61 row_shr:1 row_mask:0xf bank_mask:0xf
	s_and_saveexec_b64 s[28:29], s[24:25]
; %bb.417:
	v_cmp_eq_u32_e64 s[24:25], 0, v66
	v_cndmask_b32_e64 v68, 0, v68, s[24:25]
	v_add_u32_e32 v69, v69, v66
	v_cndmask_b32_e64 v66, 0, v70, s[24:25]
	v_add_co_u32_e64 v60, s[24:25], v68, v60
	v_addc_co_u32_e64 v61, s[24:25], v66, v61, s[24:25]
	v_mov_b32_e32 v66, v69
; %bb.418:
	s_or_b64 exec, exec, s[28:29]
	s_nop 0
	v_mov_b32_dpp v69, v66 row_shr:2 row_mask:0xf bank_mask:0xf
	v_mov_b32_dpp v68, v60 row_shr:2 row_mask:0xf bank_mask:0xf
	;; [unrolled: 1-line block ×3, first 2 shown]
	v_cmp_lt_u32_e64 s[24:25], 1, v67
	s_and_saveexec_b64 s[28:29], s[24:25]
; %bb.419:
	v_cmp_eq_u32_e64 s[24:25], 0, v66
	v_cndmask_b32_e64 v68, 0, v68, s[24:25]
	v_add_u32_e32 v67, v69, v66
	v_cndmask_b32_e64 v66, 0, v70, s[24:25]
	v_add_co_u32_e64 v60, s[24:25], v68, v60
	v_addc_co_u32_e64 v61, s[24:25], v66, v61, s[24:25]
	v_mov_b32_e32 v66, v67
; %bb.420:
	s_or_b64 exec, exec, s[28:29]
	ds_write_b32 v65, v66 offset:4128
	ds_write_b64 v65, v[60:61] offset:4136
.LBB1134_421:
	s_or_b64 exec, exec, s[26:27]
	v_cmp_lt_u32_e64 s[24:25], 63, v0
	v_mov_b32_e32 v72, 0
	v_mov_b32_e32 v65, 0
	s_waitcnt vmcnt(0)
	v_pk_mov_b32 v[60:61], v[96:97], v[96:97] op_sel:[0,1]
	s_waitcnt lgkmcnt(0)
	s_barrier
	s_and_saveexec_b64 s[26:27], s[24:25]
	s_cbranch_execz .LBB1134_423
; %bb.422:
	ds_read_b32 v65, v64 offset:4112
	ds_read_b64 v[60:61], v64 offset:4120
	s_waitcnt lgkmcnt(1)
	v_cmp_eq_u32_e64 s[24:25], 0, v65
	v_cndmask_b32_e64 v66, 0, v96, s[24:25]
	v_cndmask_b32_e64 v64, 0, v97, s[24:25]
	s_waitcnt lgkmcnt(0)
	v_add_co_u32_e64 v60, s[24:25], v66, v60
	v_addc_co_u32_e64 v61, s[24:25], v64, v61, s[24:25]
.LBB1134_423:
	s_or_b64 exec, exec, s[26:27]
	v_cmp_eq_u32_e64 s[24:25], 0, v63
	v_cndmask_b32_e64 v66, 0, v60, s[24:25]
	v_add_u32_e32 v64, v65, v63
	v_cndmask_b32_e64 v63, 0, v61, s[24:25]
	v_add_co_u32_e64 v58, s[24:25], v66, v58
	v_addc_co_u32_e64 v59, s[24:25], v63, v59, s[24:25]
	v_add_u32_e32 v63, -1, v62
	v_and_b32_e32 v66, 64, v62
	v_cmp_lt_i32_e64 s[24:25], v63, v66
	v_cndmask_b32_e64 v63, v63, v62, s[24:25]
	v_lshlrev_b32_e32 v63, 2, v63
	ds_bpermute_b32 v64, v63, v64
	ds_bpermute_b32 v66, v63, v59
	;; [unrolled: 1-line block ×3, first 2 shown]
	v_cmp_eq_u32_e64 s[24:25], 0, v62
	v_cmp_eq_u32_e64 s[26:27], 0, v113
	s_waitcnt lgkmcnt(2)
	v_cndmask_b32_e64 v59, v64, v65, s[24:25]
	s_waitcnt lgkmcnt(1)
	v_cndmask_b32_e64 v93, v66, v61, s[24:25]
	;; [unrolled: 2-line block ×3, first 2 shown]
	v_cmp_eq_u32_e64 s[24:25], 0, v0
	v_cndmask_b32_e64 v58, v92, v96, s[24:25]
	v_cndmask_b32_e64 v60, v93, v97, s[24:25]
	v_cndmask_b32_e64 v58, 0, v58, s[26:27]
	v_cndmask_b32_e64 v60, 0, v60, s[26:27]
	v_add_co_u32_e64 v64, s[26:27], v58, v54
	v_addc_co_u32_e64 v65, s[26:27], v60, v55, s[26:27]
	v_cndmask_b32_e64 v55, 0, v64, s[22:23]
	v_cndmask_b32_e64 v54, 0, v65, s[22:23]
	v_add_co_u32_e64 v66, s[22:23], v55, v56
	v_addc_co_u32_e64 v67, s[22:23], v54, v57, s[22:23]
	v_cndmask_b32_e64 v55, 0, v66, s[20:21]
	v_cndmask_b32_e64 v54, 0, v67, s[20:21]
	v_add_co_u32_e64 v68, s[20:21], v55, v50
	v_addc_co_u32_e64 v69, s[20:21], v54, v51, s[20:21]
	v_cndmask_b32_e64 v51, 0, v68, s[18:19]
	v_cndmask_b32_e64 v50, 0, v69, s[18:19]
	v_add_co_u32_e64 v70, s[18:19], v51, v52
	v_addc_co_u32_e64 v71, s[18:19], v50, v53, s[18:19]
	v_cndmask_b32_e64 v51, 0, v70, s[16:17]
	v_cndmask_b32_e64 v50, 0, v71, s[16:17]
	v_add_co_u32_e64 v76, s[16:17], v51, v46
	v_addc_co_u32_e64 v77, s[16:17], v50, v47, s[16:17]
	v_cndmask_b32_e64 v47, 0, v76, s[12:13]
	v_cndmask_b32_e64 v46, 0, v77, s[12:13]
	v_add_co_u32_e64 v78, s[12:13], v47, v48
	v_addc_co_u32_e64 v79, s[12:13], v46, v49, s[12:13]
	v_cndmask_b32_e64 v47, 0, v78, s[14:15]
	v_cndmask_b32_e64 v46, 0, v79, s[14:15]
	v_add_co_u32_e64 v80, s[12:13], v47, v42
	v_addc_co_u32_e64 v81, s[12:13], v46, v43, s[12:13]
	v_cndmask_b32_e64 v43, 0, v80, s[8:9]
	v_cndmask_b32_e64 v42, 0, v81, s[8:9]
	v_add_co_u32_e64 v82, s[8:9], v43, v44
	v_addc_co_u32_e64 v83, s[8:9], v42, v45, s[8:9]
	v_cndmask_b32_e64 v43, 0, v82, s[10:11]
	v_cndmask_b32_e64 v42, 0, v83, s[10:11]
	v_add_co_u32_e64 v84, s[8:9], v43, v38
	v_addc_co_u32_e64 v85, s[8:9], v42, v39, s[8:9]
	v_cndmask_b32_e64 v39, 0, v84, s[4:5]
	v_cndmask_b32_e64 v38, 0, v85, s[4:5]
	v_add_co_u32_e64 v86, s[4:5], v39, v40
	v_addc_co_u32_e64 v87, s[4:5], v38, v41, s[4:5]
	v_cndmask_b32_e64 v39, 0, v86, s[6:7]
	v_cndmask_b32_e64 v38, 0, v87, s[6:7]
	v_add_co_u32_e64 v88, s[4:5], v39, v34
	v_addc_co_u32_e64 v89, s[4:5], v38, v35, s[4:5]
	v_cndmask_b32_e64 v35, 0, v88, s[0:1]
	v_cndmask_b32_e64 v34, 0, v89, s[0:1]
	v_add_co_u32_e64 v90, s[0:1], v35, v36
	v_addc_co_u32_e64 v91, s[0:1], v34, v37, s[0:1]
	v_cndmask_b32_e64 v35, 0, v90, s[2:3]
	ds_read_b32 v58, v72 offset:4176
	v_cndmask_b32_e64 v34, 0, v91, s[2:3]
	v_add_co_u32_e64 v94, s[0:1], v35, v30
	v_addc_co_u32_e64 v95, s[0:1], v34, v31, s[0:1]
	ds_read_b64 v[30:31], v72 offset:4184
	v_cndmask_b32_e32 v99, 0, v95, vcc
	v_cndmask_b32_e32 v98, 0, v94, vcc
	s_waitcnt lgkmcnt(1)
	v_cmp_eq_u32_e32 vcc, 0, v58
	v_cndmask_b32_e32 v35, 0, v96, vcc
	v_cndmask_b32_e32 v34, 0, v97, vcc
	s_waitcnt lgkmcnt(0)
	v_add_co_u32_e32 v60, vcc, v35, v30
	v_addc_co_u32_e32 v61, vcc, v34, v31, vcc
	s_and_saveexec_b64 s[0:1], s[24:25]
	s_cbranch_execz .LBB1134_425
; %bb.424:
	v_mov_b32_e32 v59, 0
	v_mov_b32_e32 v30, 2
	v_pk_mov_b32 v[92:93], v[96:97], v[96:97] op_sel:[0,1]
	global_store_dword v59, v58, s[54:55] offset:1024
	global_store_dwordx2 v59, v[60:61], s[54:55] offset:1032
	s_waitcnt vmcnt(0)
	buffer_wbinvl1_vol
	global_store_byte v59, v30, s[56:57] offset:64
.LBB1134_425:
	s_or_b64 exec, exec, s[0:1]
	v_mov_b32_e32 v62, 0
.LBB1134_426:
	s_and_b64 s[0:1], s[30:31], exec
	s_cselect_b32 s1, 0, s67
	s_cselect_b32 s0, 0, s66
	s_cmp_eq_u64 s[0:1], 0
	v_pk_mov_b32 v[30:31], 0, 0
	s_barrier
	s_cbranch_scc1 .LBB1134_428
; %bb.427:
	v_mov_b32_e32 v30, 0
	global_load_dwordx2 v[30:31], v30, s[0:1]
.LBB1134_428:
	s_waitcnt vmcnt(0)
	v_lshlrev_b64 v[34:35], 3, v[30:31]
	v_mov_b32_e32 v36, s47
	v_add_co_u32_e32 v52, vcc, s46, v34
	v_mov_b32_e32 v63, 0
	v_addc_co_u32_e32 v53, vcc, v36, v35, vcc
	v_lshlrev_b64 v[36:37], 3, v[62:63]
	v_add_co_u32_e32 v52, vcc, v52, v36
	v_addc_co_u32_e32 v53, vcc, v53, v37, vcc
	v_cmp_eq_u32_e32 vcc, 0, v113
	v_cndmask_b32_e64 v54, 1, 2, vcc
	v_cmp_eq_u32_e32 vcc, 0, v112
	v_cndmask_b32_e64 v55, 1, 2, vcc
	v_cmp_eq_u32_e32 vcc, 0, v111
	v_and_b32_e32 v54, v55, v54
	v_cndmask_b32_e64 v55, 1, 2, vcc
	v_cmp_eq_u32_e32 vcc, 0, v110
	v_add_u32_e32 v51, v59, v113
	v_and_b32_e32 v54, v54, v55
	v_cndmask_b32_e64 v55, 1, 2, vcc
	v_cmp_eq_u32_e32 vcc, 0, v109
	v_add_u32_e32 v50, v51, v112
	;; [unrolled: 4-line block ×12, first 2 shown]
	v_and_b32_e32 v54, v54, v55
	v_cndmask_b32_e64 v55, 1, 2, vcc
	s_movk_i32 s30, 0x100
	v_add_u32_e32 v39, v40, v101
	v_and_b32_e32 v54, v54, v55
	v_cmp_gt_u32_e32 vcc, s30, v58
	v_add_u32_e32 v38, v39, v100
	v_cmp_ne_u32_e64 s[28:29], 0, v113
	v_cmp_ne_u32_e64 s[26:27], 0, v112
	;; [unrolled: 1-line block ×15, first 2 shown]
	s_mov_b64 s[38:39], -1
	v_cmp_gt_i16_e64 s[30:31], 2, v54
	s_cbranch_vccz .LBB1134_435
; %bb.429:
	s_and_saveexec_b64 s[38:39], s[30:31]
	s_cbranch_execz .LBB1134_434
; %bb.430:
	v_cmp_ne_u16_e32 vcc, 1, v54
	s_mov_b64 s[40:41], 0
	s_and_saveexec_b64 s[30:31], vcc
	s_xor_b64 s[30:31], exec, s[30:31]
	s_cbranch_execnz .LBB1134_467
; %bb.431:
	s_andn2_saveexec_b64 s[30:31], s[30:31]
	s_cbranch_execnz .LBB1134_483
.LBB1134_432:
	s_or_b64 exec, exec, s[30:31]
	s_and_b64 exec, exec, s[40:41]
	s_cbranch_execz .LBB1134_434
.LBB1134_433:
	v_sub_u32_e32 v56, v38, v62
	v_mov_b32_e32 v57, 0
	v_lshlrev_b64 v[56:57], 3, v[56:57]
	v_add_co_u32_e32 v56, vcc, v52, v56
	v_addc_co_u32_e32 v57, vcc, v53, v57, vcc
	global_store_dwordx2 v[56:57], v[74:75], off
.LBB1134_434:
	s_or_b64 exec, exec, s[38:39]
	s_mov_b64 s[38:39], 0
.LBB1134_435:
	s_and_b64 vcc, exec, s[38:39]
	s_cbranch_vccz .LBB1134_445
; %bb.436:
	v_cmp_gt_i16_e32 vcc, 2, v54
	s_and_saveexec_b64 s[30:31], vcc
	s_cbranch_execz .LBB1134_441
; %bb.437:
	v_cmp_ne_u16_e32 vcc, 1, v54
	s_mov_b64 s[40:41], 0
	s_and_saveexec_b64 s[38:39], vcc
	s_xor_b64 s[38:39], exec, s[38:39]
	s_cbranch_execnz .LBB1134_484
; %bb.438:
	s_andn2_saveexec_b64 s[0:1], s[38:39]
	s_cbranch_execnz .LBB1134_500
.LBB1134_439:
	s_or_b64 exec, exec, s[0:1]
	s_and_b64 exec, exec, s[40:41]
	s_cbranch_execz .LBB1134_441
.LBB1134_440:
	v_sub_u32_e32 v2, v38, v62
	v_lshlrev_b32_e32 v2, 3, v2
	ds_write_b64 v2, v[74:75]
.LBB1134_441:
	s_or_b64 exec, exec, s[30:31]
	v_cmp_lt_u32_e32 vcc, v0, v58
	s_waitcnt lgkmcnt(0)
	s_barrier
	s_and_saveexec_b64 s[0:1], vcc
	s_cbranch_execz .LBB1134_444
; %bb.442:
	v_lshlrev_b32_e32 v4, 3, v0
	s_mov_b64 s[2:3], 0
	v_mov_b32_e32 v3, 0
	v_mov_b32_e32 v2, v0
.LBB1134_443:                           ; =>This Inner Loop Header: Depth=1
	v_lshlrev_b64 v[6:7], 3, v[2:3]
	ds_read_b64 v[8:9], v4
	v_add_co_u32_e32 v6, vcc, v52, v6
	v_add_u32_e32 v2, 0x100, v2
	v_addc_co_u32_e32 v7, vcc, v53, v7, vcc
	v_cmp_ge_u32_e32 vcc, v2, v58
	v_add_u32_e32 v4, 0x800, v4
	s_or_b64 s[2:3], vcc, s[2:3]
	s_waitcnt lgkmcnt(0)
	global_store_dwordx2 v[6:7], v[8:9], off
	s_andn2_b64 exec, exec, s[2:3]
	s_cbranch_execnz .LBB1134_443
.LBB1134_444:
	s_or_b64 exec, exec, s[0:1]
.LBB1134_445:
	v_add_co_u32_e32 v2, vcc, v98, v32
	s_cmpk_lg_i32 s76, 0xf00
	v_addc_co_u32_e32 v3, vcc, v99, v33, vcc
	s_cselect_b64 s[0:1], -1, 0
	v_cndmask_b32_e64 v8, 0, 1, s[34:35]
	s_and_b64 s[0:1], s[36:37], s[0:1]
	v_cmp_eq_u32_e32 vcc, 0, v0
	v_sub_u32_e32 v4, v58, v8
	v_cndmask_b32_e64 v5, 0, 1, s[0:1]
	s_and_b64 s[0:1], vcc, s[34:35]
	v_add_u32_e32 v4, v4, v5
	v_cndmask_b32_e64 v5, v113, 0, s[0:1]
	s_mul_hi_u32 s0, s76, 0x88888889
	s_lshr_b32 s0, s0, 3
	v_mad_i32_i24 v6, v0, -15, s76
	v_cmp_eq_u32_e32 vcc, s0, v0
	v_cmp_ne_u32_e64 s[0:1], 0, v6
	v_cndmask_b32_e64 v7, 1, v5, s[0:1]
	v_cmp_ne_u32_e64 s[0:1], 1, v6
	v_cndmask_b32_e64 v9, 1, v112, s[0:1]
	;; [unrolled: 2-line block ×15, first 2 shown]
	s_and_b64 vcc, s[36:37], vcc
	v_cndmask_b32_e32 v22, v1, v6, vcc
	v_cndmask_b32_e32 v21, v100, v21, vcc
	;; [unrolled: 1-line block ×15, first 2 shown]
	v_mov_b32_e32 v1, s49
	v_add_co_u32_e32 v5, vcc, s48, v34
	v_addc_co_u32_e32 v6, vcc, v1, v35, vcc
	v_add_co_u32_e32 v1, vcc, v5, v36
	v_addc_co_u32_e32 v5, vcc, v6, v37, vcc
	v_lshlrev_b32_e32 v6, 3, v8
	v_add_co_u32_e32 v6, vcc, v6, v1
	v_addc_co_u32_e32 v7, vcc, 0, v5, vcc
	v_add_co_u32_e32 v6, vcc, -8, v6
	v_addc_co_u32_e32 v7, vcc, -1, v7, vcc
	v_cmp_eq_u32_e32 vcc, 0, v23
	v_cmp_ne_u32_e64 s[28:29], 0, v23
	v_cndmask_b32_e64 v23, 1, 2, vcc
	v_cmp_eq_u32_e32 vcc, 0, v9
	v_cmp_ne_u32_e64 s[26:27], 0, v9
	v_cndmask_b32_e64 v9, 1, 2, vcc
	v_cmp_eq_u32_e32 vcc, 0, v10
	v_and_b32_e32 v9, v9, v23
	v_cmp_ne_u32_e64 s[24:25], 0, v10
	v_cndmask_b32_e64 v10, 1, 2, vcc
	v_cmp_eq_u32_e32 vcc, 0, v11
	v_and_b32_e32 v9, v9, v10
	v_cndmask_b32_e64 v10, 1, 2, vcc
	v_cmp_eq_u32_e32 vcc, 0, v12
	v_and_b32_e32 v9, v9, v10
	;; [unrolled: 3-line block ×12, first 2 shown]
	v_cndmask_b32_e64 v10, 1, 2, vcc
	s_movk_i32 s30, 0x100
	v_and_b32_e32 v9, v9, v10
	v_cmp_gt_u32_e32 vcc, s30, v4
	v_add_u32_e32 v8, v62, v8
	v_cmp_ne_u32_e64 s[22:23], 0, v11
	v_cmp_ne_u32_e64 s[20:21], 0, v12
	;; [unrolled: 1-line block ×12, first 2 shown]
	s_mov_b64 s[34:35], -1
	v_cmp_gt_i16_e64 s[30:31], 2, v9
	s_barrier
	s_cbranch_vccz .LBB1134_452
; %bb.446:
	s_and_saveexec_b64 s[34:35], s[30:31]
	s_cbranch_execz .LBB1134_451
; %bb.447:
	v_cmp_ne_u16_e32 vcc, 1, v9
	s_mov_b64 s[38:39], 0
	s_and_saveexec_b64 s[30:31], vcc
	s_xor_b64 s[30:31], exec, s[30:31]
	s_cbranch_execnz .LBB1134_501
; %bb.448:
	s_andn2_saveexec_b64 s[30:31], s[30:31]
	s_cbranch_execnz .LBB1134_517
.LBB1134_449:
	s_or_b64 exec, exec, s[30:31]
	s_and_b64 exec, exec, s[38:39]
	s_cbranch_execz .LBB1134_451
.LBB1134_450:
	v_sub_u32_e32 v10, v38, v8
	v_mov_b32_e32 v11, 0
	v_lshlrev_b64 v[10:11], 3, v[10:11]
	v_add_co_u32_e32 v10, vcc, v6, v10
	v_addc_co_u32_e32 v11, vcc, v7, v11, vcc
	global_store_dwordx2 v[10:11], v[2:3], off
.LBB1134_451:
	s_or_b64 exec, exec, s[34:35]
	s_mov_b64 s[34:35], 0
.LBB1134_452:
	s_and_b64 vcc, exec, s[34:35]
	s_cbranch_vccz .LBB1134_462
; %bb.453:
	v_cmp_gt_i16_e32 vcc, 2, v9
	s_and_saveexec_b64 s[30:31], vcc
	s_cbranch_execz .LBB1134_458
; %bb.454:
	v_cmp_ne_u16_e32 vcc, 1, v9
	s_mov_b64 s[38:39], 0
	s_and_saveexec_b64 s[34:35], vcc
	s_xor_b64 s[34:35], exec, s[34:35]
	s_cbranch_execnz .LBB1134_518
; %bb.455:
	s_andn2_saveexec_b64 s[0:1], s[34:35]
	s_cbranch_execnz .LBB1134_534
.LBB1134_456:
	s_or_b64 exec, exec, s[0:1]
	s_and_b64 exec, exec, s[38:39]
	s_cbranch_execz .LBB1134_458
.LBB1134_457:
	v_sub_u32_e32 v8, v38, v8
	v_lshlrev_b32_e32 v8, 3, v8
	ds_write_b64 v8, v[2:3]
.LBB1134_458:
	s_or_b64 exec, exec, s[30:31]
	v_cmp_lt_u32_e32 vcc, v0, v4
	s_waitcnt lgkmcnt(0)
	s_barrier
	s_and_saveexec_b64 s[0:1], vcc
	s_cbranch_execz .LBB1134_461
; %bb.459:
	v_lshlrev_b32_e32 v8, 3, v0
	s_mov_b64 s[2:3], 0
	v_mov_b32_e32 v3, 0
	v_mov_b32_e32 v2, v0
.LBB1134_460:                           ; =>This Inner Loop Header: Depth=1
	v_lshlrev_b64 v[10:11], 3, v[2:3]
	ds_read_b64 v[12:13], v8
	v_add_co_u32_e32 v10, vcc, v6, v10
	v_add_u32_e32 v2, 0x100, v2
	v_addc_co_u32_e32 v11, vcc, v7, v11, vcc
	v_cmp_ge_u32_e32 vcc, v2, v4
	v_add_u32_e32 v8, 0x800, v8
	s_or_b64 s[2:3], vcc, s[2:3]
	s_waitcnt lgkmcnt(0)
	global_store_dwordx2 v[10:11], v[12:13], off
	s_andn2_b64 exec, exec, s[2:3]
	s_cbranch_execnz .LBB1134_460
.LBB1134_461:
	s_or_b64 exec, exec, s[0:1]
.LBB1134_462:
	s_movk_i32 s0, 0xff
	v_cmp_eq_u32_e32 vcc, s0, v0
	s_and_b64 s[0:1], vcc, s[36:37]
	s_and_saveexec_b64 s[2:3], s[0:1]
	s_cbranch_execz .LBB1134_465
; %bb.463:
	v_add_co_u32_e32 v0, vcc, v58, v62
	v_addc_co_u32_e64 v3, s[0:1], 0, 0, vcc
	v_add_co_u32_e32 v2, vcc, v0, v30
	v_mov_b32_e32 v59, 0
	v_addc_co_u32_e32 v3, vcc, v3, v31, vcc
	s_cmpk_lg_i32 s76, 0xf00
	global_store_dwordx2 v59, v[2:3], s[50:51]
	s_cbranch_scc1 .LBB1134_465
; %bb.464:
	v_lshlrev_b64 v[2:3], 3, v[58:59]
	v_add_co_u32_e32 v0, vcc, v1, v2
	v_addc_co_u32_e32 v1, vcc, v5, v3, vcc
	global_store_dwordx2 v[0:1], v[60:61], off offset:-8
.LBB1134_465:
	s_endpgm
.LBB1134_466:
	s_or_b64 exec, exec, s[8:9]
	v_mov_b32_e32 v113, s10
	s_and_saveexec_b64 s[4:5], s[2:3]
	s_cbranch_execnz .LBB1134_330
	s_branch .LBB1134_331
.LBB1134_467:
	s_and_saveexec_b64 s[40:41], s[28:29]
	s_cbranch_execnz .LBB1134_537
; %bb.468:
	s_or_b64 exec, exec, s[40:41]
	s_and_saveexec_b64 s[40:41], s[26:27]
	s_cbranch_execnz .LBB1134_538
.LBB1134_469:
	s_or_b64 exec, exec, s[40:41]
	s_and_saveexec_b64 s[40:41], s[24:25]
	s_cbranch_execnz .LBB1134_539
.LBB1134_470:
	s_or_b64 exec, exec, s[40:41]
	s_and_saveexec_b64 s[40:41], s[22:23]
	s_cbranch_execnz .LBB1134_540
.LBB1134_471:
	s_or_b64 exec, exec, s[40:41]
	s_and_saveexec_b64 s[40:41], s[20:21]
	s_cbranch_execnz .LBB1134_541
.LBB1134_472:
	s_or_b64 exec, exec, s[40:41]
	s_and_saveexec_b64 s[40:41], s[18:19]
	s_cbranch_execnz .LBB1134_542
.LBB1134_473:
	s_or_b64 exec, exec, s[40:41]
	s_and_saveexec_b64 s[40:41], s[16:17]
	s_cbranch_execnz .LBB1134_543
.LBB1134_474:
	s_or_b64 exec, exec, s[40:41]
	s_and_saveexec_b64 s[40:41], s[14:15]
	s_cbranch_execnz .LBB1134_544
.LBB1134_475:
	s_or_b64 exec, exec, s[40:41]
	s_and_saveexec_b64 s[40:41], s[12:13]
	s_cbranch_execnz .LBB1134_545
.LBB1134_476:
	s_or_b64 exec, exec, s[40:41]
	s_and_saveexec_b64 s[40:41], s[10:11]
	s_cbranch_execnz .LBB1134_546
.LBB1134_477:
	s_or_b64 exec, exec, s[40:41]
	s_and_saveexec_b64 s[40:41], s[8:9]
	s_cbranch_execnz .LBB1134_547
.LBB1134_478:
	s_or_b64 exec, exec, s[40:41]
	s_and_saveexec_b64 s[40:41], s[6:7]
	s_cbranch_execnz .LBB1134_548
.LBB1134_479:
	s_or_b64 exec, exec, s[40:41]
	s_and_saveexec_b64 s[40:41], s[4:5]
	s_cbranch_execnz .LBB1134_549
.LBB1134_480:
	s_or_b64 exec, exec, s[40:41]
	s_and_saveexec_b64 s[40:41], s[2:3]
	s_cbranch_execz .LBB1134_482
.LBB1134_481:
	v_sub_u32_e32 v56, v39, v62
	v_mov_b32_e32 v57, 0
	v_lshlrev_b64 v[56:57], 3, v[56:57]
	v_add_co_u32_e32 v56, vcc, v52, v56
	v_addc_co_u32_e32 v57, vcc, v53, v57, vcc
	global_store_dwordx2 v[56:57], v[4:5], off
.LBB1134_482:
	s_or_b64 exec, exec, s[40:41]
	s_and_b64 s[40:41], s[0:1], exec
	s_andn2_saveexec_b64 s[30:31], s[30:31]
	s_cbranch_execz .LBB1134_432
.LBB1134_483:
	v_sub_u32_e32 v56, v59, v62
	v_mov_b32_e32 v57, 0
	v_lshlrev_b64 v[72:73], 3, v[56:57]
	v_add_co_u32_e32 v72, vcc, v52, v72
	v_addc_co_u32_e32 v73, vcc, v53, v73, vcc
	v_sub_u32_e32 v56, v51, v62
	global_store_dwordx2 v[72:73], v[26:27], off
	v_lshlrev_b64 v[72:73], 3, v[56:57]
	v_add_co_u32_e32 v72, vcc, v52, v72
	v_addc_co_u32_e32 v73, vcc, v53, v73, vcc
	v_sub_u32_e32 v56, v50, v62
	global_store_dwordx2 v[72:73], v[28:29], off
	;; [unrolled: 5-line block ×12, first 2 shown]
	v_lshlrev_b64 v[72:73], 3, v[56:57]
	v_add_co_u32_e32 v72, vcc, v52, v72
	v_sub_u32_e32 v56, v39, v62
	v_addc_co_u32_e32 v73, vcc, v53, v73, vcc
	v_lshlrev_b64 v[56:57], 3, v[56:57]
	v_add_co_u32_e32 v56, vcc, v52, v56
	v_addc_co_u32_e32 v57, vcc, v53, v57, vcc
	s_or_b64 s[40:41], s[40:41], exec
	global_store_dwordx2 v[72:73], v[2:3], off
	global_store_dwordx2 v[56:57], v[4:5], off
	s_or_b64 exec, exec, s[30:31]
	s_and_b64 exec, exec, s[40:41]
	s_cbranch_execnz .LBB1134_433
	s_branch .LBB1134_434
.LBB1134_484:
	s_and_saveexec_b64 s[40:41], s[28:29]
	s_cbranch_execnz .LBB1134_550
; %bb.485:
	s_or_b64 exec, exec, s[40:41]
	s_and_saveexec_b64 s[28:29], s[26:27]
	s_cbranch_execnz .LBB1134_551
.LBB1134_486:
	s_or_b64 exec, exec, s[28:29]
	s_and_saveexec_b64 s[26:27], s[24:25]
	s_cbranch_execnz .LBB1134_552
.LBB1134_487:
	s_or_b64 exec, exec, s[26:27]
	s_and_saveexec_b64 s[24:25], s[22:23]
	s_cbranch_execnz .LBB1134_553
.LBB1134_488:
	s_or_b64 exec, exec, s[24:25]
	s_and_saveexec_b64 s[22:23], s[20:21]
	s_cbranch_execnz .LBB1134_554
.LBB1134_489:
	s_or_b64 exec, exec, s[22:23]
	s_and_saveexec_b64 s[20:21], s[18:19]
	s_cbranch_execnz .LBB1134_555
.LBB1134_490:
	s_or_b64 exec, exec, s[20:21]
	s_and_saveexec_b64 s[18:19], s[16:17]
	s_cbranch_execnz .LBB1134_556
.LBB1134_491:
	s_or_b64 exec, exec, s[18:19]
	s_and_saveexec_b64 s[16:17], s[14:15]
	s_cbranch_execnz .LBB1134_557
.LBB1134_492:
	s_or_b64 exec, exec, s[16:17]
	s_and_saveexec_b64 s[14:15], s[12:13]
	s_cbranch_execnz .LBB1134_558
.LBB1134_493:
	s_or_b64 exec, exec, s[14:15]
	s_and_saveexec_b64 s[12:13], s[10:11]
	s_cbranch_execnz .LBB1134_559
.LBB1134_494:
	s_or_b64 exec, exec, s[12:13]
	s_and_saveexec_b64 s[10:11], s[8:9]
	s_cbranch_execnz .LBB1134_560
.LBB1134_495:
	s_or_b64 exec, exec, s[10:11]
	s_and_saveexec_b64 s[8:9], s[6:7]
	s_cbranch_execnz .LBB1134_561
.LBB1134_496:
	s_or_b64 exec, exec, s[8:9]
	s_and_saveexec_b64 s[6:7], s[4:5]
	s_cbranch_execnz .LBB1134_562
.LBB1134_497:
	s_or_b64 exec, exec, s[6:7]
	s_and_saveexec_b64 s[4:5], s[2:3]
	s_cbranch_execz .LBB1134_499
.LBB1134_498:
	v_sub_u32_e32 v2, v39, v62
	v_lshlrev_b32_e32 v2, 3, v2
	ds_write_b64 v2, v[4:5]
.LBB1134_499:
	s_or_b64 exec, exec, s[4:5]
	s_and_b64 s[40:41], s[0:1], exec
                                        ; implicit-def: $vgpr2_vgpr3
                                        ; implicit-def: $vgpr6_vgpr7
                                        ; implicit-def: $vgpr10_vgpr11
                                        ; implicit-def: $vgpr14_vgpr15
                                        ; implicit-def: $vgpr18_vgpr19
                                        ; implicit-def: $vgpr22_vgpr23
                                        ; implicit-def: $vgpr26_vgpr27
	s_andn2_saveexec_b64 s[0:1], s[38:39]
	s_cbranch_execz .LBB1134_439
.LBB1134_500:
	v_sub_u32_e32 v54, v59, v62
	v_lshlrev_b32_e32 v54, 3, v54
	ds_write_b64 v54, v[26:27]
	v_sub_u32_e32 v26, v51, v62
	v_lshlrev_b32_e32 v26, 3, v26
	ds_write_b64 v26, v[28:29]
	;; [unrolled: 3-line block ×13, first 2 shown]
	v_sub_u32_e32 v2, v39, v62
	v_lshlrev_b32_e32 v2, 3, v2
	s_or_b64 s[40:41], s[40:41], exec
	ds_write_b64 v2, v[4:5]
	s_or_b64 exec, exec, s[0:1]
	s_and_b64 exec, exec, s[40:41]
	s_cbranch_execnz .LBB1134_440
	s_branch .LBB1134_441
.LBB1134_501:
	s_and_saveexec_b64 s[38:39], s[28:29]
	s_cbranch_execnz .LBB1134_563
; %bb.502:
	s_or_b64 exec, exec, s[38:39]
	s_and_saveexec_b64 s[38:39], s[26:27]
	s_cbranch_execnz .LBB1134_564
.LBB1134_503:
	s_or_b64 exec, exec, s[38:39]
	s_and_saveexec_b64 s[38:39], s[24:25]
	s_cbranch_execnz .LBB1134_565
.LBB1134_504:
	s_or_b64 exec, exec, s[38:39]
	s_and_saveexec_b64 s[38:39], s[22:23]
	s_cbranch_execnz .LBB1134_566
.LBB1134_505:
	s_or_b64 exec, exec, s[38:39]
	s_and_saveexec_b64 s[38:39], s[20:21]
	s_cbranch_execnz .LBB1134_567
.LBB1134_506:
	s_or_b64 exec, exec, s[38:39]
	s_and_saveexec_b64 s[38:39], s[18:19]
	s_cbranch_execnz .LBB1134_568
.LBB1134_507:
	s_or_b64 exec, exec, s[38:39]
	s_and_saveexec_b64 s[38:39], s[16:17]
	s_cbranch_execnz .LBB1134_569
.LBB1134_508:
	s_or_b64 exec, exec, s[38:39]
	s_and_saveexec_b64 s[38:39], s[14:15]
	s_cbranch_execnz .LBB1134_570
.LBB1134_509:
	s_or_b64 exec, exec, s[38:39]
	s_and_saveexec_b64 s[38:39], s[12:13]
	s_cbranch_execnz .LBB1134_571
.LBB1134_510:
	s_or_b64 exec, exec, s[38:39]
	s_and_saveexec_b64 s[38:39], s[10:11]
	s_cbranch_execnz .LBB1134_572
.LBB1134_511:
	s_or_b64 exec, exec, s[38:39]
	s_and_saveexec_b64 s[38:39], s[8:9]
	s_cbranch_execnz .LBB1134_573
.LBB1134_512:
	s_or_b64 exec, exec, s[38:39]
	s_and_saveexec_b64 s[38:39], s[6:7]
	s_cbranch_execnz .LBB1134_574
.LBB1134_513:
	s_or_b64 exec, exec, s[38:39]
	s_and_saveexec_b64 s[38:39], s[4:5]
	s_cbranch_execnz .LBB1134_575
.LBB1134_514:
	s_or_b64 exec, exec, s[38:39]
	s_and_saveexec_b64 s[38:39], s[2:3]
	s_cbranch_execz .LBB1134_516
.LBB1134_515:
	v_sub_u32_e32 v10, v39, v8
	v_mov_b32_e32 v11, 0
	v_lshlrev_b64 v[10:11], 3, v[10:11]
	v_add_co_u32_e32 v10, vcc, v6, v10
	v_addc_co_u32_e32 v11, vcc, v7, v11, vcc
	global_store_dwordx2 v[10:11], v[94:95], off
.LBB1134_516:
	s_or_b64 exec, exec, s[38:39]
	s_and_b64 s[38:39], s[0:1], exec
	s_andn2_saveexec_b64 s[30:31], s[30:31]
	s_cbranch_execz .LBB1134_449
.LBB1134_517:
	v_sub_u32_e32 v10, v59, v8
	v_mov_b32_e32 v11, 0
	v_lshlrev_b64 v[12:13], 3, v[10:11]
	v_add_co_u32_e32 v12, vcc, v6, v12
	v_addc_co_u32_e32 v13, vcc, v7, v13, vcc
	v_sub_u32_e32 v10, v51, v8
	global_store_dwordx2 v[12:13], v[92:93], off
	v_lshlrev_b64 v[12:13], 3, v[10:11]
	v_add_co_u32_e32 v12, vcc, v6, v12
	v_addc_co_u32_e32 v13, vcc, v7, v13, vcc
	v_sub_u32_e32 v10, v50, v8
	global_store_dwordx2 v[12:13], v[64:65], off
	;; [unrolled: 5-line block ×12, first 2 shown]
	v_lshlrev_b64 v[12:13], 3, v[10:11]
	v_add_co_u32_e32 v12, vcc, v6, v12
	v_sub_u32_e32 v10, v39, v8
	v_addc_co_u32_e32 v13, vcc, v7, v13, vcc
	v_lshlrev_b64 v[10:11], 3, v[10:11]
	v_add_co_u32_e32 v10, vcc, v6, v10
	v_addc_co_u32_e32 v11, vcc, v7, v11, vcc
	s_or_b64 s[38:39], s[38:39], exec
	global_store_dwordx2 v[12:13], v[90:91], off
	global_store_dwordx2 v[10:11], v[94:95], off
	s_or_b64 exec, exec, s[30:31]
	s_and_b64 exec, exec, s[38:39]
	s_cbranch_execnz .LBB1134_450
	s_branch .LBB1134_451
.LBB1134_518:
	s_and_saveexec_b64 s[38:39], s[28:29]
	s_cbranch_execnz .LBB1134_576
; %bb.519:
	s_or_b64 exec, exec, s[38:39]
	s_and_saveexec_b64 s[28:29], s[26:27]
	s_cbranch_execnz .LBB1134_577
.LBB1134_520:
	s_or_b64 exec, exec, s[28:29]
	s_and_saveexec_b64 s[26:27], s[24:25]
	s_cbranch_execnz .LBB1134_578
.LBB1134_521:
	s_or_b64 exec, exec, s[26:27]
	s_and_saveexec_b64 s[24:25], s[22:23]
	s_cbranch_execnz .LBB1134_579
.LBB1134_522:
	s_or_b64 exec, exec, s[24:25]
	s_and_saveexec_b64 s[22:23], s[20:21]
	s_cbranch_execnz .LBB1134_580
.LBB1134_523:
	s_or_b64 exec, exec, s[22:23]
	s_and_saveexec_b64 s[20:21], s[18:19]
	s_cbranch_execnz .LBB1134_581
.LBB1134_524:
	s_or_b64 exec, exec, s[20:21]
	s_and_saveexec_b64 s[18:19], s[16:17]
	s_cbranch_execnz .LBB1134_582
.LBB1134_525:
	s_or_b64 exec, exec, s[18:19]
	s_and_saveexec_b64 s[16:17], s[14:15]
	s_cbranch_execnz .LBB1134_583
.LBB1134_526:
	s_or_b64 exec, exec, s[16:17]
	s_and_saveexec_b64 s[14:15], s[12:13]
	s_cbranch_execnz .LBB1134_584
.LBB1134_527:
	s_or_b64 exec, exec, s[14:15]
	s_and_saveexec_b64 s[12:13], s[10:11]
	s_cbranch_execnz .LBB1134_585
.LBB1134_528:
	s_or_b64 exec, exec, s[12:13]
	s_and_saveexec_b64 s[10:11], s[8:9]
	s_cbranch_execnz .LBB1134_586
.LBB1134_529:
	s_or_b64 exec, exec, s[10:11]
	s_and_saveexec_b64 s[8:9], s[6:7]
	s_cbranch_execnz .LBB1134_587
.LBB1134_530:
	s_or_b64 exec, exec, s[8:9]
	s_and_saveexec_b64 s[6:7], s[4:5]
	s_cbranch_execnz .LBB1134_588
.LBB1134_531:
	s_or_b64 exec, exec, s[6:7]
	s_and_saveexec_b64 s[4:5], s[2:3]
	s_cbranch_execz .LBB1134_533
.LBB1134_532:
	v_sub_u32_e32 v9, v39, v8
	v_lshlrev_b32_e32 v9, 3, v9
	ds_write_b64 v9, v[94:95]
.LBB1134_533:
	s_or_b64 exec, exec, s[4:5]
	s_and_b64 s[38:39], s[0:1], exec
                                        ; implicit-def: $vgpr92_vgpr93
                                        ; implicit-def: $vgpr64_vgpr65
                                        ; implicit-def: $vgpr66_vgpr67
                                        ; implicit-def: $vgpr68_vgpr69
                                        ; implicit-def: $vgpr70_vgpr71
                                        ; implicit-def: $vgpr76_vgpr77
                                        ; implicit-def: $vgpr78_vgpr79
                                        ; implicit-def: $vgpr80_vgpr81
                                        ; implicit-def: $vgpr82_vgpr83
                                        ; implicit-def: $vgpr84_vgpr85
                                        ; implicit-def: $vgpr86_vgpr87
                                        ; implicit-def: $vgpr88_vgpr89
                                        ; implicit-def: $vgpr90_vgpr91
                                        ; implicit-def: $vgpr94_vgpr95
                                        ; implicit-def: $vgpr59
                                        ; implicit-def: $vgpr51
                                        ; implicit-def: $vgpr50
                                        ; implicit-def: $vgpr49
                                        ; implicit-def: $vgpr48
                                        ; implicit-def: $vgpr47
                                        ; implicit-def: $vgpr46
                                        ; implicit-def: $vgpr45
                                        ; implicit-def: $vgpr44
                                        ; implicit-def: $vgpr43
                                        ; implicit-def: $vgpr42
                                        ; implicit-def: $vgpr41
                                        ; implicit-def: $vgpr40
                                        ; implicit-def: $vgpr39
	s_andn2_saveexec_b64 s[0:1], s[34:35]
	s_cbranch_execz .LBB1134_456
.LBB1134_534:
	v_sub_u32_e32 v9, v59, v8
	v_lshlrev_b32_e32 v9, 3, v9
	ds_write_b64 v9, v[92:93]
	v_sub_u32_e32 v9, v51, v8
	v_lshlrev_b32_e32 v9, 3, v9
	ds_write_b64 v9, v[64:65]
	;; [unrolled: 3-line block ×13, first 2 shown]
	v_sub_u32_e32 v9, v39, v8
	v_lshlrev_b32_e32 v9, 3, v9
	s_or_b64 s[38:39], s[38:39], exec
	ds_write_b64 v9, v[94:95]
	s_or_b64 exec, exec, s[0:1]
	s_and_b64 exec, exec, s[38:39]
	s_cbranch_execnz .LBB1134_457
	s_branch .LBB1134_458
.LBB1134_535:
                                        ; implicit-def: $vgpr76_vgpr77
	s_andn2_b64 vcc, exec, s[4:5]
	s_cbranch_vccz .LBB1134_308
	s_branch .LBB1134_309
.LBB1134_536:
                                        ; implicit-def: $vgpr58_vgpr59
	s_andn2_b64 vcc, exec, s[8:9]
	s_cbranch_vccz .LBB1134_321
	s_branch .LBB1134_322
.LBB1134_537:
	v_sub_u32_e32 v56, v59, v62
	v_mov_b32_e32 v57, 0
	v_lshlrev_b64 v[56:57], 3, v[56:57]
	v_add_co_u32_e32 v56, vcc, v52, v56
	v_addc_co_u32_e32 v57, vcc, v53, v57, vcc
	global_store_dwordx2 v[56:57], v[26:27], off
	s_or_b64 exec, exec, s[40:41]
	s_and_saveexec_b64 s[40:41], s[26:27]
	s_cbranch_execz .LBB1134_469
.LBB1134_538:
	v_sub_u32_e32 v56, v51, v62
	v_mov_b32_e32 v57, 0
	v_lshlrev_b64 v[56:57], 3, v[56:57]
	v_add_co_u32_e32 v56, vcc, v52, v56
	v_addc_co_u32_e32 v57, vcc, v53, v57, vcc
	global_store_dwordx2 v[56:57], v[28:29], off
	s_or_b64 exec, exec, s[40:41]
	s_and_saveexec_b64 s[40:41], s[24:25]
	s_cbranch_execz .LBB1134_470
.LBB1134_539:
	v_sub_u32_e32 v56, v50, v62
	v_mov_b32_e32 v57, 0
	v_lshlrev_b64 v[56:57], 3, v[56:57]
	v_add_co_u32_e32 v56, vcc, v52, v56
	v_addc_co_u32_e32 v57, vcc, v53, v57, vcc
	global_store_dwordx2 v[56:57], v[22:23], off
	s_or_b64 exec, exec, s[40:41]
	s_and_saveexec_b64 s[40:41], s[22:23]
	s_cbranch_execz .LBB1134_471
.LBB1134_540:
	v_sub_u32_e32 v56, v49, v62
	v_mov_b32_e32 v57, 0
	v_lshlrev_b64 v[56:57], 3, v[56:57]
	v_add_co_u32_e32 v56, vcc, v52, v56
	v_addc_co_u32_e32 v57, vcc, v53, v57, vcc
	global_store_dwordx2 v[56:57], v[24:25], off
	s_or_b64 exec, exec, s[40:41]
	s_and_saveexec_b64 s[40:41], s[20:21]
	s_cbranch_execz .LBB1134_472
.LBB1134_541:
	v_sub_u32_e32 v56, v48, v62
	v_mov_b32_e32 v57, 0
	v_lshlrev_b64 v[56:57], 3, v[56:57]
	v_add_co_u32_e32 v56, vcc, v52, v56
	v_addc_co_u32_e32 v57, vcc, v53, v57, vcc
	global_store_dwordx2 v[56:57], v[18:19], off
	s_or_b64 exec, exec, s[40:41]
	s_and_saveexec_b64 s[40:41], s[18:19]
	s_cbranch_execz .LBB1134_473
.LBB1134_542:
	v_sub_u32_e32 v56, v47, v62
	v_mov_b32_e32 v57, 0
	v_lshlrev_b64 v[56:57], 3, v[56:57]
	v_add_co_u32_e32 v56, vcc, v52, v56
	v_addc_co_u32_e32 v57, vcc, v53, v57, vcc
	global_store_dwordx2 v[56:57], v[20:21], off
	s_or_b64 exec, exec, s[40:41]
	s_and_saveexec_b64 s[40:41], s[16:17]
	s_cbranch_execz .LBB1134_474
.LBB1134_543:
	v_sub_u32_e32 v56, v46, v62
	v_mov_b32_e32 v57, 0
	v_lshlrev_b64 v[56:57], 3, v[56:57]
	v_add_co_u32_e32 v56, vcc, v52, v56
	v_addc_co_u32_e32 v57, vcc, v53, v57, vcc
	global_store_dwordx2 v[56:57], v[14:15], off
	s_or_b64 exec, exec, s[40:41]
	s_and_saveexec_b64 s[40:41], s[14:15]
	s_cbranch_execz .LBB1134_475
.LBB1134_544:
	v_sub_u32_e32 v56, v45, v62
	v_mov_b32_e32 v57, 0
	v_lshlrev_b64 v[56:57], 3, v[56:57]
	v_add_co_u32_e32 v56, vcc, v52, v56
	v_addc_co_u32_e32 v57, vcc, v53, v57, vcc
	global_store_dwordx2 v[56:57], v[16:17], off
	s_or_b64 exec, exec, s[40:41]
	s_and_saveexec_b64 s[40:41], s[12:13]
	s_cbranch_execz .LBB1134_476
.LBB1134_545:
	v_sub_u32_e32 v56, v44, v62
	v_mov_b32_e32 v57, 0
	v_lshlrev_b64 v[56:57], 3, v[56:57]
	v_add_co_u32_e32 v56, vcc, v52, v56
	v_addc_co_u32_e32 v57, vcc, v53, v57, vcc
	global_store_dwordx2 v[56:57], v[10:11], off
	s_or_b64 exec, exec, s[40:41]
	s_and_saveexec_b64 s[40:41], s[10:11]
	s_cbranch_execz .LBB1134_477
.LBB1134_546:
	v_sub_u32_e32 v56, v43, v62
	v_mov_b32_e32 v57, 0
	v_lshlrev_b64 v[56:57], 3, v[56:57]
	v_add_co_u32_e32 v56, vcc, v52, v56
	v_addc_co_u32_e32 v57, vcc, v53, v57, vcc
	global_store_dwordx2 v[56:57], v[12:13], off
	s_or_b64 exec, exec, s[40:41]
	s_and_saveexec_b64 s[40:41], s[8:9]
	s_cbranch_execz .LBB1134_478
.LBB1134_547:
	v_sub_u32_e32 v56, v42, v62
	v_mov_b32_e32 v57, 0
	v_lshlrev_b64 v[56:57], 3, v[56:57]
	v_add_co_u32_e32 v56, vcc, v52, v56
	v_addc_co_u32_e32 v57, vcc, v53, v57, vcc
	global_store_dwordx2 v[56:57], v[6:7], off
	s_or_b64 exec, exec, s[40:41]
	s_and_saveexec_b64 s[40:41], s[6:7]
	s_cbranch_execz .LBB1134_479
.LBB1134_548:
	v_sub_u32_e32 v56, v41, v62
	v_mov_b32_e32 v57, 0
	v_lshlrev_b64 v[56:57], 3, v[56:57]
	v_add_co_u32_e32 v56, vcc, v52, v56
	v_addc_co_u32_e32 v57, vcc, v53, v57, vcc
	global_store_dwordx2 v[56:57], v[8:9], off
	s_or_b64 exec, exec, s[40:41]
	s_and_saveexec_b64 s[40:41], s[4:5]
	s_cbranch_execz .LBB1134_480
.LBB1134_549:
	v_sub_u32_e32 v56, v40, v62
	v_mov_b32_e32 v57, 0
	v_lshlrev_b64 v[56:57], 3, v[56:57]
	v_add_co_u32_e32 v56, vcc, v52, v56
	v_addc_co_u32_e32 v57, vcc, v53, v57, vcc
	global_store_dwordx2 v[56:57], v[2:3], off
	s_or_b64 exec, exec, s[40:41]
	s_and_saveexec_b64 s[40:41], s[2:3]
	s_cbranch_execnz .LBB1134_481
	s_branch .LBB1134_482
.LBB1134_550:
	v_sub_u32_e32 v54, v59, v62
	v_lshlrev_b32_e32 v54, 3, v54
	ds_write_b64 v54, v[26:27]
	s_or_b64 exec, exec, s[40:41]
	s_and_saveexec_b64 s[28:29], s[26:27]
	s_cbranch_execz .LBB1134_486
.LBB1134_551:
	v_sub_u32_e32 v26, v51, v62
	v_lshlrev_b32_e32 v26, 3, v26
	ds_write_b64 v26, v[28:29]
	s_or_b64 exec, exec, s[28:29]
	s_and_saveexec_b64 s[26:27], s[24:25]
	s_cbranch_execz .LBB1134_487
.LBB1134_552:
	v_sub_u32_e32 v26, v50, v62
	v_lshlrev_b32_e32 v26, 3, v26
	ds_write_b64 v26, v[22:23]
	s_or_b64 exec, exec, s[26:27]
	s_and_saveexec_b64 s[24:25], s[22:23]
	s_cbranch_execz .LBB1134_488
.LBB1134_553:
	v_sub_u32_e32 v22, v49, v62
	v_lshlrev_b32_e32 v22, 3, v22
	ds_write_b64 v22, v[24:25]
	s_or_b64 exec, exec, s[24:25]
	s_and_saveexec_b64 s[22:23], s[20:21]
	s_cbranch_execz .LBB1134_489
.LBB1134_554:
	v_sub_u32_e32 v22, v48, v62
	v_lshlrev_b32_e32 v22, 3, v22
	ds_write_b64 v22, v[18:19]
	s_or_b64 exec, exec, s[22:23]
	s_and_saveexec_b64 s[20:21], s[18:19]
	s_cbranch_execz .LBB1134_490
.LBB1134_555:
	v_sub_u32_e32 v18, v47, v62
	v_lshlrev_b32_e32 v18, 3, v18
	ds_write_b64 v18, v[20:21]
	s_or_b64 exec, exec, s[20:21]
	s_and_saveexec_b64 s[18:19], s[16:17]
	s_cbranch_execz .LBB1134_491
.LBB1134_556:
	v_sub_u32_e32 v18, v46, v62
	v_lshlrev_b32_e32 v18, 3, v18
	ds_write_b64 v18, v[14:15]
	s_or_b64 exec, exec, s[18:19]
	s_and_saveexec_b64 s[16:17], s[14:15]
	s_cbranch_execz .LBB1134_492
.LBB1134_557:
	v_sub_u32_e32 v14, v45, v62
	v_lshlrev_b32_e32 v14, 3, v14
	ds_write_b64 v14, v[16:17]
	s_or_b64 exec, exec, s[16:17]
	s_and_saveexec_b64 s[14:15], s[12:13]
	s_cbranch_execz .LBB1134_493
.LBB1134_558:
	v_sub_u32_e32 v14, v44, v62
	v_lshlrev_b32_e32 v14, 3, v14
	ds_write_b64 v14, v[10:11]
	s_or_b64 exec, exec, s[14:15]
	s_and_saveexec_b64 s[12:13], s[10:11]
	s_cbranch_execz .LBB1134_494
.LBB1134_559:
	v_sub_u32_e32 v10, v43, v62
	v_lshlrev_b32_e32 v10, 3, v10
	ds_write_b64 v10, v[12:13]
	s_or_b64 exec, exec, s[12:13]
	s_and_saveexec_b64 s[10:11], s[8:9]
	s_cbranch_execz .LBB1134_495
.LBB1134_560:
	v_sub_u32_e32 v10, v42, v62
	v_lshlrev_b32_e32 v10, 3, v10
	ds_write_b64 v10, v[6:7]
	s_or_b64 exec, exec, s[10:11]
	s_and_saveexec_b64 s[8:9], s[6:7]
	s_cbranch_execz .LBB1134_496
.LBB1134_561:
	v_sub_u32_e32 v6, v41, v62
	v_lshlrev_b32_e32 v6, 3, v6
	ds_write_b64 v6, v[8:9]
	s_or_b64 exec, exec, s[8:9]
	s_and_saveexec_b64 s[6:7], s[4:5]
	s_cbranch_execz .LBB1134_497
.LBB1134_562:
	v_sub_u32_e32 v6, v40, v62
	v_lshlrev_b32_e32 v6, 3, v6
	ds_write_b64 v6, v[2:3]
	s_or_b64 exec, exec, s[6:7]
	s_and_saveexec_b64 s[4:5], s[2:3]
	s_cbranch_execnz .LBB1134_498
	s_branch .LBB1134_499
.LBB1134_563:
	v_sub_u32_e32 v10, v59, v8
	v_mov_b32_e32 v11, 0
	v_lshlrev_b64 v[10:11], 3, v[10:11]
	v_add_co_u32_e32 v10, vcc, v6, v10
	v_addc_co_u32_e32 v11, vcc, v7, v11, vcc
	global_store_dwordx2 v[10:11], v[92:93], off
	s_or_b64 exec, exec, s[38:39]
	s_and_saveexec_b64 s[38:39], s[26:27]
	s_cbranch_execz .LBB1134_503
.LBB1134_564:
	v_sub_u32_e32 v10, v51, v8
	v_mov_b32_e32 v11, 0
	v_lshlrev_b64 v[10:11], 3, v[10:11]
	v_add_co_u32_e32 v10, vcc, v6, v10
	v_addc_co_u32_e32 v11, vcc, v7, v11, vcc
	global_store_dwordx2 v[10:11], v[64:65], off
	s_or_b64 exec, exec, s[38:39]
	s_and_saveexec_b64 s[38:39], s[24:25]
	s_cbranch_execz .LBB1134_504
.LBB1134_565:
	v_sub_u32_e32 v10, v50, v8
	v_mov_b32_e32 v11, 0
	v_lshlrev_b64 v[10:11], 3, v[10:11]
	v_add_co_u32_e32 v10, vcc, v6, v10
	v_addc_co_u32_e32 v11, vcc, v7, v11, vcc
	global_store_dwordx2 v[10:11], v[66:67], off
	s_or_b64 exec, exec, s[38:39]
	s_and_saveexec_b64 s[38:39], s[22:23]
	s_cbranch_execz .LBB1134_505
.LBB1134_566:
	v_sub_u32_e32 v10, v49, v8
	v_mov_b32_e32 v11, 0
	v_lshlrev_b64 v[10:11], 3, v[10:11]
	v_add_co_u32_e32 v10, vcc, v6, v10
	v_addc_co_u32_e32 v11, vcc, v7, v11, vcc
	global_store_dwordx2 v[10:11], v[68:69], off
	s_or_b64 exec, exec, s[38:39]
	s_and_saveexec_b64 s[38:39], s[20:21]
	s_cbranch_execz .LBB1134_506
.LBB1134_567:
	v_sub_u32_e32 v10, v48, v8
	v_mov_b32_e32 v11, 0
	v_lshlrev_b64 v[10:11], 3, v[10:11]
	v_add_co_u32_e32 v10, vcc, v6, v10
	v_addc_co_u32_e32 v11, vcc, v7, v11, vcc
	global_store_dwordx2 v[10:11], v[70:71], off
	s_or_b64 exec, exec, s[38:39]
	s_and_saveexec_b64 s[38:39], s[18:19]
	s_cbranch_execz .LBB1134_507
.LBB1134_568:
	v_sub_u32_e32 v10, v47, v8
	v_mov_b32_e32 v11, 0
	v_lshlrev_b64 v[10:11], 3, v[10:11]
	v_add_co_u32_e32 v10, vcc, v6, v10
	v_addc_co_u32_e32 v11, vcc, v7, v11, vcc
	global_store_dwordx2 v[10:11], v[76:77], off
	s_or_b64 exec, exec, s[38:39]
	s_and_saveexec_b64 s[38:39], s[16:17]
	s_cbranch_execz .LBB1134_508
.LBB1134_569:
	v_sub_u32_e32 v10, v46, v8
	v_mov_b32_e32 v11, 0
	v_lshlrev_b64 v[10:11], 3, v[10:11]
	v_add_co_u32_e32 v10, vcc, v6, v10
	v_addc_co_u32_e32 v11, vcc, v7, v11, vcc
	global_store_dwordx2 v[10:11], v[78:79], off
	s_or_b64 exec, exec, s[38:39]
	s_and_saveexec_b64 s[38:39], s[14:15]
	s_cbranch_execz .LBB1134_509
.LBB1134_570:
	v_sub_u32_e32 v10, v45, v8
	v_mov_b32_e32 v11, 0
	v_lshlrev_b64 v[10:11], 3, v[10:11]
	v_add_co_u32_e32 v10, vcc, v6, v10
	v_addc_co_u32_e32 v11, vcc, v7, v11, vcc
	global_store_dwordx2 v[10:11], v[80:81], off
	s_or_b64 exec, exec, s[38:39]
	s_and_saveexec_b64 s[38:39], s[12:13]
	s_cbranch_execz .LBB1134_510
.LBB1134_571:
	v_sub_u32_e32 v10, v44, v8
	v_mov_b32_e32 v11, 0
	v_lshlrev_b64 v[10:11], 3, v[10:11]
	v_add_co_u32_e32 v10, vcc, v6, v10
	v_addc_co_u32_e32 v11, vcc, v7, v11, vcc
	global_store_dwordx2 v[10:11], v[82:83], off
	s_or_b64 exec, exec, s[38:39]
	s_and_saveexec_b64 s[38:39], s[10:11]
	s_cbranch_execz .LBB1134_511
.LBB1134_572:
	v_sub_u32_e32 v10, v43, v8
	v_mov_b32_e32 v11, 0
	v_lshlrev_b64 v[10:11], 3, v[10:11]
	v_add_co_u32_e32 v10, vcc, v6, v10
	v_addc_co_u32_e32 v11, vcc, v7, v11, vcc
	global_store_dwordx2 v[10:11], v[84:85], off
	s_or_b64 exec, exec, s[38:39]
	s_and_saveexec_b64 s[38:39], s[8:9]
	s_cbranch_execz .LBB1134_512
.LBB1134_573:
	v_sub_u32_e32 v10, v42, v8
	v_mov_b32_e32 v11, 0
	v_lshlrev_b64 v[10:11], 3, v[10:11]
	v_add_co_u32_e32 v10, vcc, v6, v10
	v_addc_co_u32_e32 v11, vcc, v7, v11, vcc
	global_store_dwordx2 v[10:11], v[86:87], off
	s_or_b64 exec, exec, s[38:39]
	s_and_saveexec_b64 s[38:39], s[6:7]
	s_cbranch_execz .LBB1134_513
.LBB1134_574:
	v_sub_u32_e32 v10, v41, v8
	v_mov_b32_e32 v11, 0
	v_lshlrev_b64 v[10:11], 3, v[10:11]
	v_add_co_u32_e32 v10, vcc, v6, v10
	v_addc_co_u32_e32 v11, vcc, v7, v11, vcc
	global_store_dwordx2 v[10:11], v[88:89], off
	s_or_b64 exec, exec, s[38:39]
	s_and_saveexec_b64 s[38:39], s[4:5]
	s_cbranch_execz .LBB1134_514
.LBB1134_575:
	v_sub_u32_e32 v10, v40, v8
	v_mov_b32_e32 v11, 0
	v_lshlrev_b64 v[10:11], 3, v[10:11]
	v_add_co_u32_e32 v10, vcc, v6, v10
	v_addc_co_u32_e32 v11, vcc, v7, v11, vcc
	global_store_dwordx2 v[10:11], v[90:91], off
	s_or_b64 exec, exec, s[38:39]
	s_and_saveexec_b64 s[38:39], s[2:3]
	s_cbranch_execnz .LBB1134_515
	s_branch .LBB1134_516
.LBB1134_576:
	v_sub_u32_e32 v9, v59, v8
	v_lshlrev_b32_e32 v9, 3, v9
	ds_write_b64 v9, v[92:93]
	s_or_b64 exec, exec, s[38:39]
	s_and_saveexec_b64 s[28:29], s[26:27]
	s_cbranch_execz .LBB1134_520
.LBB1134_577:
	v_sub_u32_e32 v9, v51, v8
	v_lshlrev_b32_e32 v9, 3, v9
	ds_write_b64 v9, v[64:65]
	s_or_b64 exec, exec, s[28:29]
	s_and_saveexec_b64 s[26:27], s[24:25]
	s_cbranch_execz .LBB1134_521
.LBB1134_578:
	v_sub_u32_e32 v9, v50, v8
	v_lshlrev_b32_e32 v9, 3, v9
	ds_write_b64 v9, v[66:67]
	s_or_b64 exec, exec, s[26:27]
	s_and_saveexec_b64 s[24:25], s[22:23]
	s_cbranch_execz .LBB1134_522
.LBB1134_579:
	v_sub_u32_e32 v9, v49, v8
	v_lshlrev_b32_e32 v9, 3, v9
	ds_write_b64 v9, v[68:69]
	s_or_b64 exec, exec, s[24:25]
	s_and_saveexec_b64 s[22:23], s[20:21]
	s_cbranch_execz .LBB1134_523
.LBB1134_580:
	v_sub_u32_e32 v9, v48, v8
	v_lshlrev_b32_e32 v9, 3, v9
	ds_write_b64 v9, v[70:71]
	s_or_b64 exec, exec, s[22:23]
	s_and_saveexec_b64 s[20:21], s[18:19]
	s_cbranch_execz .LBB1134_524
.LBB1134_581:
	v_sub_u32_e32 v9, v47, v8
	v_lshlrev_b32_e32 v9, 3, v9
	ds_write_b64 v9, v[76:77]
	s_or_b64 exec, exec, s[20:21]
	s_and_saveexec_b64 s[18:19], s[16:17]
	s_cbranch_execz .LBB1134_525
.LBB1134_582:
	v_sub_u32_e32 v9, v46, v8
	v_lshlrev_b32_e32 v9, 3, v9
	ds_write_b64 v9, v[78:79]
	s_or_b64 exec, exec, s[18:19]
	s_and_saveexec_b64 s[16:17], s[14:15]
	s_cbranch_execz .LBB1134_526
.LBB1134_583:
	v_sub_u32_e32 v9, v45, v8
	v_lshlrev_b32_e32 v9, 3, v9
	ds_write_b64 v9, v[80:81]
	s_or_b64 exec, exec, s[16:17]
	s_and_saveexec_b64 s[14:15], s[12:13]
	s_cbranch_execz .LBB1134_527
.LBB1134_584:
	v_sub_u32_e32 v9, v44, v8
	v_lshlrev_b32_e32 v9, 3, v9
	ds_write_b64 v9, v[82:83]
	s_or_b64 exec, exec, s[14:15]
	s_and_saveexec_b64 s[12:13], s[10:11]
	s_cbranch_execz .LBB1134_528
.LBB1134_585:
	v_sub_u32_e32 v9, v43, v8
	v_lshlrev_b32_e32 v9, 3, v9
	ds_write_b64 v9, v[84:85]
	s_or_b64 exec, exec, s[12:13]
	s_and_saveexec_b64 s[10:11], s[8:9]
	s_cbranch_execz .LBB1134_529
.LBB1134_586:
	v_sub_u32_e32 v9, v42, v8
	v_lshlrev_b32_e32 v9, 3, v9
	ds_write_b64 v9, v[86:87]
	s_or_b64 exec, exec, s[10:11]
	s_and_saveexec_b64 s[8:9], s[6:7]
	s_cbranch_execz .LBB1134_530
.LBB1134_587:
	v_sub_u32_e32 v9, v41, v8
	v_lshlrev_b32_e32 v9, 3, v9
	ds_write_b64 v9, v[88:89]
	s_or_b64 exec, exec, s[8:9]
	s_and_saveexec_b64 s[6:7], s[4:5]
	s_cbranch_execz .LBB1134_531
.LBB1134_588:
	v_sub_u32_e32 v9, v40, v8
	v_lshlrev_b32_e32 v9, 3, v9
	ds_write_b64 v9, v[90:91]
	s_or_b64 exec, exec, s[6:7]
	s_and_saveexec_b64 s[4:5], s[2:3]
	s_cbranch_execnz .LBB1134_532
	s_branch .LBB1134_533
	.section	.rodata,"a",@progbits
	.p2align	6, 0x0
	.amdhsa_kernel _ZN7rocprim17ROCPRIM_400000_NS6detail17trampoline_kernelINS0_14default_configENS1_29reduce_by_key_config_selectorIllN6thrust23THRUST_200600_302600_NS4plusIlEEEEZZNS1_33reduce_by_key_impl_wrapped_configILNS1_25lookback_scan_determinismE0ES3_S9_NS6_18transform_iteratorI6div_opNS6_17counting_iteratorIlNS6_11use_defaultESF_SF_EESF_SF_EENSC_I6mod_opSG_SF_SF_EENS6_6detail15normal_iteratorINS6_10device_ptrIlEEEESO_PmS8_NS6_8equal_toIlEEEE10hipError_tPvRmT2_T3_mT4_T5_T6_T7_T8_P12ihipStream_tbENKUlT_T0_E_clISt17integral_constantIbLb0EES19_EEDaS14_S15_EUlS14_E_NS1_11comp_targetILNS1_3genE4ELNS1_11target_archE910ELNS1_3gpuE8ELNS1_3repE0EEENS1_30default_config_static_selectorELNS0_4arch9wavefront6targetE1EEEvT1_
		.amdhsa_group_segment_fixed_size 30720
		.amdhsa_private_segment_fixed_size 0
		.amdhsa_kernarg_size 152
		.amdhsa_user_sgpr_count 6
		.amdhsa_user_sgpr_private_segment_buffer 1
		.amdhsa_user_sgpr_dispatch_ptr 0
		.amdhsa_user_sgpr_queue_ptr 0
		.amdhsa_user_sgpr_kernarg_segment_ptr 1
		.amdhsa_user_sgpr_dispatch_id 0
		.amdhsa_user_sgpr_flat_scratch_init 0
		.amdhsa_user_sgpr_kernarg_preload_length 0
		.amdhsa_user_sgpr_kernarg_preload_offset 0
		.amdhsa_user_sgpr_private_segment_size 0
		.amdhsa_uses_dynamic_stack 0
		.amdhsa_system_sgpr_private_segment_wavefront_offset 0
		.amdhsa_system_sgpr_workgroup_id_x 1
		.amdhsa_system_sgpr_workgroup_id_y 0
		.amdhsa_system_sgpr_workgroup_id_z 0
		.amdhsa_system_sgpr_workgroup_info 0
		.amdhsa_system_vgpr_workitem_id 0
		.amdhsa_next_free_vgpr 118
		.amdhsa_next_free_sgpr 77
		.amdhsa_accum_offset 120
		.amdhsa_reserve_vcc 1
		.amdhsa_reserve_flat_scratch 0
		.amdhsa_float_round_mode_32 0
		.amdhsa_float_round_mode_16_64 0
		.amdhsa_float_denorm_mode_32 3
		.amdhsa_float_denorm_mode_16_64 3
		.amdhsa_dx10_clamp 1
		.amdhsa_ieee_mode 1
		.amdhsa_fp16_overflow 0
		.amdhsa_tg_split 0
		.amdhsa_exception_fp_ieee_invalid_op 0
		.amdhsa_exception_fp_denorm_src 0
		.amdhsa_exception_fp_ieee_div_zero 0
		.amdhsa_exception_fp_ieee_overflow 0
		.amdhsa_exception_fp_ieee_underflow 0
		.amdhsa_exception_fp_ieee_inexact 0
		.amdhsa_exception_int_div_zero 0
	.end_amdhsa_kernel
	.section	.text._ZN7rocprim17ROCPRIM_400000_NS6detail17trampoline_kernelINS0_14default_configENS1_29reduce_by_key_config_selectorIllN6thrust23THRUST_200600_302600_NS4plusIlEEEEZZNS1_33reduce_by_key_impl_wrapped_configILNS1_25lookback_scan_determinismE0ES3_S9_NS6_18transform_iteratorI6div_opNS6_17counting_iteratorIlNS6_11use_defaultESF_SF_EESF_SF_EENSC_I6mod_opSG_SF_SF_EENS6_6detail15normal_iteratorINS6_10device_ptrIlEEEESO_PmS8_NS6_8equal_toIlEEEE10hipError_tPvRmT2_T3_mT4_T5_T6_T7_T8_P12ihipStream_tbENKUlT_T0_E_clISt17integral_constantIbLb0EES19_EEDaS14_S15_EUlS14_E_NS1_11comp_targetILNS1_3genE4ELNS1_11target_archE910ELNS1_3gpuE8ELNS1_3repE0EEENS1_30default_config_static_selectorELNS0_4arch9wavefront6targetE1EEEvT1_,"axG",@progbits,_ZN7rocprim17ROCPRIM_400000_NS6detail17trampoline_kernelINS0_14default_configENS1_29reduce_by_key_config_selectorIllN6thrust23THRUST_200600_302600_NS4plusIlEEEEZZNS1_33reduce_by_key_impl_wrapped_configILNS1_25lookback_scan_determinismE0ES3_S9_NS6_18transform_iteratorI6div_opNS6_17counting_iteratorIlNS6_11use_defaultESF_SF_EESF_SF_EENSC_I6mod_opSG_SF_SF_EENS6_6detail15normal_iteratorINS6_10device_ptrIlEEEESO_PmS8_NS6_8equal_toIlEEEE10hipError_tPvRmT2_T3_mT4_T5_T6_T7_T8_P12ihipStream_tbENKUlT_T0_E_clISt17integral_constantIbLb0EES19_EEDaS14_S15_EUlS14_E_NS1_11comp_targetILNS1_3genE4ELNS1_11target_archE910ELNS1_3gpuE8ELNS1_3repE0EEENS1_30default_config_static_selectorELNS0_4arch9wavefront6targetE1EEEvT1_,comdat
.Lfunc_end1134:
	.size	_ZN7rocprim17ROCPRIM_400000_NS6detail17trampoline_kernelINS0_14default_configENS1_29reduce_by_key_config_selectorIllN6thrust23THRUST_200600_302600_NS4plusIlEEEEZZNS1_33reduce_by_key_impl_wrapped_configILNS1_25lookback_scan_determinismE0ES3_S9_NS6_18transform_iteratorI6div_opNS6_17counting_iteratorIlNS6_11use_defaultESF_SF_EESF_SF_EENSC_I6mod_opSG_SF_SF_EENS6_6detail15normal_iteratorINS6_10device_ptrIlEEEESO_PmS8_NS6_8equal_toIlEEEE10hipError_tPvRmT2_T3_mT4_T5_T6_T7_T8_P12ihipStream_tbENKUlT_T0_E_clISt17integral_constantIbLb0EES19_EEDaS14_S15_EUlS14_E_NS1_11comp_targetILNS1_3genE4ELNS1_11target_archE910ELNS1_3gpuE8ELNS1_3repE0EEENS1_30default_config_static_selectorELNS0_4arch9wavefront6targetE1EEEvT1_, .Lfunc_end1134-_ZN7rocprim17ROCPRIM_400000_NS6detail17trampoline_kernelINS0_14default_configENS1_29reduce_by_key_config_selectorIllN6thrust23THRUST_200600_302600_NS4plusIlEEEEZZNS1_33reduce_by_key_impl_wrapped_configILNS1_25lookback_scan_determinismE0ES3_S9_NS6_18transform_iteratorI6div_opNS6_17counting_iteratorIlNS6_11use_defaultESF_SF_EESF_SF_EENSC_I6mod_opSG_SF_SF_EENS6_6detail15normal_iteratorINS6_10device_ptrIlEEEESO_PmS8_NS6_8equal_toIlEEEE10hipError_tPvRmT2_T3_mT4_T5_T6_T7_T8_P12ihipStream_tbENKUlT_T0_E_clISt17integral_constantIbLb0EES19_EEDaS14_S15_EUlS14_E_NS1_11comp_targetILNS1_3genE4ELNS1_11target_archE910ELNS1_3gpuE8ELNS1_3repE0EEENS1_30default_config_static_selectorELNS0_4arch9wavefront6targetE1EEEvT1_
                                        ; -- End function
	.section	.AMDGPU.csdata,"",@progbits
; Kernel info:
; codeLenInByte = 67824
; NumSgprs: 81
; NumVgprs: 118
; NumAgprs: 0
; TotalNumVgprs: 118
; ScratchSize: 0
; MemoryBound: 0
; FloatMode: 240
; IeeeMode: 1
; LDSByteSize: 30720 bytes/workgroup (compile time only)
; SGPRBlocks: 10
; VGPRBlocks: 14
; NumSGPRsForWavesPerEU: 81
; NumVGPRsForWavesPerEU: 118
; AccumOffset: 120
; Occupancy: 2
; WaveLimiterHint : 1
; COMPUTE_PGM_RSRC2:SCRATCH_EN: 0
; COMPUTE_PGM_RSRC2:USER_SGPR: 6
; COMPUTE_PGM_RSRC2:TRAP_HANDLER: 0
; COMPUTE_PGM_RSRC2:TGID_X_EN: 1
; COMPUTE_PGM_RSRC2:TGID_Y_EN: 0
; COMPUTE_PGM_RSRC2:TGID_Z_EN: 0
; COMPUTE_PGM_RSRC2:TIDIG_COMP_CNT: 0
; COMPUTE_PGM_RSRC3_GFX90A:ACCUM_OFFSET: 29
; COMPUTE_PGM_RSRC3_GFX90A:TG_SPLIT: 0
	.section	.text._ZN7rocprim17ROCPRIM_400000_NS6detail17trampoline_kernelINS0_14default_configENS1_29reduce_by_key_config_selectorIllN6thrust23THRUST_200600_302600_NS4plusIlEEEEZZNS1_33reduce_by_key_impl_wrapped_configILNS1_25lookback_scan_determinismE0ES3_S9_NS6_18transform_iteratorI6div_opNS6_17counting_iteratorIlNS6_11use_defaultESF_SF_EESF_SF_EENSC_I6mod_opSG_SF_SF_EENS6_6detail15normal_iteratorINS6_10device_ptrIlEEEESO_PmS8_NS6_8equal_toIlEEEE10hipError_tPvRmT2_T3_mT4_T5_T6_T7_T8_P12ihipStream_tbENKUlT_T0_E_clISt17integral_constantIbLb0EES19_EEDaS14_S15_EUlS14_E_NS1_11comp_targetILNS1_3genE3ELNS1_11target_archE908ELNS1_3gpuE7ELNS1_3repE0EEENS1_30default_config_static_selectorELNS0_4arch9wavefront6targetE1EEEvT1_,"axG",@progbits,_ZN7rocprim17ROCPRIM_400000_NS6detail17trampoline_kernelINS0_14default_configENS1_29reduce_by_key_config_selectorIllN6thrust23THRUST_200600_302600_NS4plusIlEEEEZZNS1_33reduce_by_key_impl_wrapped_configILNS1_25lookback_scan_determinismE0ES3_S9_NS6_18transform_iteratorI6div_opNS6_17counting_iteratorIlNS6_11use_defaultESF_SF_EESF_SF_EENSC_I6mod_opSG_SF_SF_EENS6_6detail15normal_iteratorINS6_10device_ptrIlEEEESO_PmS8_NS6_8equal_toIlEEEE10hipError_tPvRmT2_T3_mT4_T5_T6_T7_T8_P12ihipStream_tbENKUlT_T0_E_clISt17integral_constantIbLb0EES19_EEDaS14_S15_EUlS14_E_NS1_11comp_targetILNS1_3genE3ELNS1_11target_archE908ELNS1_3gpuE7ELNS1_3repE0EEENS1_30default_config_static_selectorELNS0_4arch9wavefront6targetE1EEEvT1_,comdat
	.protected	_ZN7rocprim17ROCPRIM_400000_NS6detail17trampoline_kernelINS0_14default_configENS1_29reduce_by_key_config_selectorIllN6thrust23THRUST_200600_302600_NS4plusIlEEEEZZNS1_33reduce_by_key_impl_wrapped_configILNS1_25lookback_scan_determinismE0ES3_S9_NS6_18transform_iteratorI6div_opNS6_17counting_iteratorIlNS6_11use_defaultESF_SF_EESF_SF_EENSC_I6mod_opSG_SF_SF_EENS6_6detail15normal_iteratorINS6_10device_ptrIlEEEESO_PmS8_NS6_8equal_toIlEEEE10hipError_tPvRmT2_T3_mT4_T5_T6_T7_T8_P12ihipStream_tbENKUlT_T0_E_clISt17integral_constantIbLb0EES19_EEDaS14_S15_EUlS14_E_NS1_11comp_targetILNS1_3genE3ELNS1_11target_archE908ELNS1_3gpuE7ELNS1_3repE0EEENS1_30default_config_static_selectorELNS0_4arch9wavefront6targetE1EEEvT1_ ; -- Begin function _ZN7rocprim17ROCPRIM_400000_NS6detail17trampoline_kernelINS0_14default_configENS1_29reduce_by_key_config_selectorIllN6thrust23THRUST_200600_302600_NS4plusIlEEEEZZNS1_33reduce_by_key_impl_wrapped_configILNS1_25lookback_scan_determinismE0ES3_S9_NS6_18transform_iteratorI6div_opNS6_17counting_iteratorIlNS6_11use_defaultESF_SF_EESF_SF_EENSC_I6mod_opSG_SF_SF_EENS6_6detail15normal_iteratorINS6_10device_ptrIlEEEESO_PmS8_NS6_8equal_toIlEEEE10hipError_tPvRmT2_T3_mT4_T5_T6_T7_T8_P12ihipStream_tbENKUlT_T0_E_clISt17integral_constantIbLb0EES19_EEDaS14_S15_EUlS14_E_NS1_11comp_targetILNS1_3genE3ELNS1_11target_archE908ELNS1_3gpuE7ELNS1_3repE0EEENS1_30default_config_static_selectorELNS0_4arch9wavefront6targetE1EEEvT1_
	.globl	_ZN7rocprim17ROCPRIM_400000_NS6detail17trampoline_kernelINS0_14default_configENS1_29reduce_by_key_config_selectorIllN6thrust23THRUST_200600_302600_NS4plusIlEEEEZZNS1_33reduce_by_key_impl_wrapped_configILNS1_25lookback_scan_determinismE0ES3_S9_NS6_18transform_iteratorI6div_opNS6_17counting_iteratorIlNS6_11use_defaultESF_SF_EESF_SF_EENSC_I6mod_opSG_SF_SF_EENS6_6detail15normal_iteratorINS6_10device_ptrIlEEEESO_PmS8_NS6_8equal_toIlEEEE10hipError_tPvRmT2_T3_mT4_T5_T6_T7_T8_P12ihipStream_tbENKUlT_T0_E_clISt17integral_constantIbLb0EES19_EEDaS14_S15_EUlS14_E_NS1_11comp_targetILNS1_3genE3ELNS1_11target_archE908ELNS1_3gpuE7ELNS1_3repE0EEENS1_30default_config_static_selectorELNS0_4arch9wavefront6targetE1EEEvT1_
	.p2align	8
	.type	_ZN7rocprim17ROCPRIM_400000_NS6detail17trampoline_kernelINS0_14default_configENS1_29reduce_by_key_config_selectorIllN6thrust23THRUST_200600_302600_NS4plusIlEEEEZZNS1_33reduce_by_key_impl_wrapped_configILNS1_25lookback_scan_determinismE0ES3_S9_NS6_18transform_iteratorI6div_opNS6_17counting_iteratorIlNS6_11use_defaultESF_SF_EESF_SF_EENSC_I6mod_opSG_SF_SF_EENS6_6detail15normal_iteratorINS6_10device_ptrIlEEEESO_PmS8_NS6_8equal_toIlEEEE10hipError_tPvRmT2_T3_mT4_T5_T6_T7_T8_P12ihipStream_tbENKUlT_T0_E_clISt17integral_constantIbLb0EES19_EEDaS14_S15_EUlS14_E_NS1_11comp_targetILNS1_3genE3ELNS1_11target_archE908ELNS1_3gpuE7ELNS1_3repE0EEENS1_30default_config_static_selectorELNS0_4arch9wavefront6targetE1EEEvT1_,@function
_ZN7rocprim17ROCPRIM_400000_NS6detail17trampoline_kernelINS0_14default_configENS1_29reduce_by_key_config_selectorIllN6thrust23THRUST_200600_302600_NS4plusIlEEEEZZNS1_33reduce_by_key_impl_wrapped_configILNS1_25lookback_scan_determinismE0ES3_S9_NS6_18transform_iteratorI6div_opNS6_17counting_iteratorIlNS6_11use_defaultESF_SF_EESF_SF_EENSC_I6mod_opSG_SF_SF_EENS6_6detail15normal_iteratorINS6_10device_ptrIlEEEESO_PmS8_NS6_8equal_toIlEEEE10hipError_tPvRmT2_T3_mT4_T5_T6_T7_T8_P12ihipStream_tbENKUlT_T0_E_clISt17integral_constantIbLb0EES19_EEDaS14_S15_EUlS14_E_NS1_11comp_targetILNS1_3genE3ELNS1_11target_archE908ELNS1_3gpuE7ELNS1_3repE0EEENS1_30default_config_static_selectorELNS0_4arch9wavefront6targetE1EEEvT1_: ; @_ZN7rocprim17ROCPRIM_400000_NS6detail17trampoline_kernelINS0_14default_configENS1_29reduce_by_key_config_selectorIllN6thrust23THRUST_200600_302600_NS4plusIlEEEEZZNS1_33reduce_by_key_impl_wrapped_configILNS1_25lookback_scan_determinismE0ES3_S9_NS6_18transform_iteratorI6div_opNS6_17counting_iteratorIlNS6_11use_defaultESF_SF_EESF_SF_EENSC_I6mod_opSG_SF_SF_EENS6_6detail15normal_iteratorINS6_10device_ptrIlEEEESO_PmS8_NS6_8equal_toIlEEEE10hipError_tPvRmT2_T3_mT4_T5_T6_T7_T8_P12ihipStream_tbENKUlT_T0_E_clISt17integral_constantIbLb0EES19_EEDaS14_S15_EUlS14_E_NS1_11comp_targetILNS1_3genE3ELNS1_11target_archE908ELNS1_3gpuE7ELNS1_3repE0EEENS1_30default_config_static_selectorELNS0_4arch9wavefront6targetE1EEEvT1_
; %bb.0:
	.section	.rodata,"a",@progbits
	.p2align	6, 0x0
	.amdhsa_kernel _ZN7rocprim17ROCPRIM_400000_NS6detail17trampoline_kernelINS0_14default_configENS1_29reduce_by_key_config_selectorIllN6thrust23THRUST_200600_302600_NS4plusIlEEEEZZNS1_33reduce_by_key_impl_wrapped_configILNS1_25lookback_scan_determinismE0ES3_S9_NS6_18transform_iteratorI6div_opNS6_17counting_iteratorIlNS6_11use_defaultESF_SF_EESF_SF_EENSC_I6mod_opSG_SF_SF_EENS6_6detail15normal_iteratorINS6_10device_ptrIlEEEESO_PmS8_NS6_8equal_toIlEEEE10hipError_tPvRmT2_T3_mT4_T5_T6_T7_T8_P12ihipStream_tbENKUlT_T0_E_clISt17integral_constantIbLb0EES19_EEDaS14_S15_EUlS14_E_NS1_11comp_targetILNS1_3genE3ELNS1_11target_archE908ELNS1_3gpuE7ELNS1_3repE0EEENS1_30default_config_static_selectorELNS0_4arch9wavefront6targetE1EEEvT1_
		.amdhsa_group_segment_fixed_size 0
		.amdhsa_private_segment_fixed_size 0
		.amdhsa_kernarg_size 152
		.amdhsa_user_sgpr_count 6
		.amdhsa_user_sgpr_private_segment_buffer 1
		.amdhsa_user_sgpr_dispatch_ptr 0
		.amdhsa_user_sgpr_queue_ptr 0
		.amdhsa_user_sgpr_kernarg_segment_ptr 1
		.amdhsa_user_sgpr_dispatch_id 0
		.amdhsa_user_sgpr_flat_scratch_init 0
		.amdhsa_user_sgpr_kernarg_preload_length 0
		.amdhsa_user_sgpr_kernarg_preload_offset 0
		.amdhsa_user_sgpr_private_segment_size 0
		.amdhsa_uses_dynamic_stack 0
		.amdhsa_system_sgpr_private_segment_wavefront_offset 0
		.amdhsa_system_sgpr_workgroup_id_x 1
		.amdhsa_system_sgpr_workgroup_id_y 0
		.amdhsa_system_sgpr_workgroup_id_z 0
		.amdhsa_system_sgpr_workgroup_info 0
		.amdhsa_system_vgpr_workitem_id 0
		.amdhsa_next_free_vgpr 1
		.amdhsa_next_free_sgpr 0
		.amdhsa_accum_offset 4
		.amdhsa_reserve_vcc 0
		.amdhsa_reserve_flat_scratch 0
		.amdhsa_float_round_mode_32 0
		.amdhsa_float_round_mode_16_64 0
		.amdhsa_float_denorm_mode_32 3
		.amdhsa_float_denorm_mode_16_64 3
		.amdhsa_dx10_clamp 1
		.amdhsa_ieee_mode 1
		.amdhsa_fp16_overflow 0
		.amdhsa_tg_split 0
		.amdhsa_exception_fp_ieee_invalid_op 0
		.amdhsa_exception_fp_denorm_src 0
		.amdhsa_exception_fp_ieee_div_zero 0
		.amdhsa_exception_fp_ieee_overflow 0
		.amdhsa_exception_fp_ieee_underflow 0
		.amdhsa_exception_fp_ieee_inexact 0
		.amdhsa_exception_int_div_zero 0
	.end_amdhsa_kernel
	.section	.text._ZN7rocprim17ROCPRIM_400000_NS6detail17trampoline_kernelINS0_14default_configENS1_29reduce_by_key_config_selectorIllN6thrust23THRUST_200600_302600_NS4plusIlEEEEZZNS1_33reduce_by_key_impl_wrapped_configILNS1_25lookback_scan_determinismE0ES3_S9_NS6_18transform_iteratorI6div_opNS6_17counting_iteratorIlNS6_11use_defaultESF_SF_EESF_SF_EENSC_I6mod_opSG_SF_SF_EENS6_6detail15normal_iteratorINS6_10device_ptrIlEEEESO_PmS8_NS6_8equal_toIlEEEE10hipError_tPvRmT2_T3_mT4_T5_T6_T7_T8_P12ihipStream_tbENKUlT_T0_E_clISt17integral_constantIbLb0EES19_EEDaS14_S15_EUlS14_E_NS1_11comp_targetILNS1_3genE3ELNS1_11target_archE908ELNS1_3gpuE7ELNS1_3repE0EEENS1_30default_config_static_selectorELNS0_4arch9wavefront6targetE1EEEvT1_,"axG",@progbits,_ZN7rocprim17ROCPRIM_400000_NS6detail17trampoline_kernelINS0_14default_configENS1_29reduce_by_key_config_selectorIllN6thrust23THRUST_200600_302600_NS4plusIlEEEEZZNS1_33reduce_by_key_impl_wrapped_configILNS1_25lookback_scan_determinismE0ES3_S9_NS6_18transform_iteratorI6div_opNS6_17counting_iteratorIlNS6_11use_defaultESF_SF_EESF_SF_EENSC_I6mod_opSG_SF_SF_EENS6_6detail15normal_iteratorINS6_10device_ptrIlEEEESO_PmS8_NS6_8equal_toIlEEEE10hipError_tPvRmT2_T3_mT4_T5_T6_T7_T8_P12ihipStream_tbENKUlT_T0_E_clISt17integral_constantIbLb0EES19_EEDaS14_S15_EUlS14_E_NS1_11comp_targetILNS1_3genE3ELNS1_11target_archE908ELNS1_3gpuE7ELNS1_3repE0EEENS1_30default_config_static_selectorELNS0_4arch9wavefront6targetE1EEEvT1_,comdat
.Lfunc_end1135:
	.size	_ZN7rocprim17ROCPRIM_400000_NS6detail17trampoline_kernelINS0_14default_configENS1_29reduce_by_key_config_selectorIllN6thrust23THRUST_200600_302600_NS4plusIlEEEEZZNS1_33reduce_by_key_impl_wrapped_configILNS1_25lookback_scan_determinismE0ES3_S9_NS6_18transform_iteratorI6div_opNS6_17counting_iteratorIlNS6_11use_defaultESF_SF_EESF_SF_EENSC_I6mod_opSG_SF_SF_EENS6_6detail15normal_iteratorINS6_10device_ptrIlEEEESO_PmS8_NS6_8equal_toIlEEEE10hipError_tPvRmT2_T3_mT4_T5_T6_T7_T8_P12ihipStream_tbENKUlT_T0_E_clISt17integral_constantIbLb0EES19_EEDaS14_S15_EUlS14_E_NS1_11comp_targetILNS1_3genE3ELNS1_11target_archE908ELNS1_3gpuE7ELNS1_3repE0EEENS1_30default_config_static_selectorELNS0_4arch9wavefront6targetE1EEEvT1_, .Lfunc_end1135-_ZN7rocprim17ROCPRIM_400000_NS6detail17trampoline_kernelINS0_14default_configENS1_29reduce_by_key_config_selectorIllN6thrust23THRUST_200600_302600_NS4plusIlEEEEZZNS1_33reduce_by_key_impl_wrapped_configILNS1_25lookback_scan_determinismE0ES3_S9_NS6_18transform_iteratorI6div_opNS6_17counting_iteratorIlNS6_11use_defaultESF_SF_EESF_SF_EENSC_I6mod_opSG_SF_SF_EENS6_6detail15normal_iteratorINS6_10device_ptrIlEEEESO_PmS8_NS6_8equal_toIlEEEE10hipError_tPvRmT2_T3_mT4_T5_T6_T7_T8_P12ihipStream_tbENKUlT_T0_E_clISt17integral_constantIbLb0EES19_EEDaS14_S15_EUlS14_E_NS1_11comp_targetILNS1_3genE3ELNS1_11target_archE908ELNS1_3gpuE7ELNS1_3repE0EEENS1_30default_config_static_selectorELNS0_4arch9wavefront6targetE1EEEvT1_
                                        ; -- End function
	.section	.AMDGPU.csdata,"",@progbits
; Kernel info:
; codeLenInByte = 0
; NumSgprs: 4
; NumVgprs: 0
; NumAgprs: 0
; TotalNumVgprs: 0
; ScratchSize: 0
; MemoryBound: 0
; FloatMode: 240
; IeeeMode: 1
; LDSByteSize: 0 bytes/workgroup (compile time only)
; SGPRBlocks: 0
; VGPRBlocks: 0
; NumSGPRsForWavesPerEU: 4
; NumVGPRsForWavesPerEU: 1
; AccumOffset: 4
; Occupancy: 8
; WaveLimiterHint : 0
; COMPUTE_PGM_RSRC2:SCRATCH_EN: 0
; COMPUTE_PGM_RSRC2:USER_SGPR: 6
; COMPUTE_PGM_RSRC2:TRAP_HANDLER: 0
; COMPUTE_PGM_RSRC2:TGID_X_EN: 1
; COMPUTE_PGM_RSRC2:TGID_Y_EN: 0
; COMPUTE_PGM_RSRC2:TGID_Z_EN: 0
; COMPUTE_PGM_RSRC2:TIDIG_COMP_CNT: 0
; COMPUTE_PGM_RSRC3_GFX90A:ACCUM_OFFSET: 0
; COMPUTE_PGM_RSRC3_GFX90A:TG_SPLIT: 0
	.section	.text._ZN7rocprim17ROCPRIM_400000_NS6detail17trampoline_kernelINS0_14default_configENS1_29reduce_by_key_config_selectorIllN6thrust23THRUST_200600_302600_NS4plusIlEEEEZZNS1_33reduce_by_key_impl_wrapped_configILNS1_25lookback_scan_determinismE0ES3_S9_NS6_18transform_iteratorI6div_opNS6_17counting_iteratorIlNS6_11use_defaultESF_SF_EESF_SF_EENSC_I6mod_opSG_SF_SF_EENS6_6detail15normal_iteratorINS6_10device_ptrIlEEEESO_PmS8_NS6_8equal_toIlEEEE10hipError_tPvRmT2_T3_mT4_T5_T6_T7_T8_P12ihipStream_tbENKUlT_T0_E_clISt17integral_constantIbLb0EES19_EEDaS14_S15_EUlS14_E_NS1_11comp_targetILNS1_3genE2ELNS1_11target_archE906ELNS1_3gpuE6ELNS1_3repE0EEENS1_30default_config_static_selectorELNS0_4arch9wavefront6targetE1EEEvT1_,"axG",@progbits,_ZN7rocprim17ROCPRIM_400000_NS6detail17trampoline_kernelINS0_14default_configENS1_29reduce_by_key_config_selectorIllN6thrust23THRUST_200600_302600_NS4plusIlEEEEZZNS1_33reduce_by_key_impl_wrapped_configILNS1_25lookback_scan_determinismE0ES3_S9_NS6_18transform_iteratorI6div_opNS6_17counting_iteratorIlNS6_11use_defaultESF_SF_EESF_SF_EENSC_I6mod_opSG_SF_SF_EENS6_6detail15normal_iteratorINS6_10device_ptrIlEEEESO_PmS8_NS6_8equal_toIlEEEE10hipError_tPvRmT2_T3_mT4_T5_T6_T7_T8_P12ihipStream_tbENKUlT_T0_E_clISt17integral_constantIbLb0EES19_EEDaS14_S15_EUlS14_E_NS1_11comp_targetILNS1_3genE2ELNS1_11target_archE906ELNS1_3gpuE6ELNS1_3repE0EEENS1_30default_config_static_selectorELNS0_4arch9wavefront6targetE1EEEvT1_,comdat
	.protected	_ZN7rocprim17ROCPRIM_400000_NS6detail17trampoline_kernelINS0_14default_configENS1_29reduce_by_key_config_selectorIllN6thrust23THRUST_200600_302600_NS4plusIlEEEEZZNS1_33reduce_by_key_impl_wrapped_configILNS1_25lookback_scan_determinismE0ES3_S9_NS6_18transform_iteratorI6div_opNS6_17counting_iteratorIlNS6_11use_defaultESF_SF_EESF_SF_EENSC_I6mod_opSG_SF_SF_EENS6_6detail15normal_iteratorINS6_10device_ptrIlEEEESO_PmS8_NS6_8equal_toIlEEEE10hipError_tPvRmT2_T3_mT4_T5_T6_T7_T8_P12ihipStream_tbENKUlT_T0_E_clISt17integral_constantIbLb0EES19_EEDaS14_S15_EUlS14_E_NS1_11comp_targetILNS1_3genE2ELNS1_11target_archE906ELNS1_3gpuE6ELNS1_3repE0EEENS1_30default_config_static_selectorELNS0_4arch9wavefront6targetE1EEEvT1_ ; -- Begin function _ZN7rocprim17ROCPRIM_400000_NS6detail17trampoline_kernelINS0_14default_configENS1_29reduce_by_key_config_selectorIllN6thrust23THRUST_200600_302600_NS4plusIlEEEEZZNS1_33reduce_by_key_impl_wrapped_configILNS1_25lookback_scan_determinismE0ES3_S9_NS6_18transform_iteratorI6div_opNS6_17counting_iteratorIlNS6_11use_defaultESF_SF_EESF_SF_EENSC_I6mod_opSG_SF_SF_EENS6_6detail15normal_iteratorINS6_10device_ptrIlEEEESO_PmS8_NS6_8equal_toIlEEEE10hipError_tPvRmT2_T3_mT4_T5_T6_T7_T8_P12ihipStream_tbENKUlT_T0_E_clISt17integral_constantIbLb0EES19_EEDaS14_S15_EUlS14_E_NS1_11comp_targetILNS1_3genE2ELNS1_11target_archE906ELNS1_3gpuE6ELNS1_3repE0EEENS1_30default_config_static_selectorELNS0_4arch9wavefront6targetE1EEEvT1_
	.globl	_ZN7rocprim17ROCPRIM_400000_NS6detail17trampoline_kernelINS0_14default_configENS1_29reduce_by_key_config_selectorIllN6thrust23THRUST_200600_302600_NS4plusIlEEEEZZNS1_33reduce_by_key_impl_wrapped_configILNS1_25lookback_scan_determinismE0ES3_S9_NS6_18transform_iteratorI6div_opNS6_17counting_iteratorIlNS6_11use_defaultESF_SF_EESF_SF_EENSC_I6mod_opSG_SF_SF_EENS6_6detail15normal_iteratorINS6_10device_ptrIlEEEESO_PmS8_NS6_8equal_toIlEEEE10hipError_tPvRmT2_T3_mT4_T5_T6_T7_T8_P12ihipStream_tbENKUlT_T0_E_clISt17integral_constantIbLb0EES19_EEDaS14_S15_EUlS14_E_NS1_11comp_targetILNS1_3genE2ELNS1_11target_archE906ELNS1_3gpuE6ELNS1_3repE0EEENS1_30default_config_static_selectorELNS0_4arch9wavefront6targetE1EEEvT1_
	.p2align	8
	.type	_ZN7rocprim17ROCPRIM_400000_NS6detail17trampoline_kernelINS0_14default_configENS1_29reduce_by_key_config_selectorIllN6thrust23THRUST_200600_302600_NS4plusIlEEEEZZNS1_33reduce_by_key_impl_wrapped_configILNS1_25lookback_scan_determinismE0ES3_S9_NS6_18transform_iteratorI6div_opNS6_17counting_iteratorIlNS6_11use_defaultESF_SF_EESF_SF_EENSC_I6mod_opSG_SF_SF_EENS6_6detail15normal_iteratorINS6_10device_ptrIlEEEESO_PmS8_NS6_8equal_toIlEEEE10hipError_tPvRmT2_T3_mT4_T5_T6_T7_T8_P12ihipStream_tbENKUlT_T0_E_clISt17integral_constantIbLb0EES19_EEDaS14_S15_EUlS14_E_NS1_11comp_targetILNS1_3genE2ELNS1_11target_archE906ELNS1_3gpuE6ELNS1_3repE0EEENS1_30default_config_static_selectorELNS0_4arch9wavefront6targetE1EEEvT1_,@function
_ZN7rocprim17ROCPRIM_400000_NS6detail17trampoline_kernelINS0_14default_configENS1_29reduce_by_key_config_selectorIllN6thrust23THRUST_200600_302600_NS4plusIlEEEEZZNS1_33reduce_by_key_impl_wrapped_configILNS1_25lookback_scan_determinismE0ES3_S9_NS6_18transform_iteratorI6div_opNS6_17counting_iteratorIlNS6_11use_defaultESF_SF_EESF_SF_EENSC_I6mod_opSG_SF_SF_EENS6_6detail15normal_iteratorINS6_10device_ptrIlEEEESO_PmS8_NS6_8equal_toIlEEEE10hipError_tPvRmT2_T3_mT4_T5_T6_T7_T8_P12ihipStream_tbENKUlT_T0_E_clISt17integral_constantIbLb0EES19_EEDaS14_S15_EUlS14_E_NS1_11comp_targetILNS1_3genE2ELNS1_11target_archE906ELNS1_3gpuE6ELNS1_3repE0EEENS1_30default_config_static_selectorELNS0_4arch9wavefront6targetE1EEEvT1_: ; @_ZN7rocprim17ROCPRIM_400000_NS6detail17trampoline_kernelINS0_14default_configENS1_29reduce_by_key_config_selectorIllN6thrust23THRUST_200600_302600_NS4plusIlEEEEZZNS1_33reduce_by_key_impl_wrapped_configILNS1_25lookback_scan_determinismE0ES3_S9_NS6_18transform_iteratorI6div_opNS6_17counting_iteratorIlNS6_11use_defaultESF_SF_EESF_SF_EENSC_I6mod_opSG_SF_SF_EENS6_6detail15normal_iteratorINS6_10device_ptrIlEEEESO_PmS8_NS6_8equal_toIlEEEE10hipError_tPvRmT2_T3_mT4_T5_T6_T7_T8_P12ihipStream_tbENKUlT_T0_E_clISt17integral_constantIbLb0EES19_EEDaS14_S15_EUlS14_E_NS1_11comp_targetILNS1_3genE2ELNS1_11target_archE906ELNS1_3gpuE6ELNS1_3repE0EEENS1_30default_config_static_selectorELNS0_4arch9wavefront6targetE1EEEvT1_
; %bb.0:
	.section	.rodata,"a",@progbits
	.p2align	6, 0x0
	.amdhsa_kernel _ZN7rocprim17ROCPRIM_400000_NS6detail17trampoline_kernelINS0_14default_configENS1_29reduce_by_key_config_selectorIllN6thrust23THRUST_200600_302600_NS4plusIlEEEEZZNS1_33reduce_by_key_impl_wrapped_configILNS1_25lookback_scan_determinismE0ES3_S9_NS6_18transform_iteratorI6div_opNS6_17counting_iteratorIlNS6_11use_defaultESF_SF_EESF_SF_EENSC_I6mod_opSG_SF_SF_EENS6_6detail15normal_iteratorINS6_10device_ptrIlEEEESO_PmS8_NS6_8equal_toIlEEEE10hipError_tPvRmT2_T3_mT4_T5_T6_T7_T8_P12ihipStream_tbENKUlT_T0_E_clISt17integral_constantIbLb0EES19_EEDaS14_S15_EUlS14_E_NS1_11comp_targetILNS1_3genE2ELNS1_11target_archE906ELNS1_3gpuE6ELNS1_3repE0EEENS1_30default_config_static_selectorELNS0_4arch9wavefront6targetE1EEEvT1_
		.amdhsa_group_segment_fixed_size 0
		.amdhsa_private_segment_fixed_size 0
		.amdhsa_kernarg_size 152
		.amdhsa_user_sgpr_count 6
		.amdhsa_user_sgpr_private_segment_buffer 1
		.amdhsa_user_sgpr_dispatch_ptr 0
		.amdhsa_user_sgpr_queue_ptr 0
		.amdhsa_user_sgpr_kernarg_segment_ptr 1
		.amdhsa_user_sgpr_dispatch_id 0
		.amdhsa_user_sgpr_flat_scratch_init 0
		.amdhsa_user_sgpr_kernarg_preload_length 0
		.amdhsa_user_sgpr_kernarg_preload_offset 0
		.amdhsa_user_sgpr_private_segment_size 0
		.amdhsa_uses_dynamic_stack 0
		.amdhsa_system_sgpr_private_segment_wavefront_offset 0
		.amdhsa_system_sgpr_workgroup_id_x 1
		.amdhsa_system_sgpr_workgroup_id_y 0
		.amdhsa_system_sgpr_workgroup_id_z 0
		.amdhsa_system_sgpr_workgroup_info 0
		.amdhsa_system_vgpr_workitem_id 0
		.amdhsa_next_free_vgpr 1
		.amdhsa_next_free_sgpr 0
		.amdhsa_accum_offset 4
		.amdhsa_reserve_vcc 0
		.amdhsa_reserve_flat_scratch 0
		.amdhsa_float_round_mode_32 0
		.amdhsa_float_round_mode_16_64 0
		.amdhsa_float_denorm_mode_32 3
		.amdhsa_float_denorm_mode_16_64 3
		.amdhsa_dx10_clamp 1
		.amdhsa_ieee_mode 1
		.amdhsa_fp16_overflow 0
		.amdhsa_tg_split 0
		.amdhsa_exception_fp_ieee_invalid_op 0
		.amdhsa_exception_fp_denorm_src 0
		.amdhsa_exception_fp_ieee_div_zero 0
		.amdhsa_exception_fp_ieee_overflow 0
		.amdhsa_exception_fp_ieee_underflow 0
		.amdhsa_exception_fp_ieee_inexact 0
		.amdhsa_exception_int_div_zero 0
	.end_amdhsa_kernel
	.section	.text._ZN7rocprim17ROCPRIM_400000_NS6detail17trampoline_kernelINS0_14default_configENS1_29reduce_by_key_config_selectorIllN6thrust23THRUST_200600_302600_NS4plusIlEEEEZZNS1_33reduce_by_key_impl_wrapped_configILNS1_25lookback_scan_determinismE0ES3_S9_NS6_18transform_iteratorI6div_opNS6_17counting_iteratorIlNS6_11use_defaultESF_SF_EESF_SF_EENSC_I6mod_opSG_SF_SF_EENS6_6detail15normal_iteratorINS6_10device_ptrIlEEEESO_PmS8_NS6_8equal_toIlEEEE10hipError_tPvRmT2_T3_mT4_T5_T6_T7_T8_P12ihipStream_tbENKUlT_T0_E_clISt17integral_constantIbLb0EES19_EEDaS14_S15_EUlS14_E_NS1_11comp_targetILNS1_3genE2ELNS1_11target_archE906ELNS1_3gpuE6ELNS1_3repE0EEENS1_30default_config_static_selectorELNS0_4arch9wavefront6targetE1EEEvT1_,"axG",@progbits,_ZN7rocprim17ROCPRIM_400000_NS6detail17trampoline_kernelINS0_14default_configENS1_29reduce_by_key_config_selectorIllN6thrust23THRUST_200600_302600_NS4plusIlEEEEZZNS1_33reduce_by_key_impl_wrapped_configILNS1_25lookback_scan_determinismE0ES3_S9_NS6_18transform_iteratorI6div_opNS6_17counting_iteratorIlNS6_11use_defaultESF_SF_EESF_SF_EENSC_I6mod_opSG_SF_SF_EENS6_6detail15normal_iteratorINS6_10device_ptrIlEEEESO_PmS8_NS6_8equal_toIlEEEE10hipError_tPvRmT2_T3_mT4_T5_T6_T7_T8_P12ihipStream_tbENKUlT_T0_E_clISt17integral_constantIbLb0EES19_EEDaS14_S15_EUlS14_E_NS1_11comp_targetILNS1_3genE2ELNS1_11target_archE906ELNS1_3gpuE6ELNS1_3repE0EEENS1_30default_config_static_selectorELNS0_4arch9wavefront6targetE1EEEvT1_,comdat
.Lfunc_end1136:
	.size	_ZN7rocprim17ROCPRIM_400000_NS6detail17trampoline_kernelINS0_14default_configENS1_29reduce_by_key_config_selectorIllN6thrust23THRUST_200600_302600_NS4plusIlEEEEZZNS1_33reduce_by_key_impl_wrapped_configILNS1_25lookback_scan_determinismE0ES3_S9_NS6_18transform_iteratorI6div_opNS6_17counting_iteratorIlNS6_11use_defaultESF_SF_EESF_SF_EENSC_I6mod_opSG_SF_SF_EENS6_6detail15normal_iteratorINS6_10device_ptrIlEEEESO_PmS8_NS6_8equal_toIlEEEE10hipError_tPvRmT2_T3_mT4_T5_T6_T7_T8_P12ihipStream_tbENKUlT_T0_E_clISt17integral_constantIbLb0EES19_EEDaS14_S15_EUlS14_E_NS1_11comp_targetILNS1_3genE2ELNS1_11target_archE906ELNS1_3gpuE6ELNS1_3repE0EEENS1_30default_config_static_selectorELNS0_4arch9wavefront6targetE1EEEvT1_, .Lfunc_end1136-_ZN7rocprim17ROCPRIM_400000_NS6detail17trampoline_kernelINS0_14default_configENS1_29reduce_by_key_config_selectorIllN6thrust23THRUST_200600_302600_NS4plusIlEEEEZZNS1_33reduce_by_key_impl_wrapped_configILNS1_25lookback_scan_determinismE0ES3_S9_NS6_18transform_iteratorI6div_opNS6_17counting_iteratorIlNS6_11use_defaultESF_SF_EESF_SF_EENSC_I6mod_opSG_SF_SF_EENS6_6detail15normal_iteratorINS6_10device_ptrIlEEEESO_PmS8_NS6_8equal_toIlEEEE10hipError_tPvRmT2_T3_mT4_T5_T6_T7_T8_P12ihipStream_tbENKUlT_T0_E_clISt17integral_constantIbLb0EES19_EEDaS14_S15_EUlS14_E_NS1_11comp_targetILNS1_3genE2ELNS1_11target_archE906ELNS1_3gpuE6ELNS1_3repE0EEENS1_30default_config_static_selectorELNS0_4arch9wavefront6targetE1EEEvT1_
                                        ; -- End function
	.section	.AMDGPU.csdata,"",@progbits
; Kernel info:
; codeLenInByte = 0
; NumSgprs: 4
; NumVgprs: 0
; NumAgprs: 0
; TotalNumVgprs: 0
; ScratchSize: 0
; MemoryBound: 0
; FloatMode: 240
; IeeeMode: 1
; LDSByteSize: 0 bytes/workgroup (compile time only)
; SGPRBlocks: 0
; VGPRBlocks: 0
; NumSGPRsForWavesPerEU: 4
; NumVGPRsForWavesPerEU: 1
; AccumOffset: 4
; Occupancy: 8
; WaveLimiterHint : 0
; COMPUTE_PGM_RSRC2:SCRATCH_EN: 0
; COMPUTE_PGM_RSRC2:USER_SGPR: 6
; COMPUTE_PGM_RSRC2:TRAP_HANDLER: 0
; COMPUTE_PGM_RSRC2:TGID_X_EN: 1
; COMPUTE_PGM_RSRC2:TGID_Y_EN: 0
; COMPUTE_PGM_RSRC2:TGID_Z_EN: 0
; COMPUTE_PGM_RSRC2:TIDIG_COMP_CNT: 0
; COMPUTE_PGM_RSRC3_GFX90A:ACCUM_OFFSET: 0
; COMPUTE_PGM_RSRC3_GFX90A:TG_SPLIT: 0
	.section	.text._ZN7rocprim17ROCPRIM_400000_NS6detail17trampoline_kernelINS0_14default_configENS1_29reduce_by_key_config_selectorIllN6thrust23THRUST_200600_302600_NS4plusIlEEEEZZNS1_33reduce_by_key_impl_wrapped_configILNS1_25lookback_scan_determinismE0ES3_S9_NS6_18transform_iteratorI6div_opNS6_17counting_iteratorIlNS6_11use_defaultESF_SF_EESF_SF_EENSC_I6mod_opSG_SF_SF_EENS6_6detail15normal_iteratorINS6_10device_ptrIlEEEESO_PmS8_NS6_8equal_toIlEEEE10hipError_tPvRmT2_T3_mT4_T5_T6_T7_T8_P12ihipStream_tbENKUlT_T0_E_clISt17integral_constantIbLb0EES19_EEDaS14_S15_EUlS14_E_NS1_11comp_targetILNS1_3genE10ELNS1_11target_archE1201ELNS1_3gpuE5ELNS1_3repE0EEENS1_30default_config_static_selectorELNS0_4arch9wavefront6targetE1EEEvT1_,"axG",@progbits,_ZN7rocprim17ROCPRIM_400000_NS6detail17trampoline_kernelINS0_14default_configENS1_29reduce_by_key_config_selectorIllN6thrust23THRUST_200600_302600_NS4plusIlEEEEZZNS1_33reduce_by_key_impl_wrapped_configILNS1_25lookback_scan_determinismE0ES3_S9_NS6_18transform_iteratorI6div_opNS6_17counting_iteratorIlNS6_11use_defaultESF_SF_EESF_SF_EENSC_I6mod_opSG_SF_SF_EENS6_6detail15normal_iteratorINS6_10device_ptrIlEEEESO_PmS8_NS6_8equal_toIlEEEE10hipError_tPvRmT2_T3_mT4_T5_T6_T7_T8_P12ihipStream_tbENKUlT_T0_E_clISt17integral_constantIbLb0EES19_EEDaS14_S15_EUlS14_E_NS1_11comp_targetILNS1_3genE10ELNS1_11target_archE1201ELNS1_3gpuE5ELNS1_3repE0EEENS1_30default_config_static_selectorELNS0_4arch9wavefront6targetE1EEEvT1_,comdat
	.protected	_ZN7rocprim17ROCPRIM_400000_NS6detail17trampoline_kernelINS0_14default_configENS1_29reduce_by_key_config_selectorIllN6thrust23THRUST_200600_302600_NS4plusIlEEEEZZNS1_33reduce_by_key_impl_wrapped_configILNS1_25lookback_scan_determinismE0ES3_S9_NS6_18transform_iteratorI6div_opNS6_17counting_iteratorIlNS6_11use_defaultESF_SF_EESF_SF_EENSC_I6mod_opSG_SF_SF_EENS6_6detail15normal_iteratorINS6_10device_ptrIlEEEESO_PmS8_NS6_8equal_toIlEEEE10hipError_tPvRmT2_T3_mT4_T5_T6_T7_T8_P12ihipStream_tbENKUlT_T0_E_clISt17integral_constantIbLb0EES19_EEDaS14_S15_EUlS14_E_NS1_11comp_targetILNS1_3genE10ELNS1_11target_archE1201ELNS1_3gpuE5ELNS1_3repE0EEENS1_30default_config_static_selectorELNS0_4arch9wavefront6targetE1EEEvT1_ ; -- Begin function _ZN7rocprim17ROCPRIM_400000_NS6detail17trampoline_kernelINS0_14default_configENS1_29reduce_by_key_config_selectorIllN6thrust23THRUST_200600_302600_NS4plusIlEEEEZZNS1_33reduce_by_key_impl_wrapped_configILNS1_25lookback_scan_determinismE0ES3_S9_NS6_18transform_iteratorI6div_opNS6_17counting_iteratorIlNS6_11use_defaultESF_SF_EESF_SF_EENSC_I6mod_opSG_SF_SF_EENS6_6detail15normal_iteratorINS6_10device_ptrIlEEEESO_PmS8_NS6_8equal_toIlEEEE10hipError_tPvRmT2_T3_mT4_T5_T6_T7_T8_P12ihipStream_tbENKUlT_T0_E_clISt17integral_constantIbLb0EES19_EEDaS14_S15_EUlS14_E_NS1_11comp_targetILNS1_3genE10ELNS1_11target_archE1201ELNS1_3gpuE5ELNS1_3repE0EEENS1_30default_config_static_selectorELNS0_4arch9wavefront6targetE1EEEvT1_
	.globl	_ZN7rocprim17ROCPRIM_400000_NS6detail17trampoline_kernelINS0_14default_configENS1_29reduce_by_key_config_selectorIllN6thrust23THRUST_200600_302600_NS4plusIlEEEEZZNS1_33reduce_by_key_impl_wrapped_configILNS1_25lookback_scan_determinismE0ES3_S9_NS6_18transform_iteratorI6div_opNS6_17counting_iteratorIlNS6_11use_defaultESF_SF_EESF_SF_EENSC_I6mod_opSG_SF_SF_EENS6_6detail15normal_iteratorINS6_10device_ptrIlEEEESO_PmS8_NS6_8equal_toIlEEEE10hipError_tPvRmT2_T3_mT4_T5_T6_T7_T8_P12ihipStream_tbENKUlT_T0_E_clISt17integral_constantIbLb0EES19_EEDaS14_S15_EUlS14_E_NS1_11comp_targetILNS1_3genE10ELNS1_11target_archE1201ELNS1_3gpuE5ELNS1_3repE0EEENS1_30default_config_static_selectorELNS0_4arch9wavefront6targetE1EEEvT1_
	.p2align	8
	.type	_ZN7rocprim17ROCPRIM_400000_NS6detail17trampoline_kernelINS0_14default_configENS1_29reduce_by_key_config_selectorIllN6thrust23THRUST_200600_302600_NS4plusIlEEEEZZNS1_33reduce_by_key_impl_wrapped_configILNS1_25lookback_scan_determinismE0ES3_S9_NS6_18transform_iteratorI6div_opNS6_17counting_iteratorIlNS6_11use_defaultESF_SF_EESF_SF_EENSC_I6mod_opSG_SF_SF_EENS6_6detail15normal_iteratorINS6_10device_ptrIlEEEESO_PmS8_NS6_8equal_toIlEEEE10hipError_tPvRmT2_T3_mT4_T5_T6_T7_T8_P12ihipStream_tbENKUlT_T0_E_clISt17integral_constantIbLb0EES19_EEDaS14_S15_EUlS14_E_NS1_11comp_targetILNS1_3genE10ELNS1_11target_archE1201ELNS1_3gpuE5ELNS1_3repE0EEENS1_30default_config_static_selectorELNS0_4arch9wavefront6targetE1EEEvT1_,@function
_ZN7rocprim17ROCPRIM_400000_NS6detail17trampoline_kernelINS0_14default_configENS1_29reduce_by_key_config_selectorIllN6thrust23THRUST_200600_302600_NS4plusIlEEEEZZNS1_33reduce_by_key_impl_wrapped_configILNS1_25lookback_scan_determinismE0ES3_S9_NS6_18transform_iteratorI6div_opNS6_17counting_iteratorIlNS6_11use_defaultESF_SF_EESF_SF_EENSC_I6mod_opSG_SF_SF_EENS6_6detail15normal_iteratorINS6_10device_ptrIlEEEESO_PmS8_NS6_8equal_toIlEEEE10hipError_tPvRmT2_T3_mT4_T5_T6_T7_T8_P12ihipStream_tbENKUlT_T0_E_clISt17integral_constantIbLb0EES19_EEDaS14_S15_EUlS14_E_NS1_11comp_targetILNS1_3genE10ELNS1_11target_archE1201ELNS1_3gpuE5ELNS1_3repE0EEENS1_30default_config_static_selectorELNS0_4arch9wavefront6targetE1EEEvT1_: ; @_ZN7rocprim17ROCPRIM_400000_NS6detail17trampoline_kernelINS0_14default_configENS1_29reduce_by_key_config_selectorIllN6thrust23THRUST_200600_302600_NS4plusIlEEEEZZNS1_33reduce_by_key_impl_wrapped_configILNS1_25lookback_scan_determinismE0ES3_S9_NS6_18transform_iteratorI6div_opNS6_17counting_iteratorIlNS6_11use_defaultESF_SF_EESF_SF_EENSC_I6mod_opSG_SF_SF_EENS6_6detail15normal_iteratorINS6_10device_ptrIlEEEESO_PmS8_NS6_8equal_toIlEEEE10hipError_tPvRmT2_T3_mT4_T5_T6_T7_T8_P12ihipStream_tbENKUlT_T0_E_clISt17integral_constantIbLb0EES19_EEDaS14_S15_EUlS14_E_NS1_11comp_targetILNS1_3genE10ELNS1_11target_archE1201ELNS1_3gpuE5ELNS1_3repE0EEENS1_30default_config_static_selectorELNS0_4arch9wavefront6targetE1EEEvT1_
; %bb.0:
	.section	.rodata,"a",@progbits
	.p2align	6, 0x0
	.amdhsa_kernel _ZN7rocprim17ROCPRIM_400000_NS6detail17trampoline_kernelINS0_14default_configENS1_29reduce_by_key_config_selectorIllN6thrust23THRUST_200600_302600_NS4plusIlEEEEZZNS1_33reduce_by_key_impl_wrapped_configILNS1_25lookback_scan_determinismE0ES3_S9_NS6_18transform_iteratorI6div_opNS6_17counting_iteratorIlNS6_11use_defaultESF_SF_EESF_SF_EENSC_I6mod_opSG_SF_SF_EENS6_6detail15normal_iteratorINS6_10device_ptrIlEEEESO_PmS8_NS6_8equal_toIlEEEE10hipError_tPvRmT2_T3_mT4_T5_T6_T7_T8_P12ihipStream_tbENKUlT_T0_E_clISt17integral_constantIbLb0EES19_EEDaS14_S15_EUlS14_E_NS1_11comp_targetILNS1_3genE10ELNS1_11target_archE1201ELNS1_3gpuE5ELNS1_3repE0EEENS1_30default_config_static_selectorELNS0_4arch9wavefront6targetE1EEEvT1_
		.amdhsa_group_segment_fixed_size 0
		.amdhsa_private_segment_fixed_size 0
		.amdhsa_kernarg_size 152
		.amdhsa_user_sgpr_count 6
		.amdhsa_user_sgpr_private_segment_buffer 1
		.amdhsa_user_sgpr_dispatch_ptr 0
		.amdhsa_user_sgpr_queue_ptr 0
		.amdhsa_user_sgpr_kernarg_segment_ptr 1
		.amdhsa_user_sgpr_dispatch_id 0
		.amdhsa_user_sgpr_flat_scratch_init 0
		.amdhsa_user_sgpr_kernarg_preload_length 0
		.amdhsa_user_sgpr_kernarg_preload_offset 0
		.amdhsa_user_sgpr_private_segment_size 0
		.amdhsa_uses_dynamic_stack 0
		.amdhsa_system_sgpr_private_segment_wavefront_offset 0
		.amdhsa_system_sgpr_workgroup_id_x 1
		.amdhsa_system_sgpr_workgroup_id_y 0
		.amdhsa_system_sgpr_workgroup_id_z 0
		.amdhsa_system_sgpr_workgroup_info 0
		.amdhsa_system_vgpr_workitem_id 0
		.amdhsa_next_free_vgpr 1
		.amdhsa_next_free_sgpr 0
		.amdhsa_accum_offset 4
		.amdhsa_reserve_vcc 0
		.amdhsa_reserve_flat_scratch 0
		.amdhsa_float_round_mode_32 0
		.amdhsa_float_round_mode_16_64 0
		.amdhsa_float_denorm_mode_32 3
		.amdhsa_float_denorm_mode_16_64 3
		.amdhsa_dx10_clamp 1
		.amdhsa_ieee_mode 1
		.amdhsa_fp16_overflow 0
		.amdhsa_tg_split 0
		.amdhsa_exception_fp_ieee_invalid_op 0
		.amdhsa_exception_fp_denorm_src 0
		.amdhsa_exception_fp_ieee_div_zero 0
		.amdhsa_exception_fp_ieee_overflow 0
		.amdhsa_exception_fp_ieee_underflow 0
		.amdhsa_exception_fp_ieee_inexact 0
		.amdhsa_exception_int_div_zero 0
	.end_amdhsa_kernel
	.section	.text._ZN7rocprim17ROCPRIM_400000_NS6detail17trampoline_kernelINS0_14default_configENS1_29reduce_by_key_config_selectorIllN6thrust23THRUST_200600_302600_NS4plusIlEEEEZZNS1_33reduce_by_key_impl_wrapped_configILNS1_25lookback_scan_determinismE0ES3_S9_NS6_18transform_iteratorI6div_opNS6_17counting_iteratorIlNS6_11use_defaultESF_SF_EESF_SF_EENSC_I6mod_opSG_SF_SF_EENS6_6detail15normal_iteratorINS6_10device_ptrIlEEEESO_PmS8_NS6_8equal_toIlEEEE10hipError_tPvRmT2_T3_mT4_T5_T6_T7_T8_P12ihipStream_tbENKUlT_T0_E_clISt17integral_constantIbLb0EES19_EEDaS14_S15_EUlS14_E_NS1_11comp_targetILNS1_3genE10ELNS1_11target_archE1201ELNS1_3gpuE5ELNS1_3repE0EEENS1_30default_config_static_selectorELNS0_4arch9wavefront6targetE1EEEvT1_,"axG",@progbits,_ZN7rocprim17ROCPRIM_400000_NS6detail17trampoline_kernelINS0_14default_configENS1_29reduce_by_key_config_selectorIllN6thrust23THRUST_200600_302600_NS4plusIlEEEEZZNS1_33reduce_by_key_impl_wrapped_configILNS1_25lookback_scan_determinismE0ES3_S9_NS6_18transform_iteratorI6div_opNS6_17counting_iteratorIlNS6_11use_defaultESF_SF_EESF_SF_EENSC_I6mod_opSG_SF_SF_EENS6_6detail15normal_iteratorINS6_10device_ptrIlEEEESO_PmS8_NS6_8equal_toIlEEEE10hipError_tPvRmT2_T3_mT4_T5_T6_T7_T8_P12ihipStream_tbENKUlT_T0_E_clISt17integral_constantIbLb0EES19_EEDaS14_S15_EUlS14_E_NS1_11comp_targetILNS1_3genE10ELNS1_11target_archE1201ELNS1_3gpuE5ELNS1_3repE0EEENS1_30default_config_static_selectorELNS0_4arch9wavefront6targetE1EEEvT1_,comdat
.Lfunc_end1137:
	.size	_ZN7rocprim17ROCPRIM_400000_NS6detail17trampoline_kernelINS0_14default_configENS1_29reduce_by_key_config_selectorIllN6thrust23THRUST_200600_302600_NS4plusIlEEEEZZNS1_33reduce_by_key_impl_wrapped_configILNS1_25lookback_scan_determinismE0ES3_S9_NS6_18transform_iteratorI6div_opNS6_17counting_iteratorIlNS6_11use_defaultESF_SF_EESF_SF_EENSC_I6mod_opSG_SF_SF_EENS6_6detail15normal_iteratorINS6_10device_ptrIlEEEESO_PmS8_NS6_8equal_toIlEEEE10hipError_tPvRmT2_T3_mT4_T5_T6_T7_T8_P12ihipStream_tbENKUlT_T0_E_clISt17integral_constantIbLb0EES19_EEDaS14_S15_EUlS14_E_NS1_11comp_targetILNS1_3genE10ELNS1_11target_archE1201ELNS1_3gpuE5ELNS1_3repE0EEENS1_30default_config_static_selectorELNS0_4arch9wavefront6targetE1EEEvT1_, .Lfunc_end1137-_ZN7rocprim17ROCPRIM_400000_NS6detail17trampoline_kernelINS0_14default_configENS1_29reduce_by_key_config_selectorIllN6thrust23THRUST_200600_302600_NS4plusIlEEEEZZNS1_33reduce_by_key_impl_wrapped_configILNS1_25lookback_scan_determinismE0ES3_S9_NS6_18transform_iteratorI6div_opNS6_17counting_iteratorIlNS6_11use_defaultESF_SF_EESF_SF_EENSC_I6mod_opSG_SF_SF_EENS6_6detail15normal_iteratorINS6_10device_ptrIlEEEESO_PmS8_NS6_8equal_toIlEEEE10hipError_tPvRmT2_T3_mT4_T5_T6_T7_T8_P12ihipStream_tbENKUlT_T0_E_clISt17integral_constantIbLb0EES19_EEDaS14_S15_EUlS14_E_NS1_11comp_targetILNS1_3genE10ELNS1_11target_archE1201ELNS1_3gpuE5ELNS1_3repE0EEENS1_30default_config_static_selectorELNS0_4arch9wavefront6targetE1EEEvT1_
                                        ; -- End function
	.section	.AMDGPU.csdata,"",@progbits
; Kernel info:
; codeLenInByte = 0
; NumSgprs: 4
; NumVgprs: 0
; NumAgprs: 0
; TotalNumVgprs: 0
; ScratchSize: 0
; MemoryBound: 0
; FloatMode: 240
; IeeeMode: 1
; LDSByteSize: 0 bytes/workgroup (compile time only)
; SGPRBlocks: 0
; VGPRBlocks: 0
; NumSGPRsForWavesPerEU: 4
; NumVGPRsForWavesPerEU: 1
; AccumOffset: 4
; Occupancy: 8
; WaveLimiterHint : 0
; COMPUTE_PGM_RSRC2:SCRATCH_EN: 0
; COMPUTE_PGM_RSRC2:USER_SGPR: 6
; COMPUTE_PGM_RSRC2:TRAP_HANDLER: 0
; COMPUTE_PGM_RSRC2:TGID_X_EN: 1
; COMPUTE_PGM_RSRC2:TGID_Y_EN: 0
; COMPUTE_PGM_RSRC2:TGID_Z_EN: 0
; COMPUTE_PGM_RSRC2:TIDIG_COMP_CNT: 0
; COMPUTE_PGM_RSRC3_GFX90A:ACCUM_OFFSET: 0
; COMPUTE_PGM_RSRC3_GFX90A:TG_SPLIT: 0
	.section	.text._ZN7rocprim17ROCPRIM_400000_NS6detail17trampoline_kernelINS0_14default_configENS1_29reduce_by_key_config_selectorIllN6thrust23THRUST_200600_302600_NS4plusIlEEEEZZNS1_33reduce_by_key_impl_wrapped_configILNS1_25lookback_scan_determinismE0ES3_S9_NS6_18transform_iteratorI6div_opNS6_17counting_iteratorIlNS6_11use_defaultESF_SF_EESF_SF_EENSC_I6mod_opSG_SF_SF_EENS6_6detail15normal_iteratorINS6_10device_ptrIlEEEESO_PmS8_NS6_8equal_toIlEEEE10hipError_tPvRmT2_T3_mT4_T5_T6_T7_T8_P12ihipStream_tbENKUlT_T0_E_clISt17integral_constantIbLb0EES19_EEDaS14_S15_EUlS14_E_NS1_11comp_targetILNS1_3genE10ELNS1_11target_archE1200ELNS1_3gpuE4ELNS1_3repE0EEENS1_30default_config_static_selectorELNS0_4arch9wavefront6targetE1EEEvT1_,"axG",@progbits,_ZN7rocprim17ROCPRIM_400000_NS6detail17trampoline_kernelINS0_14default_configENS1_29reduce_by_key_config_selectorIllN6thrust23THRUST_200600_302600_NS4plusIlEEEEZZNS1_33reduce_by_key_impl_wrapped_configILNS1_25lookback_scan_determinismE0ES3_S9_NS6_18transform_iteratorI6div_opNS6_17counting_iteratorIlNS6_11use_defaultESF_SF_EESF_SF_EENSC_I6mod_opSG_SF_SF_EENS6_6detail15normal_iteratorINS6_10device_ptrIlEEEESO_PmS8_NS6_8equal_toIlEEEE10hipError_tPvRmT2_T3_mT4_T5_T6_T7_T8_P12ihipStream_tbENKUlT_T0_E_clISt17integral_constantIbLb0EES19_EEDaS14_S15_EUlS14_E_NS1_11comp_targetILNS1_3genE10ELNS1_11target_archE1200ELNS1_3gpuE4ELNS1_3repE0EEENS1_30default_config_static_selectorELNS0_4arch9wavefront6targetE1EEEvT1_,comdat
	.protected	_ZN7rocprim17ROCPRIM_400000_NS6detail17trampoline_kernelINS0_14default_configENS1_29reduce_by_key_config_selectorIllN6thrust23THRUST_200600_302600_NS4plusIlEEEEZZNS1_33reduce_by_key_impl_wrapped_configILNS1_25lookback_scan_determinismE0ES3_S9_NS6_18transform_iteratorI6div_opNS6_17counting_iteratorIlNS6_11use_defaultESF_SF_EESF_SF_EENSC_I6mod_opSG_SF_SF_EENS6_6detail15normal_iteratorINS6_10device_ptrIlEEEESO_PmS8_NS6_8equal_toIlEEEE10hipError_tPvRmT2_T3_mT4_T5_T6_T7_T8_P12ihipStream_tbENKUlT_T0_E_clISt17integral_constantIbLb0EES19_EEDaS14_S15_EUlS14_E_NS1_11comp_targetILNS1_3genE10ELNS1_11target_archE1200ELNS1_3gpuE4ELNS1_3repE0EEENS1_30default_config_static_selectorELNS0_4arch9wavefront6targetE1EEEvT1_ ; -- Begin function _ZN7rocprim17ROCPRIM_400000_NS6detail17trampoline_kernelINS0_14default_configENS1_29reduce_by_key_config_selectorIllN6thrust23THRUST_200600_302600_NS4plusIlEEEEZZNS1_33reduce_by_key_impl_wrapped_configILNS1_25lookback_scan_determinismE0ES3_S9_NS6_18transform_iteratorI6div_opNS6_17counting_iteratorIlNS6_11use_defaultESF_SF_EESF_SF_EENSC_I6mod_opSG_SF_SF_EENS6_6detail15normal_iteratorINS6_10device_ptrIlEEEESO_PmS8_NS6_8equal_toIlEEEE10hipError_tPvRmT2_T3_mT4_T5_T6_T7_T8_P12ihipStream_tbENKUlT_T0_E_clISt17integral_constantIbLb0EES19_EEDaS14_S15_EUlS14_E_NS1_11comp_targetILNS1_3genE10ELNS1_11target_archE1200ELNS1_3gpuE4ELNS1_3repE0EEENS1_30default_config_static_selectorELNS0_4arch9wavefront6targetE1EEEvT1_
	.globl	_ZN7rocprim17ROCPRIM_400000_NS6detail17trampoline_kernelINS0_14default_configENS1_29reduce_by_key_config_selectorIllN6thrust23THRUST_200600_302600_NS4plusIlEEEEZZNS1_33reduce_by_key_impl_wrapped_configILNS1_25lookback_scan_determinismE0ES3_S9_NS6_18transform_iteratorI6div_opNS6_17counting_iteratorIlNS6_11use_defaultESF_SF_EESF_SF_EENSC_I6mod_opSG_SF_SF_EENS6_6detail15normal_iteratorINS6_10device_ptrIlEEEESO_PmS8_NS6_8equal_toIlEEEE10hipError_tPvRmT2_T3_mT4_T5_T6_T7_T8_P12ihipStream_tbENKUlT_T0_E_clISt17integral_constantIbLb0EES19_EEDaS14_S15_EUlS14_E_NS1_11comp_targetILNS1_3genE10ELNS1_11target_archE1200ELNS1_3gpuE4ELNS1_3repE0EEENS1_30default_config_static_selectorELNS0_4arch9wavefront6targetE1EEEvT1_
	.p2align	8
	.type	_ZN7rocprim17ROCPRIM_400000_NS6detail17trampoline_kernelINS0_14default_configENS1_29reduce_by_key_config_selectorIllN6thrust23THRUST_200600_302600_NS4plusIlEEEEZZNS1_33reduce_by_key_impl_wrapped_configILNS1_25lookback_scan_determinismE0ES3_S9_NS6_18transform_iteratorI6div_opNS6_17counting_iteratorIlNS6_11use_defaultESF_SF_EESF_SF_EENSC_I6mod_opSG_SF_SF_EENS6_6detail15normal_iteratorINS6_10device_ptrIlEEEESO_PmS8_NS6_8equal_toIlEEEE10hipError_tPvRmT2_T3_mT4_T5_T6_T7_T8_P12ihipStream_tbENKUlT_T0_E_clISt17integral_constantIbLb0EES19_EEDaS14_S15_EUlS14_E_NS1_11comp_targetILNS1_3genE10ELNS1_11target_archE1200ELNS1_3gpuE4ELNS1_3repE0EEENS1_30default_config_static_selectorELNS0_4arch9wavefront6targetE1EEEvT1_,@function
_ZN7rocprim17ROCPRIM_400000_NS6detail17trampoline_kernelINS0_14default_configENS1_29reduce_by_key_config_selectorIllN6thrust23THRUST_200600_302600_NS4plusIlEEEEZZNS1_33reduce_by_key_impl_wrapped_configILNS1_25lookback_scan_determinismE0ES3_S9_NS6_18transform_iteratorI6div_opNS6_17counting_iteratorIlNS6_11use_defaultESF_SF_EESF_SF_EENSC_I6mod_opSG_SF_SF_EENS6_6detail15normal_iteratorINS6_10device_ptrIlEEEESO_PmS8_NS6_8equal_toIlEEEE10hipError_tPvRmT2_T3_mT4_T5_T6_T7_T8_P12ihipStream_tbENKUlT_T0_E_clISt17integral_constantIbLb0EES19_EEDaS14_S15_EUlS14_E_NS1_11comp_targetILNS1_3genE10ELNS1_11target_archE1200ELNS1_3gpuE4ELNS1_3repE0EEENS1_30default_config_static_selectorELNS0_4arch9wavefront6targetE1EEEvT1_: ; @_ZN7rocprim17ROCPRIM_400000_NS6detail17trampoline_kernelINS0_14default_configENS1_29reduce_by_key_config_selectorIllN6thrust23THRUST_200600_302600_NS4plusIlEEEEZZNS1_33reduce_by_key_impl_wrapped_configILNS1_25lookback_scan_determinismE0ES3_S9_NS6_18transform_iteratorI6div_opNS6_17counting_iteratorIlNS6_11use_defaultESF_SF_EESF_SF_EENSC_I6mod_opSG_SF_SF_EENS6_6detail15normal_iteratorINS6_10device_ptrIlEEEESO_PmS8_NS6_8equal_toIlEEEE10hipError_tPvRmT2_T3_mT4_T5_T6_T7_T8_P12ihipStream_tbENKUlT_T0_E_clISt17integral_constantIbLb0EES19_EEDaS14_S15_EUlS14_E_NS1_11comp_targetILNS1_3genE10ELNS1_11target_archE1200ELNS1_3gpuE4ELNS1_3repE0EEENS1_30default_config_static_selectorELNS0_4arch9wavefront6targetE1EEEvT1_
; %bb.0:
	.section	.rodata,"a",@progbits
	.p2align	6, 0x0
	.amdhsa_kernel _ZN7rocprim17ROCPRIM_400000_NS6detail17trampoline_kernelINS0_14default_configENS1_29reduce_by_key_config_selectorIllN6thrust23THRUST_200600_302600_NS4plusIlEEEEZZNS1_33reduce_by_key_impl_wrapped_configILNS1_25lookback_scan_determinismE0ES3_S9_NS6_18transform_iteratorI6div_opNS6_17counting_iteratorIlNS6_11use_defaultESF_SF_EESF_SF_EENSC_I6mod_opSG_SF_SF_EENS6_6detail15normal_iteratorINS6_10device_ptrIlEEEESO_PmS8_NS6_8equal_toIlEEEE10hipError_tPvRmT2_T3_mT4_T5_T6_T7_T8_P12ihipStream_tbENKUlT_T0_E_clISt17integral_constantIbLb0EES19_EEDaS14_S15_EUlS14_E_NS1_11comp_targetILNS1_3genE10ELNS1_11target_archE1200ELNS1_3gpuE4ELNS1_3repE0EEENS1_30default_config_static_selectorELNS0_4arch9wavefront6targetE1EEEvT1_
		.amdhsa_group_segment_fixed_size 0
		.amdhsa_private_segment_fixed_size 0
		.amdhsa_kernarg_size 152
		.amdhsa_user_sgpr_count 6
		.amdhsa_user_sgpr_private_segment_buffer 1
		.amdhsa_user_sgpr_dispatch_ptr 0
		.amdhsa_user_sgpr_queue_ptr 0
		.amdhsa_user_sgpr_kernarg_segment_ptr 1
		.amdhsa_user_sgpr_dispatch_id 0
		.amdhsa_user_sgpr_flat_scratch_init 0
		.amdhsa_user_sgpr_kernarg_preload_length 0
		.amdhsa_user_sgpr_kernarg_preload_offset 0
		.amdhsa_user_sgpr_private_segment_size 0
		.amdhsa_uses_dynamic_stack 0
		.amdhsa_system_sgpr_private_segment_wavefront_offset 0
		.amdhsa_system_sgpr_workgroup_id_x 1
		.amdhsa_system_sgpr_workgroup_id_y 0
		.amdhsa_system_sgpr_workgroup_id_z 0
		.amdhsa_system_sgpr_workgroup_info 0
		.amdhsa_system_vgpr_workitem_id 0
		.amdhsa_next_free_vgpr 1
		.amdhsa_next_free_sgpr 0
		.amdhsa_accum_offset 4
		.amdhsa_reserve_vcc 0
		.amdhsa_reserve_flat_scratch 0
		.amdhsa_float_round_mode_32 0
		.amdhsa_float_round_mode_16_64 0
		.amdhsa_float_denorm_mode_32 3
		.amdhsa_float_denorm_mode_16_64 3
		.amdhsa_dx10_clamp 1
		.amdhsa_ieee_mode 1
		.amdhsa_fp16_overflow 0
		.amdhsa_tg_split 0
		.amdhsa_exception_fp_ieee_invalid_op 0
		.amdhsa_exception_fp_denorm_src 0
		.amdhsa_exception_fp_ieee_div_zero 0
		.amdhsa_exception_fp_ieee_overflow 0
		.amdhsa_exception_fp_ieee_underflow 0
		.amdhsa_exception_fp_ieee_inexact 0
		.amdhsa_exception_int_div_zero 0
	.end_amdhsa_kernel
	.section	.text._ZN7rocprim17ROCPRIM_400000_NS6detail17trampoline_kernelINS0_14default_configENS1_29reduce_by_key_config_selectorIllN6thrust23THRUST_200600_302600_NS4plusIlEEEEZZNS1_33reduce_by_key_impl_wrapped_configILNS1_25lookback_scan_determinismE0ES3_S9_NS6_18transform_iteratorI6div_opNS6_17counting_iteratorIlNS6_11use_defaultESF_SF_EESF_SF_EENSC_I6mod_opSG_SF_SF_EENS6_6detail15normal_iteratorINS6_10device_ptrIlEEEESO_PmS8_NS6_8equal_toIlEEEE10hipError_tPvRmT2_T3_mT4_T5_T6_T7_T8_P12ihipStream_tbENKUlT_T0_E_clISt17integral_constantIbLb0EES19_EEDaS14_S15_EUlS14_E_NS1_11comp_targetILNS1_3genE10ELNS1_11target_archE1200ELNS1_3gpuE4ELNS1_3repE0EEENS1_30default_config_static_selectorELNS0_4arch9wavefront6targetE1EEEvT1_,"axG",@progbits,_ZN7rocprim17ROCPRIM_400000_NS6detail17trampoline_kernelINS0_14default_configENS1_29reduce_by_key_config_selectorIllN6thrust23THRUST_200600_302600_NS4plusIlEEEEZZNS1_33reduce_by_key_impl_wrapped_configILNS1_25lookback_scan_determinismE0ES3_S9_NS6_18transform_iteratorI6div_opNS6_17counting_iteratorIlNS6_11use_defaultESF_SF_EESF_SF_EENSC_I6mod_opSG_SF_SF_EENS6_6detail15normal_iteratorINS6_10device_ptrIlEEEESO_PmS8_NS6_8equal_toIlEEEE10hipError_tPvRmT2_T3_mT4_T5_T6_T7_T8_P12ihipStream_tbENKUlT_T0_E_clISt17integral_constantIbLb0EES19_EEDaS14_S15_EUlS14_E_NS1_11comp_targetILNS1_3genE10ELNS1_11target_archE1200ELNS1_3gpuE4ELNS1_3repE0EEENS1_30default_config_static_selectorELNS0_4arch9wavefront6targetE1EEEvT1_,comdat
.Lfunc_end1138:
	.size	_ZN7rocprim17ROCPRIM_400000_NS6detail17trampoline_kernelINS0_14default_configENS1_29reduce_by_key_config_selectorIllN6thrust23THRUST_200600_302600_NS4plusIlEEEEZZNS1_33reduce_by_key_impl_wrapped_configILNS1_25lookback_scan_determinismE0ES3_S9_NS6_18transform_iteratorI6div_opNS6_17counting_iteratorIlNS6_11use_defaultESF_SF_EESF_SF_EENSC_I6mod_opSG_SF_SF_EENS6_6detail15normal_iteratorINS6_10device_ptrIlEEEESO_PmS8_NS6_8equal_toIlEEEE10hipError_tPvRmT2_T3_mT4_T5_T6_T7_T8_P12ihipStream_tbENKUlT_T0_E_clISt17integral_constantIbLb0EES19_EEDaS14_S15_EUlS14_E_NS1_11comp_targetILNS1_3genE10ELNS1_11target_archE1200ELNS1_3gpuE4ELNS1_3repE0EEENS1_30default_config_static_selectorELNS0_4arch9wavefront6targetE1EEEvT1_, .Lfunc_end1138-_ZN7rocprim17ROCPRIM_400000_NS6detail17trampoline_kernelINS0_14default_configENS1_29reduce_by_key_config_selectorIllN6thrust23THRUST_200600_302600_NS4plusIlEEEEZZNS1_33reduce_by_key_impl_wrapped_configILNS1_25lookback_scan_determinismE0ES3_S9_NS6_18transform_iteratorI6div_opNS6_17counting_iteratorIlNS6_11use_defaultESF_SF_EESF_SF_EENSC_I6mod_opSG_SF_SF_EENS6_6detail15normal_iteratorINS6_10device_ptrIlEEEESO_PmS8_NS6_8equal_toIlEEEE10hipError_tPvRmT2_T3_mT4_T5_T6_T7_T8_P12ihipStream_tbENKUlT_T0_E_clISt17integral_constantIbLb0EES19_EEDaS14_S15_EUlS14_E_NS1_11comp_targetILNS1_3genE10ELNS1_11target_archE1200ELNS1_3gpuE4ELNS1_3repE0EEENS1_30default_config_static_selectorELNS0_4arch9wavefront6targetE1EEEvT1_
                                        ; -- End function
	.section	.AMDGPU.csdata,"",@progbits
; Kernel info:
; codeLenInByte = 0
; NumSgprs: 4
; NumVgprs: 0
; NumAgprs: 0
; TotalNumVgprs: 0
; ScratchSize: 0
; MemoryBound: 0
; FloatMode: 240
; IeeeMode: 1
; LDSByteSize: 0 bytes/workgroup (compile time only)
; SGPRBlocks: 0
; VGPRBlocks: 0
; NumSGPRsForWavesPerEU: 4
; NumVGPRsForWavesPerEU: 1
; AccumOffset: 4
; Occupancy: 8
; WaveLimiterHint : 0
; COMPUTE_PGM_RSRC2:SCRATCH_EN: 0
; COMPUTE_PGM_RSRC2:USER_SGPR: 6
; COMPUTE_PGM_RSRC2:TRAP_HANDLER: 0
; COMPUTE_PGM_RSRC2:TGID_X_EN: 1
; COMPUTE_PGM_RSRC2:TGID_Y_EN: 0
; COMPUTE_PGM_RSRC2:TGID_Z_EN: 0
; COMPUTE_PGM_RSRC2:TIDIG_COMP_CNT: 0
; COMPUTE_PGM_RSRC3_GFX90A:ACCUM_OFFSET: 0
; COMPUTE_PGM_RSRC3_GFX90A:TG_SPLIT: 0
	.section	.text._ZN7rocprim17ROCPRIM_400000_NS6detail17trampoline_kernelINS0_14default_configENS1_29reduce_by_key_config_selectorIllN6thrust23THRUST_200600_302600_NS4plusIlEEEEZZNS1_33reduce_by_key_impl_wrapped_configILNS1_25lookback_scan_determinismE0ES3_S9_NS6_18transform_iteratorI6div_opNS6_17counting_iteratorIlNS6_11use_defaultESF_SF_EESF_SF_EENSC_I6mod_opSG_SF_SF_EENS6_6detail15normal_iteratorINS6_10device_ptrIlEEEESO_PmS8_NS6_8equal_toIlEEEE10hipError_tPvRmT2_T3_mT4_T5_T6_T7_T8_P12ihipStream_tbENKUlT_T0_E_clISt17integral_constantIbLb0EES19_EEDaS14_S15_EUlS14_E_NS1_11comp_targetILNS1_3genE9ELNS1_11target_archE1100ELNS1_3gpuE3ELNS1_3repE0EEENS1_30default_config_static_selectorELNS0_4arch9wavefront6targetE1EEEvT1_,"axG",@progbits,_ZN7rocprim17ROCPRIM_400000_NS6detail17trampoline_kernelINS0_14default_configENS1_29reduce_by_key_config_selectorIllN6thrust23THRUST_200600_302600_NS4plusIlEEEEZZNS1_33reduce_by_key_impl_wrapped_configILNS1_25lookback_scan_determinismE0ES3_S9_NS6_18transform_iteratorI6div_opNS6_17counting_iteratorIlNS6_11use_defaultESF_SF_EESF_SF_EENSC_I6mod_opSG_SF_SF_EENS6_6detail15normal_iteratorINS6_10device_ptrIlEEEESO_PmS8_NS6_8equal_toIlEEEE10hipError_tPvRmT2_T3_mT4_T5_T6_T7_T8_P12ihipStream_tbENKUlT_T0_E_clISt17integral_constantIbLb0EES19_EEDaS14_S15_EUlS14_E_NS1_11comp_targetILNS1_3genE9ELNS1_11target_archE1100ELNS1_3gpuE3ELNS1_3repE0EEENS1_30default_config_static_selectorELNS0_4arch9wavefront6targetE1EEEvT1_,comdat
	.protected	_ZN7rocprim17ROCPRIM_400000_NS6detail17trampoline_kernelINS0_14default_configENS1_29reduce_by_key_config_selectorIllN6thrust23THRUST_200600_302600_NS4plusIlEEEEZZNS1_33reduce_by_key_impl_wrapped_configILNS1_25lookback_scan_determinismE0ES3_S9_NS6_18transform_iteratorI6div_opNS6_17counting_iteratorIlNS6_11use_defaultESF_SF_EESF_SF_EENSC_I6mod_opSG_SF_SF_EENS6_6detail15normal_iteratorINS6_10device_ptrIlEEEESO_PmS8_NS6_8equal_toIlEEEE10hipError_tPvRmT2_T3_mT4_T5_T6_T7_T8_P12ihipStream_tbENKUlT_T0_E_clISt17integral_constantIbLb0EES19_EEDaS14_S15_EUlS14_E_NS1_11comp_targetILNS1_3genE9ELNS1_11target_archE1100ELNS1_3gpuE3ELNS1_3repE0EEENS1_30default_config_static_selectorELNS0_4arch9wavefront6targetE1EEEvT1_ ; -- Begin function _ZN7rocprim17ROCPRIM_400000_NS6detail17trampoline_kernelINS0_14default_configENS1_29reduce_by_key_config_selectorIllN6thrust23THRUST_200600_302600_NS4plusIlEEEEZZNS1_33reduce_by_key_impl_wrapped_configILNS1_25lookback_scan_determinismE0ES3_S9_NS6_18transform_iteratorI6div_opNS6_17counting_iteratorIlNS6_11use_defaultESF_SF_EESF_SF_EENSC_I6mod_opSG_SF_SF_EENS6_6detail15normal_iteratorINS6_10device_ptrIlEEEESO_PmS8_NS6_8equal_toIlEEEE10hipError_tPvRmT2_T3_mT4_T5_T6_T7_T8_P12ihipStream_tbENKUlT_T0_E_clISt17integral_constantIbLb0EES19_EEDaS14_S15_EUlS14_E_NS1_11comp_targetILNS1_3genE9ELNS1_11target_archE1100ELNS1_3gpuE3ELNS1_3repE0EEENS1_30default_config_static_selectorELNS0_4arch9wavefront6targetE1EEEvT1_
	.globl	_ZN7rocprim17ROCPRIM_400000_NS6detail17trampoline_kernelINS0_14default_configENS1_29reduce_by_key_config_selectorIllN6thrust23THRUST_200600_302600_NS4plusIlEEEEZZNS1_33reduce_by_key_impl_wrapped_configILNS1_25lookback_scan_determinismE0ES3_S9_NS6_18transform_iteratorI6div_opNS6_17counting_iteratorIlNS6_11use_defaultESF_SF_EESF_SF_EENSC_I6mod_opSG_SF_SF_EENS6_6detail15normal_iteratorINS6_10device_ptrIlEEEESO_PmS8_NS6_8equal_toIlEEEE10hipError_tPvRmT2_T3_mT4_T5_T6_T7_T8_P12ihipStream_tbENKUlT_T0_E_clISt17integral_constantIbLb0EES19_EEDaS14_S15_EUlS14_E_NS1_11comp_targetILNS1_3genE9ELNS1_11target_archE1100ELNS1_3gpuE3ELNS1_3repE0EEENS1_30default_config_static_selectorELNS0_4arch9wavefront6targetE1EEEvT1_
	.p2align	8
	.type	_ZN7rocprim17ROCPRIM_400000_NS6detail17trampoline_kernelINS0_14default_configENS1_29reduce_by_key_config_selectorIllN6thrust23THRUST_200600_302600_NS4plusIlEEEEZZNS1_33reduce_by_key_impl_wrapped_configILNS1_25lookback_scan_determinismE0ES3_S9_NS6_18transform_iteratorI6div_opNS6_17counting_iteratorIlNS6_11use_defaultESF_SF_EESF_SF_EENSC_I6mod_opSG_SF_SF_EENS6_6detail15normal_iteratorINS6_10device_ptrIlEEEESO_PmS8_NS6_8equal_toIlEEEE10hipError_tPvRmT2_T3_mT4_T5_T6_T7_T8_P12ihipStream_tbENKUlT_T0_E_clISt17integral_constantIbLb0EES19_EEDaS14_S15_EUlS14_E_NS1_11comp_targetILNS1_3genE9ELNS1_11target_archE1100ELNS1_3gpuE3ELNS1_3repE0EEENS1_30default_config_static_selectorELNS0_4arch9wavefront6targetE1EEEvT1_,@function
_ZN7rocprim17ROCPRIM_400000_NS6detail17trampoline_kernelINS0_14default_configENS1_29reduce_by_key_config_selectorIllN6thrust23THRUST_200600_302600_NS4plusIlEEEEZZNS1_33reduce_by_key_impl_wrapped_configILNS1_25lookback_scan_determinismE0ES3_S9_NS6_18transform_iteratorI6div_opNS6_17counting_iteratorIlNS6_11use_defaultESF_SF_EESF_SF_EENSC_I6mod_opSG_SF_SF_EENS6_6detail15normal_iteratorINS6_10device_ptrIlEEEESO_PmS8_NS6_8equal_toIlEEEE10hipError_tPvRmT2_T3_mT4_T5_T6_T7_T8_P12ihipStream_tbENKUlT_T0_E_clISt17integral_constantIbLb0EES19_EEDaS14_S15_EUlS14_E_NS1_11comp_targetILNS1_3genE9ELNS1_11target_archE1100ELNS1_3gpuE3ELNS1_3repE0EEENS1_30default_config_static_selectorELNS0_4arch9wavefront6targetE1EEEvT1_: ; @_ZN7rocprim17ROCPRIM_400000_NS6detail17trampoline_kernelINS0_14default_configENS1_29reduce_by_key_config_selectorIllN6thrust23THRUST_200600_302600_NS4plusIlEEEEZZNS1_33reduce_by_key_impl_wrapped_configILNS1_25lookback_scan_determinismE0ES3_S9_NS6_18transform_iteratorI6div_opNS6_17counting_iteratorIlNS6_11use_defaultESF_SF_EESF_SF_EENSC_I6mod_opSG_SF_SF_EENS6_6detail15normal_iteratorINS6_10device_ptrIlEEEESO_PmS8_NS6_8equal_toIlEEEE10hipError_tPvRmT2_T3_mT4_T5_T6_T7_T8_P12ihipStream_tbENKUlT_T0_E_clISt17integral_constantIbLb0EES19_EEDaS14_S15_EUlS14_E_NS1_11comp_targetILNS1_3genE9ELNS1_11target_archE1100ELNS1_3gpuE3ELNS1_3repE0EEENS1_30default_config_static_selectorELNS0_4arch9wavefront6targetE1EEEvT1_
; %bb.0:
	.section	.rodata,"a",@progbits
	.p2align	6, 0x0
	.amdhsa_kernel _ZN7rocprim17ROCPRIM_400000_NS6detail17trampoline_kernelINS0_14default_configENS1_29reduce_by_key_config_selectorIllN6thrust23THRUST_200600_302600_NS4plusIlEEEEZZNS1_33reduce_by_key_impl_wrapped_configILNS1_25lookback_scan_determinismE0ES3_S9_NS6_18transform_iteratorI6div_opNS6_17counting_iteratorIlNS6_11use_defaultESF_SF_EESF_SF_EENSC_I6mod_opSG_SF_SF_EENS6_6detail15normal_iteratorINS6_10device_ptrIlEEEESO_PmS8_NS6_8equal_toIlEEEE10hipError_tPvRmT2_T3_mT4_T5_T6_T7_T8_P12ihipStream_tbENKUlT_T0_E_clISt17integral_constantIbLb0EES19_EEDaS14_S15_EUlS14_E_NS1_11comp_targetILNS1_3genE9ELNS1_11target_archE1100ELNS1_3gpuE3ELNS1_3repE0EEENS1_30default_config_static_selectorELNS0_4arch9wavefront6targetE1EEEvT1_
		.amdhsa_group_segment_fixed_size 0
		.amdhsa_private_segment_fixed_size 0
		.amdhsa_kernarg_size 152
		.amdhsa_user_sgpr_count 6
		.amdhsa_user_sgpr_private_segment_buffer 1
		.amdhsa_user_sgpr_dispatch_ptr 0
		.amdhsa_user_sgpr_queue_ptr 0
		.amdhsa_user_sgpr_kernarg_segment_ptr 1
		.amdhsa_user_sgpr_dispatch_id 0
		.amdhsa_user_sgpr_flat_scratch_init 0
		.amdhsa_user_sgpr_kernarg_preload_length 0
		.amdhsa_user_sgpr_kernarg_preload_offset 0
		.amdhsa_user_sgpr_private_segment_size 0
		.amdhsa_uses_dynamic_stack 0
		.amdhsa_system_sgpr_private_segment_wavefront_offset 0
		.amdhsa_system_sgpr_workgroup_id_x 1
		.amdhsa_system_sgpr_workgroup_id_y 0
		.amdhsa_system_sgpr_workgroup_id_z 0
		.amdhsa_system_sgpr_workgroup_info 0
		.amdhsa_system_vgpr_workitem_id 0
		.amdhsa_next_free_vgpr 1
		.amdhsa_next_free_sgpr 0
		.amdhsa_accum_offset 4
		.amdhsa_reserve_vcc 0
		.amdhsa_reserve_flat_scratch 0
		.amdhsa_float_round_mode_32 0
		.amdhsa_float_round_mode_16_64 0
		.amdhsa_float_denorm_mode_32 3
		.amdhsa_float_denorm_mode_16_64 3
		.amdhsa_dx10_clamp 1
		.amdhsa_ieee_mode 1
		.amdhsa_fp16_overflow 0
		.amdhsa_tg_split 0
		.amdhsa_exception_fp_ieee_invalid_op 0
		.amdhsa_exception_fp_denorm_src 0
		.amdhsa_exception_fp_ieee_div_zero 0
		.amdhsa_exception_fp_ieee_overflow 0
		.amdhsa_exception_fp_ieee_underflow 0
		.amdhsa_exception_fp_ieee_inexact 0
		.amdhsa_exception_int_div_zero 0
	.end_amdhsa_kernel
	.section	.text._ZN7rocprim17ROCPRIM_400000_NS6detail17trampoline_kernelINS0_14default_configENS1_29reduce_by_key_config_selectorIllN6thrust23THRUST_200600_302600_NS4plusIlEEEEZZNS1_33reduce_by_key_impl_wrapped_configILNS1_25lookback_scan_determinismE0ES3_S9_NS6_18transform_iteratorI6div_opNS6_17counting_iteratorIlNS6_11use_defaultESF_SF_EESF_SF_EENSC_I6mod_opSG_SF_SF_EENS6_6detail15normal_iteratorINS6_10device_ptrIlEEEESO_PmS8_NS6_8equal_toIlEEEE10hipError_tPvRmT2_T3_mT4_T5_T6_T7_T8_P12ihipStream_tbENKUlT_T0_E_clISt17integral_constantIbLb0EES19_EEDaS14_S15_EUlS14_E_NS1_11comp_targetILNS1_3genE9ELNS1_11target_archE1100ELNS1_3gpuE3ELNS1_3repE0EEENS1_30default_config_static_selectorELNS0_4arch9wavefront6targetE1EEEvT1_,"axG",@progbits,_ZN7rocprim17ROCPRIM_400000_NS6detail17trampoline_kernelINS0_14default_configENS1_29reduce_by_key_config_selectorIllN6thrust23THRUST_200600_302600_NS4plusIlEEEEZZNS1_33reduce_by_key_impl_wrapped_configILNS1_25lookback_scan_determinismE0ES3_S9_NS6_18transform_iteratorI6div_opNS6_17counting_iteratorIlNS6_11use_defaultESF_SF_EESF_SF_EENSC_I6mod_opSG_SF_SF_EENS6_6detail15normal_iteratorINS6_10device_ptrIlEEEESO_PmS8_NS6_8equal_toIlEEEE10hipError_tPvRmT2_T3_mT4_T5_T6_T7_T8_P12ihipStream_tbENKUlT_T0_E_clISt17integral_constantIbLb0EES19_EEDaS14_S15_EUlS14_E_NS1_11comp_targetILNS1_3genE9ELNS1_11target_archE1100ELNS1_3gpuE3ELNS1_3repE0EEENS1_30default_config_static_selectorELNS0_4arch9wavefront6targetE1EEEvT1_,comdat
.Lfunc_end1139:
	.size	_ZN7rocprim17ROCPRIM_400000_NS6detail17trampoline_kernelINS0_14default_configENS1_29reduce_by_key_config_selectorIllN6thrust23THRUST_200600_302600_NS4plusIlEEEEZZNS1_33reduce_by_key_impl_wrapped_configILNS1_25lookback_scan_determinismE0ES3_S9_NS6_18transform_iteratorI6div_opNS6_17counting_iteratorIlNS6_11use_defaultESF_SF_EESF_SF_EENSC_I6mod_opSG_SF_SF_EENS6_6detail15normal_iteratorINS6_10device_ptrIlEEEESO_PmS8_NS6_8equal_toIlEEEE10hipError_tPvRmT2_T3_mT4_T5_T6_T7_T8_P12ihipStream_tbENKUlT_T0_E_clISt17integral_constantIbLb0EES19_EEDaS14_S15_EUlS14_E_NS1_11comp_targetILNS1_3genE9ELNS1_11target_archE1100ELNS1_3gpuE3ELNS1_3repE0EEENS1_30default_config_static_selectorELNS0_4arch9wavefront6targetE1EEEvT1_, .Lfunc_end1139-_ZN7rocprim17ROCPRIM_400000_NS6detail17trampoline_kernelINS0_14default_configENS1_29reduce_by_key_config_selectorIllN6thrust23THRUST_200600_302600_NS4plusIlEEEEZZNS1_33reduce_by_key_impl_wrapped_configILNS1_25lookback_scan_determinismE0ES3_S9_NS6_18transform_iteratorI6div_opNS6_17counting_iteratorIlNS6_11use_defaultESF_SF_EESF_SF_EENSC_I6mod_opSG_SF_SF_EENS6_6detail15normal_iteratorINS6_10device_ptrIlEEEESO_PmS8_NS6_8equal_toIlEEEE10hipError_tPvRmT2_T3_mT4_T5_T6_T7_T8_P12ihipStream_tbENKUlT_T0_E_clISt17integral_constantIbLb0EES19_EEDaS14_S15_EUlS14_E_NS1_11comp_targetILNS1_3genE9ELNS1_11target_archE1100ELNS1_3gpuE3ELNS1_3repE0EEENS1_30default_config_static_selectorELNS0_4arch9wavefront6targetE1EEEvT1_
                                        ; -- End function
	.section	.AMDGPU.csdata,"",@progbits
; Kernel info:
; codeLenInByte = 0
; NumSgprs: 4
; NumVgprs: 0
; NumAgprs: 0
; TotalNumVgprs: 0
; ScratchSize: 0
; MemoryBound: 0
; FloatMode: 240
; IeeeMode: 1
; LDSByteSize: 0 bytes/workgroup (compile time only)
; SGPRBlocks: 0
; VGPRBlocks: 0
; NumSGPRsForWavesPerEU: 4
; NumVGPRsForWavesPerEU: 1
; AccumOffset: 4
; Occupancy: 8
; WaveLimiterHint : 0
; COMPUTE_PGM_RSRC2:SCRATCH_EN: 0
; COMPUTE_PGM_RSRC2:USER_SGPR: 6
; COMPUTE_PGM_RSRC2:TRAP_HANDLER: 0
; COMPUTE_PGM_RSRC2:TGID_X_EN: 1
; COMPUTE_PGM_RSRC2:TGID_Y_EN: 0
; COMPUTE_PGM_RSRC2:TGID_Z_EN: 0
; COMPUTE_PGM_RSRC2:TIDIG_COMP_CNT: 0
; COMPUTE_PGM_RSRC3_GFX90A:ACCUM_OFFSET: 0
; COMPUTE_PGM_RSRC3_GFX90A:TG_SPLIT: 0
	.section	.text._ZN7rocprim17ROCPRIM_400000_NS6detail17trampoline_kernelINS0_14default_configENS1_29reduce_by_key_config_selectorIllN6thrust23THRUST_200600_302600_NS4plusIlEEEEZZNS1_33reduce_by_key_impl_wrapped_configILNS1_25lookback_scan_determinismE0ES3_S9_NS6_18transform_iteratorI6div_opNS6_17counting_iteratorIlNS6_11use_defaultESF_SF_EESF_SF_EENSC_I6mod_opSG_SF_SF_EENS6_6detail15normal_iteratorINS6_10device_ptrIlEEEESO_PmS8_NS6_8equal_toIlEEEE10hipError_tPvRmT2_T3_mT4_T5_T6_T7_T8_P12ihipStream_tbENKUlT_T0_E_clISt17integral_constantIbLb0EES19_EEDaS14_S15_EUlS14_E_NS1_11comp_targetILNS1_3genE8ELNS1_11target_archE1030ELNS1_3gpuE2ELNS1_3repE0EEENS1_30default_config_static_selectorELNS0_4arch9wavefront6targetE1EEEvT1_,"axG",@progbits,_ZN7rocprim17ROCPRIM_400000_NS6detail17trampoline_kernelINS0_14default_configENS1_29reduce_by_key_config_selectorIllN6thrust23THRUST_200600_302600_NS4plusIlEEEEZZNS1_33reduce_by_key_impl_wrapped_configILNS1_25lookback_scan_determinismE0ES3_S9_NS6_18transform_iteratorI6div_opNS6_17counting_iteratorIlNS6_11use_defaultESF_SF_EESF_SF_EENSC_I6mod_opSG_SF_SF_EENS6_6detail15normal_iteratorINS6_10device_ptrIlEEEESO_PmS8_NS6_8equal_toIlEEEE10hipError_tPvRmT2_T3_mT4_T5_T6_T7_T8_P12ihipStream_tbENKUlT_T0_E_clISt17integral_constantIbLb0EES19_EEDaS14_S15_EUlS14_E_NS1_11comp_targetILNS1_3genE8ELNS1_11target_archE1030ELNS1_3gpuE2ELNS1_3repE0EEENS1_30default_config_static_selectorELNS0_4arch9wavefront6targetE1EEEvT1_,comdat
	.protected	_ZN7rocprim17ROCPRIM_400000_NS6detail17trampoline_kernelINS0_14default_configENS1_29reduce_by_key_config_selectorIllN6thrust23THRUST_200600_302600_NS4plusIlEEEEZZNS1_33reduce_by_key_impl_wrapped_configILNS1_25lookback_scan_determinismE0ES3_S9_NS6_18transform_iteratorI6div_opNS6_17counting_iteratorIlNS6_11use_defaultESF_SF_EESF_SF_EENSC_I6mod_opSG_SF_SF_EENS6_6detail15normal_iteratorINS6_10device_ptrIlEEEESO_PmS8_NS6_8equal_toIlEEEE10hipError_tPvRmT2_T3_mT4_T5_T6_T7_T8_P12ihipStream_tbENKUlT_T0_E_clISt17integral_constantIbLb0EES19_EEDaS14_S15_EUlS14_E_NS1_11comp_targetILNS1_3genE8ELNS1_11target_archE1030ELNS1_3gpuE2ELNS1_3repE0EEENS1_30default_config_static_selectorELNS0_4arch9wavefront6targetE1EEEvT1_ ; -- Begin function _ZN7rocprim17ROCPRIM_400000_NS6detail17trampoline_kernelINS0_14default_configENS1_29reduce_by_key_config_selectorIllN6thrust23THRUST_200600_302600_NS4plusIlEEEEZZNS1_33reduce_by_key_impl_wrapped_configILNS1_25lookback_scan_determinismE0ES3_S9_NS6_18transform_iteratorI6div_opNS6_17counting_iteratorIlNS6_11use_defaultESF_SF_EESF_SF_EENSC_I6mod_opSG_SF_SF_EENS6_6detail15normal_iteratorINS6_10device_ptrIlEEEESO_PmS8_NS6_8equal_toIlEEEE10hipError_tPvRmT2_T3_mT4_T5_T6_T7_T8_P12ihipStream_tbENKUlT_T0_E_clISt17integral_constantIbLb0EES19_EEDaS14_S15_EUlS14_E_NS1_11comp_targetILNS1_3genE8ELNS1_11target_archE1030ELNS1_3gpuE2ELNS1_3repE0EEENS1_30default_config_static_selectorELNS0_4arch9wavefront6targetE1EEEvT1_
	.globl	_ZN7rocprim17ROCPRIM_400000_NS6detail17trampoline_kernelINS0_14default_configENS1_29reduce_by_key_config_selectorIllN6thrust23THRUST_200600_302600_NS4plusIlEEEEZZNS1_33reduce_by_key_impl_wrapped_configILNS1_25lookback_scan_determinismE0ES3_S9_NS6_18transform_iteratorI6div_opNS6_17counting_iteratorIlNS6_11use_defaultESF_SF_EESF_SF_EENSC_I6mod_opSG_SF_SF_EENS6_6detail15normal_iteratorINS6_10device_ptrIlEEEESO_PmS8_NS6_8equal_toIlEEEE10hipError_tPvRmT2_T3_mT4_T5_T6_T7_T8_P12ihipStream_tbENKUlT_T0_E_clISt17integral_constantIbLb0EES19_EEDaS14_S15_EUlS14_E_NS1_11comp_targetILNS1_3genE8ELNS1_11target_archE1030ELNS1_3gpuE2ELNS1_3repE0EEENS1_30default_config_static_selectorELNS0_4arch9wavefront6targetE1EEEvT1_
	.p2align	8
	.type	_ZN7rocprim17ROCPRIM_400000_NS6detail17trampoline_kernelINS0_14default_configENS1_29reduce_by_key_config_selectorIllN6thrust23THRUST_200600_302600_NS4plusIlEEEEZZNS1_33reduce_by_key_impl_wrapped_configILNS1_25lookback_scan_determinismE0ES3_S9_NS6_18transform_iteratorI6div_opNS6_17counting_iteratorIlNS6_11use_defaultESF_SF_EESF_SF_EENSC_I6mod_opSG_SF_SF_EENS6_6detail15normal_iteratorINS6_10device_ptrIlEEEESO_PmS8_NS6_8equal_toIlEEEE10hipError_tPvRmT2_T3_mT4_T5_T6_T7_T8_P12ihipStream_tbENKUlT_T0_E_clISt17integral_constantIbLb0EES19_EEDaS14_S15_EUlS14_E_NS1_11comp_targetILNS1_3genE8ELNS1_11target_archE1030ELNS1_3gpuE2ELNS1_3repE0EEENS1_30default_config_static_selectorELNS0_4arch9wavefront6targetE1EEEvT1_,@function
_ZN7rocprim17ROCPRIM_400000_NS6detail17trampoline_kernelINS0_14default_configENS1_29reduce_by_key_config_selectorIllN6thrust23THRUST_200600_302600_NS4plusIlEEEEZZNS1_33reduce_by_key_impl_wrapped_configILNS1_25lookback_scan_determinismE0ES3_S9_NS6_18transform_iteratorI6div_opNS6_17counting_iteratorIlNS6_11use_defaultESF_SF_EESF_SF_EENSC_I6mod_opSG_SF_SF_EENS6_6detail15normal_iteratorINS6_10device_ptrIlEEEESO_PmS8_NS6_8equal_toIlEEEE10hipError_tPvRmT2_T3_mT4_T5_T6_T7_T8_P12ihipStream_tbENKUlT_T0_E_clISt17integral_constantIbLb0EES19_EEDaS14_S15_EUlS14_E_NS1_11comp_targetILNS1_3genE8ELNS1_11target_archE1030ELNS1_3gpuE2ELNS1_3repE0EEENS1_30default_config_static_selectorELNS0_4arch9wavefront6targetE1EEEvT1_: ; @_ZN7rocprim17ROCPRIM_400000_NS6detail17trampoline_kernelINS0_14default_configENS1_29reduce_by_key_config_selectorIllN6thrust23THRUST_200600_302600_NS4plusIlEEEEZZNS1_33reduce_by_key_impl_wrapped_configILNS1_25lookback_scan_determinismE0ES3_S9_NS6_18transform_iteratorI6div_opNS6_17counting_iteratorIlNS6_11use_defaultESF_SF_EESF_SF_EENSC_I6mod_opSG_SF_SF_EENS6_6detail15normal_iteratorINS6_10device_ptrIlEEEESO_PmS8_NS6_8equal_toIlEEEE10hipError_tPvRmT2_T3_mT4_T5_T6_T7_T8_P12ihipStream_tbENKUlT_T0_E_clISt17integral_constantIbLb0EES19_EEDaS14_S15_EUlS14_E_NS1_11comp_targetILNS1_3genE8ELNS1_11target_archE1030ELNS1_3gpuE2ELNS1_3repE0EEENS1_30default_config_static_selectorELNS0_4arch9wavefront6targetE1EEEvT1_
; %bb.0:
	.section	.rodata,"a",@progbits
	.p2align	6, 0x0
	.amdhsa_kernel _ZN7rocprim17ROCPRIM_400000_NS6detail17trampoline_kernelINS0_14default_configENS1_29reduce_by_key_config_selectorIllN6thrust23THRUST_200600_302600_NS4plusIlEEEEZZNS1_33reduce_by_key_impl_wrapped_configILNS1_25lookback_scan_determinismE0ES3_S9_NS6_18transform_iteratorI6div_opNS6_17counting_iteratorIlNS6_11use_defaultESF_SF_EESF_SF_EENSC_I6mod_opSG_SF_SF_EENS6_6detail15normal_iteratorINS6_10device_ptrIlEEEESO_PmS8_NS6_8equal_toIlEEEE10hipError_tPvRmT2_T3_mT4_T5_T6_T7_T8_P12ihipStream_tbENKUlT_T0_E_clISt17integral_constantIbLb0EES19_EEDaS14_S15_EUlS14_E_NS1_11comp_targetILNS1_3genE8ELNS1_11target_archE1030ELNS1_3gpuE2ELNS1_3repE0EEENS1_30default_config_static_selectorELNS0_4arch9wavefront6targetE1EEEvT1_
		.amdhsa_group_segment_fixed_size 0
		.amdhsa_private_segment_fixed_size 0
		.amdhsa_kernarg_size 152
		.amdhsa_user_sgpr_count 6
		.amdhsa_user_sgpr_private_segment_buffer 1
		.amdhsa_user_sgpr_dispatch_ptr 0
		.amdhsa_user_sgpr_queue_ptr 0
		.amdhsa_user_sgpr_kernarg_segment_ptr 1
		.amdhsa_user_sgpr_dispatch_id 0
		.amdhsa_user_sgpr_flat_scratch_init 0
		.amdhsa_user_sgpr_kernarg_preload_length 0
		.amdhsa_user_sgpr_kernarg_preload_offset 0
		.amdhsa_user_sgpr_private_segment_size 0
		.amdhsa_uses_dynamic_stack 0
		.amdhsa_system_sgpr_private_segment_wavefront_offset 0
		.amdhsa_system_sgpr_workgroup_id_x 1
		.amdhsa_system_sgpr_workgroup_id_y 0
		.amdhsa_system_sgpr_workgroup_id_z 0
		.amdhsa_system_sgpr_workgroup_info 0
		.amdhsa_system_vgpr_workitem_id 0
		.amdhsa_next_free_vgpr 1
		.amdhsa_next_free_sgpr 0
		.amdhsa_accum_offset 4
		.amdhsa_reserve_vcc 0
		.amdhsa_reserve_flat_scratch 0
		.amdhsa_float_round_mode_32 0
		.amdhsa_float_round_mode_16_64 0
		.amdhsa_float_denorm_mode_32 3
		.amdhsa_float_denorm_mode_16_64 3
		.amdhsa_dx10_clamp 1
		.amdhsa_ieee_mode 1
		.amdhsa_fp16_overflow 0
		.amdhsa_tg_split 0
		.amdhsa_exception_fp_ieee_invalid_op 0
		.amdhsa_exception_fp_denorm_src 0
		.amdhsa_exception_fp_ieee_div_zero 0
		.amdhsa_exception_fp_ieee_overflow 0
		.amdhsa_exception_fp_ieee_underflow 0
		.amdhsa_exception_fp_ieee_inexact 0
		.amdhsa_exception_int_div_zero 0
	.end_amdhsa_kernel
	.section	.text._ZN7rocprim17ROCPRIM_400000_NS6detail17trampoline_kernelINS0_14default_configENS1_29reduce_by_key_config_selectorIllN6thrust23THRUST_200600_302600_NS4plusIlEEEEZZNS1_33reduce_by_key_impl_wrapped_configILNS1_25lookback_scan_determinismE0ES3_S9_NS6_18transform_iteratorI6div_opNS6_17counting_iteratorIlNS6_11use_defaultESF_SF_EESF_SF_EENSC_I6mod_opSG_SF_SF_EENS6_6detail15normal_iteratorINS6_10device_ptrIlEEEESO_PmS8_NS6_8equal_toIlEEEE10hipError_tPvRmT2_T3_mT4_T5_T6_T7_T8_P12ihipStream_tbENKUlT_T0_E_clISt17integral_constantIbLb0EES19_EEDaS14_S15_EUlS14_E_NS1_11comp_targetILNS1_3genE8ELNS1_11target_archE1030ELNS1_3gpuE2ELNS1_3repE0EEENS1_30default_config_static_selectorELNS0_4arch9wavefront6targetE1EEEvT1_,"axG",@progbits,_ZN7rocprim17ROCPRIM_400000_NS6detail17trampoline_kernelINS0_14default_configENS1_29reduce_by_key_config_selectorIllN6thrust23THRUST_200600_302600_NS4plusIlEEEEZZNS1_33reduce_by_key_impl_wrapped_configILNS1_25lookback_scan_determinismE0ES3_S9_NS6_18transform_iteratorI6div_opNS6_17counting_iteratorIlNS6_11use_defaultESF_SF_EESF_SF_EENSC_I6mod_opSG_SF_SF_EENS6_6detail15normal_iteratorINS6_10device_ptrIlEEEESO_PmS8_NS6_8equal_toIlEEEE10hipError_tPvRmT2_T3_mT4_T5_T6_T7_T8_P12ihipStream_tbENKUlT_T0_E_clISt17integral_constantIbLb0EES19_EEDaS14_S15_EUlS14_E_NS1_11comp_targetILNS1_3genE8ELNS1_11target_archE1030ELNS1_3gpuE2ELNS1_3repE0EEENS1_30default_config_static_selectorELNS0_4arch9wavefront6targetE1EEEvT1_,comdat
.Lfunc_end1140:
	.size	_ZN7rocprim17ROCPRIM_400000_NS6detail17trampoline_kernelINS0_14default_configENS1_29reduce_by_key_config_selectorIllN6thrust23THRUST_200600_302600_NS4plusIlEEEEZZNS1_33reduce_by_key_impl_wrapped_configILNS1_25lookback_scan_determinismE0ES3_S9_NS6_18transform_iteratorI6div_opNS6_17counting_iteratorIlNS6_11use_defaultESF_SF_EESF_SF_EENSC_I6mod_opSG_SF_SF_EENS6_6detail15normal_iteratorINS6_10device_ptrIlEEEESO_PmS8_NS6_8equal_toIlEEEE10hipError_tPvRmT2_T3_mT4_T5_T6_T7_T8_P12ihipStream_tbENKUlT_T0_E_clISt17integral_constantIbLb0EES19_EEDaS14_S15_EUlS14_E_NS1_11comp_targetILNS1_3genE8ELNS1_11target_archE1030ELNS1_3gpuE2ELNS1_3repE0EEENS1_30default_config_static_selectorELNS0_4arch9wavefront6targetE1EEEvT1_, .Lfunc_end1140-_ZN7rocprim17ROCPRIM_400000_NS6detail17trampoline_kernelINS0_14default_configENS1_29reduce_by_key_config_selectorIllN6thrust23THRUST_200600_302600_NS4plusIlEEEEZZNS1_33reduce_by_key_impl_wrapped_configILNS1_25lookback_scan_determinismE0ES3_S9_NS6_18transform_iteratorI6div_opNS6_17counting_iteratorIlNS6_11use_defaultESF_SF_EESF_SF_EENSC_I6mod_opSG_SF_SF_EENS6_6detail15normal_iteratorINS6_10device_ptrIlEEEESO_PmS8_NS6_8equal_toIlEEEE10hipError_tPvRmT2_T3_mT4_T5_T6_T7_T8_P12ihipStream_tbENKUlT_T0_E_clISt17integral_constantIbLb0EES19_EEDaS14_S15_EUlS14_E_NS1_11comp_targetILNS1_3genE8ELNS1_11target_archE1030ELNS1_3gpuE2ELNS1_3repE0EEENS1_30default_config_static_selectorELNS0_4arch9wavefront6targetE1EEEvT1_
                                        ; -- End function
	.section	.AMDGPU.csdata,"",@progbits
; Kernel info:
; codeLenInByte = 0
; NumSgprs: 4
; NumVgprs: 0
; NumAgprs: 0
; TotalNumVgprs: 0
; ScratchSize: 0
; MemoryBound: 0
; FloatMode: 240
; IeeeMode: 1
; LDSByteSize: 0 bytes/workgroup (compile time only)
; SGPRBlocks: 0
; VGPRBlocks: 0
; NumSGPRsForWavesPerEU: 4
; NumVGPRsForWavesPerEU: 1
; AccumOffset: 4
; Occupancy: 8
; WaveLimiterHint : 0
; COMPUTE_PGM_RSRC2:SCRATCH_EN: 0
; COMPUTE_PGM_RSRC2:USER_SGPR: 6
; COMPUTE_PGM_RSRC2:TRAP_HANDLER: 0
; COMPUTE_PGM_RSRC2:TGID_X_EN: 1
; COMPUTE_PGM_RSRC2:TGID_Y_EN: 0
; COMPUTE_PGM_RSRC2:TGID_Z_EN: 0
; COMPUTE_PGM_RSRC2:TIDIG_COMP_CNT: 0
; COMPUTE_PGM_RSRC3_GFX90A:ACCUM_OFFSET: 0
; COMPUTE_PGM_RSRC3_GFX90A:TG_SPLIT: 0
	.section	.text._ZN7rocprim17ROCPRIM_400000_NS6detail25reduce_by_key_init_kernelINS1_19lookback_scan_stateINS0_5tupleIJjlEEELb1ELb0EEElNS1_16block_id_wrapperIjLb1EEEEEvT_jbjPmPT0_T1_,"axG",@progbits,_ZN7rocprim17ROCPRIM_400000_NS6detail25reduce_by_key_init_kernelINS1_19lookback_scan_stateINS0_5tupleIJjlEEELb1ELb0EEElNS1_16block_id_wrapperIjLb1EEEEEvT_jbjPmPT0_T1_,comdat
	.protected	_ZN7rocprim17ROCPRIM_400000_NS6detail25reduce_by_key_init_kernelINS1_19lookback_scan_stateINS0_5tupleIJjlEEELb1ELb0EEElNS1_16block_id_wrapperIjLb1EEEEEvT_jbjPmPT0_T1_ ; -- Begin function _ZN7rocprim17ROCPRIM_400000_NS6detail25reduce_by_key_init_kernelINS1_19lookback_scan_stateINS0_5tupleIJjlEEELb1ELb0EEElNS1_16block_id_wrapperIjLb1EEEEEvT_jbjPmPT0_T1_
	.globl	_ZN7rocprim17ROCPRIM_400000_NS6detail25reduce_by_key_init_kernelINS1_19lookback_scan_stateINS0_5tupleIJjlEEELb1ELb0EEElNS1_16block_id_wrapperIjLb1EEEEEvT_jbjPmPT0_T1_
	.p2align	8
	.type	_ZN7rocprim17ROCPRIM_400000_NS6detail25reduce_by_key_init_kernelINS1_19lookback_scan_stateINS0_5tupleIJjlEEELb1ELb0EEElNS1_16block_id_wrapperIjLb1EEEEEvT_jbjPmPT0_T1_,@function
_ZN7rocprim17ROCPRIM_400000_NS6detail25reduce_by_key_init_kernelINS1_19lookback_scan_stateINS0_5tupleIJjlEEELb1ELb0EEElNS1_16block_id_wrapperIjLb1EEEEEvT_jbjPmPT0_T1_: ; @_ZN7rocprim17ROCPRIM_400000_NS6detail25reduce_by_key_init_kernelINS1_19lookback_scan_stateINS0_5tupleIJjlEEELb1ELb0EEElNS1_16block_id_wrapperIjLb1EEEEEvT_jbjPmPT0_T1_
; %bb.0:
	s_load_dwordx8 s[8:15], s[4:5], 0x18
	s_load_dword s0, s[4:5], 0x4c
	s_load_dwordx2 s[18:19], s[4:5], 0x38
	s_load_dwordx2 s[16:17], s[4:5], 0x10
	s_waitcnt lgkmcnt(0)
	s_and_b32 s1, s9, 1
	s_and_b32 s0, s0, 0xffff
	s_mul_i32 s6, s6, s0
	s_cmp_eq_u32 s1, 0
	v_add_u32_e32 v0, s6, v0
	s_mov_b64 s[0:1], -1
	s_cbranch_scc1 .LBB1141_6
; %bb.1:
	s_andn2_b64 vcc, exec, s[0:1]
	v_cmp_eq_u32_e64 s[0:1], 0, v0
	s_cbranch_vccz .LBB1141_16
.LBB1141_2:
	v_cmp_eq_u32_e32 vcc, 0, v0
	s_and_saveexec_b64 s[0:1], vcc
	s_cbranch_execnz .LBB1141_19
.LBB1141_3:
	s_or_b64 exec, exec, s[0:1]
	v_cmp_gt_u32_e32 vcc, s8, v0
	s_and_saveexec_b64 s[0:1], vcc
	s_cbranch_execnz .LBB1141_20
.LBB1141_4:
	s_or_b64 exec, exec, s[0:1]
	v_cmp_gt_u32_e32 vcc, 64, v0
	s_and_saveexec_b64 s[0:1], vcc
	s_cbranch_execnz .LBB1141_21
.LBB1141_5:
	s_endpgm
.LBB1141_6:
	s_cmp_lt_u32 s10, s8
	s_cselect_b32 s0, s10, 0
	v_cmp_eq_u32_e32 vcc, s0, v0
	s_and_saveexec_b64 s[6:7], vcc
	s_cbranch_execz .LBB1141_15
; %bb.7:
	s_add_i32 s10, s10, 64
	v_mov_b32_e32 v1, s10
	global_load_ubyte v1, v1, s[16:17] glc
	s_load_dwordx4 s[0:3], s[4:5], 0x0
	s_add_u32 s4, s16, s10
	s_mov_b32 s11, 0
	s_addc_u32 s5, s17, 0
	s_waitcnt vmcnt(0)
	v_cmp_ne_u16_e32 vcc, 0, v1
	v_readfirstlane_b32 s9, v1
	s_cbranch_vccz .LBB1141_9
; %bb.8:
	s_and_b32 s4, 0xffff, s9
	s_branch .LBB1141_14
.LBB1141_9:
	s_mov_b32 s9, 1
	v_mov_b32_e32 v1, 0
.LBB1141_10:                            ; =>This Loop Header: Depth=1
                                        ;     Child Loop BB1141_11 Depth 2
	s_max_u32 s20, s9, 1
.LBB1141_11:                            ;   Parent Loop BB1141_10 Depth=1
                                        ; =>  This Inner Loop Header: Depth=2
	s_add_i32 s20, s20, -1
	s_cmp_eq_u32 s20, 0
	s_sleep 1
	s_cbranch_scc0 .LBB1141_11
; %bb.12:                               ;   in Loop: Header=BB1141_10 Depth=1
	global_load_ubyte v2, v1, s[4:5] glc
	s_cmp_lt_u32 s9, 32
	s_cselect_b64 s[20:21], -1, 0
	s_cmp_lg_u64 s[20:21], 0
	s_addc_u32 s9, s9, 0
	s_waitcnt vmcnt(0)
	v_cmp_ne_u16_e32 vcc, 0, v2
	v_readfirstlane_b32 s20, v2
	s_cbranch_vccz .LBB1141_10
; %bb.13:
	s_and_b32 s4, 0xffff, s20
.LBB1141_14:
	s_cmp_eq_u32 s4, 1
	s_waitcnt lgkmcnt(0)
	s_cselect_b32 s3, s1, s3
	s_cselect_b32 s2, s0, s2
	s_lshl_b64 s[0:1], s[10:11], 4
	v_mov_b32_e32 v1, 0
	s_add_u32 s0, s2, s0
	buffer_wbinvl1_vol
	s_addc_u32 s1, s3, s1
	global_load_dwordx2 v[2:3], v1, s[12:13]
	global_load_dword v6, v1, s[0:1]
	global_load_dwordx2 v[4:5], v1, s[0:1] offset:8
	s_waitcnt vmcnt(1)
	v_add_co_u32_e32 v2, vcc, v2, v6
	v_addc_co_u32_e32 v3, vcc, 0, v3, vcc
	global_store_dwordx2 v1, v[2:3], s[12:13]
	s_waitcnt vmcnt(1)
	global_store_dwordx2 v1, v[4:5], s[14:15]
.LBB1141_15:
	s_or_b64 exec, exec, s[6:7]
	v_cmp_eq_u32_e64 s[0:1], 0, v0
	s_cbranch_execnz .LBB1141_2
.LBB1141_16:
	s_cmp_lg_u64 s[12:13], 0
	s_cselect_b64 s[2:3], -1, 0
	s_and_b64 s[2:3], s[2:3], s[0:1]
	s_and_saveexec_b64 s[0:1], s[2:3]
	s_cbranch_execz .LBB1141_18
; %bb.17:
	v_mov_b32_e32 v2, 0
	v_mov_b32_e32 v3, v2
	global_store_dwordx2 v2, v[2:3], s[12:13]
.LBB1141_18:
	s_or_b64 exec, exec, s[0:1]
	v_cmp_eq_u32_e32 vcc, 0, v0
	s_and_saveexec_b64 s[0:1], vcc
	s_cbranch_execz .LBB1141_3
.LBB1141_19:
	v_mov_b32_e32 v1, 0
	global_store_dword v1, v1, s[18:19]
	s_or_b64 exec, exec, s[0:1]
	v_cmp_gt_u32_e32 vcc, s8, v0
	s_and_saveexec_b64 s[0:1], vcc
	s_cbranch_execz .LBB1141_4
.LBB1141_20:
	v_add_u32_e32 v1, 64, v0
	v_mov_b32_e32 v2, 0
	global_store_byte v1, v2, s[16:17]
	s_or_b64 exec, exec, s[0:1]
	v_cmp_gt_u32_e32 vcc, 64, v0
	s_and_saveexec_b64 s[0:1], vcc
	s_cbranch_execz .LBB1141_5
.LBB1141_21:
	v_mov_b32_e32 v1, 0xff
	global_store_byte v0, v1, s[16:17]
	s_endpgm
	.section	.rodata,"a",@progbits
	.p2align	6, 0x0
	.amdhsa_kernel _ZN7rocprim17ROCPRIM_400000_NS6detail25reduce_by_key_init_kernelINS1_19lookback_scan_stateINS0_5tupleIJjlEEELb1ELb0EEElNS1_16block_id_wrapperIjLb1EEEEEvT_jbjPmPT0_T1_
		.amdhsa_group_segment_fixed_size 0
		.amdhsa_private_segment_fixed_size 0
		.amdhsa_kernarg_size 320
		.amdhsa_user_sgpr_count 6
		.amdhsa_user_sgpr_private_segment_buffer 1
		.amdhsa_user_sgpr_dispatch_ptr 0
		.amdhsa_user_sgpr_queue_ptr 0
		.amdhsa_user_sgpr_kernarg_segment_ptr 1
		.amdhsa_user_sgpr_dispatch_id 0
		.amdhsa_user_sgpr_flat_scratch_init 0
		.amdhsa_user_sgpr_kernarg_preload_length 0
		.amdhsa_user_sgpr_kernarg_preload_offset 0
		.amdhsa_user_sgpr_private_segment_size 0
		.amdhsa_uses_dynamic_stack 0
		.amdhsa_system_sgpr_private_segment_wavefront_offset 0
		.amdhsa_system_sgpr_workgroup_id_x 1
		.amdhsa_system_sgpr_workgroup_id_y 0
		.amdhsa_system_sgpr_workgroup_id_z 0
		.amdhsa_system_sgpr_workgroup_info 0
		.amdhsa_system_vgpr_workitem_id 0
		.amdhsa_next_free_vgpr 7
		.amdhsa_next_free_sgpr 22
		.amdhsa_accum_offset 8
		.amdhsa_reserve_vcc 1
		.amdhsa_reserve_flat_scratch 0
		.amdhsa_float_round_mode_32 0
		.amdhsa_float_round_mode_16_64 0
		.amdhsa_float_denorm_mode_32 3
		.amdhsa_float_denorm_mode_16_64 3
		.amdhsa_dx10_clamp 1
		.amdhsa_ieee_mode 1
		.amdhsa_fp16_overflow 0
		.amdhsa_tg_split 0
		.amdhsa_exception_fp_ieee_invalid_op 0
		.amdhsa_exception_fp_denorm_src 0
		.amdhsa_exception_fp_ieee_div_zero 0
		.amdhsa_exception_fp_ieee_overflow 0
		.amdhsa_exception_fp_ieee_underflow 0
		.amdhsa_exception_fp_ieee_inexact 0
		.amdhsa_exception_int_div_zero 0
	.end_amdhsa_kernel
	.section	.text._ZN7rocprim17ROCPRIM_400000_NS6detail25reduce_by_key_init_kernelINS1_19lookback_scan_stateINS0_5tupleIJjlEEELb1ELb0EEElNS1_16block_id_wrapperIjLb1EEEEEvT_jbjPmPT0_T1_,"axG",@progbits,_ZN7rocprim17ROCPRIM_400000_NS6detail25reduce_by_key_init_kernelINS1_19lookback_scan_stateINS0_5tupleIJjlEEELb1ELb0EEElNS1_16block_id_wrapperIjLb1EEEEEvT_jbjPmPT0_T1_,comdat
.Lfunc_end1141:
	.size	_ZN7rocprim17ROCPRIM_400000_NS6detail25reduce_by_key_init_kernelINS1_19lookback_scan_stateINS0_5tupleIJjlEEELb1ELb0EEElNS1_16block_id_wrapperIjLb1EEEEEvT_jbjPmPT0_T1_, .Lfunc_end1141-_ZN7rocprim17ROCPRIM_400000_NS6detail25reduce_by_key_init_kernelINS1_19lookback_scan_stateINS0_5tupleIJjlEEELb1ELb0EEElNS1_16block_id_wrapperIjLb1EEEEEvT_jbjPmPT0_T1_
                                        ; -- End function
	.section	.AMDGPU.csdata,"",@progbits
; Kernel info:
; codeLenInByte = 536
; NumSgprs: 26
; NumVgprs: 7
; NumAgprs: 0
; TotalNumVgprs: 7
; ScratchSize: 0
; MemoryBound: 0
; FloatMode: 240
; IeeeMode: 1
; LDSByteSize: 0 bytes/workgroup (compile time only)
; SGPRBlocks: 3
; VGPRBlocks: 0
; NumSGPRsForWavesPerEU: 26
; NumVGPRsForWavesPerEU: 7
; AccumOffset: 8
; Occupancy: 8
; WaveLimiterHint : 0
; COMPUTE_PGM_RSRC2:SCRATCH_EN: 0
; COMPUTE_PGM_RSRC2:USER_SGPR: 6
; COMPUTE_PGM_RSRC2:TRAP_HANDLER: 0
; COMPUTE_PGM_RSRC2:TGID_X_EN: 1
; COMPUTE_PGM_RSRC2:TGID_Y_EN: 0
; COMPUTE_PGM_RSRC2:TGID_Z_EN: 0
; COMPUTE_PGM_RSRC2:TIDIG_COMP_CNT: 0
; COMPUTE_PGM_RSRC3_GFX90A:ACCUM_OFFSET: 1
; COMPUTE_PGM_RSRC3_GFX90A:TG_SPLIT: 0
	.section	.text._ZN7rocprim17ROCPRIM_400000_NS6detail17trampoline_kernelINS0_14default_configENS1_29reduce_by_key_config_selectorIllN6thrust23THRUST_200600_302600_NS4plusIlEEEEZZNS1_33reduce_by_key_impl_wrapped_configILNS1_25lookback_scan_determinismE0ES3_S9_NS6_18transform_iteratorI6div_opNS6_17counting_iteratorIlNS6_11use_defaultESF_SF_EESF_SF_EENSC_I6mod_opSG_SF_SF_EENS6_6detail15normal_iteratorINS6_10device_ptrIlEEEESO_PmS8_NS6_8equal_toIlEEEE10hipError_tPvRmT2_T3_mT4_T5_T6_T7_T8_P12ihipStream_tbENKUlT_T0_E_clISt17integral_constantIbLb1EES19_EEDaS14_S15_EUlS14_E_NS1_11comp_targetILNS1_3genE0ELNS1_11target_archE4294967295ELNS1_3gpuE0ELNS1_3repE0EEENS1_30default_config_static_selectorELNS0_4arch9wavefront6targetE1EEEvT1_,"axG",@progbits,_ZN7rocprim17ROCPRIM_400000_NS6detail17trampoline_kernelINS0_14default_configENS1_29reduce_by_key_config_selectorIllN6thrust23THRUST_200600_302600_NS4plusIlEEEEZZNS1_33reduce_by_key_impl_wrapped_configILNS1_25lookback_scan_determinismE0ES3_S9_NS6_18transform_iteratorI6div_opNS6_17counting_iteratorIlNS6_11use_defaultESF_SF_EESF_SF_EENSC_I6mod_opSG_SF_SF_EENS6_6detail15normal_iteratorINS6_10device_ptrIlEEEESO_PmS8_NS6_8equal_toIlEEEE10hipError_tPvRmT2_T3_mT4_T5_T6_T7_T8_P12ihipStream_tbENKUlT_T0_E_clISt17integral_constantIbLb1EES19_EEDaS14_S15_EUlS14_E_NS1_11comp_targetILNS1_3genE0ELNS1_11target_archE4294967295ELNS1_3gpuE0ELNS1_3repE0EEENS1_30default_config_static_selectorELNS0_4arch9wavefront6targetE1EEEvT1_,comdat
	.protected	_ZN7rocprim17ROCPRIM_400000_NS6detail17trampoline_kernelINS0_14default_configENS1_29reduce_by_key_config_selectorIllN6thrust23THRUST_200600_302600_NS4plusIlEEEEZZNS1_33reduce_by_key_impl_wrapped_configILNS1_25lookback_scan_determinismE0ES3_S9_NS6_18transform_iteratorI6div_opNS6_17counting_iteratorIlNS6_11use_defaultESF_SF_EESF_SF_EENSC_I6mod_opSG_SF_SF_EENS6_6detail15normal_iteratorINS6_10device_ptrIlEEEESO_PmS8_NS6_8equal_toIlEEEE10hipError_tPvRmT2_T3_mT4_T5_T6_T7_T8_P12ihipStream_tbENKUlT_T0_E_clISt17integral_constantIbLb1EES19_EEDaS14_S15_EUlS14_E_NS1_11comp_targetILNS1_3genE0ELNS1_11target_archE4294967295ELNS1_3gpuE0ELNS1_3repE0EEENS1_30default_config_static_selectorELNS0_4arch9wavefront6targetE1EEEvT1_ ; -- Begin function _ZN7rocprim17ROCPRIM_400000_NS6detail17trampoline_kernelINS0_14default_configENS1_29reduce_by_key_config_selectorIllN6thrust23THRUST_200600_302600_NS4plusIlEEEEZZNS1_33reduce_by_key_impl_wrapped_configILNS1_25lookback_scan_determinismE0ES3_S9_NS6_18transform_iteratorI6div_opNS6_17counting_iteratorIlNS6_11use_defaultESF_SF_EESF_SF_EENSC_I6mod_opSG_SF_SF_EENS6_6detail15normal_iteratorINS6_10device_ptrIlEEEESO_PmS8_NS6_8equal_toIlEEEE10hipError_tPvRmT2_T3_mT4_T5_T6_T7_T8_P12ihipStream_tbENKUlT_T0_E_clISt17integral_constantIbLb1EES19_EEDaS14_S15_EUlS14_E_NS1_11comp_targetILNS1_3genE0ELNS1_11target_archE4294967295ELNS1_3gpuE0ELNS1_3repE0EEENS1_30default_config_static_selectorELNS0_4arch9wavefront6targetE1EEEvT1_
	.globl	_ZN7rocprim17ROCPRIM_400000_NS6detail17trampoline_kernelINS0_14default_configENS1_29reduce_by_key_config_selectorIllN6thrust23THRUST_200600_302600_NS4plusIlEEEEZZNS1_33reduce_by_key_impl_wrapped_configILNS1_25lookback_scan_determinismE0ES3_S9_NS6_18transform_iteratorI6div_opNS6_17counting_iteratorIlNS6_11use_defaultESF_SF_EESF_SF_EENSC_I6mod_opSG_SF_SF_EENS6_6detail15normal_iteratorINS6_10device_ptrIlEEEESO_PmS8_NS6_8equal_toIlEEEE10hipError_tPvRmT2_T3_mT4_T5_T6_T7_T8_P12ihipStream_tbENKUlT_T0_E_clISt17integral_constantIbLb1EES19_EEDaS14_S15_EUlS14_E_NS1_11comp_targetILNS1_3genE0ELNS1_11target_archE4294967295ELNS1_3gpuE0ELNS1_3repE0EEENS1_30default_config_static_selectorELNS0_4arch9wavefront6targetE1EEEvT1_
	.p2align	8
	.type	_ZN7rocprim17ROCPRIM_400000_NS6detail17trampoline_kernelINS0_14default_configENS1_29reduce_by_key_config_selectorIllN6thrust23THRUST_200600_302600_NS4plusIlEEEEZZNS1_33reduce_by_key_impl_wrapped_configILNS1_25lookback_scan_determinismE0ES3_S9_NS6_18transform_iteratorI6div_opNS6_17counting_iteratorIlNS6_11use_defaultESF_SF_EESF_SF_EENSC_I6mod_opSG_SF_SF_EENS6_6detail15normal_iteratorINS6_10device_ptrIlEEEESO_PmS8_NS6_8equal_toIlEEEE10hipError_tPvRmT2_T3_mT4_T5_T6_T7_T8_P12ihipStream_tbENKUlT_T0_E_clISt17integral_constantIbLb1EES19_EEDaS14_S15_EUlS14_E_NS1_11comp_targetILNS1_3genE0ELNS1_11target_archE4294967295ELNS1_3gpuE0ELNS1_3repE0EEENS1_30default_config_static_selectorELNS0_4arch9wavefront6targetE1EEEvT1_,@function
_ZN7rocprim17ROCPRIM_400000_NS6detail17trampoline_kernelINS0_14default_configENS1_29reduce_by_key_config_selectorIllN6thrust23THRUST_200600_302600_NS4plusIlEEEEZZNS1_33reduce_by_key_impl_wrapped_configILNS1_25lookback_scan_determinismE0ES3_S9_NS6_18transform_iteratorI6div_opNS6_17counting_iteratorIlNS6_11use_defaultESF_SF_EESF_SF_EENSC_I6mod_opSG_SF_SF_EENS6_6detail15normal_iteratorINS6_10device_ptrIlEEEESO_PmS8_NS6_8equal_toIlEEEE10hipError_tPvRmT2_T3_mT4_T5_T6_T7_T8_P12ihipStream_tbENKUlT_T0_E_clISt17integral_constantIbLb1EES19_EEDaS14_S15_EUlS14_E_NS1_11comp_targetILNS1_3genE0ELNS1_11target_archE4294967295ELNS1_3gpuE0ELNS1_3repE0EEENS1_30default_config_static_selectorELNS0_4arch9wavefront6targetE1EEEvT1_: ; @_ZN7rocprim17ROCPRIM_400000_NS6detail17trampoline_kernelINS0_14default_configENS1_29reduce_by_key_config_selectorIllN6thrust23THRUST_200600_302600_NS4plusIlEEEEZZNS1_33reduce_by_key_impl_wrapped_configILNS1_25lookback_scan_determinismE0ES3_S9_NS6_18transform_iteratorI6div_opNS6_17counting_iteratorIlNS6_11use_defaultESF_SF_EESF_SF_EENSC_I6mod_opSG_SF_SF_EENS6_6detail15normal_iteratorINS6_10device_ptrIlEEEESO_PmS8_NS6_8equal_toIlEEEE10hipError_tPvRmT2_T3_mT4_T5_T6_T7_T8_P12ihipStream_tbENKUlT_T0_E_clISt17integral_constantIbLb1EES19_EEDaS14_S15_EUlS14_E_NS1_11comp_targetILNS1_3genE0ELNS1_11target_archE4294967295ELNS1_3gpuE0ELNS1_3repE0EEENS1_30default_config_static_selectorELNS0_4arch9wavefront6targetE1EEEvT1_
; %bb.0:
	.section	.rodata,"a",@progbits
	.p2align	6, 0x0
	.amdhsa_kernel _ZN7rocprim17ROCPRIM_400000_NS6detail17trampoline_kernelINS0_14default_configENS1_29reduce_by_key_config_selectorIllN6thrust23THRUST_200600_302600_NS4plusIlEEEEZZNS1_33reduce_by_key_impl_wrapped_configILNS1_25lookback_scan_determinismE0ES3_S9_NS6_18transform_iteratorI6div_opNS6_17counting_iteratorIlNS6_11use_defaultESF_SF_EESF_SF_EENSC_I6mod_opSG_SF_SF_EENS6_6detail15normal_iteratorINS6_10device_ptrIlEEEESO_PmS8_NS6_8equal_toIlEEEE10hipError_tPvRmT2_T3_mT4_T5_T6_T7_T8_P12ihipStream_tbENKUlT_T0_E_clISt17integral_constantIbLb1EES19_EEDaS14_S15_EUlS14_E_NS1_11comp_targetILNS1_3genE0ELNS1_11target_archE4294967295ELNS1_3gpuE0ELNS1_3repE0EEENS1_30default_config_static_selectorELNS0_4arch9wavefront6targetE1EEEvT1_
		.amdhsa_group_segment_fixed_size 0
		.amdhsa_private_segment_fixed_size 0
		.amdhsa_kernarg_size 152
		.amdhsa_user_sgpr_count 6
		.amdhsa_user_sgpr_private_segment_buffer 1
		.amdhsa_user_sgpr_dispatch_ptr 0
		.amdhsa_user_sgpr_queue_ptr 0
		.amdhsa_user_sgpr_kernarg_segment_ptr 1
		.amdhsa_user_sgpr_dispatch_id 0
		.amdhsa_user_sgpr_flat_scratch_init 0
		.amdhsa_user_sgpr_kernarg_preload_length 0
		.amdhsa_user_sgpr_kernarg_preload_offset 0
		.amdhsa_user_sgpr_private_segment_size 0
		.amdhsa_uses_dynamic_stack 0
		.amdhsa_system_sgpr_private_segment_wavefront_offset 0
		.amdhsa_system_sgpr_workgroup_id_x 1
		.amdhsa_system_sgpr_workgroup_id_y 0
		.amdhsa_system_sgpr_workgroup_id_z 0
		.amdhsa_system_sgpr_workgroup_info 0
		.amdhsa_system_vgpr_workitem_id 0
		.amdhsa_next_free_vgpr 1
		.amdhsa_next_free_sgpr 0
		.amdhsa_accum_offset 4
		.amdhsa_reserve_vcc 0
		.amdhsa_reserve_flat_scratch 0
		.amdhsa_float_round_mode_32 0
		.amdhsa_float_round_mode_16_64 0
		.amdhsa_float_denorm_mode_32 3
		.amdhsa_float_denorm_mode_16_64 3
		.amdhsa_dx10_clamp 1
		.amdhsa_ieee_mode 1
		.amdhsa_fp16_overflow 0
		.amdhsa_tg_split 0
		.amdhsa_exception_fp_ieee_invalid_op 0
		.amdhsa_exception_fp_denorm_src 0
		.amdhsa_exception_fp_ieee_div_zero 0
		.amdhsa_exception_fp_ieee_overflow 0
		.amdhsa_exception_fp_ieee_underflow 0
		.amdhsa_exception_fp_ieee_inexact 0
		.amdhsa_exception_int_div_zero 0
	.end_amdhsa_kernel
	.section	.text._ZN7rocprim17ROCPRIM_400000_NS6detail17trampoline_kernelINS0_14default_configENS1_29reduce_by_key_config_selectorIllN6thrust23THRUST_200600_302600_NS4plusIlEEEEZZNS1_33reduce_by_key_impl_wrapped_configILNS1_25lookback_scan_determinismE0ES3_S9_NS6_18transform_iteratorI6div_opNS6_17counting_iteratorIlNS6_11use_defaultESF_SF_EESF_SF_EENSC_I6mod_opSG_SF_SF_EENS6_6detail15normal_iteratorINS6_10device_ptrIlEEEESO_PmS8_NS6_8equal_toIlEEEE10hipError_tPvRmT2_T3_mT4_T5_T6_T7_T8_P12ihipStream_tbENKUlT_T0_E_clISt17integral_constantIbLb1EES19_EEDaS14_S15_EUlS14_E_NS1_11comp_targetILNS1_3genE0ELNS1_11target_archE4294967295ELNS1_3gpuE0ELNS1_3repE0EEENS1_30default_config_static_selectorELNS0_4arch9wavefront6targetE1EEEvT1_,"axG",@progbits,_ZN7rocprim17ROCPRIM_400000_NS6detail17trampoline_kernelINS0_14default_configENS1_29reduce_by_key_config_selectorIllN6thrust23THRUST_200600_302600_NS4plusIlEEEEZZNS1_33reduce_by_key_impl_wrapped_configILNS1_25lookback_scan_determinismE0ES3_S9_NS6_18transform_iteratorI6div_opNS6_17counting_iteratorIlNS6_11use_defaultESF_SF_EESF_SF_EENSC_I6mod_opSG_SF_SF_EENS6_6detail15normal_iteratorINS6_10device_ptrIlEEEESO_PmS8_NS6_8equal_toIlEEEE10hipError_tPvRmT2_T3_mT4_T5_T6_T7_T8_P12ihipStream_tbENKUlT_T0_E_clISt17integral_constantIbLb1EES19_EEDaS14_S15_EUlS14_E_NS1_11comp_targetILNS1_3genE0ELNS1_11target_archE4294967295ELNS1_3gpuE0ELNS1_3repE0EEENS1_30default_config_static_selectorELNS0_4arch9wavefront6targetE1EEEvT1_,comdat
.Lfunc_end1142:
	.size	_ZN7rocprim17ROCPRIM_400000_NS6detail17trampoline_kernelINS0_14default_configENS1_29reduce_by_key_config_selectorIllN6thrust23THRUST_200600_302600_NS4plusIlEEEEZZNS1_33reduce_by_key_impl_wrapped_configILNS1_25lookback_scan_determinismE0ES3_S9_NS6_18transform_iteratorI6div_opNS6_17counting_iteratorIlNS6_11use_defaultESF_SF_EESF_SF_EENSC_I6mod_opSG_SF_SF_EENS6_6detail15normal_iteratorINS6_10device_ptrIlEEEESO_PmS8_NS6_8equal_toIlEEEE10hipError_tPvRmT2_T3_mT4_T5_T6_T7_T8_P12ihipStream_tbENKUlT_T0_E_clISt17integral_constantIbLb1EES19_EEDaS14_S15_EUlS14_E_NS1_11comp_targetILNS1_3genE0ELNS1_11target_archE4294967295ELNS1_3gpuE0ELNS1_3repE0EEENS1_30default_config_static_selectorELNS0_4arch9wavefront6targetE1EEEvT1_, .Lfunc_end1142-_ZN7rocprim17ROCPRIM_400000_NS6detail17trampoline_kernelINS0_14default_configENS1_29reduce_by_key_config_selectorIllN6thrust23THRUST_200600_302600_NS4plusIlEEEEZZNS1_33reduce_by_key_impl_wrapped_configILNS1_25lookback_scan_determinismE0ES3_S9_NS6_18transform_iteratorI6div_opNS6_17counting_iteratorIlNS6_11use_defaultESF_SF_EESF_SF_EENSC_I6mod_opSG_SF_SF_EENS6_6detail15normal_iteratorINS6_10device_ptrIlEEEESO_PmS8_NS6_8equal_toIlEEEE10hipError_tPvRmT2_T3_mT4_T5_T6_T7_T8_P12ihipStream_tbENKUlT_T0_E_clISt17integral_constantIbLb1EES19_EEDaS14_S15_EUlS14_E_NS1_11comp_targetILNS1_3genE0ELNS1_11target_archE4294967295ELNS1_3gpuE0ELNS1_3repE0EEENS1_30default_config_static_selectorELNS0_4arch9wavefront6targetE1EEEvT1_
                                        ; -- End function
	.section	.AMDGPU.csdata,"",@progbits
; Kernel info:
; codeLenInByte = 0
; NumSgprs: 4
; NumVgprs: 0
; NumAgprs: 0
; TotalNumVgprs: 0
; ScratchSize: 0
; MemoryBound: 0
; FloatMode: 240
; IeeeMode: 1
; LDSByteSize: 0 bytes/workgroup (compile time only)
; SGPRBlocks: 0
; VGPRBlocks: 0
; NumSGPRsForWavesPerEU: 4
; NumVGPRsForWavesPerEU: 1
; AccumOffset: 4
; Occupancy: 8
; WaveLimiterHint : 0
; COMPUTE_PGM_RSRC2:SCRATCH_EN: 0
; COMPUTE_PGM_RSRC2:USER_SGPR: 6
; COMPUTE_PGM_RSRC2:TRAP_HANDLER: 0
; COMPUTE_PGM_RSRC2:TGID_X_EN: 1
; COMPUTE_PGM_RSRC2:TGID_Y_EN: 0
; COMPUTE_PGM_RSRC2:TGID_Z_EN: 0
; COMPUTE_PGM_RSRC2:TIDIG_COMP_CNT: 0
; COMPUTE_PGM_RSRC3_GFX90A:ACCUM_OFFSET: 0
; COMPUTE_PGM_RSRC3_GFX90A:TG_SPLIT: 0
	.section	.text._ZN7rocprim17ROCPRIM_400000_NS6detail17trampoline_kernelINS0_14default_configENS1_29reduce_by_key_config_selectorIllN6thrust23THRUST_200600_302600_NS4plusIlEEEEZZNS1_33reduce_by_key_impl_wrapped_configILNS1_25lookback_scan_determinismE0ES3_S9_NS6_18transform_iteratorI6div_opNS6_17counting_iteratorIlNS6_11use_defaultESF_SF_EESF_SF_EENSC_I6mod_opSG_SF_SF_EENS6_6detail15normal_iteratorINS6_10device_ptrIlEEEESO_PmS8_NS6_8equal_toIlEEEE10hipError_tPvRmT2_T3_mT4_T5_T6_T7_T8_P12ihipStream_tbENKUlT_T0_E_clISt17integral_constantIbLb1EES19_EEDaS14_S15_EUlS14_E_NS1_11comp_targetILNS1_3genE5ELNS1_11target_archE942ELNS1_3gpuE9ELNS1_3repE0EEENS1_30default_config_static_selectorELNS0_4arch9wavefront6targetE1EEEvT1_,"axG",@progbits,_ZN7rocprim17ROCPRIM_400000_NS6detail17trampoline_kernelINS0_14default_configENS1_29reduce_by_key_config_selectorIllN6thrust23THRUST_200600_302600_NS4plusIlEEEEZZNS1_33reduce_by_key_impl_wrapped_configILNS1_25lookback_scan_determinismE0ES3_S9_NS6_18transform_iteratorI6div_opNS6_17counting_iteratorIlNS6_11use_defaultESF_SF_EESF_SF_EENSC_I6mod_opSG_SF_SF_EENS6_6detail15normal_iteratorINS6_10device_ptrIlEEEESO_PmS8_NS6_8equal_toIlEEEE10hipError_tPvRmT2_T3_mT4_T5_T6_T7_T8_P12ihipStream_tbENKUlT_T0_E_clISt17integral_constantIbLb1EES19_EEDaS14_S15_EUlS14_E_NS1_11comp_targetILNS1_3genE5ELNS1_11target_archE942ELNS1_3gpuE9ELNS1_3repE0EEENS1_30default_config_static_selectorELNS0_4arch9wavefront6targetE1EEEvT1_,comdat
	.protected	_ZN7rocprim17ROCPRIM_400000_NS6detail17trampoline_kernelINS0_14default_configENS1_29reduce_by_key_config_selectorIllN6thrust23THRUST_200600_302600_NS4plusIlEEEEZZNS1_33reduce_by_key_impl_wrapped_configILNS1_25lookback_scan_determinismE0ES3_S9_NS6_18transform_iteratorI6div_opNS6_17counting_iteratorIlNS6_11use_defaultESF_SF_EESF_SF_EENSC_I6mod_opSG_SF_SF_EENS6_6detail15normal_iteratorINS6_10device_ptrIlEEEESO_PmS8_NS6_8equal_toIlEEEE10hipError_tPvRmT2_T3_mT4_T5_T6_T7_T8_P12ihipStream_tbENKUlT_T0_E_clISt17integral_constantIbLb1EES19_EEDaS14_S15_EUlS14_E_NS1_11comp_targetILNS1_3genE5ELNS1_11target_archE942ELNS1_3gpuE9ELNS1_3repE0EEENS1_30default_config_static_selectorELNS0_4arch9wavefront6targetE1EEEvT1_ ; -- Begin function _ZN7rocprim17ROCPRIM_400000_NS6detail17trampoline_kernelINS0_14default_configENS1_29reduce_by_key_config_selectorIllN6thrust23THRUST_200600_302600_NS4plusIlEEEEZZNS1_33reduce_by_key_impl_wrapped_configILNS1_25lookback_scan_determinismE0ES3_S9_NS6_18transform_iteratorI6div_opNS6_17counting_iteratorIlNS6_11use_defaultESF_SF_EESF_SF_EENSC_I6mod_opSG_SF_SF_EENS6_6detail15normal_iteratorINS6_10device_ptrIlEEEESO_PmS8_NS6_8equal_toIlEEEE10hipError_tPvRmT2_T3_mT4_T5_T6_T7_T8_P12ihipStream_tbENKUlT_T0_E_clISt17integral_constantIbLb1EES19_EEDaS14_S15_EUlS14_E_NS1_11comp_targetILNS1_3genE5ELNS1_11target_archE942ELNS1_3gpuE9ELNS1_3repE0EEENS1_30default_config_static_selectorELNS0_4arch9wavefront6targetE1EEEvT1_
	.globl	_ZN7rocprim17ROCPRIM_400000_NS6detail17trampoline_kernelINS0_14default_configENS1_29reduce_by_key_config_selectorIllN6thrust23THRUST_200600_302600_NS4plusIlEEEEZZNS1_33reduce_by_key_impl_wrapped_configILNS1_25lookback_scan_determinismE0ES3_S9_NS6_18transform_iteratorI6div_opNS6_17counting_iteratorIlNS6_11use_defaultESF_SF_EESF_SF_EENSC_I6mod_opSG_SF_SF_EENS6_6detail15normal_iteratorINS6_10device_ptrIlEEEESO_PmS8_NS6_8equal_toIlEEEE10hipError_tPvRmT2_T3_mT4_T5_T6_T7_T8_P12ihipStream_tbENKUlT_T0_E_clISt17integral_constantIbLb1EES19_EEDaS14_S15_EUlS14_E_NS1_11comp_targetILNS1_3genE5ELNS1_11target_archE942ELNS1_3gpuE9ELNS1_3repE0EEENS1_30default_config_static_selectorELNS0_4arch9wavefront6targetE1EEEvT1_
	.p2align	8
	.type	_ZN7rocprim17ROCPRIM_400000_NS6detail17trampoline_kernelINS0_14default_configENS1_29reduce_by_key_config_selectorIllN6thrust23THRUST_200600_302600_NS4plusIlEEEEZZNS1_33reduce_by_key_impl_wrapped_configILNS1_25lookback_scan_determinismE0ES3_S9_NS6_18transform_iteratorI6div_opNS6_17counting_iteratorIlNS6_11use_defaultESF_SF_EESF_SF_EENSC_I6mod_opSG_SF_SF_EENS6_6detail15normal_iteratorINS6_10device_ptrIlEEEESO_PmS8_NS6_8equal_toIlEEEE10hipError_tPvRmT2_T3_mT4_T5_T6_T7_T8_P12ihipStream_tbENKUlT_T0_E_clISt17integral_constantIbLb1EES19_EEDaS14_S15_EUlS14_E_NS1_11comp_targetILNS1_3genE5ELNS1_11target_archE942ELNS1_3gpuE9ELNS1_3repE0EEENS1_30default_config_static_selectorELNS0_4arch9wavefront6targetE1EEEvT1_,@function
_ZN7rocprim17ROCPRIM_400000_NS6detail17trampoline_kernelINS0_14default_configENS1_29reduce_by_key_config_selectorIllN6thrust23THRUST_200600_302600_NS4plusIlEEEEZZNS1_33reduce_by_key_impl_wrapped_configILNS1_25lookback_scan_determinismE0ES3_S9_NS6_18transform_iteratorI6div_opNS6_17counting_iteratorIlNS6_11use_defaultESF_SF_EESF_SF_EENSC_I6mod_opSG_SF_SF_EENS6_6detail15normal_iteratorINS6_10device_ptrIlEEEESO_PmS8_NS6_8equal_toIlEEEE10hipError_tPvRmT2_T3_mT4_T5_T6_T7_T8_P12ihipStream_tbENKUlT_T0_E_clISt17integral_constantIbLb1EES19_EEDaS14_S15_EUlS14_E_NS1_11comp_targetILNS1_3genE5ELNS1_11target_archE942ELNS1_3gpuE9ELNS1_3repE0EEENS1_30default_config_static_selectorELNS0_4arch9wavefront6targetE1EEEvT1_: ; @_ZN7rocprim17ROCPRIM_400000_NS6detail17trampoline_kernelINS0_14default_configENS1_29reduce_by_key_config_selectorIllN6thrust23THRUST_200600_302600_NS4plusIlEEEEZZNS1_33reduce_by_key_impl_wrapped_configILNS1_25lookback_scan_determinismE0ES3_S9_NS6_18transform_iteratorI6div_opNS6_17counting_iteratorIlNS6_11use_defaultESF_SF_EESF_SF_EENSC_I6mod_opSG_SF_SF_EENS6_6detail15normal_iteratorINS6_10device_ptrIlEEEESO_PmS8_NS6_8equal_toIlEEEE10hipError_tPvRmT2_T3_mT4_T5_T6_T7_T8_P12ihipStream_tbENKUlT_T0_E_clISt17integral_constantIbLb1EES19_EEDaS14_S15_EUlS14_E_NS1_11comp_targetILNS1_3genE5ELNS1_11target_archE942ELNS1_3gpuE9ELNS1_3repE0EEENS1_30default_config_static_selectorELNS0_4arch9wavefront6targetE1EEEvT1_
; %bb.0:
	.section	.rodata,"a",@progbits
	.p2align	6, 0x0
	.amdhsa_kernel _ZN7rocprim17ROCPRIM_400000_NS6detail17trampoline_kernelINS0_14default_configENS1_29reduce_by_key_config_selectorIllN6thrust23THRUST_200600_302600_NS4plusIlEEEEZZNS1_33reduce_by_key_impl_wrapped_configILNS1_25lookback_scan_determinismE0ES3_S9_NS6_18transform_iteratorI6div_opNS6_17counting_iteratorIlNS6_11use_defaultESF_SF_EESF_SF_EENSC_I6mod_opSG_SF_SF_EENS6_6detail15normal_iteratorINS6_10device_ptrIlEEEESO_PmS8_NS6_8equal_toIlEEEE10hipError_tPvRmT2_T3_mT4_T5_T6_T7_T8_P12ihipStream_tbENKUlT_T0_E_clISt17integral_constantIbLb1EES19_EEDaS14_S15_EUlS14_E_NS1_11comp_targetILNS1_3genE5ELNS1_11target_archE942ELNS1_3gpuE9ELNS1_3repE0EEENS1_30default_config_static_selectorELNS0_4arch9wavefront6targetE1EEEvT1_
		.amdhsa_group_segment_fixed_size 0
		.amdhsa_private_segment_fixed_size 0
		.amdhsa_kernarg_size 152
		.amdhsa_user_sgpr_count 6
		.amdhsa_user_sgpr_private_segment_buffer 1
		.amdhsa_user_sgpr_dispatch_ptr 0
		.amdhsa_user_sgpr_queue_ptr 0
		.amdhsa_user_sgpr_kernarg_segment_ptr 1
		.amdhsa_user_sgpr_dispatch_id 0
		.amdhsa_user_sgpr_flat_scratch_init 0
		.amdhsa_user_sgpr_kernarg_preload_length 0
		.amdhsa_user_sgpr_kernarg_preload_offset 0
		.amdhsa_user_sgpr_private_segment_size 0
		.amdhsa_uses_dynamic_stack 0
		.amdhsa_system_sgpr_private_segment_wavefront_offset 0
		.amdhsa_system_sgpr_workgroup_id_x 1
		.amdhsa_system_sgpr_workgroup_id_y 0
		.amdhsa_system_sgpr_workgroup_id_z 0
		.amdhsa_system_sgpr_workgroup_info 0
		.amdhsa_system_vgpr_workitem_id 0
		.amdhsa_next_free_vgpr 1
		.amdhsa_next_free_sgpr 0
		.amdhsa_accum_offset 4
		.amdhsa_reserve_vcc 0
		.amdhsa_reserve_flat_scratch 0
		.amdhsa_float_round_mode_32 0
		.amdhsa_float_round_mode_16_64 0
		.amdhsa_float_denorm_mode_32 3
		.amdhsa_float_denorm_mode_16_64 3
		.amdhsa_dx10_clamp 1
		.amdhsa_ieee_mode 1
		.amdhsa_fp16_overflow 0
		.amdhsa_tg_split 0
		.amdhsa_exception_fp_ieee_invalid_op 0
		.amdhsa_exception_fp_denorm_src 0
		.amdhsa_exception_fp_ieee_div_zero 0
		.amdhsa_exception_fp_ieee_overflow 0
		.amdhsa_exception_fp_ieee_underflow 0
		.amdhsa_exception_fp_ieee_inexact 0
		.amdhsa_exception_int_div_zero 0
	.end_amdhsa_kernel
	.section	.text._ZN7rocprim17ROCPRIM_400000_NS6detail17trampoline_kernelINS0_14default_configENS1_29reduce_by_key_config_selectorIllN6thrust23THRUST_200600_302600_NS4plusIlEEEEZZNS1_33reduce_by_key_impl_wrapped_configILNS1_25lookback_scan_determinismE0ES3_S9_NS6_18transform_iteratorI6div_opNS6_17counting_iteratorIlNS6_11use_defaultESF_SF_EESF_SF_EENSC_I6mod_opSG_SF_SF_EENS6_6detail15normal_iteratorINS6_10device_ptrIlEEEESO_PmS8_NS6_8equal_toIlEEEE10hipError_tPvRmT2_T3_mT4_T5_T6_T7_T8_P12ihipStream_tbENKUlT_T0_E_clISt17integral_constantIbLb1EES19_EEDaS14_S15_EUlS14_E_NS1_11comp_targetILNS1_3genE5ELNS1_11target_archE942ELNS1_3gpuE9ELNS1_3repE0EEENS1_30default_config_static_selectorELNS0_4arch9wavefront6targetE1EEEvT1_,"axG",@progbits,_ZN7rocprim17ROCPRIM_400000_NS6detail17trampoline_kernelINS0_14default_configENS1_29reduce_by_key_config_selectorIllN6thrust23THRUST_200600_302600_NS4plusIlEEEEZZNS1_33reduce_by_key_impl_wrapped_configILNS1_25lookback_scan_determinismE0ES3_S9_NS6_18transform_iteratorI6div_opNS6_17counting_iteratorIlNS6_11use_defaultESF_SF_EESF_SF_EENSC_I6mod_opSG_SF_SF_EENS6_6detail15normal_iteratorINS6_10device_ptrIlEEEESO_PmS8_NS6_8equal_toIlEEEE10hipError_tPvRmT2_T3_mT4_T5_T6_T7_T8_P12ihipStream_tbENKUlT_T0_E_clISt17integral_constantIbLb1EES19_EEDaS14_S15_EUlS14_E_NS1_11comp_targetILNS1_3genE5ELNS1_11target_archE942ELNS1_3gpuE9ELNS1_3repE0EEENS1_30default_config_static_selectorELNS0_4arch9wavefront6targetE1EEEvT1_,comdat
.Lfunc_end1143:
	.size	_ZN7rocprim17ROCPRIM_400000_NS6detail17trampoline_kernelINS0_14default_configENS1_29reduce_by_key_config_selectorIllN6thrust23THRUST_200600_302600_NS4plusIlEEEEZZNS1_33reduce_by_key_impl_wrapped_configILNS1_25lookback_scan_determinismE0ES3_S9_NS6_18transform_iteratorI6div_opNS6_17counting_iteratorIlNS6_11use_defaultESF_SF_EESF_SF_EENSC_I6mod_opSG_SF_SF_EENS6_6detail15normal_iteratorINS6_10device_ptrIlEEEESO_PmS8_NS6_8equal_toIlEEEE10hipError_tPvRmT2_T3_mT4_T5_T6_T7_T8_P12ihipStream_tbENKUlT_T0_E_clISt17integral_constantIbLb1EES19_EEDaS14_S15_EUlS14_E_NS1_11comp_targetILNS1_3genE5ELNS1_11target_archE942ELNS1_3gpuE9ELNS1_3repE0EEENS1_30default_config_static_selectorELNS0_4arch9wavefront6targetE1EEEvT1_, .Lfunc_end1143-_ZN7rocprim17ROCPRIM_400000_NS6detail17trampoline_kernelINS0_14default_configENS1_29reduce_by_key_config_selectorIllN6thrust23THRUST_200600_302600_NS4plusIlEEEEZZNS1_33reduce_by_key_impl_wrapped_configILNS1_25lookback_scan_determinismE0ES3_S9_NS6_18transform_iteratorI6div_opNS6_17counting_iteratorIlNS6_11use_defaultESF_SF_EESF_SF_EENSC_I6mod_opSG_SF_SF_EENS6_6detail15normal_iteratorINS6_10device_ptrIlEEEESO_PmS8_NS6_8equal_toIlEEEE10hipError_tPvRmT2_T3_mT4_T5_T6_T7_T8_P12ihipStream_tbENKUlT_T0_E_clISt17integral_constantIbLb1EES19_EEDaS14_S15_EUlS14_E_NS1_11comp_targetILNS1_3genE5ELNS1_11target_archE942ELNS1_3gpuE9ELNS1_3repE0EEENS1_30default_config_static_selectorELNS0_4arch9wavefront6targetE1EEEvT1_
                                        ; -- End function
	.section	.AMDGPU.csdata,"",@progbits
; Kernel info:
; codeLenInByte = 0
; NumSgprs: 4
; NumVgprs: 0
; NumAgprs: 0
; TotalNumVgprs: 0
; ScratchSize: 0
; MemoryBound: 0
; FloatMode: 240
; IeeeMode: 1
; LDSByteSize: 0 bytes/workgroup (compile time only)
; SGPRBlocks: 0
; VGPRBlocks: 0
; NumSGPRsForWavesPerEU: 4
; NumVGPRsForWavesPerEU: 1
; AccumOffset: 4
; Occupancy: 8
; WaveLimiterHint : 0
; COMPUTE_PGM_RSRC2:SCRATCH_EN: 0
; COMPUTE_PGM_RSRC2:USER_SGPR: 6
; COMPUTE_PGM_RSRC2:TRAP_HANDLER: 0
; COMPUTE_PGM_RSRC2:TGID_X_EN: 1
; COMPUTE_PGM_RSRC2:TGID_Y_EN: 0
; COMPUTE_PGM_RSRC2:TGID_Z_EN: 0
; COMPUTE_PGM_RSRC2:TIDIG_COMP_CNT: 0
; COMPUTE_PGM_RSRC3_GFX90A:ACCUM_OFFSET: 0
; COMPUTE_PGM_RSRC3_GFX90A:TG_SPLIT: 0
	.section	.text._ZN7rocprim17ROCPRIM_400000_NS6detail17trampoline_kernelINS0_14default_configENS1_29reduce_by_key_config_selectorIllN6thrust23THRUST_200600_302600_NS4plusIlEEEEZZNS1_33reduce_by_key_impl_wrapped_configILNS1_25lookback_scan_determinismE0ES3_S9_NS6_18transform_iteratorI6div_opNS6_17counting_iteratorIlNS6_11use_defaultESF_SF_EESF_SF_EENSC_I6mod_opSG_SF_SF_EENS6_6detail15normal_iteratorINS6_10device_ptrIlEEEESO_PmS8_NS6_8equal_toIlEEEE10hipError_tPvRmT2_T3_mT4_T5_T6_T7_T8_P12ihipStream_tbENKUlT_T0_E_clISt17integral_constantIbLb1EES19_EEDaS14_S15_EUlS14_E_NS1_11comp_targetILNS1_3genE4ELNS1_11target_archE910ELNS1_3gpuE8ELNS1_3repE0EEENS1_30default_config_static_selectorELNS0_4arch9wavefront6targetE1EEEvT1_,"axG",@progbits,_ZN7rocprim17ROCPRIM_400000_NS6detail17trampoline_kernelINS0_14default_configENS1_29reduce_by_key_config_selectorIllN6thrust23THRUST_200600_302600_NS4plusIlEEEEZZNS1_33reduce_by_key_impl_wrapped_configILNS1_25lookback_scan_determinismE0ES3_S9_NS6_18transform_iteratorI6div_opNS6_17counting_iteratorIlNS6_11use_defaultESF_SF_EESF_SF_EENSC_I6mod_opSG_SF_SF_EENS6_6detail15normal_iteratorINS6_10device_ptrIlEEEESO_PmS8_NS6_8equal_toIlEEEE10hipError_tPvRmT2_T3_mT4_T5_T6_T7_T8_P12ihipStream_tbENKUlT_T0_E_clISt17integral_constantIbLb1EES19_EEDaS14_S15_EUlS14_E_NS1_11comp_targetILNS1_3genE4ELNS1_11target_archE910ELNS1_3gpuE8ELNS1_3repE0EEENS1_30default_config_static_selectorELNS0_4arch9wavefront6targetE1EEEvT1_,comdat
	.protected	_ZN7rocprim17ROCPRIM_400000_NS6detail17trampoline_kernelINS0_14default_configENS1_29reduce_by_key_config_selectorIllN6thrust23THRUST_200600_302600_NS4plusIlEEEEZZNS1_33reduce_by_key_impl_wrapped_configILNS1_25lookback_scan_determinismE0ES3_S9_NS6_18transform_iteratorI6div_opNS6_17counting_iteratorIlNS6_11use_defaultESF_SF_EESF_SF_EENSC_I6mod_opSG_SF_SF_EENS6_6detail15normal_iteratorINS6_10device_ptrIlEEEESO_PmS8_NS6_8equal_toIlEEEE10hipError_tPvRmT2_T3_mT4_T5_T6_T7_T8_P12ihipStream_tbENKUlT_T0_E_clISt17integral_constantIbLb1EES19_EEDaS14_S15_EUlS14_E_NS1_11comp_targetILNS1_3genE4ELNS1_11target_archE910ELNS1_3gpuE8ELNS1_3repE0EEENS1_30default_config_static_selectorELNS0_4arch9wavefront6targetE1EEEvT1_ ; -- Begin function _ZN7rocprim17ROCPRIM_400000_NS6detail17trampoline_kernelINS0_14default_configENS1_29reduce_by_key_config_selectorIllN6thrust23THRUST_200600_302600_NS4plusIlEEEEZZNS1_33reduce_by_key_impl_wrapped_configILNS1_25lookback_scan_determinismE0ES3_S9_NS6_18transform_iteratorI6div_opNS6_17counting_iteratorIlNS6_11use_defaultESF_SF_EESF_SF_EENSC_I6mod_opSG_SF_SF_EENS6_6detail15normal_iteratorINS6_10device_ptrIlEEEESO_PmS8_NS6_8equal_toIlEEEE10hipError_tPvRmT2_T3_mT4_T5_T6_T7_T8_P12ihipStream_tbENKUlT_T0_E_clISt17integral_constantIbLb1EES19_EEDaS14_S15_EUlS14_E_NS1_11comp_targetILNS1_3genE4ELNS1_11target_archE910ELNS1_3gpuE8ELNS1_3repE0EEENS1_30default_config_static_selectorELNS0_4arch9wavefront6targetE1EEEvT1_
	.globl	_ZN7rocprim17ROCPRIM_400000_NS6detail17trampoline_kernelINS0_14default_configENS1_29reduce_by_key_config_selectorIllN6thrust23THRUST_200600_302600_NS4plusIlEEEEZZNS1_33reduce_by_key_impl_wrapped_configILNS1_25lookback_scan_determinismE0ES3_S9_NS6_18transform_iteratorI6div_opNS6_17counting_iteratorIlNS6_11use_defaultESF_SF_EESF_SF_EENSC_I6mod_opSG_SF_SF_EENS6_6detail15normal_iteratorINS6_10device_ptrIlEEEESO_PmS8_NS6_8equal_toIlEEEE10hipError_tPvRmT2_T3_mT4_T5_T6_T7_T8_P12ihipStream_tbENKUlT_T0_E_clISt17integral_constantIbLb1EES19_EEDaS14_S15_EUlS14_E_NS1_11comp_targetILNS1_3genE4ELNS1_11target_archE910ELNS1_3gpuE8ELNS1_3repE0EEENS1_30default_config_static_selectorELNS0_4arch9wavefront6targetE1EEEvT1_
	.p2align	8
	.type	_ZN7rocprim17ROCPRIM_400000_NS6detail17trampoline_kernelINS0_14default_configENS1_29reduce_by_key_config_selectorIllN6thrust23THRUST_200600_302600_NS4plusIlEEEEZZNS1_33reduce_by_key_impl_wrapped_configILNS1_25lookback_scan_determinismE0ES3_S9_NS6_18transform_iteratorI6div_opNS6_17counting_iteratorIlNS6_11use_defaultESF_SF_EESF_SF_EENSC_I6mod_opSG_SF_SF_EENS6_6detail15normal_iteratorINS6_10device_ptrIlEEEESO_PmS8_NS6_8equal_toIlEEEE10hipError_tPvRmT2_T3_mT4_T5_T6_T7_T8_P12ihipStream_tbENKUlT_T0_E_clISt17integral_constantIbLb1EES19_EEDaS14_S15_EUlS14_E_NS1_11comp_targetILNS1_3genE4ELNS1_11target_archE910ELNS1_3gpuE8ELNS1_3repE0EEENS1_30default_config_static_selectorELNS0_4arch9wavefront6targetE1EEEvT1_,@function
_ZN7rocprim17ROCPRIM_400000_NS6detail17trampoline_kernelINS0_14default_configENS1_29reduce_by_key_config_selectorIllN6thrust23THRUST_200600_302600_NS4plusIlEEEEZZNS1_33reduce_by_key_impl_wrapped_configILNS1_25lookback_scan_determinismE0ES3_S9_NS6_18transform_iteratorI6div_opNS6_17counting_iteratorIlNS6_11use_defaultESF_SF_EESF_SF_EENSC_I6mod_opSG_SF_SF_EENS6_6detail15normal_iteratorINS6_10device_ptrIlEEEESO_PmS8_NS6_8equal_toIlEEEE10hipError_tPvRmT2_T3_mT4_T5_T6_T7_T8_P12ihipStream_tbENKUlT_T0_E_clISt17integral_constantIbLb1EES19_EEDaS14_S15_EUlS14_E_NS1_11comp_targetILNS1_3genE4ELNS1_11target_archE910ELNS1_3gpuE8ELNS1_3repE0EEENS1_30default_config_static_selectorELNS0_4arch9wavefront6targetE1EEEvT1_: ; @_ZN7rocprim17ROCPRIM_400000_NS6detail17trampoline_kernelINS0_14default_configENS1_29reduce_by_key_config_selectorIllN6thrust23THRUST_200600_302600_NS4plusIlEEEEZZNS1_33reduce_by_key_impl_wrapped_configILNS1_25lookback_scan_determinismE0ES3_S9_NS6_18transform_iteratorI6div_opNS6_17counting_iteratorIlNS6_11use_defaultESF_SF_EESF_SF_EENSC_I6mod_opSG_SF_SF_EENS6_6detail15normal_iteratorINS6_10device_ptrIlEEEESO_PmS8_NS6_8equal_toIlEEEE10hipError_tPvRmT2_T3_mT4_T5_T6_T7_T8_P12ihipStream_tbENKUlT_T0_E_clISt17integral_constantIbLb1EES19_EEDaS14_S15_EUlS14_E_NS1_11comp_targetILNS1_3genE4ELNS1_11target_archE910ELNS1_3gpuE8ELNS1_3repE0EEENS1_30default_config_static_selectorELNS0_4arch9wavefront6targetE1EEEvT1_
; %bb.0:
	s_load_dwordx2 s[68:69], s[4:5], 0x88
	v_cmp_ne_u32_e64 s[2:3], 0, v0
	v_cmp_eq_u32_e64 s[0:1], 0, v0
	s_and_saveexec_b64 s[6:7], s[0:1]
	s_cbranch_execz .LBB1144_4
; %bb.1:
	s_mov_b64 s[10:11], exec
	v_mbcnt_lo_u32_b32 v1, s10, 0
	v_mbcnt_hi_u32_b32 v1, s11, v1
	v_cmp_eq_u32_e32 vcc, 0, v1
                                        ; implicit-def: $vgpr2
	s_and_saveexec_b64 s[8:9], vcc
	s_cbranch_execz .LBB1144_3
; %bb.2:
	s_load_dwordx2 s[12:13], s[4:5], 0x90
	s_bcnt1_i32_b64 s10, s[10:11]
	v_mov_b32_e32 v2, 0
	v_mov_b32_e32 v3, s10
	s_waitcnt lgkmcnt(0)
	global_atomic_add v2, v2, v3, s[12:13] glc
.LBB1144_3:
	s_or_b64 exec, exec, s[8:9]
	s_waitcnt vmcnt(0)
	v_readfirstlane_b32 s8, v2
	v_add_u32_e32 v1, s8, v1
	v_mov_b32_e32 v2, 0
	ds_write_b32 v2, v1
.LBB1144_4:
	s_or_b64 exec, exec, s[6:7]
	s_load_dwordx16 s[36:51], s[4:5], 0x0
	s_load_dwordx16 s[52:67], s[4:5], 0x48
	v_mov_b32_e32 v2, 0
	s_waitcnt lgkmcnt(0)
	s_barrier
	ds_read_b32 v1, v2
	s_add_u32 s4, s40, s36
	s_addc_u32 s5, s41, s37
	s_add_u32 s6, s42, s40
	s_mul_i32 s8, s60, s59
	s_mul_hi_u32 s9, s60, s58
	s_addc_u32 s7, s43, s41
	s_add_i32 s8, s9, s8
	s_mul_i32 s9, s61, s58
	s_waitcnt lgkmcnt(0)
	v_readfirstlane_b32 s33, v1
	s_add_i32 s8, s8, s9
	s_mul_i32 s10, s33, 0xf00
	s_add_u32 s76, s4, s10
	s_addc_u32 s77, s5, 0
	s_add_u32 s78, s6, s10
	s_mul_i32 s9, s60, s58
	s_addc_u32 s79, s7, 0
	s_add_u32 s42, s9, s33
	s_addc_u32 s43, s8, 0
	s_add_u32 s6, s62, -1
	s_addc_u32 s7, s63, -1
	s_cmp_eq_u64 s[42:43], s[6:7]
	s_cselect_b64 s[40:41], -1, 0
	s_cmp_lg_u64 s[42:43], s[6:7]
	s_mov_b64 s[4:5], -1
	s_cselect_b64 s[60:61], -1, 0
	s_mul_i32 s80, s6, 0xfffff100
	s_and_b64 vcc, exec, s[40:41]
	s_barrier
	s_cbranch_vccnz .LBB1144_126
; %bb.5:
	v_mov_b32_e32 v1, s77
	v_add_co_u32_e32 v30, vcc, s76, v0
	v_addc_co_u32_e32 v1, vcc, 0, v1, vcc
	v_or_b32_e32 v3, s39, v1
	v_cmp_ne_u64_e32 vcc, 0, v[2:3]
                                        ; implicit-def: $vgpr2_vgpr3
	s_and_saveexec_b64 s[4:5], vcc
	s_xor_b64 s[6:7], exec, s[4:5]
	s_cbranch_execz .LBB1144_7
; %bb.6:
	s_ashr_i32 s8, s39, 31
	s_add_u32 s4, s38, s8
	s_mov_b32 s9, s8
	s_addc_u32 s5, s39, s8
	s_xor_b64 s[10:11], s[4:5], s[8:9]
	v_cvt_f32_u32_e32 v2, s10
	v_cvt_f32_u32_e32 v3, s11
	s_sub_u32 s4, 0, s10
	s_subb_u32 s5, 0, s11
	v_madmk_f32 v2, v3, 0x4f800000, v2
	v_rcp_f32_e32 v2, v2
	v_mul_f32_e32 v2, 0x5f7ffffc, v2
	v_mul_f32_e32 v3, 0x2f800000, v2
	v_trunc_f32_e32 v3, v3
	v_madmk_f32 v2, v3, 0xcf800000, v2
	v_cvt_u32_f32_e32 v3, v3
	v_cvt_u32_f32_e32 v2, v2
	v_mul_lo_u32 v4, s4, v3
	v_mul_hi_u32 v6, s4, v2
	v_mul_lo_u32 v5, s5, v2
	v_add_u32_e32 v4, v6, v4
	v_mul_lo_u32 v7, s4, v2
	v_add_u32_e32 v4, v4, v5
	v_mul_lo_u32 v6, v2, v4
	v_mul_hi_u32 v8, v2, v7
	v_mul_hi_u32 v5, v2, v4
	v_add_co_u32_e32 v6, vcc, v8, v6
	v_addc_co_u32_e32 v5, vcc, 0, v5, vcc
	v_mul_hi_u32 v9, v3, v7
	v_mul_lo_u32 v7, v3, v7
	v_add_co_u32_e32 v6, vcc, v6, v7
	v_mul_hi_u32 v8, v3, v4
	v_addc_co_u32_e32 v5, vcc, v5, v9, vcc
	v_addc_co_u32_e32 v6, vcc, 0, v8, vcc
	v_mul_lo_u32 v4, v3, v4
	v_add_co_u32_e32 v4, vcc, v5, v4
	v_addc_co_u32_e32 v5, vcc, 0, v6, vcc
	v_add_co_u32_e32 v2, vcc, v2, v4
	v_addc_co_u32_e32 v3, vcc, v3, v5, vcc
	v_mul_lo_u32 v4, s4, v3
	v_mul_hi_u32 v5, s4, v2
	v_add_u32_e32 v4, v5, v4
	v_mul_lo_u32 v5, s5, v2
	v_add_u32_e32 v4, v4, v5
	v_mul_lo_u32 v6, s4, v2
	v_mul_hi_u32 v7, v3, v6
	v_mul_lo_u32 v8, v3, v6
	v_mul_lo_u32 v10, v2, v4
	v_mul_hi_u32 v6, v2, v6
	v_mul_hi_u32 v9, v2, v4
	v_add_co_u32_e32 v6, vcc, v6, v10
	v_addc_co_u32_e32 v9, vcc, 0, v9, vcc
	v_add_co_u32_e32 v6, vcc, v6, v8
	v_mul_hi_u32 v5, v3, v4
	v_addc_co_u32_e32 v6, vcc, v9, v7, vcc
	v_addc_co_u32_e32 v5, vcc, 0, v5, vcc
	v_mul_lo_u32 v4, v3, v4
	v_add_co_u32_e32 v4, vcc, v6, v4
	v_addc_co_u32_e32 v5, vcc, 0, v5, vcc
	v_add_co_u32_e32 v4, vcc, v2, v4
	v_addc_co_u32_e32 v5, vcc, v3, v5, vcc
	v_ashrrev_i32_e32 v6, 31, v1
	v_add_co_u32_e32 v2, vcc, v30, v6
	v_addc_co_u32_e32 v3, vcc, v1, v6, vcc
	v_xor_b32_e32 v8, v2, v6
	v_xor_b32_e32 v7, v3, v6
	v_mad_u64_u32 v[2:3], s[4:5], v8, v5, 0
	v_mul_hi_u32 v9, v8, v4
	v_add_co_u32_e32 v9, vcc, v9, v2
	v_addc_co_u32_e32 v10, vcc, 0, v3, vcc
	v_mad_u64_u32 v[2:3], s[4:5], v7, v5, 0
	v_mad_u64_u32 v[4:5], s[4:5], v7, v4, 0
	v_add_co_u32_e32 v4, vcc, v9, v4
	v_addc_co_u32_e32 v4, vcc, v10, v5, vcc
	v_addc_co_u32_e32 v3, vcc, 0, v3, vcc
	v_add_co_u32_e32 v4, vcc, v4, v2
	v_addc_co_u32_e32 v5, vcc, 0, v3, vcc
	v_mul_lo_u32 v9, s11, v4
	v_mul_lo_u32 v10, s10, v5
	v_mad_u64_u32 v[2:3], s[4:5], s10, v4, 0
	v_add3_u32 v3, v3, v10, v9
	v_sub_u32_e32 v9, v7, v3
	v_mov_b32_e32 v10, s11
	v_sub_co_u32_e32 v2, vcc, v8, v2
	v_subb_co_u32_e64 v8, s[4:5], v9, v10, vcc
	v_subrev_co_u32_e64 v9, s[4:5], s10, v2
	v_subbrev_co_u32_e64 v8, s[4:5], 0, v8, s[4:5]
	v_cmp_le_u32_e64 s[4:5], s11, v8
	v_cndmask_b32_e64 v10, 0, -1, s[4:5]
	v_cmp_le_u32_e64 s[4:5], s10, v9
	v_cndmask_b32_e64 v9, 0, -1, s[4:5]
	v_cmp_eq_u32_e64 s[4:5], s11, v8
	v_cndmask_b32_e64 v8, v10, v9, s[4:5]
	v_add_co_u32_e64 v9, s[4:5], 2, v4
	v_subb_co_u32_e32 v3, vcc, v7, v3, vcc
	v_addc_co_u32_e64 v10, s[4:5], 0, v5, s[4:5]
	v_cmp_le_u32_e32 vcc, s11, v3
	v_add_co_u32_e64 v11, s[4:5], 1, v4
	v_cndmask_b32_e64 v7, 0, -1, vcc
	v_cmp_le_u32_e32 vcc, s10, v2
	v_addc_co_u32_e64 v12, s[4:5], 0, v5, s[4:5]
	v_cndmask_b32_e64 v2, 0, -1, vcc
	v_cmp_eq_u32_e32 vcc, s11, v3
	v_cmp_ne_u32_e64 s[4:5], 0, v8
	v_cndmask_b32_e32 v2, v7, v2, vcc
	v_cndmask_b32_e64 v8, v12, v10, s[4:5]
	v_cmp_ne_u32_e32 vcc, 0, v2
	v_cndmask_b32_e64 v3, v11, v9, s[4:5]
	v_cndmask_b32_e32 v2, v5, v8, vcc
	v_cndmask_b32_e32 v3, v4, v3, vcc
	v_xor_b32_e32 v4, s8, v6
	v_xor_b32_e32 v5, v2, v4
	;; [unrolled: 1-line block ×3, first 2 shown]
	v_sub_co_u32_e32 v2, vcc, v2, v4
	v_subb_co_u32_e32 v3, vcc, v5, v4, vcc
.LBB1144_7:
	s_andn2_saveexec_b64 s[4:5], s[6:7]
	s_cbranch_execz .LBB1144_9
; %bb.8:
	v_cvt_f32_u32_e32 v2, s38
	s_sub_i32 s6, 0, s38
	v_rcp_iflag_f32_e32 v2, v2
	v_mul_f32_e32 v2, 0x4f7ffffe, v2
	v_cvt_u32_f32_e32 v2, v2
	v_mul_lo_u32 v3, s6, v2
	v_mul_hi_u32 v3, v2, v3
	v_add_u32_e32 v2, v2, v3
	v_mul_hi_u32 v2, v30, v2
	v_mul_lo_u32 v3, v2, s38
	v_sub_u32_e32 v3, v30, v3
	v_add_u32_e32 v4, 1, v2
	v_subrev_u32_e32 v5, s38, v3
	v_cmp_le_u32_e32 vcc, s38, v3
	v_cndmask_b32_e32 v3, v3, v5, vcc
	v_cndmask_b32_e32 v2, v2, v4, vcc
	v_add_u32_e32 v4, 1, v2
	v_cmp_le_u32_e32 vcc, s38, v3
	v_cndmask_b32_e32 v2, v2, v4, vcc
	v_mov_b32_e32 v3, 0
.LBB1144_9:
	s_or_b64 exec, exec, s[4:5]
	v_add_co_u32_e32 v6, vcc, 0x100, v30
	v_addc_co_u32_e32 v7, vcc, 0, v1, vcc
	v_or_b32_e32 v5, s39, v7
	v_mov_b32_e32 v4, 0
	v_cmp_ne_u64_e32 vcc, 0, v[4:5]
                                        ; implicit-def: $vgpr4_vgpr5
	s_and_saveexec_b64 s[4:5], vcc
	s_xor_b64 s[6:7], exec, s[4:5]
	s_cbranch_execz .LBB1144_11
; %bb.10:
	s_ashr_i32 s8, s39, 31
	s_add_u32 s4, s38, s8
	s_mov_b32 s9, s8
	s_addc_u32 s5, s39, s8
	s_xor_b64 s[10:11], s[4:5], s[8:9]
	v_cvt_f32_u32_e32 v4, s10
	v_cvt_f32_u32_e32 v5, s11
	s_sub_u32 s4, 0, s10
	s_subb_u32 s5, 0, s11
	v_madmk_f32 v4, v5, 0x4f800000, v4
	v_rcp_f32_e32 v4, v4
	v_mul_f32_e32 v4, 0x5f7ffffc, v4
	v_mul_f32_e32 v5, 0x2f800000, v4
	v_trunc_f32_e32 v5, v5
	v_madmk_f32 v4, v5, 0xcf800000, v4
	v_cvt_u32_f32_e32 v5, v5
	v_cvt_u32_f32_e32 v4, v4
	v_mul_lo_u32 v8, s4, v5
	v_mul_hi_u32 v10, s4, v4
	v_mul_lo_u32 v9, s5, v4
	v_add_u32_e32 v8, v10, v8
	v_mul_lo_u32 v11, s4, v4
	v_add_u32_e32 v8, v8, v9
	v_mul_lo_u32 v10, v4, v8
	v_mul_hi_u32 v12, v4, v11
	v_mul_hi_u32 v9, v4, v8
	v_add_co_u32_e32 v10, vcc, v12, v10
	v_addc_co_u32_e32 v9, vcc, 0, v9, vcc
	v_mul_hi_u32 v13, v5, v11
	v_mul_lo_u32 v11, v5, v11
	v_add_co_u32_e32 v10, vcc, v10, v11
	v_mul_hi_u32 v12, v5, v8
	v_addc_co_u32_e32 v9, vcc, v9, v13, vcc
	v_addc_co_u32_e32 v10, vcc, 0, v12, vcc
	v_mul_lo_u32 v8, v5, v8
	v_add_co_u32_e32 v8, vcc, v9, v8
	v_addc_co_u32_e32 v9, vcc, 0, v10, vcc
	v_add_co_u32_e32 v4, vcc, v4, v8
	v_addc_co_u32_e32 v5, vcc, v5, v9, vcc
	v_mul_lo_u32 v8, s4, v5
	v_mul_hi_u32 v9, s4, v4
	v_add_u32_e32 v8, v9, v8
	v_mul_lo_u32 v9, s5, v4
	v_add_u32_e32 v8, v8, v9
	v_mul_lo_u32 v10, s4, v4
	v_mul_hi_u32 v11, v5, v10
	v_mul_lo_u32 v12, v5, v10
	v_mul_lo_u32 v14, v4, v8
	v_mul_hi_u32 v10, v4, v10
	v_mul_hi_u32 v13, v4, v8
	v_add_co_u32_e32 v10, vcc, v10, v14
	v_addc_co_u32_e32 v13, vcc, 0, v13, vcc
	v_add_co_u32_e32 v10, vcc, v10, v12
	v_mul_hi_u32 v9, v5, v8
	v_addc_co_u32_e32 v10, vcc, v13, v11, vcc
	v_addc_co_u32_e32 v9, vcc, 0, v9, vcc
	v_mul_lo_u32 v8, v5, v8
	v_add_co_u32_e32 v8, vcc, v10, v8
	v_addc_co_u32_e32 v9, vcc, 0, v9, vcc
	v_add_co_u32_e32 v8, vcc, v4, v8
	v_addc_co_u32_e32 v9, vcc, v5, v9, vcc
	v_ashrrev_i32_e32 v10, 31, v7
	v_add_co_u32_e32 v4, vcc, v6, v10
	v_addc_co_u32_e32 v5, vcc, v7, v10, vcc
	v_xor_b32_e32 v12, v4, v10
	v_xor_b32_e32 v11, v5, v10
	v_mad_u64_u32 v[4:5], s[4:5], v12, v9, 0
	v_mul_hi_u32 v6, v12, v8
	v_add_co_u32_e32 v13, vcc, v6, v4
	v_addc_co_u32_e32 v14, vcc, 0, v5, vcc
	v_mad_u64_u32 v[6:7], s[4:5], v11, v8, 0
	v_add_co_u32_e32 v6, vcc, v13, v6
	v_mad_u64_u32 v[4:5], s[4:5], v11, v9, 0
	v_addc_co_u32_e32 v6, vcc, v14, v7, vcc
	v_addc_co_u32_e32 v5, vcc, 0, v5, vcc
	v_add_co_u32_e32 v6, vcc, v6, v4
	v_addc_co_u32_e32 v7, vcc, 0, v5, vcc
	v_mul_lo_u32 v8, s11, v6
	v_mul_lo_u32 v9, s10, v7
	v_mad_u64_u32 v[4:5], s[4:5], s10, v6, 0
	v_add3_u32 v5, v5, v9, v8
	v_sub_u32_e32 v8, v11, v5
	v_mov_b32_e32 v9, s11
	v_sub_co_u32_e32 v4, vcc, v12, v4
	v_subb_co_u32_e64 v8, s[4:5], v8, v9, vcc
	v_subrev_co_u32_e64 v9, s[4:5], s10, v4
	v_subbrev_co_u32_e64 v8, s[4:5], 0, v8, s[4:5]
	v_cmp_le_u32_e64 s[4:5], s11, v8
	v_cndmask_b32_e64 v12, 0, -1, s[4:5]
	v_cmp_le_u32_e64 s[4:5], s10, v9
	v_cndmask_b32_e64 v9, 0, -1, s[4:5]
	v_cmp_eq_u32_e64 s[4:5], s11, v8
	v_cndmask_b32_e64 v8, v12, v9, s[4:5]
	v_add_co_u32_e64 v9, s[4:5], 2, v6
	v_subb_co_u32_e32 v5, vcc, v11, v5, vcc
	v_addc_co_u32_e64 v12, s[4:5], 0, v7, s[4:5]
	v_cmp_le_u32_e32 vcc, s11, v5
	v_add_co_u32_e64 v13, s[4:5], 1, v6
	v_cndmask_b32_e64 v11, 0, -1, vcc
	v_cmp_le_u32_e32 vcc, s10, v4
	v_addc_co_u32_e64 v14, s[4:5], 0, v7, s[4:5]
	v_cndmask_b32_e64 v4, 0, -1, vcc
	v_cmp_eq_u32_e32 vcc, s11, v5
	v_cmp_ne_u32_e64 s[4:5], 0, v8
	v_cndmask_b32_e32 v4, v11, v4, vcc
	v_cndmask_b32_e64 v8, v14, v12, s[4:5]
	v_cmp_ne_u32_e32 vcc, 0, v4
	v_cndmask_b32_e64 v5, v13, v9, s[4:5]
	v_cndmask_b32_e32 v4, v7, v8, vcc
	v_cndmask_b32_e32 v5, v6, v5, vcc
	v_xor_b32_e32 v6, s8, v10
	v_xor_b32_e32 v7, v4, v6
	;; [unrolled: 1-line block ×3, first 2 shown]
	v_sub_co_u32_e32 v4, vcc, v4, v6
	v_subb_co_u32_e32 v5, vcc, v7, v6, vcc
                                        ; implicit-def: $vgpr6
.LBB1144_11:
	s_andn2_saveexec_b64 s[4:5], s[6:7]
	s_cbranch_execz .LBB1144_13
; %bb.12:
	v_cvt_f32_u32_e32 v4, s38
	s_sub_i32 s6, 0, s38
	v_rcp_iflag_f32_e32 v4, v4
	v_mul_f32_e32 v4, 0x4f7ffffe, v4
	v_cvt_u32_f32_e32 v4, v4
	v_mul_lo_u32 v5, s6, v4
	v_mul_hi_u32 v5, v4, v5
	v_add_u32_e32 v4, v4, v5
	v_mul_hi_u32 v4, v6, v4
	v_mul_lo_u32 v5, v4, s38
	v_sub_u32_e32 v5, v6, v5
	v_add_u32_e32 v7, 1, v4
	v_subrev_u32_e32 v6, s38, v5
	v_cmp_le_u32_e32 vcc, s38, v5
	v_cndmask_b32_e32 v5, v5, v6, vcc
	v_cndmask_b32_e32 v4, v4, v7, vcc
	v_add_u32_e32 v6, 1, v4
	v_cmp_le_u32_e32 vcc, s38, v5
	v_cndmask_b32_e32 v4, v4, v6, vcc
	v_mov_b32_e32 v5, 0
.LBB1144_13:
	s_or_b64 exec, exec, s[4:5]
	v_add_co_u32_e32 v8, vcc, 0x200, v30
	v_addc_co_u32_e32 v9, vcc, 0, v1, vcc
	v_or_b32_e32 v7, s39, v9
	v_mov_b32_e32 v6, 0
	v_cmp_ne_u64_e32 vcc, 0, v[6:7]
                                        ; implicit-def: $vgpr6_vgpr7
	s_and_saveexec_b64 s[4:5], vcc
	s_xor_b64 s[6:7], exec, s[4:5]
	s_cbranch_execz .LBB1144_15
; %bb.14:
	s_ashr_i32 s8, s39, 31
	s_add_u32 s4, s38, s8
	s_mov_b32 s9, s8
	s_addc_u32 s5, s39, s8
	s_xor_b64 s[10:11], s[4:5], s[8:9]
	v_cvt_f32_u32_e32 v6, s10
	v_cvt_f32_u32_e32 v7, s11
	s_sub_u32 s4, 0, s10
	s_subb_u32 s5, 0, s11
	v_madmk_f32 v6, v7, 0x4f800000, v6
	v_rcp_f32_e32 v6, v6
	v_mul_f32_e32 v6, 0x5f7ffffc, v6
	v_mul_f32_e32 v7, 0x2f800000, v6
	v_trunc_f32_e32 v7, v7
	v_madmk_f32 v6, v7, 0xcf800000, v6
	v_cvt_u32_f32_e32 v7, v7
	v_cvt_u32_f32_e32 v6, v6
	v_mul_lo_u32 v10, s4, v7
	v_mul_hi_u32 v12, s4, v6
	v_mul_lo_u32 v11, s5, v6
	v_add_u32_e32 v10, v12, v10
	v_mul_lo_u32 v13, s4, v6
	v_add_u32_e32 v10, v10, v11
	v_mul_lo_u32 v12, v6, v10
	v_mul_hi_u32 v14, v6, v13
	v_mul_hi_u32 v11, v6, v10
	v_add_co_u32_e32 v12, vcc, v14, v12
	v_addc_co_u32_e32 v11, vcc, 0, v11, vcc
	v_mul_hi_u32 v15, v7, v13
	v_mul_lo_u32 v13, v7, v13
	v_add_co_u32_e32 v12, vcc, v12, v13
	v_mul_hi_u32 v14, v7, v10
	v_addc_co_u32_e32 v11, vcc, v11, v15, vcc
	v_addc_co_u32_e32 v12, vcc, 0, v14, vcc
	v_mul_lo_u32 v10, v7, v10
	v_add_co_u32_e32 v10, vcc, v11, v10
	v_addc_co_u32_e32 v11, vcc, 0, v12, vcc
	v_add_co_u32_e32 v6, vcc, v6, v10
	v_addc_co_u32_e32 v7, vcc, v7, v11, vcc
	v_mul_lo_u32 v10, s4, v7
	v_mul_hi_u32 v11, s4, v6
	v_add_u32_e32 v10, v11, v10
	v_mul_lo_u32 v11, s5, v6
	v_add_u32_e32 v10, v10, v11
	v_mul_lo_u32 v12, s4, v6
	v_mul_hi_u32 v13, v7, v12
	v_mul_lo_u32 v14, v7, v12
	v_mul_lo_u32 v16, v6, v10
	v_mul_hi_u32 v12, v6, v12
	v_mul_hi_u32 v15, v6, v10
	v_add_co_u32_e32 v12, vcc, v12, v16
	v_addc_co_u32_e32 v15, vcc, 0, v15, vcc
	v_add_co_u32_e32 v12, vcc, v12, v14
	v_mul_hi_u32 v11, v7, v10
	v_addc_co_u32_e32 v12, vcc, v15, v13, vcc
	v_addc_co_u32_e32 v11, vcc, 0, v11, vcc
	v_mul_lo_u32 v10, v7, v10
	v_add_co_u32_e32 v10, vcc, v12, v10
	v_addc_co_u32_e32 v11, vcc, 0, v11, vcc
	v_add_co_u32_e32 v10, vcc, v6, v10
	v_addc_co_u32_e32 v11, vcc, v7, v11, vcc
	v_ashrrev_i32_e32 v12, 31, v9
	v_add_co_u32_e32 v6, vcc, v8, v12
	v_addc_co_u32_e32 v7, vcc, v9, v12, vcc
	v_xor_b32_e32 v14, v6, v12
	v_xor_b32_e32 v13, v7, v12
	v_mad_u64_u32 v[6:7], s[4:5], v14, v11, 0
	v_mul_hi_u32 v8, v14, v10
	v_add_co_u32_e32 v15, vcc, v8, v6
	v_addc_co_u32_e32 v16, vcc, 0, v7, vcc
	v_mad_u64_u32 v[8:9], s[4:5], v13, v10, 0
	v_add_co_u32_e32 v8, vcc, v15, v8
	v_mad_u64_u32 v[6:7], s[4:5], v13, v11, 0
	v_addc_co_u32_e32 v8, vcc, v16, v9, vcc
	v_addc_co_u32_e32 v7, vcc, 0, v7, vcc
	v_add_co_u32_e32 v8, vcc, v8, v6
	v_addc_co_u32_e32 v9, vcc, 0, v7, vcc
	v_mul_lo_u32 v10, s11, v8
	v_mul_lo_u32 v11, s10, v9
	v_mad_u64_u32 v[6:7], s[4:5], s10, v8, 0
	v_add3_u32 v7, v7, v11, v10
	v_sub_u32_e32 v10, v13, v7
	v_mov_b32_e32 v11, s11
	v_sub_co_u32_e32 v6, vcc, v14, v6
	v_subb_co_u32_e64 v10, s[4:5], v10, v11, vcc
	v_subrev_co_u32_e64 v11, s[4:5], s10, v6
	v_subbrev_co_u32_e64 v10, s[4:5], 0, v10, s[4:5]
	v_cmp_le_u32_e64 s[4:5], s11, v10
	v_cndmask_b32_e64 v14, 0, -1, s[4:5]
	v_cmp_le_u32_e64 s[4:5], s10, v11
	v_cndmask_b32_e64 v11, 0, -1, s[4:5]
	v_cmp_eq_u32_e64 s[4:5], s11, v10
	v_cndmask_b32_e64 v10, v14, v11, s[4:5]
	v_add_co_u32_e64 v11, s[4:5], 2, v8
	v_subb_co_u32_e32 v7, vcc, v13, v7, vcc
	v_addc_co_u32_e64 v14, s[4:5], 0, v9, s[4:5]
	v_cmp_le_u32_e32 vcc, s11, v7
	v_add_co_u32_e64 v15, s[4:5], 1, v8
	v_cndmask_b32_e64 v13, 0, -1, vcc
	v_cmp_le_u32_e32 vcc, s10, v6
	v_addc_co_u32_e64 v16, s[4:5], 0, v9, s[4:5]
	v_cndmask_b32_e64 v6, 0, -1, vcc
	v_cmp_eq_u32_e32 vcc, s11, v7
	v_cmp_ne_u32_e64 s[4:5], 0, v10
	v_cndmask_b32_e32 v6, v13, v6, vcc
	v_cndmask_b32_e64 v10, v16, v14, s[4:5]
	v_cmp_ne_u32_e32 vcc, 0, v6
	v_cndmask_b32_e64 v7, v15, v11, s[4:5]
	v_cndmask_b32_e32 v6, v9, v10, vcc
	v_cndmask_b32_e32 v7, v8, v7, vcc
	v_xor_b32_e32 v8, s8, v12
	v_xor_b32_e32 v9, v6, v8
	;; [unrolled: 1-line block ×3, first 2 shown]
	v_sub_co_u32_e32 v6, vcc, v6, v8
	v_subb_co_u32_e32 v7, vcc, v9, v8, vcc
                                        ; implicit-def: $vgpr8
.LBB1144_15:
	s_andn2_saveexec_b64 s[4:5], s[6:7]
	s_cbranch_execz .LBB1144_17
; %bb.16:
	v_cvt_f32_u32_e32 v6, s38
	s_sub_i32 s6, 0, s38
	v_rcp_iflag_f32_e32 v6, v6
	v_mul_f32_e32 v6, 0x4f7ffffe, v6
	v_cvt_u32_f32_e32 v6, v6
	v_mul_lo_u32 v7, s6, v6
	v_mul_hi_u32 v7, v6, v7
	v_add_u32_e32 v6, v6, v7
	v_mul_hi_u32 v6, v8, v6
	v_mul_lo_u32 v7, v6, s38
	v_sub_u32_e32 v7, v8, v7
	v_add_u32_e32 v9, 1, v6
	v_subrev_u32_e32 v8, s38, v7
	v_cmp_le_u32_e32 vcc, s38, v7
	v_cndmask_b32_e32 v7, v7, v8, vcc
	v_cndmask_b32_e32 v6, v6, v9, vcc
	v_add_u32_e32 v8, 1, v6
	v_cmp_le_u32_e32 vcc, s38, v7
	v_cndmask_b32_e32 v6, v6, v8, vcc
	v_mov_b32_e32 v7, 0
.LBB1144_17:
	s_or_b64 exec, exec, s[4:5]
	v_add_co_u32_e32 v10, vcc, 0x300, v30
	v_addc_co_u32_e32 v11, vcc, 0, v1, vcc
	v_or_b32_e32 v9, s39, v11
	v_mov_b32_e32 v8, 0
	v_cmp_ne_u64_e32 vcc, 0, v[8:9]
                                        ; implicit-def: $vgpr8_vgpr9
	s_and_saveexec_b64 s[4:5], vcc
	s_xor_b64 s[6:7], exec, s[4:5]
	s_cbranch_execz .LBB1144_19
; %bb.18:
	s_ashr_i32 s8, s39, 31
	s_add_u32 s4, s38, s8
	s_mov_b32 s9, s8
	s_addc_u32 s5, s39, s8
	s_xor_b64 s[10:11], s[4:5], s[8:9]
	v_cvt_f32_u32_e32 v8, s10
	v_cvt_f32_u32_e32 v9, s11
	s_sub_u32 s4, 0, s10
	s_subb_u32 s5, 0, s11
	v_madmk_f32 v8, v9, 0x4f800000, v8
	v_rcp_f32_e32 v8, v8
	v_mul_f32_e32 v8, 0x5f7ffffc, v8
	v_mul_f32_e32 v9, 0x2f800000, v8
	v_trunc_f32_e32 v9, v9
	v_madmk_f32 v8, v9, 0xcf800000, v8
	v_cvt_u32_f32_e32 v9, v9
	v_cvt_u32_f32_e32 v8, v8
	v_mul_lo_u32 v12, s4, v9
	v_mul_hi_u32 v14, s4, v8
	v_mul_lo_u32 v13, s5, v8
	v_add_u32_e32 v12, v14, v12
	v_mul_lo_u32 v15, s4, v8
	v_add_u32_e32 v12, v12, v13
	v_mul_lo_u32 v14, v8, v12
	v_mul_hi_u32 v16, v8, v15
	v_mul_hi_u32 v13, v8, v12
	v_add_co_u32_e32 v14, vcc, v16, v14
	v_addc_co_u32_e32 v13, vcc, 0, v13, vcc
	v_mul_hi_u32 v17, v9, v15
	v_mul_lo_u32 v15, v9, v15
	v_add_co_u32_e32 v14, vcc, v14, v15
	v_mul_hi_u32 v16, v9, v12
	v_addc_co_u32_e32 v13, vcc, v13, v17, vcc
	v_addc_co_u32_e32 v14, vcc, 0, v16, vcc
	v_mul_lo_u32 v12, v9, v12
	v_add_co_u32_e32 v12, vcc, v13, v12
	v_addc_co_u32_e32 v13, vcc, 0, v14, vcc
	v_add_co_u32_e32 v8, vcc, v8, v12
	v_addc_co_u32_e32 v9, vcc, v9, v13, vcc
	v_mul_lo_u32 v12, s4, v9
	v_mul_hi_u32 v13, s4, v8
	v_add_u32_e32 v12, v13, v12
	v_mul_lo_u32 v13, s5, v8
	v_add_u32_e32 v12, v12, v13
	v_mul_lo_u32 v14, s4, v8
	v_mul_hi_u32 v15, v9, v14
	v_mul_lo_u32 v16, v9, v14
	v_mul_lo_u32 v18, v8, v12
	v_mul_hi_u32 v14, v8, v14
	v_mul_hi_u32 v17, v8, v12
	v_add_co_u32_e32 v14, vcc, v14, v18
	v_addc_co_u32_e32 v17, vcc, 0, v17, vcc
	v_add_co_u32_e32 v14, vcc, v14, v16
	v_mul_hi_u32 v13, v9, v12
	v_addc_co_u32_e32 v14, vcc, v17, v15, vcc
	v_addc_co_u32_e32 v13, vcc, 0, v13, vcc
	v_mul_lo_u32 v12, v9, v12
	v_add_co_u32_e32 v12, vcc, v14, v12
	v_addc_co_u32_e32 v13, vcc, 0, v13, vcc
	v_add_co_u32_e32 v12, vcc, v8, v12
	v_addc_co_u32_e32 v13, vcc, v9, v13, vcc
	v_ashrrev_i32_e32 v14, 31, v11
	v_add_co_u32_e32 v8, vcc, v10, v14
	v_addc_co_u32_e32 v9, vcc, v11, v14, vcc
	v_xor_b32_e32 v16, v8, v14
	v_xor_b32_e32 v15, v9, v14
	v_mad_u64_u32 v[8:9], s[4:5], v16, v13, 0
	v_mul_hi_u32 v10, v16, v12
	v_add_co_u32_e32 v17, vcc, v10, v8
	v_addc_co_u32_e32 v18, vcc, 0, v9, vcc
	v_mad_u64_u32 v[10:11], s[4:5], v15, v12, 0
	v_add_co_u32_e32 v10, vcc, v17, v10
	v_mad_u64_u32 v[8:9], s[4:5], v15, v13, 0
	v_addc_co_u32_e32 v10, vcc, v18, v11, vcc
	v_addc_co_u32_e32 v9, vcc, 0, v9, vcc
	v_add_co_u32_e32 v10, vcc, v10, v8
	v_addc_co_u32_e32 v11, vcc, 0, v9, vcc
	v_mul_lo_u32 v12, s11, v10
	v_mul_lo_u32 v13, s10, v11
	v_mad_u64_u32 v[8:9], s[4:5], s10, v10, 0
	v_add3_u32 v9, v9, v13, v12
	v_sub_u32_e32 v12, v15, v9
	v_mov_b32_e32 v13, s11
	v_sub_co_u32_e32 v8, vcc, v16, v8
	v_subb_co_u32_e64 v12, s[4:5], v12, v13, vcc
	v_subrev_co_u32_e64 v13, s[4:5], s10, v8
	v_subbrev_co_u32_e64 v12, s[4:5], 0, v12, s[4:5]
	v_cmp_le_u32_e64 s[4:5], s11, v12
	v_cndmask_b32_e64 v16, 0, -1, s[4:5]
	v_cmp_le_u32_e64 s[4:5], s10, v13
	v_cndmask_b32_e64 v13, 0, -1, s[4:5]
	v_cmp_eq_u32_e64 s[4:5], s11, v12
	v_cndmask_b32_e64 v12, v16, v13, s[4:5]
	v_add_co_u32_e64 v13, s[4:5], 2, v10
	v_subb_co_u32_e32 v9, vcc, v15, v9, vcc
	v_addc_co_u32_e64 v16, s[4:5], 0, v11, s[4:5]
	v_cmp_le_u32_e32 vcc, s11, v9
	v_add_co_u32_e64 v17, s[4:5], 1, v10
	v_cndmask_b32_e64 v15, 0, -1, vcc
	v_cmp_le_u32_e32 vcc, s10, v8
	v_addc_co_u32_e64 v18, s[4:5], 0, v11, s[4:5]
	v_cndmask_b32_e64 v8, 0, -1, vcc
	v_cmp_eq_u32_e32 vcc, s11, v9
	v_cmp_ne_u32_e64 s[4:5], 0, v12
	v_cndmask_b32_e32 v8, v15, v8, vcc
	v_cndmask_b32_e64 v12, v18, v16, s[4:5]
	v_cmp_ne_u32_e32 vcc, 0, v8
	v_cndmask_b32_e64 v9, v17, v13, s[4:5]
	v_cndmask_b32_e32 v8, v11, v12, vcc
	v_cndmask_b32_e32 v9, v10, v9, vcc
	v_xor_b32_e32 v10, s8, v14
	v_xor_b32_e32 v11, v8, v10
	;; [unrolled: 1-line block ×3, first 2 shown]
	v_sub_co_u32_e32 v8, vcc, v8, v10
	v_subb_co_u32_e32 v9, vcc, v11, v10, vcc
                                        ; implicit-def: $vgpr10
.LBB1144_19:
	s_andn2_saveexec_b64 s[4:5], s[6:7]
	s_cbranch_execz .LBB1144_21
; %bb.20:
	v_cvt_f32_u32_e32 v8, s38
	s_sub_i32 s6, 0, s38
	v_rcp_iflag_f32_e32 v8, v8
	v_mul_f32_e32 v8, 0x4f7ffffe, v8
	v_cvt_u32_f32_e32 v8, v8
	v_mul_lo_u32 v9, s6, v8
	v_mul_hi_u32 v9, v8, v9
	v_add_u32_e32 v8, v8, v9
	v_mul_hi_u32 v8, v10, v8
	v_mul_lo_u32 v9, v8, s38
	v_sub_u32_e32 v9, v10, v9
	v_add_u32_e32 v11, 1, v8
	v_subrev_u32_e32 v10, s38, v9
	v_cmp_le_u32_e32 vcc, s38, v9
	v_cndmask_b32_e32 v9, v9, v10, vcc
	v_cndmask_b32_e32 v8, v8, v11, vcc
	v_add_u32_e32 v10, 1, v8
	v_cmp_le_u32_e32 vcc, s38, v9
	v_cndmask_b32_e32 v8, v8, v10, vcc
	v_mov_b32_e32 v9, 0
.LBB1144_21:
	s_or_b64 exec, exec, s[4:5]
	v_add_co_u32_e32 v12, vcc, 0x400, v30
	v_addc_co_u32_e32 v13, vcc, 0, v1, vcc
	v_or_b32_e32 v11, s39, v13
	v_mov_b32_e32 v10, 0
	v_cmp_ne_u64_e32 vcc, 0, v[10:11]
                                        ; implicit-def: $vgpr10_vgpr11
	s_and_saveexec_b64 s[4:5], vcc
	s_xor_b64 s[6:7], exec, s[4:5]
	s_cbranch_execz .LBB1144_23
; %bb.22:
	s_ashr_i32 s8, s39, 31
	s_add_u32 s4, s38, s8
	s_mov_b32 s9, s8
	s_addc_u32 s5, s39, s8
	s_xor_b64 s[10:11], s[4:5], s[8:9]
	v_cvt_f32_u32_e32 v10, s10
	v_cvt_f32_u32_e32 v11, s11
	s_sub_u32 s4, 0, s10
	s_subb_u32 s5, 0, s11
	v_madmk_f32 v10, v11, 0x4f800000, v10
	v_rcp_f32_e32 v10, v10
	v_mul_f32_e32 v10, 0x5f7ffffc, v10
	v_mul_f32_e32 v11, 0x2f800000, v10
	v_trunc_f32_e32 v11, v11
	v_madmk_f32 v10, v11, 0xcf800000, v10
	v_cvt_u32_f32_e32 v11, v11
	v_cvt_u32_f32_e32 v10, v10
	v_mul_lo_u32 v14, s4, v11
	v_mul_hi_u32 v16, s4, v10
	v_mul_lo_u32 v15, s5, v10
	v_add_u32_e32 v14, v16, v14
	v_mul_lo_u32 v17, s4, v10
	v_add_u32_e32 v14, v14, v15
	v_mul_lo_u32 v16, v10, v14
	v_mul_hi_u32 v18, v10, v17
	v_mul_hi_u32 v15, v10, v14
	v_add_co_u32_e32 v16, vcc, v18, v16
	v_addc_co_u32_e32 v15, vcc, 0, v15, vcc
	v_mul_hi_u32 v19, v11, v17
	v_mul_lo_u32 v17, v11, v17
	v_add_co_u32_e32 v16, vcc, v16, v17
	v_mul_hi_u32 v18, v11, v14
	v_addc_co_u32_e32 v15, vcc, v15, v19, vcc
	v_addc_co_u32_e32 v16, vcc, 0, v18, vcc
	v_mul_lo_u32 v14, v11, v14
	v_add_co_u32_e32 v14, vcc, v15, v14
	v_addc_co_u32_e32 v15, vcc, 0, v16, vcc
	v_add_co_u32_e32 v10, vcc, v10, v14
	v_addc_co_u32_e32 v11, vcc, v11, v15, vcc
	v_mul_lo_u32 v14, s4, v11
	v_mul_hi_u32 v15, s4, v10
	v_add_u32_e32 v14, v15, v14
	v_mul_lo_u32 v15, s5, v10
	v_add_u32_e32 v14, v14, v15
	v_mul_lo_u32 v16, s4, v10
	v_mul_hi_u32 v17, v11, v16
	v_mul_lo_u32 v18, v11, v16
	v_mul_lo_u32 v20, v10, v14
	v_mul_hi_u32 v16, v10, v16
	v_mul_hi_u32 v19, v10, v14
	v_add_co_u32_e32 v16, vcc, v16, v20
	v_addc_co_u32_e32 v19, vcc, 0, v19, vcc
	v_add_co_u32_e32 v16, vcc, v16, v18
	v_mul_hi_u32 v15, v11, v14
	v_addc_co_u32_e32 v16, vcc, v19, v17, vcc
	v_addc_co_u32_e32 v15, vcc, 0, v15, vcc
	v_mul_lo_u32 v14, v11, v14
	v_add_co_u32_e32 v14, vcc, v16, v14
	v_addc_co_u32_e32 v15, vcc, 0, v15, vcc
	v_add_co_u32_e32 v14, vcc, v10, v14
	v_addc_co_u32_e32 v15, vcc, v11, v15, vcc
	v_ashrrev_i32_e32 v16, 31, v13
	v_add_co_u32_e32 v10, vcc, v12, v16
	v_addc_co_u32_e32 v11, vcc, v13, v16, vcc
	v_xor_b32_e32 v18, v10, v16
	v_xor_b32_e32 v17, v11, v16
	v_mad_u64_u32 v[10:11], s[4:5], v18, v15, 0
	v_mul_hi_u32 v12, v18, v14
	v_add_co_u32_e32 v19, vcc, v12, v10
	v_addc_co_u32_e32 v20, vcc, 0, v11, vcc
	v_mad_u64_u32 v[12:13], s[4:5], v17, v14, 0
	v_add_co_u32_e32 v12, vcc, v19, v12
	v_mad_u64_u32 v[10:11], s[4:5], v17, v15, 0
	v_addc_co_u32_e32 v12, vcc, v20, v13, vcc
	v_addc_co_u32_e32 v11, vcc, 0, v11, vcc
	v_add_co_u32_e32 v12, vcc, v12, v10
	v_addc_co_u32_e32 v13, vcc, 0, v11, vcc
	v_mul_lo_u32 v14, s11, v12
	v_mul_lo_u32 v15, s10, v13
	v_mad_u64_u32 v[10:11], s[4:5], s10, v12, 0
	v_add3_u32 v11, v11, v15, v14
	v_sub_u32_e32 v14, v17, v11
	v_mov_b32_e32 v15, s11
	v_sub_co_u32_e32 v10, vcc, v18, v10
	v_subb_co_u32_e64 v14, s[4:5], v14, v15, vcc
	v_subrev_co_u32_e64 v15, s[4:5], s10, v10
	v_subbrev_co_u32_e64 v14, s[4:5], 0, v14, s[4:5]
	v_cmp_le_u32_e64 s[4:5], s11, v14
	v_cndmask_b32_e64 v18, 0, -1, s[4:5]
	v_cmp_le_u32_e64 s[4:5], s10, v15
	v_cndmask_b32_e64 v15, 0, -1, s[4:5]
	v_cmp_eq_u32_e64 s[4:5], s11, v14
	v_cndmask_b32_e64 v14, v18, v15, s[4:5]
	v_add_co_u32_e64 v15, s[4:5], 2, v12
	v_subb_co_u32_e32 v11, vcc, v17, v11, vcc
	v_addc_co_u32_e64 v18, s[4:5], 0, v13, s[4:5]
	v_cmp_le_u32_e32 vcc, s11, v11
	v_add_co_u32_e64 v19, s[4:5], 1, v12
	v_cndmask_b32_e64 v17, 0, -1, vcc
	v_cmp_le_u32_e32 vcc, s10, v10
	v_addc_co_u32_e64 v20, s[4:5], 0, v13, s[4:5]
	v_cndmask_b32_e64 v10, 0, -1, vcc
	v_cmp_eq_u32_e32 vcc, s11, v11
	v_cmp_ne_u32_e64 s[4:5], 0, v14
	v_cndmask_b32_e32 v10, v17, v10, vcc
	v_cndmask_b32_e64 v14, v20, v18, s[4:5]
	v_cmp_ne_u32_e32 vcc, 0, v10
	v_cndmask_b32_e64 v11, v19, v15, s[4:5]
	v_cndmask_b32_e32 v10, v13, v14, vcc
	v_cndmask_b32_e32 v11, v12, v11, vcc
	v_xor_b32_e32 v12, s8, v16
	v_xor_b32_e32 v13, v10, v12
	;; [unrolled: 1-line block ×3, first 2 shown]
	v_sub_co_u32_e32 v10, vcc, v10, v12
	v_subb_co_u32_e32 v11, vcc, v13, v12, vcc
                                        ; implicit-def: $vgpr12
.LBB1144_23:
	s_andn2_saveexec_b64 s[4:5], s[6:7]
	s_cbranch_execz .LBB1144_25
; %bb.24:
	v_cvt_f32_u32_e32 v10, s38
	s_sub_i32 s6, 0, s38
	v_rcp_iflag_f32_e32 v10, v10
	v_mul_f32_e32 v10, 0x4f7ffffe, v10
	v_cvt_u32_f32_e32 v10, v10
	v_mul_lo_u32 v11, s6, v10
	v_mul_hi_u32 v11, v10, v11
	v_add_u32_e32 v10, v10, v11
	v_mul_hi_u32 v10, v12, v10
	v_mul_lo_u32 v11, v10, s38
	v_sub_u32_e32 v11, v12, v11
	v_add_u32_e32 v13, 1, v10
	v_subrev_u32_e32 v12, s38, v11
	v_cmp_le_u32_e32 vcc, s38, v11
	v_cndmask_b32_e32 v11, v11, v12, vcc
	v_cndmask_b32_e32 v10, v10, v13, vcc
	v_add_u32_e32 v12, 1, v10
	v_cmp_le_u32_e32 vcc, s38, v11
	v_cndmask_b32_e32 v10, v10, v12, vcc
	v_mov_b32_e32 v11, 0
.LBB1144_25:
	s_or_b64 exec, exec, s[4:5]
	v_add_co_u32_e32 v14, vcc, 0x500, v30
	v_addc_co_u32_e32 v15, vcc, 0, v1, vcc
	v_or_b32_e32 v13, s39, v15
	v_mov_b32_e32 v12, 0
	v_cmp_ne_u64_e32 vcc, 0, v[12:13]
                                        ; implicit-def: $vgpr12_vgpr13
	s_and_saveexec_b64 s[4:5], vcc
	s_xor_b64 s[6:7], exec, s[4:5]
	s_cbranch_execz .LBB1144_27
; %bb.26:
	s_ashr_i32 s8, s39, 31
	s_add_u32 s4, s38, s8
	s_mov_b32 s9, s8
	s_addc_u32 s5, s39, s8
	s_xor_b64 s[10:11], s[4:5], s[8:9]
	v_cvt_f32_u32_e32 v12, s10
	v_cvt_f32_u32_e32 v13, s11
	s_sub_u32 s4, 0, s10
	s_subb_u32 s5, 0, s11
	v_madmk_f32 v12, v13, 0x4f800000, v12
	v_rcp_f32_e32 v12, v12
	v_mul_f32_e32 v12, 0x5f7ffffc, v12
	v_mul_f32_e32 v13, 0x2f800000, v12
	v_trunc_f32_e32 v13, v13
	v_madmk_f32 v12, v13, 0xcf800000, v12
	v_cvt_u32_f32_e32 v13, v13
	v_cvt_u32_f32_e32 v12, v12
	v_mul_lo_u32 v16, s4, v13
	v_mul_hi_u32 v18, s4, v12
	v_mul_lo_u32 v17, s5, v12
	v_add_u32_e32 v16, v18, v16
	v_mul_lo_u32 v19, s4, v12
	v_add_u32_e32 v16, v16, v17
	v_mul_lo_u32 v18, v12, v16
	v_mul_hi_u32 v20, v12, v19
	v_mul_hi_u32 v17, v12, v16
	v_add_co_u32_e32 v18, vcc, v20, v18
	v_addc_co_u32_e32 v17, vcc, 0, v17, vcc
	v_mul_hi_u32 v21, v13, v19
	v_mul_lo_u32 v19, v13, v19
	v_add_co_u32_e32 v18, vcc, v18, v19
	v_mul_hi_u32 v20, v13, v16
	v_addc_co_u32_e32 v17, vcc, v17, v21, vcc
	v_addc_co_u32_e32 v18, vcc, 0, v20, vcc
	v_mul_lo_u32 v16, v13, v16
	v_add_co_u32_e32 v16, vcc, v17, v16
	v_addc_co_u32_e32 v17, vcc, 0, v18, vcc
	v_add_co_u32_e32 v12, vcc, v12, v16
	v_addc_co_u32_e32 v13, vcc, v13, v17, vcc
	v_mul_lo_u32 v16, s4, v13
	v_mul_hi_u32 v17, s4, v12
	v_add_u32_e32 v16, v17, v16
	v_mul_lo_u32 v17, s5, v12
	v_add_u32_e32 v16, v16, v17
	v_mul_lo_u32 v18, s4, v12
	v_mul_hi_u32 v19, v13, v18
	v_mul_lo_u32 v20, v13, v18
	v_mul_lo_u32 v22, v12, v16
	v_mul_hi_u32 v18, v12, v18
	v_mul_hi_u32 v21, v12, v16
	v_add_co_u32_e32 v18, vcc, v18, v22
	v_addc_co_u32_e32 v21, vcc, 0, v21, vcc
	v_add_co_u32_e32 v18, vcc, v18, v20
	v_mul_hi_u32 v17, v13, v16
	v_addc_co_u32_e32 v18, vcc, v21, v19, vcc
	v_addc_co_u32_e32 v17, vcc, 0, v17, vcc
	v_mul_lo_u32 v16, v13, v16
	v_add_co_u32_e32 v16, vcc, v18, v16
	v_addc_co_u32_e32 v17, vcc, 0, v17, vcc
	v_add_co_u32_e32 v16, vcc, v12, v16
	v_addc_co_u32_e32 v17, vcc, v13, v17, vcc
	v_ashrrev_i32_e32 v18, 31, v15
	v_add_co_u32_e32 v12, vcc, v14, v18
	v_addc_co_u32_e32 v13, vcc, v15, v18, vcc
	v_xor_b32_e32 v20, v12, v18
	v_xor_b32_e32 v19, v13, v18
	v_mad_u64_u32 v[12:13], s[4:5], v20, v17, 0
	v_mul_hi_u32 v14, v20, v16
	v_add_co_u32_e32 v21, vcc, v14, v12
	v_addc_co_u32_e32 v22, vcc, 0, v13, vcc
	v_mad_u64_u32 v[14:15], s[4:5], v19, v16, 0
	v_add_co_u32_e32 v14, vcc, v21, v14
	v_mad_u64_u32 v[12:13], s[4:5], v19, v17, 0
	v_addc_co_u32_e32 v14, vcc, v22, v15, vcc
	v_addc_co_u32_e32 v13, vcc, 0, v13, vcc
	v_add_co_u32_e32 v14, vcc, v14, v12
	v_addc_co_u32_e32 v15, vcc, 0, v13, vcc
	v_mul_lo_u32 v16, s11, v14
	v_mul_lo_u32 v17, s10, v15
	v_mad_u64_u32 v[12:13], s[4:5], s10, v14, 0
	v_add3_u32 v13, v13, v17, v16
	v_sub_u32_e32 v16, v19, v13
	v_mov_b32_e32 v17, s11
	v_sub_co_u32_e32 v12, vcc, v20, v12
	v_subb_co_u32_e64 v16, s[4:5], v16, v17, vcc
	v_subrev_co_u32_e64 v17, s[4:5], s10, v12
	v_subbrev_co_u32_e64 v16, s[4:5], 0, v16, s[4:5]
	v_cmp_le_u32_e64 s[4:5], s11, v16
	v_cndmask_b32_e64 v20, 0, -1, s[4:5]
	v_cmp_le_u32_e64 s[4:5], s10, v17
	v_cndmask_b32_e64 v17, 0, -1, s[4:5]
	v_cmp_eq_u32_e64 s[4:5], s11, v16
	v_cndmask_b32_e64 v16, v20, v17, s[4:5]
	v_add_co_u32_e64 v17, s[4:5], 2, v14
	v_subb_co_u32_e32 v13, vcc, v19, v13, vcc
	v_addc_co_u32_e64 v20, s[4:5], 0, v15, s[4:5]
	v_cmp_le_u32_e32 vcc, s11, v13
	v_add_co_u32_e64 v21, s[4:5], 1, v14
	v_cndmask_b32_e64 v19, 0, -1, vcc
	v_cmp_le_u32_e32 vcc, s10, v12
	v_addc_co_u32_e64 v22, s[4:5], 0, v15, s[4:5]
	v_cndmask_b32_e64 v12, 0, -1, vcc
	v_cmp_eq_u32_e32 vcc, s11, v13
	v_cmp_ne_u32_e64 s[4:5], 0, v16
	v_cndmask_b32_e32 v12, v19, v12, vcc
	v_cndmask_b32_e64 v16, v22, v20, s[4:5]
	v_cmp_ne_u32_e32 vcc, 0, v12
	v_cndmask_b32_e64 v13, v21, v17, s[4:5]
	v_cndmask_b32_e32 v12, v15, v16, vcc
	v_cndmask_b32_e32 v13, v14, v13, vcc
	v_xor_b32_e32 v14, s8, v18
	v_xor_b32_e32 v15, v12, v14
	;; [unrolled: 1-line block ×3, first 2 shown]
	v_sub_co_u32_e32 v12, vcc, v12, v14
	v_subb_co_u32_e32 v13, vcc, v15, v14, vcc
                                        ; implicit-def: $vgpr14
.LBB1144_27:
	s_andn2_saveexec_b64 s[4:5], s[6:7]
	s_cbranch_execz .LBB1144_29
; %bb.28:
	v_cvt_f32_u32_e32 v12, s38
	s_sub_i32 s6, 0, s38
	v_rcp_iflag_f32_e32 v12, v12
	v_mul_f32_e32 v12, 0x4f7ffffe, v12
	v_cvt_u32_f32_e32 v12, v12
	v_mul_lo_u32 v13, s6, v12
	v_mul_hi_u32 v13, v12, v13
	v_add_u32_e32 v12, v12, v13
	v_mul_hi_u32 v12, v14, v12
	v_mul_lo_u32 v13, v12, s38
	v_sub_u32_e32 v13, v14, v13
	v_add_u32_e32 v15, 1, v12
	v_subrev_u32_e32 v14, s38, v13
	v_cmp_le_u32_e32 vcc, s38, v13
	v_cndmask_b32_e32 v13, v13, v14, vcc
	v_cndmask_b32_e32 v12, v12, v15, vcc
	v_add_u32_e32 v14, 1, v12
	v_cmp_le_u32_e32 vcc, s38, v13
	v_cndmask_b32_e32 v12, v12, v14, vcc
	v_mov_b32_e32 v13, 0
.LBB1144_29:
	s_or_b64 exec, exec, s[4:5]
	v_add_co_u32_e32 v16, vcc, 0x600, v30
	v_addc_co_u32_e32 v17, vcc, 0, v1, vcc
	v_or_b32_e32 v15, s39, v17
	v_mov_b32_e32 v14, 0
	v_cmp_ne_u64_e32 vcc, 0, v[14:15]
                                        ; implicit-def: $vgpr14_vgpr15
	s_and_saveexec_b64 s[4:5], vcc
	s_xor_b64 s[6:7], exec, s[4:5]
	s_cbranch_execz .LBB1144_31
; %bb.30:
	s_ashr_i32 s8, s39, 31
	s_add_u32 s4, s38, s8
	s_mov_b32 s9, s8
	s_addc_u32 s5, s39, s8
	s_xor_b64 s[10:11], s[4:5], s[8:9]
	v_cvt_f32_u32_e32 v14, s10
	v_cvt_f32_u32_e32 v15, s11
	s_sub_u32 s4, 0, s10
	s_subb_u32 s5, 0, s11
	v_madmk_f32 v14, v15, 0x4f800000, v14
	v_rcp_f32_e32 v14, v14
	v_mul_f32_e32 v14, 0x5f7ffffc, v14
	v_mul_f32_e32 v15, 0x2f800000, v14
	v_trunc_f32_e32 v15, v15
	v_madmk_f32 v14, v15, 0xcf800000, v14
	v_cvt_u32_f32_e32 v15, v15
	v_cvt_u32_f32_e32 v14, v14
	v_mul_lo_u32 v18, s4, v15
	v_mul_hi_u32 v20, s4, v14
	v_mul_lo_u32 v19, s5, v14
	v_add_u32_e32 v18, v20, v18
	v_mul_lo_u32 v21, s4, v14
	v_add_u32_e32 v18, v18, v19
	v_mul_lo_u32 v20, v14, v18
	v_mul_hi_u32 v22, v14, v21
	v_mul_hi_u32 v19, v14, v18
	v_add_co_u32_e32 v20, vcc, v22, v20
	v_addc_co_u32_e32 v19, vcc, 0, v19, vcc
	v_mul_hi_u32 v23, v15, v21
	v_mul_lo_u32 v21, v15, v21
	v_add_co_u32_e32 v20, vcc, v20, v21
	v_mul_hi_u32 v22, v15, v18
	v_addc_co_u32_e32 v19, vcc, v19, v23, vcc
	v_addc_co_u32_e32 v20, vcc, 0, v22, vcc
	v_mul_lo_u32 v18, v15, v18
	v_add_co_u32_e32 v18, vcc, v19, v18
	v_addc_co_u32_e32 v19, vcc, 0, v20, vcc
	v_add_co_u32_e32 v14, vcc, v14, v18
	v_addc_co_u32_e32 v15, vcc, v15, v19, vcc
	v_mul_lo_u32 v18, s4, v15
	v_mul_hi_u32 v19, s4, v14
	v_add_u32_e32 v18, v19, v18
	v_mul_lo_u32 v19, s5, v14
	v_add_u32_e32 v18, v18, v19
	v_mul_lo_u32 v20, s4, v14
	v_mul_hi_u32 v21, v15, v20
	v_mul_lo_u32 v22, v15, v20
	v_mul_lo_u32 v24, v14, v18
	v_mul_hi_u32 v20, v14, v20
	v_mul_hi_u32 v23, v14, v18
	v_add_co_u32_e32 v20, vcc, v20, v24
	v_addc_co_u32_e32 v23, vcc, 0, v23, vcc
	v_add_co_u32_e32 v20, vcc, v20, v22
	v_mul_hi_u32 v19, v15, v18
	v_addc_co_u32_e32 v20, vcc, v23, v21, vcc
	v_addc_co_u32_e32 v19, vcc, 0, v19, vcc
	v_mul_lo_u32 v18, v15, v18
	v_add_co_u32_e32 v18, vcc, v20, v18
	v_addc_co_u32_e32 v19, vcc, 0, v19, vcc
	v_add_co_u32_e32 v18, vcc, v14, v18
	v_addc_co_u32_e32 v19, vcc, v15, v19, vcc
	v_ashrrev_i32_e32 v20, 31, v17
	v_add_co_u32_e32 v14, vcc, v16, v20
	v_addc_co_u32_e32 v15, vcc, v17, v20, vcc
	v_xor_b32_e32 v22, v14, v20
	v_xor_b32_e32 v21, v15, v20
	v_mad_u64_u32 v[14:15], s[4:5], v22, v19, 0
	v_mul_hi_u32 v16, v22, v18
	v_add_co_u32_e32 v23, vcc, v16, v14
	v_addc_co_u32_e32 v24, vcc, 0, v15, vcc
	v_mad_u64_u32 v[16:17], s[4:5], v21, v18, 0
	v_add_co_u32_e32 v16, vcc, v23, v16
	v_mad_u64_u32 v[14:15], s[4:5], v21, v19, 0
	v_addc_co_u32_e32 v16, vcc, v24, v17, vcc
	v_addc_co_u32_e32 v15, vcc, 0, v15, vcc
	v_add_co_u32_e32 v16, vcc, v16, v14
	v_addc_co_u32_e32 v17, vcc, 0, v15, vcc
	v_mul_lo_u32 v18, s11, v16
	v_mul_lo_u32 v19, s10, v17
	v_mad_u64_u32 v[14:15], s[4:5], s10, v16, 0
	v_add3_u32 v15, v15, v19, v18
	v_sub_u32_e32 v18, v21, v15
	v_mov_b32_e32 v19, s11
	v_sub_co_u32_e32 v14, vcc, v22, v14
	v_subb_co_u32_e64 v18, s[4:5], v18, v19, vcc
	v_subrev_co_u32_e64 v19, s[4:5], s10, v14
	v_subbrev_co_u32_e64 v18, s[4:5], 0, v18, s[4:5]
	v_cmp_le_u32_e64 s[4:5], s11, v18
	v_cndmask_b32_e64 v22, 0, -1, s[4:5]
	v_cmp_le_u32_e64 s[4:5], s10, v19
	v_cndmask_b32_e64 v19, 0, -1, s[4:5]
	v_cmp_eq_u32_e64 s[4:5], s11, v18
	v_cndmask_b32_e64 v18, v22, v19, s[4:5]
	v_add_co_u32_e64 v19, s[4:5], 2, v16
	v_subb_co_u32_e32 v15, vcc, v21, v15, vcc
	v_addc_co_u32_e64 v22, s[4:5], 0, v17, s[4:5]
	v_cmp_le_u32_e32 vcc, s11, v15
	v_add_co_u32_e64 v23, s[4:5], 1, v16
	v_cndmask_b32_e64 v21, 0, -1, vcc
	v_cmp_le_u32_e32 vcc, s10, v14
	v_addc_co_u32_e64 v24, s[4:5], 0, v17, s[4:5]
	v_cndmask_b32_e64 v14, 0, -1, vcc
	v_cmp_eq_u32_e32 vcc, s11, v15
	v_cmp_ne_u32_e64 s[4:5], 0, v18
	v_cndmask_b32_e32 v14, v21, v14, vcc
	v_cndmask_b32_e64 v18, v24, v22, s[4:5]
	v_cmp_ne_u32_e32 vcc, 0, v14
	v_cndmask_b32_e64 v15, v23, v19, s[4:5]
	v_cndmask_b32_e32 v14, v17, v18, vcc
	v_cndmask_b32_e32 v15, v16, v15, vcc
	v_xor_b32_e32 v16, s8, v20
	v_xor_b32_e32 v17, v14, v16
	;; [unrolled: 1-line block ×3, first 2 shown]
	v_sub_co_u32_e32 v14, vcc, v14, v16
	v_subb_co_u32_e32 v15, vcc, v17, v16, vcc
                                        ; implicit-def: $vgpr16
.LBB1144_31:
	s_andn2_saveexec_b64 s[4:5], s[6:7]
	s_cbranch_execz .LBB1144_33
; %bb.32:
	v_cvt_f32_u32_e32 v14, s38
	s_sub_i32 s6, 0, s38
	v_rcp_iflag_f32_e32 v14, v14
	v_mul_f32_e32 v14, 0x4f7ffffe, v14
	v_cvt_u32_f32_e32 v14, v14
	v_mul_lo_u32 v15, s6, v14
	v_mul_hi_u32 v15, v14, v15
	v_add_u32_e32 v14, v14, v15
	v_mul_hi_u32 v14, v16, v14
	v_mul_lo_u32 v15, v14, s38
	v_sub_u32_e32 v15, v16, v15
	v_add_u32_e32 v17, 1, v14
	v_subrev_u32_e32 v16, s38, v15
	v_cmp_le_u32_e32 vcc, s38, v15
	v_cndmask_b32_e32 v15, v15, v16, vcc
	v_cndmask_b32_e32 v14, v14, v17, vcc
	v_add_u32_e32 v16, 1, v14
	v_cmp_le_u32_e32 vcc, s38, v15
	v_cndmask_b32_e32 v14, v14, v16, vcc
	v_mov_b32_e32 v15, 0
.LBB1144_33:
	s_or_b64 exec, exec, s[4:5]
	v_add_co_u32_e32 v18, vcc, 0x700, v30
	v_addc_co_u32_e32 v19, vcc, 0, v1, vcc
	v_or_b32_e32 v17, s39, v19
	v_mov_b32_e32 v16, 0
	v_cmp_ne_u64_e32 vcc, 0, v[16:17]
                                        ; implicit-def: $vgpr16_vgpr17
	s_and_saveexec_b64 s[4:5], vcc
	s_xor_b64 s[6:7], exec, s[4:5]
	s_cbranch_execz .LBB1144_35
; %bb.34:
	s_ashr_i32 s8, s39, 31
	s_add_u32 s4, s38, s8
	s_mov_b32 s9, s8
	s_addc_u32 s5, s39, s8
	s_xor_b64 s[10:11], s[4:5], s[8:9]
	v_cvt_f32_u32_e32 v16, s10
	v_cvt_f32_u32_e32 v17, s11
	s_sub_u32 s4, 0, s10
	s_subb_u32 s5, 0, s11
	v_madmk_f32 v16, v17, 0x4f800000, v16
	v_rcp_f32_e32 v16, v16
	v_mul_f32_e32 v16, 0x5f7ffffc, v16
	v_mul_f32_e32 v17, 0x2f800000, v16
	v_trunc_f32_e32 v17, v17
	v_madmk_f32 v16, v17, 0xcf800000, v16
	v_cvt_u32_f32_e32 v17, v17
	v_cvt_u32_f32_e32 v16, v16
	v_mul_lo_u32 v20, s4, v17
	v_mul_hi_u32 v22, s4, v16
	v_mul_lo_u32 v21, s5, v16
	v_add_u32_e32 v20, v22, v20
	v_mul_lo_u32 v23, s4, v16
	v_add_u32_e32 v20, v20, v21
	v_mul_lo_u32 v22, v16, v20
	v_mul_hi_u32 v24, v16, v23
	v_mul_hi_u32 v21, v16, v20
	v_add_co_u32_e32 v22, vcc, v24, v22
	v_addc_co_u32_e32 v21, vcc, 0, v21, vcc
	v_mul_hi_u32 v25, v17, v23
	v_mul_lo_u32 v23, v17, v23
	v_add_co_u32_e32 v22, vcc, v22, v23
	v_mul_hi_u32 v24, v17, v20
	v_addc_co_u32_e32 v21, vcc, v21, v25, vcc
	v_addc_co_u32_e32 v22, vcc, 0, v24, vcc
	v_mul_lo_u32 v20, v17, v20
	v_add_co_u32_e32 v20, vcc, v21, v20
	v_addc_co_u32_e32 v21, vcc, 0, v22, vcc
	v_add_co_u32_e32 v16, vcc, v16, v20
	v_addc_co_u32_e32 v17, vcc, v17, v21, vcc
	v_mul_lo_u32 v20, s4, v17
	v_mul_hi_u32 v21, s4, v16
	v_add_u32_e32 v20, v21, v20
	v_mul_lo_u32 v21, s5, v16
	v_add_u32_e32 v20, v20, v21
	v_mul_lo_u32 v22, s4, v16
	v_mul_hi_u32 v23, v17, v22
	v_mul_lo_u32 v24, v17, v22
	v_mul_lo_u32 v26, v16, v20
	v_mul_hi_u32 v22, v16, v22
	v_mul_hi_u32 v25, v16, v20
	v_add_co_u32_e32 v22, vcc, v22, v26
	v_addc_co_u32_e32 v25, vcc, 0, v25, vcc
	v_add_co_u32_e32 v22, vcc, v22, v24
	v_mul_hi_u32 v21, v17, v20
	v_addc_co_u32_e32 v22, vcc, v25, v23, vcc
	v_addc_co_u32_e32 v21, vcc, 0, v21, vcc
	v_mul_lo_u32 v20, v17, v20
	v_add_co_u32_e32 v20, vcc, v22, v20
	v_addc_co_u32_e32 v21, vcc, 0, v21, vcc
	v_add_co_u32_e32 v20, vcc, v16, v20
	v_addc_co_u32_e32 v21, vcc, v17, v21, vcc
	v_ashrrev_i32_e32 v22, 31, v19
	v_add_co_u32_e32 v16, vcc, v18, v22
	v_addc_co_u32_e32 v17, vcc, v19, v22, vcc
	v_xor_b32_e32 v24, v16, v22
	v_xor_b32_e32 v23, v17, v22
	v_mad_u64_u32 v[16:17], s[4:5], v24, v21, 0
	v_mul_hi_u32 v18, v24, v20
	v_add_co_u32_e32 v25, vcc, v18, v16
	v_addc_co_u32_e32 v26, vcc, 0, v17, vcc
	v_mad_u64_u32 v[18:19], s[4:5], v23, v20, 0
	v_add_co_u32_e32 v18, vcc, v25, v18
	v_mad_u64_u32 v[16:17], s[4:5], v23, v21, 0
	v_addc_co_u32_e32 v18, vcc, v26, v19, vcc
	v_addc_co_u32_e32 v17, vcc, 0, v17, vcc
	v_add_co_u32_e32 v18, vcc, v18, v16
	v_addc_co_u32_e32 v19, vcc, 0, v17, vcc
	v_mul_lo_u32 v20, s11, v18
	v_mul_lo_u32 v21, s10, v19
	v_mad_u64_u32 v[16:17], s[4:5], s10, v18, 0
	v_add3_u32 v17, v17, v21, v20
	v_sub_u32_e32 v20, v23, v17
	v_mov_b32_e32 v21, s11
	v_sub_co_u32_e32 v16, vcc, v24, v16
	v_subb_co_u32_e64 v20, s[4:5], v20, v21, vcc
	v_subrev_co_u32_e64 v21, s[4:5], s10, v16
	v_subbrev_co_u32_e64 v20, s[4:5], 0, v20, s[4:5]
	v_cmp_le_u32_e64 s[4:5], s11, v20
	v_cndmask_b32_e64 v24, 0, -1, s[4:5]
	v_cmp_le_u32_e64 s[4:5], s10, v21
	v_cndmask_b32_e64 v21, 0, -1, s[4:5]
	v_cmp_eq_u32_e64 s[4:5], s11, v20
	v_cndmask_b32_e64 v20, v24, v21, s[4:5]
	v_add_co_u32_e64 v21, s[4:5], 2, v18
	v_subb_co_u32_e32 v17, vcc, v23, v17, vcc
	v_addc_co_u32_e64 v24, s[4:5], 0, v19, s[4:5]
	v_cmp_le_u32_e32 vcc, s11, v17
	v_add_co_u32_e64 v25, s[4:5], 1, v18
	v_cndmask_b32_e64 v23, 0, -1, vcc
	v_cmp_le_u32_e32 vcc, s10, v16
	v_addc_co_u32_e64 v26, s[4:5], 0, v19, s[4:5]
	v_cndmask_b32_e64 v16, 0, -1, vcc
	v_cmp_eq_u32_e32 vcc, s11, v17
	v_cmp_ne_u32_e64 s[4:5], 0, v20
	v_cndmask_b32_e32 v16, v23, v16, vcc
	v_cndmask_b32_e64 v20, v26, v24, s[4:5]
	v_cmp_ne_u32_e32 vcc, 0, v16
	v_cndmask_b32_e64 v17, v25, v21, s[4:5]
	v_cndmask_b32_e32 v16, v19, v20, vcc
	v_cndmask_b32_e32 v17, v18, v17, vcc
	v_xor_b32_e32 v18, s8, v22
	v_xor_b32_e32 v19, v16, v18
	v_xor_b32_e32 v16, v17, v18
	v_sub_co_u32_e32 v16, vcc, v16, v18
	v_subb_co_u32_e32 v17, vcc, v19, v18, vcc
                                        ; implicit-def: $vgpr18
.LBB1144_35:
	s_andn2_saveexec_b64 s[4:5], s[6:7]
	s_cbranch_execz .LBB1144_37
; %bb.36:
	v_cvt_f32_u32_e32 v16, s38
	s_sub_i32 s6, 0, s38
	v_rcp_iflag_f32_e32 v16, v16
	v_mul_f32_e32 v16, 0x4f7ffffe, v16
	v_cvt_u32_f32_e32 v16, v16
	v_mul_lo_u32 v17, s6, v16
	v_mul_hi_u32 v17, v16, v17
	v_add_u32_e32 v16, v16, v17
	v_mul_hi_u32 v16, v18, v16
	v_mul_lo_u32 v17, v16, s38
	v_sub_u32_e32 v17, v18, v17
	v_add_u32_e32 v19, 1, v16
	v_subrev_u32_e32 v18, s38, v17
	v_cmp_le_u32_e32 vcc, s38, v17
	v_cndmask_b32_e32 v17, v17, v18, vcc
	v_cndmask_b32_e32 v16, v16, v19, vcc
	v_add_u32_e32 v18, 1, v16
	v_cmp_le_u32_e32 vcc, s38, v17
	v_cndmask_b32_e32 v16, v16, v18, vcc
	v_mov_b32_e32 v17, 0
.LBB1144_37:
	s_or_b64 exec, exec, s[4:5]
	v_add_co_u32_e32 v20, vcc, 0x800, v30
	v_addc_co_u32_e32 v21, vcc, 0, v1, vcc
	v_or_b32_e32 v19, s39, v21
	v_mov_b32_e32 v18, 0
	v_cmp_ne_u64_e32 vcc, 0, v[18:19]
                                        ; implicit-def: $vgpr18_vgpr19
	s_and_saveexec_b64 s[4:5], vcc
	s_xor_b64 s[6:7], exec, s[4:5]
	s_cbranch_execz .LBB1144_39
; %bb.38:
	s_ashr_i32 s8, s39, 31
	s_add_u32 s4, s38, s8
	s_mov_b32 s9, s8
	s_addc_u32 s5, s39, s8
	s_xor_b64 s[10:11], s[4:5], s[8:9]
	v_cvt_f32_u32_e32 v18, s10
	v_cvt_f32_u32_e32 v19, s11
	s_sub_u32 s4, 0, s10
	s_subb_u32 s5, 0, s11
	v_madmk_f32 v18, v19, 0x4f800000, v18
	v_rcp_f32_e32 v18, v18
	v_mul_f32_e32 v18, 0x5f7ffffc, v18
	v_mul_f32_e32 v19, 0x2f800000, v18
	v_trunc_f32_e32 v19, v19
	v_madmk_f32 v18, v19, 0xcf800000, v18
	v_cvt_u32_f32_e32 v19, v19
	v_cvt_u32_f32_e32 v18, v18
	v_mul_lo_u32 v22, s4, v19
	v_mul_hi_u32 v24, s4, v18
	v_mul_lo_u32 v23, s5, v18
	v_add_u32_e32 v22, v24, v22
	v_mul_lo_u32 v25, s4, v18
	v_add_u32_e32 v22, v22, v23
	v_mul_lo_u32 v24, v18, v22
	v_mul_hi_u32 v26, v18, v25
	v_mul_hi_u32 v23, v18, v22
	v_add_co_u32_e32 v24, vcc, v26, v24
	v_addc_co_u32_e32 v23, vcc, 0, v23, vcc
	v_mul_hi_u32 v27, v19, v25
	v_mul_lo_u32 v25, v19, v25
	v_add_co_u32_e32 v24, vcc, v24, v25
	v_mul_hi_u32 v26, v19, v22
	v_addc_co_u32_e32 v23, vcc, v23, v27, vcc
	v_addc_co_u32_e32 v24, vcc, 0, v26, vcc
	v_mul_lo_u32 v22, v19, v22
	v_add_co_u32_e32 v22, vcc, v23, v22
	v_addc_co_u32_e32 v23, vcc, 0, v24, vcc
	v_add_co_u32_e32 v18, vcc, v18, v22
	v_addc_co_u32_e32 v19, vcc, v19, v23, vcc
	v_mul_lo_u32 v22, s4, v19
	v_mul_hi_u32 v23, s4, v18
	v_add_u32_e32 v22, v23, v22
	v_mul_lo_u32 v23, s5, v18
	v_add_u32_e32 v22, v22, v23
	v_mul_lo_u32 v24, s4, v18
	v_mul_hi_u32 v25, v19, v24
	v_mul_lo_u32 v26, v19, v24
	v_mul_lo_u32 v28, v18, v22
	v_mul_hi_u32 v24, v18, v24
	v_mul_hi_u32 v27, v18, v22
	v_add_co_u32_e32 v24, vcc, v24, v28
	v_addc_co_u32_e32 v27, vcc, 0, v27, vcc
	v_add_co_u32_e32 v24, vcc, v24, v26
	v_mul_hi_u32 v23, v19, v22
	v_addc_co_u32_e32 v24, vcc, v27, v25, vcc
	v_addc_co_u32_e32 v23, vcc, 0, v23, vcc
	v_mul_lo_u32 v22, v19, v22
	v_add_co_u32_e32 v22, vcc, v24, v22
	v_addc_co_u32_e32 v23, vcc, 0, v23, vcc
	v_add_co_u32_e32 v22, vcc, v18, v22
	v_addc_co_u32_e32 v23, vcc, v19, v23, vcc
	v_ashrrev_i32_e32 v24, 31, v21
	v_add_co_u32_e32 v18, vcc, v20, v24
	v_addc_co_u32_e32 v19, vcc, v21, v24, vcc
	v_xor_b32_e32 v26, v18, v24
	v_xor_b32_e32 v25, v19, v24
	v_mad_u64_u32 v[18:19], s[4:5], v26, v23, 0
	v_mul_hi_u32 v20, v26, v22
	v_add_co_u32_e32 v27, vcc, v20, v18
	v_addc_co_u32_e32 v28, vcc, 0, v19, vcc
	v_mad_u64_u32 v[20:21], s[4:5], v25, v22, 0
	v_add_co_u32_e32 v20, vcc, v27, v20
	v_mad_u64_u32 v[18:19], s[4:5], v25, v23, 0
	v_addc_co_u32_e32 v20, vcc, v28, v21, vcc
	v_addc_co_u32_e32 v19, vcc, 0, v19, vcc
	v_add_co_u32_e32 v20, vcc, v20, v18
	v_addc_co_u32_e32 v21, vcc, 0, v19, vcc
	v_mul_lo_u32 v22, s11, v20
	v_mul_lo_u32 v23, s10, v21
	v_mad_u64_u32 v[18:19], s[4:5], s10, v20, 0
	v_add3_u32 v19, v19, v23, v22
	v_sub_u32_e32 v22, v25, v19
	v_mov_b32_e32 v23, s11
	v_sub_co_u32_e32 v18, vcc, v26, v18
	v_subb_co_u32_e64 v22, s[4:5], v22, v23, vcc
	v_subrev_co_u32_e64 v23, s[4:5], s10, v18
	v_subbrev_co_u32_e64 v22, s[4:5], 0, v22, s[4:5]
	v_cmp_le_u32_e64 s[4:5], s11, v22
	v_cndmask_b32_e64 v26, 0, -1, s[4:5]
	v_cmp_le_u32_e64 s[4:5], s10, v23
	v_cndmask_b32_e64 v23, 0, -1, s[4:5]
	v_cmp_eq_u32_e64 s[4:5], s11, v22
	v_cndmask_b32_e64 v22, v26, v23, s[4:5]
	v_add_co_u32_e64 v23, s[4:5], 2, v20
	v_subb_co_u32_e32 v19, vcc, v25, v19, vcc
	v_addc_co_u32_e64 v26, s[4:5], 0, v21, s[4:5]
	v_cmp_le_u32_e32 vcc, s11, v19
	v_add_co_u32_e64 v27, s[4:5], 1, v20
	v_cndmask_b32_e64 v25, 0, -1, vcc
	v_cmp_le_u32_e32 vcc, s10, v18
	v_addc_co_u32_e64 v28, s[4:5], 0, v21, s[4:5]
	v_cndmask_b32_e64 v18, 0, -1, vcc
	v_cmp_eq_u32_e32 vcc, s11, v19
	v_cmp_ne_u32_e64 s[4:5], 0, v22
	v_cndmask_b32_e32 v18, v25, v18, vcc
	v_cndmask_b32_e64 v22, v28, v26, s[4:5]
	v_cmp_ne_u32_e32 vcc, 0, v18
	v_cndmask_b32_e64 v19, v27, v23, s[4:5]
	v_cndmask_b32_e32 v18, v21, v22, vcc
	v_cndmask_b32_e32 v19, v20, v19, vcc
	v_xor_b32_e32 v20, s8, v24
	v_xor_b32_e32 v21, v18, v20
	;; [unrolled: 1-line block ×3, first 2 shown]
	v_sub_co_u32_e32 v18, vcc, v18, v20
	v_subb_co_u32_e32 v19, vcc, v21, v20, vcc
                                        ; implicit-def: $vgpr20
.LBB1144_39:
	s_andn2_saveexec_b64 s[4:5], s[6:7]
	s_cbranch_execz .LBB1144_41
; %bb.40:
	v_cvt_f32_u32_e32 v18, s38
	s_sub_i32 s6, 0, s38
	v_rcp_iflag_f32_e32 v18, v18
	v_mul_f32_e32 v18, 0x4f7ffffe, v18
	v_cvt_u32_f32_e32 v18, v18
	v_mul_lo_u32 v19, s6, v18
	v_mul_hi_u32 v19, v18, v19
	v_add_u32_e32 v18, v18, v19
	v_mul_hi_u32 v18, v20, v18
	v_mul_lo_u32 v19, v18, s38
	v_sub_u32_e32 v19, v20, v19
	v_add_u32_e32 v21, 1, v18
	v_subrev_u32_e32 v20, s38, v19
	v_cmp_le_u32_e32 vcc, s38, v19
	v_cndmask_b32_e32 v19, v19, v20, vcc
	v_cndmask_b32_e32 v18, v18, v21, vcc
	v_add_u32_e32 v20, 1, v18
	v_cmp_le_u32_e32 vcc, s38, v19
	v_cndmask_b32_e32 v18, v18, v20, vcc
	v_mov_b32_e32 v19, 0
.LBB1144_41:
	s_or_b64 exec, exec, s[4:5]
	v_add_co_u32_e32 v22, vcc, 0x900, v30
	v_addc_co_u32_e32 v23, vcc, 0, v1, vcc
	v_or_b32_e32 v21, s39, v23
	v_mov_b32_e32 v20, 0
	v_cmp_ne_u64_e32 vcc, 0, v[20:21]
                                        ; implicit-def: $vgpr20_vgpr21
	s_and_saveexec_b64 s[4:5], vcc
	s_xor_b64 s[6:7], exec, s[4:5]
	s_cbranch_execz .LBB1144_43
; %bb.42:
	s_ashr_i32 s8, s39, 31
	s_add_u32 s4, s38, s8
	s_mov_b32 s9, s8
	s_addc_u32 s5, s39, s8
	s_xor_b64 s[10:11], s[4:5], s[8:9]
	v_cvt_f32_u32_e32 v20, s10
	v_cvt_f32_u32_e32 v21, s11
	s_sub_u32 s4, 0, s10
	s_subb_u32 s5, 0, s11
	v_madmk_f32 v20, v21, 0x4f800000, v20
	v_rcp_f32_e32 v20, v20
	v_mul_f32_e32 v20, 0x5f7ffffc, v20
	v_mul_f32_e32 v21, 0x2f800000, v20
	v_trunc_f32_e32 v21, v21
	v_madmk_f32 v20, v21, 0xcf800000, v20
	v_cvt_u32_f32_e32 v21, v21
	v_cvt_u32_f32_e32 v20, v20
	v_mul_lo_u32 v24, s4, v21
	v_mul_hi_u32 v26, s4, v20
	v_mul_lo_u32 v25, s5, v20
	v_add_u32_e32 v24, v26, v24
	v_mul_lo_u32 v27, s4, v20
	v_add_u32_e32 v24, v24, v25
	v_mul_lo_u32 v26, v20, v24
	v_mul_hi_u32 v28, v20, v27
	v_mul_hi_u32 v25, v20, v24
	v_add_co_u32_e32 v26, vcc, v28, v26
	v_addc_co_u32_e32 v25, vcc, 0, v25, vcc
	v_mul_hi_u32 v29, v21, v27
	v_mul_lo_u32 v27, v21, v27
	v_add_co_u32_e32 v26, vcc, v26, v27
	v_mul_hi_u32 v28, v21, v24
	v_addc_co_u32_e32 v25, vcc, v25, v29, vcc
	v_addc_co_u32_e32 v26, vcc, 0, v28, vcc
	v_mul_lo_u32 v24, v21, v24
	v_add_co_u32_e32 v24, vcc, v25, v24
	v_addc_co_u32_e32 v25, vcc, 0, v26, vcc
	v_add_co_u32_e32 v20, vcc, v20, v24
	v_addc_co_u32_e32 v21, vcc, v21, v25, vcc
	v_mul_lo_u32 v24, s4, v21
	v_mul_hi_u32 v25, s4, v20
	v_add_u32_e32 v24, v25, v24
	v_mul_lo_u32 v25, s5, v20
	v_add_u32_e32 v24, v24, v25
	v_mul_lo_u32 v26, s4, v20
	v_mul_hi_u32 v27, v21, v26
	v_mul_lo_u32 v28, v21, v26
	v_mul_lo_u32 v31, v20, v24
	v_mul_hi_u32 v26, v20, v26
	v_mul_hi_u32 v29, v20, v24
	v_add_co_u32_e32 v26, vcc, v26, v31
	v_addc_co_u32_e32 v29, vcc, 0, v29, vcc
	v_add_co_u32_e32 v26, vcc, v26, v28
	v_mul_hi_u32 v25, v21, v24
	v_addc_co_u32_e32 v26, vcc, v29, v27, vcc
	v_addc_co_u32_e32 v25, vcc, 0, v25, vcc
	v_mul_lo_u32 v24, v21, v24
	v_add_co_u32_e32 v24, vcc, v26, v24
	v_addc_co_u32_e32 v25, vcc, 0, v25, vcc
	v_add_co_u32_e32 v24, vcc, v20, v24
	v_addc_co_u32_e32 v25, vcc, v21, v25, vcc
	v_ashrrev_i32_e32 v26, 31, v23
	v_add_co_u32_e32 v20, vcc, v22, v26
	v_addc_co_u32_e32 v21, vcc, v23, v26, vcc
	v_xor_b32_e32 v28, v20, v26
	v_xor_b32_e32 v27, v21, v26
	v_mad_u64_u32 v[20:21], s[4:5], v28, v25, 0
	v_mul_hi_u32 v22, v28, v24
	v_add_co_u32_e32 v29, vcc, v22, v20
	v_addc_co_u32_e32 v31, vcc, 0, v21, vcc
	v_mad_u64_u32 v[22:23], s[4:5], v27, v24, 0
	v_add_co_u32_e32 v22, vcc, v29, v22
	v_mad_u64_u32 v[20:21], s[4:5], v27, v25, 0
	v_addc_co_u32_e32 v22, vcc, v31, v23, vcc
	v_addc_co_u32_e32 v21, vcc, 0, v21, vcc
	v_add_co_u32_e32 v22, vcc, v22, v20
	v_addc_co_u32_e32 v23, vcc, 0, v21, vcc
	v_mul_lo_u32 v24, s11, v22
	v_mul_lo_u32 v25, s10, v23
	v_mad_u64_u32 v[20:21], s[4:5], s10, v22, 0
	v_add3_u32 v21, v21, v25, v24
	v_sub_u32_e32 v24, v27, v21
	v_mov_b32_e32 v25, s11
	v_sub_co_u32_e32 v20, vcc, v28, v20
	v_subb_co_u32_e64 v24, s[4:5], v24, v25, vcc
	v_subrev_co_u32_e64 v25, s[4:5], s10, v20
	v_subbrev_co_u32_e64 v24, s[4:5], 0, v24, s[4:5]
	v_cmp_le_u32_e64 s[4:5], s11, v24
	v_cndmask_b32_e64 v28, 0, -1, s[4:5]
	v_cmp_le_u32_e64 s[4:5], s10, v25
	v_cndmask_b32_e64 v25, 0, -1, s[4:5]
	v_cmp_eq_u32_e64 s[4:5], s11, v24
	v_cndmask_b32_e64 v24, v28, v25, s[4:5]
	v_add_co_u32_e64 v25, s[4:5], 2, v22
	v_subb_co_u32_e32 v21, vcc, v27, v21, vcc
	v_addc_co_u32_e64 v28, s[4:5], 0, v23, s[4:5]
	v_cmp_le_u32_e32 vcc, s11, v21
	v_add_co_u32_e64 v29, s[4:5], 1, v22
	v_cndmask_b32_e64 v27, 0, -1, vcc
	v_cmp_le_u32_e32 vcc, s10, v20
	v_addc_co_u32_e64 v31, s[4:5], 0, v23, s[4:5]
	v_cndmask_b32_e64 v20, 0, -1, vcc
	v_cmp_eq_u32_e32 vcc, s11, v21
	v_cmp_ne_u32_e64 s[4:5], 0, v24
	v_cndmask_b32_e32 v20, v27, v20, vcc
	v_cndmask_b32_e64 v24, v31, v28, s[4:5]
	v_cmp_ne_u32_e32 vcc, 0, v20
	v_cndmask_b32_e64 v21, v29, v25, s[4:5]
	v_cndmask_b32_e32 v20, v23, v24, vcc
	v_cndmask_b32_e32 v21, v22, v21, vcc
	v_xor_b32_e32 v22, s8, v26
	v_xor_b32_e32 v23, v20, v22
	;; [unrolled: 1-line block ×3, first 2 shown]
	v_sub_co_u32_e32 v20, vcc, v20, v22
	v_subb_co_u32_e32 v21, vcc, v23, v22, vcc
                                        ; implicit-def: $vgpr22
.LBB1144_43:
	s_andn2_saveexec_b64 s[4:5], s[6:7]
	s_cbranch_execz .LBB1144_45
; %bb.44:
	v_cvt_f32_u32_e32 v20, s38
	s_sub_i32 s6, 0, s38
	v_rcp_iflag_f32_e32 v20, v20
	v_mul_f32_e32 v20, 0x4f7ffffe, v20
	v_cvt_u32_f32_e32 v20, v20
	v_mul_lo_u32 v21, s6, v20
	v_mul_hi_u32 v21, v20, v21
	v_add_u32_e32 v20, v20, v21
	v_mul_hi_u32 v20, v22, v20
	v_mul_lo_u32 v21, v20, s38
	v_sub_u32_e32 v21, v22, v21
	v_add_u32_e32 v23, 1, v20
	v_subrev_u32_e32 v22, s38, v21
	v_cmp_le_u32_e32 vcc, s38, v21
	v_cndmask_b32_e32 v21, v21, v22, vcc
	v_cndmask_b32_e32 v20, v20, v23, vcc
	v_add_u32_e32 v22, 1, v20
	v_cmp_le_u32_e32 vcc, s38, v21
	v_cndmask_b32_e32 v20, v20, v22, vcc
	v_mov_b32_e32 v21, 0
.LBB1144_45:
	s_or_b64 exec, exec, s[4:5]
	v_add_co_u32_e32 v24, vcc, 0xa00, v30
	v_addc_co_u32_e32 v25, vcc, 0, v1, vcc
	v_or_b32_e32 v23, s39, v25
	v_mov_b32_e32 v22, 0
	v_cmp_ne_u64_e32 vcc, 0, v[22:23]
                                        ; implicit-def: $vgpr22_vgpr23
	s_and_saveexec_b64 s[4:5], vcc
	s_xor_b64 s[6:7], exec, s[4:5]
	s_cbranch_execz .LBB1144_47
; %bb.46:
	s_ashr_i32 s8, s39, 31
	s_add_u32 s4, s38, s8
	s_mov_b32 s9, s8
	s_addc_u32 s5, s39, s8
	s_xor_b64 s[10:11], s[4:5], s[8:9]
	v_cvt_f32_u32_e32 v22, s10
	v_cvt_f32_u32_e32 v23, s11
	s_sub_u32 s4, 0, s10
	s_subb_u32 s5, 0, s11
	v_madmk_f32 v22, v23, 0x4f800000, v22
	v_rcp_f32_e32 v22, v22
	v_mul_f32_e32 v22, 0x5f7ffffc, v22
	v_mul_f32_e32 v23, 0x2f800000, v22
	v_trunc_f32_e32 v23, v23
	v_madmk_f32 v22, v23, 0xcf800000, v22
	v_cvt_u32_f32_e32 v23, v23
	v_cvt_u32_f32_e32 v22, v22
	v_mul_lo_u32 v26, s4, v23
	v_mul_hi_u32 v28, s4, v22
	v_mul_lo_u32 v27, s5, v22
	v_add_u32_e32 v26, v28, v26
	v_mul_lo_u32 v29, s4, v22
	v_add_u32_e32 v26, v26, v27
	v_mul_lo_u32 v28, v22, v26
	v_mul_hi_u32 v31, v22, v29
	v_mul_hi_u32 v27, v22, v26
	v_add_co_u32_e32 v28, vcc, v31, v28
	v_addc_co_u32_e32 v27, vcc, 0, v27, vcc
	v_mul_hi_u32 v32, v23, v29
	v_mul_lo_u32 v29, v23, v29
	v_add_co_u32_e32 v28, vcc, v28, v29
	v_mul_hi_u32 v31, v23, v26
	v_addc_co_u32_e32 v27, vcc, v27, v32, vcc
	v_addc_co_u32_e32 v28, vcc, 0, v31, vcc
	v_mul_lo_u32 v26, v23, v26
	v_add_co_u32_e32 v26, vcc, v27, v26
	v_addc_co_u32_e32 v27, vcc, 0, v28, vcc
	v_add_co_u32_e32 v22, vcc, v22, v26
	v_addc_co_u32_e32 v23, vcc, v23, v27, vcc
	v_mul_lo_u32 v26, s4, v23
	v_mul_hi_u32 v27, s4, v22
	v_add_u32_e32 v26, v27, v26
	v_mul_lo_u32 v27, s5, v22
	v_add_u32_e32 v26, v26, v27
	v_mul_lo_u32 v28, s4, v22
	v_mul_hi_u32 v29, v23, v28
	v_mul_lo_u32 v31, v23, v28
	v_mul_lo_u32 v33, v22, v26
	v_mul_hi_u32 v28, v22, v28
	v_mul_hi_u32 v32, v22, v26
	v_add_co_u32_e32 v28, vcc, v28, v33
	v_addc_co_u32_e32 v32, vcc, 0, v32, vcc
	v_add_co_u32_e32 v28, vcc, v28, v31
	v_mul_hi_u32 v27, v23, v26
	v_addc_co_u32_e32 v28, vcc, v32, v29, vcc
	v_addc_co_u32_e32 v27, vcc, 0, v27, vcc
	v_mul_lo_u32 v26, v23, v26
	v_add_co_u32_e32 v26, vcc, v28, v26
	v_addc_co_u32_e32 v27, vcc, 0, v27, vcc
	v_add_co_u32_e32 v26, vcc, v22, v26
	v_addc_co_u32_e32 v27, vcc, v23, v27, vcc
	v_ashrrev_i32_e32 v28, 31, v25
	v_add_co_u32_e32 v22, vcc, v24, v28
	v_addc_co_u32_e32 v23, vcc, v25, v28, vcc
	v_xor_b32_e32 v31, v22, v28
	v_xor_b32_e32 v29, v23, v28
	v_mad_u64_u32 v[22:23], s[4:5], v31, v27, 0
	v_mul_hi_u32 v24, v31, v26
	v_add_co_u32_e32 v32, vcc, v24, v22
	v_addc_co_u32_e32 v33, vcc, 0, v23, vcc
	v_mad_u64_u32 v[24:25], s[4:5], v29, v26, 0
	v_add_co_u32_e32 v24, vcc, v32, v24
	v_mad_u64_u32 v[22:23], s[4:5], v29, v27, 0
	v_addc_co_u32_e32 v24, vcc, v33, v25, vcc
	v_addc_co_u32_e32 v23, vcc, 0, v23, vcc
	v_add_co_u32_e32 v24, vcc, v24, v22
	v_addc_co_u32_e32 v25, vcc, 0, v23, vcc
	v_mul_lo_u32 v26, s11, v24
	v_mul_lo_u32 v27, s10, v25
	v_mad_u64_u32 v[22:23], s[4:5], s10, v24, 0
	v_add3_u32 v23, v23, v27, v26
	v_sub_u32_e32 v26, v29, v23
	v_mov_b32_e32 v27, s11
	v_sub_co_u32_e32 v22, vcc, v31, v22
	v_subb_co_u32_e64 v26, s[4:5], v26, v27, vcc
	v_subrev_co_u32_e64 v27, s[4:5], s10, v22
	v_subbrev_co_u32_e64 v26, s[4:5], 0, v26, s[4:5]
	v_cmp_le_u32_e64 s[4:5], s11, v26
	v_cndmask_b32_e64 v31, 0, -1, s[4:5]
	v_cmp_le_u32_e64 s[4:5], s10, v27
	v_cndmask_b32_e64 v27, 0, -1, s[4:5]
	v_cmp_eq_u32_e64 s[4:5], s11, v26
	v_cndmask_b32_e64 v26, v31, v27, s[4:5]
	v_add_co_u32_e64 v27, s[4:5], 2, v24
	v_subb_co_u32_e32 v23, vcc, v29, v23, vcc
	v_addc_co_u32_e64 v31, s[4:5], 0, v25, s[4:5]
	v_cmp_le_u32_e32 vcc, s11, v23
	v_add_co_u32_e64 v32, s[4:5], 1, v24
	v_cndmask_b32_e64 v29, 0, -1, vcc
	v_cmp_le_u32_e32 vcc, s10, v22
	v_addc_co_u32_e64 v33, s[4:5], 0, v25, s[4:5]
	v_cndmask_b32_e64 v22, 0, -1, vcc
	v_cmp_eq_u32_e32 vcc, s11, v23
	v_cmp_ne_u32_e64 s[4:5], 0, v26
	v_cndmask_b32_e32 v22, v29, v22, vcc
	v_cndmask_b32_e64 v26, v33, v31, s[4:5]
	v_cmp_ne_u32_e32 vcc, 0, v22
	v_cndmask_b32_e64 v23, v32, v27, s[4:5]
	v_cndmask_b32_e32 v22, v25, v26, vcc
	v_cndmask_b32_e32 v23, v24, v23, vcc
	v_xor_b32_e32 v24, s8, v28
	v_xor_b32_e32 v25, v22, v24
	;; [unrolled: 1-line block ×3, first 2 shown]
	v_sub_co_u32_e32 v22, vcc, v22, v24
	v_subb_co_u32_e32 v23, vcc, v25, v24, vcc
                                        ; implicit-def: $vgpr24
.LBB1144_47:
	s_andn2_saveexec_b64 s[4:5], s[6:7]
	s_cbranch_execz .LBB1144_49
; %bb.48:
	v_cvt_f32_u32_e32 v22, s38
	s_sub_i32 s6, 0, s38
	v_rcp_iflag_f32_e32 v22, v22
	v_mul_f32_e32 v22, 0x4f7ffffe, v22
	v_cvt_u32_f32_e32 v22, v22
	v_mul_lo_u32 v23, s6, v22
	v_mul_hi_u32 v23, v22, v23
	v_add_u32_e32 v22, v22, v23
	v_mul_hi_u32 v22, v24, v22
	v_mul_lo_u32 v23, v22, s38
	v_sub_u32_e32 v23, v24, v23
	v_add_u32_e32 v25, 1, v22
	v_subrev_u32_e32 v24, s38, v23
	v_cmp_le_u32_e32 vcc, s38, v23
	v_cndmask_b32_e32 v23, v23, v24, vcc
	v_cndmask_b32_e32 v22, v22, v25, vcc
	v_add_u32_e32 v24, 1, v22
	v_cmp_le_u32_e32 vcc, s38, v23
	v_cndmask_b32_e32 v22, v22, v24, vcc
	v_mov_b32_e32 v23, 0
.LBB1144_49:
	s_or_b64 exec, exec, s[4:5]
	v_add_co_u32_e32 v26, vcc, 0xb00, v30
	v_addc_co_u32_e32 v27, vcc, 0, v1, vcc
	v_or_b32_e32 v25, s39, v27
	v_mov_b32_e32 v24, 0
	v_cmp_ne_u64_e32 vcc, 0, v[24:25]
                                        ; implicit-def: $vgpr24_vgpr25
	s_and_saveexec_b64 s[4:5], vcc
	s_xor_b64 s[6:7], exec, s[4:5]
	s_cbranch_execz .LBB1144_51
; %bb.50:
	s_ashr_i32 s8, s39, 31
	s_add_u32 s4, s38, s8
	s_mov_b32 s9, s8
	s_addc_u32 s5, s39, s8
	s_xor_b64 s[10:11], s[4:5], s[8:9]
	v_cvt_f32_u32_e32 v24, s10
	v_cvt_f32_u32_e32 v25, s11
	s_sub_u32 s4, 0, s10
	s_subb_u32 s5, 0, s11
	v_madmk_f32 v24, v25, 0x4f800000, v24
	v_rcp_f32_e32 v24, v24
	v_mul_f32_e32 v24, 0x5f7ffffc, v24
	v_mul_f32_e32 v25, 0x2f800000, v24
	v_trunc_f32_e32 v25, v25
	v_madmk_f32 v24, v25, 0xcf800000, v24
	v_cvt_u32_f32_e32 v25, v25
	v_cvt_u32_f32_e32 v24, v24
	v_mul_lo_u32 v28, s4, v25
	v_mul_hi_u32 v31, s4, v24
	v_mul_lo_u32 v29, s5, v24
	v_add_u32_e32 v28, v31, v28
	v_mul_lo_u32 v32, s4, v24
	v_add_u32_e32 v28, v28, v29
	v_mul_lo_u32 v31, v24, v28
	v_mul_hi_u32 v33, v24, v32
	v_mul_hi_u32 v29, v24, v28
	v_add_co_u32_e32 v31, vcc, v33, v31
	v_addc_co_u32_e32 v29, vcc, 0, v29, vcc
	v_mul_hi_u32 v34, v25, v32
	v_mul_lo_u32 v32, v25, v32
	v_add_co_u32_e32 v31, vcc, v31, v32
	v_mul_hi_u32 v33, v25, v28
	v_addc_co_u32_e32 v29, vcc, v29, v34, vcc
	v_addc_co_u32_e32 v31, vcc, 0, v33, vcc
	v_mul_lo_u32 v28, v25, v28
	v_add_co_u32_e32 v28, vcc, v29, v28
	v_addc_co_u32_e32 v29, vcc, 0, v31, vcc
	v_add_co_u32_e32 v24, vcc, v24, v28
	v_addc_co_u32_e32 v25, vcc, v25, v29, vcc
	v_mul_lo_u32 v28, s4, v25
	v_mul_hi_u32 v29, s4, v24
	v_add_u32_e32 v28, v29, v28
	v_mul_lo_u32 v29, s5, v24
	v_add_u32_e32 v28, v28, v29
	v_mul_lo_u32 v31, s4, v24
	v_mul_hi_u32 v32, v25, v31
	v_mul_lo_u32 v33, v25, v31
	v_mul_lo_u32 v35, v24, v28
	v_mul_hi_u32 v31, v24, v31
	v_mul_hi_u32 v34, v24, v28
	v_add_co_u32_e32 v31, vcc, v31, v35
	v_addc_co_u32_e32 v34, vcc, 0, v34, vcc
	v_add_co_u32_e32 v31, vcc, v31, v33
	v_mul_hi_u32 v29, v25, v28
	v_addc_co_u32_e32 v31, vcc, v34, v32, vcc
	v_addc_co_u32_e32 v29, vcc, 0, v29, vcc
	v_mul_lo_u32 v28, v25, v28
	v_add_co_u32_e32 v28, vcc, v31, v28
	v_addc_co_u32_e32 v29, vcc, 0, v29, vcc
	v_add_co_u32_e32 v28, vcc, v24, v28
	v_addc_co_u32_e32 v29, vcc, v25, v29, vcc
	v_ashrrev_i32_e32 v31, 31, v27
	v_add_co_u32_e32 v24, vcc, v26, v31
	v_addc_co_u32_e32 v25, vcc, v27, v31, vcc
	v_xor_b32_e32 v33, v24, v31
	v_xor_b32_e32 v32, v25, v31
	v_mad_u64_u32 v[24:25], s[4:5], v33, v29, 0
	v_mul_hi_u32 v26, v33, v28
	v_add_co_u32_e32 v34, vcc, v26, v24
	v_addc_co_u32_e32 v35, vcc, 0, v25, vcc
	v_mad_u64_u32 v[26:27], s[4:5], v32, v28, 0
	v_add_co_u32_e32 v26, vcc, v34, v26
	v_mad_u64_u32 v[24:25], s[4:5], v32, v29, 0
	v_addc_co_u32_e32 v26, vcc, v35, v27, vcc
	v_addc_co_u32_e32 v25, vcc, 0, v25, vcc
	v_add_co_u32_e32 v26, vcc, v26, v24
	v_addc_co_u32_e32 v27, vcc, 0, v25, vcc
	v_mul_lo_u32 v28, s11, v26
	v_mul_lo_u32 v29, s10, v27
	v_mad_u64_u32 v[24:25], s[4:5], s10, v26, 0
	v_add3_u32 v25, v25, v29, v28
	v_sub_u32_e32 v28, v32, v25
	v_mov_b32_e32 v29, s11
	v_sub_co_u32_e32 v24, vcc, v33, v24
	v_subb_co_u32_e64 v28, s[4:5], v28, v29, vcc
	v_subrev_co_u32_e64 v29, s[4:5], s10, v24
	v_subbrev_co_u32_e64 v28, s[4:5], 0, v28, s[4:5]
	v_cmp_le_u32_e64 s[4:5], s11, v28
	v_cndmask_b32_e64 v33, 0, -1, s[4:5]
	v_cmp_le_u32_e64 s[4:5], s10, v29
	v_cndmask_b32_e64 v29, 0, -1, s[4:5]
	v_cmp_eq_u32_e64 s[4:5], s11, v28
	v_cndmask_b32_e64 v28, v33, v29, s[4:5]
	v_add_co_u32_e64 v29, s[4:5], 2, v26
	v_subb_co_u32_e32 v25, vcc, v32, v25, vcc
	v_addc_co_u32_e64 v33, s[4:5], 0, v27, s[4:5]
	v_cmp_le_u32_e32 vcc, s11, v25
	v_add_co_u32_e64 v34, s[4:5], 1, v26
	v_cndmask_b32_e64 v32, 0, -1, vcc
	v_cmp_le_u32_e32 vcc, s10, v24
	v_addc_co_u32_e64 v35, s[4:5], 0, v27, s[4:5]
	v_cndmask_b32_e64 v24, 0, -1, vcc
	v_cmp_eq_u32_e32 vcc, s11, v25
	v_cmp_ne_u32_e64 s[4:5], 0, v28
	v_cndmask_b32_e32 v24, v32, v24, vcc
	v_cndmask_b32_e64 v28, v35, v33, s[4:5]
	v_cmp_ne_u32_e32 vcc, 0, v24
	v_cndmask_b32_e64 v25, v34, v29, s[4:5]
	v_cndmask_b32_e32 v24, v27, v28, vcc
	v_cndmask_b32_e32 v25, v26, v25, vcc
	v_xor_b32_e32 v26, s8, v31
	v_xor_b32_e32 v27, v24, v26
	;; [unrolled: 1-line block ×3, first 2 shown]
	v_sub_co_u32_e32 v24, vcc, v24, v26
	v_subb_co_u32_e32 v25, vcc, v27, v26, vcc
                                        ; implicit-def: $vgpr26
.LBB1144_51:
	s_andn2_saveexec_b64 s[4:5], s[6:7]
	s_cbranch_execz .LBB1144_53
; %bb.52:
	v_cvt_f32_u32_e32 v24, s38
	s_sub_i32 s6, 0, s38
	v_rcp_iflag_f32_e32 v24, v24
	v_mul_f32_e32 v24, 0x4f7ffffe, v24
	v_cvt_u32_f32_e32 v24, v24
	v_mul_lo_u32 v25, s6, v24
	v_mul_hi_u32 v25, v24, v25
	v_add_u32_e32 v24, v24, v25
	v_mul_hi_u32 v24, v26, v24
	v_mul_lo_u32 v25, v24, s38
	v_sub_u32_e32 v25, v26, v25
	v_add_u32_e32 v27, 1, v24
	v_subrev_u32_e32 v26, s38, v25
	v_cmp_le_u32_e32 vcc, s38, v25
	v_cndmask_b32_e32 v25, v25, v26, vcc
	v_cndmask_b32_e32 v24, v24, v27, vcc
	v_add_u32_e32 v26, 1, v24
	v_cmp_le_u32_e32 vcc, s38, v25
	v_cndmask_b32_e32 v24, v24, v26, vcc
	v_mov_b32_e32 v25, 0
.LBB1144_53:
	s_or_b64 exec, exec, s[4:5]
	v_add_co_u32_e32 v28, vcc, 0xc00, v30
	v_addc_co_u32_e32 v29, vcc, 0, v1, vcc
	v_or_b32_e32 v27, s39, v29
	v_mov_b32_e32 v26, 0
	v_cmp_ne_u64_e32 vcc, 0, v[26:27]
                                        ; implicit-def: $vgpr26_vgpr27
	s_and_saveexec_b64 s[4:5], vcc
	s_xor_b64 s[6:7], exec, s[4:5]
	s_cbranch_execz .LBB1144_55
; %bb.54:
	s_ashr_i32 s8, s39, 31
	s_add_u32 s4, s38, s8
	s_mov_b32 s9, s8
	s_addc_u32 s5, s39, s8
	s_xor_b64 s[10:11], s[4:5], s[8:9]
	v_cvt_f32_u32_e32 v26, s10
	v_cvt_f32_u32_e32 v27, s11
	s_sub_u32 s4, 0, s10
	s_subb_u32 s5, 0, s11
	v_madmk_f32 v26, v27, 0x4f800000, v26
	v_rcp_f32_e32 v26, v26
	v_mul_f32_e32 v26, 0x5f7ffffc, v26
	v_mul_f32_e32 v27, 0x2f800000, v26
	v_trunc_f32_e32 v27, v27
	v_madmk_f32 v26, v27, 0xcf800000, v26
	v_cvt_u32_f32_e32 v27, v27
	v_cvt_u32_f32_e32 v26, v26
	v_mul_lo_u32 v31, s4, v27
	v_mul_hi_u32 v33, s4, v26
	v_mul_lo_u32 v32, s5, v26
	v_add_u32_e32 v31, v33, v31
	v_mul_lo_u32 v34, s4, v26
	v_add_u32_e32 v31, v31, v32
	v_mul_lo_u32 v33, v26, v31
	v_mul_hi_u32 v35, v26, v34
	v_mul_hi_u32 v32, v26, v31
	v_add_co_u32_e32 v33, vcc, v35, v33
	v_addc_co_u32_e32 v32, vcc, 0, v32, vcc
	v_mul_hi_u32 v36, v27, v34
	v_mul_lo_u32 v34, v27, v34
	v_add_co_u32_e32 v33, vcc, v33, v34
	v_mul_hi_u32 v35, v27, v31
	v_addc_co_u32_e32 v32, vcc, v32, v36, vcc
	v_addc_co_u32_e32 v33, vcc, 0, v35, vcc
	v_mul_lo_u32 v31, v27, v31
	v_add_co_u32_e32 v31, vcc, v32, v31
	v_addc_co_u32_e32 v32, vcc, 0, v33, vcc
	v_add_co_u32_e32 v26, vcc, v26, v31
	v_addc_co_u32_e32 v27, vcc, v27, v32, vcc
	v_mul_lo_u32 v31, s4, v27
	v_mul_hi_u32 v32, s4, v26
	v_add_u32_e32 v31, v32, v31
	v_mul_lo_u32 v32, s5, v26
	v_add_u32_e32 v31, v31, v32
	v_mul_lo_u32 v33, s4, v26
	v_mul_hi_u32 v34, v27, v33
	v_mul_lo_u32 v35, v27, v33
	v_mul_lo_u32 v37, v26, v31
	v_mul_hi_u32 v33, v26, v33
	v_mul_hi_u32 v36, v26, v31
	v_add_co_u32_e32 v33, vcc, v33, v37
	v_addc_co_u32_e32 v36, vcc, 0, v36, vcc
	v_add_co_u32_e32 v33, vcc, v33, v35
	v_mul_hi_u32 v32, v27, v31
	v_addc_co_u32_e32 v33, vcc, v36, v34, vcc
	v_addc_co_u32_e32 v32, vcc, 0, v32, vcc
	v_mul_lo_u32 v31, v27, v31
	v_add_co_u32_e32 v31, vcc, v33, v31
	v_addc_co_u32_e32 v32, vcc, 0, v32, vcc
	v_add_co_u32_e32 v31, vcc, v26, v31
	v_addc_co_u32_e32 v32, vcc, v27, v32, vcc
	v_ashrrev_i32_e32 v33, 31, v29
	v_add_co_u32_e32 v26, vcc, v28, v33
	v_addc_co_u32_e32 v27, vcc, v29, v33, vcc
	v_xor_b32_e32 v35, v26, v33
	v_xor_b32_e32 v34, v27, v33
	v_mad_u64_u32 v[26:27], s[4:5], v35, v32, 0
	v_mul_hi_u32 v28, v35, v31
	v_add_co_u32_e32 v36, vcc, v28, v26
	v_addc_co_u32_e32 v37, vcc, 0, v27, vcc
	v_mad_u64_u32 v[28:29], s[4:5], v34, v31, 0
	v_add_co_u32_e32 v28, vcc, v36, v28
	v_mad_u64_u32 v[26:27], s[4:5], v34, v32, 0
	v_addc_co_u32_e32 v28, vcc, v37, v29, vcc
	v_addc_co_u32_e32 v27, vcc, 0, v27, vcc
	v_add_co_u32_e32 v28, vcc, v28, v26
	v_addc_co_u32_e32 v29, vcc, 0, v27, vcc
	v_mul_lo_u32 v31, s11, v28
	v_mul_lo_u32 v32, s10, v29
	v_mad_u64_u32 v[26:27], s[4:5], s10, v28, 0
	v_add3_u32 v27, v27, v32, v31
	v_sub_u32_e32 v31, v34, v27
	v_mov_b32_e32 v32, s11
	v_sub_co_u32_e32 v26, vcc, v35, v26
	v_subb_co_u32_e64 v31, s[4:5], v31, v32, vcc
	v_subrev_co_u32_e64 v32, s[4:5], s10, v26
	v_subbrev_co_u32_e64 v31, s[4:5], 0, v31, s[4:5]
	v_cmp_le_u32_e64 s[4:5], s11, v31
	v_cndmask_b32_e64 v35, 0, -1, s[4:5]
	v_cmp_le_u32_e64 s[4:5], s10, v32
	v_cndmask_b32_e64 v32, 0, -1, s[4:5]
	v_cmp_eq_u32_e64 s[4:5], s11, v31
	v_cndmask_b32_e64 v31, v35, v32, s[4:5]
	v_add_co_u32_e64 v32, s[4:5], 2, v28
	v_subb_co_u32_e32 v27, vcc, v34, v27, vcc
	v_addc_co_u32_e64 v35, s[4:5], 0, v29, s[4:5]
	v_cmp_le_u32_e32 vcc, s11, v27
	v_add_co_u32_e64 v36, s[4:5], 1, v28
	v_cndmask_b32_e64 v34, 0, -1, vcc
	v_cmp_le_u32_e32 vcc, s10, v26
	v_addc_co_u32_e64 v37, s[4:5], 0, v29, s[4:5]
	v_cndmask_b32_e64 v26, 0, -1, vcc
	v_cmp_eq_u32_e32 vcc, s11, v27
	v_cmp_ne_u32_e64 s[4:5], 0, v31
	v_cndmask_b32_e32 v26, v34, v26, vcc
	v_cndmask_b32_e64 v31, v37, v35, s[4:5]
	v_cmp_ne_u32_e32 vcc, 0, v26
	v_cndmask_b32_e64 v27, v36, v32, s[4:5]
	v_cndmask_b32_e32 v26, v29, v31, vcc
	v_cndmask_b32_e32 v27, v28, v27, vcc
	v_xor_b32_e32 v28, s8, v33
	v_xor_b32_e32 v29, v26, v28
	;; [unrolled: 1-line block ×3, first 2 shown]
	v_sub_co_u32_e32 v26, vcc, v26, v28
	v_subb_co_u32_e32 v27, vcc, v29, v28, vcc
                                        ; implicit-def: $vgpr28
.LBB1144_55:
	s_andn2_saveexec_b64 s[4:5], s[6:7]
	s_cbranch_execz .LBB1144_57
; %bb.56:
	v_cvt_f32_u32_e32 v26, s38
	s_sub_i32 s6, 0, s38
	v_rcp_iflag_f32_e32 v26, v26
	v_mul_f32_e32 v26, 0x4f7ffffe, v26
	v_cvt_u32_f32_e32 v26, v26
	v_mul_lo_u32 v27, s6, v26
	v_mul_hi_u32 v27, v26, v27
	v_add_u32_e32 v26, v26, v27
	v_mul_hi_u32 v26, v28, v26
	v_mul_lo_u32 v27, v26, s38
	v_sub_u32_e32 v27, v28, v27
	v_add_u32_e32 v29, 1, v26
	v_subrev_u32_e32 v28, s38, v27
	v_cmp_le_u32_e32 vcc, s38, v27
	v_cndmask_b32_e32 v27, v27, v28, vcc
	v_cndmask_b32_e32 v26, v26, v29, vcc
	v_add_u32_e32 v28, 1, v26
	v_cmp_le_u32_e32 vcc, s38, v27
	v_cndmask_b32_e32 v26, v26, v28, vcc
	v_mov_b32_e32 v27, 0
.LBB1144_57:
	s_or_b64 exec, exec, s[4:5]
	v_add_co_u32_e32 v31, vcc, 0xd00, v30
	v_addc_co_u32_e32 v32, vcc, 0, v1, vcc
	v_or_b32_e32 v29, s39, v32
	v_mov_b32_e32 v28, 0
	v_cmp_ne_u64_e32 vcc, 0, v[28:29]
                                        ; implicit-def: $vgpr28_vgpr29
	s_and_saveexec_b64 s[4:5], vcc
	s_xor_b64 s[6:7], exec, s[4:5]
	s_cbranch_execz .LBB1144_59
; %bb.58:
	s_ashr_i32 s8, s39, 31
	s_add_u32 s4, s38, s8
	s_mov_b32 s9, s8
	s_addc_u32 s5, s39, s8
	s_xor_b64 s[10:11], s[4:5], s[8:9]
	v_cvt_f32_u32_e32 v28, s10
	v_cvt_f32_u32_e32 v29, s11
	s_sub_u32 s4, 0, s10
	s_subb_u32 s5, 0, s11
	v_madmk_f32 v28, v29, 0x4f800000, v28
	v_rcp_f32_e32 v28, v28
	v_mul_f32_e32 v28, 0x5f7ffffc, v28
	v_mul_f32_e32 v29, 0x2f800000, v28
	v_trunc_f32_e32 v29, v29
	v_madmk_f32 v28, v29, 0xcf800000, v28
	v_cvt_u32_f32_e32 v29, v29
	v_cvt_u32_f32_e32 v28, v28
	v_mul_lo_u32 v33, s4, v29
	v_mul_hi_u32 v35, s4, v28
	v_mul_lo_u32 v34, s5, v28
	v_add_u32_e32 v33, v35, v33
	v_mul_lo_u32 v36, s4, v28
	v_add_u32_e32 v33, v33, v34
	v_mul_lo_u32 v35, v28, v33
	v_mul_hi_u32 v37, v28, v36
	v_mul_hi_u32 v34, v28, v33
	v_add_co_u32_e32 v35, vcc, v37, v35
	v_addc_co_u32_e32 v34, vcc, 0, v34, vcc
	v_mul_hi_u32 v38, v29, v36
	v_mul_lo_u32 v36, v29, v36
	v_add_co_u32_e32 v35, vcc, v35, v36
	v_mul_hi_u32 v37, v29, v33
	v_addc_co_u32_e32 v34, vcc, v34, v38, vcc
	v_addc_co_u32_e32 v35, vcc, 0, v37, vcc
	v_mul_lo_u32 v33, v29, v33
	v_add_co_u32_e32 v33, vcc, v34, v33
	v_addc_co_u32_e32 v34, vcc, 0, v35, vcc
	v_add_co_u32_e32 v28, vcc, v28, v33
	v_addc_co_u32_e32 v29, vcc, v29, v34, vcc
	v_mul_lo_u32 v33, s4, v29
	v_mul_hi_u32 v34, s4, v28
	v_add_u32_e32 v33, v34, v33
	v_mul_lo_u32 v34, s5, v28
	v_add_u32_e32 v33, v33, v34
	v_mul_lo_u32 v35, s4, v28
	v_mul_hi_u32 v36, v29, v35
	v_mul_lo_u32 v37, v29, v35
	v_mul_lo_u32 v39, v28, v33
	v_mul_hi_u32 v35, v28, v35
	v_mul_hi_u32 v38, v28, v33
	v_add_co_u32_e32 v35, vcc, v35, v39
	v_addc_co_u32_e32 v38, vcc, 0, v38, vcc
	v_add_co_u32_e32 v35, vcc, v35, v37
	v_mul_hi_u32 v34, v29, v33
	v_addc_co_u32_e32 v35, vcc, v38, v36, vcc
	v_addc_co_u32_e32 v34, vcc, 0, v34, vcc
	v_mul_lo_u32 v33, v29, v33
	v_add_co_u32_e32 v33, vcc, v35, v33
	v_addc_co_u32_e32 v34, vcc, 0, v34, vcc
	v_add_co_u32_e32 v33, vcc, v28, v33
	v_addc_co_u32_e32 v34, vcc, v29, v34, vcc
	v_ashrrev_i32_e32 v35, 31, v32
	v_add_co_u32_e32 v28, vcc, v31, v35
	v_addc_co_u32_e32 v29, vcc, v32, v35, vcc
	v_xor_b32_e32 v36, v28, v35
	v_xor_b32_e32 v31, v29, v35
	v_mad_u64_u32 v[28:29], s[4:5], v36, v34, 0
	v_mul_hi_u32 v32, v36, v33
	v_add_co_u32_e32 v37, vcc, v32, v28
	v_addc_co_u32_e32 v38, vcc, 0, v29, vcc
	v_mad_u64_u32 v[32:33], s[4:5], v31, v33, 0
	v_add_co_u32_e32 v32, vcc, v37, v32
	v_mad_u64_u32 v[28:29], s[4:5], v31, v34, 0
	v_addc_co_u32_e32 v32, vcc, v38, v33, vcc
	v_addc_co_u32_e32 v29, vcc, 0, v29, vcc
	v_add_co_u32_e32 v32, vcc, v32, v28
	v_addc_co_u32_e32 v33, vcc, 0, v29, vcc
	v_mul_lo_u32 v34, s11, v32
	v_mul_lo_u32 v37, s10, v33
	v_mad_u64_u32 v[28:29], s[4:5], s10, v32, 0
	v_add3_u32 v29, v29, v37, v34
	v_sub_u32_e32 v34, v31, v29
	v_mov_b32_e32 v37, s11
	v_sub_co_u32_e32 v28, vcc, v36, v28
	v_subb_co_u32_e64 v34, s[4:5], v34, v37, vcc
	v_subrev_co_u32_e64 v36, s[4:5], s10, v28
	v_subbrev_co_u32_e64 v34, s[4:5], 0, v34, s[4:5]
	v_cmp_le_u32_e64 s[4:5], s11, v34
	v_cndmask_b32_e64 v37, 0, -1, s[4:5]
	v_cmp_le_u32_e64 s[4:5], s10, v36
	v_cndmask_b32_e64 v36, 0, -1, s[4:5]
	v_cmp_eq_u32_e64 s[4:5], s11, v34
	v_cndmask_b32_e64 v34, v37, v36, s[4:5]
	v_add_co_u32_e64 v36, s[4:5], 2, v32
	v_subb_co_u32_e32 v29, vcc, v31, v29, vcc
	v_addc_co_u32_e64 v37, s[4:5], 0, v33, s[4:5]
	v_cmp_le_u32_e32 vcc, s11, v29
	v_add_co_u32_e64 v38, s[4:5], 1, v32
	v_cndmask_b32_e64 v31, 0, -1, vcc
	v_cmp_le_u32_e32 vcc, s10, v28
	v_addc_co_u32_e64 v39, s[4:5], 0, v33, s[4:5]
	v_cndmask_b32_e64 v28, 0, -1, vcc
	v_cmp_eq_u32_e32 vcc, s11, v29
	v_cmp_ne_u32_e64 s[4:5], 0, v34
	v_cndmask_b32_e32 v28, v31, v28, vcc
	v_cndmask_b32_e64 v34, v39, v37, s[4:5]
	v_cmp_ne_u32_e32 vcc, 0, v28
	v_cndmask_b32_e64 v29, v38, v36, s[4:5]
	v_cndmask_b32_e32 v28, v33, v34, vcc
	v_cndmask_b32_e32 v29, v32, v29, vcc
	v_xor_b32_e32 v31, s8, v35
	v_xor_b32_e32 v32, v28, v31
	;; [unrolled: 1-line block ×3, first 2 shown]
	v_sub_co_u32_e32 v28, vcc, v28, v31
	v_subb_co_u32_e32 v29, vcc, v32, v31, vcc
                                        ; implicit-def: $vgpr31
.LBB1144_59:
	s_andn2_saveexec_b64 s[4:5], s[6:7]
	s_cbranch_execz .LBB1144_61
; %bb.60:
	v_cvt_f32_u32_e32 v28, s38
	s_sub_i32 s6, 0, s38
	v_rcp_iflag_f32_e32 v28, v28
	v_mul_f32_e32 v28, 0x4f7ffffe, v28
	v_cvt_u32_f32_e32 v28, v28
	v_mul_lo_u32 v29, s6, v28
	v_mul_hi_u32 v29, v28, v29
	v_add_u32_e32 v28, v28, v29
	v_mul_hi_u32 v28, v31, v28
	v_mul_lo_u32 v29, v28, s38
	v_sub_u32_e32 v29, v31, v29
	v_add_u32_e32 v32, 1, v28
	v_subrev_u32_e32 v31, s38, v29
	v_cmp_le_u32_e32 vcc, s38, v29
	v_cndmask_b32_e32 v29, v29, v31, vcc
	v_cndmask_b32_e32 v28, v28, v32, vcc
	v_add_u32_e32 v31, 1, v28
	v_cmp_le_u32_e32 vcc, s38, v29
	v_cndmask_b32_e32 v28, v28, v31, vcc
	v_mov_b32_e32 v29, 0
.LBB1144_61:
	s_or_b64 exec, exec, s[4:5]
	v_add_co_u32_e32 v32, vcc, 0xe00, v30
	v_addc_co_u32_e32 v1, vcc, 0, v1, vcc
	v_or_b32_e32 v31, s39, v1
	v_mov_b32_e32 v30, 0
	v_cmp_ne_u64_e32 vcc, 0, v[30:31]
                                        ; implicit-def: $vgpr30_vgpr31
	s_and_saveexec_b64 s[4:5], vcc
	s_xor_b64 s[6:7], exec, s[4:5]
	s_cbranch_execz .LBB1144_63
; %bb.62:
	s_ashr_i32 s8, s39, 31
	s_add_u32 s4, s38, s8
	s_mov_b32 s9, s8
	s_addc_u32 s5, s39, s8
	s_xor_b64 s[10:11], s[4:5], s[8:9]
	v_cvt_f32_u32_e32 v30, s10
	v_cvt_f32_u32_e32 v31, s11
	s_sub_u32 s4, 0, s10
	s_subb_u32 s5, 0, s11
	v_madmk_f32 v30, v31, 0x4f800000, v30
	v_rcp_f32_e32 v30, v30
	v_mul_f32_e32 v30, 0x5f7ffffc, v30
	v_mul_f32_e32 v31, 0x2f800000, v30
	v_trunc_f32_e32 v31, v31
	v_madmk_f32 v30, v31, 0xcf800000, v30
	v_cvt_u32_f32_e32 v31, v31
	v_cvt_u32_f32_e32 v30, v30
	v_mul_lo_u32 v33, s4, v31
	v_mul_hi_u32 v35, s4, v30
	v_mul_lo_u32 v34, s5, v30
	v_add_u32_e32 v33, v35, v33
	v_mul_lo_u32 v36, s4, v30
	v_add_u32_e32 v33, v33, v34
	v_mul_lo_u32 v35, v30, v33
	v_mul_hi_u32 v37, v30, v36
	v_mul_hi_u32 v34, v30, v33
	v_add_co_u32_e32 v35, vcc, v37, v35
	v_addc_co_u32_e32 v34, vcc, 0, v34, vcc
	v_mul_hi_u32 v38, v31, v36
	v_mul_lo_u32 v36, v31, v36
	v_add_co_u32_e32 v35, vcc, v35, v36
	v_mul_hi_u32 v37, v31, v33
	v_addc_co_u32_e32 v34, vcc, v34, v38, vcc
	v_addc_co_u32_e32 v35, vcc, 0, v37, vcc
	v_mul_lo_u32 v33, v31, v33
	v_add_co_u32_e32 v33, vcc, v34, v33
	v_addc_co_u32_e32 v34, vcc, 0, v35, vcc
	v_add_co_u32_e32 v30, vcc, v30, v33
	v_addc_co_u32_e32 v31, vcc, v31, v34, vcc
	v_mul_lo_u32 v33, s4, v31
	v_mul_hi_u32 v34, s4, v30
	v_add_u32_e32 v33, v34, v33
	v_mul_lo_u32 v34, s5, v30
	v_add_u32_e32 v33, v33, v34
	v_mul_lo_u32 v35, s4, v30
	v_mul_hi_u32 v36, v31, v35
	v_mul_lo_u32 v37, v31, v35
	v_mul_lo_u32 v39, v30, v33
	v_mul_hi_u32 v35, v30, v35
	v_mul_hi_u32 v38, v30, v33
	v_add_co_u32_e32 v35, vcc, v35, v39
	v_addc_co_u32_e32 v38, vcc, 0, v38, vcc
	v_add_co_u32_e32 v35, vcc, v35, v37
	v_mul_hi_u32 v34, v31, v33
	v_addc_co_u32_e32 v35, vcc, v38, v36, vcc
	v_addc_co_u32_e32 v34, vcc, 0, v34, vcc
	v_mul_lo_u32 v33, v31, v33
	v_add_co_u32_e32 v33, vcc, v35, v33
	v_addc_co_u32_e32 v34, vcc, 0, v34, vcc
	v_add_co_u32_e32 v33, vcc, v30, v33
	v_addc_co_u32_e32 v34, vcc, v31, v34, vcc
	v_ashrrev_i32_e32 v35, 31, v1
	v_add_co_u32_e32 v30, vcc, v32, v35
	v_xor_b32_e32 v36, v30, v35
	v_addc_co_u32_e32 v1, vcc, v1, v35, vcc
	v_mad_u64_u32 v[30:31], s[4:5], v36, v34, 0
	v_mul_hi_u32 v32, v36, v33
	v_xor_b32_e32 v1, v1, v35
	v_add_co_u32_e32 v37, vcc, v32, v30
	v_addc_co_u32_e32 v38, vcc, 0, v31, vcc
	v_mad_u64_u32 v[32:33], s[4:5], v1, v33, 0
	v_add_co_u32_e32 v32, vcc, v37, v32
	v_mad_u64_u32 v[30:31], s[4:5], v1, v34, 0
	v_addc_co_u32_e32 v32, vcc, v38, v33, vcc
	v_addc_co_u32_e32 v31, vcc, 0, v31, vcc
	v_add_co_u32_e32 v32, vcc, v32, v30
	v_addc_co_u32_e32 v33, vcc, 0, v31, vcc
	v_mul_lo_u32 v34, s11, v32
	v_mul_lo_u32 v37, s10, v33
	v_mad_u64_u32 v[30:31], s[4:5], s10, v32, 0
	v_add3_u32 v31, v31, v37, v34
	v_sub_u32_e32 v34, v1, v31
	v_mov_b32_e32 v37, s11
	v_sub_co_u32_e32 v30, vcc, v36, v30
	v_subb_co_u32_e64 v34, s[4:5], v34, v37, vcc
	v_subrev_co_u32_e64 v36, s[4:5], s10, v30
	v_subbrev_co_u32_e64 v34, s[4:5], 0, v34, s[4:5]
	v_cmp_le_u32_e64 s[4:5], s11, v34
	v_cndmask_b32_e64 v37, 0, -1, s[4:5]
	v_cmp_le_u32_e64 s[4:5], s10, v36
	v_cndmask_b32_e64 v36, 0, -1, s[4:5]
	v_cmp_eq_u32_e64 s[4:5], s11, v34
	v_cndmask_b32_e64 v34, v37, v36, s[4:5]
	v_add_co_u32_e64 v36, s[4:5], 2, v32
	v_subb_co_u32_e32 v1, vcc, v1, v31, vcc
	v_addc_co_u32_e64 v37, s[4:5], 0, v33, s[4:5]
	v_cmp_le_u32_e32 vcc, s11, v1
	v_add_co_u32_e64 v38, s[4:5], 1, v32
	v_cndmask_b32_e64 v31, 0, -1, vcc
	v_cmp_le_u32_e32 vcc, s10, v30
	v_addc_co_u32_e64 v39, s[4:5], 0, v33, s[4:5]
	v_cndmask_b32_e64 v30, 0, -1, vcc
	v_cmp_eq_u32_e32 vcc, s11, v1
	v_cmp_ne_u32_e64 s[4:5], 0, v34
	v_cndmask_b32_e32 v1, v31, v30, vcc
	v_cmp_ne_u32_e32 vcc, 0, v1
	v_cndmask_b32_e64 v30, v38, v36, s[4:5]
	v_cndmask_b32_e64 v34, v39, v37, s[4:5]
	v_cndmask_b32_e32 v30, v32, v30, vcc
	v_xor_b32_e32 v31, s8, v35
	v_cndmask_b32_e32 v1, v33, v34, vcc
	v_xor_b32_e32 v30, v30, v31
	v_xor_b32_e32 v1, v1, v31
	v_sub_co_u32_e32 v30, vcc, v30, v31
	v_subb_co_u32_e32 v31, vcc, v1, v31, vcc
                                        ; implicit-def: $vgpr32
.LBB1144_63:
	s_andn2_saveexec_b64 s[4:5], s[6:7]
	s_cbranch_execz .LBB1144_65
; %bb.64:
	v_cvt_f32_u32_e32 v1, s38
	s_sub_i32 s6, 0, s38
	v_rcp_iflag_f32_e32 v1, v1
	v_mul_f32_e32 v1, 0x4f7ffffe, v1
	v_cvt_u32_f32_e32 v1, v1
	v_mul_lo_u32 v30, s6, v1
	v_mul_hi_u32 v30, v1, v30
	v_add_u32_e32 v1, v1, v30
	v_mul_hi_u32 v1, v32, v1
	v_mul_lo_u32 v30, v1, s38
	v_sub_u32_e32 v30, v32, v30
	v_add_u32_e32 v31, 1, v1
	v_subrev_u32_e32 v32, s38, v30
	v_cmp_le_u32_e32 vcc, s38, v30
	v_cndmask_b32_e32 v30, v30, v32, vcc
	v_cndmask_b32_e32 v1, v1, v31, vcc
	v_add_u32_e32 v31, 1, v1
	v_cmp_le_u32_e32 vcc, s38, v30
	v_cndmask_b32_e32 v30, v1, v31, vcc
	v_mov_b32_e32 v31, 0
.LBB1144_65:
	s_or_b64 exec, exec, s[4:5]
	v_lshlrev_b32_e32 v62, 3, v0
	s_movk_i32 s4, 0x70
	v_mad_u32_u24 v76, v0, s4, v62
	ds_write2st64_b64 v62, v[2:3], v[4:5] offset1:4
	ds_write2st64_b64 v62, v[6:7], v[8:9] offset0:8 offset1:12
	ds_write2st64_b64 v62, v[10:11], v[12:13] offset0:16 offset1:20
	;; [unrolled: 1-line block ×6, first 2 shown]
	ds_write_b64 v62, v[30:31] offset:28672
	s_waitcnt lgkmcnt(0)
	s_barrier
	ds_read2_b64 v[26:29], v76 offset1:1
	ds_read2_b64 v[22:25], v76 offset0:2 offset1:3
	ds_read2_b64 v[18:21], v76 offset0:4 offset1:5
	;; [unrolled: 1-line block ×6, first 2 shown]
	ds_read_b64 v[74:75], v76 offset:112
	v_mov_b32_e32 v1, s79
	v_add_co_u32_e32 v30, vcc, s78, v0
	v_addc_co_u32_e32 v1, vcc, 0, v1, vcc
	v_or_b32_e32 v33, s45, v1
	v_mov_b32_e32 v32, 0
	v_cmp_ne_u64_e32 vcc, 0, v[32:33]
	s_waitcnt lgkmcnt(0)
	s_barrier
	s_waitcnt lgkmcnt(0)
                                        ; implicit-def: $vgpr32_vgpr33
	s_and_saveexec_b64 s[4:5], vcc
	s_xor_b64 s[6:7], exec, s[4:5]
	s_cbranch_execz .LBB1144_67
; %bb.66:
	s_ashr_i32 s8, s45, 31
	s_add_u32 s4, s44, s8
	s_mov_b32 s9, s8
	s_addc_u32 s5, s45, s8
	s_xor_b64 s[10:11], s[4:5], s[8:9]
	v_cvt_f32_u32_e32 v31, s10
	v_cvt_f32_u32_e32 v32, s11
	s_sub_u32 s4, 0, s10
	s_subb_u32 s5, 0, s11
	v_madmk_f32 v31, v32, 0x4f800000, v31
	v_rcp_f32_e32 v31, v31
	v_mul_f32_e32 v31, 0x5f7ffffc, v31
	v_mul_f32_e32 v32, 0x2f800000, v31
	v_trunc_f32_e32 v32, v32
	v_madmk_f32 v31, v32, 0xcf800000, v31
	v_cvt_u32_f32_e32 v32, v32
	v_cvt_u32_f32_e32 v31, v31
	v_mul_lo_u32 v33, s4, v32
	v_mul_hi_u32 v35, s4, v31
	v_mul_lo_u32 v34, s5, v31
	v_add_u32_e32 v33, v35, v33
	v_mul_lo_u32 v36, s4, v31
	v_add_u32_e32 v33, v33, v34
	v_mul_lo_u32 v35, v31, v33
	v_mul_hi_u32 v37, v31, v36
	v_mul_hi_u32 v34, v31, v33
	v_add_co_u32_e32 v35, vcc, v37, v35
	v_addc_co_u32_e32 v34, vcc, 0, v34, vcc
	v_mul_hi_u32 v38, v32, v36
	v_mul_lo_u32 v36, v32, v36
	v_add_co_u32_e32 v35, vcc, v35, v36
	v_mul_hi_u32 v37, v32, v33
	v_addc_co_u32_e32 v34, vcc, v34, v38, vcc
	v_addc_co_u32_e32 v35, vcc, 0, v37, vcc
	v_mul_lo_u32 v33, v32, v33
	v_add_co_u32_e32 v33, vcc, v34, v33
	v_addc_co_u32_e32 v34, vcc, 0, v35, vcc
	v_add_co_u32_e32 v31, vcc, v31, v33
	v_addc_co_u32_e32 v32, vcc, v32, v34, vcc
	v_mul_lo_u32 v33, s4, v32
	v_mul_hi_u32 v34, s4, v31
	v_add_u32_e32 v33, v34, v33
	v_mul_lo_u32 v34, s5, v31
	v_add_u32_e32 v33, v33, v34
	v_mul_lo_u32 v35, s4, v31
	v_mul_hi_u32 v36, v32, v35
	v_mul_lo_u32 v37, v32, v35
	v_mul_lo_u32 v39, v31, v33
	v_mul_hi_u32 v35, v31, v35
	v_mul_hi_u32 v38, v31, v33
	v_add_co_u32_e32 v35, vcc, v35, v39
	v_addc_co_u32_e32 v38, vcc, 0, v38, vcc
	v_add_co_u32_e32 v35, vcc, v35, v37
	v_mul_hi_u32 v34, v32, v33
	v_addc_co_u32_e32 v35, vcc, v38, v36, vcc
	v_addc_co_u32_e32 v34, vcc, 0, v34, vcc
	v_mul_lo_u32 v33, v32, v33
	v_add_co_u32_e32 v33, vcc, v35, v33
	v_addc_co_u32_e32 v34, vcc, 0, v34, vcc
	v_add_co_u32_e32 v31, vcc, v31, v33
	v_addc_co_u32_e32 v34, vcc, v32, v34, vcc
	v_ashrrev_i32_e32 v36, 31, v1
	v_add_co_u32_e32 v32, vcc, v30, v36
	v_addc_co_u32_e32 v33, vcc, v1, v36, vcc
	v_xor_b32_e32 v38, v32, v36
	v_xor_b32_e32 v37, v33, v36
	v_mad_u64_u32 v[32:33], s[4:5], v38, v34, 0
	v_mul_hi_u32 v35, v38, v31
	v_add_co_u32_e32 v39, vcc, v35, v32
	v_addc_co_u32_e32 v40, vcc, 0, v33, vcc
	v_mad_u64_u32 v[32:33], s[4:5], v37, v34, 0
	v_mad_u64_u32 v[34:35], s[4:5], v37, v31, 0
	v_add_co_u32_e32 v31, vcc, v39, v34
	v_addc_co_u32_e32 v31, vcc, v40, v35, vcc
	v_addc_co_u32_e32 v33, vcc, 0, v33, vcc
	v_add_co_u32_e32 v31, vcc, v31, v32
	v_addc_co_u32_e32 v34, vcc, 0, v33, vcc
	v_mul_lo_u32 v35, s11, v31
	v_mul_lo_u32 v39, s10, v34
	v_mad_u64_u32 v[32:33], s[4:5], s10, v31, 0
	v_add3_u32 v33, v33, v39, v35
	v_sub_u32_e32 v35, v37, v33
	v_mov_b32_e32 v39, s11
	v_sub_co_u32_e32 v32, vcc, v38, v32
	v_subb_co_u32_e64 v35, s[4:5], v35, v39, vcc
	v_subrev_co_u32_e64 v38, s[4:5], s10, v32
	v_subbrev_co_u32_e64 v35, s[4:5], 0, v35, s[4:5]
	v_cmp_le_u32_e64 s[4:5], s11, v35
	v_cndmask_b32_e64 v39, 0, -1, s[4:5]
	v_cmp_le_u32_e64 s[4:5], s10, v38
	v_cndmask_b32_e64 v38, 0, -1, s[4:5]
	v_cmp_eq_u32_e64 s[4:5], s11, v35
	v_cndmask_b32_e64 v35, v39, v38, s[4:5]
	v_add_co_u32_e64 v38, s[4:5], 2, v31
	v_subb_co_u32_e32 v33, vcc, v37, v33, vcc
	v_addc_co_u32_e64 v39, s[4:5], 0, v34, s[4:5]
	v_cmp_le_u32_e32 vcc, s11, v33
	v_add_co_u32_e64 v40, s[4:5], 1, v31
	v_cndmask_b32_e64 v37, 0, -1, vcc
	v_cmp_le_u32_e32 vcc, s10, v32
	v_addc_co_u32_e64 v41, s[4:5], 0, v34, s[4:5]
	v_cndmask_b32_e64 v32, 0, -1, vcc
	v_cmp_eq_u32_e32 vcc, s11, v33
	v_cmp_ne_u32_e64 s[4:5], 0, v35
	v_cndmask_b32_e32 v32, v37, v32, vcc
	v_cmp_ne_u32_e32 vcc, 0, v32
	v_cndmask_b32_e64 v33, v40, v38, s[4:5]
	v_cndmask_b32_e64 v35, v41, v39, s[4:5]
	v_cndmask_b32_e32 v31, v31, v33, vcc
	v_xor_b32_e32 v33, s8, v36
	v_cndmask_b32_e32 v32, v34, v35, vcc
	v_xor_b32_e32 v31, v31, v33
	v_xor_b32_e32 v34, v32, v33
	v_sub_co_u32_e32 v32, vcc, v31, v33
	v_subb_co_u32_e32 v33, vcc, v34, v33, vcc
.LBB1144_67:
	s_andn2_saveexec_b64 s[4:5], s[6:7]
	s_cbranch_execz .LBB1144_69
; %bb.68:
	v_cvt_f32_u32_e32 v31, s44
	s_sub_i32 s6, 0, s44
	v_rcp_iflag_f32_e32 v31, v31
	v_mul_f32_e32 v31, 0x4f7ffffe, v31
	v_cvt_u32_f32_e32 v31, v31
	v_mul_lo_u32 v32, s6, v31
	v_mul_hi_u32 v32, v31, v32
	v_add_u32_e32 v31, v31, v32
	v_mul_hi_u32 v31, v30, v31
	v_mul_lo_u32 v32, v31, s44
	v_sub_u32_e32 v32, v30, v32
	v_add_u32_e32 v33, 1, v31
	v_subrev_u32_e32 v34, s44, v32
	v_cmp_le_u32_e32 vcc, s44, v32
	v_cndmask_b32_e32 v32, v32, v34, vcc
	v_cndmask_b32_e32 v31, v31, v33, vcc
	v_add_u32_e32 v33, 1, v31
	v_cmp_le_u32_e32 vcc, s44, v32
	v_cndmask_b32_e32 v32, v31, v33, vcc
	v_mov_b32_e32 v33, 0
.LBB1144_69:
	s_or_b64 exec, exec, s[4:5]
	v_add_co_u32_e32 v31, vcc, 0x100, v30
	v_addc_co_u32_e32 v63, vcc, 0, v1, vcc
	v_or_b32_e32 v35, s45, v63
	v_mov_b32_e32 v34, 0
	v_cmp_ne_u64_e32 vcc, 0, v[34:35]
                                        ; implicit-def: $vgpr34_vgpr35
	s_and_saveexec_b64 s[4:5], vcc
	s_xor_b64 s[6:7], exec, s[4:5]
	s_cbranch_execz .LBB1144_71
; %bb.70:
	s_ashr_i32 s8, s45, 31
	s_add_u32 s4, s44, s8
	s_mov_b32 s9, s8
	s_addc_u32 s5, s45, s8
	s_xor_b64 s[10:11], s[4:5], s[8:9]
	v_cvt_f32_u32_e32 v34, s10
	v_cvt_f32_u32_e32 v35, s11
	s_sub_u32 s4, 0, s10
	s_subb_u32 s5, 0, s11
	v_madmk_f32 v34, v35, 0x4f800000, v34
	v_rcp_f32_e32 v34, v34
	v_mul_f32_e32 v34, 0x5f7ffffc, v34
	v_mul_f32_e32 v35, 0x2f800000, v34
	v_trunc_f32_e32 v35, v35
	v_madmk_f32 v34, v35, 0xcf800000, v34
	v_cvt_u32_f32_e32 v35, v35
	v_cvt_u32_f32_e32 v34, v34
	v_mul_lo_u32 v36, s4, v35
	v_mul_hi_u32 v38, s4, v34
	v_mul_lo_u32 v37, s5, v34
	v_add_u32_e32 v36, v38, v36
	v_mul_lo_u32 v39, s4, v34
	v_add_u32_e32 v36, v36, v37
	v_mul_lo_u32 v38, v34, v36
	v_mul_hi_u32 v40, v34, v39
	v_mul_hi_u32 v37, v34, v36
	v_add_co_u32_e32 v38, vcc, v40, v38
	v_addc_co_u32_e32 v37, vcc, 0, v37, vcc
	v_mul_hi_u32 v41, v35, v39
	v_mul_lo_u32 v39, v35, v39
	v_add_co_u32_e32 v38, vcc, v38, v39
	v_mul_hi_u32 v40, v35, v36
	v_addc_co_u32_e32 v37, vcc, v37, v41, vcc
	v_addc_co_u32_e32 v38, vcc, 0, v40, vcc
	v_mul_lo_u32 v36, v35, v36
	v_add_co_u32_e32 v36, vcc, v37, v36
	v_addc_co_u32_e32 v37, vcc, 0, v38, vcc
	v_add_co_u32_e32 v34, vcc, v34, v36
	v_addc_co_u32_e32 v35, vcc, v35, v37, vcc
	v_mul_lo_u32 v36, s4, v35
	v_mul_hi_u32 v37, s4, v34
	v_add_u32_e32 v36, v37, v36
	v_mul_lo_u32 v37, s5, v34
	v_add_u32_e32 v36, v36, v37
	v_mul_lo_u32 v38, s4, v34
	v_mul_hi_u32 v39, v35, v38
	v_mul_lo_u32 v40, v35, v38
	v_mul_lo_u32 v42, v34, v36
	v_mul_hi_u32 v38, v34, v38
	v_mul_hi_u32 v41, v34, v36
	v_add_co_u32_e32 v38, vcc, v38, v42
	v_addc_co_u32_e32 v41, vcc, 0, v41, vcc
	v_add_co_u32_e32 v38, vcc, v38, v40
	v_mul_hi_u32 v37, v35, v36
	v_addc_co_u32_e32 v38, vcc, v41, v39, vcc
	v_addc_co_u32_e32 v37, vcc, 0, v37, vcc
	v_mul_lo_u32 v36, v35, v36
	v_add_co_u32_e32 v36, vcc, v38, v36
	v_addc_co_u32_e32 v37, vcc, 0, v37, vcc
	v_add_co_u32_e32 v36, vcc, v34, v36
	v_addc_co_u32_e32 v37, vcc, v35, v37, vcc
	v_ashrrev_i32_e32 v38, 31, v63
	v_add_co_u32_e32 v34, vcc, v31, v38
	v_addc_co_u32_e32 v35, vcc, v63, v38, vcc
	v_xor_b32_e32 v40, v34, v38
	v_xor_b32_e32 v39, v35, v38
	v_mad_u64_u32 v[34:35], s[4:5], v40, v37, 0
	v_mul_hi_u32 v41, v40, v36
	v_add_co_u32_e32 v41, vcc, v41, v34
	v_addc_co_u32_e32 v42, vcc, 0, v35, vcc
	v_mad_u64_u32 v[34:35], s[4:5], v39, v37, 0
	v_mad_u64_u32 v[36:37], s[4:5], v39, v36, 0
	v_add_co_u32_e32 v36, vcc, v41, v36
	v_addc_co_u32_e32 v36, vcc, v42, v37, vcc
	v_addc_co_u32_e32 v35, vcc, 0, v35, vcc
	v_add_co_u32_e32 v36, vcc, v36, v34
	v_addc_co_u32_e32 v37, vcc, 0, v35, vcc
	v_mul_lo_u32 v41, s11, v36
	v_mul_lo_u32 v42, s10, v37
	v_mad_u64_u32 v[34:35], s[4:5], s10, v36, 0
	v_add3_u32 v35, v35, v42, v41
	v_sub_u32_e32 v41, v39, v35
	v_mov_b32_e32 v42, s11
	v_sub_co_u32_e32 v34, vcc, v40, v34
	v_subb_co_u32_e64 v40, s[4:5], v41, v42, vcc
	v_subrev_co_u32_e64 v41, s[4:5], s10, v34
	v_subbrev_co_u32_e64 v40, s[4:5], 0, v40, s[4:5]
	v_cmp_le_u32_e64 s[4:5], s11, v40
	v_cndmask_b32_e64 v42, 0, -1, s[4:5]
	v_cmp_le_u32_e64 s[4:5], s10, v41
	v_cndmask_b32_e64 v41, 0, -1, s[4:5]
	v_cmp_eq_u32_e64 s[4:5], s11, v40
	v_cndmask_b32_e64 v40, v42, v41, s[4:5]
	v_add_co_u32_e64 v41, s[4:5], 2, v36
	v_subb_co_u32_e32 v35, vcc, v39, v35, vcc
	v_addc_co_u32_e64 v42, s[4:5], 0, v37, s[4:5]
	v_cmp_le_u32_e32 vcc, s11, v35
	v_add_co_u32_e64 v43, s[4:5], 1, v36
	v_cndmask_b32_e64 v39, 0, -1, vcc
	v_cmp_le_u32_e32 vcc, s10, v34
	v_addc_co_u32_e64 v44, s[4:5], 0, v37, s[4:5]
	v_cndmask_b32_e64 v34, 0, -1, vcc
	v_cmp_eq_u32_e32 vcc, s11, v35
	v_cmp_ne_u32_e64 s[4:5], 0, v40
	v_cndmask_b32_e32 v34, v39, v34, vcc
	v_cndmask_b32_e64 v40, v44, v42, s[4:5]
	v_cmp_ne_u32_e32 vcc, 0, v34
	v_cndmask_b32_e64 v35, v43, v41, s[4:5]
	v_cndmask_b32_e32 v34, v37, v40, vcc
	v_cndmask_b32_e32 v35, v36, v35, vcc
	v_xor_b32_e32 v36, s8, v38
	v_xor_b32_e32 v37, v34, v36
	;; [unrolled: 1-line block ×3, first 2 shown]
	v_sub_co_u32_e32 v34, vcc, v34, v36
	v_subb_co_u32_e32 v35, vcc, v37, v36, vcc
.LBB1144_71:
	s_andn2_saveexec_b64 s[4:5], s[6:7]
	s_cbranch_execz .LBB1144_73
; %bb.72:
	v_cvt_f32_u32_e32 v34, s44
	s_sub_i32 s6, 0, s44
	v_rcp_iflag_f32_e32 v34, v34
	v_mul_f32_e32 v34, 0x4f7ffffe, v34
	v_cvt_u32_f32_e32 v34, v34
	v_mul_lo_u32 v35, s6, v34
	v_mul_hi_u32 v35, v34, v35
	v_add_u32_e32 v34, v34, v35
	v_mul_hi_u32 v34, v31, v34
	v_mul_lo_u32 v35, v34, s44
	v_sub_u32_e32 v35, v31, v35
	v_add_u32_e32 v36, 1, v34
	v_subrev_u32_e32 v37, s44, v35
	v_cmp_le_u32_e32 vcc, s44, v35
	v_cndmask_b32_e32 v35, v35, v37, vcc
	v_cndmask_b32_e32 v34, v34, v36, vcc
	v_add_u32_e32 v36, 1, v34
	v_cmp_le_u32_e32 vcc, s44, v35
	v_cndmask_b32_e32 v34, v34, v36, vcc
	v_mov_b32_e32 v35, 0
.LBB1144_73:
	s_or_b64 exec, exec, s[4:5]
	v_add_co_u32_e32 v64, vcc, 0x200, v30
	v_addc_co_u32_e32 v65, vcc, 0, v1, vcc
	v_or_b32_e32 v37, s45, v65
	v_mov_b32_e32 v36, 0
	v_cmp_ne_u64_e32 vcc, 0, v[36:37]
                                        ; implicit-def: $vgpr36_vgpr37
	s_and_saveexec_b64 s[4:5], vcc
	s_xor_b64 s[6:7], exec, s[4:5]
	s_cbranch_execz .LBB1144_75
; %bb.74:
	s_ashr_i32 s8, s45, 31
	s_add_u32 s4, s44, s8
	s_mov_b32 s9, s8
	s_addc_u32 s5, s45, s8
	s_xor_b64 s[10:11], s[4:5], s[8:9]
	v_cvt_f32_u32_e32 v36, s10
	v_cvt_f32_u32_e32 v37, s11
	s_sub_u32 s4, 0, s10
	s_subb_u32 s5, 0, s11
	v_madmk_f32 v36, v37, 0x4f800000, v36
	v_rcp_f32_e32 v36, v36
	v_mul_f32_e32 v36, 0x5f7ffffc, v36
	v_mul_f32_e32 v37, 0x2f800000, v36
	v_trunc_f32_e32 v37, v37
	v_madmk_f32 v36, v37, 0xcf800000, v36
	v_cvt_u32_f32_e32 v37, v37
	v_cvt_u32_f32_e32 v36, v36
	v_mul_lo_u32 v38, s4, v37
	v_mul_hi_u32 v40, s4, v36
	v_mul_lo_u32 v39, s5, v36
	v_add_u32_e32 v38, v40, v38
	v_mul_lo_u32 v41, s4, v36
	v_add_u32_e32 v38, v38, v39
	v_mul_lo_u32 v40, v36, v38
	v_mul_hi_u32 v42, v36, v41
	v_mul_hi_u32 v39, v36, v38
	v_add_co_u32_e32 v40, vcc, v42, v40
	v_addc_co_u32_e32 v39, vcc, 0, v39, vcc
	v_mul_hi_u32 v43, v37, v41
	v_mul_lo_u32 v41, v37, v41
	v_add_co_u32_e32 v40, vcc, v40, v41
	v_mul_hi_u32 v42, v37, v38
	v_addc_co_u32_e32 v39, vcc, v39, v43, vcc
	v_addc_co_u32_e32 v40, vcc, 0, v42, vcc
	v_mul_lo_u32 v38, v37, v38
	v_add_co_u32_e32 v38, vcc, v39, v38
	v_addc_co_u32_e32 v39, vcc, 0, v40, vcc
	v_add_co_u32_e32 v36, vcc, v36, v38
	v_addc_co_u32_e32 v37, vcc, v37, v39, vcc
	v_mul_lo_u32 v38, s4, v37
	v_mul_hi_u32 v39, s4, v36
	v_add_u32_e32 v38, v39, v38
	v_mul_lo_u32 v39, s5, v36
	v_add_u32_e32 v38, v38, v39
	v_mul_lo_u32 v40, s4, v36
	v_mul_hi_u32 v41, v37, v40
	v_mul_lo_u32 v42, v37, v40
	v_mul_lo_u32 v44, v36, v38
	v_mul_hi_u32 v40, v36, v40
	v_mul_hi_u32 v43, v36, v38
	v_add_co_u32_e32 v40, vcc, v40, v44
	v_addc_co_u32_e32 v43, vcc, 0, v43, vcc
	v_add_co_u32_e32 v40, vcc, v40, v42
	v_mul_hi_u32 v39, v37, v38
	v_addc_co_u32_e32 v40, vcc, v43, v41, vcc
	v_addc_co_u32_e32 v39, vcc, 0, v39, vcc
	v_mul_lo_u32 v38, v37, v38
	v_add_co_u32_e32 v38, vcc, v40, v38
	v_addc_co_u32_e32 v39, vcc, 0, v39, vcc
	v_add_co_u32_e32 v38, vcc, v36, v38
	v_addc_co_u32_e32 v39, vcc, v37, v39, vcc
	v_ashrrev_i32_e32 v40, 31, v65
	v_add_co_u32_e32 v36, vcc, v64, v40
	v_addc_co_u32_e32 v37, vcc, v65, v40, vcc
	v_xor_b32_e32 v42, v36, v40
	v_xor_b32_e32 v41, v37, v40
	v_mad_u64_u32 v[36:37], s[4:5], v42, v39, 0
	v_mul_hi_u32 v43, v42, v38
	v_add_co_u32_e32 v43, vcc, v43, v36
	v_addc_co_u32_e32 v44, vcc, 0, v37, vcc
	v_mad_u64_u32 v[36:37], s[4:5], v41, v39, 0
	v_mad_u64_u32 v[38:39], s[4:5], v41, v38, 0
	v_add_co_u32_e32 v38, vcc, v43, v38
	v_addc_co_u32_e32 v38, vcc, v44, v39, vcc
	v_addc_co_u32_e32 v37, vcc, 0, v37, vcc
	v_add_co_u32_e32 v38, vcc, v38, v36
	v_addc_co_u32_e32 v39, vcc, 0, v37, vcc
	v_mul_lo_u32 v43, s11, v38
	v_mul_lo_u32 v44, s10, v39
	v_mad_u64_u32 v[36:37], s[4:5], s10, v38, 0
	v_add3_u32 v37, v37, v44, v43
	v_sub_u32_e32 v43, v41, v37
	v_mov_b32_e32 v44, s11
	v_sub_co_u32_e32 v36, vcc, v42, v36
	v_subb_co_u32_e64 v42, s[4:5], v43, v44, vcc
	v_subrev_co_u32_e64 v43, s[4:5], s10, v36
	v_subbrev_co_u32_e64 v42, s[4:5], 0, v42, s[4:5]
	v_cmp_le_u32_e64 s[4:5], s11, v42
	v_cndmask_b32_e64 v44, 0, -1, s[4:5]
	v_cmp_le_u32_e64 s[4:5], s10, v43
	v_cndmask_b32_e64 v43, 0, -1, s[4:5]
	v_cmp_eq_u32_e64 s[4:5], s11, v42
	v_cndmask_b32_e64 v42, v44, v43, s[4:5]
	v_add_co_u32_e64 v43, s[4:5], 2, v38
	v_subb_co_u32_e32 v37, vcc, v41, v37, vcc
	v_addc_co_u32_e64 v44, s[4:5], 0, v39, s[4:5]
	v_cmp_le_u32_e32 vcc, s11, v37
	v_add_co_u32_e64 v45, s[4:5], 1, v38
	v_cndmask_b32_e64 v41, 0, -1, vcc
	v_cmp_le_u32_e32 vcc, s10, v36
	v_addc_co_u32_e64 v46, s[4:5], 0, v39, s[4:5]
	v_cndmask_b32_e64 v36, 0, -1, vcc
	v_cmp_eq_u32_e32 vcc, s11, v37
	v_cmp_ne_u32_e64 s[4:5], 0, v42
	v_cndmask_b32_e32 v36, v41, v36, vcc
	v_cndmask_b32_e64 v42, v46, v44, s[4:5]
	v_cmp_ne_u32_e32 vcc, 0, v36
	v_cndmask_b32_e64 v37, v45, v43, s[4:5]
	v_cndmask_b32_e32 v36, v39, v42, vcc
	v_cndmask_b32_e32 v37, v38, v37, vcc
	v_xor_b32_e32 v38, s8, v40
	v_xor_b32_e32 v39, v36, v38
	;; [unrolled: 1-line block ×3, first 2 shown]
	v_sub_co_u32_e32 v36, vcc, v36, v38
	v_subb_co_u32_e32 v37, vcc, v39, v38, vcc
.LBB1144_75:
	s_andn2_saveexec_b64 s[4:5], s[6:7]
	s_cbranch_execz .LBB1144_77
; %bb.76:
	v_cvt_f32_u32_e32 v36, s44
	s_sub_i32 s6, 0, s44
	v_rcp_iflag_f32_e32 v36, v36
	v_mul_f32_e32 v36, 0x4f7ffffe, v36
	v_cvt_u32_f32_e32 v36, v36
	v_mul_lo_u32 v37, s6, v36
	v_mul_hi_u32 v37, v36, v37
	v_add_u32_e32 v36, v36, v37
	v_mul_hi_u32 v36, v64, v36
	v_mul_lo_u32 v37, v36, s44
	v_sub_u32_e32 v37, v64, v37
	v_add_u32_e32 v38, 1, v36
	v_subrev_u32_e32 v39, s44, v37
	v_cmp_le_u32_e32 vcc, s44, v37
	v_cndmask_b32_e32 v37, v37, v39, vcc
	v_cndmask_b32_e32 v36, v36, v38, vcc
	v_add_u32_e32 v38, 1, v36
	v_cmp_le_u32_e32 vcc, s44, v37
	v_cndmask_b32_e32 v36, v36, v38, vcc
	v_mov_b32_e32 v37, 0
.LBB1144_77:
	s_or_b64 exec, exec, s[4:5]
	v_add_co_u32_e32 v66, vcc, 0x300, v30
	v_addc_co_u32_e32 v67, vcc, 0, v1, vcc
	v_or_b32_e32 v39, s45, v67
	v_mov_b32_e32 v38, 0
	v_cmp_ne_u64_e32 vcc, 0, v[38:39]
                                        ; implicit-def: $vgpr38_vgpr39
	s_and_saveexec_b64 s[4:5], vcc
	s_xor_b64 s[6:7], exec, s[4:5]
	s_cbranch_execz .LBB1144_79
; %bb.78:
	s_ashr_i32 s8, s45, 31
	s_add_u32 s4, s44, s8
	s_mov_b32 s9, s8
	s_addc_u32 s5, s45, s8
	s_xor_b64 s[10:11], s[4:5], s[8:9]
	v_cvt_f32_u32_e32 v38, s10
	v_cvt_f32_u32_e32 v39, s11
	s_sub_u32 s4, 0, s10
	s_subb_u32 s5, 0, s11
	v_madmk_f32 v38, v39, 0x4f800000, v38
	v_rcp_f32_e32 v38, v38
	v_mul_f32_e32 v38, 0x5f7ffffc, v38
	v_mul_f32_e32 v39, 0x2f800000, v38
	v_trunc_f32_e32 v39, v39
	v_madmk_f32 v38, v39, 0xcf800000, v38
	v_cvt_u32_f32_e32 v39, v39
	v_cvt_u32_f32_e32 v38, v38
	v_mul_lo_u32 v40, s4, v39
	v_mul_hi_u32 v42, s4, v38
	v_mul_lo_u32 v41, s5, v38
	v_add_u32_e32 v40, v42, v40
	v_mul_lo_u32 v43, s4, v38
	v_add_u32_e32 v40, v40, v41
	v_mul_lo_u32 v42, v38, v40
	v_mul_hi_u32 v44, v38, v43
	v_mul_hi_u32 v41, v38, v40
	v_add_co_u32_e32 v42, vcc, v44, v42
	v_addc_co_u32_e32 v41, vcc, 0, v41, vcc
	v_mul_hi_u32 v45, v39, v43
	v_mul_lo_u32 v43, v39, v43
	v_add_co_u32_e32 v42, vcc, v42, v43
	v_mul_hi_u32 v44, v39, v40
	v_addc_co_u32_e32 v41, vcc, v41, v45, vcc
	v_addc_co_u32_e32 v42, vcc, 0, v44, vcc
	v_mul_lo_u32 v40, v39, v40
	v_add_co_u32_e32 v40, vcc, v41, v40
	v_addc_co_u32_e32 v41, vcc, 0, v42, vcc
	v_add_co_u32_e32 v38, vcc, v38, v40
	v_addc_co_u32_e32 v39, vcc, v39, v41, vcc
	v_mul_lo_u32 v40, s4, v39
	v_mul_hi_u32 v41, s4, v38
	v_add_u32_e32 v40, v41, v40
	v_mul_lo_u32 v41, s5, v38
	v_add_u32_e32 v40, v40, v41
	v_mul_lo_u32 v42, s4, v38
	v_mul_hi_u32 v43, v39, v42
	v_mul_lo_u32 v44, v39, v42
	v_mul_lo_u32 v46, v38, v40
	v_mul_hi_u32 v42, v38, v42
	v_mul_hi_u32 v45, v38, v40
	v_add_co_u32_e32 v42, vcc, v42, v46
	v_addc_co_u32_e32 v45, vcc, 0, v45, vcc
	v_add_co_u32_e32 v42, vcc, v42, v44
	v_mul_hi_u32 v41, v39, v40
	v_addc_co_u32_e32 v42, vcc, v45, v43, vcc
	v_addc_co_u32_e32 v41, vcc, 0, v41, vcc
	v_mul_lo_u32 v40, v39, v40
	v_add_co_u32_e32 v40, vcc, v42, v40
	v_addc_co_u32_e32 v41, vcc, 0, v41, vcc
	v_add_co_u32_e32 v40, vcc, v38, v40
	v_addc_co_u32_e32 v41, vcc, v39, v41, vcc
	v_ashrrev_i32_e32 v42, 31, v67
	v_add_co_u32_e32 v38, vcc, v66, v42
	v_addc_co_u32_e32 v39, vcc, v67, v42, vcc
	v_xor_b32_e32 v44, v38, v42
	v_xor_b32_e32 v43, v39, v42
	v_mad_u64_u32 v[38:39], s[4:5], v44, v41, 0
	v_mul_hi_u32 v45, v44, v40
	v_add_co_u32_e32 v45, vcc, v45, v38
	v_addc_co_u32_e32 v46, vcc, 0, v39, vcc
	v_mad_u64_u32 v[38:39], s[4:5], v43, v41, 0
	v_mad_u64_u32 v[40:41], s[4:5], v43, v40, 0
	v_add_co_u32_e32 v40, vcc, v45, v40
	v_addc_co_u32_e32 v40, vcc, v46, v41, vcc
	v_addc_co_u32_e32 v39, vcc, 0, v39, vcc
	v_add_co_u32_e32 v40, vcc, v40, v38
	v_addc_co_u32_e32 v41, vcc, 0, v39, vcc
	v_mul_lo_u32 v45, s11, v40
	v_mul_lo_u32 v46, s10, v41
	v_mad_u64_u32 v[38:39], s[4:5], s10, v40, 0
	v_add3_u32 v39, v39, v46, v45
	v_sub_u32_e32 v45, v43, v39
	v_mov_b32_e32 v46, s11
	v_sub_co_u32_e32 v38, vcc, v44, v38
	v_subb_co_u32_e64 v44, s[4:5], v45, v46, vcc
	v_subrev_co_u32_e64 v45, s[4:5], s10, v38
	v_subbrev_co_u32_e64 v44, s[4:5], 0, v44, s[4:5]
	v_cmp_le_u32_e64 s[4:5], s11, v44
	v_cndmask_b32_e64 v46, 0, -1, s[4:5]
	v_cmp_le_u32_e64 s[4:5], s10, v45
	v_cndmask_b32_e64 v45, 0, -1, s[4:5]
	v_cmp_eq_u32_e64 s[4:5], s11, v44
	v_cndmask_b32_e64 v44, v46, v45, s[4:5]
	v_add_co_u32_e64 v45, s[4:5], 2, v40
	v_subb_co_u32_e32 v39, vcc, v43, v39, vcc
	v_addc_co_u32_e64 v46, s[4:5], 0, v41, s[4:5]
	v_cmp_le_u32_e32 vcc, s11, v39
	v_add_co_u32_e64 v47, s[4:5], 1, v40
	v_cndmask_b32_e64 v43, 0, -1, vcc
	v_cmp_le_u32_e32 vcc, s10, v38
	v_addc_co_u32_e64 v48, s[4:5], 0, v41, s[4:5]
	v_cndmask_b32_e64 v38, 0, -1, vcc
	v_cmp_eq_u32_e32 vcc, s11, v39
	v_cmp_ne_u32_e64 s[4:5], 0, v44
	v_cndmask_b32_e32 v38, v43, v38, vcc
	v_cndmask_b32_e64 v44, v48, v46, s[4:5]
	v_cmp_ne_u32_e32 vcc, 0, v38
	v_cndmask_b32_e64 v39, v47, v45, s[4:5]
	v_cndmask_b32_e32 v38, v41, v44, vcc
	v_cndmask_b32_e32 v39, v40, v39, vcc
	v_xor_b32_e32 v40, s8, v42
	v_xor_b32_e32 v41, v38, v40
	;; [unrolled: 1-line block ×3, first 2 shown]
	v_sub_co_u32_e32 v38, vcc, v38, v40
	v_subb_co_u32_e32 v39, vcc, v41, v40, vcc
.LBB1144_79:
	s_andn2_saveexec_b64 s[4:5], s[6:7]
	s_cbranch_execz .LBB1144_81
; %bb.80:
	v_cvt_f32_u32_e32 v38, s44
	s_sub_i32 s6, 0, s44
	v_rcp_iflag_f32_e32 v38, v38
	v_mul_f32_e32 v38, 0x4f7ffffe, v38
	v_cvt_u32_f32_e32 v38, v38
	v_mul_lo_u32 v39, s6, v38
	v_mul_hi_u32 v39, v38, v39
	v_add_u32_e32 v38, v38, v39
	v_mul_hi_u32 v38, v66, v38
	v_mul_lo_u32 v39, v38, s44
	v_sub_u32_e32 v39, v66, v39
	v_add_u32_e32 v40, 1, v38
	v_subrev_u32_e32 v41, s44, v39
	v_cmp_le_u32_e32 vcc, s44, v39
	v_cndmask_b32_e32 v39, v39, v41, vcc
	v_cndmask_b32_e32 v38, v38, v40, vcc
	v_add_u32_e32 v40, 1, v38
	v_cmp_le_u32_e32 vcc, s44, v39
	v_cndmask_b32_e32 v38, v38, v40, vcc
	v_mov_b32_e32 v39, 0
.LBB1144_81:
	s_or_b64 exec, exec, s[4:5]
	v_add_co_u32_e32 v68, vcc, 0x400, v30
	v_addc_co_u32_e32 v69, vcc, 0, v1, vcc
	v_or_b32_e32 v41, s45, v69
	v_mov_b32_e32 v40, 0
	v_cmp_ne_u64_e32 vcc, 0, v[40:41]
                                        ; implicit-def: $vgpr40_vgpr41
	s_and_saveexec_b64 s[4:5], vcc
	s_xor_b64 s[6:7], exec, s[4:5]
	s_cbranch_execz .LBB1144_83
; %bb.82:
	s_ashr_i32 s8, s45, 31
	s_add_u32 s4, s44, s8
	s_mov_b32 s9, s8
	s_addc_u32 s5, s45, s8
	s_xor_b64 s[10:11], s[4:5], s[8:9]
	v_cvt_f32_u32_e32 v40, s10
	v_cvt_f32_u32_e32 v41, s11
	s_sub_u32 s4, 0, s10
	s_subb_u32 s5, 0, s11
	v_madmk_f32 v40, v41, 0x4f800000, v40
	v_rcp_f32_e32 v40, v40
	v_mul_f32_e32 v40, 0x5f7ffffc, v40
	v_mul_f32_e32 v41, 0x2f800000, v40
	v_trunc_f32_e32 v41, v41
	v_madmk_f32 v40, v41, 0xcf800000, v40
	v_cvt_u32_f32_e32 v41, v41
	v_cvt_u32_f32_e32 v40, v40
	v_mul_lo_u32 v42, s4, v41
	v_mul_hi_u32 v44, s4, v40
	v_mul_lo_u32 v43, s5, v40
	v_add_u32_e32 v42, v44, v42
	v_mul_lo_u32 v45, s4, v40
	v_add_u32_e32 v42, v42, v43
	v_mul_lo_u32 v44, v40, v42
	v_mul_hi_u32 v46, v40, v45
	v_mul_hi_u32 v43, v40, v42
	v_add_co_u32_e32 v44, vcc, v46, v44
	v_addc_co_u32_e32 v43, vcc, 0, v43, vcc
	v_mul_hi_u32 v47, v41, v45
	v_mul_lo_u32 v45, v41, v45
	v_add_co_u32_e32 v44, vcc, v44, v45
	v_mul_hi_u32 v46, v41, v42
	v_addc_co_u32_e32 v43, vcc, v43, v47, vcc
	v_addc_co_u32_e32 v44, vcc, 0, v46, vcc
	v_mul_lo_u32 v42, v41, v42
	v_add_co_u32_e32 v42, vcc, v43, v42
	v_addc_co_u32_e32 v43, vcc, 0, v44, vcc
	v_add_co_u32_e32 v40, vcc, v40, v42
	v_addc_co_u32_e32 v41, vcc, v41, v43, vcc
	v_mul_lo_u32 v42, s4, v41
	v_mul_hi_u32 v43, s4, v40
	v_add_u32_e32 v42, v43, v42
	v_mul_lo_u32 v43, s5, v40
	v_add_u32_e32 v42, v42, v43
	v_mul_lo_u32 v44, s4, v40
	v_mul_hi_u32 v45, v41, v44
	v_mul_lo_u32 v46, v41, v44
	v_mul_lo_u32 v48, v40, v42
	v_mul_hi_u32 v44, v40, v44
	v_mul_hi_u32 v47, v40, v42
	v_add_co_u32_e32 v44, vcc, v44, v48
	v_addc_co_u32_e32 v47, vcc, 0, v47, vcc
	v_add_co_u32_e32 v44, vcc, v44, v46
	v_mul_hi_u32 v43, v41, v42
	v_addc_co_u32_e32 v44, vcc, v47, v45, vcc
	v_addc_co_u32_e32 v43, vcc, 0, v43, vcc
	v_mul_lo_u32 v42, v41, v42
	v_add_co_u32_e32 v42, vcc, v44, v42
	v_addc_co_u32_e32 v43, vcc, 0, v43, vcc
	v_add_co_u32_e32 v42, vcc, v40, v42
	v_addc_co_u32_e32 v43, vcc, v41, v43, vcc
	v_ashrrev_i32_e32 v44, 31, v69
	v_add_co_u32_e32 v40, vcc, v68, v44
	v_addc_co_u32_e32 v41, vcc, v69, v44, vcc
	v_xor_b32_e32 v46, v40, v44
	v_xor_b32_e32 v45, v41, v44
	v_mad_u64_u32 v[40:41], s[4:5], v46, v43, 0
	v_mul_hi_u32 v47, v46, v42
	v_add_co_u32_e32 v47, vcc, v47, v40
	v_addc_co_u32_e32 v48, vcc, 0, v41, vcc
	v_mad_u64_u32 v[40:41], s[4:5], v45, v43, 0
	v_mad_u64_u32 v[42:43], s[4:5], v45, v42, 0
	v_add_co_u32_e32 v42, vcc, v47, v42
	v_addc_co_u32_e32 v42, vcc, v48, v43, vcc
	v_addc_co_u32_e32 v41, vcc, 0, v41, vcc
	v_add_co_u32_e32 v42, vcc, v42, v40
	v_addc_co_u32_e32 v43, vcc, 0, v41, vcc
	v_mul_lo_u32 v47, s11, v42
	v_mul_lo_u32 v48, s10, v43
	v_mad_u64_u32 v[40:41], s[4:5], s10, v42, 0
	v_add3_u32 v41, v41, v48, v47
	v_sub_u32_e32 v47, v45, v41
	v_mov_b32_e32 v48, s11
	v_sub_co_u32_e32 v40, vcc, v46, v40
	v_subb_co_u32_e64 v46, s[4:5], v47, v48, vcc
	v_subrev_co_u32_e64 v47, s[4:5], s10, v40
	v_subbrev_co_u32_e64 v46, s[4:5], 0, v46, s[4:5]
	v_cmp_le_u32_e64 s[4:5], s11, v46
	v_cndmask_b32_e64 v48, 0, -1, s[4:5]
	v_cmp_le_u32_e64 s[4:5], s10, v47
	v_cndmask_b32_e64 v47, 0, -1, s[4:5]
	v_cmp_eq_u32_e64 s[4:5], s11, v46
	v_cndmask_b32_e64 v46, v48, v47, s[4:5]
	v_add_co_u32_e64 v47, s[4:5], 2, v42
	v_subb_co_u32_e32 v41, vcc, v45, v41, vcc
	v_addc_co_u32_e64 v48, s[4:5], 0, v43, s[4:5]
	v_cmp_le_u32_e32 vcc, s11, v41
	v_add_co_u32_e64 v49, s[4:5], 1, v42
	v_cndmask_b32_e64 v45, 0, -1, vcc
	v_cmp_le_u32_e32 vcc, s10, v40
	v_addc_co_u32_e64 v50, s[4:5], 0, v43, s[4:5]
	v_cndmask_b32_e64 v40, 0, -1, vcc
	v_cmp_eq_u32_e32 vcc, s11, v41
	v_cmp_ne_u32_e64 s[4:5], 0, v46
	v_cndmask_b32_e32 v40, v45, v40, vcc
	v_cndmask_b32_e64 v46, v50, v48, s[4:5]
	v_cmp_ne_u32_e32 vcc, 0, v40
	v_cndmask_b32_e64 v41, v49, v47, s[4:5]
	v_cndmask_b32_e32 v40, v43, v46, vcc
	v_cndmask_b32_e32 v41, v42, v41, vcc
	v_xor_b32_e32 v42, s8, v44
	v_xor_b32_e32 v43, v40, v42
	;; [unrolled: 1-line block ×3, first 2 shown]
	v_sub_co_u32_e32 v40, vcc, v40, v42
	v_subb_co_u32_e32 v41, vcc, v43, v42, vcc
.LBB1144_83:
	s_andn2_saveexec_b64 s[4:5], s[6:7]
	s_cbranch_execz .LBB1144_85
; %bb.84:
	v_cvt_f32_u32_e32 v40, s44
	s_sub_i32 s6, 0, s44
	v_rcp_iflag_f32_e32 v40, v40
	v_mul_f32_e32 v40, 0x4f7ffffe, v40
	v_cvt_u32_f32_e32 v40, v40
	v_mul_lo_u32 v41, s6, v40
	v_mul_hi_u32 v41, v40, v41
	v_add_u32_e32 v40, v40, v41
	v_mul_hi_u32 v40, v68, v40
	v_mul_lo_u32 v41, v40, s44
	v_sub_u32_e32 v41, v68, v41
	v_add_u32_e32 v42, 1, v40
	v_subrev_u32_e32 v43, s44, v41
	v_cmp_le_u32_e32 vcc, s44, v41
	v_cndmask_b32_e32 v41, v41, v43, vcc
	v_cndmask_b32_e32 v40, v40, v42, vcc
	v_add_u32_e32 v42, 1, v40
	v_cmp_le_u32_e32 vcc, s44, v41
	v_cndmask_b32_e32 v40, v40, v42, vcc
	v_mov_b32_e32 v41, 0
.LBB1144_85:
	s_or_b64 exec, exec, s[4:5]
	v_add_co_u32_e32 v70, vcc, 0x500, v30
	v_addc_co_u32_e32 v71, vcc, 0, v1, vcc
	v_or_b32_e32 v43, s45, v71
	v_mov_b32_e32 v42, 0
	v_cmp_ne_u64_e32 vcc, 0, v[42:43]
                                        ; implicit-def: $vgpr42_vgpr43
	s_and_saveexec_b64 s[4:5], vcc
	s_xor_b64 s[6:7], exec, s[4:5]
	s_cbranch_execz .LBB1144_87
; %bb.86:
	s_ashr_i32 s8, s45, 31
	s_add_u32 s4, s44, s8
	s_mov_b32 s9, s8
	s_addc_u32 s5, s45, s8
	s_xor_b64 s[10:11], s[4:5], s[8:9]
	v_cvt_f32_u32_e32 v42, s10
	v_cvt_f32_u32_e32 v43, s11
	s_sub_u32 s4, 0, s10
	s_subb_u32 s5, 0, s11
	v_madmk_f32 v42, v43, 0x4f800000, v42
	v_rcp_f32_e32 v42, v42
	v_mul_f32_e32 v42, 0x5f7ffffc, v42
	v_mul_f32_e32 v43, 0x2f800000, v42
	v_trunc_f32_e32 v43, v43
	v_madmk_f32 v42, v43, 0xcf800000, v42
	v_cvt_u32_f32_e32 v43, v43
	v_cvt_u32_f32_e32 v42, v42
	v_mul_lo_u32 v44, s4, v43
	v_mul_hi_u32 v46, s4, v42
	v_mul_lo_u32 v45, s5, v42
	v_add_u32_e32 v44, v46, v44
	v_mul_lo_u32 v47, s4, v42
	v_add_u32_e32 v44, v44, v45
	v_mul_lo_u32 v46, v42, v44
	v_mul_hi_u32 v48, v42, v47
	v_mul_hi_u32 v45, v42, v44
	v_add_co_u32_e32 v46, vcc, v48, v46
	v_addc_co_u32_e32 v45, vcc, 0, v45, vcc
	v_mul_hi_u32 v49, v43, v47
	v_mul_lo_u32 v47, v43, v47
	v_add_co_u32_e32 v46, vcc, v46, v47
	v_mul_hi_u32 v48, v43, v44
	v_addc_co_u32_e32 v45, vcc, v45, v49, vcc
	v_addc_co_u32_e32 v46, vcc, 0, v48, vcc
	v_mul_lo_u32 v44, v43, v44
	v_add_co_u32_e32 v44, vcc, v45, v44
	v_addc_co_u32_e32 v45, vcc, 0, v46, vcc
	v_add_co_u32_e32 v42, vcc, v42, v44
	v_addc_co_u32_e32 v43, vcc, v43, v45, vcc
	v_mul_lo_u32 v44, s4, v43
	v_mul_hi_u32 v45, s4, v42
	v_add_u32_e32 v44, v45, v44
	v_mul_lo_u32 v45, s5, v42
	v_add_u32_e32 v44, v44, v45
	v_mul_lo_u32 v46, s4, v42
	v_mul_hi_u32 v47, v43, v46
	v_mul_lo_u32 v48, v43, v46
	v_mul_lo_u32 v50, v42, v44
	v_mul_hi_u32 v46, v42, v46
	v_mul_hi_u32 v49, v42, v44
	v_add_co_u32_e32 v46, vcc, v46, v50
	v_addc_co_u32_e32 v49, vcc, 0, v49, vcc
	v_add_co_u32_e32 v46, vcc, v46, v48
	v_mul_hi_u32 v45, v43, v44
	v_addc_co_u32_e32 v46, vcc, v49, v47, vcc
	v_addc_co_u32_e32 v45, vcc, 0, v45, vcc
	v_mul_lo_u32 v44, v43, v44
	v_add_co_u32_e32 v44, vcc, v46, v44
	v_addc_co_u32_e32 v45, vcc, 0, v45, vcc
	v_add_co_u32_e32 v44, vcc, v42, v44
	v_addc_co_u32_e32 v45, vcc, v43, v45, vcc
	v_ashrrev_i32_e32 v46, 31, v71
	v_add_co_u32_e32 v42, vcc, v70, v46
	v_addc_co_u32_e32 v43, vcc, v71, v46, vcc
	v_xor_b32_e32 v48, v42, v46
	v_xor_b32_e32 v47, v43, v46
	v_mad_u64_u32 v[42:43], s[4:5], v48, v45, 0
	v_mul_hi_u32 v49, v48, v44
	v_add_co_u32_e32 v49, vcc, v49, v42
	v_addc_co_u32_e32 v50, vcc, 0, v43, vcc
	v_mad_u64_u32 v[42:43], s[4:5], v47, v45, 0
	v_mad_u64_u32 v[44:45], s[4:5], v47, v44, 0
	v_add_co_u32_e32 v44, vcc, v49, v44
	v_addc_co_u32_e32 v44, vcc, v50, v45, vcc
	v_addc_co_u32_e32 v43, vcc, 0, v43, vcc
	v_add_co_u32_e32 v44, vcc, v44, v42
	v_addc_co_u32_e32 v45, vcc, 0, v43, vcc
	v_mul_lo_u32 v49, s11, v44
	v_mul_lo_u32 v50, s10, v45
	v_mad_u64_u32 v[42:43], s[4:5], s10, v44, 0
	v_add3_u32 v43, v43, v50, v49
	v_sub_u32_e32 v49, v47, v43
	v_mov_b32_e32 v50, s11
	v_sub_co_u32_e32 v42, vcc, v48, v42
	v_subb_co_u32_e64 v48, s[4:5], v49, v50, vcc
	v_subrev_co_u32_e64 v49, s[4:5], s10, v42
	v_subbrev_co_u32_e64 v48, s[4:5], 0, v48, s[4:5]
	v_cmp_le_u32_e64 s[4:5], s11, v48
	v_cndmask_b32_e64 v50, 0, -1, s[4:5]
	v_cmp_le_u32_e64 s[4:5], s10, v49
	v_cndmask_b32_e64 v49, 0, -1, s[4:5]
	v_cmp_eq_u32_e64 s[4:5], s11, v48
	v_cndmask_b32_e64 v48, v50, v49, s[4:5]
	v_add_co_u32_e64 v49, s[4:5], 2, v44
	v_subb_co_u32_e32 v43, vcc, v47, v43, vcc
	v_addc_co_u32_e64 v50, s[4:5], 0, v45, s[4:5]
	v_cmp_le_u32_e32 vcc, s11, v43
	v_add_co_u32_e64 v51, s[4:5], 1, v44
	v_cndmask_b32_e64 v47, 0, -1, vcc
	v_cmp_le_u32_e32 vcc, s10, v42
	v_addc_co_u32_e64 v52, s[4:5], 0, v45, s[4:5]
	v_cndmask_b32_e64 v42, 0, -1, vcc
	v_cmp_eq_u32_e32 vcc, s11, v43
	v_cmp_ne_u32_e64 s[4:5], 0, v48
	v_cndmask_b32_e32 v42, v47, v42, vcc
	v_cndmask_b32_e64 v48, v52, v50, s[4:5]
	v_cmp_ne_u32_e32 vcc, 0, v42
	v_cndmask_b32_e64 v43, v51, v49, s[4:5]
	v_cndmask_b32_e32 v42, v45, v48, vcc
	v_cndmask_b32_e32 v43, v44, v43, vcc
	v_xor_b32_e32 v44, s8, v46
	v_xor_b32_e32 v45, v42, v44
	;; [unrolled: 1-line block ×3, first 2 shown]
	v_sub_co_u32_e32 v42, vcc, v42, v44
	v_subb_co_u32_e32 v43, vcc, v45, v44, vcc
.LBB1144_87:
	s_andn2_saveexec_b64 s[4:5], s[6:7]
	s_cbranch_execz .LBB1144_89
; %bb.88:
	v_cvt_f32_u32_e32 v42, s44
	s_sub_i32 s6, 0, s44
	v_rcp_iflag_f32_e32 v42, v42
	v_mul_f32_e32 v42, 0x4f7ffffe, v42
	v_cvt_u32_f32_e32 v42, v42
	v_mul_lo_u32 v43, s6, v42
	v_mul_hi_u32 v43, v42, v43
	v_add_u32_e32 v42, v42, v43
	v_mul_hi_u32 v42, v70, v42
	v_mul_lo_u32 v43, v42, s44
	v_sub_u32_e32 v43, v70, v43
	v_add_u32_e32 v44, 1, v42
	v_subrev_u32_e32 v45, s44, v43
	v_cmp_le_u32_e32 vcc, s44, v43
	v_cndmask_b32_e32 v43, v43, v45, vcc
	v_cndmask_b32_e32 v42, v42, v44, vcc
	v_add_u32_e32 v44, 1, v42
	v_cmp_le_u32_e32 vcc, s44, v43
	v_cndmask_b32_e32 v42, v42, v44, vcc
	v_mov_b32_e32 v43, 0
.LBB1144_89:
	s_or_b64 exec, exec, s[4:5]
	v_add_co_u32_e32 v72, vcc, 0x600, v30
	v_addc_co_u32_e32 v73, vcc, 0, v1, vcc
	v_or_b32_e32 v45, s45, v73
	v_mov_b32_e32 v44, 0
	v_cmp_ne_u64_e32 vcc, 0, v[44:45]
                                        ; implicit-def: $vgpr44_vgpr45
	s_and_saveexec_b64 s[4:5], vcc
	s_xor_b64 s[6:7], exec, s[4:5]
	s_cbranch_execz .LBB1144_91
; %bb.90:
	s_ashr_i32 s8, s45, 31
	s_add_u32 s4, s44, s8
	s_mov_b32 s9, s8
	s_addc_u32 s5, s45, s8
	s_xor_b64 s[10:11], s[4:5], s[8:9]
	v_cvt_f32_u32_e32 v44, s10
	v_cvt_f32_u32_e32 v45, s11
	s_sub_u32 s4, 0, s10
	s_subb_u32 s5, 0, s11
	v_madmk_f32 v44, v45, 0x4f800000, v44
	v_rcp_f32_e32 v44, v44
	v_mul_f32_e32 v44, 0x5f7ffffc, v44
	v_mul_f32_e32 v45, 0x2f800000, v44
	v_trunc_f32_e32 v45, v45
	v_madmk_f32 v44, v45, 0xcf800000, v44
	v_cvt_u32_f32_e32 v45, v45
	v_cvt_u32_f32_e32 v44, v44
	v_mul_lo_u32 v46, s4, v45
	v_mul_hi_u32 v48, s4, v44
	v_mul_lo_u32 v47, s5, v44
	v_add_u32_e32 v46, v48, v46
	v_mul_lo_u32 v49, s4, v44
	v_add_u32_e32 v46, v46, v47
	v_mul_lo_u32 v48, v44, v46
	v_mul_hi_u32 v50, v44, v49
	v_mul_hi_u32 v47, v44, v46
	v_add_co_u32_e32 v48, vcc, v50, v48
	v_addc_co_u32_e32 v47, vcc, 0, v47, vcc
	v_mul_hi_u32 v51, v45, v49
	v_mul_lo_u32 v49, v45, v49
	v_add_co_u32_e32 v48, vcc, v48, v49
	v_mul_hi_u32 v50, v45, v46
	v_addc_co_u32_e32 v47, vcc, v47, v51, vcc
	v_addc_co_u32_e32 v48, vcc, 0, v50, vcc
	v_mul_lo_u32 v46, v45, v46
	v_add_co_u32_e32 v46, vcc, v47, v46
	v_addc_co_u32_e32 v47, vcc, 0, v48, vcc
	v_add_co_u32_e32 v44, vcc, v44, v46
	v_addc_co_u32_e32 v45, vcc, v45, v47, vcc
	v_mul_lo_u32 v46, s4, v45
	v_mul_hi_u32 v47, s4, v44
	v_add_u32_e32 v46, v47, v46
	v_mul_lo_u32 v47, s5, v44
	v_add_u32_e32 v46, v46, v47
	v_mul_lo_u32 v48, s4, v44
	v_mul_hi_u32 v49, v45, v48
	v_mul_lo_u32 v50, v45, v48
	v_mul_lo_u32 v52, v44, v46
	v_mul_hi_u32 v48, v44, v48
	v_mul_hi_u32 v51, v44, v46
	v_add_co_u32_e32 v48, vcc, v48, v52
	v_addc_co_u32_e32 v51, vcc, 0, v51, vcc
	v_add_co_u32_e32 v48, vcc, v48, v50
	v_mul_hi_u32 v47, v45, v46
	v_addc_co_u32_e32 v48, vcc, v51, v49, vcc
	v_addc_co_u32_e32 v47, vcc, 0, v47, vcc
	v_mul_lo_u32 v46, v45, v46
	v_add_co_u32_e32 v46, vcc, v48, v46
	v_addc_co_u32_e32 v47, vcc, 0, v47, vcc
	v_add_co_u32_e32 v46, vcc, v44, v46
	v_addc_co_u32_e32 v47, vcc, v45, v47, vcc
	v_ashrrev_i32_e32 v48, 31, v73
	v_add_co_u32_e32 v44, vcc, v72, v48
	v_addc_co_u32_e32 v45, vcc, v73, v48, vcc
	v_xor_b32_e32 v50, v44, v48
	v_xor_b32_e32 v49, v45, v48
	v_mad_u64_u32 v[44:45], s[4:5], v50, v47, 0
	v_mul_hi_u32 v51, v50, v46
	v_add_co_u32_e32 v51, vcc, v51, v44
	v_addc_co_u32_e32 v52, vcc, 0, v45, vcc
	v_mad_u64_u32 v[44:45], s[4:5], v49, v47, 0
	v_mad_u64_u32 v[46:47], s[4:5], v49, v46, 0
	v_add_co_u32_e32 v46, vcc, v51, v46
	v_addc_co_u32_e32 v46, vcc, v52, v47, vcc
	v_addc_co_u32_e32 v45, vcc, 0, v45, vcc
	v_add_co_u32_e32 v46, vcc, v46, v44
	v_addc_co_u32_e32 v47, vcc, 0, v45, vcc
	v_mul_lo_u32 v51, s11, v46
	v_mul_lo_u32 v52, s10, v47
	v_mad_u64_u32 v[44:45], s[4:5], s10, v46, 0
	v_add3_u32 v45, v45, v52, v51
	v_sub_u32_e32 v51, v49, v45
	v_mov_b32_e32 v52, s11
	v_sub_co_u32_e32 v44, vcc, v50, v44
	v_subb_co_u32_e64 v50, s[4:5], v51, v52, vcc
	v_subrev_co_u32_e64 v51, s[4:5], s10, v44
	v_subbrev_co_u32_e64 v50, s[4:5], 0, v50, s[4:5]
	v_cmp_le_u32_e64 s[4:5], s11, v50
	v_cndmask_b32_e64 v52, 0, -1, s[4:5]
	v_cmp_le_u32_e64 s[4:5], s10, v51
	v_cndmask_b32_e64 v51, 0, -1, s[4:5]
	v_cmp_eq_u32_e64 s[4:5], s11, v50
	v_cndmask_b32_e64 v50, v52, v51, s[4:5]
	v_add_co_u32_e64 v51, s[4:5], 2, v46
	v_subb_co_u32_e32 v45, vcc, v49, v45, vcc
	v_addc_co_u32_e64 v52, s[4:5], 0, v47, s[4:5]
	v_cmp_le_u32_e32 vcc, s11, v45
	v_add_co_u32_e64 v53, s[4:5], 1, v46
	v_cndmask_b32_e64 v49, 0, -1, vcc
	v_cmp_le_u32_e32 vcc, s10, v44
	v_addc_co_u32_e64 v54, s[4:5], 0, v47, s[4:5]
	v_cndmask_b32_e64 v44, 0, -1, vcc
	v_cmp_eq_u32_e32 vcc, s11, v45
	v_cmp_ne_u32_e64 s[4:5], 0, v50
	v_cndmask_b32_e32 v44, v49, v44, vcc
	v_cndmask_b32_e64 v50, v54, v52, s[4:5]
	v_cmp_ne_u32_e32 vcc, 0, v44
	v_cndmask_b32_e64 v45, v53, v51, s[4:5]
	v_cndmask_b32_e32 v44, v47, v50, vcc
	v_cndmask_b32_e32 v45, v46, v45, vcc
	v_xor_b32_e32 v46, s8, v48
	v_xor_b32_e32 v47, v44, v46
	;; [unrolled: 1-line block ×3, first 2 shown]
	v_sub_co_u32_e32 v44, vcc, v44, v46
	v_subb_co_u32_e32 v45, vcc, v47, v46, vcc
.LBB1144_91:
	s_andn2_saveexec_b64 s[4:5], s[6:7]
	s_cbranch_execz .LBB1144_93
; %bb.92:
	v_cvt_f32_u32_e32 v44, s44
	s_sub_i32 s6, 0, s44
	v_rcp_iflag_f32_e32 v44, v44
	v_mul_f32_e32 v44, 0x4f7ffffe, v44
	v_cvt_u32_f32_e32 v44, v44
	v_mul_lo_u32 v45, s6, v44
	v_mul_hi_u32 v45, v44, v45
	v_add_u32_e32 v44, v44, v45
	v_mul_hi_u32 v44, v72, v44
	v_mul_lo_u32 v45, v44, s44
	v_sub_u32_e32 v45, v72, v45
	v_add_u32_e32 v46, 1, v44
	v_subrev_u32_e32 v47, s44, v45
	v_cmp_le_u32_e32 vcc, s44, v45
	v_cndmask_b32_e32 v45, v45, v47, vcc
	v_cndmask_b32_e32 v44, v44, v46, vcc
	v_add_u32_e32 v46, 1, v44
	v_cmp_le_u32_e32 vcc, s44, v45
	v_cndmask_b32_e32 v44, v44, v46, vcc
	v_mov_b32_e32 v45, 0
.LBB1144_93:
	s_or_b64 exec, exec, s[4:5]
	v_add_co_u32_e32 v77, vcc, 0x700, v30
	v_addc_co_u32_e32 v78, vcc, 0, v1, vcc
	v_or_b32_e32 v47, s45, v78
	v_mov_b32_e32 v46, 0
	v_cmp_ne_u64_e32 vcc, 0, v[46:47]
                                        ; implicit-def: $vgpr46_vgpr47
	s_and_saveexec_b64 s[4:5], vcc
	s_xor_b64 s[6:7], exec, s[4:5]
	s_cbranch_execz .LBB1144_95
; %bb.94:
	s_ashr_i32 s8, s45, 31
	s_add_u32 s4, s44, s8
	s_mov_b32 s9, s8
	s_addc_u32 s5, s45, s8
	s_xor_b64 s[10:11], s[4:5], s[8:9]
	v_cvt_f32_u32_e32 v46, s10
	v_cvt_f32_u32_e32 v47, s11
	s_sub_u32 s4, 0, s10
	s_subb_u32 s5, 0, s11
	v_madmk_f32 v46, v47, 0x4f800000, v46
	v_rcp_f32_e32 v46, v46
	v_mul_f32_e32 v46, 0x5f7ffffc, v46
	v_mul_f32_e32 v47, 0x2f800000, v46
	v_trunc_f32_e32 v47, v47
	v_madmk_f32 v46, v47, 0xcf800000, v46
	v_cvt_u32_f32_e32 v47, v47
	v_cvt_u32_f32_e32 v46, v46
	v_mul_lo_u32 v48, s4, v47
	v_mul_hi_u32 v50, s4, v46
	v_mul_lo_u32 v49, s5, v46
	v_add_u32_e32 v48, v50, v48
	v_mul_lo_u32 v51, s4, v46
	v_add_u32_e32 v48, v48, v49
	v_mul_lo_u32 v50, v46, v48
	v_mul_hi_u32 v52, v46, v51
	v_mul_hi_u32 v49, v46, v48
	v_add_co_u32_e32 v50, vcc, v52, v50
	v_addc_co_u32_e32 v49, vcc, 0, v49, vcc
	v_mul_hi_u32 v53, v47, v51
	v_mul_lo_u32 v51, v47, v51
	v_add_co_u32_e32 v50, vcc, v50, v51
	v_mul_hi_u32 v52, v47, v48
	v_addc_co_u32_e32 v49, vcc, v49, v53, vcc
	v_addc_co_u32_e32 v50, vcc, 0, v52, vcc
	v_mul_lo_u32 v48, v47, v48
	v_add_co_u32_e32 v48, vcc, v49, v48
	v_addc_co_u32_e32 v49, vcc, 0, v50, vcc
	v_add_co_u32_e32 v46, vcc, v46, v48
	v_addc_co_u32_e32 v47, vcc, v47, v49, vcc
	v_mul_lo_u32 v48, s4, v47
	v_mul_hi_u32 v49, s4, v46
	v_add_u32_e32 v48, v49, v48
	v_mul_lo_u32 v49, s5, v46
	v_add_u32_e32 v48, v48, v49
	v_mul_lo_u32 v50, s4, v46
	v_mul_hi_u32 v51, v47, v50
	v_mul_lo_u32 v52, v47, v50
	v_mul_lo_u32 v54, v46, v48
	v_mul_hi_u32 v50, v46, v50
	v_mul_hi_u32 v53, v46, v48
	v_add_co_u32_e32 v50, vcc, v50, v54
	v_addc_co_u32_e32 v53, vcc, 0, v53, vcc
	v_add_co_u32_e32 v50, vcc, v50, v52
	v_mul_hi_u32 v49, v47, v48
	v_addc_co_u32_e32 v50, vcc, v53, v51, vcc
	v_addc_co_u32_e32 v49, vcc, 0, v49, vcc
	v_mul_lo_u32 v48, v47, v48
	v_add_co_u32_e32 v48, vcc, v50, v48
	v_addc_co_u32_e32 v49, vcc, 0, v49, vcc
	v_add_co_u32_e32 v48, vcc, v46, v48
	v_addc_co_u32_e32 v49, vcc, v47, v49, vcc
	v_ashrrev_i32_e32 v50, 31, v78
	v_add_co_u32_e32 v46, vcc, v77, v50
	v_addc_co_u32_e32 v47, vcc, v78, v50, vcc
	v_xor_b32_e32 v52, v46, v50
	v_xor_b32_e32 v51, v47, v50
	v_mad_u64_u32 v[46:47], s[4:5], v52, v49, 0
	v_mul_hi_u32 v53, v52, v48
	v_add_co_u32_e32 v53, vcc, v53, v46
	v_addc_co_u32_e32 v54, vcc, 0, v47, vcc
	v_mad_u64_u32 v[46:47], s[4:5], v51, v49, 0
	v_mad_u64_u32 v[48:49], s[4:5], v51, v48, 0
	v_add_co_u32_e32 v48, vcc, v53, v48
	v_addc_co_u32_e32 v48, vcc, v54, v49, vcc
	v_addc_co_u32_e32 v47, vcc, 0, v47, vcc
	v_add_co_u32_e32 v48, vcc, v48, v46
	v_addc_co_u32_e32 v49, vcc, 0, v47, vcc
	v_mul_lo_u32 v53, s11, v48
	v_mul_lo_u32 v54, s10, v49
	v_mad_u64_u32 v[46:47], s[4:5], s10, v48, 0
	v_add3_u32 v47, v47, v54, v53
	v_sub_u32_e32 v53, v51, v47
	v_mov_b32_e32 v54, s11
	v_sub_co_u32_e32 v46, vcc, v52, v46
	v_subb_co_u32_e64 v52, s[4:5], v53, v54, vcc
	v_subrev_co_u32_e64 v53, s[4:5], s10, v46
	v_subbrev_co_u32_e64 v52, s[4:5], 0, v52, s[4:5]
	v_cmp_le_u32_e64 s[4:5], s11, v52
	v_cndmask_b32_e64 v54, 0, -1, s[4:5]
	v_cmp_le_u32_e64 s[4:5], s10, v53
	v_cndmask_b32_e64 v53, 0, -1, s[4:5]
	v_cmp_eq_u32_e64 s[4:5], s11, v52
	v_cndmask_b32_e64 v52, v54, v53, s[4:5]
	v_add_co_u32_e64 v53, s[4:5], 2, v48
	v_subb_co_u32_e32 v47, vcc, v51, v47, vcc
	v_addc_co_u32_e64 v54, s[4:5], 0, v49, s[4:5]
	v_cmp_le_u32_e32 vcc, s11, v47
	v_add_co_u32_e64 v55, s[4:5], 1, v48
	v_cndmask_b32_e64 v51, 0, -1, vcc
	v_cmp_le_u32_e32 vcc, s10, v46
	v_addc_co_u32_e64 v56, s[4:5], 0, v49, s[4:5]
	v_cndmask_b32_e64 v46, 0, -1, vcc
	v_cmp_eq_u32_e32 vcc, s11, v47
	v_cmp_ne_u32_e64 s[4:5], 0, v52
	v_cndmask_b32_e32 v46, v51, v46, vcc
	v_cndmask_b32_e64 v52, v56, v54, s[4:5]
	v_cmp_ne_u32_e32 vcc, 0, v46
	v_cndmask_b32_e64 v47, v55, v53, s[4:5]
	v_cndmask_b32_e32 v46, v49, v52, vcc
	v_cndmask_b32_e32 v47, v48, v47, vcc
	v_xor_b32_e32 v48, s8, v50
	v_xor_b32_e32 v49, v46, v48
	;; [unrolled: 1-line block ×3, first 2 shown]
	v_sub_co_u32_e32 v46, vcc, v46, v48
	v_subb_co_u32_e32 v47, vcc, v49, v48, vcc
.LBB1144_95:
	s_andn2_saveexec_b64 s[4:5], s[6:7]
	s_cbranch_execz .LBB1144_97
; %bb.96:
	v_cvt_f32_u32_e32 v46, s44
	s_sub_i32 s6, 0, s44
	v_rcp_iflag_f32_e32 v46, v46
	v_mul_f32_e32 v46, 0x4f7ffffe, v46
	v_cvt_u32_f32_e32 v46, v46
	v_mul_lo_u32 v47, s6, v46
	v_mul_hi_u32 v47, v46, v47
	v_add_u32_e32 v46, v46, v47
	v_mul_hi_u32 v46, v77, v46
	v_mul_lo_u32 v47, v46, s44
	v_sub_u32_e32 v47, v77, v47
	v_add_u32_e32 v48, 1, v46
	v_subrev_u32_e32 v49, s44, v47
	v_cmp_le_u32_e32 vcc, s44, v47
	v_cndmask_b32_e32 v47, v47, v49, vcc
	v_cndmask_b32_e32 v46, v46, v48, vcc
	v_add_u32_e32 v48, 1, v46
	v_cmp_le_u32_e32 vcc, s44, v47
	v_cndmask_b32_e32 v46, v46, v48, vcc
	v_mov_b32_e32 v47, 0
.LBB1144_97:
	s_or_b64 exec, exec, s[4:5]
	v_add_co_u32_e32 v79, vcc, 0x800, v30
	v_addc_co_u32_e32 v80, vcc, 0, v1, vcc
	v_or_b32_e32 v49, s45, v80
	v_mov_b32_e32 v48, 0
	v_cmp_ne_u64_e32 vcc, 0, v[48:49]
                                        ; implicit-def: $vgpr48_vgpr49
	s_and_saveexec_b64 s[4:5], vcc
	s_xor_b64 s[6:7], exec, s[4:5]
	s_cbranch_execz .LBB1144_99
; %bb.98:
	s_ashr_i32 s8, s45, 31
	s_add_u32 s4, s44, s8
	s_mov_b32 s9, s8
	s_addc_u32 s5, s45, s8
	s_xor_b64 s[10:11], s[4:5], s[8:9]
	v_cvt_f32_u32_e32 v48, s10
	v_cvt_f32_u32_e32 v49, s11
	s_sub_u32 s4, 0, s10
	s_subb_u32 s5, 0, s11
	v_madmk_f32 v48, v49, 0x4f800000, v48
	v_rcp_f32_e32 v48, v48
	v_mul_f32_e32 v48, 0x5f7ffffc, v48
	v_mul_f32_e32 v49, 0x2f800000, v48
	v_trunc_f32_e32 v49, v49
	v_madmk_f32 v48, v49, 0xcf800000, v48
	v_cvt_u32_f32_e32 v49, v49
	v_cvt_u32_f32_e32 v48, v48
	v_mul_lo_u32 v50, s4, v49
	v_mul_hi_u32 v52, s4, v48
	v_mul_lo_u32 v51, s5, v48
	v_add_u32_e32 v50, v52, v50
	v_mul_lo_u32 v53, s4, v48
	v_add_u32_e32 v50, v50, v51
	v_mul_lo_u32 v52, v48, v50
	v_mul_hi_u32 v54, v48, v53
	v_mul_hi_u32 v51, v48, v50
	v_add_co_u32_e32 v52, vcc, v54, v52
	v_addc_co_u32_e32 v51, vcc, 0, v51, vcc
	v_mul_hi_u32 v55, v49, v53
	v_mul_lo_u32 v53, v49, v53
	v_add_co_u32_e32 v52, vcc, v52, v53
	v_mul_hi_u32 v54, v49, v50
	v_addc_co_u32_e32 v51, vcc, v51, v55, vcc
	v_addc_co_u32_e32 v52, vcc, 0, v54, vcc
	v_mul_lo_u32 v50, v49, v50
	v_add_co_u32_e32 v50, vcc, v51, v50
	v_addc_co_u32_e32 v51, vcc, 0, v52, vcc
	v_add_co_u32_e32 v48, vcc, v48, v50
	v_addc_co_u32_e32 v49, vcc, v49, v51, vcc
	v_mul_lo_u32 v50, s4, v49
	v_mul_hi_u32 v51, s4, v48
	v_add_u32_e32 v50, v51, v50
	v_mul_lo_u32 v51, s5, v48
	v_add_u32_e32 v50, v50, v51
	v_mul_lo_u32 v52, s4, v48
	v_mul_hi_u32 v53, v49, v52
	v_mul_lo_u32 v54, v49, v52
	v_mul_lo_u32 v56, v48, v50
	v_mul_hi_u32 v52, v48, v52
	v_mul_hi_u32 v55, v48, v50
	v_add_co_u32_e32 v52, vcc, v52, v56
	v_addc_co_u32_e32 v55, vcc, 0, v55, vcc
	v_add_co_u32_e32 v52, vcc, v52, v54
	v_mul_hi_u32 v51, v49, v50
	v_addc_co_u32_e32 v52, vcc, v55, v53, vcc
	v_addc_co_u32_e32 v51, vcc, 0, v51, vcc
	v_mul_lo_u32 v50, v49, v50
	v_add_co_u32_e32 v50, vcc, v52, v50
	v_addc_co_u32_e32 v51, vcc, 0, v51, vcc
	v_add_co_u32_e32 v50, vcc, v48, v50
	v_addc_co_u32_e32 v51, vcc, v49, v51, vcc
	v_ashrrev_i32_e32 v52, 31, v80
	v_add_co_u32_e32 v48, vcc, v79, v52
	v_addc_co_u32_e32 v49, vcc, v80, v52, vcc
	v_xor_b32_e32 v54, v48, v52
	v_xor_b32_e32 v53, v49, v52
	v_mad_u64_u32 v[48:49], s[4:5], v54, v51, 0
	v_mul_hi_u32 v55, v54, v50
	v_add_co_u32_e32 v55, vcc, v55, v48
	v_addc_co_u32_e32 v56, vcc, 0, v49, vcc
	v_mad_u64_u32 v[48:49], s[4:5], v53, v51, 0
	v_mad_u64_u32 v[50:51], s[4:5], v53, v50, 0
	v_add_co_u32_e32 v50, vcc, v55, v50
	v_addc_co_u32_e32 v50, vcc, v56, v51, vcc
	v_addc_co_u32_e32 v49, vcc, 0, v49, vcc
	v_add_co_u32_e32 v50, vcc, v50, v48
	v_addc_co_u32_e32 v51, vcc, 0, v49, vcc
	v_mul_lo_u32 v55, s11, v50
	v_mul_lo_u32 v56, s10, v51
	v_mad_u64_u32 v[48:49], s[4:5], s10, v50, 0
	v_add3_u32 v49, v49, v56, v55
	v_sub_u32_e32 v55, v53, v49
	v_mov_b32_e32 v56, s11
	v_sub_co_u32_e32 v48, vcc, v54, v48
	v_subb_co_u32_e64 v54, s[4:5], v55, v56, vcc
	v_subrev_co_u32_e64 v55, s[4:5], s10, v48
	v_subbrev_co_u32_e64 v54, s[4:5], 0, v54, s[4:5]
	v_cmp_le_u32_e64 s[4:5], s11, v54
	v_cndmask_b32_e64 v56, 0, -1, s[4:5]
	v_cmp_le_u32_e64 s[4:5], s10, v55
	v_cndmask_b32_e64 v55, 0, -1, s[4:5]
	v_cmp_eq_u32_e64 s[4:5], s11, v54
	v_cndmask_b32_e64 v54, v56, v55, s[4:5]
	v_add_co_u32_e64 v55, s[4:5], 2, v50
	v_subb_co_u32_e32 v49, vcc, v53, v49, vcc
	v_addc_co_u32_e64 v56, s[4:5], 0, v51, s[4:5]
	v_cmp_le_u32_e32 vcc, s11, v49
	v_add_co_u32_e64 v57, s[4:5], 1, v50
	v_cndmask_b32_e64 v53, 0, -1, vcc
	v_cmp_le_u32_e32 vcc, s10, v48
	v_addc_co_u32_e64 v58, s[4:5], 0, v51, s[4:5]
	v_cndmask_b32_e64 v48, 0, -1, vcc
	v_cmp_eq_u32_e32 vcc, s11, v49
	v_cmp_ne_u32_e64 s[4:5], 0, v54
	v_cndmask_b32_e32 v48, v53, v48, vcc
	v_cndmask_b32_e64 v54, v58, v56, s[4:5]
	v_cmp_ne_u32_e32 vcc, 0, v48
	v_cndmask_b32_e64 v49, v57, v55, s[4:5]
	v_cndmask_b32_e32 v48, v51, v54, vcc
	v_cndmask_b32_e32 v49, v50, v49, vcc
	v_xor_b32_e32 v50, s8, v52
	v_xor_b32_e32 v51, v48, v50
	;; [unrolled: 1-line block ×3, first 2 shown]
	v_sub_co_u32_e32 v48, vcc, v48, v50
	v_subb_co_u32_e32 v49, vcc, v51, v50, vcc
.LBB1144_99:
	s_andn2_saveexec_b64 s[4:5], s[6:7]
	s_cbranch_execz .LBB1144_101
; %bb.100:
	v_cvt_f32_u32_e32 v48, s44
	s_sub_i32 s6, 0, s44
	v_rcp_iflag_f32_e32 v48, v48
	v_mul_f32_e32 v48, 0x4f7ffffe, v48
	v_cvt_u32_f32_e32 v48, v48
	v_mul_lo_u32 v49, s6, v48
	v_mul_hi_u32 v49, v48, v49
	v_add_u32_e32 v48, v48, v49
	v_mul_hi_u32 v48, v79, v48
	v_mul_lo_u32 v49, v48, s44
	v_sub_u32_e32 v49, v79, v49
	v_add_u32_e32 v50, 1, v48
	v_subrev_u32_e32 v51, s44, v49
	v_cmp_le_u32_e32 vcc, s44, v49
	v_cndmask_b32_e32 v49, v49, v51, vcc
	v_cndmask_b32_e32 v48, v48, v50, vcc
	v_add_u32_e32 v50, 1, v48
	v_cmp_le_u32_e32 vcc, s44, v49
	v_cndmask_b32_e32 v48, v48, v50, vcc
	v_mov_b32_e32 v49, 0
.LBB1144_101:
	s_or_b64 exec, exec, s[4:5]
	v_add_co_u32_e32 v81, vcc, 0x900, v30
	v_addc_co_u32_e32 v82, vcc, 0, v1, vcc
	v_or_b32_e32 v51, s45, v82
	v_mov_b32_e32 v50, 0
	v_cmp_ne_u64_e32 vcc, 0, v[50:51]
                                        ; implicit-def: $vgpr50_vgpr51
	s_and_saveexec_b64 s[4:5], vcc
	s_xor_b64 s[6:7], exec, s[4:5]
	s_cbranch_execz .LBB1144_103
; %bb.102:
	s_ashr_i32 s8, s45, 31
	s_add_u32 s4, s44, s8
	s_mov_b32 s9, s8
	s_addc_u32 s5, s45, s8
	s_xor_b64 s[10:11], s[4:5], s[8:9]
	v_cvt_f32_u32_e32 v50, s10
	v_cvt_f32_u32_e32 v51, s11
	s_sub_u32 s4, 0, s10
	s_subb_u32 s5, 0, s11
	v_madmk_f32 v50, v51, 0x4f800000, v50
	v_rcp_f32_e32 v50, v50
	v_mul_f32_e32 v50, 0x5f7ffffc, v50
	v_mul_f32_e32 v51, 0x2f800000, v50
	v_trunc_f32_e32 v51, v51
	v_madmk_f32 v50, v51, 0xcf800000, v50
	v_cvt_u32_f32_e32 v51, v51
	v_cvt_u32_f32_e32 v50, v50
	v_mul_lo_u32 v52, s4, v51
	v_mul_hi_u32 v54, s4, v50
	v_mul_lo_u32 v53, s5, v50
	v_add_u32_e32 v52, v54, v52
	v_mul_lo_u32 v55, s4, v50
	v_add_u32_e32 v52, v52, v53
	v_mul_lo_u32 v54, v50, v52
	v_mul_hi_u32 v56, v50, v55
	v_mul_hi_u32 v53, v50, v52
	v_add_co_u32_e32 v54, vcc, v56, v54
	v_addc_co_u32_e32 v53, vcc, 0, v53, vcc
	v_mul_hi_u32 v57, v51, v55
	v_mul_lo_u32 v55, v51, v55
	v_add_co_u32_e32 v54, vcc, v54, v55
	v_mul_hi_u32 v56, v51, v52
	v_addc_co_u32_e32 v53, vcc, v53, v57, vcc
	v_addc_co_u32_e32 v54, vcc, 0, v56, vcc
	v_mul_lo_u32 v52, v51, v52
	v_add_co_u32_e32 v52, vcc, v53, v52
	v_addc_co_u32_e32 v53, vcc, 0, v54, vcc
	v_add_co_u32_e32 v50, vcc, v50, v52
	v_addc_co_u32_e32 v51, vcc, v51, v53, vcc
	v_mul_lo_u32 v52, s4, v51
	v_mul_hi_u32 v53, s4, v50
	v_add_u32_e32 v52, v53, v52
	v_mul_lo_u32 v53, s5, v50
	v_add_u32_e32 v52, v52, v53
	v_mul_lo_u32 v54, s4, v50
	v_mul_hi_u32 v55, v51, v54
	v_mul_lo_u32 v56, v51, v54
	v_mul_lo_u32 v58, v50, v52
	v_mul_hi_u32 v54, v50, v54
	v_mul_hi_u32 v57, v50, v52
	v_add_co_u32_e32 v54, vcc, v54, v58
	v_addc_co_u32_e32 v57, vcc, 0, v57, vcc
	v_add_co_u32_e32 v54, vcc, v54, v56
	v_mul_hi_u32 v53, v51, v52
	v_addc_co_u32_e32 v54, vcc, v57, v55, vcc
	v_addc_co_u32_e32 v53, vcc, 0, v53, vcc
	v_mul_lo_u32 v52, v51, v52
	v_add_co_u32_e32 v52, vcc, v54, v52
	v_addc_co_u32_e32 v53, vcc, 0, v53, vcc
	v_add_co_u32_e32 v52, vcc, v50, v52
	v_addc_co_u32_e32 v53, vcc, v51, v53, vcc
	v_ashrrev_i32_e32 v54, 31, v82
	v_add_co_u32_e32 v50, vcc, v81, v54
	v_addc_co_u32_e32 v51, vcc, v82, v54, vcc
	v_xor_b32_e32 v56, v50, v54
	v_xor_b32_e32 v55, v51, v54
	v_mad_u64_u32 v[50:51], s[4:5], v56, v53, 0
	v_mul_hi_u32 v57, v56, v52
	v_add_co_u32_e32 v57, vcc, v57, v50
	v_addc_co_u32_e32 v58, vcc, 0, v51, vcc
	v_mad_u64_u32 v[50:51], s[4:5], v55, v53, 0
	v_mad_u64_u32 v[52:53], s[4:5], v55, v52, 0
	v_add_co_u32_e32 v52, vcc, v57, v52
	v_addc_co_u32_e32 v52, vcc, v58, v53, vcc
	v_addc_co_u32_e32 v51, vcc, 0, v51, vcc
	v_add_co_u32_e32 v52, vcc, v52, v50
	v_addc_co_u32_e32 v53, vcc, 0, v51, vcc
	v_mul_lo_u32 v57, s11, v52
	v_mul_lo_u32 v58, s10, v53
	v_mad_u64_u32 v[50:51], s[4:5], s10, v52, 0
	v_add3_u32 v51, v51, v58, v57
	v_sub_u32_e32 v57, v55, v51
	v_mov_b32_e32 v58, s11
	v_sub_co_u32_e32 v50, vcc, v56, v50
	v_subb_co_u32_e64 v56, s[4:5], v57, v58, vcc
	v_subrev_co_u32_e64 v57, s[4:5], s10, v50
	v_subbrev_co_u32_e64 v56, s[4:5], 0, v56, s[4:5]
	v_cmp_le_u32_e64 s[4:5], s11, v56
	v_cndmask_b32_e64 v58, 0, -1, s[4:5]
	v_cmp_le_u32_e64 s[4:5], s10, v57
	v_cndmask_b32_e64 v57, 0, -1, s[4:5]
	v_cmp_eq_u32_e64 s[4:5], s11, v56
	v_cndmask_b32_e64 v56, v58, v57, s[4:5]
	v_add_co_u32_e64 v57, s[4:5], 2, v52
	v_subb_co_u32_e32 v51, vcc, v55, v51, vcc
	v_addc_co_u32_e64 v58, s[4:5], 0, v53, s[4:5]
	v_cmp_le_u32_e32 vcc, s11, v51
	v_add_co_u32_e64 v59, s[4:5], 1, v52
	v_cndmask_b32_e64 v55, 0, -1, vcc
	v_cmp_le_u32_e32 vcc, s10, v50
	v_addc_co_u32_e64 v60, s[4:5], 0, v53, s[4:5]
	v_cndmask_b32_e64 v50, 0, -1, vcc
	v_cmp_eq_u32_e32 vcc, s11, v51
	v_cmp_ne_u32_e64 s[4:5], 0, v56
	v_cndmask_b32_e32 v50, v55, v50, vcc
	v_cndmask_b32_e64 v56, v60, v58, s[4:5]
	v_cmp_ne_u32_e32 vcc, 0, v50
	v_cndmask_b32_e64 v51, v59, v57, s[4:5]
	v_cndmask_b32_e32 v50, v53, v56, vcc
	v_cndmask_b32_e32 v51, v52, v51, vcc
	v_xor_b32_e32 v52, s8, v54
	v_xor_b32_e32 v53, v50, v52
	;; [unrolled: 1-line block ×3, first 2 shown]
	v_sub_co_u32_e32 v50, vcc, v50, v52
	v_subb_co_u32_e32 v51, vcc, v53, v52, vcc
.LBB1144_103:
	s_andn2_saveexec_b64 s[4:5], s[6:7]
	s_cbranch_execz .LBB1144_105
; %bb.104:
	v_cvt_f32_u32_e32 v50, s44
	s_sub_i32 s6, 0, s44
	v_rcp_iflag_f32_e32 v50, v50
	v_mul_f32_e32 v50, 0x4f7ffffe, v50
	v_cvt_u32_f32_e32 v50, v50
	v_mul_lo_u32 v51, s6, v50
	v_mul_hi_u32 v51, v50, v51
	v_add_u32_e32 v50, v50, v51
	v_mul_hi_u32 v50, v81, v50
	v_mul_lo_u32 v51, v50, s44
	v_sub_u32_e32 v51, v81, v51
	v_add_u32_e32 v52, 1, v50
	v_subrev_u32_e32 v53, s44, v51
	v_cmp_le_u32_e32 vcc, s44, v51
	v_cndmask_b32_e32 v51, v51, v53, vcc
	v_cndmask_b32_e32 v50, v50, v52, vcc
	v_add_u32_e32 v52, 1, v50
	v_cmp_le_u32_e32 vcc, s44, v51
	v_cndmask_b32_e32 v50, v50, v52, vcc
	v_mov_b32_e32 v51, 0
.LBB1144_105:
	s_or_b64 exec, exec, s[4:5]
	v_add_co_u32_e32 v83, vcc, 0xa00, v30
	v_addc_co_u32_e32 v84, vcc, 0, v1, vcc
	v_or_b32_e32 v53, s45, v84
	v_mov_b32_e32 v52, 0
	v_cmp_ne_u64_e32 vcc, 0, v[52:53]
                                        ; implicit-def: $vgpr52_vgpr53
	s_and_saveexec_b64 s[4:5], vcc
	s_xor_b64 s[6:7], exec, s[4:5]
	s_cbranch_execz .LBB1144_107
; %bb.106:
	s_ashr_i32 s8, s45, 31
	s_add_u32 s4, s44, s8
	s_mov_b32 s9, s8
	s_addc_u32 s5, s45, s8
	s_xor_b64 s[10:11], s[4:5], s[8:9]
	v_cvt_f32_u32_e32 v52, s10
	v_cvt_f32_u32_e32 v53, s11
	s_sub_u32 s4, 0, s10
	s_subb_u32 s5, 0, s11
	v_madmk_f32 v52, v53, 0x4f800000, v52
	v_rcp_f32_e32 v52, v52
	v_mul_f32_e32 v52, 0x5f7ffffc, v52
	v_mul_f32_e32 v53, 0x2f800000, v52
	v_trunc_f32_e32 v53, v53
	v_madmk_f32 v52, v53, 0xcf800000, v52
	v_cvt_u32_f32_e32 v53, v53
	v_cvt_u32_f32_e32 v52, v52
	v_mul_lo_u32 v54, s4, v53
	v_mul_hi_u32 v56, s4, v52
	v_mul_lo_u32 v55, s5, v52
	v_add_u32_e32 v54, v56, v54
	v_mul_lo_u32 v57, s4, v52
	v_add_u32_e32 v54, v54, v55
	v_mul_lo_u32 v56, v52, v54
	v_mul_hi_u32 v58, v52, v57
	v_mul_hi_u32 v55, v52, v54
	v_add_co_u32_e32 v56, vcc, v58, v56
	v_addc_co_u32_e32 v55, vcc, 0, v55, vcc
	v_mul_hi_u32 v59, v53, v57
	v_mul_lo_u32 v57, v53, v57
	v_add_co_u32_e32 v56, vcc, v56, v57
	v_mul_hi_u32 v58, v53, v54
	v_addc_co_u32_e32 v55, vcc, v55, v59, vcc
	v_addc_co_u32_e32 v56, vcc, 0, v58, vcc
	v_mul_lo_u32 v54, v53, v54
	v_add_co_u32_e32 v54, vcc, v55, v54
	v_addc_co_u32_e32 v55, vcc, 0, v56, vcc
	v_add_co_u32_e32 v52, vcc, v52, v54
	v_addc_co_u32_e32 v53, vcc, v53, v55, vcc
	v_mul_lo_u32 v54, s4, v53
	v_mul_hi_u32 v55, s4, v52
	v_add_u32_e32 v54, v55, v54
	v_mul_lo_u32 v55, s5, v52
	v_add_u32_e32 v54, v54, v55
	v_mul_lo_u32 v56, s4, v52
	v_mul_hi_u32 v57, v53, v56
	v_mul_lo_u32 v58, v53, v56
	v_mul_lo_u32 v60, v52, v54
	v_mul_hi_u32 v56, v52, v56
	v_mul_hi_u32 v59, v52, v54
	v_add_co_u32_e32 v56, vcc, v56, v60
	v_addc_co_u32_e32 v59, vcc, 0, v59, vcc
	v_add_co_u32_e32 v56, vcc, v56, v58
	v_mul_hi_u32 v55, v53, v54
	v_addc_co_u32_e32 v56, vcc, v59, v57, vcc
	v_addc_co_u32_e32 v55, vcc, 0, v55, vcc
	v_mul_lo_u32 v54, v53, v54
	v_add_co_u32_e32 v54, vcc, v56, v54
	v_addc_co_u32_e32 v55, vcc, 0, v55, vcc
	v_add_co_u32_e32 v54, vcc, v52, v54
	v_addc_co_u32_e32 v55, vcc, v53, v55, vcc
	v_ashrrev_i32_e32 v56, 31, v84
	v_add_co_u32_e32 v52, vcc, v83, v56
	v_addc_co_u32_e32 v53, vcc, v84, v56, vcc
	v_xor_b32_e32 v58, v52, v56
	v_xor_b32_e32 v57, v53, v56
	v_mad_u64_u32 v[52:53], s[4:5], v58, v55, 0
	v_mul_hi_u32 v59, v58, v54
	v_add_co_u32_e32 v59, vcc, v59, v52
	v_addc_co_u32_e32 v60, vcc, 0, v53, vcc
	v_mad_u64_u32 v[52:53], s[4:5], v57, v55, 0
	v_mad_u64_u32 v[54:55], s[4:5], v57, v54, 0
	v_add_co_u32_e32 v54, vcc, v59, v54
	v_addc_co_u32_e32 v54, vcc, v60, v55, vcc
	v_addc_co_u32_e32 v53, vcc, 0, v53, vcc
	v_add_co_u32_e32 v54, vcc, v54, v52
	v_addc_co_u32_e32 v55, vcc, 0, v53, vcc
	v_mul_lo_u32 v59, s11, v54
	v_mul_lo_u32 v60, s10, v55
	v_mad_u64_u32 v[52:53], s[4:5], s10, v54, 0
	v_add3_u32 v53, v53, v60, v59
	v_sub_u32_e32 v59, v57, v53
	v_mov_b32_e32 v60, s11
	v_sub_co_u32_e32 v52, vcc, v58, v52
	v_subb_co_u32_e64 v58, s[4:5], v59, v60, vcc
	v_subrev_co_u32_e64 v59, s[4:5], s10, v52
	v_subbrev_co_u32_e64 v58, s[4:5], 0, v58, s[4:5]
	v_cmp_le_u32_e64 s[4:5], s11, v58
	v_cndmask_b32_e64 v60, 0, -1, s[4:5]
	v_cmp_le_u32_e64 s[4:5], s10, v59
	v_cndmask_b32_e64 v59, 0, -1, s[4:5]
	v_cmp_eq_u32_e64 s[4:5], s11, v58
	v_cndmask_b32_e64 v58, v60, v59, s[4:5]
	v_add_co_u32_e64 v59, s[4:5], 2, v54
	v_subb_co_u32_e32 v53, vcc, v57, v53, vcc
	v_addc_co_u32_e64 v60, s[4:5], 0, v55, s[4:5]
	v_cmp_le_u32_e32 vcc, s11, v53
	v_add_co_u32_e64 v61, s[4:5], 1, v54
	v_cndmask_b32_e64 v57, 0, -1, vcc
	v_cmp_le_u32_e32 vcc, s10, v52
	v_addc_co_u32_e64 v85, s[4:5], 0, v55, s[4:5]
	v_cndmask_b32_e64 v52, 0, -1, vcc
	v_cmp_eq_u32_e32 vcc, s11, v53
	v_cmp_ne_u32_e64 s[4:5], 0, v58
	v_cndmask_b32_e32 v52, v57, v52, vcc
	v_cndmask_b32_e64 v58, v85, v60, s[4:5]
	v_cmp_ne_u32_e32 vcc, 0, v52
	v_cndmask_b32_e64 v53, v61, v59, s[4:5]
	v_cndmask_b32_e32 v52, v55, v58, vcc
	v_cndmask_b32_e32 v53, v54, v53, vcc
	v_xor_b32_e32 v54, s8, v56
	v_xor_b32_e32 v55, v52, v54
	;; [unrolled: 1-line block ×3, first 2 shown]
	v_sub_co_u32_e32 v52, vcc, v52, v54
	v_subb_co_u32_e32 v53, vcc, v55, v54, vcc
.LBB1144_107:
	s_andn2_saveexec_b64 s[4:5], s[6:7]
	s_cbranch_execz .LBB1144_109
; %bb.108:
	v_cvt_f32_u32_e32 v52, s44
	s_sub_i32 s6, 0, s44
	v_rcp_iflag_f32_e32 v52, v52
	v_mul_f32_e32 v52, 0x4f7ffffe, v52
	v_cvt_u32_f32_e32 v52, v52
	v_mul_lo_u32 v53, s6, v52
	v_mul_hi_u32 v53, v52, v53
	v_add_u32_e32 v52, v52, v53
	v_mul_hi_u32 v52, v83, v52
	v_mul_lo_u32 v53, v52, s44
	v_sub_u32_e32 v53, v83, v53
	v_add_u32_e32 v54, 1, v52
	v_subrev_u32_e32 v55, s44, v53
	v_cmp_le_u32_e32 vcc, s44, v53
	v_cndmask_b32_e32 v53, v53, v55, vcc
	v_cndmask_b32_e32 v52, v52, v54, vcc
	v_add_u32_e32 v54, 1, v52
	v_cmp_le_u32_e32 vcc, s44, v53
	v_cndmask_b32_e32 v52, v52, v54, vcc
	v_mov_b32_e32 v53, 0
.LBB1144_109:
	s_or_b64 exec, exec, s[4:5]
	v_add_co_u32_e32 v85, vcc, 0xb00, v30
	v_addc_co_u32_e32 v86, vcc, 0, v1, vcc
	v_or_b32_e32 v55, s45, v86
	v_mov_b32_e32 v54, 0
	v_cmp_ne_u64_e32 vcc, 0, v[54:55]
                                        ; implicit-def: $vgpr54_vgpr55
	s_and_saveexec_b64 s[4:5], vcc
	s_xor_b64 s[6:7], exec, s[4:5]
	s_cbranch_execz .LBB1144_111
; %bb.110:
	s_ashr_i32 s8, s45, 31
	s_add_u32 s4, s44, s8
	s_mov_b32 s9, s8
	s_addc_u32 s5, s45, s8
	s_xor_b64 s[10:11], s[4:5], s[8:9]
	v_cvt_f32_u32_e32 v54, s10
	v_cvt_f32_u32_e32 v55, s11
	s_sub_u32 s4, 0, s10
	s_subb_u32 s5, 0, s11
	v_madmk_f32 v54, v55, 0x4f800000, v54
	v_rcp_f32_e32 v54, v54
	v_mul_f32_e32 v54, 0x5f7ffffc, v54
	v_mul_f32_e32 v55, 0x2f800000, v54
	v_trunc_f32_e32 v55, v55
	v_madmk_f32 v54, v55, 0xcf800000, v54
	v_cvt_u32_f32_e32 v55, v55
	v_cvt_u32_f32_e32 v54, v54
	v_mul_lo_u32 v56, s4, v55
	v_mul_hi_u32 v58, s4, v54
	v_mul_lo_u32 v57, s5, v54
	v_add_u32_e32 v56, v58, v56
	v_mul_lo_u32 v59, s4, v54
	v_add_u32_e32 v56, v56, v57
	v_mul_lo_u32 v58, v54, v56
	v_mul_hi_u32 v60, v54, v59
	v_mul_hi_u32 v57, v54, v56
	v_add_co_u32_e32 v58, vcc, v60, v58
	v_addc_co_u32_e32 v57, vcc, 0, v57, vcc
	v_mul_hi_u32 v61, v55, v59
	v_mul_lo_u32 v59, v55, v59
	v_add_co_u32_e32 v58, vcc, v58, v59
	v_mul_hi_u32 v60, v55, v56
	v_addc_co_u32_e32 v57, vcc, v57, v61, vcc
	v_addc_co_u32_e32 v58, vcc, 0, v60, vcc
	v_mul_lo_u32 v56, v55, v56
	v_add_co_u32_e32 v56, vcc, v57, v56
	v_addc_co_u32_e32 v57, vcc, 0, v58, vcc
	v_add_co_u32_e32 v54, vcc, v54, v56
	v_addc_co_u32_e32 v55, vcc, v55, v57, vcc
	v_mul_lo_u32 v56, s4, v55
	v_mul_hi_u32 v57, s4, v54
	v_add_u32_e32 v56, v57, v56
	v_mul_lo_u32 v57, s5, v54
	v_add_u32_e32 v56, v56, v57
	v_mul_lo_u32 v58, s4, v54
	v_mul_hi_u32 v59, v55, v58
	v_mul_lo_u32 v60, v55, v58
	v_mul_lo_u32 v87, v54, v56
	v_mul_hi_u32 v58, v54, v58
	v_mul_hi_u32 v61, v54, v56
	v_add_co_u32_e32 v58, vcc, v58, v87
	v_addc_co_u32_e32 v61, vcc, 0, v61, vcc
	v_add_co_u32_e32 v58, vcc, v58, v60
	v_mul_hi_u32 v57, v55, v56
	v_addc_co_u32_e32 v58, vcc, v61, v59, vcc
	v_addc_co_u32_e32 v57, vcc, 0, v57, vcc
	v_mul_lo_u32 v56, v55, v56
	v_add_co_u32_e32 v56, vcc, v58, v56
	v_addc_co_u32_e32 v57, vcc, 0, v57, vcc
	v_add_co_u32_e32 v56, vcc, v54, v56
	v_addc_co_u32_e32 v57, vcc, v55, v57, vcc
	v_ashrrev_i32_e32 v58, 31, v86
	v_add_co_u32_e32 v54, vcc, v85, v58
	v_addc_co_u32_e32 v55, vcc, v86, v58, vcc
	v_xor_b32_e32 v60, v54, v58
	v_xor_b32_e32 v59, v55, v58
	v_mad_u64_u32 v[54:55], s[4:5], v60, v57, 0
	v_mul_hi_u32 v61, v60, v56
	v_add_co_u32_e32 v61, vcc, v61, v54
	v_addc_co_u32_e32 v87, vcc, 0, v55, vcc
	v_mad_u64_u32 v[54:55], s[4:5], v59, v57, 0
	v_mad_u64_u32 v[56:57], s[4:5], v59, v56, 0
	v_add_co_u32_e32 v56, vcc, v61, v56
	v_addc_co_u32_e32 v56, vcc, v87, v57, vcc
	v_addc_co_u32_e32 v55, vcc, 0, v55, vcc
	v_add_co_u32_e32 v56, vcc, v56, v54
	v_addc_co_u32_e32 v57, vcc, 0, v55, vcc
	v_mul_lo_u32 v61, s11, v56
	v_mul_lo_u32 v87, s10, v57
	v_mad_u64_u32 v[54:55], s[4:5], s10, v56, 0
	v_add3_u32 v55, v55, v87, v61
	v_sub_u32_e32 v61, v59, v55
	v_mov_b32_e32 v87, s11
	v_sub_co_u32_e32 v54, vcc, v60, v54
	v_subb_co_u32_e64 v60, s[4:5], v61, v87, vcc
	v_subrev_co_u32_e64 v61, s[4:5], s10, v54
	v_subbrev_co_u32_e64 v60, s[4:5], 0, v60, s[4:5]
	v_cmp_le_u32_e64 s[4:5], s11, v60
	v_cndmask_b32_e64 v87, 0, -1, s[4:5]
	v_cmp_le_u32_e64 s[4:5], s10, v61
	v_cndmask_b32_e64 v61, 0, -1, s[4:5]
	v_cmp_eq_u32_e64 s[4:5], s11, v60
	v_cndmask_b32_e64 v60, v87, v61, s[4:5]
	v_add_co_u32_e64 v61, s[4:5], 2, v56
	v_subb_co_u32_e32 v55, vcc, v59, v55, vcc
	v_addc_co_u32_e64 v87, s[4:5], 0, v57, s[4:5]
	v_cmp_le_u32_e32 vcc, s11, v55
	v_add_co_u32_e64 v88, s[4:5], 1, v56
	v_cndmask_b32_e64 v59, 0, -1, vcc
	v_cmp_le_u32_e32 vcc, s10, v54
	v_addc_co_u32_e64 v89, s[4:5], 0, v57, s[4:5]
	v_cndmask_b32_e64 v54, 0, -1, vcc
	v_cmp_eq_u32_e32 vcc, s11, v55
	v_cmp_ne_u32_e64 s[4:5], 0, v60
	v_cndmask_b32_e32 v54, v59, v54, vcc
	v_cndmask_b32_e64 v60, v89, v87, s[4:5]
	v_cmp_ne_u32_e32 vcc, 0, v54
	v_cndmask_b32_e64 v55, v88, v61, s[4:5]
	v_cndmask_b32_e32 v54, v57, v60, vcc
	v_cndmask_b32_e32 v55, v56, v55, vcc
	v_xor_b32_e32 v56, s8, v58
	v_xor_b32_e32 v57, v54, v56
	;; [unrolled: 1-line block ×3, first 2 shown]
	v_sub_co_u32_e32 v54, vcc, v54, v56
	v_subb_co_u32_e32 v55, vcc, v57, v56, vcc
.LBB1144_111:
	s_andn2_saveexec_b64 s[4:5], s[6:7]
	s_cbranch_execz .LBB1144_113
; %bb.112:
	v_cvt_f32_u32_e32 v54, s44
	s_sub_i32 s6, 0, s44
	v_rcp_iflag_f32_e32 v54, v54
	v_mul_f32_e32 v54, 0x4f7ffffe, v54
	v_cvt_u32_f32_e32 v54, v54
	v_mul_lo_u32 v55, s6, v54
	v_mul_hi_u32 v55, v54, v55
	v_add_u32_e32 v54, v54, v55
	v_mul_hi_u32 v54, v85, v54
	v_mul_lo_u32 v55, v54, s44
	v_sub_u32_e32 v55, v85, v55
	v_add_u32_e32 v56, 1, v54
	v_subrev_u32_e32 v57, s44, v55
	v_cmp_le_u32_e32 vcc, s44, v55
	v_cndmask_b32_e32 v55, v55, v57, vcc
	v_cndmask_b32_e32 v54, v54, v56, vcc
	v_add_u32_e32 v56, 1, v54
	v_cmp_le_u32_e32 vcc, s44, v55
	v_cndmask_b32_e32 v54, v54, v56, vcc
	v_mov_b32_e32 v55, 0
.LBB1144_113:
	s_or_b64 exec, exec, s[4:5]
	v_add_co_u32_e32 v87, vcc, 0xc00, v30
	v_addc_co_u32_e32 v88, vcc, 0, v1, vcc
	v_or_b32_e32 v57, s45, v88
	v_mov_b32_e32 v56, 0
	v_cmp_ne_u64_e32 vcc, 0, v[56:57]
                                        ; implicit-def: $vgpr56_vgpr57
	s_and_saveexec_b64 s[4:5], vcc
	s_xor_b64 s[6:7], exec, s[4:5]
	s_cbranch_execz .LBB1144_115
; %bb.114:
	s_ashr_i32 s8, s45, 31
	s_add_u32 s4, s44, s8
	s_mov_b32 s9, s8
	s_addc_u32 s5, s45, s8
	s_xor_b64 s[10:11], s[4:5], s[8:9]
	v_cvt_f32_u32_e32 v56, s10
	v_cvt_f32_u32_e32 v57, s11
	s_sub_u32 s4, 0, s10
	s_subb_u32 s5, 0, s11
	v_madmk_f32 v56, v57, 0x4f800000, v56
	v_rcp_f32_e32 v56, v56
	v_mul_f32_e32 v56, 0x5f7ffffc, v56
	v_mul_f32_e32 v57, 0x2f800000, v56
	v_trunc_f32_e32 v57, v57
	v_madmk_f32 v56, v57, 0xcf800000, v56
	v_cvt_u32_f32_e32 v57, v57
	v_cvt_u32_f32_e32 v56, v56
	v_mul_lo_u32 v58, s4, v57
	v_mul_hi_u32 v60, s4, v56
	v_mul_lo_u32 v59, s5, v56
	v_add_u32_e32 v58, v60, v58
	v_mul_lo_u32 v61, s4, v56
	v_add_u32_e32 v58, v58, v59
	v_mul_lo_u32 v60, v56, v58
	v_mul_hi_u32 v89, v56, v61
	v_mul_hi_u32 v59, v56, v58
	v_add_co_u32_e32 v60, vcc, v89, v60
	v_addc_co_u32_e32 v59, vcc, 0, v59, vcc
	v_mul_hi_u32 v90, v57, v61
	v_mul_lo_u32 v61, v57, v61
	v_add_co_u32_e32 v60, vcc, v60, v61
	v_mul_hi_u32 v89, v57, v58
	v_addc_co_u32_e32 v59, vcc, v59, v90, vcc
	v_addc_co_u32_e32 v60, vcc, 0, v89, vcc
	v_mul_lo_u32 v58, v57, v58
	v_add_co_u32_e32 v58, vcc, v59, v58
	v_addc_co_u32_e32 v59, vcc, 0, v60, vcc
	v_add_co_u32_e32 v56, vcc, v56, v58
	v_addc_co_u32_e32 v57, vcc, v57, v59, vcc
	v_mul_lo_u32 v58, s4, v57
	v_mul_hi_u32 v59, s4, v56
	v_add_u32_e32 v58, v59, v58
	v_mul_lo_u32 v59, s5, v56
	v_add_u32_e32 v58, v58, v59
	v_mul_lo_u32 v60, s4, v56
	v_mul_hi_u32 v61, v57, v60
	v_mul_lo_u32 v89, v57, v60
	v_mul_lo_u32 v91, v56, v58
	v_mul_hi_u32 v60, v56, v60
	v_mul_hi_u32 v90, v56, v58
	v_add_co_u32_e32 v60, vcc, v60, v91
	v_addc_co_u32_e32 v90, vcc, 0, v90, vcc
	v_add_co_u32_e32 v60, vcc, v60, v89
	v_mul_hi_u32 v59, v57, v58
	v_addc_co_u32_e32 v60, vcc, v90, v61, vcc
	v_addc_co_u32_e32 v59, vcc, 0, v59, vcc
	v_mul_lo_u32 v58, v57, v58
	v_add_co_u32_e32 v58, vcc, v60, v58
	v_addc_co_u32_e32 v59, vcc, 0, v59, vcc
	v_add_co_u32_e32 v58, vcc, v56, v58
	v_addc_co_u32_e32 v59, vcc, v57, v59, vcc
	v_ashrrev_i32_e32 v60, 31, v88
	v_add_co_u32_e32 v56, vcc, v87, v60
	v_addc_co_u32_e32 v57, vcc, v88, v60, vcc
	v_xor_b32_e32 v89, v56, v60
	v_xor_b32_e32 v61, v57, v60
	v_mad_u64_u32 v[56:57], s[4:5], v89, v59, 0
	v_mul_hi_u32 v90, v89, v58
	v_add_co_u32_e32 v90, vcc, v90, v56
	v_addc_co_u32_e32 v91, vcc, 0, v57, vcc
	v_mad_u64_u32 v[56:57], s[4:5], v61, v59, 0
	v_mad_u64_u32 v[58:59], s[4:5], v61, v58, 0
	v_add_co_u32_e32 v58, vcc, v90, v58
	v_addc_co_u32_e32 v58, vcc, v91, v59, vcc
	v_addc_co_u32_e32 v57, vcc, 0, v57, vcc
	v_add_co_u32_e32 v58, vcc, v58, v56
	v_addc_co_u32_e32 v59, vcc, 0, v57, vcc
	v_mul_lo_u32 v90, s11, v58
	v_mul_lo_u32 v91, s10, v59
	v_mad_u64_u32 v[56:57], s[4:5], s10, v58, 0
	v_add3_u32 v57, v57, v91, v90
	v_sub_u32_e32 v90, v61, v57
	v_mov_b32_e32 v91, s11
	v_sub_co_u32_e32 v56, vcc, v89, v56
	v_subb_co_u32_e64 v89, s[4:5], v90, v91, vcc
	v_subrev_co_u32_e64 v90, s[4:5], s10, v56
	v_subbrev_co_u32_e64 v89, s[4:5], 0, v89, s[4:5]
	v_cmp_le_u32_e64 s[4:5], s11, v89
	v_cndmask_b32_e64 v91, 0, -1, s[4:5]
	v_cmp_le_u32_e64 s[4:5], s10, v90
	v_cndmask_b32_e64 v90, 0, -1, s[4:5]
	v_cmp_eq_u32_e64 s[4:5], s11, v89
	v_cndmask_b32_e64 v89, v91, v90, s[4:5]
	v_add_co_u32_e64 v90, s[4:5], 2, v58
	v_subb_co_u32_e32 v57, vcc, v61, v57, vcc
	v_addc_co_u32_e64 v91, s[4:5], 0, v59, s[4:5]
	v_cmp_le_u32_e32 vcc, s11, v57
	v_add_co_u32_e64 v92, s[4:5], 1, v58
	v_cndmask_b32_e64 v61, 0, -1, vcc
	v_cmp_le_u32_e32 vcc, s10, v56
	v_addc_co_u32_e64 v93, s[4:5], 0, v59, s[4:5]
	v_cndmask_b32_e64 v56, 0, -1, vcc
	v_cmp_eq_u32_e32 vcc, s11, v57
	v_cmp_ne_u32_e64 s[4:5], 0, v89
	v_cndmask_b32_e32 v56, v61, v56, vcc
	v_cndmask_b32_e64 v89, v93, v91, s[4:5]
	v_cmp_ne_u32_e32 vcc, 0, v56
	v_cndmask_b32_e64 v57, v92, v90, s[4:5]
	v_cndmask_b32_e32 v56, v59, v89, vcc
	v_cndmask_b32_e32 v57, v58, v57, vcc
	v_xor_b32_e32 v58, s8, v60
	v_xor_b32_e32 v59, v56, v58
	;; [unrolled: 1-line block ×3, first 2 shown]
	v_sub_co_u32_e32 v56, vcc, v56, v58
	v_subb_co_u32_e32 v57, vcc, v59, v58, vcc
.LBB1144_115:
	s_andn2_saveexec_b64 s[4:5], s[6:7]
	s_cbranch_execz .LBB1144_117
; %bb.116:
	v_cvt_f32_u32_e32 v56, s44
	s_sub_i32 s6, 0, s44
	v_rcp_iflag_f32_e32 v56, v56
	v_mul_f32_e32 v56, 0x4f7ffffe, v56
	v_cvt_u32_f32_e32 v56, v56
	v_mul_lo_u32 v57, s6, v56
	v_mul_hi_u32 v57, v56, v57
	v_add_u32_e32 v56, v56, v57
	v_mul_hi_u32 v56, v87, v56
	v_mul_lo_u32 v57, v56, s44
	v_sub_u32_e32 v57, v87, v57
	v_add_u32_e32 v58, 1, v56
	v_subrev_u32_e32 v59, s44, v57
	v_cmp_le_u32_e32 vcc, s44, v57
	v_cndmask_b32_e32 v57, v57, v59, vcc
	v_cndmask_b32_e32 v56, v56, v58, vcc
	v_add_u32_e32 v58, 1, v56
	v_cmp_le_u32_e32 vcc, s44, v57
	v_cndmask_b32_e32 v56, v56, v58, vcc
	v_mov_b32_e32 v57, 0
.LBB1144_117:
	s_or_b64 exec, exec, s[4:5]
	v_add_co_u32_e32 v91, vcc, 0xd00, v30
	v_addc_co_u32_e32 v92, vcc, 0, v1, vcc
	v_or_b32_e32 v59, s45, v92
	v_mov_b32_e32 v58, 0
	v_cmp_ne_u64_e32 vcc, 0, v[58:59]
                                        ; implicit-def: $vgpr60_vgpr61
	s_and_saveexec_b64 s[4:5], vcc
	s_xor_b64 s[6:7], exec, s[4:5]
	s_cbranch_execz .LBB1144_119
; %bb.118:
	s_ashr_i32 s8, s45, 31
	s_add_u32 s4, s44, s8
	s_mov_b32 s9, s8
	s_addc_u32 s5, s45, s8
	s_xor_b64 s[10:11], s[4:5], s[8:9]
	v_cvt_f32_u32_e32 v58, s10
	v_cvt_f32_u32_e32 v59, s11
	s_sub_u32 s4, 0, s10
	s_subb_u32 s5, 0, s11
	v_madmk_f32 v58, v59, 0x4f800000, v58
	v_rcp_f32_e32 v58, v58
	v_mul_f32_e32 v58, 0x5f7ffffc, v58
	v_mul_f32_e32 v59, 0x2f800000, v58
	v_trunc_f32_e32 v59, v59
	v_madmk_f32 v58, v59, 0xcf800000, v58
	v_cvt_u32_f32_e32 v59, v59
	v_cvt_u32_f32_e32 v58, v58
	v_mul_lo_u32 v60, s4, v59
	v_mul_hi_u32 v89, s4, v58
	v_mul_lo_u32 v61, s5, v58
	v_add_u32_e32 v60, v89, v60
	v_mul_lo_u32 v90, s4, v58
	v_add_u32_e32 v60, v60, v61
	v_mul_lo_u32 v89, v58, v60
	v_mul_hi_u32 v93, v58, v90
	v_mul_hi_u32 v61, v58, v60
	v_add_co_u32_e32 v89, vcc, v93, v89
	v_addc_co_u32_e32 v61, vcc, 0, v61, vcc
	v_mul_hi_u32 v94, v59, v90
	v_mul_lo_u32 v90, v59, v90
	v_add_co_u32_e32 v89, vcc, v89, v90
	v_mul_hi_u32 v93, v59, v60
	v_addc_co_u32_e32 v61, vcc, v61, v94, vcc
	v_addc_co_u32_e32 v89, vcc, 0, v93, vcc
	v_mul_lo_u32 v60, v59, v60
	v_add_co_u32_e32 v60, vcc, v61, v60
	v_addc_co_u32_e32 v61, vcc, 0, v89, vcc
	v_add_co_u32_e32 v58, vcc, v58, v60
	v_addc_co_u32_e32 v59, vcc, v59, v61, vcc
	v_mul_lo_u32 v60, s4, v59
	v_mul_hi_u32 v61, s4, v58
	v_add_u32_e32 v60, v61, v60
	v_mul_lo_u32 v61, s5, v58
	v_add_u32_e32 v60, v60, v61
	v_mul_lo_u32 v89, s4, v58
	v_mul_hi_u32 v90, v59, v89
	v_mul_lo_u32 v93, v59, v89
	v_mul_lo_u32 v95, v58, v60
	v_mul_hi_u32 v89, v58, v89
	v_mul_hi_u32 v94, v58, v60
	v_add_co_u32_e32 v89, vcc, v89, v95
	v_addc_co_u32_e32 v94, vcc, 0, v94, vcc
	v_add_co_u32_e32 v89, vcc, v89, v93
	v_mul_hi_u32 v61, v59, v60
	v_addc_co_u32_e32 v89, vcc, v94, v90, vcc
	v_addc_co_u32_e32 v61, vcc, 0, v61, vcc
	v_mul_lo_u32 v60, v59, v60
	v_add_co_u32_e32 v60, vcc, v89, v60
	v_addc_co_u32_e32 v61, vcc, 0, v61, vcc
	v_add_co_u32_e32 v60, vcc, v58, v60
	v_addc_co_u32_e32 v61, vcc, v59, v61, vcc
	v_ashrrev_i32_e32 v89, 31, v92
	v_add_co_u32_e32 v58, vcc, v91, v89
	v_addc_co_u32_e32 v59, vcc, v92, v89, vcc
	v_xor_b32_e32 v93, v58, v89
	v_xor_b32_e32 v90, v59, v89
	v_mad_u64_u32 v[58:59], s[4:5], v93, v61, 0
	v_mul_hi_u32 v94, v93, v60
	v_add_co_u32_e32 v94, vcc, v94, v58
	v_addc_co_u32_e32 v95, vcc, 0, v59, vcc
	v_mad_u64_u32 v[58:59], s[4:5], v90, v61, 0
	v_mad_u64_u32 v[60:61], s[4:5], v90, v60, 0
	v_add_co_u32_e32 v60, vcc, v94, v60
	v_addc_co_u32_e32 v60, vcc, v95, v61, vcc
	v_addc_co_u32_e32 v59, vcc, 0, v59, vcc
	v_add_co_u32_e32 v60, vcc, v60, v58
	v_addc_co_u32_e32 v61, vcc, 0, v59, vcc
	v_mul_lo_u32 v94, s11, v60
	v_mul_lo_u32 v95, s10, v61
	v_mad_u64_u32 v[58:59], s[4:5], s10, v60, 0
	v_add3_u32 v59, v59, v95, v94
	v_sub_u32_e32 v94, v90, v59
	v_mov_b32_e32 v95, s11
	v_sub_co_u32_e32 v58, vcc, v93, v58
	v_subb_co_u32_e64 v93, s[4:5], v94, v95, vcc
	v_subrev_co_u32_e64 v94, s[4:5], s10, v58
	v_subbrev_co_u32_e64 v93, s[4:5], 0, v93, s[4:5]
	v_cmp_le_u32_e64 s[4:5], s11, v93
	v_cndmask_b32_e64 v95, 0, -1, s[4:5]
	v_cmp_le_u32_e64 s[4:5], s10, v94
	v_cndmask_b32_e64 v94, 0, -1, s[4:5]
	v_cmp_eq_u32_e64 s[4:5], s11, v93
	v_cndmask_b32_e64 v93, v95, v94, s[4:5]
	v_add_co_u32_e64 v94, s[4:5], 2, v60
	v_subb_co_u32_e32 v59, vcc, v90, v59, vcc
	v_addc_co_u32_e64 v95, s[4:5], 0, v61, s[4:5]
	v_cmp_le_u32_e32 vcc, s11, v59
	v_add_co_u32_e64 v96, s[4:5], 1, v60
	v_cndmask_b32_e64 v90, 0, -1, vcc
	v_cmp_le_u32_e32 vcc, s10, v58
	v_addc_co_u32_e64 v97, s[4:5], 0, v61, s[4:5]
	v_cndmask_b32_e64 v58, 0, -1, vcc
	v_cmp_eq_u32_e32 vcc, s11, v59
	v_cmp_ne_u32_e64 s[4:5], 0, v93
	v_cndmask_b32_e32 v58, v90, v58, vcc
	v_cndmask_b32_e64 v93, v97, v95, s[4:5]
	v_cmp_ne_u32_e32 vcc, 0, v58
	v_cndmask_b32_e64 v59, v96, v94, s[4:5]
	v_cndmask_b32_e32 v58, v61, v93, vcc
	v_cndmask_b32_e32 v59, v60, v59, vcc
	v_xor_b32_e32 v61, s8, v89
	v_xor_b32_e32 v59, v59, v61
	;; [unrolled: 1-line block ×3, first 2 shown]
	v_sub_co_u32_e32 v60, vcc, v59, v61
	v_subb_co_u32_e32 v61, vcc, v58, v61, vcc
.LBB1144_119:
	s_andn2_saveexec_b64 s[4:5], s[6:7]
	s_cbranch_execz .LBB1144_121
; %bb.120:
	v_cvt_f32_u32_e32 v58, s44
	s_sub_i32 s6, 0, s44
	v_rcp_iflag_f32_e32 v58, v58
	v_mul_f32_e32 v58, 0x4f7ffffe, v58
	v_cvt_u32_f32_e32 v58, v58
	v_mul_lo_u32 v59, s6, v58
	v_mul_hi_u32 v59, v58, v59
	v_add_u32_e32 v58, v58, v59
	v_mul_hi_u32 v58, v91, v58
	v_mul_lo_u32 v59, v58, s44
	v_sub_u32_e32 v59, v91, v59
	v_add_u32_e32 v60, 1, v58
	v_subrev_u32_e32 v61, s44, v59
	v_cmp_le_u32_e32 vcc, s44, v59
	v_cndmask_b32_e32 v59, v59, v61, vcc
	v_cndmask_b32_e32 v58, v58, v60, vcc
	v_add_u32_e32 v60, 1, v58
	v_cmp_le_u32_e32 vcc, s44, v59
	v_cndmask_b32_e32 v60, v58, v60, vcc
	v_mov_b32_e32 v61, 0
.LBB1144_121:
	s_or_b64 exec, exec, s[4:5]
	v_add_co_u32_e32 v89, vcc, 0xe00, v30
	v_addc_co_u32_e32 v90, vcc, 0, v1, vcc
	v_or_b32_e32 v59, s45, v90
	v_mov_b32_e32 v58, 0
	v_cmp_ne_u64_e32 vcc, 0, v[58:59]
                                        ; implicit-def: $vgpr58_vgpr59
	s_and_saveexec_b64 s[4:5], vcc
	s_xor_b64 s[6:7], exec, s[4:5]
	s_cbranch_execz .LBB1144_123
; %bb.122:
	s_ashr_i32 s8, s45, 31
	s_add_u32 s4, s44, s8
	s_mov_b32 s9, s8
	s_addc_u32 s5, s45, s8
	s_xor_b64 s[10:11], s[4:5], s[8:9]
	v_cvt_f32_u32_e32 v58, s10
	v_cvt_f32_u32_e32 v59, s11
	s_sub_u32 s4, 0, s10
	s_subb_u32 s5, 0, s11
	v_madmk_f32 v58, v59, 0x4f800000, v58
	v_rcp_f32_e32 v58, v58
	v_mul_f32_e32 v58, 0x5f7ffffc, v58
	v_mul_f32_e32 v59, 0x2f800000, v58
	v_trunc_f32_e32 v59, v59
	v_madmk_f32 v58, v59, 0xcf800000, v58
	v_cvt_u32_f32_e32 v59, v59
	v_cvt_u32_f32_e32 v58, v58
	v_mul_lo_u32 v93, s4, v59
	v_mul_hi_u32 v95, s4, v58
	v_mul_lo_u32 v94, s5, v58
	v_add_u32_e32 v93, v95, v93
	v_mul_lo_u32 v96, s4, v58
	v_add_u32_e32 v93, v93, v94
	v_mul_lo_u32 v95, v58, v93
	v_mul_hi_u32 v97, v58, v96
	v_mul_hi_u32 v94, v58, v93
	v_add_co_u32_e32 v95, vcc, v97, v95
	v_addc_co_u32_e32 v94, vcc, 0, v94, vcc
	v_mul_hi_u32 v98, v59, v96
	v_mul_lo_u32 v96, v59, v96
	v_add_co_u32_e32 v95, vcc, v95, v96
	v_mul_hi_u32 v97, v59, v93
	v_addc_co_u32_e32 v94, vcc, v94, v98, vcc
	v_addc_co_u32_e32 v95, vcc, 0, v97, vcc
	v_mul_lo_u32 v93, v59, v93
	v_add_co_u32_e32 v93, vcc, v94, v93
	v_addc_co_u32_e32 v94, vcc, 0, v95, vcc
	v_add_co_u32_e32 v58, vcc, v58, v93
	v_addc_co_u32_e32 v59, vcc, v59, v94, vcc
	v_mul_lo_u32 v93, s4, v59
	v_mul_hi_u32 v94, s4, v58
	v_add_u32_e32 v93, v94, v93
	v_mul_lo_u32 v94, s5, v58
	v_add_u32_e32 v93, v93, v94
	v_mul_lo_u32 v95, s4, v58
	v_mul_hi_u32 v96, v59, v95
	v_mul_lo_u32 v97, v59, v95
	v_mul_lo_u32 v99, v58, v93
	v_mul_hi_u32 v95, v58, v95
	v_mul_hi_u32 v98, v58, v93
	v_add_co_u32_e32 v95, vcc, v95, v99
	v_addc_co_u32_e32 v98, vcc, 0, v98, vcc
	v_add_co_u32_e32 v95, vcc, v95, v97
	v_mul_hi_u32 v94, v59, v93
	v_addc_co_u32_e32 v95, vcc, v98, v96, vcc
	v_addc_co_u32_e32 v94, vcc, 0, v94, vcc
	v_mul_lo_u32 v93, v59, v93
	v_add_co_u32_e32 v93, vcc, v95, v93
	v_addc_co_u32_e32 v94, vcc, 0, v94, vcc
	v_add_co_u32_e32 v93, vcc, v58, v93
	v_addc_co_u32_e32 v94, vcc, v59, v94, vcc
	v_ashrrev_i32_e32 v96, 31, v90
	v_add_co_u32_e32 v58, vcc, v89, v96
	v_addc_co_u32_e32 v59, vcc, v90, v96, vcc
	v_xor_b32_e32 v98, v58, v96
	v_xor_b32_e32 v97, v59, v96
	v_mad_u64_u32 v[58:59], s[4:5], v98, v94, 0
	v_mul_hi_u32 v95, v98, v93
	v_add_co_u32_e32 v99, vcc, v95, v58
	v_addc_co_u32_e32 v100, vcc, 0, v59, vcc
	v_mad_u64_u32 v[58:59], s[4:5], v97, v94, 0
	v_mad_u64_u32 v[94:95], s[4:5], v97, v93, 0
	v_add_co_u32_e32 v93, vcc, v99, v94
	v_addc_co_u32_e32 v93, vcc, v100, v95, vcc
	v_addc_co_u32_e32 v59, vcc, 0, v59, vcc
	v_add_co_u32_e32 v93, vcc, v93, v58
	v_addc_co_u32_e32 v94, vcc, 0, v59, vcc
	v_mul_lo_u32 v95, s11, v93
	v_mul_lo_u32 v99, s10, v94
	v_mad_u64_u32 v[58:59], s[4:5], s10, v93, 0
	v_add3_u32 v59, v59, v99, v95
	v_sub_u32_e32 v95, v97, v59
	v_mov_b32_e32 v99, s11
	v_sub_co_u32_e32 v58, vcc, v98, v58
	v_subb_co_u32_e64 v95, s[4:5], v95, v99, vcc
	v_subrev_co_u32_e64 v98, s[4:5], s10, v58
	v_subbrev_co_u32_e64 v95, s[4:5], 0, v95, s[4:5]
	v_cmp_le_u32_e64 s[4:5], s11, v95
	v_cndmask_b32_e64 v99, 0, -1, s[4:5]
	v_cmp_le_u32_e64 s[4:5], s10, v98
	v_cndmask_b32_e64 v98, 0, -1, s[4:5]
	v_cmp_eq_u32_e64 s[4:5], s11, v95
	v_cndmask_b32_e64 v95, v99, v98, s[4:5]
	v_add_co_u32_e64 v98, s[4:5], 2, v93
	v_subb_co_u32_e32 v59, vcc, v97, v59, vcc
	v_addc_co_u32_e64 v99, s[4:5], 0, v94, s[4:5]
	v_cmp_le_u32_e32 vcc, s11, v59
	v_add_co_u32_e64 v100, s[4:5], 1, v93
	v_cndmask_b32_e64 v97, 0, -1, vcc
	v_cmp_le_u32_e32 vcc, s10, v58
	v_addc_co_u32_e64 v101, s[4:5], 0, v94, s[4:5]
	v_cndmask_b32_e64 v58, 0, -1, vcc
	v_cmp_eq_u32_e32 vcc, s11, v59
	v_cmp_ne_u32_e64 s[4:5], 0, v95
	v_cndmask_b32_e32 v58, v97, v58, vcc
	v_cndmask_b32_e64 v95, v101, v99, s[4:5]
	v_cmp_ne_u32_e32 vcc, 0, v58
	v_cndmask_b32_e64 v59, v100, v98, s[4:5]
	v_cndmask_b32_e32 v58, v94, v95, vcc
	v_cndmask_b32_e32 v59, v93, v59, vcc
	v_xor_b32_e32 v93, s8, v96
	v_xor_b32_e32 v94, v58, v93
	;; [unrolled: 1-line block ×3, first 2 shown]
	v_sub_co_u32_e32 v58, vcc, v58, v93
	v_subb_co_u32_e32 v59, vcc, v94, v93, vcc
.LBB1144_123:
	s_andn2_saveexec_b64 s[4:5], s[6:7]
	s_cbranch_execz .LBB1144_125
; %bb.124:
	v_cvt_f32_u32_e32 v58, s44
	s_sub_i32 s6, 0, s44
	v_rcp_iflag_f32_e32 v58, v58
	v_mul_f32_e32 v58, 0x4f7ffffe, v58
	v_cvt_u32_f32_e32 v58, v58
	v_mul_lo_u32 v59, s6, v58
	v_mul_hi_u32 v59, v58, v59
	v_add_u32_e32 v58, v58, v59
	v_mul_hi_u32 v58, v89, v58
	v_mul_lo_u32 v59, v58, s44
	v_sub_u32_e32 v59, v89, v59
	v_add_u32_e32 v93, 1, v58
	v_subrev_u32_e32 v94, s44, v59
	v_cmp_le_u32_e32 vcc, s44, v59
	v_cndmask_b32_e32 v59, v59, v94, vcc
	v_cndmask_b32_e32 v58, v58, v93, vcc
	v_add_u32_e32 v93, 1, v58
	v_cmp_le_u32_e32 vcc, s44, v59
	v_cndmask_b32_e32 v58, v58, v93, vcc
	v_mov_b32_e32 v59, 0
.LBB1144_125:
	s_or_b64 exec, exec, s[4:5]
	v_mul_lo_u32 v93, v61, s44
	v_mul_lo_u32 v96, v60, s45
	v_mad_u64_u32 v[94:95], s[4:5], v60, s44, 0
	v_add3_u32 v93, v95, v96, v93
	v_sub_co_u32_e32 v91, vcc, v91, v94
	v_subb_co_u32_e32 v92, vcc, v92, v93, vcc
	v_add_co_u32_e32 v60, vcc, v60, v91
	v_addc_co_u32_e32 v61, vcc, v61, v92, vcc
	v_mul_lo_u32 v91, v57, s44
	v_mul_lo_u32 v94, v56, s45
	v_mad_u64_u32 v[92:93], s[4:5], v56, s44, 0
	v_add3_u32 v91, v93, v94, v91
	v_sub_co_u32_e32 v87, vcc, v87, v92
	v_subb_co_u32_e32 v88, vcc, v88, v91, vcc
	v_add_co_u32_e32 v56, vcc, v56, v87
	v_addc_co_u32_e32 v57, vcc, v57, v88, vcc
	;; [unrolled: 8-line block ×15, first 2 shown]
	ds_write2st64_b64 v62, v[30:31], v[34:35] offset1:4
	ds_write2st64_b64 v62, v[36:37], v[38:39] offset0:8 offset1:12
	ds_write2st64_b64 v62, v[40:41], v[42:43] offset0:16 offset1:20
	ds_write2st64_b64 v62, v[44:45], v[46:47] offset0:24 offset1:28
	ds_write2st64_b64 v62, v[48:49], v[50:51] offset0:32 offset1:36
	ds_write2st64_b64 v62, v[52:53], v[54:55] offset0:40 offset1:44
	ds_write2st64_b64 v62, v[56:57], v[60:61] offset0:48 offset1:52
	ds_write_b64 v62, v[32:33] offset:28672
	v_mov_b32_e32 v58, v26
	v_mov_b32_e32 v59, v27
	;; [unrolled: 1-line block ×14, first 2 shown]
	s_waitcnt lgkmcnt(0)
	s_barrier
	s_add_i32 s80, s80, s64
	s_branch .LBB1144_308
.LBB1144_126:
                                        ; implicit-def: $vgpr74_vgpr75
                                        ; implicit-def: $vgpr2_vgpr3
                                        ; implicit-def: $vgpr6_vgpr7
                                        ; implicit-def: $vgpr10_vgpr11
                                        ; implicit-def: $vgpr14_vgpr15
                                        ; implicit-def: $vgpr18_vgpr19
                                        ; implicit-def: $vgpr22_vgpr23
                                        ; implicit-def: $vgpr26_vgpr27
                                        ; implicit-def: $vgpr76
                                        ; implicit-def: $vgpr66_vgpr67_vgpr68_vgpr69
                                        ; implicit-def: $vgpr62_vgpr63_vgpr64_vgpr65
                                        ; implicit-def: $vgpr58_vgpr59_vgpr60_vgpr61
                                        ; implicit-def: $vgpr70_vgpr71_vgpr72_vgpr73
	s_add_i32 s80, s80, s64
	s_and_b64 vcc, exec, s[4:5]
	s_cbranch_vccz .LBB1144_308
; %bb.127:
	v_cmp_gt_u32_e64 s[34:35], s80, v0
                                        ; implicit-def: $vgpr2_vgpr3
	s_and_saveexec_b64 s[6:7], s[34:35]
	s_cbranch_execz .LBB1144_133
; %bb.128:
	v_mov_b32_e32 v3, s77
	v_add_co_u32_e32 v1, vcc, s76, v0
	v_addc_co_u32_e32 v4, vcc, 0, v3, vcc
	v_mov_b32_e32 v2, 0
	v_or_b32_e32 v3, s39, v4
	v_cmp_ne_u64_e32 vcc, 0, v[2:3]
                                        ; implicit-def: $vgpr2_vgpr3
	s_and_saveexec_b64 s[4:5], vcc
	s_xor_b64 s[8:9], exec, s[4:5]
	s_cbranch_execz .LBB1144_130
; %bb.129:
	s_ashr_i32 s10, s39, 31
	s_add_u32 s4, s38, s10
	s_mov_b32 s11, s10
	s_addc_u32 s5, s39, s10
	s_xor_b64 s[12:13], s[4:5], s[10:11]
	v_cvt_f32_u32_e32 v2, s12
	v_cvt_f32_u32_e32 v3, s13
	s_sub_u32 s4, 0, s12
	s_subb_u32 s5, 0, s13
	v_madmk_f32 v2, v3, 0x4f800000, v2
	v_rcp_f32_e32 v2, v2
	v_mul_f32_e32 v2, 0x5f7ffffc, v2
	v_mul_f32_e32 v3, 0x2f800000, v2
	v_trunc_f32_e32 v3, v3
	v_madmk_f32 v2, v3, 0xcf800000, v2
	v_cvt_u32_f32_e32 v3, v3
	v_cvt_u32_f32_e32 v2, v2
	v_mul_lo_u32 v5, s4, v3
	v_mul_hi_u32 v7, s4, v2
	v_mul_lo_u32 v6, s5, v2
	v_add_u32_e32 v5, v7, v5
	v_mul_lo_u32 v8, s4, v2
	v_add_u32_e32 v5, v5, v6
	v_mul_lo_u32 v7, v2, v5
	v_mul_hi_u32 v9, v2, v8
	v_mul_hi_u32 v6, v2, v5
	v_add_co_u32_e32 v7, vcc, v9, v7
	v_addc_co_u32_e32 v6, vcc, 0, v6, vcc
	v_mul_hi_u32 v10, v3, v8
	v_mul_lo_u32 v8, v3, v8
	v_add_co_u32_e32 v7, vcc, v7, v8
	v_mul_hi_u32 v9, v3, v5
	v_addc_co_u32_e32 v6, vcc, v6, v10, vcc
	v_addc_co_u32_e32 v7, vcc, 0, v9, vcc
	v_mul_lo_u32 v5, v3, v5
	v_add_co_u32_e32 v5, vcc, v6, v5
	v_addc_co_u32_e32 v6, vcc, 0, v7, vcc
	v_add_co_u32_e32 v2, vcc, v2, v5
	v_addc_co_u32_e32 v3, vcc, v3, v6, vcc
	v_mul_lo_u32 v5, s4, v3
	v_mul_hi_u32 v6, s4, v2
	v_add_u32_e32 v5, v6, v5
	v_mul_lo_u32 v6, s5, v2
	v_add_u32_e32 v5, v5, v6
	v_mul_lo_u32 v7, s4, v2
	v_mul_hi_u32 v8, v3, v7
	v_mul_lo_u32 v9, v3, v7
	v_mul_lo_u32 v11, v2, v5
	v_mul_hi_u32 v7, v2, v7
	v_mul_hi_u32 v10, v2, v5
	v_add_co_u32_e32 v7, vcc, v7, v11
	v_addc_co_u32_e32 v10, vcc, 0, v10, vcc
	v_add_co_u32_e32 v7, vcc, v7, v9
	v_mul_hi_u32 v6, v3, v5
	v_addc_co_u32_e32 v7, vcc, v10, v8, vcc
	v_addc_co_u32_e32 v6, vcc, 0, v6, vcc
	v_mul_lo_u32 v5, v3, v5
	v_add_co_u32_e32 v5, vcc, v7, v5
	v_addc_co_u32_e32 v6, vcc, 0, v6, vcc
	v_add_co_u32_e32 v5, vcc, v2, v5
	v_addc_co_u32_e32 v6, vcc, v3, v6, vcc
	v_ashrrev_i32_e32 v7, 31, v4
	v_add_co_u32_e32 v1, vcc, v1, v7
	v_addc_co_u32_e32 v2, vcc, v4, v7, vcc
	v_xor_b32_e32 v1, v1, v7
	v_xor_b32_e32 v8, v2, v7
	v_mad_u64_u32 v[2:3], s[4:5], v1, v6, 0
	v_mul_hi_u32 v4, v1, v5
	v_add_co_u32_e32 v9, vcc, v4, v2
	v_addc_co_u32_e32 v10, vcc, 0, v3, vcc
	v_mad_u64_u32 v[4:5], s[4:5], v8, v5, 0
	v_add_co_u32_e32 v4, vcc, v9, v4
	v_mad_u64_u32 v[2:3], s[4:5], v8, v6, 0
	v_addc_co_u32_e32 v4, vcc, v10, v5, vcc
	v_addc_co_u32_e32 v3, vcc, 0, v3, vcc
	v_add_co_u32_e32 v4, vcc, v4, v2
	v_addc_co_u32_e32 v5, vcc, 0, v3, vcc
	v_mul_lo_u32 v6, s13, v4
	v_mul_lo_u32 v9, s12, v5
	v_mad_u64_u32 v[2:3], s[4:5], s12, v4, 0
	v_add3_u32 v3, v3, v9, v6
	v_sub_u32_e32 v6, v8, v3
	v_mov_b32_e32 v9, s13
	v_sub_co_u32_e32 v1, vcc, v1, v2
	v_subb_co_u32_e64 v2, s[4:5], v6, v9, vcc
	v_subrev_co_u32_e64 v6, s[4:5], s12, v1
	v_subbrev_co_u32_e64 v2, s[4:5], 0, v2, s[4:5]
	v_cmp_le_u32_e64 s[4:5], s13, v2
	v_cndmask_b32_e64 v9, 0, -1, s[4:5]
	v_cmp_le_u32_e64 s[4:5], s12, v6
	v_cndmask_b32_e64 v6, 0, -1, s[4:5]
	v_cmp_eq_u32_e64 s[4:5], s13, v2
	v_cndmask_b32_e64 v2, v9, v6, s[4:5]
	v_add_co_u32_e64 v6, s[4:5], 2, v4
	v_subb_co_u32_e32 v3, vcc, v8, v3, vcc
	v_addc_co_u32_e64 v9, s[4:5], 0, v5, s[4:5]
	v_cmp_le_u32_e32 vcc, s13, v3
	v_add_co_u32_e64 v10, s[4:5], 1, v4
	v_cndmask_b32_e64 v8, 0, -1, vcc
	v_cmp_le_u32_e32 vcc, s12, v1
	v_addc_co_u32_e64 v11, s[4:5], 0, v5, s[4:5]
	v_cndmask_b32_e64 v1, 0, -1, vcc
	v_cmp_eq_u32_e32 vcc, s13, v3
	v_cmp_ne_u32_e64 s[4:5], 0, v2
	v_cndmask_b32_e32 v1, v8, v1, vcc
	v_cndmask_b32_e64 v2, v11, v9, s[4:5]
	v_cmp_ne_u32_e32 vcc, 0, v1
	v_cndmask_b32_e32 v1, v5, v2, vcc
	v_cndmask_b32_e64 v2, v10, v6, s[4:5]
	v_cndmask_b32_e32 v2, v4, v2, vcc
	v_xor_b32_e32 v3, s10, v7
	v_xor_b32_e32 v2, v2, v3
	;; [unrolled: 1-line block ×3, first 2 shown]
	v_sub_co_u32_e32 v2, vcc, v2, v3
	v_subb_co_u32_e32 v3, vcc, v1, v3, vcc
                                        ; implicit-def: $vgpr1
.LBB1144_130:
	s_andn2_saveexec_b64 s[4:5], s[8:9]
	s_cbranch_execz .LBB1144_132
; %bb.131:
	v_cvt_f32_u32_e32 v2, s38
	s_sub_i32 s8, 0, s38
	v_rcp_iflag_f32_e32 v2, v2
	v_mul_f32_e32 v2, 0x4f7ffffe, v2
	v_cvt_u32_f32_e32 v2, v2
	v_mul_lo_u32 v3, s8, v2
	v_mul_hi_u32 v3, v2, v3
	v_add_u32_e32 v2, v2, v3
	v_mul_hi_u32 v2, v1, v2
	v_mul_lo_u32 v3, v2, s38
	v_sub_u32_e32 v1, v1, v3
	v_add_u32_e32 v4, 1, v2
	v_subrev_u32_e32 v3, s38, v1
	v_cmp_le_u32_e32 vcc, s38, v1
	v_cndmask_b32_e32 v1, v1, v3, vcc
	v_cndmask_b32_e32 v2, v2, v4, vcc
	v_add_u32_e32 v3, 1, v2
	v_cmp_le_u32_e32 vcc, s38, v1
	v_cndmask_b32_e32 v2, v2, v3, vcc
	v_mov_b32_e32 v3, 0
.LBB1144_132:
	s_or_b64 exec, exec, s[4:5]
.LBB1144_133:
	s_or_b64 exec, exec, s[6:7]
	v_or_b32_e32 v34, 0x100, v0
	v_cmp_gt_u32_e64 s[30:31], s80, v34
                                        ; implicit-def: $vgpr4_vgpr5
	s_and_saveexec_b64 s[6:7], s[30:31]
	s_cbranch_execz .LBB1144_139
; %bb.134:
	v_mov_b32_e32 v5, s77
	v_add_co_u32_e32 v1, vcc, s76, v34
	v_addc_co_u32_e32 v6, vcc, 0, v5, vcc
	v_mov_b32_e32 v4, 0
	v_or_b32_e32 v5, s39, v6
	v_cmp_ne_u64_e32 vcc, 0, v[4:5]
                                        ; implicit-def: $vgpr4_vgpr5
	s_and_saveexec_b64 s[4:5], vcc
	s_xor_b64 s[8:9], exec, s[4:5]
	s_cbranch_execz .LBB1144_136
; %bb.135:
	s_ashr_i32 s10, s39, 31
	s_add_u32 s4, s38, s10
	s_mov_b32 s11, s10
	s_addc_u32 s5, s39, s10
	s_xor_b64 s[12:13], s[4:5], s[10:11]
	v_cvt_f32_u32_e32 v4, s12
	v_cvt_f32_u32_e32 v5, s13
	s_sub_u32 s4, 0, s12
	s_subb_u32 s5, 0, s13
	v_madmk_f32 v4, v5, 0x4f800000, v4
	v_rcp_f32_e32 v4, v4
	v_mul_f32_e32 v4, 0x5f7ffffc, v4
	v_mul_f32_e32 v5, 0x2f800000, v4
	v_trunc_f32_e32 v5, v5
	v_madmk_f32 v4, v5, 0xcf800000, v4
	v_cvt_u32_f32_e32 v5, v5
	v_cvt_u32_f32_e32 v4, v4
	v_mul_lo_u32 v7, s4, v5
	v_mul_hi_u32 v9, s4, v4
	v_mul_lo_u32 v8, s5, v4
	v_add_u32_e32 v7, v9, v7
	v_mul_lo_u32 v10, s4, v4
	v_add_u32_e32 v7, v7, v8
	v_mul_lo_u32 v9, v4, v7
	v_mul_hi_u32 v11, v4, v10
	v_mul_hi_u32 v8, v4, v7
	v_add_co_u32_e32 v9, vcc, v11, v9
	v_addc_co_u32_e32 v8, vcc, 0, v8, vcc
	v_mul_hi_u32 v12, v5, v10
	v_mul_lo_u32 v10, v5, v10
	v_add_co_u32_e32 v9, vcc, v9, v10
	v_mul_hi_u32 v11, v5, v7
	v_addc_co_u32_e32 v8, vcc, v8, v12, vcc
	v_addc_co_u32_e32 v9, vcc, 0, v11, vcc
	v_mul_lo_u32 v7, v5, v7
	v_add_co_u32_e32 v7, vcc, v8, v7
	v_addc_co_u32_e32 v8, vcc, 0, v9, vcc
	v_add_co_u32_e32 v4, vcc, v4, v7
	v_addc_co_u32_e32 v5, vcc, v5, v8, vcc
	v_mul_lo_u32 v7, s4, v5
	v_mul_hi_u32 v8, s4, v4
	v_add_u32_e32 v7, v8, v7
	v_mul_lo_u32 v8, s5, v4
	v_add_u32_e32 v7, v7, v8
	v_mul_lo_u32 v9, s4, v4
	v_mul_hi_u32 v10, v5, v9
	v_mul_lo_u32 v11, v5, v9
	v_mul_lo_u32 v13, v4, v7
	v_mul_hi_u32 v9, v4, v9
	v_mul_hi_u32 v12, v4, v7
	v_add_co_u32_e32 v9, vcc, v9, v13
	v_addc_co_u32_e32 v12, vcc, 0, v12, vcc
	v_add_co_u32_e32 v9, vcc, v9, v11
	v_mul_hi_u32 v8, v5, v7
	v_addc_co_u32_e32 v9, vcc, v12, v10, vcc
	v_addc_co_u32_e32 v8, vcc, 0, v8, vcc
	v_mul_lo_u32 v7, v5, v7
	v_add_co_u32_e32 v7, vcc, v9, v7
	v_addc_co_u32_e32 v8, vcc, 0, v8, vcc
	v_add_co_u32_e32 v7, vcc, v4, v7
	v_addc_co_u32_e32 v8, vcc, v5, v8, vcc
	v_ashrrev_i32_e32 v9, 31, v6
	v_add_co_u32_e32 v1, vcc, v1, v9
	v_addc_co_u32_e32 v4, vcc, v6, v9, vcc
	v_xor_b32_e32 v1, v1, v9
	v_xor_b32_e32 v10, v4, v9
	v_mad_u64_u32 v[4:5], s[4:5], v1, v8, 0
	v_mul_hi_u32 v6, v1, v7
	v_add_co_u32_e32 v11, vcc, v6, v4
	v_addc_co_u32_e32 v12, vcc, 0, v5, vcc
	v_mad_u64_u32 v[6:7], s[4:5], v10, v7, 0
	v_add_co_u32_e32 v6, vcc, v11, v6
	v_mad_u64_u32 v[4:5], s[4:5], v10, v8, 0
	v_addc_co_u32_e32 v6, vcc, v12, v7, vcc
	v_addc_co_u32_e32 v5, vcc, 0, v5, vcc
	v_add_co_u32_e32 v6, vcc, v6, v4
	v_addc_co_u32_e32 v7, vcc, 0, v5, vcc
	v_mul_lo_u32 v8, s13, v6
	v_mul_lo_u32 v11, s12, v7
	v_mad_u64_u32 v[4:5], s[4:5], s12, v6, 0
	v_add3_u32 v5, v5, v11, v8
	v_sub_u32_e32 v8, v10, v5
	v_mov_b32_e32 v11, s13
	v_sub_co_u32_e32 v1, vcc, v1, v4
	v_subb_co_u32_e64 v4, s[4:5], v8, v11, vcc
	v_subrev_co_u32_e64 v8, s[4:5], s12, v1
	v_subbrev_co_u32_e64 v4, s[4:5], 0, v4, s[4:5]
	v_cmp_le_u32_e64 s[4:5], s13, v4
	v_cndmask_b32_e64 v11, 0, -1, s[4:5]
	v_cmp_le_u32_e64 s[4:5], s12, v8
	v_cndmask_b32_e64 v8, 0, -1, s[4:5]
	v_cmp_eq_u32_e64 s[4:5], s13, v4
	v_cndmask_b32_e64 v4, v11, v8, s[4:5]
	v_add_co_u32_e64 v8, s[4:5], 2, v6
	v_subb_co_u32_e32 v5, vcc, v10, v5, vcc
	v_addc_co_u32_e64 v11, s[4:5], 0, v7, s[4:5]
	v_cmp_le_u32_e32 vcc, s13, v5
	v_add_co_u32_e64 v12, s[4:5], 1, v6
	v_cndmask_b32_e64 v10, 0, -1, vcc
	v_cmp_le_u32_e32 vcc, s12, v1
	v_addc_co_u32_e64 v13, s[4:5], 0, v7, s[4:5]
	v_cndmask_b32_e64 v1, 0, -1, vcc
	v_cmp_eq_u32_e32 vcc, s13, v5
	v_cmp_ne_u32_e64 s[4:5], 0, v4
	v_cndmask_b32_e32 v1, v10, v1, vcc
	v_cndmask_b32_e64 v4, v13, v11, s[4:5]
	v_cmp_ne_u32_e32 vcc, 0, v1
	v_cndmask_b32_e32 v1, v7, v4, vcc
	v_cndmask_b32_e64 v4, v12, v8, s[4:5]
	v_cndmask_b32_e32 v4, v6, v4, vcc
	v_xor_b32_e32 v5, s10, v9
	v_xor_b32_e32 v4, v4, v5
	;; [unrolled: 1-line block ×3, first 2 shown]
	v_sub_co_u32_e32 v4, vcc, v4, v5
	v_subb_co_u32_e32 v5, vcc, v1, v5, vcc
                                        ; implicit-def: $vgpr1
.LBB1144_136:
	s_andn2_saveexec_b64 s[4:5], s[8:9]
	s_cbranch_execz .LBB1144_138
; %bb.137:
	v_cvt_f32_u32_e32 v4, s38
	s_sub_i32 s8, 0, s38
	v_rcp_iflag_f32_e32 v4, v4
	v_mul_f32_e32 v4, 0x4f7ffffe, v4
	v_cvt_u32_f32_e32 v4, v4
	v_mul_lo_u32 v5, s8, v4
	v_mul_hi_u32 v5, v4, v5
	v_add_u32_e32 v4, v4, v5
	v_mul_hi_u32 v4, v1, v4
	v_mul_lo_u32 v5, v4, s38
	v_sub_u32_e32 v1, v1, v5
	v_add_u32_e32 v6, 1, v4
	v_subrev_u32_e32 v5, s38, v1
	v_cmp_le_u32_e32 vcc, s38, v1
	v_cndmask_b32_e32 v1, v1, v5, vcc
	v_cndmask_b32_e32 v4, v4, v6, vcc
	v_add_u32_e32 v5, 1, v4
	v_cmp_le_u32_e32 vcc, s38, v1
	v_cndmask_b32_e32 v4, v4, v5, vcc
	v_mov_b32_e32 v5, 0
.LBB1144_138:
	s_or_b64 exec, exec, s[4:5]
.LBB1144_139:
	s_or_b64 exec, exec, s[6:7]
	v_or_b32_e32 v36, 0x200, v0
	v_cmp_gt_u32_e64 s[28:29], s80, v36
                                        ; implicit-def: $vgpr6_vgpr7
	s_and_saveexec_b64 s[6:7], s[28:29]
	s_cbranch_execz .LBB1144_145
; %bb.140:
	v_mov_b32_e32 v7, s77
	v_add_co_u32_e32 v1, vcc, s76, v36
	v_addc_co_u32_e32 v8, vcc, 0, v7, vcc
	v_mov_b32_e32 v6, 0
	v_or_b32_e32 v7, s39, v8
	v_cmp_ne_u64_e32 vcc, 0, v[6:7]
                                        ; implicit-def: $vgpr6_vgpr7
	s_and_saveexec_b64 s[4:5], vcc
	s_xor_b64 s[8:9], exec, s[4:5]
	s_cbranch_execz .LBB1144_142
; %bb.141:
	s_ashr_i32 s10, s39, 31
	s_add_u32 s4, s38, s10
	s_mov_b32 s11, s10
	s_addc_u32 s5, s39, s10
	s_xor_b64 s[12:13], s[4:5], s[10:11]
	v_cvt_f32_u32_e32 v6, s12
	v_cvt_f32_u32_e32 v7, s13
	s_sub_u32 s4, 0, s12
	s_subb_u32 s5, 0, s13
	v_madmk_f32 v6, v7, 0x4f800000, v6
	v_rcp_f32_e32 v6, v6
	v_mul_f32_e32 v6, 0x5f7ffffc, v6
	v_mul_f32_e32 v7, 0x2f800000, v6
	v_trunc_f32_e32 v7, v7
	v_madmk_f32 v6, v7, 0xcf800000, v6
	v_cvt_u32_f32_e32 v7, v7
	v_cvt_u32_f32_e32 v6, v6
	v_mul_lo_u32 v9, s4, v7
	v_mul_hi_u32 v11, s4, v6
	v_mul_lo_u32 v10, s5, v6
	v_add_u32_e32 v9, v11, v9
	v_mul_lo_u32 v12, s4, v6
	v_add_u32_e32 v9, v9, v10
	v_mul_lo_u32 v11, v6, v9
	v_mul_hi_u32 v13, v6, v12
	v_mul_hi_u32 v10, v6, v9
	v_add_co_u32_e32 v11, vcc, v13, v11
	v_addc_co_u32_e32 v10, vcc, 0, v10, vcc
	v_mul_hi_u32 v14, v7, v12
	v_mul_lo_u32 v12, v7, v12
	v_add_co_u32_e32 v11, vcc, v11, v12
	v_mul_hi_u32 v13, v7, v9
	v_addc_co_u32_e32 v10, vcc, v10, v14, vcc
	v_addc_co_u32_e32 v11, vcc, 0, v13, vcc
	v_mul_lo_u32 v9, v7, v9
	v_add_co_u32_e32 v9, vcc, v10, v9
	v_addc_co_u32_e32 v10, vcc, 0, v11, vcc
	v_add_co_u32_e32 v6, vcc, v6, v9
	v_addc_co_u32_e32 v7, vcc, v7, v10, vcc
	v_mul_lo_u32 v9, s4, v7
	v_mul_hi_u32 v10, s4, v6
	v_add_u32_e32 v9, v10, v9
	v_mul_lo_u32 v10, s5, v6
	v_add_u32_e32 v9, v9, v10
	v_mul_lo_u32 v11, s4, v6
	v_mul_hi_u32 v12, v7, v11
	v_mul_lo_u32 v13, v7, v11
	v_mul_lo_u32 v15, v6, v9
	v_mul_hi_u32 v11, v6, v11
	v_mul_hi_u32 v14, v6, v9
	v_add_co_u32_e32 v11, vcc, v11, v15
	v_addc_co_u32_e32 v14, vcc, 0, v14, vcc
	v_add_co_u32_e32 v11, vcc, v11, v13
	v_mul_hi_u32 v10, v7, v9
	v_addc_co_u32_e32 v11, vcc, v14, v12, vcc
	v_addc_co_u32_e32 v10, vcc, 0, v10, vcc
	v_mul_lo_u32 v9, v7, v9
	v_add_co_u32_e32 v9, vcc, v11, v9
	v_addc_co_u32_e32 v10, vcc, 0, v10, vcc
	v_add_co_u32_e32 v9, vcc, v6, v9
	v_addc_co_u32_e32 v10, vcc, v7, v10, vcc
	v_ashrrev_i32_e32 v11, 31, v8
	v_add_co_u32_e32 v1, vcc, v1, v11
	v_addc_co_u32_e32 v6, vcc, v8, v11, vcc
	v_xor_b32_e32 v1, v1, v11
	v_xor_b32_e32 v12, v6, v11
	v_mad_u64_u32 v[6:7], s[4:5], v1, v10, 0
	v_mul_hi_u32 v8, v1, v9
	v_add_co_u32_e32 v13, vcc, v8, v6
	v_addc_co_u32_e32 v14, vcc, 0, v7, vcc
	v_mad_u64_u32 v[8:9], s[4:5], v12, v9, 0
	v_add_co_u32_e32 v8, vcc, v13, v8
	v_mad_u64_u32 v[6:7], s[4:5], v12, v10, 0
	v_addc_co_u32_e32 v8, vcc, v14, v9, vcc
	v_addc_co_u32_e32 v7, vcc, 0, v7, vcc
	v_add_co_u32_e32 v8, vcc, v8, v6
	v_addc_co_u32_e32 v9, vcc, 0, v7, vcc
	v_mul_lo_u32 v10, s13, v8
	v_mul_lo_u32 v13, s12, v9
	v_mad_u64_u32 v[6:7], s[4:5], s12, v8, 0
	v_add3_u32 v7, v7, v13, v10
	v_sub_u32_e32 v10, v12, v7
	v_mov_b32_e32 v13, s13
	v_sub_co_u32_e32 v1, vcc, v1, v6
	v_subb_co_u32_e64 v6, s[4:5], v10, v13, vcc
	v_subrev_co_u32_e64 v10, s[4:5], s12, v1
	v_subbrev_co_u32_e64 v6, s[4:5], 0, v6, s[4:5]
	v_cmp_le_u32_e64 s[4:5], s13, v6
	v_cndmask_b32_e64 v13, 0, -1, s[4:5]
	v_cmp_le_u32_e64 s[4:5], s12, v10
	v_cndmask_b32_e64 v10, 0, -1, s[4:5]
	v_cmp_eq_u32_e64 s[4:5], s13, v6
	v_cndmask_b32_e64 v6, v13, v10, s[4:5]
	v_add_co_u32_e64 v10, s[4:5], 2, v8
	v_subb_co_u32_e32 v7, vcc, v12, v7, vcc
	v_addc_co_u32_e64 v13, s[4:5], 0, v9, s[4:5]
	v_cmp_le_u32_e32 vcc, s13, v7
	v_add_co_u32_e64 v14, s[4:5], 1, v8
	v_cndmask_b32_e64 v12, 0, -1, vcc
	v_cmp_le_u32_e32 vcc, s12, v1
	v_addc_co_u32_e64 v15, s[4:5], 0, v9, s[4:5]
	v_cndmask_b32_e64 v1, 0, -1, vcc
	v_cmp_eq_u32_e32 vcc, s13, v7
	v_cmp_ne_u32_e64 s[4:5], 0, v6
	v_cndmask_b32_e32 v1, v12, v1, vcc
	v_cndmask_b32_e64 v6, v15, v13, s[4:5]
	v_cmp_ne_u32_e32 vcc, 0, v1
	v_cndmask_b32_e32 v1, v9, v6, vcc
	v_cndmask_b32_e64 v6, v14, v10, s[4:5]
	v_cndmask_b32_e32 v6, v8, v6, vcc
	v_xor_b32_e32 v7, s10, v11
	v_xor_b32_e32 v6, v6, v7
	;; [unrolled: 1-line block ×3, first 2 shown]
	v_sub_co_u32_e32 v6, vcc, v6, v7
	v_subb_co_u32_e32 v7, vcc, v1, v7, vcc
                                        ; implicit-def: $vgpr1
.LBB1144_142:
	s_andn2_saveexec_b64 s[4:5], s[8:9]
	s_cbranch_execz .LBB1144_144
; %bb.143:
	v_cvt_f32_u32_e32 v6, s38
	s_sub_i32 s8, 0, s38
	v_rcp_iflag_f32_e32 v6, v6
	v_mul_f32_e32 v6, 0x4f7ffffe, v6
	v_cvt_u32_f32_e32 v6, v6
	v_mul_lo_u32 v7, s8, v6
	v_mul_hi_u32 v7, v6, v7
	v_add_u32_e32 v6, v6, v7
	v_mul_hi_u32 v6, v1, v6
	v_mul_lo_u32 v7, v6, s38
	v_sub_u32_e32 v1, v1, v7
	v_add_u32_e32 v8, 1, v6
	v_subrev_u32_e32 v7, s38, v1
	v_cmp_le_u32_e32 vcc, s38, v1
	v_cndmask_b32_e32 v1, v1, v7, vcc
	v_cndmask_b32_e32 v6, v6, v8, vcc
	v_add_u32_e32 v7, 1, v6
	v_cmp_le_u32_e32 vcc, s38, v1
	v_cndmask_b32_e32 v6, v6, v7, vcc
	v_mov_b32_e32 v7, 0
.LBB1144_144:
	s_or_b64 exec, exec, s[4:5]
.LBB1144_145:
	s_or_b64 exec, exec, s[6:7]
	v_or_b32_e32 v38, 0x300, v0
	v_cmp_gt_u32_e64 s[26:27], s80, v38
                                        ; implicit-def: $vgpr8_vgpr9
	s_and_saveexec_b64 s[6:7], s[26:27]
	s_cbranch_execz .LBB1144_151
; %bb.146:
	v_mov_b32_e32 v9, s77
	v_add_co_u32_e32 v1, vcc, s76, v38
	v_addc_co_u32_e32 v10, vcc, 0, v9, vcc
	v_mov_b32_e32 v8, 0
	v_or_b32_e32 v9, s39, v10
	v_cmp_ne_u64_e32 vcc, 0, v[8:9]
                                        ; implicit-def: $vgpr8_vgpr9
	s_and_saveexec_b64 s[4:5], vcc
	s_xor_b64 s[8:9], exec, s[4:5]
	s_cbranch_execz .LBB1144_148
; %bb.147:
	s_ashr_i32 s10, s39, 31
	s_add_u32 s4, s38, s10
	s_mov_b32 s11, s10
	s_addc_u32 s5, s39, s10
	s_xor_b64 s[12:13], s[4:5], s[10:11]
	v_cvt_f32_u32_e32 v8, s12
	v_cvt_f32_u32_e32 v9, s13
	s_sub_u32 s4, 0, s12
	s_subb_u32 s5, 0, s13
	v_madmk_f32 v8, v9, 0x4f800000, v8
	v_rcp_f32_e32 v8, v8
	v_mul_f32_e32 v8, 0x5f7ffffc, v8
	v_mul_f32_e32 v9, 0x2f800000, v8
	v_trunc_f32_e32 v9, v9
	v_madmk_f32 v8, v9, 0xcf800000, v8
	v_cvt_u32_f32_e32 v9, v9
	v_cvt_u32_f32_e32 v8, v8
	v_mul_lo_u32 v11, s4, v9
	v_mul_hi_u32 v13, s4, v8
	v_mul_lo_u32 v12, s5, v8
	v_add_u32_e32 v11, v13, v11
	v_mul_lo_u32 v14, s4, v8
	v_add_u32_e32 v11, v11, v12
	v_mul_lo_u32 v13, v8, v11
	v_mul_hi_u32 v15, v8, v14
	v_mul_hi_u32 v12, v8, v11
	v_add_co_u32_e32 v13, vcc, v15, v13
	v_addc_co_u32_e32 v12, vcc, 0, v12, vcc
	v_mul_hi_u32 v16, v9, v14
	v_mul_lo_u32 v14, v9, v14
	v_add_co_u32_e32 v13, vcc, v13, v14
	v_mul_hi_u32 v15, v9, v11
	v_addc_co_u32_e32 v12, vcc, v12, v16, vcc
	v_addc_co_u32_e32 v13, vcc, 0, v15, vcc
	v_mul_lo_u32 v11, v9, v11
	v_add_co_u32_e32 v11, vcc, v12, v11
	v_addc_co_u32_e32 v12, vcc, 0, v13, vcc
	v_add_co_u32_e32 v8, vcc, v8, v11
	v_addc_co_u32_e32 v9, vcc, v9, v12, vcc
	v_mul_lo_u32 v11, s4, v9
	v_mul_hi_u32 v12, s4, v8
	v_add_u32_e32 v11, v12, v11
	v_mul_lo_u32 v12, s5, v8
	v_add_u32_e32 v11, v11, v12
	v_mul_lo_u32 v13, s4, v8
	v_mul_hi_u32 v14, v9, v13
	v_mul_lo_u32 v15, v9, v13
	v_mul_lo_u32 v17, v8, v11
	v_mul_hi_u32 v13, v8, v13
	v_mul_hi_u32 v16, v8, v11
	v_add_co_u32_e32 v13, vcc, v13, v17
	v_addc_co_u32_e32 v16, vcc, 0, v16, vcc
	v_add_co_u32_e32 v13, vcc, v13, v15
	v_mul_hi_u32 v12, v9, v11
	v_addc_co_u32_e32 v13, vcc, v16, v14, vcc
	v_addc_co_u32_e32 v12, vcc, 0, v12, vcc
	v_mul_lo_u32 v11, v9, v11
	v_add_co_u32_e32 v11, vcc, v13, v11
	v_addc_co_u32_e32 v12, vcc, 0, v12, vcc
	v_add_co_u32_e32 v11, vcc, v8, v11
	v_addc_co_u32_e32 v12, vcc, v9, v12, vcc
	v_ashrrev_i32_e32 v13, 31, v10
	v_add_co_u32_e32 v1, vcc, v1, v13
	v_addc_co_u32_e32 v8, vcc, v10, v13, vcc
	v_xor_b32_e32 v1, v1, v13
	v_xor_b32_e32 v14, v8, v13
	v_mad_u64_u32 v[8:9], s[4:5], v1, v12, 0
	v_mul_hi_u32 v10, v1, v11
	v_add_co_u32_e32 v15, vcc, v10, v8
	v_addc_co_u32_e32 v16, vcc, 0, v9, vcc
	v_mad_u64_u32 v[10:11], s[4:5], v14, v11, 0
	v_add_co_u32_e32 v10, vcc, v15, v10
	v_mad_u64_u32 v[8:9], s[4:5], v14, v12, 0
	v_addc_co_u32_e32 v10, vcc, v16, v11, vcc
	v_addc_co_u32_e32 v9, vcc, 0, v9, vcc
	v_add_co_u32_e32 v10, vcc, v10, v8
	v_addc_co_u32_e32 v11, vcc, 0, v9, vcc
	v_mul_lo_u32 v12, s13, v10
	v_mul_lo_u32 v15, s12, v11
	v_mad_u64_u32 v[8:9], s[4:5], s12, v10, 0
	v_add3_u32 v9, v9, v15, v12
	v_sub_u32_e32 v12, v14, v9
	v_mov_b32_e32 v15, s13
	v_sub_co_u32_e32 v1, vcc, v1, v8
	v_subb_co_u32_e64 v8, s[4:5], v12, v15, vcc
	v_subrev_co_u32_e64 v12, s[4:5], s12, v1
	v_subbrev_co_u32_e64 v8, s[4:5], 0, v8, s[4:5]
	v_cmp_le_u32_e64 s[4:5], s13, v8
	v_cndmask_b32_e64 v15, 0, -1, s[4:5]
	v_cmp_le_u32_e64 s[4:5], s12, v12
	v_cndmask_b32_e64 v12, 0, -1, s[4:5]
	v_cmp_eq_u32_e64 s[4:5], s13, v8
	v_cndmask_b32_e64 v8, v15, v12, s[4:5]
	v_add_co_u32_e64 v12, s[4:5], 2, v10
	v_subb_co_u32_e32 v9, vcc, v14, v9, vcc
	v_addc_co_u32_e64 v15, s[4:5], 0, v11, s[4:5]
	v_cmp_le_u32_e32 vcc, s13, v9
	v_add_co_u32_e64 v16, s[4:5], 1, v10
	v_cndmask_b32_e64 v14, 0, -1, vcc
	v_cmp_le_u32_e32 vcc, s12, v1
	v_addc_co_u32_e64 v17, s[4:5], 0, v11, s[4:5]
	v_cndmask_b32_e64 v1, 0, -1, vcc
	v_cmp_eq_u32_e32 vcc, s13, v9
	v_cmp_ne_u32_e64 s[4:5], 0, v8
	v_cndmask_b32_e32 v1, v14, v1, vcc
	v_cndmask_b32_e64 v8, v17, v15, s[4:5]
	v_cmp_ne_u32_e32 vcc, 0, v1
	v_cndmask_b32_e32 v1, v11, v8, vcc
	v_cndmask_b32_e64 v8, v16, v12, s[4:5]
	v_cndmask_b32_e32 v8, v10, v8, vcc
	v_xor_b32_e32 v9, s10, v13
	v_xor_b32_e32 v8, v8, v9
	;; [unrolled: 1-line block ×3, first 2 shown]
	v_sub_co_u32_e32 v8, vcc, v8, v9
	v_subb_co_u32_e32 v9, vcc, v1, v9, vcc
                                        ; implicit-def: $vgpr1
.LBB1144_148:
	s_andn2_saveexec_b64 s[4:5], s[8:9]
	s_cbranch_execz .LBB1144_150
; %bb.149:
	v_cvt_f32_u32_e32 v8, s38
	s_sub_i32 s8, 0, s38
	v_rcp_iflag_f32_e32 v8, v8
	v_mul_f32_e32 v8, 0x4f7ffffe, v8
	v_cvt_u32_f32_e32 v8, v8
	v_mul_lo_u32 v9, s8, v8
	v_mul_hi_u32 v9, v8, v9
	v_add_u32_e32 v8, v8, v9
	v_mul_hi_u32 v8, v1, v8
	v_mul_lo_u32 v9, v8, s38
	v_sub_u32_e32 v1, v1, v9
	v_add_u32_e32 v10, 1, v8
	v_subrev_u32_e32 v9, s38, v1
	v_cmp_le_u32_e32 vcc, s38, v1
	v_cndmask_b32_e32 v1, v1, v9, vcc
	v_cndmask_b32_e32 v8, v8, v10, vcc
	v_add_u32_e32 v9, 1, v8
	v_cmp_le_u32_e32 vcc, s38, v1
	v_cndmask_b32_e32 v8, v8, v9, vcc
	v_mov_b32_e32 v9, 0
.LBB1144_150:
	s_or_b64 exec, exec, s[4:5]
.LBB1144_151:
	s_or_b64 exec, exec, s[6:7]
	v_or_b32_e32 v40, 0x400, v0
	v_cmp_gt_u32_e64 s[24:25], s80, v40
                                        ; implicit-def: $vgpr10_vgpr11
	s_and_saveexec_b64 s[6:7], s[24:25]
	s_cbranch_execz .LBB1144_157
; %bb.152:
	v_mov_b32_e32 v11, s77
	v_add_co_u32_e32 v1, vcc, s76, v40
	v_addc_co_u32_e32 v12, vcc, 0, v11, vcc
	v_mov_b32_e32 v10, 0
	v_or_b32_e32 v11, s39, v12
	v_cmp_ne_u64_e32 vcc, 0, v[10:11]
                                        ; implicit-def: $vgpr10_vgpr11
	s_and_saveexec_b64 s[4:5], vcc
	s_xor_b64 s[8:9], exec, s[4:5]
	s_cbranch_execz .LBB1144_154
; %bb.153:
	s_ashr_i32 s10, s39, 31
	s_add_u32 s4, s38, s10
	s_mov_b32 s11, s10
	s_addc_u32 s5, s39, s10
	s_xor_b64 s[12:13], s[4:5], s[10:11]
	v_cvt_f32_u32_e32 v10, s12
	v_cvt_f32_u32_e32 v11, s13
	s_sub_u32 s4, 0, s12
	s_subb_u32 s5, 0, s13
	v_madmk_f32 v10, v11, 0x4f800000, v10
	v_rcp_f32_e32 v10, v10
	v_mul_f32_e32 v10, 0x5f7ffffc, v10
	v_mul_f32_e32 v11, 0x2f800000, v10
	v_trunc_f32_e32 v11, v11
	v_madmk_f32 v10, v11, 0xcf800000, v10
	v_cvt_u32_f32_e32 v11, v11
	v_cvt_u32_f32_e32 v10, v10
	v_mul_lo_u32 v13, s4, v11
	v_mul_hi_u32 v15, s4, v10
	v_mul_lo_u32 v14, s5, v10
	v_add_u32_e32 v13, v15, v13
	v_mul_lo_u32 v16, s4, v10
	v_add_u32_e32 v13, v13, v14
	v_mul_lo_u32 v15, v10, v13
	v_mul_hi_u32 v17, v10, v16
	v_mul_hi_u32 v14, v10, v13
	v_add_co_u32_e32 v15, vcc, v17, v15
	v_addc_co_u32_e32 v14, vcc, 0, v14, vcc
	v_mul_hi_u32 v18, v11, v16
	v_mul_lo_u32 v16, v11, v16
	v_add_co_u32_e32 v15, vcc, v15, v16
	v_mul_hi_u32 v17, v11, v13
	v_addc_co_u32_e32 v14, vcc, v14, v18, vcc
	v_addc_co_u32_e32 v15, vcc, 0, v17, vcc
	v_mul_lo_u32 v13, v11, v13
	v_add_co_u32_e32 v13, vcc, v14, v13
	v_addc_co_u32_e32 v14, vcc, 0, v15, vcc
	v_add_co_u32_e32 v10, vcc, v10, v13
	v_addc_co_u32_e32 v11, vcc, v11, v14, vcc
	v_mul_lo_u32 v13, s4, v11
	v_mul_hi_u32 v14, s4, v10
	v_add_u32_e32 v13, v14, v13
	v_mul_lo_u32 v14, s5, v10
	v_add_u32_e32 v13, v13, v14
	v_mul_lo_u32 v15, s4, v10
	v_mul_hi_u32 v16, v11, v15
	v_mul_lo_u32 v17, v11, v15
	v_mul_lo_u32 v19, v10, v13
	v_mul_hi_u32 v15, v10, v15
	v_mul_hi_u32 v18, v10, v13
	v_add_co_u32_e32 v15, vcc, v15, v19
	v_addc_co_u32_e32 v18, vcc, 0, v18, vcc
	v_add_co_u32_e32 v15, vcc, v15, v17
	v_mul_hi_u32 v14, v11, v13
	v_addc_co_u32_e32 v15, vcc, v18, v16, vcc
	v_addc_co_u32_e32 v14, vcc, 0, v14, vcc
	v_mul_lo_u32 v13, v11, v13
	v_add_co_u32_e32 v13, vcc, v15, v13
	v_addc_co_u32_e32 v14, vcc, 0, v14, vcc
	v_add_co_u32_e32 v13, vcc, v10, v13
	v_addc_co_u32_e32 v14, vcc, v11, v14, vcc
	v_ashrrev_i32_e32 v15, 31, v12
	v_add_co_u32_e32 v1, vcc, v1, v15
	v_addc_co_u32_e32 v10, vcc, v12, v15, vcc
	v_xor_b32_e32 v1, v1, v15
	v_xor_b32_e32 v16, v10, v15
	v_mad_u64_u32 v[10:11], s[4:5], v1, v14, 0
	v_mul_hi_u32 v12, v1, v13
	v_add_co_u32_e32 v17, vcc, v12, v10
	v_addc_co_u32_e32 v18, vcc, 0, v11, vcc
	v_mad_u64_u32 v[12:13], s[4:5], v16, v13, 0
	v_add_co_u32_e32 v12, vcc, v17, v12
	v_mad_u64_u32 v[10:11], s[4:5], v16, v14, 0
	v_addc_co_u32_e32 v12, vcc, v18, v13, vcc
	v_addc_co_u32_e32 v11, vcc, 0, v11, vcc
	v_add_co_u32_e32 v12, vcc, v12, v10
	v_addc_co_u32_e32 v13, vcc, 0, v11, vcc
	v_mul_lo_u32 v14, s13, v12
	v_mul_lo_u32 v17, s12, v13
	v_mad_u64_u32 v[10:11], s[4:5], s12, v12, 0
	v_add3_u32 v11, v11, v17, v14
	v_sub_u32_e32 v14, v16, v11
	v_mov_b32_e32 v17, s13
	v_sub_co_u32_e32 v1, vcc, v1, v10
	v_subb_co_u32_e64 v10, s[4:5], v14, v17, vcc
	v_subrev_co_u32_e64 v14, s[4:5], s12, v1
	v_subbrev_co_u32_e64 v10, s[4:5], 0, v10, s[4:5]
	v_cmp_le_u32_e64 s[4:5], s13, v10
	v_cndmask_b32_e64 v17, 0, -1, s[4:5]
	v_cmp_le_u32_e64 s[4:5], s12, v14
	v_cndmask_b32_e64 v14, 0, -1, s[4:5]
	v_cmp_eq_u32_e64 s[4:5], s13, v10
	v_cndmask_b32_e64 v10, v17, v14, s[4:5]
	v_add_co_u32_e64 v14, s[4:5], 2, v12
	v_subb_co_u32_e32 v11, vcc, v16, v11, vcc
	v_addc_co_u32_e64 v17, s[4:5], 0, v13, s[4:5]
	v_cmp_le_u32_e32 vcc, s13, v11
	v_add_co_u32_e64 v18, s[4:5], 1, v12
	v_cndmask_b32_e64 v16, 0, -1, vcc
	v_cmp_le_u32_e32 vcc, s12, v1
	v_addc_co_u32_e64 v19, s[4:5], 0, v13, s[4:5]
	v_cndmask_b32_e64 v1, 0, -1, vcc
	v_cmp_eq_u32_e32 vcc, s13, v11
	v_cmp_ne_u32_e64 s[4:5], 0, v10
	v_cndmask_b32_e32 v1, v16, v1, vcc
	v_cndmask_b32_e64 v10, v19, v17, s[4:5]
	v_cmp_ne_u32_e32 vcc, 0, v1
	v_cndmask_b32_e32 v1, v13, v10, vcc
	v_cndmask_b32_e64 v10, v18, v14, s[4:5]
	v_cndmask_b32_e32 v10, v12, v10, vcc
	v_xor_b32_e32 v11, s10, v15
	v_xor_b32_e32 v10, v10, v11
	;; [unrolled: 1-line block ×3, first 2 shown]
	v_sub_co_u32_e32 v10, vcc, v10, v11
	v_subb_co_u32_e32 v11, vcc, v1, v11, vcc
                                        ; implicit-def: $vgpr1
.LBB1144_154:
	s_andn2_saveexec_b64 s[4:5], s[8:9]
	s_cbranch_execz .LBB1144_156
; %bb.155:
	v_cvt_f32_u32_e32 v10, s38
	s_sub_i32 s8, 0, s38
	v_rcp_iflag_f32_e32 v10, v10
	v_mul_f32_e32 v10, 0x4f7ffffe, v10
	v_cvt_u32_f32_e32 v10, v10
	v_mul_lo_u32 v11, s8, v10
	v_mul_hi_u32 v11, v10, v11
	v_add_u32_e32 v10, v10, v11
	v_mul_hi_u32 v10, v1, v10
	v_mul_lo_u32 v11, v10, s38
	v_sub_u32_e32 v1, v1, v11
	v_add_u32_e32 v12, 1, v10
	v_subrev_u32_e32 v11, s38, v1
	v_cmp_le_u32_e32 vcc, s38, v1
	v_cndmask_b32_e32 v1, v1, v11, vcc
	v_cndmask_b32_e32 v10, v10, v12, vcc
	v_add_u32_e32 v11, 1, v10
	v_cmp_le_u32_e32 vcc, s38, v1
	v_cndmask_b32_e32 v10, v10, v11, vcc
	v_mov_b32_e32 v11, 0
.LBB1144_156:
	s_or_b64 exec, exec, s[4:5]
.LBB1144_157:
	s_or_b64 exec, exec, s[6:7]
	v_or_b32_e32 v42, 0x500, v0
	v_cmp_gt_u32_e64 s[22:23], s80, v42
                                        ; implicit-def: $vgpr12_vgpr13
	s_and_saveexec_b64 s[6:7], s[22:23]
	s_cbranch_execz .LBB1144_163
; %bb.158:
	v_mov_b32_e32 v13, s77
	v_add_co_u32_e32 v1, vcc, s76, v42
	v_addc_co_u32_e32 v14, vcc, 0, v13, vcc
	v_mov_b32_e32 v12, 0
	v_or_b32_e32 v13, s39, v14
	v_cmp_ne_u64_e32 vcc, 0, v[12:13]
                                        ; implicit-def: $vgpr12_vgpr13
	s_and_saveexec_b64 s[4:5], vcc
	s_xor_b64 s[8:9], exec, s[4:5]
	s_cbranch_execz .LBB1144_160
; %bb.159:
	s_ashr_i32 s10, s39, 31
	s_add_u32 s4, s38, s10
	s_mov_b32 s11, s10
	s_addc_u32 s5, s39, s10
	s_xor_b64 s[12:13], s[4:5], s[10:11]
	v_cvt_f32_u32_e32 v12, s12
	v_cvt_f32_u32_e32 v13, s13
	s_sub_u32 s4, 0, s12
	s_subb_u32 s5, 0, s13
	v_madmk_f32 v12, v13, 0x4f800000, v12
	v_rcp_f32_e32 v12, v12
	v_mul_f32_e32 v12, 0x5f7ffffc, v12
	v_mul_f32_e32 v13, 0x2f800000, v12
	v_trunc_f32_e32 v13, v13
	v_madmk_f32 v12, v13, 0xcf800000, v12
	v_cvt_u32_f32_e32 v13, v13
	v_cvt_u32_f32_e32 v12, v12
	v_mul_lo_u32 v15, s4, v13
	v_mul_hi_u32 v17, s4, v12
	v_mul_lo_u32 v16, s5, v12
	v_add_u32_e32 v15, v17, v15
	v_mul_lo_u32 v18, s4, v12
	v_add_u32_e32 v15, v15, v16
	v_mul_lo_u32 v17, v12, v15
	v_mul_hi_u32 v19, v12, v18
	v_mul_hi_u32 v16, v12, v15
	v_add_co_u32_e32 v17, vcc, v19, v17
	v_addc_co_u32_e32 v16, vcc, 0, v16, vcc
	v_mul_hi_u32 v20, v13, v18
	v_mul_lo_u32 v18, v13, v18
	v_add_co_u32_e32 v17, vcc, v17, v18
	v_mul_hi_u32 v19, v13, v15
	v_addc_co_u32_e32 v16, vcc, v16, v20, vcc
	v_addc_co_u32_e32 v17, vcc, 0, v19, vcc
	v_mul_lo_u32 v15, v13, v15
	v_add_co_u32_e32 v15, vcc, v16, v15
	v_addc_co_u32_e32 v16, vcc, 0, v17, vcc
	v_add_co_u32_e32 v12, vcc, v12, v15
	v_addc_co_u32_e32 v13, vcc, v13, v16, vcc
	v_mul_lo_u32 v15, s4, v13
	v_mul_hi_u32 v16, s4, v12
	v_add_u32_e32 v15, v16, v15
	v_mul_lo_u32 v16, s5, v12
	v_add_u32_e32 v15, v15, v16
	v_mul_lo_u32 v17, s4, v12
	v_mul_hi_u32 v18, v13, v17
	v_mul_lo_u32 v19, v13, v17
	v_mul_lo_u32 v21, v12, v15
	v_mul_hi_u32 v17, v12, v17
	v_mul_hi_u32 v20, v12, v15
	v_add_co_u32_e32 v17, vcc, v17, v21
	v_addc_co_u32_e32 v20, vcc, 0, v20, vcc
	v_add_co_u32_e32 v17, vcc, v17, v19
	v_mul_hi_u32 v16, v13, v15
	v_addc_co_u32_e32 v17, vcc, v20, v18, vcc
	v_addc_co_u32_e32 v16, vcc, 0, v16, vcc
	v_mul_lo_u32 v15, v13, v15
	v_add_co_u32_e32 v15, vcc, v17, v15
	v_addc_co_u32_e32 v16, vcc, 0, v16, vcc
	v_add_co_u32_e32 v15, vcc, v12, v15
	v_addc_co_u32_e32 v16, vcc, v13, v16, vcc
	v_ashrrev_i32_e32 v17, 31, v14
	v_add_co_u32_e32 v1, vcc, v1, v17
	v_addc_co_u32_e32 v12, vcc, v14, v17, vcc
	v_xor_b32_e32 v1, v1, v17
	v_xor_b32_e32 v18, v12, v17
	v_mad_u64_u32 v[12:13], s[4:5], v1, v16, 0
	v_mul_hi_u32 v14, v1, v15
	v_add_co_u32_e32 v19, vcc, v14, v12
	v_addc_co_u32_e32 v20, vcc, 0, v13, vcc
	v_mad_u64_u32 v[14:15], s[4:5], v18, v15, 0
	v_add_co_u32_e32 v14, vcc, v19, v14
	v_mad_u64_u32 v[12:13], s[4:5], v18, v16, 0
	v_addc_co_u32_e32 v14, vcc, v20, v15, vcc
	v_addc_co_u32_e32 v13, vcc, 0, v13, vcc
	v_add_co_u32_e32 v14, vcc, v14, v12
	v_addc_co_u32_e32 v15, vcc, 0, v13, vcc
	v_mul_lo_u32 v16, s13, v14
	v_mul_lo_u32 v19, s12, v15
	v_mad_u64_u32 v[12:13], s[4:5], s12, v14, 0
	v_add3_u32 v13, v13, v19, v16
	v_sub_u32_e32 v16, v18, v13
	v_mov_b32_e32 v19, s13
	v_sub_co_u32_e32 v1, vcc, v1, v12
	v_subb_co_u32_e64 v12, s[4:5], v16, v19, vcc
	v_subrev_co_u32_e64 v16, s[4:5], s12, v1
	v_subbrev_co_u32_e64 v12, s[4:5], 0, v12, s[4:5]
	v_cmp_le_u32_e64 s[4:5], s13, v12
	v_cndmask_b32_e64 v19, 0, -1, s[4:5]
	v_cmp_le_u32_e64 s[4:5], s12, v16
	v_cndmask_b32_e64 v16, 0, -1, s[4:5]
	v_cmp_eq_u32_e64 s[4:5], s13, v12
	v_cndmask_b32_e64 v12, v19, v16, s[4:5]
	v_add_co_u32_e64 v16, s[4:5], 2, v14
	v_subb_co_u32_e32 v13, vcc, v18, v13, vcc
	v_addc_co_u32_e64 v19, s[4:5], 0, v15, s[4:5]
	v_cmp_le_u32_e32 vcc, s13, v13
	v_add_co_u32_e64 v20, s[4:5], 1, v14
	v_cndmask_b32_e64 v18, 0, -1, vcc
	v_cmp_le_u32_e32 vcc, s12, v1
	v_addc_co_u32_e64 v21, s[4:5], 0, v15, s[4:5]
	v_cndmask_b32_e64 v1, 0, -1, vcc
	v_cmp_eq_u32_e32 vcc, s13, v13
	v_cmp_ne_u32_e64 s[4:5], 0, v12
	v_cndmask_b32_e32 v1, v18, v1, vcc
	v_cndmask_b32_e64 v12, v21, v19, s[4:5]
	v_cmp_ne_u32_e32 vcc, 0, v1
	v_cndmask_b32_e32 v1, v15, v12, vcc
	v_cndmask_b32_e64 v12, v20, v16, s[4:5]
	v_cndmask_b32_e32 v12, v14, v12, vcc
	v_xor_b32_e32 v13, s10, v17
	v_xor_b32_e32 v12, v12, v13
	;; [unrolled: 1-line block ×3, first 2 shown]
	v_sub_co_u32_e32 v12, vcc, v12, v13
	v_subb_co_u32_e32 v13, vcc, v1, v13, vcc
                                        ; implicit-def: $vgpr1
.LBB1144_160:
	s_andn2_saveexec_b64 s[4:5], s[8:9]
	s_cbranch_execz .LBB1144_162
; %bb.161:
	v_cvt_f32_u32_e32 v12, s38
	s_sub_i32 s8, 0, s38
	v_rcp_iflag_f32_e32 v12, v12
	v_mul_f32_e32 v12, 0x4f7ffffe, v12
	v_cvt_u32_f32_e32 v12, v12
	v_mul_lo_u32 v13, s8, v12
	v_mul_hi_u32 v13, v12, v13
	v_add_u32_e32 v12, v12, v13
	v_mul_hi_u32 v12, v1, v12
	v_mul_lo_u32 v13, v12, s38
	v_sub_u32_e32 v1, v1, v13
	v_add_u32_e32 v14, 1, v12
	v_subrev_u32_e32 v13, s38, v1
	v_cmp_le_u32_e32 vcc, s38, v1
	v_cndmask_b32_e32 v1, v1, v13, vcc
	v_cndmask_b32_e32 v12, v12, v14, vcc
	v_add_u32_e32 v13, 1, v12
	v_cmp_le_u32_e32 vcc, s38, v1
	v_cndmask_b32_e32 v12, v12, v13, vcc
	v_mov_b32_e32 v13, 0
.LBB1144_162:
	s_or_b64 exec, exec, s[4:5]
.LBB1144_163:
	s_or_b64 exec, exec, s[6:7]
	v_or_b32_e32 v44, 0x600, v0
	v_cmp_gt_u32_e64 s[20:21], s80, v44
                                        ; implicit-def: $vgpr14_vgpr15
	s_and_saveexec_b64 s[6:7], s[20:21]
	s_cbranch_execz .LBB1144_169
; %bb.164:
	v_mov_b32_e32 v15, s77
	v_add_co_u32_e32 v1, vcc, s76, v44
	v_addc_co_u32_e32 v16, vcc, 0, v15, vcc
	v_mov_b32_e32 v14, 0
	v_or_b32_e32 v15, s39, v16
	v_cmp_ne_u64_e32 vcc, 0, v[14:15]
                                        ; implicit-def: $vgpr14_vgpr15
	s_and_saveexec_b64 s[4:5], vcc
	s_xor_b64 s[8:9], exec, s[4:5]
	s_cbranch_execz .LBB1144_166
; %bb.165:
	s_ashr_i32 s10, s39, 31
	s_add_u32 s4, s38, s10
	s_mov_b32 s11, s10
	s_addc_u32 s5, s39, s10
	s_xor_b64 s[12:13], s[4:5], s[10:11]
	v_cvt_f32_u32_e32 v14, s12
	v_cvt_f32_u32_e32 v15, s13
	s_sub_u32 s4, 0, s12
	s_subb_u32 s5, 0, s13
	v_madmk_f32 v14, v15, 0x4f800000, v14
	v_rcp_f32_e32 v14, v14
	v_mul_f32_e32 v14, 0x5f7ffffc, v14
	v_mul_f32_e32 v15, 0x2f800000, v14
	v_trunc_f32_e32 v15, v15
	v_madmk_f32 v14, v15, 0xcf800000, v14
	v_cvt_u32_f32_e32 v15, v15
	v_cvt_u32_f32_e32 v14, v14
	v_mul_lo_u32 v17, s4, v15
	v_mul_hi_u32 v19, s4, v14
	v_mul_lo_u32 v18, s5, v14
	v_add_u32_e32 v17, v19, v17
	v_mul_lo_u32 v20, s4, v14
	v_add_u32_e32 v17, v17, v18
	v_mul_lo_u32 v19, v14, v17
	v_mul_hi_u32 v21, v14, v20
	v_mul_hi_u32 v18, v14, v17
	v_add_co_u32_e32 v19, vcc, v21, v19
	v_addc_co_u32_e32 v18, vcc, 0, v18, vcc
	v_mul_hi_u32 v22, v15, v20
	v_mul_lo_u32 v20, v15, v20
	v_add_co_u32_e32 v19, vcc, v19, v20
	v_mul_hi_u32 v21, v15, v17
	v_addc_co_u32_e32 v18, vcc, v18, v22, vcc
	v_addc_co_u32_e32 v19, vcc, 0, v21, vcc
	v_mul_lo_u32 v17, v15, v17
	v_add_co_u32_e32 v17, vcc, v18, v17
	v_addc_co_u32_e32 v18, vcc, 0, v19, vcc
	v_add_co_u32_e32 v14, vcc, v14, v17
	v_addc_co_u32_e32 v15, vcc, v15, v18, vcc
	v_mul_lo_u32 v17, s4, v15
	v_mul_hi_u32 v18, s4, v14
	v_add_u32_e32 v17, v18, v17
	v_mul_lo_u32 v18, s5, v14
	v_add_u32_e32 v17, v17, v18
	v_mul_lo_u32 v19, s4, v14
	v_mul_hi_u32 v20, v15, v19
	v_mul_lo_u32 v21, v15, v19
	v_mul_lo_u32 v23, v14, v17
	v_mul_hi_u32 v19, v14, v19
	v_mul_hi_u32 v22, v14, v17
	v_add_co_u32_e32 v19, vcc, v19, v23
	v_addc_co_u32_e32 v22, vcc, 0, v22, vcc
	v_add_co_u32_e32 v19, vcc, v19, v21
	v_mul_hi_u32 v18, v15, v17
	v_addc_co_u32_e32 v19, vcc, v22, v20, vcc
	v_addc_co_u32_e32 v18, vcc, 0, v18, vcc
	v_mul_lo_u32 v17, v15, v17
	v_add_co_u32_e32 v17, vcc, v19, v17
	v_addc_co_u32_e32 v18, vcc, 0, v18, vcc
	v_add_co_u32_e32 v17, vcc, v14, v17
	v_addc_co_u32_e32 v18, vcc, v15, v18, vcc
	v_ashrrev_i32_e32 v19, 31, v16
	v_add_co_u32_e32 v1, vcc, v1, v19
	v_addc_co_u32_e32 v14, vcc, v16, v19, vcc
	v_xor_b32_e32 v1, v1, v19
	v_xor_b32_e32 v20, v14, v19
	v_mad_u64_u32 v[14:15], s[4:5], v1, v18, 0
	v_mul_hi_u32 v16, v1, v17
	v_add_co_u32_e32 v21, vcc, v16, v14
	v_addc_co_u32_e32 v22, vcc, 0, v15, vcc
	v_mad_u64_u32 v[16:17], s[4:5], v20, v17, 0
	v_add_co_u32_e32 v16, vcc, v21, v16
	v_mad_u64_u32 v[14:15], s[4:5], v20, v18, 0
	v_addc_co_u32_e32 v16, vcc, v22, v17, vcc
	v_addc_co_u32_e32 v15, vcc, 0, v15, vcc
	v_add_co_u32_e32 v16, vcc, v16, v14
	v_addc_co_u32_e32 v17, vcc, 0, v15, vcc
	v_mul_lo_u32 v18, s13, v16
	v_mul_lo_u32 v21, s12, v17
	v_mad_u64_u32 v[14:15], s[4:5], s12, v16, 0
	v_add3_u32 v15, v15, v21, v18
	v_sub_u32_e32 v18, v20, v15
	v_mov_b32_e32 v21, s13
	v_sub_co_u32_e32 v1, vcc, v1, v14
	v_subb_co_u32_e64 v14, s[4:5], v18, v21, vcc
	v_subrev_co_u32_e64 v18, s[4:5], s12, v1
	v_subbrev_co_u32_e64 v14, s[4:5], 0, v14, s[4:5]
	v_cmp_le_u32_e64 s[4:5], s13, v14
	v_cndmask_b32_e64 v21, 0, -1, s[4:5]
	v_cmp_le_u32_e64 s[4:5], s12, v18
	v_cndmask_b32_e64 v18, 0, -1, s[4:5]
	v_cmp_eq_u32_e64 s[4:5], s13, v14
	v_cndmask_b32_e64 v14, v21, v18, s[4:5]
	v_add_co_u32_e64 v18, s[4:5], 2, v16
	v_subb_co_u32_e32 v15, vcc, v20, v15, vcc
	v_addc_co_u32_e64 v21, s[4:5], 0, v17, s[4:5]
	v_cmp_le_u32_e32 vcc, s13, v15
	v_add_co_u32_e64 v22, s[4:5], 1, v16
	v_cndmask_b32_e64 v20, 0, -1, vcc
	v_cmp_le_u32_e32 vcc, s12, v1
	v_addc_co_u32_e64 v23, s[4:5], 0, v17, s[4:5]
	v_cndmask_b32_e64 v1, 0, -1, vcc
	v_cmp_eq_u32_e32 vcc, s13, v15
	v_cmp_ne_u32_e64 s[4:5], 0, v14
	v_cndmask_b32_e32 v1, v20, v1, vcc
	v_cndmask_b32_e64 v14, v23, v21, s[4:5]
	v_cmp_ne_u32_e32 vcc, 0, v1
	v_cndmask_b32_e32 v1, v17, v14, vcc
	v_cndmask_b32_e64 v14, v22, v18, s[4:5]
	v_cndmask_b32_e32 v14, v16, v14, vcc
	v_xor_b32_e32 v15, s10, v19
	v_xor_b32_e32 v14, v14, v15
	;; [unrolled: 1-line block ×3, first 2 shown]
	v_sub_co_u32_e32 v14, vcc, v14, v15
	v_subb_co_u32_e32 v15, vcc, v1, v15, vcc
                                        ; implicit-def: $vgpr1
.LBB1144_166:
	s_andn2_saveexec_b64 s[4:5], s[8:9]
	s_cbranch_execz .LBB1144_168
; %bb.167:
	v_cvt_f32_u32_e32 v14, s38
	s_sub_i32 s8, 0, s38
	v_rcp_iflag_f32_e32 v14, v14
	v_mul_f32_e32 v14, 0x4f7ffffe, v14
	v_cvt_u32_f32_e32 v14, v14
	v_mul_lo_u32 v15, s8, v14
	v_mul_hi_u32 v15, v14, v15
	v_add_u32_e32 v14, v14, v15
	v_mul_hi_u32 v14, v1, v14
	v_mul_lo_u32 v15, v14, s38
	v_sub_u32_e32 v1, v1, v15
	v_add_u32_e32 v16, 1, v14
	v_subrev_u32_e32 v15, s38, v1
	v_cmp_le_u32_e32 vcc, s38, v1
	v_cndmask_b32_e32 v1, v1, v15, vcc
	v_cndmask_b32_e32 v14, v14, v16, vcc
	v_add_u32_e32 v15, 1, v14
	v_cmp_le_u32_e32 vcc, s38, v1
	v_cndmask_b32_e32 v14, v14, v15, vcc
	v_mov_b32_e32 v15, 0
.LBB1144_168:
	s_or_b64 exec, exec, s[4:5]
.LBB1144_169:
	s_or_b64 exec, exec, s[6:7]
	v_or_b32_e32 v46, 0x700, v0
	v_cmp_gt_u32_e64 s[18:19], s80, v46
                                        ; implicit-def: $vgpr16_vgpr17
	s_and_saveexec_b64 s[6:7], s[18:19]
	s_cbranch_execz .LBB1144_175
; %bb.170:
	v_mov_b32_e32 v17, s77
	v_add_co_u32_e32 v1, vcc, s76, v46
	v_addc_co_u32_e32 v18, vcc, 0, v17, vcc
	v_mov_b32_e32 v16, 0
	v_or_b32_e32 v17, s39, v18
	v_cmp_ne_u64_e32 vcc, 0, v[16:17]
                                        ; implicit-def: $vgpr16_vgpr17
	s_and_saveexec_b64 s[4:5], vcc
	s_xor_b64 s[8:9], exec, s[4:5]
	s_cbranch_execz .LBB1144_172
; %bb.171:
	s_ashr_i32 s10, s39, 31
	s_add_u32 s4, s38, s10
	s_mov_b32 s11, s10
	s_addc_u32 s5, s39, s10
	s_xor_b64 s[12:13], s[4:5], s[10:11]
	v_cvt_f32_u32_e32 v16, s12
	v_cvt_f32_u32_e32 v17, s13
	s_sub_u32 s4, 0, s12
	s_subb_u32 s5, 0, s13
	v_madmk_f32 v16, v17, 0x4f800000, v16
	v_rcp_f32_e32 v16, v16
	v_mul_f32_e32 v16, 0x5f7ffffc, v16
	v_mul_f32_e32 v17, 0x2f800000, v16
	v_trunc_f32_e32 v17, v17
	v_madmk_f32 v16, v17, 0xcf800000, v16
	v_cvt_u32_f32_e32 v17, v17
	v_cvt_u32_f32_e32 v16, v16
	v_mul_lo_u32 v19, s4, v17
	v_mul_hi_u32 v21, s4, v16
	v_mul_lo_u32 v20, s5, v16
	v_add_u32_e32 v19, v21, v19
	v_mul_lo_u32 v22, s4, v16
	v_add_u32_e32 v19, v19, v20
	v_mul_lo_u32 v21, v16, v19
	v_mul_hi_u32 v23, v16, v22
	v_mul_hi_u32 v20, v16, v19
	v_add_co_u32_e32 v21, vcc, v23, v21
	v_addc_co_u32_e32 v20, vcc, 0, v20, vcc
	v_mul_hi_u32 v24, v17, v22
	v_mul_lo_u32 v22, v17, v22
	v_add_co_u32_e32 v21, vcc, v21, v22
	v_mul_hi_u32 v23, v17, v19
	v_addc_co_u32_e32 v20, vcc, v20, v24, vcc
	v_addc_co_u32_e32 v21, vcc, 0, v23, vcc
	v_mul_lo_u32 v19, v17, v19
	v_add_co_u32_e32 v19, vcc, v20, v19
	v_addc_co_u32_e32 v20, vcc, 0, v21, vcc
	v_add_co_u32_e32 v16, vcc, v16, v19
	v_addc_co_u32_e32 v17, vcc, v17, v20, vcc
	v_mul_lo_u32 v19, s4, v17
	v_mul_hi_u32 v20, s4, v16
	v_add_u32_e32 v19, v20, v19
	v_mul_lo_u32 v20, s5, v16
	v_add_u32_e32 v19, v19, v20
	v_mul_lo_u32 v21, s4, v16
	v_mul_hi_u32 v22, v17, v21
	v_mul_lo_u32 v23, v17, v21
	v_mul_lo_u32 v25, v16, v19
	v_mul_hi_u32 v21, v16, v21
	v_mul_hi_u32 v24, v16, v19
	v_add_co_u32_e32 v21, vcc, v21, v25
	v_addc_co_u32_e32 v24, vcc, 0, v24, vcc
	v_add_co_u32_e32 v21, vcc, v21, v23
	v_mul_hi_u32 v20, v17, v19
	v_addc_co_u32_e32 v21, vcc, v24, v22, vcc
	v_addc_co_u32_e32 v20, vcc, 0, v20, vcc
	v_mul_lo_u32 v19, v17, v19
	v_add_co_u32_e32 v19, vcc, v21, v19
	v_addc_co_u32_e32 v20, vcc, 0, v20, vcc
	v_add_co_u32_e32 v19, vcc, v16, v19
	v_addc_co_u32_e32 v20, vcc, v17, v20, vcc
	v_ashrrev_i32_e32 v21, 31, v18
	v_add_co_u32_e32 v1, vcc, v1, v21
	v_addc_co_u32_e32 v16, vcc, v18, v21, vcc
	v_xor_b32_e32 v1, v1, v21
	v_xor_b32_e32 v22, v16, v21
	v_mad_u64_u32 v[16:17], s[4:5], v1, v20, 0
	v_mul_hi_u32 v18, v1, v19
	v_add_co_u32_e32 v23, vcc, v18, v16
	v_addc_co_u32_e32 v24, vcc, 0, v17, vcc
	v_mad_u64_u32 v[18:19], s[4:5], v22, v19, 0
	v_add_co_u32_e32 v18, vcc, v23, v18
	v_mad_u64_u32 v[16:17], s[4:5], v22, v20, 0
	v_addc_co_u32_e32 v18, vcc, v24, v19, vcc
	v_addc_co_u32_e32 v17, vcc, 0, v17, vcc
	v_add_co_u32_e32 v18, vcc, v18, v16
	v_addc_co_u32_e32 v19, vcc, 0, v17, vcc
	v_mul_lo_u32 v20, s13, v18
	v_mul_lo_u32 v23, s12, v19
	v_mad_u64_u32 v[16:17], s[4:5], s12, v18, 0
	v_add3_u32 v17, v17, v23, v20
	v_sub_u32_e32 v20, v22, v17
	v_mov_b32_e32 v23, s13
	v_sub_co_u32_e32 v1, vcc, v1, v16
	v_subb_co_u32_e64 v16, s[4:5], v20, v23, vcc
	v_subrev_co_u32_e64 v20, s[4:5], s12, v1
	v_subbrev_co_u32_e64 v16, s[4:5], 0, v16, s[4:5]
	v_cmp_le_u32_e64 s[4:5], s13, v16
	v_cndmask_b32_e64 v23, 0, -1, s[4:5]
	v_cmp_le_u32_e64 s[4:5], s12, v20
	v_cndmask_b32_e64 v20, 0, -1, s[4:5]
	v_cmp_eq_u32_e64 s[4:5], s13, v16
	v_cndmask_b32_e64 v16, v23, v20, s[4:5]
	v_add_co_u32_e64 v20, s[4:5], 2, v18
	v_subb_co_u32_e32 v17, vcc, v22, v17, vcc
	v_addc_co_u32_e64 v23, s[4:5], 0, v19, s[4:5]
	v_cmp_le_u32_e32 vcc, s13, v17
	v_add_co_u32_e64 v24, s[4:5], 1, v18
	v_cndmask_b32_e64 v22, 0, -1, vcc
	v_cmp_le_u32_e32 vcc, s12, v1
	v_addc_co_u32_e64 v25, s[4:5], 0, v19, s[4:5]
	v_cndmask_b32_e64 v1, 0, -1, vcc
	v_cmp_eq_u32_e32 vcc, s13, v17
	v_cmp_ne_u32_e64 s[4:5], 0, v16
	v_cndmask_b32_e32 v1, v22, v1, vcc
	v_cndmask_b32_e64 v16, v25, v23, s[4:5]
	v_cmp_ne_u32_e32 vcc, 0, v1
	v_cndmask_b32_e32 v1, v19, v16, vcc
	v_cndmask_b32_e64 v16, v24, v20, s[4:5]
	v_cndmask_b32_e32 v16, v18, v16, vcc
	v_xor_b32_e32 v17, s10, v21
	v_xor_b32_e32 v16, v16, v17
	;; [unrolled: 1-line block ×3, first 2 shown]
	v_sub_co_u32_e32 v16, vcc, v16, v17
	v_subb_co_u32_e32 v17, vcc, v1, v17, vcc
                                        ; implicit-def: $vgpr1
.LBB1144_172:
	s_andn2_saveexec_b64 s[4:5], s[8:9]
	s_cbranch_execz .LBB1144_174
; %bb.173:
	v_cvt_f32_u32_e32 v16, s38
	s_sub_i32 s8, 0, s38
	v_rcp_iflag_f32_e32 v16, v16
	v_mul_f32_e32 v16, 0x4f7ffffe, v16
	v_cvt_u32_f32_e32 v16, v16
	v_mul_lo_u32 v17, s8, v16
	v_mul_hi_u32 v17, v16, v17
	v_add_u32_e32 v16, v16, v17
	v_mul_hi_u32 v16, v1, v16
	v_mul_lo_u32 v17, v16, s38
	v_sub_u32_e32 v1, v1, v17
	v_add_u32_e32 v18, 1, v16
	v_subrev_u32_e32 v17, s38, v1
	v_cmp_le_u32_e32 vcc, s38, v1
	v_cndmask_b32_e32 v1, v1, v17, vcc
	v_cndmask_b32_e32 v16, v16, v18, vcc
	v_add_u32_e32 v17, 1, v16
	v_cmp_le_u32_e32 vcc, s38, v1
	v_cndmask_b32_e32 v16, v16, v17, vcc
	v_mov_b32_e32 v17, 0
.LBB1144_174:
	s_or_b64 exec, exec, s[4:5]
.LBB1144_175:
	s_or_b64 exec, exec, s[6:7]
	v_or_b32_e32 v48, 0x800, v0
	v_cmp_gt_u32_e64 s[16:17], s80, v48
                                        ; implicit-def: $vgpr18_vgpr19
	s_and_saveexec_b64 s[6:7], s[16:17]
	s_cbranch_execz .LBB1144_181
; %bb.176:
	v_mov_b32_e32 v19, s77
	v_add_co_u32_e32 v1, vcc, s76, v48
	v_addc_co_u32_e32 v20, vcc, 0, v19, vcc
	v_mov_b32_e32 v18, 0
	v_or_b32_e32 v19, s39, v20
	v_cmp_ne_u64_e32 vcc, 0, v[18:19]
                                        ; implicit-def: $vgpr18_vgpr19
	s_and_saveexec_b64 s[4:5], vcc
	s_xor_b64 s[8:9], exec, s[4:5]
	s_cbranch_execz .LBB1144_178
; %bb.177:
	s_ashr_i32 s10, s39, 31
	s_add_u32 s4, s38, s10
	s_mov_b32 s11, s10
	s_addc_u32 s5, s39, s10
	s_xor_b64 s[12:13], s[4:5], s[10:11]
	v_cvt_f32_u32_e32 v18, s12
	v_cvt_f32_u32_e32 v19, s13
	s_sub_u32 s4, 0, s12
	s_subb_u32 s5, 0, s13
	v_madmk_f32 v18, v19, 0x4f800000, v18
	v_rcp_f32_e32 v18, v18
	v_mul_f32_e32 v18, 0x5f7ffffc, v18
	v_mul_f32_e32 v19, 0x2f800000, v18
	v_trunc_f32_e32 v19, v19
	v_madmk_f32 v18, v19, 0xcf800000, v18
	v_cvt_u32_f32_e32 v19, v19
	v_cvt_u32_f32_e32 v18, v18
	v_mul_lo_u32 v21, s4, v19
	v_mul_hi_u32 v23, s4, v18
	v_mul_lo_u32 v22, s5, v18
	v_add_u32_e32 v21, v23, v21
	v_mul_lo_u32 v24, s4, v18
	v_add_u32_e32 v21, v21, v22
	v_mul_lo_u32 v23, v18, v21
	v_mul_hi_u32 v25, v18, v24
	v_mul_hi_u32 v22, v18, v21
	v_add_co_u32_e32 v23, vcc, v25, v23
	v_addc_co_u32_e32 v22, vcc, 0, v22, vcc
	v_mul_hi_u32 v26, v19, v24
	v_mul_lo_u32 v24, v19, v24
	v_add_co_u32_e32 v23, vcc, v23, v24
	v_mul_hi_u32 v25, v19, v21
	v_addc_co_u32_e32 v22, vcc, v22, v26, vcc
	v_addc_co_u32_e32 v23, vcc, 0, v25, vcc
	v_mul_lo_u32 v21, v19, v21
	v_add_co_u32_e32 v21, vcc, v22, v21
	v_addc_co_u32_e32 v22, vcc, 0, v23, vcc
	v_add_co_u32_e32 v18, vcc, v18, v21
	v_addc_co_u32_e32 v19, vcc, v19, v22, vcc
	v_mul_lo_u32 v21, s4, v19
	v_mul_hi_u32 v22, s4, v18
	v_add_u32_e32 v21, v22, v21
	v_mul_lo_u32 v22, s5, v18
	v_add_u32_e32 v21, v21, v22
	v_mul_lo_u32 v23, s4, v18
	v_mul_hi_u32 v24, v19, v23
	v_mul_lo_u32 v25, v19, v23
	v_mul_lo_u32 v27, v18, v21
	v_mul_hi_u32 v23, v18, v23
	v_mul_hi_u32 v26, v18, v21
	v_add_co_u32_e32 v23, vcc, v23, v27
	v_addc_co_u32_e32 v26, vcc, 0, v26, vcc
	v_add_co_u32_e32 v23, vcc, v23, v25
	v_mul_hi_u32 v22, v19, v21
	v_addc_co_u32_e32 v23, vcc, v26, v24, vcc
	v_addc_co_u32_e32 v22, vcc, 0, v22, vcc
	v_mul_lo_u32 v21, v19, v21
	v_add_co_u32_e32 v21, vcc, v23, v21
	v_addc_co_u32_e32 v22, vcc, 0, v22, vcc
	v_add_co_u32_e32 v21, vcc, v18, v21
	v_addc_co_u32_e32 v22, vcc, v19, v22, vcc
	v_ashrrev_i32_e32 v23, 31, v20
	v_add_co_u32_e32 v1, vcc, v1, v23
	v_addc_co_u32_e32 v18, vcc, v20, v23, vcc
	v_xor_b32_e32 v1, v1, v23
	v_xor_b32_e32 v24, v18, v23
	v_mad_u64_u32 v[18:19], s[4:5], v1, v22, 0
	v_mul_hi_u32 v20, v1, v21
	v_add_co_u32_e32 v25, vcc, v20, v18
	v_addc_co_u32_e32 v26, vcc, 0, v19, vcc
	v_mad_u64_u32 v[20:21], s[4:5], v24, v21, 0
	v_add_co_u32_e32 v20, vcc, v25, v20
	v_mad_u64_u32 v[18:19], s[4:5], v24, v22, 0
	v_addc_co_u32_e32 v20, vcc, v26, v21, vcc
	v_addc_co_u32_e32 v19, vcc, 0, v19, vcc
	v_add_co_u32_e32 v20, vcc, v20, v18
	v_addc_co_u32_e32 v21, vcc, 0, v19, vcc
	v_mul_lo_u32 v22, s13, v20
	v_mul_lo_u32 v25, s12, v21
	v_mad_u64_u32 v[18:19], s[4:5], s12, v20, 0
	v_add3_u32 v19, v19, v25, v22
	v_sub_u32_e32 v22, v24, v19
	v_mov_b32_e32 v25, s13
	v_sub_co_u32_e32 v1, vcc, v1, v18
	v_subb_co_u32_e64 v18, s[4:5], v22, v25, vcc
	v_subrev_co_u32_e64 v22, s[4:5], s12, v1
	v_subbrev_co_u32_e64 v18, s[4:5], 0, v18, s[4:5]
	v_cmp_le_u32_e64 s[4:5], s13, v18
	v_cndmask_b32_e64 v25, 0, -1, s[4:5]
	v_cmp_le_u32_e64 s[4:5], s12, v22
	v_cndmask_b32_e64 v22, 0, -1, s[4:5]
	v_cmp_eq_u32_e64 s[4:5], s13, v18
	v_cndmask_b32_e64 v18, v25, v22, s[4:5]
	v_add_co_u32_e64 v22, s[4:5], 2, v20
	v_subb_co_u32_e32 v19, vcc, v24, v19, vcc
	v_addc_co_u32_e64 v25, s[4:5], 0, v21, s[4:5]
	v_cmp_le_u32_e32 vcc, s13, v19
	v_add_co_u32_e64 v26, s[4:5], 1, v20
	v_cndmask_b32_e64 v24, 0, -1, vcc
	v_cmp_le_u32_e32 vcc, s12, v1
	v_addc_co_u32_e64 v27, s[4:5], 0, v21, s[4:5]
	v_cndmask_b32_e64 v1, 0, -1, vcc
	v_cmp_eq_u32_e32 vcc, s13, v19
	v_cmp_ne_u32_e64 s[4:5], 0, v18
	v_cndmask_b32_e32 v1, v24, v1, vcc
	v_cndmask_b32_e64 v18, v27, v25, s[4:5]
	v_cmp_ne_u32_e32 vcc, 0, v1
	v_cndmask_b32_e32 v1, v21, v18, vcc
	v_cndmask_b32_e64 v18, v26, v22, s[4:5]
	v_cndmask_b32_e32 v18, v20, v18, vcc
	v_xor_b32_e32 v19, s10, v23
	v_xor_b32_e32 v18, v18, v19
	;; [unrolled: 1-line block ×3, first 2 shown]
	v_sub_co_u32_e32 v18, vcc, v18, v19
	v_subb_co_u32_e32 v19, vcc, v1, v19, vcc
                                        ; implicit-def: $vgpr1
.LBB1144_178:
	s_andn2_saveexec_b64 s[4:5], s[8:9]
	s_cbranch_execz .LBB1144_180
; %bb.179:
	v_cvt_f32_u32_e32 v18, s38
	s_sub_i32 s8, 0, s38
	v_rcp_iflag_f32_e32 v18, v18
	v_mul_f32_e32 v18, 0x4f7ffffe, v18
	v_cvt_u32_f32_e32 v18, v18
	v_mul_lo_u32 v19, s8, v18
	v_mul_hi_u32 v19, v18, v19
	v_add_u32_e32 v18, v18, v19
	v_mul_hi_u32 v18, v1, v18
	v_mul_lo_u32 v19, v18, s38
	v_sub_u32_e32 v1, v1, v19
	v_add_u32_e32 v20, 1, v18
	v_subrev_u32_e32 v19, s38, v1
	v_cmp_le_u32_e32 vcc, s38, v1
	v_cndmask_b32_e32 v1, v1, v19, vcc
	v_cndmask_b32_e32 v18, v18, v20, vcc
	v_add_u32_e32 v19, 1, v18
	v_cmp_le_u32_e32 vcc, s38, v1
	v_cndmask_b32_e32 v18, v18, v19, vcc
	v_mov_b32_e32 v19, 0
.LBB1144_180:
	s_or_b64 exec, exec, s[4:5]
.LBB1144_181:
	s_or_b64 exec, exec, s[6:7]
	v_or_b32_e32 v50, 0x900, v0
	v_cmp_gt_u32_e64 s[14:15], s80, v50
                                        ; implicit-def: $vgpr20_vgpr21
	s_and_saveexec_b64 s[6:7], s[14:15]
	s_cbranch_execz .LBB1144_187
; %bb.182:
	v_mov_b32_e32 v21, s77
	v_add_co_u32_e32 v1, vcc, s76, v50
	v_addc_co_u32_e32 v22, vcc, 0, v21, vcc
	v_mov_b32_e32 v20, 0
	v_or_b32_e32 v21, s39, v22
	v_cmp_ne_u64_e32 vcc, 0, v[20:21]
                                        ; implicit-def: $vgpr20_vgpr21
	s_and_saveexec_b64 s[4:5], vcc
	s_xor_b64 s[8:9], exec, s[4:5]
	s_cbranch_execz .LBB1144_184
; %bb.183:
	s_ashr_i32 s10, s39, 31
	s_add_u32 s4, s38, s10
	s_mov_b32 s11, s10
	s_addc_u32 s5, s39, s10
	s_xor_b64 s[12:13], s[4:5], s[10:11]
	v_cvt_f32_u32_e32 v20, s12
	v_cvt_f32_u32_e32 v21, s13
	s_sub_u32 s4, 0, s12
	s_subb_u32 s5, 0, s13
	v_madmk_f32 v20, v21, 0x4f800000, v20
	v_rcp_f32_e32 v20, v20
	v_mul_f32_e32 v20, 0x5f7ffffc, v20
	v_mul_f32_e32 v21, 0x2f800000, v20
	v_trunc_f32_e32 v21, v21
	v_madmk_f32 v20, v21, 0xcf800000, v20
	v_cvt_u32_f32_e32 v21, v21
	v_cvt_u32_f32_e32 v20, v20
	v_mul_lo_u32 v23, s4, v21
	v_mul_hi_u32 v25, s4, v20
	v_mul_lo_u32 v24, s5, v20
	v_add_u32_e32 v23, v25, v23
	v_mul_lo_u32 v26, s4, v20
	v_add_u32_e32 v23, v23, v24
	v_mul_lo_u32 v25, v20, v23
	v_mul_hi_u32 v27, v20, v26
	v_mul_hi_u32 v24, v20, v23
	v_add_co_u32_e32 v25, vcc, v27, v25
	v_addc_co_u32_e32 v24, vcc, 0, v24, vcc
	v_mul_hi_u32 v28, v21, v26
	v_mul_lo_u32 v26, v21, v26
	v_add_co_u32_e32 v25, vcc, v25, v26
	v_mul_hi_u32 v27, v21, v23
	v_addc_co_u32_e32 v24, vcc, v24, v28, vcc
	v_addc_co_u32_e32 v25, vcc, 0, v27, vcc
	v_mul_lo_u32 v23, v21, v23
	v_add_co_u32_e32 v23, vcc, v24, v23
	v_addc_co_u32_e32 v24, vcc, 0, v25, vcc
	v_add_co_u32_e32 v20, vcc, v20, v23
	v_addc_co_u32_e32 v21, vcc, v21, v24, vcc
	v_mul_lo_u32 v23, s4, v21
	v_mul_hi_u32 v24, s4, v20
	v_add_u32_e32 v23, v24, v23
	v_mul_lo_u32 v24, s5, v20
	v_add_u32_e32 v23, v23, v24
	v_mul_lo_u32 v25, s4, v20
	v_mul_hi_u32 v26, v21, v25
	v_mul_lo_u32 v27, v21, v25
	v_mul_lo_u32 v29, v20, v23
	v_mul_hi_u32 v25, v20, v25
	v_mul_hi_u32 v28, v20, v23
	v_add_co_u32_e32 v25, vcc, v25, v29
	v_addc_co_u32_e32 v28, vcc, 0, v28, vcc
	v_add_co_u32_e32 v25, vcc, v25, v27
	v_mul_hi_u32 v24, v21, v23
	v_addc_co_u32_e32 v25, vcc, v28, v26, vcc
	v_addc_co_u32_e32 v24, vcc, 0, v24, vcc
	v_mul_lo_u32 v23, v21, v23
	v_add_co_u32_e32 v23, vcc, v25, v23
	v_addc_co_u32_e32 v24, vcc, 0, v24, vcc
	v_add_co_u32_e32 v23, vcc, v20, v23
	v_addc_co_u32_e32 v24, vcc, v21, v24, vcc
	v_ashrrev_i32_e32 v25, 31, v22
	v_add_co_u32_e32 v1, vcc, v1, v25
	v_addc_co_u32_e32 v20, vcc, v22, v25, vcc
	v_xor_b32_e32 v1, v1, v25
	v_xor_b32_e32 v26, v20, v25
	v_mad_u64_u32 v[20:21], s[4:5], v1, v24, 0
	v_mul_hi_u32 v22, v1, v23
	v_add_co_u32_e32 v27, vcc, v22, v20
	v_addc_co_u32_e32 v28, vcc, 0, v21, vcc
	v_mad_u64_u32 v[22:23], s[4:5], v26, v23, 0
	v_add_co_u32_e32 v22, vcc, v27, v22
	v_mad_u64_u32 v[20:21], s[4:5], v26, v24, 0
	v_addc_co_u32_e32 v22, vcc, v28, v23, vcc
	v_addc_co_u32_e32 v21, vcc, 0, v21, vcc
	v_add_co_u32_e32 v22, vcc, v22, v20
	v_addc_co_u32_e32 v23, vcc, 0, v21, vcc
	v_mul_lo_u32 v24, s13, v22
	v_mul_lo_u32 v27, s12, v23
	v_mad_u64_u32 v[20:21], s[4:5], s12, v22, 0
	v_add3_u32 v21, v21, v27, v24
	v_sub_u32_e32 v24, v26, v21
	v_mov_b32_e32 v27, s13
	v_sub_co_u32_e32 v1, vcc, v1, v20
	v_subb_co_u32_e64 v20, s[4:5], v24, v27, vcc
	v_subrev_co_u32_e64 v24, s[4:5], s12, v1
	v_subbrev_co_u32_e64 v20, s[4:5], 0, v20, s[4:5]
	v_cmp_le_u32_e64 s[4:5], s13, v20
	v_cndmask_b32_e64 v27, 0, -1, s[4:5]
	v_cmp_le_u32_e64 s[4:5], s12, v24
	v_cndmask_b32_e64 v24, 0, -1, s[4:5]
	v_cmp_eq_u32_e64 s[4:5], s13, v20
	v_cndmask_b32_e64 v20, v27, v24, s[4:5]
	v_add_co_u32_e64 v24, s[4:5], 2, v22
	v_subb_co_u32_e32 v21, vcc, v26, v21, vcc
	v_addc_co_u32_e64 v27, s[4:5], 0, v23, s[4:5]
	v_cmp_le_u32_e32 vcc, s13, v21
	v_add_co_u32_e64 v28, s[4:5], 1, v22
	v_cndmask_b32_e64 v26, 0, -1, vcc
	v_cmp_le_u32_e32 vcc, s12, v1
	v_addc_co_u32_e64 v29, s[4:5], 0, v23, s[4:5]
	v_cndmask_b32_e64 v1, 0, -1, vcc
	v_cmp_eq_u32_e32 vcc, s13, v21
	v_cmp_ne_u32_e64 s[4:5], 0, v20
	v_cndmask_b32_e32 v1, v26, v1, vcc
	v_cndmask_b32_e64 v20, v29, v27, s[4:5]
	v_cmp_ne_u32_e32 vcc, 0, v1
	v_cndmask_b32_e32 v1, v23, v20, vcc
	v_cndmask_b32_e64 v20, v28, v24, s[4:5]
	v_cndmask_b32_e32 v20, v22, v20, vcc
	v_xor_b32_e32 v21, s10, v25
	v_xor_b32_e32 v20, v20, v21
	;; [unrolled: 1-line block ×3, first 2 shown]
	v_sub_co_u32_e32 v20, vcc, v20, v21
	v_subb_co_u32_e32 v21, vcc, v1, v21, vcc
                                        ; implicit-def: $vgpr1
.LBB1144_184:
	s_andn2_saveexec_b64 s[4:5], s[8:9]
	s_cbranch_execz .LBB1144_186
; %bb.185:
	v_cvt_f32_u32_e32 v20, s38
	s_sub_i32 s8, 0, s38
	v_rcp_iflag_f32_e32 v20, v20
	v_mul_f32_e32 v20, 0x4f7ffffe, v20
	v_cvt_u32_f32_e32 v20, v20
	v_mul_lo_u32 v21, s8, v20
	v_mul_hi_u32 v21, v20, v21
	v_add_u32_e32 v20, v20, v21
	v_mul_hi_u32 v20, v1, v20
	v_mul_lo_u32 v21, v20, s38
	v_sub_u32_e32 v1, v1, v21
	v_add_u32_e32 v22, 1, v20
	v_subrev_u32_e32 v21, s38, v1
	v_cmp_le_u32_e32 vcc, s38, v1
	v_cndmask_b32_e32 v1, v1, v21, vcc
	v_cndmask_b32_e32 v20, v20, v22, vcc
	v_add_u32_e32 v21, 1, v20
	v_cmp_le_u32_e32 vcc, s38, v1
	v_cndmask_b32_e32 v20, v20, v21, vcc
	v_mov_b32_e32 v21, 0
.LBB1144_186:
	s_or_b64 exec, exec, s[4:5]
.LBB1144_187:
	s_or_b64 exec, exec, s[6:7]
	v_or_b32_e32 v52, 0xa00, v0
	v_cmp_gt_u32_e64 s[12:13], s80, v52
                                        ; implicit-def: $vgpr22_vgpr23
	s_and_saveexec_b64 s[6:7], s[12:13]
	s_cbranch_execz .LBB1144_193
; %bb.188:
	v_mov_b32_e32 v23, s77
	v_add_co_u32_e32 v1, vcc, s76, v52
	v_addc_co_u32_e32 v24, vcc, 0, v23, vcc
	v_mov_b32_e32 v22, 0
	v_or_b32_e32 v23, s39, v24
	v_cmp_ne_u64_e32 vcc, 0, v[22:23]
                                        ; implicit-def: $vgpr22_vgpr23
	s_and_saveexec_b64 s[4:5], vcc
	s_xor_b64 s[8:9], exec, s[4:5]
	s_cbranch_execz .LBB1144_190
; %bb.189:
	s_ashr_i32 s10, s39, 31
	s_add_u32 s4, s38, s10
	s_mov_b32 s11, s10
	s_addc_u32 s5, s39, s10
	s_xor_b64 s[36:37], s[4:5], s[10:11]
	v_cvt_f32_u32_e32 v22, s36
	v_cvt_f32_u32_e32 v23, s37
	s_sub_u32 s4, 0, s36
	s_subb_u32 s5, 0, s37
	v_madmk_f32 v22, v23, 0x4f800000, v22
	v_rcp_f32_e32 v22, v22
	v_mul_f32_e32 v22, 0x5f7ffffc, v22
	v_mul_f32_e32 v23, 0x2f800000, v22
	v_trunc_f32_e32 v23, v23
	v_madmk_f32 v22, v23, 0xcf800000, v22
	v_cvt_u32_f32_e32 v23, v23
	v_cvt_u32_f32_e32 v22, v22
	v_mul_lo_u32 v25, s4, v23
	v_mul_hi_u32 v27, s4, v22
	v_mul_lo_u32 v26, s5, v22
	v_add_u32_e32 v25, v27, v25
	v_mul_lo_u32 v28, s4, v22
	v_add_u32_e32 v25, v25, v26
	v_mul_lo_u32 v27, v22, v25
	v_mul_hi_u32 v29, v22, v28
	v_mul_hi_u32 v26, v22, v25
	v_add_co_u32_e32 v27, vcc, v29, v27
	v_addc_co_u32_e32 v26, vcc, 0, v26, vcc
	v_mul_hi_u32 v30, v23, v28
	v_mul_lo_u32 v28, v23, v28
	v_add_co_u32_e32 v27, vcc, v27, v28
	v_mul_hi_u32 v29, v23, v25
	v_addc_co_u32_e32 v26, vcc, v26, v30, vcc
	v_addc_co_u32_e32 v27, vcc, 0, v29, vcc
	v_mul_lo_u32 v25, v23, v25
	v_add_co_u32_e32 v25, vcc, v26, v25
	v_addc_co_u32_e32 v26, vcc, 0, v27, vcc
	v_add_co_u32_e32 v22, vcc, v22, v25
	v_addc_co_u32_e32 v23, vcc, v23, v26, vcc
	v_mul_lo_u32 v25, s4, v23
	v_mul_hi_u32 v26, s4, v22
	v_add_u32_e32 v25, v26, v25
	v_mul_lo_u32 v26, s5, v22
	v_add_u32_e32 v25, v25, v26
	v_mul_lo_u32 v27, s4, v22
	v_mul_hi_u32 v28, v23, v27
	v_mul_lo_u32 v29, v23, v27
	v_mul_lo_u32 v31, v22, v25
	v_mul_hi_u32 v27, v22, v27
	v_mul_hi_u32 v30, v22, v25
	v_add_co_u32_e32 v27, vcc, v27, v31
	v_addc_co_u32_e32 v30, vcc, 0, v30, vcc
	v_add_co_u32_e32 v27, vcc, v27, v29
	v_mul_hi_u32 v26, v23, v25
	v_addc_co_u32_e32 v27, vcc, v30, v28, vcc
	v_addc_co_u32_e32 v26, vcc, 0, v26, vcc
	v_mul_lo_u32 v25, v23, v25
	v_add_co_u32_e32 v25, vcc, v27, v25
	v_addc_co_u32_e32 v26, vcc, 0, v26, vcc
	v_add_co_u32_e32 v25, vcc, v22, v25
	v_addc_co_u32_e32 v26, vcc, v23, v26, vcc
	v_ashrrev_i32_e32 v27, 31, v24
	v_add_co_u32_e32 v1, vcc, v1, v27
	v_addc_co_u32_e32 v22, vcc, v24, v27, vcc
	v_xor_b32_e32 v1, v1, v27
	v_xor_b32_e32 v28, v22, v27
	v_mad_u64_u32 v[22:23], s[4:5], v1, v26, 0
	v_mul_hi_u32 v24, v1, v25
	v_add_co_u32_e32 v29, vcc, v24, v22
	v_addc_co_u32_e32 v30, vcc, 0, v23, vcc
	v_mad_u64_u32 v[24:25], s[4:5], v28, v25, 0
	v_add_co_u32_e32 v24, vcc, v29, v24
	v_mad_u64_u32 v[22:23], s[4:5], v28, v26, 0
	v_addc_co_u32_e32 v24, vcc, v30, v25, vcc
	v_addc_co_u32_e32 v23, vcc, 0, v23, vcc
	v_add_co_u32_e32 v24, vcc, v24, v22
	v_addc_co_u32_e32 v25, vcc, 0, v23, vcc
	v_mul_lo_u32 v26, s37, v24
	v_mul_lo_u32 v29, s36, v25
	v_mad_u64_u32 v[22:23], s[4:5], s36, v24, 0
	v_add3_u32 v23, v23, v29, v26
	v_sub_u32_e32 v26, v28, v23
	v_mov_b32_e32 v29, s37
	v_sub_co_u32_e32 v1, vcc, v1, v22
	v_subb_co_u32_e64 v22, s[4:5], v26, v29, vcc
	v_subrev_co_u32_e64 v26, s[4:5], s36, v1
	v_subbrev_co_u32_e64 v22, s[4:5], 0, v22, s[4:5]
	v_cmp_le_u32_e64 s[4:5], s37, v22
	v_cndmask_b32_e64 v29, 0, -1, s[4:5]
	v_cmp_le_u32_e64 s[4:5], s36, v26
	v_cndmask_b32_e64 v26, 0, -1, s[4:5]
	v_cmp_eq_u32_e64 s[4:5], s37, v22
	v_cndmask_b32_e64 v22, v29, v26, s[4:5]
	v_add_co_u32_e64 v26, s[4:5], 2, v24
	v_subb_co_u32_e32 v23, vcc, v28, v23, vcc
	v_addc_co_u32_e64 v29, s[4:5], 0, v25, s[4:5]
	v_cmp_le_u32_e32 vcc, s37, v23
	v_add_co_u32_e64 v30, s[4:5], 1, v24
	v_cndmask_b32_e64 v28, 0, -1, vcc
	v_cmp_le_u32_e32 vcc, s36, v1
	v_addc_co_u32_e64 v31, s[4:5], 0, v25, s[4:5]
	v_cndmask_b32_e64 v1, 0, -1, vcc
	v_cmp_eq_u32_e32 vcc, s37, v23
	v_cmp_ne_u32_e64 s[4:5], 0, v22
	v_cndmask_b32_e32 v1, v28, v1, vcc
	v_cndmask_b32_e64 v22, v31, v29, s[4:5]
	v_cmp_ne_u32_e32 vcc, 0, v1
	v_cndmask_b32_e32 v1, v25, v22, vcc
	v_cndmask_b32_e64 v22, v30, v26, s[4:5]
	v_cndmask_b32_e32 v22, v24, v22, vcc
	v_xor_b32_e32 v23, s10, v27
	v_xor_b32_e32 v22, v22, v23
	;; [unrolled: 1-line block ×3, first 2 shown]
	v_sub_co_u32_e32 v22, vcc, v22, v23
	v_subb_co_u32_e32 v23, vcc, v1, v23, vcc
                                        ; implicit-def: $vgpr1
.LBB1144_190:
	s_andn2_saveexec_b64 s[4:5], s[8:9]
	s_cbranch_execz .LBB1144_192
; %bb.191:
	v_cvt_f32_u32_e32 v22, s38
	s_sub_i32 s8, 0, s38
	v_rcp_iflag_f32_e32 v22, v22
	v_mul_f32_e32 v22, 0x4f7ffffe, v22
	v_cvt_u32_f32_e32 v22, v22
	v_mul_lo_u32 v23, s8, v22
	v_mul_hi_u32 v23, v22, v23
	v_add_u32_e32 v22, v22, v23
	v_mul_hi_u32 v22, v1, v22
	v_mul_lo_u32 v23, v22, s38
	v_sub_u32_e32 v1, v1, v23
	v_add_u32_e32 v24, 1, v22
	v_subrev_u32_e32 v23, s38, v1
	v_cmp_le_u32_e32 vcc, s38, v1
	v_cndmask_b32_e32 v1, v1, v23, vcc
	v_cndmask_b32_e32 v22, v22, v24, vcc
	v_add_u32_e32 v23, 1, v22
	v_cmp_le_u32_e32 vcc, s38, v1
	v_cndmask_b32_e32 v22, v22, v23, vcc
	v_mov_b32_e32 v23, 0
.LBB1144_192:
	s_or_b64 exec, exec, s[4:5]
.LBB1144_193:
	s_or_b64 exec, exec, s[6:7]
	v_or_b32_e32 v54, 0xb00, v0
	v_cmp_gt_u32_e64 s[10:11], s80, v54
                                        ; implicit-def: $vgpr24_vgpr25
	s_and_saveexec_b64 s[6:7], s[10:11]
	s_cbranch_execz .LBB1144_199
; %bb.194:
	v_mov_b32_e32 v25, s77
	v_add_co_u32_e32 v1, vcc, s76, v54
	v_addc_co_u32_e32 v26, vcc, 0, v25, vcc
	v_mov_b32_e32 v24, 0
	v_or_b32_e32 v25, s39, v26
	v_cmp_ne_u64_e32 vcc, 0, v[24:25]
                                        ; implicit-def: $vgpr24_vgpr25
	s_and_saveexec_b64 s[4:5], vcc
	s_xor_b64 s[8:9], exec, s[4:5]
	s_cbranch_execz .LBB1144_196
; %bb.195:
	s_ashr_i32 s36, s39, 31
	s_add_u32 s4, s38, s36
	s_mov_b32 s37, s36
	s_addc_u32 s5, s39, s36
	s_xor_b64 s[62:63], s[4:5], s[36:37]
	v_cvt_f32_u32_e32 v24, s62
	v_cvt_f32_u32_e32 v25, s63
	s_sub_u32 s4, 0, s62
	s_subb_u32 s5, 0, s63
	v_madmk_f32 v24, v25, 0x4f800000, v24
	v_rcp_f32_e32 v24, v24
	v_mul_f32_e32 v24, 0x5f7ffffc, v24
	v_mul_f32_e32 v25, 0x2f800000, v24
	v_trunc_f32_e32 v25, v25
	v_madmk_f32 v24, v25, 0xcf800000, v24
	v_cvt_u32_f32_e32 v25, v25
	v_cvt_u32_f32_e32 v24, v24
	v_mul_lo_u32 v27, s4, v25
	v_mul_hi_u32 v29, s4, v24
	v_mul_lo_u32 v28, s5, v24
	v_add_u32_e32 v27, v29, v27
	v_mul_lo_u32 v30, s4, v24
	v_add_u32_e32 v27, v27, v28
	v_mul_lo_u32 v29, v24, v27
	v_mul_hi_u32 v31, v24, v30
	v_mul_hi_u32 v28, v24, v27
	v_add_co_u32_e32 v29, vcc, v31, v29
	v_addc_co_u32_e32 v28, vcc, 0, v28, vcc
	v_mul_hi_u32 v32, v25, v30
	v_mul_lo_u32 v30, v25, v30
	v_add_co_u32_e32 v29, vcc, v29, v30
	v_mul_hi_u32 v31, v25, v27
	v_addc_co_u32_e32 v28, vcc, v28, v32, vcc
	v_addc_co_u32_e32 v29, vcc, 0, v31, vcc
	v_mul_lo_u32 v27, v25, v27
	v_add_co_u32_e32 v27, vcc, v28, v27
	v_addc_co_u32_e32 v28, vcc, 0, v29, vcc
	v_add_co_u32_e32 v24, vcc, v24, v27
	v_addc_co_u32_e32 v25, vcc, v25, v28, vcc
	v_mul_lo_u32 v27, s4, v25
	v_mul_hi_u32 v28, s4, v24
	v_add_u32_e32 v27, v28, v27
	v_mul_lo_u32 v28, s5, v24
	v_add_u32_e32 v27, v27, v28
	v_mul_lo_u32 v29, s4, v24
	v_mul_hi_u32 v30, v25, v29
	v_mul_lo_u32 v31, v25, v29
	v_mul_lo_u32 v33, v24, v27
	v_mul_hi_u32 v29, v24, v29
	v_mul_hi_u32 v32, v24, v27
	v_add_co_u32_e32 v29, vcc, v29, v33
	v_addc_co_u32_e32 v32, vcc, 0, v32, vcc
	v_add_co_u32_e32 v29, vcc, v29, v31
	v_mul_hi_u32 v28, v25, v27
	v_addc_co_u32_e32 v29, vcc, v32, v30, vcc
	v_addc_co_u32_e32 v28, vcc, 0, v28, vcc
	v_mul_lo_u32 v27, v25, v27
	v_add_co_u32_e32 v27, vcc, v29, v27
	v_addc_co_u32_e32 v28, vcc, 0, v28, vcc
	v_add_co_u32_e32 v27, vcc, v24, v27
	v_addc_co_u32_e32 v28, vcc, v25, v28, vcc
	v_ashrrev_i32_e32 v29, 31, v26
	v_add_co_u32_e32 v1, vcc, v1, v29
	v_addc_co_u32_e32 v24, vcc, v26, v29, vcc
	v_xor_b32_e32 v1, v1, v29
	v_xor_b32_e32 v30, v24, v29
	v_mad_u64_u32 v[24:25], s[4:5], v1, v28, 0
	v_mul_hi_u32 v26, v1, v27
	v_add_co_u32_e32 v31, vcc, v26, v24
	v_addc_co_u32_e32 v32, vcc, 0, v25, vcc
	v_mad_u64_u32 v[26:27], s[4:5], v30, v27, 0
	v_add_co_u32_e32 v26, vcc, v31, v26
	v_mad_u64_u32 v[24:25], s[4:5], v30, v28, 0
	v_addc_co_u32_e32 v26, vcc, v32, v27, vcc
	v_addc_co_u32_e32 v25, vcc, 0, v25, vcc
	v_add_co_u32_e32 v26, vcc, v26, v24
	v_addc_co_u32_e32 v27, vcc, 0, v25, vcc
	v_mul_lo_u32 v28, s63, v26
	v_mul_lo_u32 v31, s62, v27
	v_mad_u64_u32 v[24:25], s[4:5], s62, v26, 0
	v_add3_u32 v25, v25, v31, v28
	v_sub_u32_e32 v28, v30, v25
	v_mov_b32_e32 v31, s63
	v_sub_co_u32_e32 v1, vcc, v1, v24
	v_subb_co_u32_e64 v24, s[4:5], v28, v31, vcc
	v_subrev_co_u32_e64 v28, s[4:5], s62, v1
	v_subbrev_co_u32_e64 v24, s[4:5], 0, v24, s[4:5]
	v_cmp_le_u32_e64 s[4:5], s63, v24
	v_cndmask_b32_e64 v31, 0, -1, s[4:5]
	v_cmp_le_u32_e64 s[4:5], s62, v28
	v_cndmask_b32_e64 v28, 0, -1, s[4:5]
	v_cmp_eq_u32_e64 s[4:5], s63, v24
	v_cndmask_b32_e64 v24, v31, v28, s[4:5]
	v_add_co_u32_e64 v28, s[4:5], 2, v26
	v_subb_co_u32_e32 v25, vcc, v30, v25, vcc
	v_addc_co_u32_e64 v31, s[4:5], 0, v27, s[4:5]
	v_cmp_le_u32_e32 vcc, s63, v25
	v_add_co_u32_e64 v32, s[4:5], 1, v26
	v_cndmask_b32_e64 v30, 0, -1, vcc
	v_cmp_le_u32_e32 vcc, s62, v1
	v_addc_co_u32_e64 v33, s[4:5], 0, v27, s[4:5]
	v_cndmask_b32_e64 v1, 0, -1, vcc
	v_cmp_eq_u32_e32 vcc, s63, v25
	v_cmp_ne_u32_e64 s[4:5], 0, v24
	v_cndmask_b32_e32 v1, v30, v1, vcc
	v_cndmask_b32_e64 v24, v33, v31, s[4:5]
	v_cmp_ne_u32_e32 vcc, 0, v1
	v_cndmask_b32_e32 v1, v27, v24, vcc
	v_cndmask_b32_e64 v24, v32, v28, s[4:5]
	v_cndmask_b32_e32 v24, v26, v24, vcc
	v_xor_b32_e32 v25, s36, v29
	v_xor_b32_e32 v24, v24, v25
	;; [unrolled: 1-line block ×3, first 2 shown]
	v_sub_co_u32_e32 v24, vcc, v24, v25
	v_subb_co_u32_e32 v25, vcc, v1, v25, vcc
                                        ; implicit-def: $vgpr1
.LBB1144_196:
	s_andn2_saveexec_b64 s[4:5], s[8:9]
	s_cbranch_execz .LBB1144_198
; %bb.197:
	v_cvt_f32_u32_e32 v24, s38
	s_sub_i32 s8, 0, s38
	v_rcp_iflag_f32_e32 v24, v24
	v_mul_f32_e32 v24, 0x4f7ffffe, v24
	v_cvt_u32_f32_e32 v24, v24
	v_mul_lo_u32 v25, s8, v24
	v_mul_hi_u32 v25, v24, v25
	v_add_u32_e32 v24, v24, v25
	v_mul_hi_u32 v24, v1, v24
	v_mul_lo_u32 v25, v24, s38
	v_sub_u32_e32 v1, v1, v25
	v_add_u32_e32 v26, 1, v24
	v_subrev_u32_e32 v25, s38, v1
	v_cmp_le_u32_e32 vcc, s38, v1
	v_cndmask_b32_e32 v1, v1, v25, vcc
	v_cndmask_b32_e32 v24, v24, v26, vcc
	v_add_u32_e32 v25, 1, v24
	v_cmp_le_u32_e32 vcc, s38, v1
	v_cndmask_b32_e32 v24, v24, v25, vcc
	v_mov_b32_e32 v25, 0
.LBB1144_198:
	s_or_b64 exec, exec, s[4:5]
.LBB1144_199:
	s_or_b64 exec, exec, s[6:7]
	v_or_b32_e32 v56, 0xc00, v0
	v_cmp_gt_u32_e64 s[8:9], s80, v56
                                        ; implicit-def: $vgpr26_vgpr27
	s_and_saveexec_b64 s[6:7], s[8:9]
	s_cbranch_execz .LBB1144_205
; %bb.200:
	v_mov_b32_e32 v27, s77
	v_add_co_u32_e32 v1, vcc, s76, v56
	v_addc_co_u32_e32 v28, vcc, 0, v27, vcc
	v_mov_b32_e32 v26, 0
	v_or_b32_e32 v27, s39, v28
	v_cmp_ne_u64_e32 vcc, 0, v[26:27]
                                        ; implicit-def: $vgpr26_vgpr27
	s_and_saveexec_b64 s[4:5], vcc
	s_xor_b64 s[36:37], exec, s[4:5]
	s_cbranch_execz .LBB1144_202
; %bb.201:
	s_ashr_i32 s62, s39, 31
	s_add_u32 s4, s38, s62
	s_mov_b32 s63, s62
	s_addc_u32 s5, s39, s62
	s_xor_b64 s[70:71], s[4:5], s[62:63]
	v_cvt_f32_u32_e32 v26, s70
	v_cvt_f32_u32_e32 v27, s71
	s_sub_u32 s4, 0, s70
	s_subb_u32 s5, 0, s71
	v_madmk_f32 v26, v27, 0x4f800000, v26
	v_rcp_f32_e32 v26, v26
	v_mul_f32_e32 v26, 0x5f7ffffc, v26
	v_mul_f32_e32 v27, 0x2f800000, v26
	v_trunc_f32_e32 v27, v27
	v_madmk_f32 v26, v27, 0xcf800000, v26
	v_cvt_u32_f32_e32 v27, v27
	v_cvt_u32_f32_e32 v26, v26
	v_mul_lo_u32 v29, s4, v27
	v_mul_hi_u32 v31, s4, v26
	v_mul_lo_u32 v30, s5, v26
	v_add_u32_e32 v29, v31, v29
	v_mul_lo_u32 v32, s4, v26
	v_add_u32_e32 v29, v29, v30
	v_mul_lo_u32 v31, v26, v29
	v_mul_hi_u32 v33, v26, v32
	v_mul_hi_u32 v30, v26, v29
	v_add_co_u32_e32 v31, vcc, v33, v31
	v_addc_co_u32_e32 v30, vcc, 0, v30, vcc
	v_mul_hi_u32 v35, v27, v32
	v_mul_lo_u32 v32, v27, v32
	v_add_co_u32_e32 v31, vcc, v31, v32
	v_mul_hi_u32 v33, v27, v29
	v_addc_co_u32_e32 v30, vcc, v30, v35, vcc
	v_addc_co_u32_e32 v31, vcc, 0, v33, vcc
	v_mul_lo_u32 v29, v27, v29
	v_add_co_u32_e32 v29, vcc, v30, v29
	v_addc_co_u32_e32 v30, vcc, 0, v31, vcc
	v_add_co_u32_e32 v26, vcc, v26, v29
	v_addc_co_u32_e32 v27, vcc, v27, v30, vcc
	v_mul_lo_u32 v29, s4, v27
	v_mul_hi_u32 v30, s4, v26
	v_add_u32_e32 v29, v30, v29
	v_mul_lo_u32 v30, s5, v26
	v_add_u32_e32 v29, v29, v30
	v_mul_lo_u32 v31, s4, v26
	v_mul_hi_u32 v32, v27, v31
	v_mul_lo_u32 v33, v27, v31
	v_mul_lo_u32 v37, v26, v29
	v_mul_hi_u32 v31, v26, v31
	v_mul_hi_u32 v35, v26, v29
	v_add_co_u32_e32 v31, vcc, v31, v37
	v_addc_co_u32_e32 v35, vcc, 0, v35, vcc
	v_add_co_u32_e32 v31, vcc, v31, v33
	v_mul_hi_u32 v30, v27, v29
	v_addc_co_u32_e32 v31, vcc, v35, v32, vcc
	v_addc_co_u32_e32 v30, vcc, 0, v30, vcc
	v_mul_lo_u32 v29, v27, v29
	v_add_co_u32_e32 v29, vcc, v31, v29
	v_addc_co_u32_e32 v30, vcc, 0, v30, vcc
	v_add_co_u32_e32 v29, vcc, v26, v29
	v_addc_co_u32_e32 v30, vcc, v27, v30, vcc
	v_ashrrev_i32_e32 v31, 31, v28
	v_add_co_u32_e32 v1, vcc, v1, v31
	v_addc_co_u32_e32 v26, vcc, v28, v31, vcc
	v_xor_b32_e32 v1, v1, v31
	v_xor_b32_e32 v32, v26, v31
	v_mad_u64_u32 v[26:27], s[4:5], v1, v30, 0
	v_mul_hi_u32 v28, v1, v29
	v_add_co_u32_e32 v33, vcc, v28, v26
	v_addc_co_u32_e32 v35, vcc, 0, v27, vcc
	v_mad_u64_u32 v[28:29], s[4:5], v32, v29, 0
	v_add_co_u32_e32 v28, vcc, v33, v28
	v_mad_u64_u32 v[26:27], s[4:5], v32, v30, 0
	v_addc_co_u32_e32 v28, vcc, v35, v29, vcc
	v_addc_co_u32_e32 v27, vcc, 0, v27, vcc
	v_add_co_u32_e32 v28, vcc, v28, v26
	v_addc_co_u32_e32 v29, vcc, 0, v27, vcc
	v_mul_lo_u32 v30, s71, v28
	v_mul_lo_u32 v33, s70, v29
	v_mad_u64_u32 v[26:27], s[4:5], s70, v28, 0
	v_add3_u32 v27, v27, v33, v30
	v_sub_u32_e32 v30, v32, v27
	v_mov_b32_e32 v33, s71
	v_sub_co_u32_e32 v1, vcc, v1, v26
	v_subb_co_u32_e64 v26, s[4:5], v30, v33, vcc
	v_subrev_co_u32_e64 v30, s[4:5], s70, v1
	v_subbrev_co_u32_e64 v26, s[4:5], 0, v26, s[4:5]
	v_cmp_le_u32_e64 s[4:5], s71, v26
	v_cndmask_b32_e64 v33, 0, -1, s[4:5]
	v_cmp_le_u32_e64 s[4:5], s70, v30
	v_cndmask_b32_e64 v30, 0, -1, s[4:5]
	v_cmp_eq_u32_e64 s[4:5], s71, v26
	v_cndmask_b32_e64 v26, v33, v30, s[4:5]
	v_add_co_u32_e64 v30, s[4:5], 2, v28
	v_subb_co_u32_e32 v27, vcc, v32, v27, vcc
	v_addc_co_u32_e64 v33, s[4:5], 0, v29, s[4:5]
	v_cmp_le_u32_e32 vcc, s71, v27
	v_add_co_u32_e64 v35, s[4:5], 1, v28
	v_cndmask_b32_e64 v32, 0, -1, vcc
	v_cmp_le_u32_e32 vcc, s70, v1
	v_addc_co_u32_e64 v37, s[4:5], 0, v29, s[4:5]
	v_cndmask_b32_e64 v1, 0, -1, vcc
	v_cmp_eq_u32_e32 vcc, s71, v27
	v_cmp_ne_u32_e64 s[4:5], 0, v26
	v_cndmask_b32_e32 v1, v32, v1, vcc
	v_cndmask_b32_e64 v26, v37, v33, s[4:5]
	v_cmp_ne_u32_e32 vcc, 0, v1
	v_cndmask_b32_e32 v1, v29, v26, vcc
	v_cndmask_b32_e64 v26, v35, v30, s[4:5]
	v_cndmask_b32_e32 v26, v28, v26, vcc
	v_xor_b32_e32 v27, s62, v31
	v_xor_b32_e32 v26, v26, v27
	;; [unrolled: 1-line block ×3, first 2 shown]
	v_sub_co_u32_e32 v26, vcc, v26, v27
	v_subb_co_u32_e32 v27, vcc, v1, v27, vcc
                                        ; implicit-def: $vgpr1
.LBB1144_202:
	s_andn2_saveexec_b64 s[4:5], s[36:37]
	s_cbranch_execz .LBB1144_204
; %bb.203:
	v_cvt_f32_u32_e32 v26, s38
	s_sub_i32 s36, 0, s38
	v_rcp_iflag_f32_e32 v26, v26
	v_mul_f32_e32 v26, 0x4f7ffffe, v26
	v_cvt_u32_f32_e32 v26, v26
	v_mul_lo_u32 v27, s36, v26
	v_mul_hi_u32 v27, v26, v27
	v_add_u32_e32 v26, v26, v27
	v_mul_hi_u32 v26, v1, v26
	v_mul_lo_u32 v27, v26, s38
	v_sub_u32_e32 v1, v1, v27
	v_add_u32_e32 v28, 1, v26
	v_subrev_u32_e32 v27, s38, v1
	v_cmp_le_u32_e32 vcc, s38, v1
	v_cndmask_b32_e32 v1, v1, v27, vcc
	v_cndmask_b32_e32 v26, v26, v28, vcc
	v_add_u32_e32 v27, 1, v26
	v_cmp_le_u32_e32 vcc, s38, v1
	v_cndmask_b32_e32 v26, v26, v27, vcc
	v_mov_b32_e32 v27, 0
.LBB1144_204:
	s_or_b64 exec, exec, s[4:5]
.LBB1144_205:
	s_or_b64 exec, exec, s[6:7]
	v_or_b32_e32 v58, 0xd00, v0
	v_cmp_gt_u32_e64 s[6:7], s80, v58
                                        ; implicit-def: $vgpr28_vgpr29
	s_and_saveexec_b64 s[36:37], s[6:7]
	s_cbranch_execz .LBB1144_211
; %bb.206:
	v_mov_b32_e32 v29, s77
	v_add_co_u32_e32 v1, vcc, s76, v58
	v_addc_co_u32_e32 v30, vcc, 0, v29, vcc
	v_mov_b32_e32 v28, 0
	v_or_b32_e32 v29, s39, v30
	v_cmp_ne_u64_e32 vcc, 0, v[28:29]
                                        ; implicit-def: $vgpr28_vgpr29
	s_and_saveexec_b64 s[4:5], vcc
	s_xor_b64 s[62:63], exec, s[4:5]
	s_cbranch_execz .LBB1144_208
; %bb.207:
	s_ashr_i32 s70, s39, 31
	s_add_u32 s4, s38, s70
	s_mov_b32 s71, s70
	s_addc_u32 s5, s39, s70
	s_xor_b64 s[72:73], s[4:5], s[70:71]
	v_cvt_f32_u32_e32 v28, s72
	v_cvt_f32_u32_e32 v29, s73
	s_sub_u32 s4, 0, s72
	s_subb_u32 s5, 0, s73
	v_madmk_f32 v28, v29, 0x4f800000, v28
	v_rcp_f32_e32 v28, v28
	v_mul_f32_e32 v28, 0x5f7ffffc, v28
	v_mul_f32_e32 v29, 0x2f800000, v28
	v_trunc_f32_e32 v29, v29
	v_madmk_f32 v28, v29, 0xcf800000, v28
	v_cvt_u32_f32_e32 v29, v29
	v_cvt_u32_f32_e32 v28, v28
	v_mul_lo_u32 v31, s4, v29
	v_mul_hi_u32 v33, s4, v28
	v_mul_lo_u32 v32, s5, v28
	v_add_u32_e32 v31, v33, v31
	v_mul_lo_u32 v35, s4, v28
	v_add_u32_e32 v31, v31, v32
	v_mul_lo_u32 v33, v28, v31
	v_mul_hi_u32 v37, v28, v35
	v_mul_hi_u32 v32, v28, v31
	v_add_co_u32_e32 v33, vcc, v37, v33
	v_addc_co_u32_e32 v32, vcc, 0, v32, vcc
	v_mul_hi_u32 v39, v29, v35
	v_mul_lo_u32 v35, v29, v35
	v_add_co_u32_e32 v33, vcc, v33, v35
	v_mul_hi_u32 v37, v29, v31
	v_addc_co_u32_e32 v32, vcc, v32, v39, vcc
	v_addc_co_u32_e32 v33, vcc, 0, v37, vcc
	v_mul_lo_u32 v31, v29, v31
	v_add_co_u32_e32 v31, vcc, v32, v31
	v_addc_co_u32_e32 v32, vcc, 0, v33, vcc
	v_add_co_u32_e32 v28, vcc, v28, v31
	v_addc_co_u32_e32 v29, vcc, v29, v32, vcc
	v_mul_lo_u32 v31, s4, v29
	v_mul_hi_u32 v32, s4, v28
	v_add_u32_e32 v31, v32, v31
	v_mul_lo_u32 v32, s5, v28
	v_add_u32_e32 v31, v31, v32
	v_mul_lo_u32 v33, s4, v28
	v_mul_hi_u32 v35, v29, v33
	v_mul_lo_u32 v37, v29, v33
	v_mul_lo_u32 v41, v28, v31
	v_mul_hi_u32 v33, v28, v33
	v_mul_hi_u32 v39, v28, v31
	v_add_co_u32_e32 v33, vcc, v33, v41
	v_addc_co_u32_e32 v39, vcc, 0, v39, vcc
	v_add_co_u32_e32 v33, vcc, v33, v37
	v_mul_hi_u32 v32, v29, v31
	v_addc_co_u32_e32 v33, vcc, v39, v35, vcc
	v_addc_co_u32_e32 v32, vcc, 0, v32, vcc
	v_mul_lo_u32 v31, v29, v31
	v_add_co_u32_e32 v31, vcc, v33, v31
	v_addc_co_u32_e32 v32, vcc, 0, v32, vcc
	v_add_co_u32_e32 v31, vcc, v28, v31
	v_addc_co_u32_e32 v32, vcc, v29, v32, vcc
	v_ashrrev_i32_e32 v33, 31, v30
	v_add_co_u32_e32 v1, vcc, v1, v33
	v_addc_co_u32_e32 v28, vcc, v30, v33, vcc
	v_xor_b32_e32 v1, v1, v33
	v_xor_b32_e32 v35, v28, v33
	v_mad_u64_u32 v[28:29], s[4:5], v1, v32, 0
	v_mul_hi_u32 v30, v1, v31
	v_add_co_u32_e32 v37, vcc, v30, v28
	v_addc_co_u32_e32 v39, vcc, 0, v29, vcc
	v_mad_u64_u32 v[30:31], s[4:5], v35, v31, 0
	v_add_co_u32_e32 v30, vcc, v37, v30
	v_mad_u64_u32 v[28:29], s[4:5], v35, v32, 0
	v_addc_co_u32_e32 v30, vcc, v39, v31, vcc
	v_addc_co_u32_e32 v29, vcc, 0, v29, vcc
	v_add_co_u32_e32 v30, vcc, v30, v28
	v_addc_co_u32_e32 v31, vcc, 0, v29, vcc
	v_mul_lo_u32 v32, s73, v30
	v_mul_lo_u32 v37, s72, v31
	v_mad_u64_u32 v[28:29], s[4:5], s72, v30, 0
	v_add3_u32 v29, v29, v37, v32
	v_sub_u32_e32 v32, v35, v29
	v_mov_b32_e32 v37, s73
	v_sub_co_u32_e32 v1, vcc, v1, v28
	v_subb_co_u32_e64 v28, s[4:5], v32, v37, vcc
	v_subrev_co_u32_e64 v32, s[4:5], s72, v1
	v_subbrev_co_u32_e64 v28, s[4:5], 0, v28, s[4:5]
	v_cmp_le_u32_e64 s[4:5], s73, v28
	v_cndmask_b32_e64 v37, 0, -1, s[4:5]
	v_cmp_le_u32_e64 s[4:5], s72, v32
	v_cndmask_b32_e64 v32, 0, -1, s[4:5]
	v_cmp_eq_u32_e64 s[4:5], s73, v28
	v_cndmask_b32_e64 v28, v37, v32, s[4:5]
	v_add_co_u32_e64 v32, s[4:5], 2, v30
	v_subb_co_u32_e32 v29, vcc, v35, v29, vcc
	v_addc_co_u32_e64 v37, s[4:5], 0, v31, s[4:5]
	v_cmp_le_u32_e32 vcc, s73, v29
	v_add_co_u32_e64 v39, s[4:5], 1, v30
	v_cndmask_b32_e64 v35, 0, -1, vcc
	v_cmp_le_u32_e32 vcc, s72, v1
	v_addc_co_u32_e64 v41, s[4:5], 0, v31, s[4:5]
	v_cndmask_b32_e64 v1, 0, -1, vcc
	v_cmp_eq_u32_e32 vcc, s73, v29
	v_cmp_ne_u32_e64 s[4:5], 0, v28
	v_cndmask_b32_e32 v1, v35, v1, vcc
	v_cndmask_b32_e64 v28, v41, v37, s[4:5]
	v_cmp_ne_u32_e32 vcc, 0, v1
	v_cndmask_b32_e32 v1, v31, v28, vcc
	v_cndmask_b32_e64 v28, v39, v32, s[4:5]
	v_cndmask_b32_e32 v28, v30, v28, vcc
	v_xor_b32_e32 v29, s70, v33
	v_xor_b32_e32 v28, v28, v29
	;; [unrolled: 1-line block ×3, first 2 shown]
	v_sub_co_u32_e32 v28, vcc, v28, v29
	v_subb_co_u32_e32 v29, vcc, v1, v29, vcc
                                        ; implicit-def: $vgpr1
.LBB1144_208:
	s_andn2_saveexec_b64 s[4:5], s[62:63]
	s_cbranch_execz .LBB1144_210
; %bb.209:
	v_cvt_f32_u32_e32 v28, s38
	s_sub_i32 s62, 0, s38
	v_rcp_iflag_f32_e32 v28, v28
	v_mul_f32_e32 v28, 0x4f7ffffe, v28
	v_cvt_u32_f32_e32 v28, v28
	v_mul_lo_u32 v29, s62, v28
	v_mul_hi_u32 v29, v28, v29
	v_add_u32_e32 v28, v28, v29
	v_mul_hi_u32 v28, v1, v28
	v_mul_lo_u32 v29, v28, s38
	v_sub_u32_e32 v1, v1, v29
	v_add_u32_e32 v30, 1, v28
	v_subrev_u32_e32 v29, s38, v1
	v_cmp_le_u32_e32 vcc, s38, v1
	v_cndmask_b32_e32 v1, v1, v29, vcc
	v_cndmask_b32_e32 v28, v28, v30, vcc
	v_add_u32_e32 v29, 1, v28
	v_cmp_le_u32_e32 vcc, s38, v1
	v_cndmask_b32_e32 v28, v28, v29, vcc
	v_mov_b32_e32 v29, 0
.LBB1144_210:
	s_or_b64 exec, exec, s[4:5]
.LBB1144_211:
	s_or_b64 exec, exec, s[36:37]
	v_or_b32_e32 v60, 0xe00, v0
	v_cmp_gt_u32_e64 s[4:5], s80, v60
                                        ; implicit-def: $vgpr30_vgpr31
	s_and_saveexec_b64 s[62:63], s[4:5]
	s_cbranch_execz .LBB1144_217
; %bb.212:
	v_mov_b32_e32 v31, s77
	v_add_co_u32_e32 v1, vcc, s76, v60
	v_addc_co_u32_e32 v32, vcc, 0, v31, vcc
	v_mov_b32_e32 v30, 0
	v_or_b32_e32 v31, s39, v32
	v_cmp_ne_u64_e32 vcc, 0, v[30:31]
                                        ; implicit-def: $vgpr30_vgpr31
	s_and_saveexec_b64 s[36:37], vcc
	s_xor_b64 s[70:71], exec, s[36:37]
	s_cbranch_execz .LBB1144_214
; %bb.213:
	s_ashr_i32 s72, s39, 31
	s_add_u32 s36, s38, s72
	s_mov_b32 s73, s72
	s_addc_u32 s37, s39, s72
	s_xor_b64 s[74:75], s[36:37], s[72:73]
	v_cvt_f32_u32_e32 v30, s74
	v_cvt_f32_u32_e32 v31, s75
	s_sub_u32 s36, 0, s74
	s_subb_u32 s37, 0, s75
	v_madmk_f32 v30, v31, 0x4f800000, v30
	v_rcp_f32_e32 v30, v30
	v_mul_f32_e32 v30, 0x5f7ffffc, v30
	v_mul_f32_e32 v31, 0x2f800000, v30
	v_trunc_f32_e32 v31, v31
	v_madmk_f32 v30, v31, 0xcf800000, v30
	v_cvt_u32_f32_e32 v31, v31
	v_cvt_u32_f32_e32 v30, v30
	v_mul_lo_u32 v33, s36, v31
	v_mul_hi_u32 v37, s36, v30
	v_mul_lo_u32 v35, s37, v30
	v_add_u32_e32 v33, v37, v33
	v_mul_lo_u32 v39, s36, v30
	v_add_u32_e32 v33, v33, v35
	v_mul_lo_u32 v37, v30, v33
	v_mul_hi_u32 v41, v30, v39
	v_mul_hi_u32 v35, v30, v33
	v_add_co_u32_e32 v37, vcc, v41, v37
	v_addc_co_u32_e32 v35, vcc, 0, v35, vcc
	v_mul_hi_u32 v43, v31, v39
	v_mul_lo_u32 v39, v31, v39
	v_add_co_u32_e32 v37, vcc, v37, v39
	v_mul_hi_u32 v41, v31, v33
	v_addc_co_u32_e32 v35, vcc, v35, v43, vcc
	v_addc_co_u32_e32 v37, vcc, 0, v41, vcc
	v_mul_lo_u32 v33, v31, v33
	v_add_co_u32_e32 v33, vcc, v35, v33
	v_addc_co_u32_e32 v35, vcc, 0, v37, vcc
	v_add_co_u32_e32 v30, vcc, v30, v33
	v_addc_co_u32_e32 v31, vcc, v31, v35, vcc
	v_mul_lo_u32 v33, s36, v31
	v_mul_hi_u32 v35, s36, v30
	v_add_u32_e32 v33, v35, v33
	v_mul_lo_u32 v35, s37, v30
	v_add_u32_e32 v33, v33, v35
	v_mul_lo_u32 v37, s36, v30
	v_mul_hi_u32 v39, v31, v37
	v_mul_lo_u32 v41, v31, v37
	v_mul_lo_u32 v45, v30, v33
	v_mul_hi_u32 v37, v30, v37
	v_mul_hi_u32 v43, v30, v33
	v_add_co_u32_e32 v37, vcc, v37, v45
	v_addc_co_u32_e32 v43, vcc, 0, v43, vcc
	v_add_co_u32_e32 v37, vcc, v37, v41
	v_mul_hi_u32 v35, v31, v33
	v_addc_co_u32_e32 v37, vcc, v43, v39, vcc
	v_addc_co_u32_e32 v35, vcc, 0, v35, vcc
	v_mul_lo_u32 v33, v31, v33
	v_add_co_u32_e32 v33, vcc, v37, v33
	v_addc_co_u32_e32 v35, vcc, 0, v35, vcc
	v_add_co_u32_e32 v33, vcc, v30, v33
	v_addc_co_u32_e32 v35, vcc, v31, v35, vcc
	v_ashrrev_i32_e32 v37, 31, v32
	v_add_co_u32_e32 v1, vcc, v1, v37
	v_addc_co_u32_e32 v30, vcc, v32, v37, vcc
	v_xor_b32_e32 v1, v1, v37
	v_xor_b32_e32 v39, v30, v37
	v_mad_u64_u32 v[30:31], s[36:37], v1, v35, 0
	v_mul_hi_u32 v32, v1, v33
	v_add_co_u32_e32 v41, vcc, v32, v30
	v_addc_co_u32_e32 v43, vcc, 0, v31, vcc
	v_mad_u64_u32 v[32:33], s[36:37], v39, v33, 0
	v_add_co_u32_e32 v32, vcc, v41, v32
	v_mad_u64_u32 v[30:31], s[36:37], v39, v35, 0
	v_addc_co_u32_e32 v32, vcc, v43, v33, vcc
	v_addc_co_u32_e32 v31, vcc, 0, v31, vcc
	v_add_co_u32_e32 v32, vcc, v32, v30
	v_addc_co_u32_e32 v33, vcc, 0, v31, vcc
	v_mul_lo_u32 v35, s75, v32
	v_mul_lo_u32 v41, s74, v33
	v_mad_u64_u32 v[30:31], s[36:37], s74, v32, 0
	v_add3_u32 v31, v31, v41, v35
	v_sub_u32_e32 v35, v39, v31
	v_mov_b32_e32 v41, s75
	v_sub_co_u32_e32 v1, vcc, v1, v30
	v_subb_co_u32_e64 v30, s[36:37], v35, v41, vcc
	v_subrev_co_u32_e64 v35, s[36:37], s74, v1
	v_subbrev_co_u32_e64 v30, s[36:37], 0, v30, s[36:37]
	v_cmp_le_u32_e64 s[36:37], s75, v30
	v_cndmask_b32_e64 v41, 0, -1, s[36:37]
	v_cmp_le_u32_e64 s[36:37], s74, v35
	v_cndmask_b32_e64 v35, 0, -1, s[36:37]
	v_cmp_eq_u32_e64 s[36:37], s75, v30
	v_cndmask_b32_e64 v30, v41, v35, s[36:37]
	v_add_co_u32_e64 v35, s[36:37], 2, v32
	v_subb_co_u32_e32 v31, vcc, v39, v31, vcc
	v_addc_co_u32_e64 v41, s[36:37], 0, v33, s[36:37]
	v_cmp_le_u32_e32 vcc, s75, v31
	v_add_co_u32_e64 v43, s[36:37], 1, v32
	v_cndmask_b32_e64 v39, 0, -1, vcc
	v_cmp_le_u32_e32 vcc, s74, v1
	v_addc_co_u32_e64 v45, s[36:37], 0, v33, s[36:37]
	v_cndmask_b32_e64 v1, 0, -1, vcc
	v_cmp_eq_u32_e32 vcc, s75, v31
	v_cmp_ne_u32_e64 s[36:37], 0, v30
	v_cndmask_b32_e32 v1, v39, v1, vcc
	v_cndmask_b32_e64 v30, v45, v41, s[36:37]
	v_cmp_ne_u32_e32 vcc, 0, v1
	v_cndmask_b32_e32 v1, v33, v30, vcc
	v_cndmask_b32_e64 v30, v43, v35, s[36:37]
	v_cndmask_b32_e32 v30, v32, v30, vcc
	v_xor_b32_e32 v31, s72, v37
	v_xor_b32_e32 v30, v30, v31
	;; [unrolled: 1-line block ×3, first 2 shown]
	v_sub_co_u32_e32 v30, vcc, v30, v31
	v_subb_co_u32_e32 v31, vcc, v1, v31, vcc
                                        ; implicit-def: $vgpr1
.LBB1144_214:
	s_andn2_saveexec_b64 s[36:37], s[70:71]
	s_cbranch_execz .LBB1144_216
; %bb.215:
	v_cvt_f32_u32_e32 v30, s38
	s_sub_i32 s70, 0, s38
	v_rcp_iflag_f32_e32 v30, v30
	v_mul_f32_e32 v30, 0x4f7ffffe, v30
	v_cvt_u32_f32_e32 v30, v30
	v_mul_lo_u32 v31, s70, v30
	v_mul_hi_u32 v31, v30, v31
	v_add_u32_e32 v30, v30, v31
	v_mul_hi_u32 v30, v1, v30
	v_mul_lo_u32 v31, v30, s38
	v_sub_u32_e32 v1, v1, v31
	v_add_u32_e32 v32, 1, v30
	v_subrev_u32_e32 v31, s38, v1
	v_cmp_le_u32_e32 vcc, s38, v1
	v_cndmask_b32_e32 v1, v1, v31, vcc
	v_cndmask_b32_e32 v30, v30, v32, vcc
	v_add_u32_e32 v31, 1, v30
	v_cmp_le_u32_e32 vcc, s38, v1
	v_cndmask_b32_e32 v30, v30, v31, vcc
	v_mov_b32_e32 v31, 0
.LBB1144_216:
	s_or_b64 exec, exec, s[36:37]
.LBB1144_217:
	s_or_b64 exec, exec, s[62:63]
	v_lshlrev_b32_e32 v1, 3, v0
	s_movk_i32 s36, 0x70
	v_mad_u32_u24 v76, v0, s36, v1
	ds_write2st64_b64 v1, v[2:3], v[4:5] offset1:4
	ds_write2st64_b64 v1, v[6:7], v[8:9] offset0:8 offset1:12
	ds_write2st64_b64 v1, v[10:11], v[12:13] offset0:16 offset1:20
	;; [unrolled: 1-line block ×6, first 2 shown]
	ds_write_b64 v1, v[30:31] offset:28672
	s_waitcnt lgkmcnt(0)
	s_barrier
	ds_read2_b64 v[26:29], v76 offset1:1
	ds_read2_b64 v[22:25], v76 offset0:2 offset1:3
	ds_read2_b64 v[18:21], v76 offset0:4 offset1:5
	ds_read2_b64 v[14:17], v76 offset0:6 offset1:7
	ds_read2_b64 v[10:13], v76 offset0:8 offset1:9
	ds_read2_b64 v[6:9], v76 offset0:10 offset1:11
	ds_read2_b64 v[2:5], v76 offset0:12 offset1:13
	ds_read_b64 v[74:75], v76 offset:112
	s_waitcnt lgkmcnt(0)
	s_barrier
	s_waitcnt lgkmcnt(0)
                                        ; implicit-def: $vgpr30_vgpr31
	s_and_saveexec_b64 s[36:37], s[34:35]
	s_cbranch_execnz .LBB1144_232
; %bb.218:
	s_or_b64 exec, exec, s[36:37]
                                        ; implicit-def: $vgpr32_vgpr33
	s_and_saveexec_b64 s[34:35], s[30:31]
	s_cbranch_execnz .LBB1144_237
.LBB1144_219:
	s_or_b64 exec, exec, s[34:35]
                                        ; implicit-def: $vgpr34_vgpr35
	s_and_saveexec_b64 s[30:31], s[28:29]
	s_cbranch_execnz .LBB1144_242
.LBB1144_220:
	s_or_b64 exec, exec, s[30:31]
                                        ; implicit-def: $vgpr36_vgpr37
	s_and_saveexec_b64 s[28:29], s[26:27]
	s_cbranch_execnz .LBB1144_247
.LBB1144_221:
	s_or_b64 exec, exec, s[28:29]
                                        ; implicit-def: $vgpr38_vgpr39
	s_and_saveexec_b64 s[26:27], s[24:25]
	s_cbranch_execnz .LBB1144_252
.LBB1144_222:
	s_or_b64 exec, exec, s[26:27]
                                        ; implicit-def: $vgpr40_vgpr41
	s_and_saveexec_b64 s[24:25], s[22:23]
	s_cbranch_execnz .LBB1144_257
.LBB1144_223:
	s_or_b64 exec, exec, s[24:25]
                                        ; implicit-def: $vgpr42_vgpr43
	s_and_saveexec_b64 s[22:23], s[20:21]
	s_cbranch_execnz .LBB1144_262
.LBB1144_224:
	s_or_b64 exec, exec, s[22:23]
                                        ; implicit-def: $vgpr44_vgpr45
	s_and_saveexec_b64 s[20:21], s[18:19]
	s_cbranch_execnz .LBB1144_267
.LBB1144_225:
	s_or_b64 exec, exec, s[20:21]
                                        ; implicit-def: $vgpr46_vgpr47
	s_and_saveexec_b64 s[18:19], s[16:17]
	s_cbranch_execnz .LBB1144_272
.LBB1144_226:
	s_or_b64 exec, exec, s[18:19]
                                        ; implicit-def: $vgpr48_vgpr49
	s_and_saveexec_b64 s[16:17], s[14:15]
	s_cbranch_execnz .LBB1144_277
.LBB1144_227:
	s_or_b64 exec, exec, s[16:17]
                                        ; implicit-def: $vgpr50_vgpr51
	s_and_saveexec_b64 s[14:15], s[12:13]
	s_cbranch_execnz .LBB1144_282
.LBB1144_228:
	s_or_b64 exec, exec, s[14:15]
                                        ; implicit-def: $vgpr52_vgpr53
	s_and_saveexec_b64 s[12:13], s[10:11]
	s_cbranch_execnz .LBB1144_287
.LBB1144_229:
	s_or_b64 exec, exec, s[12:13]
                                        ; implicit-def: $vgpr54_vgpr55
	s_and_saveexec_b64 s[10:11], s[8:9]
	s_cbranch_execnz .LBB1144_292
.LBB1144_230:
	s_or_b64 exec, exec, s[10:11]
                                        ; implicit-def: $vgpr56_vgpr57
	s_and_saveexec_b64 s[8:9], s[6:7]
	s_cbranch_execnz .LBB1144_297
.LBB1144_231:
	s_or_b64 exec, exec, s[8:9]
                                        ; implicit-def: $vgpr58_vgpr59
	s_and_saveexec_b64 s[6:7], s[4:5]
	s_cbranch_execnz .LBB1144_302
	s_branch .LBB1144_307
.LBB1144_232:
	v_mov_b32_e32 v31, s79
	v_add_co_u32_e32 v32, vcc, s78, v0
	v_addc_co_u32_e32 v33, vcc, 0, v31, vcc
	v_mov_b32_e32 v30, 0
	v_or_b32_e32 v31, s45, v33
	v_cmp_ne_u64_e32 vcc, 0, v[30:31]
                                        ; implicit-def: $vgpr30_vgpr31
	s_and_saveexec_b64 s[34:35], vcc
	s_xor_b64 s[62:63], exec, s[34:35]
	s_cbranch_execz .LBB1144_234
; %bb.233:
	s_ashr_i32 s70, s45, 31
	s_add_u32 s34, s44, s70
	s_mov_b32 s71, s70
	s_addc_u32 s35, s45, s70
	s_xor_b64 s[72:73], s[34:35], s[70:71]
	v_cvt_f32_u32_e32 v30, s72
	v_cvt_f32_u32_e32 v31, s73
	s_sub_u32 s34, 0, s72
	s_subb_u32 s35, 0, s73
	v_madmk_f32 v30, v31, 0x4f800000, v30
	v_rcp_f32_e32 v30, v30
	v_mul_f32_e32 v30, 0x5f7ffffc, v30
	v_mul_f32_e32 v31, 0x2f800000, v30
	v_trunc_f32_e32 v31, v31
	v_madmk_f32 v30, v31, 0xcf800000, v30
	v_cvt_u32_f32_e32 v31, v31
	v_cvt_u32_f32_e32 v30, v30
	v_mul_lo_u32 v35, s34, v31
	v_mul_hi_u32 v39, s34, v30
	v_mul_lo_u32 v37, s35, v30
	v_add_u32_e32 v35, v39, v35
	v_mul_lo_u32 v41, s34, v30
	v_add_u32_e32 v35, v35, v37
	v_mul_lo_u32 v39, v30, v35
	v_mul_hi_u32 v43, v30, v41
	v_mul_hi_u32 v37, v30, v35
	v_add_co_u32_e32 v39, vcc, v43, v39
	v_addc_co_u32_e32 v37, vcc, 0, v37, vcc
	v_mul_hi_u32 v45, v31, v41
	v_mul_lo_u32 v41, v31, v41
	v_add_co_u32_e32 v39, vcc, v39, v41
	v_mul_hi_u32 v43, v31, v35
	v_addc_co_u32_e32 v37, vcc, v37, v45, vcc
	v_addc_co_u32_e32 v39, vcc, 0, v43, vcc
	v_mul_lo_u32 v35, v31, v35
	v_add_co_u32_e32 v35, vcc, v37, v35
	v_addc_co_u32_e32 v37, vcc, 0, v39, vcc
	v_add_co_u32_e32 v30, vcc, v30, v35
	v_addc_co_u32_e32 v31, vcc, v31, v37, vcc
	v_mul_lo_u32 v35, s34, v31
	v_mul_hi_u32 v37, s34, v30
	v_add_u32_e32 v35, v37, v35
	v_mul_lo_u32 v37, s35, v30
	v_add_u32_e32 v35, v35, v37
	v_mul_lo_u32 v39, s34, v30
	v_mul_hi_u32 v41, v31, v39
	v_mul_lo_u32 v43, v31, v39
	v_mul_lo_u32 v47, v30, v35
	v_mul_hi_u32 v39, v30, v39
	v_mul_hi_u32 v45, v30, v35
	v_add_co_u32_e32 v39, vcc, v39, v47
	v_addc_co_u32_e32 v45, vcc, 0, v45, vcc
	v_add_co_u32_e32 v39, vcc, v39, v43
	v_mul_hi_u32 v37, v31, v35
	v_addc_co_u32_e32 v39, vcc, v45, v41, vcc
	v_addc_co_u32_e32 v37, vcc, 0, v37, vcc
	v_mul_lo_u32 v35, v31, v35
	v_add_co_u32_e32 v35, vcc, v39, v35
	v_addc_co_u32_e32 v37, vcc, 0, v37, vcc
	v_add_co_u32_e32 v35, vcc, v30, v35
	v_addc_co_u32_e32 v37, vcc, v31, v37, vcc
	v_ashrrev_i32_e32 v39, 31, v33
	v_add_co_u32_e32 v30, vcc, v32, v39
	v_addc_co_u32_e32 v31, vcc, v33, v39, vcc
	v_xor_b32_e32 v43, v30, v39
	v_xor_b32_e32 v41, v31, v39
	v_mad_u64_u32 v[30:31], s[34:35], v43, v37, 0
	v_mul_hi_u32 v45, v43, v35
	v_add_co_u32_e32 v45, vcc, v45, v30
	v_addc_co_u32_e32 v47, vcc, 0, v31, vcc
	v_mad_u64_u32 v[62:63], s[34:35], v41, v35, 0
	v_add_co_u32_e32 v35, vcc, v45, v62
	v_mad_u64_u32 v[30:31], s[34:35], v41, v37, 0
	v_addc_co_u32_e32 v35, vcc, v47, v63, vcc
	v_addc_co_u32_e32 v31, vcc, 0, v31, vcc
	v_add_co_u32_e32 v35, vcc, v35, v30
	v_addc_co_u32_e32 v37, vcc, 0, v31, vcc
	v_mul_lo_u32 v45, s73, v35
	v_mul_lo_u32 v47, s72, v37
	v_mad_u64_u32 v[30:31], s[34:35], s72, v35, 0
	v_add3_u32 v31, v31, v47, v45
	v_sub_u32_e32 v45, v41, v31
	v_mov_b32_e32 v47, s73
	v_sub_co_u32_e32 v30, vcc, v43, v30
	v_subb_co_u32_e64 v43, s[34:35], v45, v47, vcc
	v_subrev_co_u32_e64 v45, s[34:35], s72, v30
	v_subbrev_co_u32_e64 v43, s[34:35], 0, v43, s[34:35]
	v_cmp_le_u32_e64 s[34:35], s73, v43
	v_cndmask_b32_e64 v47, 0, -1, s[34:35]
	v_cmp_le_u32_e64 s[34:35], s72, v45
	v_cndmask_b32_e64 v45, 0, -1, s[34:35]
	v_cmp_eq_u32_e64 s[34:35], s73, v43
	v_cndmask_b32_e64 v43, v47, v45, s[34:35]
	v_add_co_u32_e64 v45, s[34:35], 2, v35
	v_subb_co_u32_e32 v31, vcc, v41, v31, vcc
	v_addc_co_u32_e64 v47, s[34:35], 0, v37, s[34:35]
	v_cmp_le_u32_e32 vcc, s73, v31
	v_add_co_u32_e64 v49, s[34:35], 1, v35
	v_cndmask_b32_e64 v41, 0, -1, vcc
	v_cmp_le_u32_e32 vcc, s72, v30
	v_addc_co_u32_e64 v51, s[34:35], 0, v37, s[34:35]
	v_cndmask_b32_e64 v30, 0, -1, vcc
	v_cmp_eq_u32_e32 vcc, s73, v31
	v_cmp_ne_u32_e64 s[34:35], 0, v43
	v_cndmask_b32_e32 v30, v41, v30, vcc
	v_cndmask_b32_e64 v43, v51, v47, s[34:35]
	v_cmp_ne_u32_e32 vcc, 0, v30
	v_cndmask_b32_e64 v31, v49, v45, s[34:35]
	v_cndmask_b32_e32 v30, v37, v43, vcc
	v_cndmask_b32_e32 v31, v35, v31, vcc
	v_xor_b32_e32 v35, s70, v39
	v_xor_b32_e32 v37, v30, v35
	;; [unrolled: 1-line block ×3, first 2 shown]
	v_sub_co_u32_e32 v30, vcc, v30, v35
	v_subb_co_u32_e32 v31, vcc, v37, v35, vcc
.LBB1144_234:
	s_andn2_saveexec_b64 s[34:35], s[62:63]
	s_cbranch_execz .LBB1144_236
; %bb.235:
	v_cvt_f32_u32_e32 v30, s44
	s_sub_i32 s62, 0, s44
	v_rcp_iflag_f32_e32 v30, v30
	v_mul_f32_e32 v30, 0x4f7ffffe, v30
	v_cvt_u32_f32_e32 v30, v30
	v_mul_lo_u32 v31, s62, v30
	v_mul_hi_u32 v31, v30, v31
	v_add_u32_e32 v30, v30, v31
	v_mul_hi_u32 v30, v32, v30
	v_mul_lo_u32 v31, v30, s44
	v_sub_u32_e32 v31, v32, v31
	v_add_u32_e32 v35, 1, v30
	v_subrev_u32_e32 v37, s44, v31
	v_cmp_le_u32_e32 vcc, s44, v31
	v_cndmask_b32_e32 v31, v31, v37, vcc
	v_cndmask_b32_e32 v30, v30, v35, vcc
	v_add_u32_e32 v35, 1, v30
	v_cmp_le_u32_e32 vcc, s44, v31
	v_cndmask_b32_e32 v30, v30, v35, vcc
	v_mov_b32_e32 v31, 0
.LBB1144_236:
	s_or_b64 exec, exec, s[34:35]
	v_mul_lo_u32 v35, v31, s44
	v_mul_lo_u32 v37, v30, s45
	v_mad_u64_u32 v[62:63], s[34:35], v30, s44, 0
	v_add3_u32 v35, v63, v37, v35
	v_sub_co_u32_e32 v32, vcc, v32, v62
	v_subb_co_u32_e32 v33, vcc, v33, v35, vcc
	v_add_co_u32_e32 v30, vcc, v30, v32
	v_addc_co_u32_e32 v31, vcc, v31, v33, vcc
	s_or_b64 exec, exec, s[36:37]
                                        ; implicit-def: $vgpr32_vgpr33
	s_and_saveexec_b64 s[34:35], s[30:31]
	s_cbranch_execz .LBB1144_219
.LBB1144_237:
	v_mov_b32_e32 v33, s79
	v_add_co_u32_e32 v34, vcc, s78, v34
	v_addc_co_u32_e32 v35, vcc, 0, v33, vcc
	v_mov_b32_e32 v32, 0
	v_or_b32_e32 v33, s45, v35
	v_cmp_ne_u64_e32 vcc, 0, v[32:33]
                                        ; implicit-def: $vgpr32_vgpr33
	s_and_saveexec_b64 s[30:31], vcc
	s_xor_b64 s[36:37], exec, s[30:31]
	s_cbranch_execz .LBB1144_239
; %bb.238:
	s_ashr_i32 s62, s45, 31
	s_add_u32 s30, s44, s62
	s_mov_b32 s63, s62
	s_addc_u32 s31, s45, s62
	s_xor_b64 s[70:71], s[30:31], s[62:63]
	v_cvt_f32_u32_e32 v32, s70
	v_cvt_f32_u32_e32 v33, s71
	s_sub_u32 s30, 0, s70
	s_subb_u32 s31, 0, s71
	v_madmk_f32 v32, v33, 0x4f800000, v32
	v_rcp_f32_e32 v32, v32
	v_mul_f32_e32 v32, 0x5f7ffffc, v32
	v_mul_f32_e32 v33, 0x2f800000, v32
	v_trunc_f32_e32 v33, v33
	v_madmk_f32 v32, v33, 0xcf800000, v32
	v_cvt_u32_f32_e32 v33, v33
	v_cvt_u32_f32_e32 v32, v32
	v_mul_lo_u32 v37, s30, v33
	v_mul_hi_u32 v41, s30, v32
	v_mul_lo_u32 v39, s31, v32
	v_add_u32_e32 v37, v41, v37
	v_mul_lo_u32 v43, s30, v32
	v_add_u32_e32 v37, v37, v39
	v_mul_lo_u32 v41, v32, v37
	v_mul_hi_u32 v45, v32, v43
	v_mul_hi_u32 v39, v32, v37
	v_add_co_u32_e32 v41, vcc, v45, v41
	v_addc_co_u32_e32 v39, vcc, 0, v39, vcc
	v_mul_hi_u32 v47, v33, v43
	v_mul_lo_u32 v43, v33, v43
	v_add_co_u32_e32 v41, vcc, v41, v43
	v_mul_hi_u32 v45, v33, v37
	v_addc_co_u32_e32 v39, vcc, v39, v47, vcc
	v_addc_co_u32_e32 v41, vcc, 0, v45, vcc
	v_mul_lo_u32 v37, v33, v37
	v_add_co_u32_e32 v37, vcc, v39, v37
	v_addc_co_u32_e32 v39, vcc, 0, v41, vcc
	v_add_co_u32_e32 v32, vcc, v32, v37
	v_addc_co_u32_e32 v33, vcc, v33, v39, vcc
	v_mul_lo_u32 v37, s30, v33
	v_mul_hi_u32 v39, s30, v32
	v_add_u32_e32 v37, v39, v37
	v_mul_lo_u32 v39, s31, v32
	v_add_u32_e32 v37, v37, v39
	v_mul_lo_u32 v41, s30, v32
	v_mul_hi_u32 v43, v33, v41
	v_mul_lo_u32 v45, v33, v41
	v_mul_lo_u32 v49, v32, v37
	v_mul_hi_u32 v41, v32, v41
	v_mul_hi_u32 v47, v32, v37
	v_add_co_u32_e32 v41, vcc, v41, v49
	v_addc_co_u32_e32 v47, vcc, 0, v47, vcc
	v_add_co_u32_e32 v41, vcc, v41, v45
	v_mul_hi_u32 v39, v33, v37
	v_addc_co_u32_e32 v41, vcc, v47, v43, vcc
	v_addc_co_u32_e32 v39, vcc, 0, v39, vcc
	v_mul_lo_u32 v37, v33, v37
	v_add_co_u32_e32 v37, vcc, v41, v37
	v_addc_co_u32_e32 v39, vcc, 0, v39, vcc
	v_add_co_u32_e32 v37, vcc, v32, v37
	v_addc_co_u32_e32 v39, vcc, v33, v39, vcc
	v_ashrrev_i32_e32 v41, 31, v35
	v_add_co_u32_e32 v32, vcc, v34, v41
	v_addc_co_u32_e32 v33, vcc, v35, v41, vcc
	v_xor_b32_e32 v45, v32, v41
	v_xor_b32_e32 v43, v33, v41
	v_mad_u64_u32 v[32:33], s[30:31], v45, v39, 0
	v_mul_hi_u32 v47, v45, v37
	v_add_co_u32_e32 v47, vcc, v47, v32
	v_addc_co_u32_e32 v49, vcc, 0, v33, vcc
	v_mad_u64_u32 v[62:63], s[30:31], v43, v37, 0
	v_add_co_u32_e32 v37, vcc, v47, v62
	v_mad_u64_u32 v[32:33], s[30:31], v43, v39, 0
	v_addc_co_u32_e32 v37, vcc, v49, v63, vcc
	v_addc_co_u32_e32 v33, vcc, 0, v33, vcc
	v_add_co_u32_e32 v37, vcc, v37, v32
	v_addc_co_u32_e32 v39, vcc, 0, v33, vcc
	v_mul_lo_u32 v47, s71, v37
	v_mul_lo_u32 v49, s70, v39
	v_mad_u64_u32 v[32:33], s[30:31], s70, v37, 0
	v_add3_u32 v33, v33, v49, v47
	v_sub_u32_e32 v47, v43, v33
	v_mov_b32_e32 v49, s71
	v_sub_co_u32_e32 v32, vcc, v45, v32
	v_subb_co_u32_e64 v45, s[30:31], v47, v49, vcc
	v_subrev_co_u32_e64 v47, s[30:31], s70, v32
	v_subbrev_co_u32_e64 v45, s[30:31], 0, v45, s[30:31]
	v_cmp_le_u32_e64 s[30:31], s71, v45
	v_cndmask_b32_e64 v49, 0, -1, s[30:31]
	v_cmp_le_u32_e64 s[30:31], s70, v47
	v_cndmask_b32_e64 v47, 0, -1, s[30:31]
	v_cmp_eq_u32_e64 s[30:31], s71, v45
	v_cndmask_b32_e64 v45, v49, v47, s[30:31]
	v_add_co_u32_e64 v47, s[30:31], 2, v37
	v_subb_co_u32_e32 v33, vcc, v43, v33, vcc
	v_addc_co_u32_e64 v49, s[30:31], 0, v39, s[30:31]
	v_cmp_le_u32_e32 vcc, s71, v33
	v_add_co_u32_e64 v51, s[30:31], 1, v37
	v_cndmask_b32_e64 v43, 0, -1, vcc
	v_cmp_le_u32_e32 vcc, s70, v32
	v_addc_co_u32_e64 v53, s[30:31], 0, v39, s[30:31]
	v_cndmask_b32_e64 v32, 0, -1, vcc
	v_cmp_eq_u32_e32 vcc, s71, v33
	v_cmp_ne_u32_e64 s[30:31], 0, v45
	v_cndmask_b32_e32 v32, v43, v32, vcc
	v_cndmask_b32_e64 v45, v53, v49, s[30:31]
	v_cmp_ne_u32_e32 vcc, 0, v32
	v_cndmask_b32_e64 v33, v51, v47, s[30:31]
	v_cndmask_b32_e32 v32, v39, v45, vcc
	v_cndmask_b32_e32 v33, v37, v33, vcc
	v_xor_b32_e32 v37, s62, v41
	v_xor_b32_e32 v39, v32, v37
	v_xor_b32_e32 v32, v33, v37
	v_sub_co_u32_e32 v32, vcc, v32, v37
	v_subb_co_u32_e32 v33, vcc, v39, v37, vcc
.LBB1144_239:
	s_andn2_saveexec_b64 s[30:31], s[36:37]
	s_cbranch_execz .LBB1144_241
; %bb.240:
	v_cvt_f32_u32_e32 v32, s44
	s_sub_i32 s36, 0, s44
	v_rcp_iflag_f32_e32 v32, v32
	v_mul_f32_e32 v32, 0x4f7ffffe, v32
	v_cvt_u32_f32_e32 v32, v32
	v_mul_lo_u32 v33, s36, v32
	v_mul_hi_u32 v33, v32, v33
	v_add_u32_e32 v32, v32, v33
	v_mul_hi_u32 v32, v34, v32
	v_mul_lo_u32 v33, v32, s44
	v_sub_u32_e32 v33, v34, v33
	v_add_u32_e32 v37, 1, v32
	v_subrev_u32_e32 v39, s44, v33
	v_cmp_le_u32_e32 vcc, s44, v33
	v_cndmask_b32_e32 v33, v33, v39, vcc
	v_cndmask_b32_e32 v32, v32, v37, vcc
	v_add_u32_e32 v37, 1, v32
	v_cmp_le_u32_e32 vcc, s44, v33
	v_cndmask_b32_e32 v32, v32, v37, vcc
	v_mov_b32_e32 v33, 0
.LBB1144_241:
	s_or_b64 exec, exec, s[30:31]
	v_mul_lo_u32 v37, v33, s44
	v_mul_lo_u32 v39, v32, s45
	v_mad_u64_u32 v[62:63], s[30:31], v32, s44, 0
	v_add3_u32 v37, v63, v39, v37
	v_sub_co_u32_e32 v34, vcc, v34, v62
	v_subb_co_u32_e32 v35, vcc, v35, v37, vcc
	v_add_co_u32_e32 v32, vcc, v32, v34
	v_addc_co_u32_e32 v33, vcc, v33, v35, vcc
	s_or_b64 exec, exec, s[34:35]
                                        ; implicit-def: $vgpr34_vgpr35
	s_and_saveexec_b64 s[30:31], s[28:29]
	s_cbranch_execz .LBB1144_220
.LBB1144_242:
	v_mov_b32_e32 v35, s79
	v_add_co_u32_e32 v36, vcc, s78, v36
	v_addc_co_u32_e32 v37, vcc, 0, v35, vcc
	v_mov_b32_e32 v34, 0
	v_or_b32_e32 v35, s45, v37
	v_cmp_ne_u64_e32 vcc, 0, v[34:35]
                                        ; implicit-def: $vgpr34_vgpr35
	s_and_saveexec_b64 s[28:29], vcc
	s_xor_b64 s[34:35], exec, s[28:29]
	s_cbranch_execz .LBB1144_244
; %bb.243:
	s_ashr_i32 s36, s45, 31
	s_add_u32 s28, s44, s36
	s_mov_b32 s37, s36
	s_addc_u32 s29, s45, s36
	s_xor_b64 s[62:63], s[28:29], s[36:37]
	v_cvt_f32_u32_e32 v34, s62
	v_cvt_f32_u32_e32 v35, s63
	s_sub_u32 s28, 0, s62
	s_subb_u32 s29, 0, s63
	v_madmk_f32 v34, v35, 0x4f800000, v34
	v_rcp_f32_e32 v34, v34
	v_mul_f32_e32 v34, 0x5f7ffffc, v34
	v_mul_f32_e32 v35, 0x2f800000, v34
	v_trunc_f32_e32 v35, v35
	v_madmk_f32 v34, v35, 0xcf800000, v34
	v_cvt_u32_f32_e32 v35, v35
	v_cvt_u32_f32_e32 v34, v34
	v_mul_lo_u32 v39, s28, v35
	v_mul_hi_u32 v43, s28, v34
	v_mul_lo_u32 v41, s29, v34
	v_add_u32_e32 v39, v43, v39
	v_mul_lo_u32 v45, s28, v34
	v_add_u32_e32 v39, v39, v41
	v_mul_lo_u32 v43, v34, v39
	v_mul_hi_u32 v47, v34, v45
	v_mul_hi_u32 v41, v34, v39
	v_add_co_u32_e32 v43, vcc, v47, v43
	v_addc_co_u32_e32 v41, vcc, 0, v41, vcc
	v_mul_hi_u32 v49, v35, v45
	v_mul_lo_u32 v45, v35, v45
	v_add_co_u32_e32 v43, vcc, v43, v45
	v_mul_hi_u32 v47, v35, v39
	v_addc_co_u32_e32 v41, vcc, v41, v49, vcc
	v_addc_co_u32_e32 v43, vcc, 0, v47, vcc
	v_mul_lo_u32 v39, v35, v39
	v_add_co_u32_e32 v39, vcc, v41, v39
	v_addc_co_u32_e32 v41, vcc, 0, v43, vcc
	v_add_co_u32_e32 v34, vcc, v34, v39
	v_addc_co_u32_e32 v35, vcc, v35, v41, vcc
	v_mul_lo_u32 v39, s28, v35
	v_mul_hi_u32 v41, s28, v34
	v_add_u32_e32 v39, v41, v39
	v_mul_lo_u32 v41, s29, v34
	v_add_u32_e32 v39, v39, v41
	v_mul_lo_u32 v43, s28, v34
	v_mul_hi_u32 v45, v35, v43
	v_mul_lo_u32 v47, v35, v43
	v_mul_lo_u32 v51, v34, v39
	v_mul_hi_u32 v43, v34, v43
	v_mul_hi_u32 v49, v34, v39
	v_add_co_u32_e32 v43, vcc, v43, v51
	v_addc_co_u32_e32 v49, vcc, 0, v49, vcc
	v_add_co_u32_e32 v43, vcc, v43, v47
	v_mul_hi_u32 v41, v35, v39
	v_addc_co_u32_e32 v43, vcc, v49, v45, vcc
	v_addc_co_u32_e32 v41, vcc, 0, v41, vcc
	v_mul_lo_u32 v39, v35, v39
	v_add_co_u32_e32 v39, vcc, v43, v39
	v_addc_co_u32_e32 v41, vcc, 0, v41, vcc
	v_add_co_u32_e32 v39, vcc, v34, v39
	v_addc_co_u32_e32 v41, vcc, v35, v41, vcc
	v_ashrrev_i32_e32 v43, 31, v37
	v_add_co_u32_e32 v34, vcc, v36, v43
	v_addc_co_u32_e32 v35, vcc, v37, v43, vcc
	v_xor_b32_e32 v47, v34, v43
	v_xor_b32_e32 v45, v35, v43
	v_mad_u64_u32 v[34:35], s[28:29], v47, v41, 0
	v_mul_hi_u32 v49, v47, v39
	v_add_co_u32_e32 v49, vcc, v49, v34
	v_addc_co_u32_e32 v51, vcc, 0, v35, vcc
	v_mad_u64_u32 v[62:63], s[28:29], v45, v39, 0
	v_add_co_u32_e32 v39, vcc, v49, v62
	v_mad_u64_u32 v[34:35], s[28:29], v45, v41, 0
	v_addc_co_u32_e32 v39, vcc, v51, v63, vcc
	v_addc_co_u32_e32 v35, vcc, 0, v35, vcc
	v_add_co_u32_e32 v39, vcc, v39, v34
	v_addc_co_u32_e32 v41, vcc, 0, v35, vcc
	v_mul_lo_u32 v49, s63, v39
	v_mul_lo_u32 v51, s62, v41
	v_mad_u64_u32 v[34:35], s[28:29], s62, v39, 0
	v_add3_u32 v35, v35, v51, v49
	v_sub_u32_e32 v49, v45, v35
	v_mov_b32_e32 v51, s63
	v_sub_co_u32_e32 v34, vcc, v47, v34
	v_subb_co_u32_e64 v47, s[28:29], v49, v51, vcc
	v_subrev_co_u32_e64 v49, s[28:29], s62, v34
	v_subbrev_co_u32_e64 v47, s[28:29], 0, v47, s[28:29]
	v_cmp_le_u32_e64 s[28:29], s63, v47
	v_cndmask_b32_e64 v51, 0, -1, s[28:29]
	v_cmp_le_u32_e64 s[28:29], s62, v49
	v_cndmask_b32_e64 v49, 0, -1, s[28:29]
	v_cmp_eq_u32_e64 s[28:29], s63, v47
	v_cndmask_b32_e64 v47, v51, v49, s[28:29]
	v_add_co_u32_e64 v49, s[28:29], 2, v39
	v_subb_co_u32_e32 v35, vcc, v45, v35, vcc
	v_addc_co_u32_e64 v51, s[28:29], 0, v41, s[28:29]
	v_cmp_le_u32_e32 vcc, s63, v35
	v_add_co_u32_e64 v53, s[28:29], 1, v39
	v_cndmask_b32_e64 v45, 0, -1, vcc
	v_cmp_le_u32_e32 vcc, s62, v34
	v_addc_co_u32_e64 v55, s[28:29], 0, v41, s[28:29]
	v_cndmask_b32_e64 v34, 0, -1, vcc
	v_cmp_eq_u32_e32 vcc, s63, v35
	v_cmp_ne_u32_e64 s[28:29], 0, v47
	v_cndmask_b32_e32 v34, v45, v34, vcc
	v_cndmask_b32_e64 v47, v55, v51, s[28:29]
	v_cmp_ne_u32_e32 vcc, 0, v34
	v_cndmask_b32_e64 v35, v53, v49, s[28:29]
	v_cndmask_b32_e32 v34, v41, v47, vcc
	v_cndmask_b32_e32 v35, v39, v35, vcc
	v_xor_b32_e32 v39, s36, v43
	v_xor_b32_e32 v41, v34, v39
	;; [unrolled: 1-line block ×3, first 2 shown]
	v_sub_co_u32_e32 v34, vcc, v34, v39
	v_subb_co_u32_e32 v35, vcc, v41, v39, vcc
.LBB1144_244:
	s_andn2_saveexec_b64 s[28:29], s[34:35]
	s_cbranch_execz .LBB1144_246
; %bb.245:
	v_cvt_f32_u32_e32 v34, s44
	s_sub_i32 s34, 0, s44
	v_rcp_iflag_f32_e32 v34, v34
	v_mul_f32_e32 v34, 0x4f7ffffe, v34
	v_cvt_u32_f32_e32 v34, v34
	v_mul_lo_u32 v35, s34, v34
	v_mul_hi_u32 v35, v34, v35
	v_add_u32_e32 v34, v34, v35
	v_mul_hi_u32 v34, v36, v34
	v_mul_lo_u32 v35, v34, s44
	v_sub_u32_e32 v35, v36, v35
	v_add_u32_e32 v39, 1, v34
	v_subrev_u32_e32 v41, s44, v35
	v_cmp_le_u32_e32 vcc, s44, v35
	v_cndmask_b32_e32 v35, v35, v41, vcc
	v_cndmask_b32_e32 v34, v34, v39, vcc
	v_add_u32_e32 v39, 1, v34
	v_cmp_le_u32_e32 vcc, s44, v35
	v_cndmask_b32_e32 v34, v34, v39, vcc
	v_mov_b32_e32 v35, 0
.LBB1144_246:
	s_or_b64 exec, exec, s[28:29]
	v_mul_lo_u32 v39, v35, s44
	v_mul_lo_u32 v41, v34, s45
	v_mad_u64_u32 v[62:63], s[28:29], v34, s44, 0
	v_add3_u32 v39, v63, v41, v39
	v_sub_co_u32_e32 v36, vcc, v36, v62
	v_subb_co_u32_e32 v37, vcc, v37, v39, vcc
	v_add_co_u32_e32 v34, vcc, v34, v36
	v_addc_co_u32_e32 v35, vcc, v35, v37, vcc
	s_or_b64 exec, exec, s[30:31]
                                        ; implicit-def: $vgpr36_vgpr37
	s_and_saveexec_b64 s[28:29], s[26:27]
	s_cbranch_execz .LBB1144_221
.LBB1144_247:
	v_mov_b32_e32 v37, s79
	v_add_co_u32_e32 v38, vcc, s78, v38
	v_addc_co_u32_e32 v39, vcc, 0, v37, vcc
	v_mov_b32_e32 v36, 0
	v_or_b32_e32 v37, s45, v39
	v_cmp_ne_u64_e32 vcc, 0, v[36:37]
                                        ; implicit-def: $vgpr36_vgpr37
	s_and_saveexec_b64 s[26:27], vcc
	s_xor_b64 s[30:31], exec, s[26:27]
	s_cbranch_execz .LBB1144_249
; %bb.248:
	s_ashr_i32 s34, s45, 31
	s_add_u32 s26, s44, s34
	s_mov_b32 s35, s34
	s_addc_u32 s27, s45, s34
	s_xor_b64 s[36:37], s[26:27], s[34:35]
	v_cvt_f32_u32_e32 v36, s36
	v_cvt_f32_u32_e32 v37, s37
	s_sub_u32 s26, 0, s36
	s_subb_u32 s27, 0, s37
	v_madmk_f32 v36, v37, 0x4f800000, v36
	v_rcp_f32_e32 v36, v36
	v_mul_f32_e32 v36, 0x5f7ffffc, v36
	v_mul_f32_e32 v37, 0x2f800000, v36
	v_trunc_f32_e32 v37, v37
	v_madmk_f32 v36, v37, 0xcf800000, v36
	v_cvt_u32_f32_e32 v37, v37
	v_cvt_u32_f32_e32 v36, v36
	v_mul_lo_u32 v41, s26, v37
	v_mul_hi_u32 v45, s26, v36
	v_mul_lo_u32 v43, s27, v36
	v_add_u32_e32 v41, v45, v41
	v_mul_lo_u32 v47, s26, v36
	v_add_u32_e32 v41, v41, v43
	v_mul_lo_u32 v45, v36, v41
	v_mul_hi_u32 v49, v36, v47
	v_mul_hi_u32 v43, v36, v41
	v_add_co_u32_e32 v45, vcc, v49, v45
	v_addc_co_u32_e32 v43, vcc, 0, v43, vcc
	v_mul_hi_u32 v51, v37, v47
	v_mul_lo_u32 v47, v37, v47
	v_add_co_u32_e32 v45, vcc, v45, v47
	v_mul_hi_u32 v49, v37, v41
	v_addc_co_u32_e32 v43, vcc, v43, v51, vcc
	v_addc_co_u32_e32 v45, vcc, 0, v49, vcc
	v_mul_lo_u32 v41, v37, v41
	v_add_co_u32_e32 v41, vcc, v43, v41
	v_addc_co_u32_e32 v43, vcc, 0, v45, vcc
	v_add_co_u32_e32 v36, vcc, v36, v41
	v_addc_co_u32_e32 v37, vcc, v37, v43, vcc
	v_mul_lo_u32 v41, s26, v37
	v_mul_hi_u32 v43, s26, v36
	v_add_u32_e32 v41, v43, v41
	v_mul_lo_u32 v43, s27, v36
	v_add_u32_e32 v41, v41, v43
	v_mul_lo_u32 v45, s26, v36
	v_mul_hi_u32 v47, v37, v45
	v_mul_lo_u32 v49, v37, v45
	v_mul_lo_u32 v53, v36, v41
	v_mul_hi_u32 v45, v36, v45
	v_mul_hi_u32 v51, v36, v41
	v_add_co_u32_e32 v45, vcc, v45, v53
	v_addc_co_u32_e32 v51, vcc, 0, v51, vcc
	v_add_co_u32_e32 v45, vcc, v45, v49
	v_mul_hi_u32 v43, v37, v41
	v_addc_co_u32_e32 v45, vcc, v51, v47, vcc
	v_addc_co_u32_e32 v43, vcc, 0, v43, vcc
	v_mul_lo_u32 v41, v37, v41
	v_add_co_u32_e32 v41, vcc, v45, v41
	v_addc_co_u32_e32 v43, vcc, 0, v43, vcc
	v_add_co_u32_e32 v41, vcc, v36, v41
	v_addc_co_u32_e32 v43, vcc, v37, v43, vcc
	v_ashrrev_i32_e32 v45, 31, v39
	v_add_co_u32_e32 v36, vcc, v38, v45
	v_addc_co_u32_e32 v37, vcc, v39, v45, vcc
	v_xor_b32_e32 v49, v36, v45
	v_xor_b32_e32 v47, v37, v45
	v_mad_u64_u32 v[36:37], s[26:27], v49, v43, 0
	v_mul_hi_u32 v51, v49, v41
	v_add_co_u32_e32 v51, vcc, v51, v36
	v_addc_co_u32_e32 v53, vcc, 0, v37, vcc
	v_mad_u64_u32 v[62:63], s[26:27], v47, v41, 0
	v_add_co_u32_e32 v41, vcc, v51, v62
	v_mad_u64_u32 v[36:37], s[26:27], v47, v43, 0
	v_addc_co_u32_e32 v41, vcc, v53, v63, vcc
	v_addc_co_u32_e32 v37, vcc, 0, v37, vcc
	v_add_co_u32_e32 v41, vcc, v41, v36
	v_addc_co_u32_e32 v43, vcc, 0, v37, vcc
	v_mul_lo_u32 v51, s37, v41
	v_mul_lo_u32 v53, s36, v43
	v_mad_u64_u32 v[36:37], s[26:27], s36, v41, 0
	v_add3_u32 v37, v37, v53, v51
	v_sub_u32_e32 v51, v47, v37
	v_mov_b32_e32 v53, s37
	v_sub_co_u32_e32 v36, vcc, v49, v36
	v_subb_co_u32_e64 v49, s[26:27], v51, v53, vcc
	v_subrev_co_u32_e64 v51, s[26:27], s36, v36
	v_subbrev_co_u32_e64 v49, s[26:27], 0, v49, s[26:27]
	v_cmp_le_u32_e64 s[26:27], s37, v49
	v_cndmask_b32_e64 v53, 0, -1, s[26:27]
	v_cmp_le_u32_e64 s[26:27], s36, v51
	v_cndmask_b32_e64 v51, 0, -1, s[26:27]
	v_cmp_eq_u32_e64 s[26:27], s37, v49
	v_cndmask_b32_e64 v49, v53, v51, s[26:27]
	v_add_co_u32_e64 v51, s[26:27], 2, v41
	v_subb_co_u32_e32 v37, vcc, v47, v37, vcc
	v_addc_co_u32_e64 v53, s[26:27], 0, v43, s[26:27]
	v_cmp_le_u32_e32 vcc, s37, v37
	v_add_co_u32_e64 v55, s[26:27], 1, v41
	v_cndmask_b32_e64 v47, 0, -1, vcc
	v_cmp_le_u32_e32 vcc, s36, v36
	v_addc_co_u32_e64 v57, s[26:27], 0, v43, s[26:27]
	v_cndmask_b32_e64 v36, 0, -1, vcc
	v_cmp_eq_u32_e32 vcc, s37, v37
	v_cmp_ne_u32_e64 s[26:27], 0, v49
	v_cndmask_b32_e32 v36, v47, v36, vcc
	v_cndmask_b32_e64 v49, v57, v53, s[26:27]
	v_cmp_ne_u32_e32 vcc, 0, v36
	v_cndmask_b32_e64 v37, v55, v51, s[26:27]
	v_cndmask_b32_e32 v36, v43, v49, vcc
	v_cndmask_b32_e32 v37, v41, v37, vcc
	v_xor_b32_e32 v41, s34, v45
	v_xor_b32_e32 v43, v36, v41
	v_xor_b32_e32 v36, v37, v41
	v_sub_co_u32_e32 v36, vcc, v36, v41
	v_subb_co_u32_e32 v37, vcc, v43, v41, vcc
.LBB1144_249:
	s_andn2_saveexec_b64 s[26:27], s[30:31]
	s_cbranch_execz .LBB1144_251
; %bb.250:
	v_cvt_f32_u32_e32 v36, s44
	s_sub_i32 s30, 0, s44
	v_rcp_iflag_f32_e32 v36, v36
	v_mul_f32_e32 v36, 0x4f7ffffe, v36
	v_cvt_u32_f32_e32 v36, v36
	v_mul_lo_u32 v37, s30, v36
	v_mul_hi_u32 v37, v36, v37
	v_add_u32_e32 v36, v36, v37
	v_mul_hi_u32 v36, v38, v36
	v_mul_lo_u32 v37, v36, s44
	v_sub_u32_e32 v37, v38, v37
	v_add_u32_e32 v41, 1, v36
	v_subrev_u32_e32 v43, s44, v37
	v_cmp_le_u32_e32 vcc, s44, v37
	v_cndmask_b32_e32 v37, v37, v43, vcc
	v_cndmask_b32_e32 v36, v36, v41, vcc
	v_add_u32_e32 v41, 1, v36
	v_cmp_le_u32_e32 vcc, s44, v37
	v_cndmask_b32_e32 v36, v36, v41, vcc
	v_mov_b32_e32 v37, 0
.LBB1144_251:
	s_or_b64 exec, exec, s[26:27]
	v_mul_lo_u32 v41, v37, s44
	v_mul_lo_u32 v43, v36, s45
	v_mad_u64_u32 v[62:63], s[26:27], v36, s44, 0
	v_add3_u32 v41, v63, v43, v41
	v_sub_co_u32_e32 v38, vcc, v38, v62
	v_subb_co_u32_e32 v39, vcc, v39, v41, vcc
	v_add_co_u32_e32 v36, vcc, v36, v38
	v_addc_co_u32_e32 v37, vcc, v37, v39, vcc
	s_or_b64 exec, exec, s[28:29]
                                        ; implicit-def: $vgpr38_vgpr39
	s_and_saveexec_b64 s[26:27], s[24:25]
	s_cbranch_execz .LBB1144_222
.LBB1144_252:
	v_mov_b32_e32 v39, s79
	v_add_co_u32_e32 v40, vcc, s78, v40
	v_addc_co_u32_e32 v41, vcc, 0, v39, vcc
	v_mov_b32_e32 v38, 0
	v_or_b32_e32 v39, s45, v41
	v_cmp_ne_u64_e32 vcc, 0, v[38:39]
                                        ; implicit-def: $vgpr38_vgpr39
	s_and_saveexec_b64 s[24:25], vcc
	s_xor_b64 s[28:29], exec, s[24:25]
	s_cbranch_execz .LBB1144_254
; %bb.253:
	s_ashr_i32 s30, s45, 31
	s_add_u32 s24, s44, s30
	s_mov_b32 s31, s30
	s_addc_u32 s25, s45, s30
	s_xor_b64 s[34:35], s[24:25], s[30:31]
	v_cvt_f32_u32_e32 v38, s34
	v_cvt_f32_u32_e32 v39, s35
	s_sub_u32 s24, 0, s34
	s_subb_u32 s25, 0, s35
	v_madmk_f32 v38, v39, 0x4f800000, v38
	v_rcp_f32_e32 v38, v38
	v_mul_f32_e32 v38, 0x5f7ffffc, v38
	v_mul_f32_e32 v39, 0x2f800000, v38
	v_trunc_f32_e32 v39, v39
	v_madmk_f32 v38, v39, 0xcf800000, v38
	v_cvt_u32_f32_e32 v39, v39
	v_cvt_u32_f32_e32 v38, v38
	v_mul_lo_u32 v43, s24, v39
	v_mul_hi_u32 v47, s24, v38
	v_mul_lo_u32 v45, s25, v38
	v_add_u32_e32 v43, v47, v43
	v_mul_lo_u32 v49, s24, v38
	v_add_u32_e32 v43, v43, v45
	v_mul_lo_u32 v47, v38, v43
	v_mul_hi_u32 v51, v38, v49
	v_mul_hi_u32 v45, v38, v43
	v_add_co_u32_e32 v47, vcc, v51, v47
	v_addc_co_u32_e32 v45, vcc, 0, v45, vcc
	v_mul_hi_u32 v53, v39, v49
	v_mul_lo_u32 v49, v39, v49
	v_add_co_u32_e32 v47, vcc, v47, v49
	v_mul_hi_u32 v51, v39, v43
	v_addc_co_u32_e32 v45, vcc, v45, v53, vcc
	v_addc_co_u32_e32 v47, vcc, 0, v51, vcc
	v_mul_lo_u32 v43, v39, v43
	v_add_co_u32_e32 v43, vcc, v45, v43
	v_addc_co_u32_e32 v45, vcc, 0, v47, vcc
	v_add_co_u32_e32 v38, vcc, v38, v43
	v_addc_co_u32_e32 v39, vcc, v39, v45, vcc
	v_mul_lo_u32 v43, s24, v39
	v_mul_hi_u32 v45, s24, v38
	v_add_u32_e32 v43, v45, v43
	v_mul_lo_u32 v45, s25, v38
	v_add_u32_e32 v43, v43, v45
	v_mul_lo_u32 v47, s24, v38
	v_mul_hi_u32 v49, v39, v47
	v_mul_lo_u32 v51, v39, v47
	v_mul_lo_u32 v55, v38, v43
	v_mul_hi_u32 v47, v38, v47
	v_mul_hi_u32 v53, v38, v43
	v_add_co_u32_e32 v47, vcc, v47, v55
	v_addc_co_u32_e32 v53, vcc, 0, v53, vcc
	v_add_co_u32_e32 v47, vcc, v47, v51
	v_mul_hi_u32 v45, v39, v43
	v_addc_co_u32_e32 v47, vcc, v53, v49, vcc
	v_addc_co_u32_e32 v45, vcc, 0, v45, vcc
	v_mul_lo_u32 v43, v39, v43
	v_add_co_u32_e32 v43, vcc, v47, v43
	v_addc_co_u32_e32 v45, vcc, 0, v45, vcc
	v_add_co_u32_e32 v43, vcc, v38, v43
	v_addc_co_u32_e32 v45, vcc, v39, v45, vcc
	v_ashrrev_i32_e32 v47, 31, v41
	v_add_co_u32_e32 v38, vcc, v40, v47
	v_addc_co_u32_e32 v39, vcc, v41, v47, vcc
	v_xor_b32_e32 v51, v38, v47
	v_xor_b32_e32 v49, v39, v47
	v_mad_u64_u32 v[38:39], s[24:25], v51, v45, 0
	v_mul_hi_u32 v53, v51, v43
	v_add_co_u32_e32 v53, vcc, v53, v38
	v_addc_co_u32_e32 v55, vcc, 0, v39, vcc
	v_mad_u64_u32 v[62:63], s[24:25], v49, v43, 0
	v_add_co_u32_e32 v43, vcc, v53, v62
	v_mad_u64_u32 v[38:39], s[24:25], v49, v45, 0
	v_addc_co_u32_e32 v43, vcc, v55, v63, vcc
	v_addc_co_u32_e32 v39, vcc, 0, v39, vcc
	v_add_co_u32_e32 v43, vcc, v43, v38
	v_addc_co_u32_e32 v45, vcc, 0, v39, vcc
	v_mul_lo_u32 v53, s35, v43
	v_mul_lo_u32 v55, s34, v45
	v_mad_u64_u32 v[38:39], s[24:25], s34, v43, 0
	v_add3_u32 v39, v39, v55, v53
	v_sub_u32_e32 v53, v49, v39
	v_mov_b32_e32 v55, s35
	v_sub_co_u32_e32 v38, vcc, v51, v38
	v_subb_co_u32_e64 v51, s[24:25], v53, v55, vcc
	v_subrev_co_u32_e64 v53, s[24:25], s34, v38
	v_subbrev_co_u32_e64 v51, s[24:25], 0, v51, s[24:25]
	v_cmp_le_u32_e64 s[24:25], s35, v51
	v_cndmask_b32_e64 v55, 0, -1, s[24:25]
	v_cmp_le_u32_e64 s[24:25], s34, v53
	v_cndmask_b32_e64 v53, 0, -1, s[24:25]
	v_cmp_eq_u32_e64 s[24:25], s35, v51
	v_cndmask_b32_e64 v51, v55, v53, s[24:25]
	v_add_co_u32_e64 v53, s[24:25], 2, v43
	v_subb_co_u32_e32 v39, vcc, v49, v39, vcc
	v_addc_co_u32_e64 v55, s[24:25], 0, v45, s[24:25]
	v_cmp_le_u32_e32 vcc, s35, v39
	v_add_co_u32_e64 v57, s[24:25], 1, v43
	v_cndmask_b32_e64 v49, 0, -1, vcc
	v_cmp_le_u32_e32 vcc, s34, v38
	v_addc_co_u32_e64 v59, s[24:25], 0, v45, s[24:25]
	v_cndmask_b32_e64 v38, 0, -1, vcc
	v_cmp_eq_u32_e32 vcc, s35, v39
	v_cmp_ne_u32_e64 s[24:25], 0, v51
	v_cndmask_b32_e32 v38, v49, v38, vcc
	v_cndmask_b32_e64 v51, v59, v55, s[24:25]
	v_cmp_ne_u32_e32 vcc, 0, v38
	v_cndmask_b32_e64 v39, v57, v53, s[24:25]
	v_cndmask_b32_e32 v38, v45, v51, vcc
	v_cndmask_b32_e32 v39, v43, v39, vcc
	v_xor_b32_e32 v43, s30, v47
	v_xor_b32_e32 v45, v38, v43
	;; [unrolled: 1-line block ×3, first 2 shown]
	v_sub_co_u32_e32 v38, vcc, v38, v43
	v_subb_co_u32_e32 v39, vcc, v45, v43, vcc
.LBB1144_254:
	s_andn2_saveexec_b64 s[24:25], s[28:29]
	s_cbranch_execz .LBB1144_256
; %bb.255:
	v_cvt_f32_u32_e32 v38, s44
	s_sub_i32 s28, 0, s44
	v_rcp_iflag_f32_e32 v38, v38
	v_mul_f32_e32 v38, 0x4f7ffffe, v38
	v_cvt_u32_f32_e32 v38, v38
	v_mul_lo_u32 v39, s28, v38
	v_mul_hi_u32 v39, v38, v39
	v_add_u32_e32 v38, v38, v39
	v_mul_hi_u32 v38, v40, v38
	v_mul_lo_u32 v39, v38, s44
	v_sub_u32_e32 v39, v40, v39
	v_add_u32_e32 v43, 1, v38
	v_subrev_u32_e32 v45, s44, v39
	v_cmp_le_u32_e32 vcc, s44, v39
	v_cndmask_b32_e32 v39, v39, v45, vcc
	v_cndmask_b32_e32 v38, v38, v43, vcc
	v_add_u32_e32 v43, 1, v38
	v_cmp_le_u32_e32 vcc, s44, v39
	v_cndmask_b32_e32 v38, v38, v43, vcc
	v_mov_b32_e32 v39, 0
.LBB1144_256:
	s_or_b64 exec, exec, s[24:25]
	v_mul_lo_u32 v43, v39, s44
	v_mul_lo_u32 v45, v38, s45
	v_mad_u64_u32 v[62:63], s[24:25], v38, s44, 0
	v_add3_u32 v43, v63, v45, v43
	v_sub_co_u32_e32 v40, vcc, v40, v62
	v_subb_co_u32_e32 v41, vcc, v41, v43, vcc
	v_add_co_u32_e32 v38, vcc, v38, v40
	v_addc_co_u32_e32 v39, vcc, v39, v41, vcc
	s_or_b64 exec, exec, s[26:27]
                                        ; implicit-def: $vgpr40_vgpr41
	s_and_saveexec_b64 s[24:25], s[22:23]
	s_cbranch_execz .LBB1144_223
.LBB1144_257:
	v_mov_b32_e32 v41, s79
	v_add_co_u32_e32 v42, vcc, s78, v42
	v_addc_co_u32_e32 v43, vcc, 0, v41, vcc
	v_mov_b32_e32 v40, 0
	v_or_b32_e32 v41, s45, v43
	v_cmp_ne_u64_e32 vcc, 0, v[40:41]
                                        ; implicit-def: $vgpr40_vgpr41
	s_and_saveexec_b64 s[22:23], vcc
	s_xor_b64 s[26:27], exec, s[22:23]
	s_cbranch_execz .LBB1144_259
; %bb.258:
	s_ashr_i32 s28, s45, 31
	s_add_u32 s22, s44, s28
	s_mov_b32 s29, s28
	s_addc_u32 s23, s45, s28
	s_xor_b64 s[30:31], s[22:23], s[28:29]
	v_cvt_f32_u32_e32 v40, s30
	v_cvt_f32_u32_e32 v41, s31
	s_sub_u32 s22, 0, s30
	s_subb_u32 s23, 0, s31
	v_madmk_f32 v40, v41, 0x4f800000, v40
	v_rcp_f32_e32 v40, v40
	v_mul_f32_e32 v40, 0x5f7ffffc, v40
	v_mul_f32_e32 v41, 0x2f800000, v40
	v_trunc_f32_e32 v41, v41
	v_madmk_f32 v40, v41, 0xcf800000, v40
	v_cvt_u32_f32_e32 v41, v41
	v_cvt_u32_f32_e32 v40, v40
	v_mul_lo_u32 v45, s22, v41
	v_mul_hi_u32 v49, s22, v40
	v_mul_lo_u32 v47, s23, v40
	v_add_u32_e32 v45, v49, v45
	v_mul_lo_u32 v51, s22, v40
	v_add_u32_e32 v45, v45, v47
	v_mul_lo_u32 v49, v40, v45
	v_mul_hi_u32 v53, v40, v51
	v_mul_hi_u32 v47, v40, v45
	v_add_co_u32_e32 v49, vcc, v53, v49
	v_addc_co_u32_e32 v47, vcc, 0, v47, vcc
	v_mul_hi_u32 v55, v41, v51
	v_mul_lo_u32 v51, v41, v51
	v_add_co_u32_e32 v49, vcc, v49, v51
	v_mul_hi_u32 v53, v41, v45
	v_addc_co_u32_e32 v47, vcc, v47, v55, vcc
	v_addc_co_u32_e32 v49, vcc, 0, v53, vcc
	v_mul_lo_u32 v45, v41, v45
	v_add_co_u32_e32 v45, vcc, v47, v45
	v_addc_co_u32_e32 v47, vcc, 0, v49, vcc
	v_add_co_u32_e32 v40, vcc, v40, v45
	v_addc_co_u32_e32 v41, vcc, v41, v47, vcc
	v_mul_lo_u32 v45, s22, v41
	v_mul_hi_u32 v47, s22, v40
	v_add_u32_e32 v45, v47, v45
	v_mul_lo_u32 v47, s23, v40
	v_add_u32_e32 v45, v45, v47
	v_mul_lo_u32 v49, s22, v40
	v_mul_hi_u32 v51, v41, v49
	v_mul_lo_u32 v53, v41, v49
	v_mul_lo_u32 v57, v40, v45
	v_mul_hi_u32 v49, v40, v49
	v_mul_hi_u32 v55, v40, v45
	v_add_co_u32_e32 v49, vcc, v49, v57
	v_addc_co_u32_e32 v55, vcc, 0, v55, vcc
	v_add_co_u32_e32 v49, vcc, v49, v53
	v_mul_hi_u32 v47, v41, v45
	v_addc_co_u32_e32 v49, vcc, v55, v51, vcc
	v_addc_co_u32_e32 v47, vcc, 0, v47, vcc
	v_mul_lo_u32 v45, v41, v45
	v_add_co_u32_e32 v45, vcc, v49, v45
	v_addc_co_u32_e32 v47, vcc, 0, v47, vcc
	v_add_co_u32_e32 v45, vcc, v40, v45
	v_addc_co_u32_e32 v47, vcc, v41, v47, vcc
	v_ashrrev_i32_e32 v49, 31, v43
	v_add_co_u32_e32 v40, vcc, v42, v49
	v_addc_co_u32_e32 v41, vcc, v43, v49, vcc
	v_xor_b32_e32 v53, v40, v49
	v_xor_b32_e32 v51, v41, v49
	v_mad_u64_u32 v[40:41], s[22:23], v53, v47, 0
	v_mul_hi_u32 v55, v53, v45
	v_add_co_u32_e32 v55, vcc, v55, v40
	v_addc_co_u32_e32 v57, vcc, 0, v41, vcc
	v_mad_u64_u32 v[62:63], s[22:23], v51, v45, 0
	v_add_co_u32_e32 v45, vcc, v55, v62
	v_mad_u64_u32 v[40:41], s[22:23], v51, v47, 0
	v_addc_co_u32_e32 v45, vcc, v57, v63, vcc
	v_addc_co_u32_e32 v41, vcc, 0, v41, vcc
	v_add_co_u32_e32 v45, vcc, v45, v40
	v_addc_co_u32_e32 v47, vcc, 0, v41, vcc
	v_mul_lo_u32 v55, s31, v45
	v_mul_lo_u32 v57, s30, v47
	v_mad_u64_u32 v[40:41], s[22:23], s30, v45, 0
	v_add3_u32 v41, v41, v57, v55
	v_sub_u32_e32 v55, v51, v41
	v_mov_b32_e32 v57, s31
	v_sub_co_u32_e32 v40, vcc, v53, v40
	v_subb_co_u32_e64 v53, s[22:23], v55, v57, vcc
	v_subrev_co_u32_e64 v55, s[22:23], s30, v40
	v_subbrev_co_u32_e64 v53, s[22:23], 0, v53, s[22:23]
	v_cmp_le_u32_e64 s[22:23], s31, v53
	v_cndmask_b32_e64 v57, 0, -1, s[22:23]
	v_cmp_le_u32_e64 s[22:23], s30, v55
	v_cndmask_b32_e64 v55, 0, -1, s[22:23]
	v_cmp_eq_u32_e64 s[22:23], s31, v53
	v_cndmask_b32_e64 v53, v57, v55, s[22:23]
	v_add_co_u32_e64 v55, s[22:23], 2, v45
	v_subb_co_u32_e32 v41, vcc, v51, v41, vcc
	v_addc_co_u32_e64 v57, s[22:23], 0, v47, s[22:23]
	v_cmp_le_u32_e32 vcc, s31, v41
	v_add_co_u32_e64 v59, s[22:23], 1, v45
	v_cndmask_b32_e64 v51, 0, -1, vcc
	v_cmp_le_u32_e32 vcc, s30, v40
	v_addc_co_u32_e64 v61, s[22:23], 0, v47, s[22:23]
	v_cndmask_b32_e64 v40, 0, -1, vcc
	v_cmp_eq_u32_e32 vcc, s31, v41
	v_cmp_ne_u32_e64 s[22:23], 0, v53
	v_cndmask_b32_e32 v40, v51, v40, vcc
	v_cndmask_b32_e64 v53, v61, v57, s[22:23]
	v_cmp_ne_u32_e32 vcc, 0, v40
	v_cndmask_b32_e64 v41, v59, v55, s[22:23]
	v_cndmask_b32_e32 v40, v47, v53, vcc
	v_cndmask_b32_e32 v41, v45, v41, vcc
	v_xor_b32_e32 v45, s28, v49
	v_xor_b32_e32 v47, v40, v45
	;; [unrolled: 1-line block ×3, first 2 shown]
	v_sub_co_u32_e32 v40, vcc, v40, v45
	v_subb_co_u32_e32 v41, vcc, v47, v45, vcc
.LBB1144_259:
	s_andn2_saveexec_b64 s[22:23], s[26:27]
	s_cbranch_execz .LBB1144_261
; %bb.260:
	v_cvt_f32_u32_e32 v40, s44
	s_sub_i32 s26, 0, s44
	v_rcp_iflag_f32_e32 v40, v40
	v_mul_f32_e32 v40, 0x4f7ffffe, v40
	v_cvt_u32_f32_e32 v40, v40
	v_mul_lo_u32 v41, s26, v40
	v_mul_hi_u32 v41, v40, v41
	v_add_u32_e32 v40, v40, v41
	v_mul_hi_u32 v40, v42, v40
	v_mul_lo_u32 v41, v40, s44
	v_sub_u32_e32 v41, v42, v41
	v_add_u32_e32 v45, 1, v40
	v_subrev_u32_e32 v47, s44, v41
	v_cmp_le_u32_e32 vcc, s44, v41
	v_cndmask_b32_e32 v41, v41, v47, vcc
	v_cndmask_b32_e32 v40, v40, v45, vcc
	v_add_u32_e32 v45, 1, v40
	v_cmp_le_u32_e32 vcc, s44, v41
	v_cndmask_b32_e32 v40, v40, v45, vcc
	v_mov_b32_e32 v41, 0
.LBB1144_261:
	s_or_b64 exec, exec, s[22:23]
	v_mul_lo_u32 v45, v41, s44
	v_mul_lo_u32 v47, v40, s45
	v_mad_u64_u32 v[62:63], s[22:23], v40, s44, 0
	v_add3_u32 v45, v63, v47, v45
	v_sub_co_u32_e32 v42, vcc, v42, v62
	v_subb_co_u32_e32 v43, vcc, v43, v45, vcc
	v_add_co_u32_e32 v40, vcc, v40, v42
	v_addc_co_u32_e32 v41, vcc, v41, v43, vcc
	s_or_b64 exec, exec, s[24:25]
                                        ; implicit-def: $vgpr42_vgpr43
	s_and_saveexec_b64 s[22:23], s[20:21]
	s_cbranch_execz .LBB1144_224
.LBB1144_262:
	v_mov_b32_e32 v43, s79
	v_add_co_u32_e32 v44, vcc, s78, v44
	v_addc_co_u32_e32 v45, vcc, 0, v43, vcc
	v_mov_b32_e32 v42, 0
	v_or_b32_e32 v43, s45, v45
	v_cmp_ne_u64_e32 vcc, 0, v[42:43]
                                        ; implicit-def: $vgpr42_vgpr43
	s_and_saveexec_b64 s[20:21], vcc
	s_xor_b64 s[24:25], exec, s[20:21]
	s_cbranch_execz .LBB1144_264
; %bb.263:
	s_ashr_i32 s26, s45, 31
	s_add_u32 s20, s44, s26
	s_mov_b32 s27, s26
	s_addc_u32 s21, s45, s26
	s_xor_b64 s[28:29], s[20:21], s[26:27]
	v_cvt_f32_u32_e32 v42, s28
	v_cvt_f32_u32_e32 v43, s29
	s_sub_u32 s20, 0, s28
	s_subb_u32 s21, 0, s29
	v_madmk_f32 v42, v43, 0x4f800000, v42
	v_rcp_f32_e32 v42, v42
	v_mul_f32_e32 v42, 0x5f7ffffc, v42
	v_mul_f32_e32 v43, 0x2f800000, v42
	v_trunc_f32_e32 v43, v43
	v_madmk_f32 v42, v43, 0xcf800000, v42
	v_cvt_u32_f32_e32 v43, v43
	v_cvt_u32_f32_e32 v42, v42
	v_mul_lo_u32 v47, s20, v43
	v_mul_hi_u32 v51, s20, v42
	v_mul_lo_u32 v49, s21, v42
	v_add_u32_e32 v47, v51, v47
	v_mul_lo_u32 v53, s20, v42
	v_add_u32_e32 v47, v47, v49
	v_mul_lo_u32 v51, v42, v47
	v_mul_hi_u32 v55, v42, v53
	v_mul_hi_u32 v49, v42, v47
	v_add_co_u32_e32 v51, vcc, v55, v51
	v_addc_co_u32_e32 v49, vcc, 0, v49, vcc
	v_mul_hi_u32 v57, v43, v53
	v_mul_lo_u32 v53, v43, v53
	v_add_co_u32_e32 v51, vcc, v51, v53
	v_mul_hi_u32 v55, v43, v47
	v_addc_co_u32_e32 v49, vcc, v49, v57, vcc
	v_addc_co_u32_e32 v51, vcc, 0, v55, vcc
	v_mul_lo_u32 v47, v43, v47
	v_add_co_u32_e32 v47, vcc, v49, v47
	v_addc_co_u32_e32 v49, vcc, 0, v51, vcc
	v_add_co_u32_e32 v42, vcc, v42, v47
	v_addc_co_u32_e32 v43, vcc, v43, v49, vcc
	v_mul_lo_u32 v47, s20, v43
	v_mul_hi_u32 v49, s20, v42
	v_add_u32_e32 v47, v49, v47
	v_mul_lo_u32 v49, s21, v42
	v_add_u32_e32 v47, v47, v49
	v_mul_lo_u32 v51, s20, v42
	v_mul_hi_u32 v53, v43, v51
	v_mul_lo_u32 v55, v43, v51
	v_mul_lo_u32 v59, v42, v47
	v_mul_hi_u32 v51, v42, v51
	v_mul_hi_u32 v57, v42, v47
	v_add_co_u32_e32 v51, vcc, v51, v59
	v_addc_co_u32_e32 v57, vcc, 0, v57, vcc
	v_add_co_u32_e32 v51, vcc, v51, v55
	v_mul_hi_u32 v49, v43, v47
	v_addc_co_u32_e32 v51, vcc, v57, v53, vcc
	v_addc_co_u32_e32 v49, vcc, 0, v49, vcc
	v_mul_lo_u32 v47, v43, v47
	v_add_co_u32_e32 v47, vcc, v51, v47
	v_addc_co_u32_e32 v49, vcc, 0, v49, vcc
	v_add_co_u32_e32 v47, vcc, v42, v47
	v_addc_co_u32_e32 v49, vcc, v43, v49, vcc
	v_ashrrev_i32_e32 v51, 31, v45
	v_add_co_u32_e32 v42, vcc, v44, v51
	v_addc_co_u32_e32 v43, vcc, v45, v51, vcc
	v_xor_b32_e32 v55, v42, v51
	v_xor_b32_e32 v53, v43, v51
	v_mad_u64_u32 v[42:43], s[20:21], v55, v49, 0
	v_mul_hi_u32 v57, v55, v47
	v_add_co_u32_e32 v57, vcc, v57, v42
	v_addc_co_u32_e32 v59, vcc, 0, v43, vcc
	v_mad_u64_u32 v[62:63], s[20:21], v53, v47, 0
	v_add_co_u32_e32 v47, vcc, v57, v62
	v_mad_u64_u32 v[42:43], s[20:21], v53, v49, 0
	v_addc_co_u32_e32 v47, vcc, v59, v63, vcc
	v_addc_co_u32_e32 v43, vcc, 0, v43, vcc
	v_add_co_u32_e32 v47, vcc, v47, v42
	v_addc_co_u32_e32 v49, vcc, 0, v43, vcc
	v_mul_lo_u32 v57, s29, v47
	v_mul_lo_u32 v59, s28, v49
	v_mad_u64_u32 v[42:43], s[20:21], s28, v47, 0
	v_add3_u32 v43, v43, v59, v57
	v_sub_u32_e32 v57, v53, v43
	v_mov_b32_e32 v59, s29
	v_sub_co_u32_e32 v42, vcc, v55, v42
	v_subb_co_u32_e64 v55, s[20:21], v57, v59, vcc
	v_subrev_co_u32_e64 v57, s[20:21], s28, v42
	v_subbrev_co_u32_e64 v55, s[20:21], 0, v55, s[20:21]
	v_cmp_le_u32_e64 s[20:21], s29, v55
	v_cndmask_b32_e64 v59, 0, -1, s[20:21]
	v_cmp_le_u32_e64 s[20:21], s28, v57
	v_cndmask_b32_e64 v57, 0, -1, s[20:21]
	v_cmp_eq_u32_e64 s[20:21], s29, v55
	v_cndmask_b32_e64 v55, v59, v57, s[20:21]
	v_add_co_u32_e64 v57, s[20:21], 2, v47
	v_subb_co_u32_e32 v43, vcc, v53, v43, vcc
	v_addc_co_u32_e64 v59, s[20:21], 0, v49, s[20:21]
	v_cmp_le_u32_e32 vcc, s29, v43
	v_add_co_u32_e64 v61, s[20:21], 1, v47
	v_cndmask_b32_e64 v53, 0, -1, vcc
	v_cmp_le_u32_e32 vcc, s28, v42
	v_addc_co_u32_e64 v62, s[20:21], 0, v49, s[20:21]
	v_cndmask_b32_e64 v42, 0, -1, vcc
	v_cmp_eq_u32_e32 vcc, s29, v43
	v_cmp_ne_u32_e64 s[20:21], 0, v55
	v_cndmask_b32_e32 v42, v53, v42, vcc
	v_cndmask_b32_e64 v55, v62, v59, s[20:21]
	v_cmp_ne_u32_e32 vcc, 0, v42
	v_cndmask_b32_e64 v43, v61, v57, s[20:21]
	v_cndmask_b32_e32 v42, v49, v55, vcc
	v_cndmask_b32_e32 v43, v47, v43, vcc
	v_xor_b32_e32 v47, s26, v51
	v_xor_b32_e32 v49, v42, v47
	;; [unrolled: 1-line block ×3, first 2 shown]
	v_sub_co_u32_e32 v42, vcc, v42, v47
	v_subb_co_u32_e32 v43, vcc, v49, v47, vcc
.LBB1144_264:
	s_andn2_saveexec_b64 s[20:21], s[24:25]
	s_cbranch_execz .LBB1144_266
; %bb.265:
	v_cvt_f32_u32_e32 v42, s44
	s_sub_i32 s24, 0, s44
	v_rcp_iflag_f32_e32 v42, v42
	v_mul_f32_e32 v42, 0x4f7ffffe, v42
	v_cvt_u32_f32_e32 v42, v42
	v_mul_lo_u32 v43, s24, v42
	v_mul_hi_u32 v43, v42, v43
	v_add_u32_e32 v42, v42, v43
	v_mul_hi_u32 v42, v44, v42
	v_mul_lo_u32 v43, v42, s44
	v_sub_u32_e32 v43, v44, v43
	v_add_u32_e32 v47, 1, v42
	v_subrev_u32_e32 v49, s44, v43
	v_cmp_le_u32_e32 vcc, s44, v43
	v_cndmask_b32_e32 v43, v43, v49, vcc
	v_cndmask_b32_e32 v42, v42, v47, vcc
	v_add_u32_e32 v47, 1, v42
	v_cmp_le_u32_e32 vcc, s44, v43
	v_cndmask_b32_e32 v42, v42, v47, vcc
	v_mov_b32_e32 v43, 0
.LBB1144_266:
	s_or_b64 exec, exec, s[20:21]
	v_mul_lo_u32 v47, v43, s44
	v_mul_lo_u32 v49, v42, s45
	v_mad_u64_u32 v[62:63], s[20:21], v42, s44, 0
	v_add3_u32 v47, v63, v49, v47
	v_sub_co_u32_e32 v44, vcc, v44, v62
	v_subb_co_u32_e32 v45, vcc, v45, v47, vcc
	v_add_co_u32_e32 v42, vcc, v42, v44
	v_addc_co_u32_e32 v43, vcc, v43, v45, vcc
	s_or_b64 exec, exec, s[22:23]
                                        ; implicit-def: $vgpr44_vgpr45
	s_and_saveexec_b64 s[20:21], s[18:19]
	s_cbranch_execz .LBB1144_225
.LBB1144_267:
	v_mov_b32_e32 v45, s79
	v_add_co_u32_e32 v46, vcc, s78, v46
	v_addc_co_u32_e32 v47, vcc, 0, v45, vcc
	v_mov_b32_e32 v44, 0
	v_or_b32_e32 v45, s45, v47
	v_cmp_ne_u64_e32 vcc, 0, v[44:45]
                                        ; implicit-def: $vgpr44_vgpr45
	s_and_saveexec_b64 s[18:19], vcc
	s_xor_b64 s[22:23], exec, s[18:19]
	s_cbranch_execz .LBB1144_269
; %bb.268:
	s_ashr_i32 s24, s45, 31
	s_add_u32 s18, s44, s24
	s_mov_b32 s25, s24
	s_addc_u32 s19, s45, s24
	s_xor_b64 s[26:27], s[18:19], s[24:25]
	v_cvt_f32_u32_e32 v44, s26
	v_cvt_f32_u32_e32 v45, s27
	s_sub_u32 s18, 0, s26
	s_subb_u32 s19, 0, s27
	v_madmk_f32 v44, v45, 0x4f800000, v44
	v_rcp_f32_e32 v44, v44
	v_mul_f32_e32 v44, 0x5f7ffffc, v44
	v_mul_f32_e32 v45, 0x2f800000, v44
	v_trunc_f32_e32 v45, v45
	v_madmk_f32 v44, v45, 0xcf800000, v44
	v_cvt_u32_f32_e32 v45, v45
	v_cvt_u32_f32_e32 v44, v44
	v_mul_lo_u32 v49, s18, v45
	v_mul_hi_u32 v53, s18, v44
	v_mul_lo_u32 v51, s19, v44
	v_add_u32_e32 v49, v53, v49
	v_mul_lo_u32 v55, s18, v44
	v_add_u32_e32 v49, v49, v51
	v_mul_lo_u32 v53, v44, v49
	v_mul_hi_u32 v57, v44, v55
	v_mul_hi_u32 v51, v44, v49
	v_add_co_u32_e32 v53, vcc, v57, v53
	v_addc_co_u32_e32 v51, vcc, 0, v51, vcc
	v_mul_hi_u32 v59, v45, v55
	v_mul_lo_u32 v55, v45, v55
	v_add_co_u32_e32 v53, vcc, v53, v55
	v_mul_hi_u32 v57, v45, v49
	v_addc_co_u32_e32 v51, vcc, v51, v59, vcc
	v_addc_co_u32_e32 v53, vcc, 0, v57, vcc
	v_mul_lo_u32 v49, v45, v49
	v_add_co_u32_e32 v49, vcc, v51, v49
	v_addc_co_u32_e32 v51, vcc, 0, v53, vcc
	v_add_co_u32_e32 v44, vcc, v44, v49
	v_addc_co_u32_e32 v45, vcc, v45, v51, vcc
	v_mul_lo_u32 v49, s18, v45
	v_mul_hi_u32 v51, s18, v44
	v_add_u32_e32 v49, v51, v49
	v_mul_lo_u32 v51, s19, v44
	v_add_u32_e32 v49, v49, v51
	v_mul_lo_u32 v53, s18, v44
	v_mul_hi_u32 v55, v45, v53
	v_mul_lo_u32 v57, v45, v53
	v_mul_lo_u32 v61, v44, v49
	v_mul_hi_u32 v53, v44, v53
	v_mul_hi_u32 v59, v44, v49
	v_add_co_u32_e32 v53, vcc, v53, v61
	v_addc_co_u32_e32 v59, vcc, 0, v59, vcc
	v_add_co_u32_e32 v53, vcc, v53, v57
	v_mul_hi_u32 v51, v45, v49
	v_addc_co_u32_e32 v53, vcc, v59, v55, vcc
	v_addc_co_u32_e32 v51, vcc, 0, v51, vcc
	v_mul_lo_u32 v49, v45, v49
	v_add_co_u32_e32 v49, vcc, v53, v49
	v_addc_co_u32_e32 v51, vcc, 0, v51, vcc
	v_add_co_u32_e32 v49, vcc, v44, v49
	v_addc_co_u32_e32 v51, vcc, v45, v51, vcc
	v_ashrrev_i32_e32 v53, 31, v47
	v_add_co_u32_e32 v44, vcc, v46, v53
	v_addc_co_u32_e32 v45, vcc, v47, v53, vcc
	v_xor_b32_e32 v57, v44, v53
	v_xor_b32_e32 v55, v45, v53
	v_mad_u64_u32 v[44:45], s[18:19], v57, v51, 0
	v_mul_hi_u32 v59, v57, v49
	v_add_co_u32_e32 v59, vcc, v59, v44
	v_addc_co_u32_e32 v61, vcc, 0, v45, vcc
	v_mad_u64_u32 v[62:63], s[18:19], v55, v49, 0
	v_add_co_u32_e32 v49, vcc, v59, v62
	v_mad_u64_u32 v[44:45], s[18:19], v55, v51, 0
	v_addc_co_u32_e32 v49, vcc, v61, v63, vcc
	v_addc_co_u32_e32 v45, vcc, 0, v45, vcc
	v_add_co_u32_e32 v49, vcc, v49, v44
	v_addc_co_u32_e32 v51, vcc, 0, v45, vcc
	v_mul_lo_u32 v59, s27, v49
	v_mul_lo_u32 v61, s26, v51
	v_mad_u64_u32 v[44:45], s[18:19], s26, v49, 0
	v_add3_u32 v45, v45, v61, v59
	v_sub_u32_e32 v59, v55, v45
	v_mov_b32_e32 v61, s27
	v_sub_co_u32_e32 v44, vcc, v57, v44
	v_subb_co_u32_e64 v57, s[18:19], v59, v61, vcc
	v_subrev_co_u32_e64 v59, s[18:19], s26, v44
	v_subbrev_co_u32_e64 v57, s[18:19], 0, v57, s[18:19]
	v_cmp_le_u32_e64 s[18:19], s27, v57
	v_cndmask_b32_e64 v61, 0, -1, s[18:19]
	v_cmp_le_u32_e64 s[18:19], s26, v59
	v_cndmask_b32_e64 v59, 0, -1, s[18:19]
	v_cmp_eq_u32_e64 s[18:19], s27, v57
	v_cndmask_b32_e64 v57, v61, v59, s[18:19]
	v_add_co_u32_e64 v59, s[18:19], 2, v49
	v_subb_co_u32_e32 v45, vcc, v55, v45, vcc
	v_addc_co_u32_e64 v61, s[18:19], 0, v51, s[18:19]
	v_cmp_le_u32_e32 vcc, s27, v45
	v_add_co_u32_e64 v62, s[18:19], 1, v49
	v_cndmask_b32_e64 v55, 0, -1, vcc
	v_cmp_le_u32_e32 vcc, s26, v44
	v_addc_co_u32_e64 v63, s[18:19], 0, v51, s[18:19]
	v_cndmask_b32_e64 v44, 0, -1, vcc
	v_cmp_eq_u32_e32 vcc, s27, v45
	v_cmp_ne_u32_e64 s[18:19], 0, v57
	v_cndmask_b32_e32 v44, v55, v44, vcc
	v_cndmask_b32_e64 v57, v63, v61, s[18:19]
	v_cmp_ne_u32_e32 vcc, 0, v44
	v_cndmask_b32_e64 v45, v62, v59, s[18:19]
	v_cndmask_b32_e32 v44, v51, v57, vcc
	v_cndmask_b32_e32 v45, v49, v45, vcc
	v_xor_b32_e32 v49, s24, v53
	v_xor_b32_e32 v51, v44, v49
	;; [unrolled: 1-line block ×3, first 2 shown]
	v_sub_co_u32_e32 v44, vcc, v44, v49
	v_subb_co_u32_e32 v45, vcc, v51, v49, vcc
.LBB1144_269:
	s_andn2_saveexec_b64 s[18:19], s[22:23]
	s_cbranch_execz .LBB1144_271
; %bb.270:
	v_cvt_f32_u32_e32 v44, s44
	s_sub_i32 s22, 0, s44
	v_rcp_iflag_f32_e32 v44, v44
	v_mul_f32_e32 v44, 0x4f7ffffe, v44
	v_cvt_u32_f32_e32 v44, v44
	v_mul_lo_u32 v45, s22, v44
	v_mul_hi_u32 v45, v44, v45
	v_add_u32_e32 v44, v44, v45
	v_mul_hi_u32 v44, v46, v44
	v_mul_lo_u32 v45, v44, s44
	v_sub_u32_e32 v45, v46, v45
	v_add_u32_e32 v49, 1, v44
	v_subrev_u32_e32 v51, s44, v45
	v_cmp_le_u32_e32 vcc, s44, v45
	v_cndmask_b32_e32 v45, v45, v51, vcc
	v_cndmask_b32_e32 v44, v44, v49, vcc
	v_add_u32_e32 v49, 1, v44
	v_cmp_le_u32_e32 vcc, s44, v45
	v_cndmask_b32_e32 v44, v44, v49, vcc
	v_mov_b32_e32 v45, 0
.LBB1144_271:
	s_or_b64 exec, exec, s[18:19]
	v_mul_lo_u32 v49, v45, s44
	v_mul_lo_u32 v51, v44, s45
	v_mad_u64_u32 v[62:63], s[18:19], v44, s44, 0
	v_add3_u32 v49, v63, v51, v49
	v_sub_co_u32_e32 v46, vcc, v46, v62
	v_subb_co_u32_e32 v47, vcc, v47, v49, vcc
	v_add_co_u32_e32 v44, vcc, v44, v46
	v_addc_co_u32_e32 v45, vcc, v45, v47, vcc
	s_or_b64 exec, exec, s[20:21]
                                        ; implicit-def: $vgpr46_vgpr47
	s_and_saveexec_b64 s[18:19], s[16:17]
	s_cbranch_execz .LBB1144_226
.LBB1144_272:
	v_mov_b32_e32 v47, s79
	v_add_co_u32_e32 v48, vcc, s78, v48
	v_addc_co_u32_e32 v49, vcc, 0, v47, vcc
	v_mov_b32_e32 v46, 0
	v_or_b32_e32 v47, s45, v49
	v_cmp_ne_u64_e32 vcc, 0, v[46:47]
                                        ; implicit-def: $vgpr46_vgpr47
	s_and_saveexec_b64 s[16:17], vcc
	s_xor_b64 s[20:21], exec, s[16:17]
	s_cbranch_execz .LBB1144_274
; %bb.273:
	s_ashr_i32 s22, s45, 31
	s_add_u32 s16, s44, s22
	s_mov_b32 s23, s22
	s_addc_u32 s17, s45, s22
	s_xor_b64 s[24:25], s[16:17], s[22:23]
	v_cvt_f32_u32_e32 v46, s24
	v_cvt_f32_u32_e32 v47, s25
	s_sub_u32 s16, 0, s24
	s_subb_u32 s17, 0, s25
	v_madmk_f32 v46, v47, 0x4f800000, v46
	v_rcp_f32_e32 v46, v46
	v_mul_f32_e32 v46, 0x5f7ffffc, v46
	v_mul_f32_e32 v47, 0x2f800000, v46
	v_trunc_f32_e32 v47, v47
	v_madmk_f32 v46, v47, 0xcf800000, v46
	v_cvt_u32_f32_e32 v47, v47
	v_cvt_u32_f32_e32 v46, v46
	v_mul_lo_u32 v51, s16, v47
	v_mul_hi_u32 v55, s16, v46
	v_mul_lo_u32 v53, s17, v46
	v_add_u32_e32 v51, v55, v51
	v_mul_lo_u32 v57, s16, v46
	v_add_u32_e32 v51, v51, v53
	v_mul_lo_u32 v55, v46, v51
	v_mul_hi_u32 v59, v46, v57
	v_mul_hi_u32 v53, v46, v51
	v_add_co_u32_e32 v55, vcc, v59, v55
	v_addc_co_u32_e32 v53, vcc, 0, v53, vcc
	v_mul_hi_u32 v61, v47, v57
	v_mul_lo_u32 v57, v47, v57
	v_add_co_u32_e32 v55, vcc, v55, v57
	v_mul_hi_u32 v59, v47, v51
	v_addc_co_u32_e32 v53, vcc, v53, v61, vcc
	v_addc_co_u32_e32 v55, vcc, 0, v59, vcc
	v_mul_lo_u32 v51, v47, v51
	v_add_co_u32_e32 v51, vcc, v53, v51
	v_addc_co_u32_e32 v53, vcc, 0, v55, vcc
	v_add_co_u32_e32 v46, vcc, v46, v51
	v_addc_co_u32_e32 v47, vcc, v47, v53, vcc
	v_mul_lo_u32 v51, s16, v47
	v_mul_hi_u32 v53, s16, v46
	v_add_u32_e32 v51, v53, v51
	v_mul_lo_u32 v53, s17, v46
	v_add_u32_e32 v51, v51, v53
	v_mul_lo_u32 v55, s16, v46
	v_mul_hi_u32 v57, v47, v55
	v_mul_lo_u32 v59, v47, v55
	v_mul_lo_u32 v62, v46, v51
	v_mul_hi_u32 v55, v46, v55
	v_mul_hi_u32 v61, v46, v51
	v_add_co_u32_e32 v55, vcc, v55, v62
	v_addc_co_u32_e32 v61, vcc, 0, v61, vcc
	v_add_co_u32_e32 v55, vcc, v55, v59
	v_mul_hi_u32 v53, v47, v51
	v_addc_co_u32_e32 v55, vcc, v61, v57, vcc
	v_addc_co_u32_e32 v53, vcc, 0, v53, vcc
	v_mul_lo_u32 v51, v47, v51
	v_add_co_u32_e32 v51, vcc, v55, v51
	v_addc_co_u32_e32 v53, vcc, 0, v53, vcc
	v_add_co_u32_e32 v51, vcc, v46, v51
	v_addc_co_u32_e32 v53, vcc, v47, v53, vcc
	v_ashrrev_i32_e32 v55, 31, v49
	v_add_co_u32_e32 v46, vcc, v48, v55
	v_addc_co_u32_e32 v47, vcc, v49, v55, vcc
	v_xor_b32_e32 v59, v46, v55
	v_xor_b32_e32 v57, v47, v55
	v_mad_u64_u32 v[46:47], s[16:17], v59, v53, 0
	v_mul_hi_u32 v61, v59, v51
	v_add_co_u32_e32 v61, vcc, v61, v46
	v_addc_co_u32_e32 v64, vcc, 0, v47, vcc
	v_mad_u64_u32 v[62:63], s[16:17], v57, v51, 0
	v_add_co_u32_e32 v51, vcc, v61, v62
	v_mad_u64_u32 v[46:47], s[16:17], v57, v53, 0
	v_addc_co_u32_e32 v51, vcc, v64, v63, vcc
	v_addc_co_u32_e32 v47, vcc, 0, v47, vcc
	v_add_co_u32_e32 v51, vcc, v51, v46
	v_addc_co_u32_e32 v53, vcc, 0, v47, vcc
	v_mul_lo_u32 v61, s25, v51
	v_mul_lo_u32 v62, s24, v53
	v_mad_u64_u32 v[46:47], s[16:17], s24, v51, 0
	v_add3_u32 v47, v47, v62, v61
	v_sub_u32_e32 v61, v57, v47
	v_mov_b32_e32 v62, s25
	v_sub_co_u32_e32 v46, vcc, v59, v46
	v_subb_co_u32_e64 v59, s[16:17], v61, v62, vcc
	v_subrev_co_u32_e64 v61, s[16:17], s24, v46
	v_subbrev_co_u32_e64 v59, s[16:17], 0, v59, s[16:17]
	v_cmp_le_u32_e64 s[16:17], s25, v59
	v_cndmask_b32_e64 v62, 0, -1, s[16:17]
	v_cmp_le_u32_e64 s[16:17], s24, v61
	v_cndmask_b32_e64 v61, 0, -1, s[16:17]
	v_cmp_eq_u32_e64 s[16:17], s25, v59
	v_cndmask_b32_e64 v59, v62, v61, s[16:17]
	v_add_co_u32_e64 v61, s[16:17], 2, v51
	v_subb_co_u32_e32 v47, vcc, v57, v47, vcc
	v_addc_co_u32_e64 v62, s[16:17], 0, v53, s[16:17]
	v_cmp_le_u32_e32 vcc, s25, v47
	v_add_co_u32_e64 v63, s[16:17], 1, v51
	v_cndmask_b32_e64 v57, 0, -1, vcc
	v_cmp_le_u32_e32 vcc, s24, v46
	v_addc_co_u32_e64 v64, s[16:17], 0, v53, s[16:17]
	v_cndmask_b32_e64 v46, 0, -1, vcc
	v_cmp_eq_u32_e32 vcc, s25, v47
	v_cmp_ne_u32_e64 s[16:17], 0, v59
	v_cndmask_b32_e32 v46, v57, v46, vcc
	v_cndmask_b32_e64 v59, v64, v62, s[16:17]
	v_cmp_ne_u32_e32 vcc, 0, v46
	v_cndmask_b32_e64 v47, v63, v61, s[16:17]
	v_cndmask_b32_e32 v46, v53, v59, vcc
	v_cndmask_b32_e32 v47, v51, v47, vcc
	v_xor_b32_e32 v51, s22, v55
	v_xor_b32_e32 v53, v46, v51
	;; [unrolled: 1-line block ×3, first 2 shown]
	v_sub_co_u32_e32 v46, vcc, v46, v51
	v_subb_co_u32_e32 v47, vcc, v53, v51, vcc
.LBB1144_274:
	s_andn2_saveexec_b64 s[16:17], s[20:21]
	s_cbranch_execz .LBB1144_276
; %bb.275:
	v_cvt_f32_u32_e32 v46, s44
	s_sub_i32 s20, 0, s44
	v_rcp_iflag_f32_e32 v46, v46
	v_mul_f32_e32 v46, 0x4f7ffffe, v46
	v_cvt_u32_f32_e32 v46, v46
	v_mul_lo_u32 v47, s20, v46
	v_mul_hi_u32 v47, v46, v47
	v_add_u32_e32 v46, v46, v47
	v_mul_hi_u32 v46, v48, v46
	v_mul_lo_u32 v47, v46, s44
	v_sub_u32_e32 v47, v48, v47
	v_add_u32_e32 v51, 1, v46
	v_subrev_u32_e32 v53, s44, v47
	v_cmp_le_u32_e32 vcc, s44, v47
	v_cndmask_b32_e32 v47, v47, v53, vcc
	v_cndmask_b32_e32 v46, v46, v51, vcc
	v_add_u32_e32 v51, 1, v46
	v_cmp_le_u32_e32 vcc, s44, v47
	v_cndmask_b32_e32 v46, v46, v51, vcc
	v_mov_b32_e32 v47, 0
.LBB1144_276:
	s_or_b64 exec, exec, s[16:17]
	v_mul_lo_u32 v51, v47, s44
	v_mul_lo_u32 v53, v46, s45
	v_mad_u64_u32 v[62:63], s[16:17], v46, s44, 0
	v_add3_u32 v51, v63, v53, v51
	v_sub_co_u32_e32 v48, vcc, v48, v62
	v_subb_co_u32_e32 v49, vcc, v49, v51, vcc
	v_add_co_u32_e32 v46, vcc, v46, v48
	v_addc_co_u32_e32 v47, vcc, v47, v49, vcc
	s_or_b64 exec, exec, s[18:19]
                                        ; implicit-def: $vgpr48_vgpr49
	s_and_saveexec_b64 s[16:17], s[14:15]
	s_cbranch_execz .LBB1144_227
.LBB1144_277:
	v_mov_b32_e32 v49, s79
	v_add_co_u32_e32 v50, vcc, s78, v50
	v_addc_co_u32_e32 v51, vcc, 0, v49, vcc
	v_mov_b32_e32 v48, 0
	v_or_b32_e32 v49, s45, v51
	v_cmp_ne_u64_e32 vcc, 0, v[48:49]
                                        ; implicit-def: $vgpr48_vgpr49
	s_and_saveexec_b64 s[14:15], vcc
	s_xor_b64 s[18:19], exec, s[14:15]
	s_cbranch_execz .LBB1144_279
; %bb.278:
	s_ashr_i32 s20, s45, 31
	s_add_u32 s14, s44, s20
	s_mov_b32 s21, s20
	s_addc_u32 s15, s45, s20
	s_xor_b64 s[22:23], s[14:15], s[20:21]
	v_cvt_f32_u32_e32 v48, s22
	v_cvt_f32_u32_e32 v49, s23
	s_sub_u32 s14, 0, s22
	s_subb_u32 s15, 0, s23
	v_madmk_f32 v48, v49, 0x4f800000, v48
	v_rcp_f32_e32 v48, v48
	v_mul_f32_e32 v48, 0x5f7ffffc, v48
	v_mul_f32_e32 v49, 0x2f800000, v48
	v_trunc_f32_e32 v49, v49
	v_madmk_f32 v48, v49, 0xcf800000, v48
	v_cvt_u32_f32_e32 v49, v49
	v_cvt_u32_f32_e32 v48, v48
	v_mul_lo_u32 v53, s14, v49
	v_mul_hi_u32 v57, s14, v48
	v_mul_lo_u32 v55, s15, v48
	v_add_u32_e32 v53, v57, v53
	v_mul_lo_u32 v59, s14, v48
	v_add_u32_e32 v53, v53, v55
	v_mul_lo_u32 v57, v48, v53
	v_mul_hi_u32 v61, v48, v59
	v_mul_hi_u32 v55, v48, v53
	v_add_co_u32_e32 v57, vcc, v61, v57
	v_addc_co_u32_e32 v55, vcc, 0, v55, vcc
	v_mul_hi_u32 v62, v49, v59
	v_mul_lo_u32 v59, v49, v59
	v_add_co_u32_e32 v57, vcc, v57, v59
	v_mul_hi_u32 v61, v49, v53
	v_addc_co_u32_e32 v55, vcc, v55, v62, vcc
	v_addc_co_u32_e32 v57, vcc, 0, v61, vcc
	v_mul_lo_u32 v53, v49, v53
	v_add_co_u32_e32 v53, vcc, v55, v53
	v_addc_co_u32_e32 v55, vcc, 0, v57, vcc
	v_add_co_u32_e32 v48, vcc, v48, v53
	v_addc_co_u32_e32 v49, vcc, v49, v55, vcc
	v_mul_lo_u32 v53, s14, v49
	v_mul_hi_u32 v55, s14, v48
	v_add_u32_e32 v53, v55, v53
	v_mul_lo_u32 v55, s15, v48
	v_add_u32_e32 v53, v53, v55
	v_mul_lo_u32 v57, s14, v48
	v_mul_hi_u32 v59, v49, v57
	v_mul_lo_u32 v61, v49, v57
	v_mul_lo_u32 v63, v48, v53
	v_mul_hi_u32 v57, v48, v57
	v_mul_hi_u32 v62, v48, v53
	v_add_co_u32_e32 v57, vcc, v57, v63
	v_addc_co_u32_e32 v62, vcc, 0, v62, vcc
	v_add_co_u32_e32 v57, vcc, v57, v61
	v_mul_hi_u32 v55, v49, v53
	v_addc_co_u32_e32 v57, vcc, v62, v59, vcc
	v_addc_co_u32_e32 v55, vcc, 0, v55, vcc
	v_mul_lo_u32 v53, v49, v53
	v_add_co_u32_e32 v53, vcc, v57, v53
	v_addc_co_u32_e32 v55, vcc, 0, v55, vcc
	v_add_co_u32_e32 v53, vcc, v48, v53
	v_addc_co_u32_e32 v55, vcc, v49, v55, vcc
	v_ashrrev_i32_e32 v57, 31, v51
	v_add_co_u32_e32 v48, vcc, v50, v57
	v_addc_co_u32_e32 v49, vcc, v51, v57, vcc
	v_xor_b32_e32 v61, v48, v57
	v_xor_b32_e32 v59, v49, v57
	v_mad_u64_u32 v[48:49], s[14:15], v61, v55, 0
	v_mul_hi_u32 v62, v61, v53
	v_add_co_u32_e32 v64, vcc, v62, v48
	v_addc_co_u32_e32 v65, vcc, 0, v49, vcc
	v_mad_u64_u32 v[62:63], s[14:15], v59, v53, 0
	v_add_co_u32_e32 v53, vcc, v64, v62
	v_mad_u64_u32 v[48:49], s[14:15], v59, v55, 0
	v_addc_co_u32_e32 v53, vcc, v65, v63, vcc
	v_addc_co_u32_e32 v49, vcc, 0, v49, vcc
	v_add_co_u32_e32 v53, vcc, v53, v48
	v_addc_co_u32_e32 v55, vcc, 0, v49, vcc
	v_mul_lo_u32 v62, s23, v53
	v_mul_lo_u32 v63, s22, v55
	v_mad_u64_u32 v[48:49], s[14:15], s22, v53, 0
	v_add3_u32 v49, v49, v63, v62
	v_sub_u32_e32 v62, v59, v49
	v_mov_b32_e32 v63, s23
	v_sub_co_u32_e32 v48, vcc, v61, v48
	v_subb_co_u32_e64 v61, s[14:15], v62, v63, vcc
	v_subrev_co_u32_e64 v62, s[14:15], s22, v48
	v_subbrev_co_u32_e64 v61, s[14:15], 0, v61, s[14:15]
	v_cmp_le_u32_e64 s[14:15], s23, v61
	v_cndmask_b32_e64 v63, 0, -1, s[14:15]
	v_cmp_le_u32_e64 s[14:15], s22, v62
	v_cndmask_b32_e64 v62, 0, -1, s[14:15]
	v_cmp_eq_u32_e64 s[14:15], s23, v61
	v_cndmask_b32_e64 v61, v63, v62, s[14:15]
	v_add_co_u32_e64 v62, s[14:15], 2, v53
	v_subb_co_u32_e32 v49, vcc, v59, v49, vcc
	v_addc_co_u32_e64 v63, s[14:15], 0, v55, s[14:15]
	v_cmp_le_u32_e32 vcc, s23, v49
	v_add_co_u32_e64 v64, s[14:15], 1, v53
	v_cndmask_b32_e64 v59, 0, -1, vcc
	v_cmp_le_u32_e32 vcc, s22, v48
	v_addc_co_u32_e64 v65, s[14:15], 0, v55, s[14:15]
	v_cndmask_b32_e64 v48, 0, -1, vcc
	v_cmp_eq_u32_e32 vcc, s23, v49
	v_cmp_ne_u32_e64 s[14:15], 0, v61
	v_cndmask_b32_e32 v48, v59, v48, vcc
	v_cndmask_b32_e64 v61, v65, v63, s[14:15]
	v_cmp_ne_u32_e32 vcc, 0, v48
	v_cndmask_b32_e64 v49, v64, v62, s[14:15]
	v_cndmask_b32_e32 v48, v55, v61, vcc
	v_cndmask_b32_e32 v49, v53, v49, vcc
	v_xor_b32_e32 v53, s20, v57
	v_xor_b32_e32 v55, v48, v53
	;; [unrolled: 1-line block ×3, first 2 shown]
	v_sub_co_u32_e32 v48, vcc, v48, v53
	v_subb_co_u32_e32 v49, vcc, v55, v53, vcc
.LBB1144_279:
	s_andn2_saveexec_b64 s[14:15], s[18:19]
	s_cbranch_execz .LBB1144_281
; %bb.280:
	v_cvt_f32_u32_e32 v48, s44
	s_sub_i32 s18, 0, s44
	v_rcp_iflag_f32_e32 v48, v48
	v_mul_f32_e32 v48, 0x4f7ffffe, v48
	v_cvt_u32_f32_e32 v48, v48
	v_mul_lo_u32 v49, s18, v48
	v_mul_hi_u32 v49, v48, v49
	v_add_u32_e32 v48, v48, v49
	v_mul_hi_u32 v48, v50, v48
	v_mul_lo_u32 v49, v48, s44
	v_sub_u32_e32 v49, v50, v49
	v_add_u32_e32 v53, 1, v48
	v_subrev_u32_e32 v55, s44, v49
	v_cmp_le_u32_e32 vcc, s44, v49
	v_cndmask_b32_e32 v49, v49, v55, vcc
	v_cndmask_b32_e32 v48, v48, v53, vcc
	v_add_u32_e32 v53, 1, v48
	v_cmp_le_u32_e32 vcc, s44, v49
	v_cndmask_b32_e32 v48, v48, v53, vcc
	v_mov_b32_e32 v49, 0
.LBB1144_281:
	s_or_b64 exec, exec, s[14:15]
	v_mul_lo_u32 v53, v49, s44
	v_mul_lo_u32 v55, v48, s45
	v_mad_u64_u32 v[62:63], s[14:15], v48, s44, 0
	v_add3_u32 v53, v63, v55, v53
	v_sub_co_u32_e32 v50, vcc, v50, v62
	v_subb_co_u32_e32 v51, vcc, v51, v53, vcc
	v_add_co_u32_e32 v48, vcc, v48, v50
	v_addc_co_u32_e32 v49, vcc, v49, v51, vcc
	s_or_b64 exec, exec, s[16:17]
                                        ; implicit-def: $vgpr50_vgpr51
	s_and_saveexec_b64 s[14:15], s[12:13]
	s_cbranch_execz .LBB1144_228
.LBB1144_282:
	v_mov_b32_e32 v51, s79
	v_add_co_u32_e32 v52, vcc, s78, v52
	v_addc_co_u32_e32 v53, vcc, 0, v51, vcc
	v_mov_b32_e32 v50, 0
	v_or_b32_e32 v51, s45, v53
	v_cmp_ne_u64_e32 vcc, 0, v[50:51]
                                        ; implicit-def: $vgpr50_vgpr51
	s_and_saveexec_b64 s[12:13], vcc
	s_xor_b64 s[16:17], exec, s[12:13]
	s_cbranch_execz .LBB1144_284
; %bb.283:
	s_ashr_i32 s18, s45, 31
	s_add_u32 s12, s44, s18
	s_mov_b32 s19, s18
	s_addc_u32 s13, s45, s18
	s_xor_b64 s[20:21], s[12:13], s[18:19]
	v_cvt_f32_u32_e32 v50, s20
	v_cvt_f32_u32_e32 v51, s21
	s_sub_u32 s12, 0, s20
	s_subb_u32 s13, 0, s21
	v_madmk_f32 v50, v51, 0x4f800000, v50
	v_rcp_f32_e32 v50, v50
	v_mul_f32_e32 v50, 0x5f7ffffc, v50
	v_mul_f32_e32 v51, 0x2f800000, v50
	v_trunc_f32_e32 v51, v51
	v_madmk_f32 v50, v51, 0xcf800000, v50
	v_cvt_u32_f32_e32 v51, v51
	v_cvt_u32_f32_e32 v50, v50
	v_mul_lo_u32 v55, s12, v51
	v_mul_hi_u32 v59, s12, v50
	v_mul_lo_u32 v57, s13, v50
	v_add_u32_e32 v55, v59, v55
	v_mul_lo_u32 v61, s12, v50
	v_add_u32_e32 v55, v55, v57
	v_mul_lo_u32 v59, v50, v55
	v_mul_hi_u32 v62, v50, v61
	v_mul_hi_u32 v57, v50, v55
	v_add_co_u32_e32 v59, vcc, v62, v59
	v_addc_co_u32_e32 v57, vcc, 0, v57, vcc
	v_mul_hi_u32 v63, v51, v61
	v_mul_lo_u32 v61, v51, v61
	v_add_co_u32_e32 v59, vcc, v59, v61
	v_mul_hi_u32 v62, v51, v55
	v_addc_co_u32_e32 v57, vcc, v57, v63, vcc
	v_addc_co_u32_e32 v59, vcc, 0, v62, vcc
	v_mul_lo_u32 v55, v51, v55
	v_add_co_u32_e32 v55, vcc, v57, v55
	v_addc_co_u32_e32 v57, vcc, 0, v59, vcc
	v_add_co_u32_e32 v50, vcc, v50, v55
	v_addc_co_u32_e32 v51, vcc, v51, v57, vcc
	v_mul_lo_u32 v55, s12, v51
	v_mul_hi_u32 v57, s12, v50
	v_add_u32_e32 v55, v57, v55
	v_mul_lo_u32 v57, s13, v50
	v_add_u32_e32 v55, v55, v57
	v_mul_lo_u32 v59, s12, v50
	v_mul_hi_u32 v61, v51, v59
	v_mul_lo_u32 v62, v51, v59
	v_mul_lo_u32 v64, v50, v55
	v_mul_hi_u32 v59, v50, v59
	v_mul_hi_u32 v63, v50, v55
	v_add_co_u32_e32 v59, vcc, v59, v64
	v_addc_co_u32_e32 v63, vcc, 0, v63, vcc
	v_add_co_u32_e32 v59, vcc, v59, v62
	v_mul_hi_u32 v57, v51, v55
	v_addc_co_u32_e32 v59, vcc, v63, v61, vcc
	v_addc_co_u32_e32 v57, vcc, 0, v57, vcc
	v_mul_lo_u32 v55, v51, v55
	v_add_co_u32_e32 v55, vcc, v59, v55
	v_addc_co_u32_e32 v57, vcc, 0, v57, vcc
	v_add_co_u32_e32 v55, vcc, v50, v55
	v_addc_co_u32_e32 v57, vcc, v51, v57, vcc
	v_ashrrev_i32_e32 v59, 31, v53
	v_add_co_u32_e32 v50, vcc, v52, v59
	v_addc_co_u32_e32 v51, vcc, v53, v59, vcc
	v_xor_b32_e32 v64, v50, v59
	v_xor_b32_e32 v61, v51, v59
	v_mad_u64_u32 v[50:51], s[12:13], v64, v57, 0
	v_mul_hi_u32 v62, v64, v55
	v_add_co_u32_e32 v65, vcc, v62, v50
	v_addc_co_u32_e32 v66, vcc, 0, v51, vcc
	v_mad_u64_u32 v[62:63], s[12:13], v61, v55, 0
	v_add_co_u32_e32 v55, vcc, v65, v62
	v_mad_u64_u32 v[50:51], s[12:13], v61, v57, 0
	v_addc_co_u32_e32 v55, vcc, v66, v63, vcc
	v_addc_co_u32_e32 v51, vcc, 0, v51, vcc
	v_add_co_u32_e32 v55, vcc, v55, v50
	v_addc_co_u32_e32 v57, vcc, 0, v51, vcc
	v_mul_lo_u32 v62, s21, v55
	v_mul_lo_u32 v63, s20, v57
	v_mad_u64_u32 v[50:51], s[12:13], s20, v55, 0
	v_add3_u32 v51, v51, v63, v62
	v_sub_u32_e32 v62, v61, v51
	v_mov_b32_e32 v63, s21
	v_sub_co_u32_e32 v50, vcc, v64, v50
	v_subb_co_u32_e64 v62, s[12:13], v62, v63, vcc
	v_subrev_co_u32_e64 v63, s[12:13], s20, v50
	v_subbrev_co_u32_e64 v62, s[12:13], 0, v62, s[12:13]
	v_cmp_le_u32_e64 s[12:13], s21, v62
	v_cndmask_b32_e64 v64, 0, -1, s[12:13]
	v_cmp_le_u32_e64 s[12:13], s20, v63
	v_cndmask_b32_e64 v63, 0, -1, s[12:13]
	v_cmp_eq_u32_e64 s[12:13], s21, v62
	v_cndmask_b32_e64 v62, v64, v63, s[12:13]
	v_add_co_u32_e64 v63, s[12:13], 2, v55
	v_subb_co_u32_e32 v51, vcc, v61, v51, vcc
	v_addc_co_u32_e64 v64, s[12:13], 0, v57, s[12:13]
	v_cmp_le_u32_e32 vcc, s21, v51
	v_add_co_u32_e64 v65, s[12:13], 1, v55
	v_cndmask_b32_e64 v61, 0, -1, vcc
	v_cmp_le_u32_e32 vcc, s20, v50
	v_addc_co_u32_e64 v66, s[12:13], 0, v57, s[12:13]
	v_cndmask_b32_e64 v50, 0, -1, vcc
	v_cmp_eq_u32_e32 vcc, s21, v51
	v_cmp_ne_u32_e64 s[12:13], 0, v62
	v_cndmask_b32_e32 v50, v61, v50, vcc
	v_cndmask_b32_e64 v62, v66, v64, s[12:13]
	v_cmp_ne_u32_e32 vcc, 0, v50
	v_cndmask_b32_e64 v51, v65, v63, s[12:13]
	v_cndmask_b32_e32 v50, v57, v62, vcc
	v_cndmask_b32_e32 v51, v55, v51, vcc
	v_xor_b32_e32 v55, s18, v59
	v_xor_b32_e32 v57, v50, v55
	;; [unrolled: 1-line block ×3, first 2 shown]
	v_sub_co_u32_e32 v50, vcc, v50, v55
	v_subb_co_u32_e32 v51, vcc, v57, v55, vcc
.LBB1144_284:
	s_andn2_saveexec_b64 s[12:13], s[16:17]
	s_cbranch_execz .LBB1144_286
; %bb.285:
	v_cvt_f32_u32_e32 v50, s44
	s_sub_i32 s16, 0, s44
	v_rcp_iflag_f32_e32 v50, v50
	v_mul_f32_e32 v50, 0x4f7ffffe, v50
	v_cvt_u32_f32_e32 v50, v50
	v_mul_lo_u32 v51, s16, v50
	v_mul_hi_u32 v51, v50, v51
	v_add_u32_e32 v50, v50, v51
	v_mul_hi_u32 v50, v52, v50
	v_mul_lo_u32 v51, v50, s44
	v_sub_u32_e32 v51, v52, v51
	v_add_u32_e32 v55, 1, v50
	v_subrev_u32_e32 v57, s44, v51
	v_cmp_le_u32_e32 vcc, s44, v51
	v_cndmask_b32_e32 v51, v51, v57, vcc
	v_cndmask_b32_e32 v50, v50, v55, vcc
	v_add_u32_e32 v55, 1, v50
	v_cmp_le_u32_e32 vcc, s44, v51
	v_cndmask_b32_e32 v50, v50, v55, vcc
	v_mov_b32_e32 v51, 0
.LBB1144_286:
	s_or_b64 exec, exec, s[12:13]
	v_mul_lo_u32 v55, v51, s44
	v_mul_lo_u32 v57, v50, s45
	v_mad_u64_u32 v[62:63], s[12:13], v50, s44, 0
	v_add3_u32 v55, v63, v57, v55
	v_sub_co_u32_e32 v52, vcc, v52, v62
	v_subb_co_u32_e32 v53, vcc, v53, v55, vcc
	v_add_co_u32_e32 v50, vcc, v50, v52
	v_addc_co_u32_e32 v51, vcc, v51, v53, vcc
	s_or_b64 exec, exec, s[14:15]
                                        ; implicit-def: $vgpr52_vgpr53
	s_and_saveexec_b64 s[12:13], s[10:11]
	s_cbranch_execz .LBB1144_229
.LBB1144_287:
	v_mov_b32_e32 v53, s79
	v_add_co_u32_e32 v54, vcc, s78, v54
	v_addc_co_u32_e32 v55, vcc, 0, v53, vcc
	v_mov_b32_e32 v52, 0
	v_or_b32_e32 v53, s45, v55
	v_cmp_ne_u64_e32 vcc, 0, v[52:53]
                                        ; implicit-def: $vgpr52_vgpr53
	s_and_saveexec_b64 s[10:11], vcc
	s_xor_b64 s[14:15], exec, s[10:11]
	s_cbranch_execz .LBB1144_289
; %bb.288:
	s_ashr_i32 s16, s45, 31
	s_add_u32 s10, s44, s16
	s_mov_b32 s17, s16
	s_addc_u32 s11, s45, s16
	s_xor_b64 s[18:19], s[10:11], s[16:17]
	v_cvt_f32_u32_e32 v52, s18
	v_cvt_f32_u32_e32 v53, s19
	s_sub_u32 s10, 0, s18
	s_subb_u32 s11, 0, s19
	v_madmk_f32 v52, v53, 0x4f800000, v52
	v_rcp_f32_e32 v52, v52
	v_mul_f32_e32 v52, 0x5f7ffffc, v52
	v_mul_f32_e32 v53, 0x2f800000, v52
	v_trunc_f32_e32 v53, v53
	v_madmk_f32 v52, v53, 0xcf800000, v52
	v_cvt_u32_f32_e32 v53, v53
	v_cvt_u32_f32_e32 v52, v52
	v_mul_lo_u32 v57, s10, v53
	v_mul_hi_u32 v61, s10, v52
	v_mul_lo_u32 v59, s11, v52
	v_add_u32_e32 v57, v61, v57
	v_mul_lo_u32 v62, s10, v52
	v_add_u32_e32 v57, v57, v59
	v_mul_lo_u32 v61, v52, v57
	v_mul_hi_u32 v63, v52, v62
	v_mul_hi_u32 v59, v52, v57
	v_add_co_u32_e32 v61, vcc, v63, v61
	v_addc_co_u32_e32 v59, vcc, 0, v59, vcc
	v_mul_hi_u32 v64, v53, v62
	v_mul_lo_u32 v62, v53, v62
	v_add_co_u32_e32 v61, vcc, v61, v62
	v_mul_hi_u32 v63, v53, v57
	v_addc_co_u32_e32 v59, vcc, v59, v64, vcc
	v_addc_co_u32_e32 v61, vcc, 0, v63, vcc
	v_mul_lo_u32 v57, v53, v57
	v_add_co_u32_e32 v57, vcc, v59, v57
	v_addc_co_u32_e32 v59, vcc, 0, v61, vcc
	v_add_co_u32_e32 v52, vcc, v52, v57
	v_addc_co_u32_e32 v53, vcc, v53, v59, vcc
	v_mul_lo_u32 v57, s10, v53
	v_mul_hi_u32 v59, s10, v52
	v_add_u32_e32 v57, v59, v57
	v_mul_lo_u32 v59, s11, v52
	v_add_u32_e32 v57, v57, v59
	v_mul_lo_u32 v61, s10, v52
	v_mul_hi_u32 v62, v53, v61
	v_mul_lo_u32 v63, v53, v61
	v_mul_lo_u32 v65, v52, v57
	v_mul_hi_u32 v61, v52, v61
	v_mul_hi_u32 v64, v52, v57
	v_add_co_u32_e32 v61, vcc, v61, v65
	v_addc_co_u32_e32 v64, vcc, 0, v64, vcc
	v_add_co_u32_e32 v61, vcc, v61, v63
	v_mul_hi_u32 v59, v53, v57
	v_addc_co_u32_e32 v61, vcc, v64, v62, vcc
	v_addc_co_u32_e32 v59, vcc, 0, v59, vcc
	v_mul_lo_u32 v57, v53, v57
	v_add_co_u32_e32 v57, vcc, v61, v57
	v_addc_co_u32_e32 v59, vcc, 0, v59, vcc
	v_add_co_u32_e32 v57, vcc, v52, v57
	v_addc_co_u32_e32 v59, vcc, v53, v59, vcc
	v_ashrrev_i32_e32 v61, 31, v55
	v_add_co_u32_e32 v52, vcc, v54, v61
	v_addc_co_u32_e32 v53, vcc, v55, v61, vcc
	v_xor_b32_e32 v65, v52, v61
	v_xor_b32_e32 v64, v53, v61
	v_mad_u64_u32 v[52:53], s[10:11], v65, v59, 0
	v_mul_hi_u32 v62, v65, v57
	v_add_co_u32_e32 v66, vcc, v62, v52
	v_addc_co_u32_e32 v67, vcc, 0, v53, vcc
	v_mad_u64_u32 v[62:63], s[10:11], v64, v57, 0
	v_add_co_u32_e32 v57, vcc, v66, v62
	v_mad_u64_u32 v[52:53], s[10:11], v64, v59, 0
	v_addc_co_u32_e32 v57, vcc, v67, v63, vcc
	v_addc_co_u32_e32 v53, vcc, 0, v53, vcc
	v_add_co_u32_e32 v57, vcc, v57, v52
	v_addc_co_u32_e32 v59, vcc, 0, v53, vcc
	v_mul_lo_u32 v62, s19, v57
	v_mul_lo_u32 v63, s18, v59
	v_mad_u64_u32 v[52:53], s[10:11], s18, v57, 0
	v_add3_u32 v53, v53, v63, v62
	v_sub_u32_e32 v62, v64, v53
	v_mov_b32_e32 v63, s19
	v_sub_co_u32_e32 v52, vcc, v65, v52
	v_subb_co_u32_e64 v62, s[10:11], v62, v63, vcc
	v_subrev_co_u32_e64 v63, s[10:11], s18, v52
	v_subbrev_co_u32_e64 v62, s[10:11], 0, v62, s[10:11]
	v_cmp_le_u32_e64 s[10:11], s19, v62
	v_cndmask_b32_e64 v65, 0, -1, s[10:11]
	v_cmp_le_u32_e64 s[10:11], s18, v63
	v_cndmask_b32_e64 v63, 0, -1, s[10:11]
	v_cmp_eq_u32_e64 s[10:11], s19, v62
	v_cndmask_b32_e64 v62, v65, v63, s[10:11]
	v_add_co_u32_e64 v63, s[10:11], 2, v57
	v_subb_co_u32_e32 v53, vcc, v64, v53, vcc
	v_addc_co_u32_e64 v65, s[10:11], 0, v59, s[10:11]
	v_cmp_le_u32_e32 vcc, s19, v53
	v_add_co_u32_e64 v66, s[10:11], 1, v57
	v_cndmask_b32_e64 v64, 0, -1, vcc
	v_cmp_le_u32_e32 vcc, s18, v52
	v_addc_co_u32_e64 v67, s[10:11], 0, v59, s[10:11]
	v_cndmask_b32_e64 v52, 0, -1, vcc
	v_cmp_eq_u32_e32 vcc, s19, v53
	v_cmp_ne_u32_e64 s[10:11], 0, v62
	v_cndmask_b32_e32 v52, v64, v52, vcc
	v_cndmask_b32_e64 v62, v67, v65, s[10:11]
	v_cmp_ne_u32_e32 vcc, 0, v52
	v_cndmask_b32_e64 v53, v66, v63, s[10:11]
	v_cndmask_b32_e32 v52, v59, v62, vcc
	v_cndmask_b32_e32 v53, v57, v53, vcc
	v_xor_b32_e32 v57, s16, v61
	v_xor_b32_e32 v59, v52, v57
	;; [unrolled: 1-line block ×3, first 2 shown]
	v_sub_co_u32_e32 v52, vcc, v52, v57
	v_subb_co_u32_e32 v53, vcc, v59, v57, vcc
.LBB1144_289:
	s_andn2_saveexec_b64 s[10:11], s[14:15]
	s_cbranch_execz .LBB1144_291
; %bb.290:
	v_cvt_f32_u32_e32 v52, s44
	s_sub_i32 s14, 0, s44
	v_rcp_iflag_f32_e32 v52, v52
	v_mul_f32_e32 v52, 0x4f7ffffe, v52
	v_cvt_u32_f32_e32 v52, v52
	v_mul_lo_u32 v53, s14, v52
	v_mul_hi_u32 v53, v52, v53
	v_add_u32_e32 v52, v52, v53
	v_mul_hi_u32 v52, v54, v52
	v_mul_lo_u32 v53, v52, s44
	v_sub_u32_e32 v53, v54, v53
	v_add_u32_e32 v57, 1, v52
	v_subrev_u32_e32 v59, s44, v53
	v_cmp_le_u32_e32 vcc, s44, v53
	v_cndmask_b32_e32 v53, v53, v59, vcc
	v_cndmask_b32_e32 v52, v52, v57, vcc
	v_add_u32_e32 v57, 1, v52
	v_cmp_le_u32_e32 vcc, s44, v53
	v_cndmask_b32_e32 v52, v52, v57, vcc
	v_mov_b32_e32 v53, 0
.LBB1144_291:
	s_or_b64 exec, exec, s[10:11]
	v_mul_lo_u32 v57, v53, s44
	v_mul_lo_u32 v59, v52, s45
	v_mad_u64_u32 v[62:63], s[10:11], v52, s44, 0
	v_add3_u32 v57, v63, v59, v57
	v_sub_co_u32_e32 v54, vcc, v54, v62
	v_subb_co_u32_e32 v55, vcc, v55, v57, vcc
	v_add_co_u32_e32 v52, vcc, v52, v54
	v_addc_co_u32_e32 v53, vcc, v53, v55, vcc
	s_or_b64 exec, exec, s[12:13]
                                        ; implicit-def: $vgpr54_vgpr55
	s_and_saveexec_b64 s[10:11], s[8:9]
	s_cbranch_execz .LBB1144_230
.LBB1144_292:
	v_mov_b32_e32 v55, s79
	v_add_co_u32_e32 v56, vcc, s78, v56
	v_addc_co_u32_e32 v57, vcc, 0, v55, vcc
	v_mov_b32_e32 v54, 0
	v_or_b32_e32 v55, s45, v57
	v_cmp_ne_u64_e32 vcc, 0, v[54:55]
                                        ; implicit-def: $vgpr54_vgpr55
	s_and_saveexec_b64 s[8:9], vcc
	s_xor_b64 s[12:13], exec, s[8:9]
	s_cbranch_execz .LBB1144_294
; %bb.293:
	s_ashr_i32 s14, s45, 31
	s_add_u32 s8, s44, s14
	s_mov_b32 s15, s14
	s_addc_u32 s9, s45, s14
	s_xor_b64 s[16:17], s[8:9], s[14:15]
	v_cvt_f32_u32_e32 v54, s16
	v_cvt_f32_u32_e32 v55, s17
	s_sub_u32 s8, 0, s16
	s_subb_u32 s9, 0, s17
	v_madmk_f32 v54, v55, 0x4f800000, v54
	v_rcp_f32_e32 v54, v54
	v_mul_f32_e32 v54, 0x5f7ffffc, v54
	v_mul_f32_e32 v55, 0x2f800000, v54
	v_trunc_f32_e32 v55, v55
	v_madmk_f32 v54, v55, 0xcf800000, v54
	v_cvt_u32_f32_e32 v55, v55
	v_cvt_u32_f32_e32 v54, v54
	v_mul_lo_u32 v59, s8, v55
	v_mul_hi_u32 v62, s8, v54
	v_mul_lo_u32 v61, s9, v54
	v_add_u32_e32 v59, v62, v59
	v_mul_lo_u32 v63, s8, v54
	v_add_u32_e32 v59, v59, v61
	v_mul_lo_u32 v62, v54, v59
	v_mul_hi_u32 v64, v54, v63
	v_mul_hi_u32 v61, v54, v59
	v_add_co_u32_e32 v62, vcc, v64, v62
	v_addc_co_u32_e32 v61, vcc, 0, v61, vcc
	v_mul_hi_u32 v65, v55, v63
	v_mul_lo_u32 v63, v55, v63
	v_add_co_u32_e32 v62, vcc, v62, v63
	v_mul_hi_u32 v64, v55, v59
	v_addc_co_u32_e32 v61, vcc, v61, v65, vcc
	v_addc_co_u32_e32 v62, vcc, 0, v64, vcc
	v_mul_lo_u32 v59, v55, v59
	v_add_co_u32_e32 v59, vcc, v61, v59
	v_addc_co_u32_e32 v61, vcc, 0, v62, vcc
	v_add_co_u32_e32 v54, vcc, v54, v59
	v_addc_co_u32_e32 v55, vcc, v55, v61, vcc
	v_mul_lo_u32 v59, s8, v55
	v_mul_hi_u32 v61, s8, v54
	v_add_u32_e32 v59, v61, v59
	v_mul_lo_u32 v61, s9, v54
	v_add_u32_e32 v59, v59, v61
	v_mul_lo_u32 v62, s8, v54
	v_mul_hi_u32 v63, v55, v62
	v_mul_lo_u32 v64, v55, v62
	v_mul_lo_u32 v66, v54, v59
	v_mul_hi_u32 v62, v54, v62
	v_mul_hi_u32 v65, v54, v59
	v_add_co_u32_e32 v62, vcc, v62, v66
	v_addc_co_u32_e32 v65, vcc, 0, v65, vcc
	v_add_co_u32_e32 v62, vcc, v62, v64
	v_mul_hi_u32 v61, v55, v59
	v_addc_co_u32_e32 v62, vcc, v65, v63, vcc
	v_addc_co_u32_e32 v61, vcc, 0, v61, vcc
	v_mul_lo_u32 v59, v55, v59
	v_add_co_u32_e32 v59, vcc, v62, v59
	v_addc_co_u32_e32 v61, vcc, 0, v61, vcc
	v_add_co_u32_e32 v59, vcc, v54, v59
	v_addc_co_u32_e32 v61, vcc, v55, v61, vcc
	v_ashrrev_i32_e32 v64, 31, v57
	v_add_co_u32_e32 v54, vcc, v56, v64
	v_addc_co_u32_e32 v55, vcc, v57, v64, vcc
	v_xor_b32_e32 v66, v54, v64
	v_xor_b32_e32 v65, v55, v64
	v_mad_u64_u32 v[54:55], s[8:9], v66, v61, 0
	v_mul_hi_u32 v62, v66, v59
	v_add_co_u32_e32 v67, vcc, v62, v54
	v_addc_co_u32_e32 v68, vcc, 0, v55, vcc
	v_mad_u64_u32 v[62:63], s[8:9], v65, v59, 0
	v_add_co_u32_e32 v59, vcc, v67, v62
	v_mad_u64_u32 v[54:55], s[8:9], v65, v61, 0
	v_addc_co_u32_e32 v59, vcc, v68, v63, vcc
	v_addc_co_u32_e32 v55, vcc, 0, v55, vcc
	v_add_co_u32_e32 v59, vcc, v59, v54
	v_addc_co_u32_e32 v61, vcc, 0, v55, vcc
	v_mul_lo_u32 v62, s17, v59
	v_mul_lo_u32 v63, s16, v61
	v_mad_u64_u32 v[54:55], s[8:9], s16, v59, 0
	v_add3_u32 v55, v55, v63, v62
	v_sub_u32_e32 v62, v65, v55
	v_mov_b32_e32 v63, s17
	v_sub_co_u32_e32 v54, vcc, v66, v54
	v_subb_co_u32_e64 v62, s[8:9], v62, v63, vcc
	v_subrev_co_u32_e64 v63, s[8:9], s16, v54
	v_subbrev_co_u32_e64 v62, s[8:9], 0, v62, s[8:9]
	v_cmp_le_u32_e64 s[8:9], s17, v62
	v_cndmask_b32_e64 v66, 0, -1, s[8:9]
	v_cmp_le_u32_e64 s[8:9], s16, v63
	v_cndmask_b32_e64 v63, 0, -1, s[8:9]
	v_cmp_eq_u32_e64 s[8:9], s17, v62
	v_cndmask_b32_e64 v62, v66, v63, s[8:9]
	v_add_co_u32_e64 v63, s[8:9], 2, v59
	v_subb_co_u32_e32 v55, vcc, v65, v55, vcc
	v_addc_co_u32_e64 v66, s[8:9], 0, v61, s[8:9]
	v_cmp_le_u32_e32 vcc, s17, v55
	v_add_co_u32_e64 v67, s[8:9], 1, v59
	v_cndmask_b32_e64 v65, 0, -1, vcc
	v_cmp_le_u32_e32 vcc, s16, v54
	v_addc_co_u32_e64 v68, s[8:9], 0, v61, s[8:9]
	v_cndmask_b32_e64 v54, 0, -1, vcc
	v_cmp_eq_u32_e32 vcc, s17, v55
	v_cmp_ne_u32_e64 s[8:9], 0, v62
	v_cndmask_b32_e32 v54, v65, v54, vcc
	v_cndmask_b32_e64 v62, v68, v66, s[8:9]
	v_cmp_ne_u32_e32 vcc, 0, v54
	v_cndmask_b32_e64 v55, v67, v63, s[8:9]
	v_cndmask_b32_e32 v54, v61, v62, vcc
	v_cndmask_b32_e32 v55, v59, v55, vcc
	v_xor_b32_e32 v59, s14, v64
	v_xor_b32_e32 v61, v54, v59
	;; [unrolled: 1-line block ×3, first 2 shown]
	v_sub_co_u32_e32 v54, vcc, v54, v59
	v_subb_co_u32_e32 v55, vcc, v61, v59, vcc
.LBB1144_294:
	s_andn2_saveexec_b64 s[8:9], s[12:13]
	s_cbranch_execz .LBB1144_296
; %bb.295:
	v_cvt_f32_u32_e32 v54, s44
	s_sub_i32 s12, 0, s44
	v_rcp_iflag_f32_e32 v54, v54
	v_mul_f32_e32 v54, 0x4f7ffffe, v54
	v_cvt_u32_f32_e32 v54, v54
	v_mul_lo_u32 v55, s12, v54
	v_mul_hi_u32 v55, v54, v55
	v_add_u32_e32 v54, v54, v55
	v_mul_hi_u32 v54, v56, v54
	v_mul_lo_u32 v55, v54, s44
	v_sub_u32_e32 v55, v56, v55
	v_add_u32_e32 v59, 1, v54
	v_subrev_u32_e32 v61, s44, v55
	v_cmp_le_u32_e32 vcc, s44, v55
	v_cndmask_b32_e32 v55, v55, v61, vcc
	v_cndmask_b32_e32 v54, v54, v59, vcc
	v_add_u32_e32 v59, 1, v54
	v_cmp_le_u32_e32 vcc, s44, v55
	v_cndmask_b32_e32 v54, v54, v59, vcc
	v_mov_b32_e32 v55, 0
.LBB1144_296:
	s_or_b64 exec, exec, s[8:9]
	v_mul_lo_u32 v59, v55, s44
	v_mul_lo_u32 v61, v54, s45
	v_mad_u64_u32 v[62:63], s[8:9], v54, s44, 0
	v_add3_u32 v59, v63, v61, v59
	v_sub_co_u32_e32 v56, vcc, v56, v62
	v_subb_co_u32_e32 v57, vcc, v57, v59, vcc
	v_add_co_u32_e32 v54, vcc, v54, v56
	v_addc_co_u32_e32 v55, vcc, v55, v57, vcc
	s_or_b64 exec, exec, s[10:11]
                                        ; implicit-def: $vgpr56_vgpr57
	s_and_saveexec_b64 s[8:9], s[6:7]
	s_cbranch_execz .LBB1144_231
.LBB1144_297:
	v_mov_b32_e32 v57, s79
	v_add_co_u32_e32 v58, vcc, s78, v58
	v_addc_co_u32_e32 v59, vcc, 0, v57, vcc
	v_mov_b32_e32 v56, 0
	v_or_b32_e32 v57, s45, v59
	v_cmp_ne_u64_e32 vcc, 0, v[56:57]
                                        ; implicit-def: $vgpr56_vgpr57
	s_and_saveexec_b64 s[6:7], vcc
	s_xor_b64 s[10:11], exec, s[6:7]
	s_cbranch_execz .LBB1144_299
; %bb.298:
	s_ashr_i32 s12, s45, 31
	s_add_u32 s6, s44, s12
	s_mov_b32 s13, s12
	s_addc_u32 s7, s45, s12
	s_xor_b64 s[14:15], s[6:7], s[12:13]
	v_cvt_f32_u32_e32 v56, s14
	v_cvt_f32_u32_e32 v57, s15
	s_sub_u32 s6, 0, s14
	s_subb_u32 s7, 0, s15
	v_madmk_f32 v56, v57, 0x4f800000, v56
	v_rcp_f32_e32 v56, v56
	v_mul_f32_e32 v56, 0x5f7ffffc, v56
	v_mul_f32_e32 v57, 0x2f800000, v56
	v_trunc_f32_e32 v57, v57
	v_madmk_f32 v56, v57, 0xcf800000, v56
	v_cvt_u32_f32_e32 v57, v57
	v_cvt_u32_f32_e32 v56, v56
	v_mul_lo_u32 v61, s6, v57
	v_mul_hi_u32 v63, s6, v56
	v_mul_lo_u32 v62, s7, v56
	v_add_u32_e32 v61, v63, v61
	v_mul_lo_u32 v64, s6, v56
	v_add_u32_e32 v61, v61, v62
	v_mul_lo_u32 v63, v56, v61
	v_mul_hi_u32 v65, v56, v64
	v_mul_hi_u32 v62, v56, v61
	v_add_co_u32_e32 v63, vcc, v65, v63
	v_addc_co_u32_e32 v62, vcc, 0, v62, vcc
	v_mul_hi_u32 v66, v57, v64
	v_mul_lo_u32 v64, v57, v64
	v_add_co_u32_e32 v63, vcc, v63, v64
	v_mul_hi_u32 v65, v57, v61
	v_addc_co_u32_e32 v62, vcc, v62, v66, vcc
	v_addc_co_u32_e32 v63, vcc, 0, v65, vcc
	v_mul_lo_u32 v61, v57, v61
	v_add_co_u32_e32 v61, vcc, v62, v61
	v_addc_co_u32_e32 v62, vcc, 0, v63, vcc
	v_add_co_u32_e32 v56, vcc, v56, v61
	v_addc_co_u32_e32 v57, vcc, v57, v62, vcc
	v_mul_lo_u32 v61, s6, v57
	v_mul_hi_u32 v62, s6, v56
	v_add_u32_e32 v61, v62, v61
	v_mul_lo_u32 v62, s7, v56
	v_add_u32_e32 v61, v61, v62
	v_mul_lo_u32 v63, s6, v56
	v_mul_hi_u32 v64, v57, v63
	v_mul_lo_u32 v65, v57, v63
	v_mul_lo_u32 v67, v56, v61
	v_mul_hi_u32 v63, v56, v63
	v_mul_hi_u32 v66, v56, v61
	v_add_co_u32_e32 v63, vcc, v63, v67
	v_addc_co_u32_e32 v66, vcc, 0, v66, vcc
	v_add_co_u32_e32 v63, vcc, v63, v65
	v_mul_hi_u32 v62, v57, v61
	v_addc_co_u32_e32 v63, vcc, v66, v64, vcc
	v_addc_co_u32_e32 v62, vcc, 0, v62, vcc
	v_mul_lo_u32 v61, v57, v61
	v_add_co_u32_e32 v61, vcc, v63, v61
	v_addc_co_u32_e32 v62, vcc, 0, v62, vcc
	v_add_co_u32_e32 v61, vcc, v56, v61
	v_addc_co_u32_e32 v62, vcc, v57, v62, vcc
	v_ashrrev_i32_e32 v64, 31, v59
	v_add_co_u32_e32 v56, vcc, v58, v64
	v_addc_co_u32_e32 v57, vcc, v59, v64, vcc
	v_xor_b32_e32 v66, v56, v64
	v_xor_b32_e32 v65, v57, v64
	v_mad_u64_u32 v[56:57], s[6:7], v66, v62, 0
	v_mul_hi_u32 v63, v66, v61
	v_add_co_u32_e32 v67, vcc, v63, v56
	v_addc_co_u32_e32 v68, vcc, 0, v57, vcc
	v_mad_u64_u32 v[56:57], s[6:7], v65, v62, 0
	v_mad_u64_u32 v[62:63], s[6:7], v65, v61, 0
	v_add_co_u32_e32 v61, vcc, v67, v62
	v_addc_co_u32_e32 v61, vcc, v68, v63, vcc
	v_addc_co_u32_e32 v57, vcc, 0, v57, vcc
	v_add_co_u32_e32 v61, vcc, v61, v56
	v_addc_co_u32_e32 v62, vcc, 0, v57, vcc
	v_mul_lo_u32 v63, s15, v61
	v_mul_lo_u32 v67, s14, v62
	v_mad_u64_u32 v[56:57], s[6:7], s14, v61, 0
	v_add3_u32 v57, v57, v67, v63
	v_sub_u32_e32 v63, v65, v57
	v_mov_b32_e32 v67, s15
	v_sub_co_u32_e32 v56, vcc, v66, v56
	v_subb_co_u32_e64 v63, s[6:7], v63, v67, vcc
	v_subrev_co_u32_e64 v66, s[6:7], s14, v56
	v_subbrev_co_u32_e64 v63, s[6:7], 0, v63, s[6:7]
	v_cmp_le_u32_e64 s[6:7], s15, v63
	v_cndmask_b32_e64 v67, 0, -1, s[6:7]
	v_cmp_le_u32_e64 s[6:7], s14, v66
	v_cndmask_b32_e64 v66, 0, -1, s[6:7]
	v_cmp_eq_u32_e64 s[6:7], s15, v63
	v_cndmask_b32_e64 v63, v67, v66, s[6:7]
	v_add_co_u32_e64 v66, s[6:7], 2, v61
	v_subb_co_u32_e32 v57, vcc, v65, v57, vcc
	v_addc_co_u32_e64 v67, s[6:7], 0, v62, s[6:7]
	v_cmp_le_u32_e32 vcc, s15, v57
	v_add_co_u32_e64 v68, s[6:7], 1, v61
	v_cndmask_b32_e64 v65, 0, -1, vcc
	v_cmp_le_u32_e32 vcc, s14, v56
	v_addc_co_u32_e64 v69, s[6:7], 0, v62, s[6:7]
	v_cndmask_b32_e64 v56, 0, -1, vcc
	v_cmp_eq_u32_e32 vcc, s15, v57
	v_cmp_ne_u32_e64 s[6:7], 0, v63
	v_cndmask_b32_e32 v56, v65, v56, vcc
	v_cndmask_b32_e64 v63, v69, v67, s[6:7]
	v_cmp_ne_u32_e32 vcc, 0, v56
	v_cndmask_b32_e64 v57, v68, v66, s[6:7]
	v_cndmask_b32_e32 v56, v62, v63, vcc
	v_cndmask_b32_e32 v57, v61, v57, vcc
	v_xor_b32_e32 v61, s12, v64
	v_xor_b32_e32 v62, v56, v61
	;; [unrolled: 1-line block ×3, first 2 shown]
	v_sub_co_u32_e32 v56, vcc, v56, v61
	v_subb_co_u32_e32 v57, vcc, v62, v61, vcc
.LBB1144_299:
	s_andn2_saveexec_b64 s[6:7], s[10:11]
	s_cbranch_execz .LBB1144_301
; %bb.300:
	v_cvt_f32_u32_e32 v56, s44
	s_sub_i32 s10, 0, s44
	v_rcp_iflag_f32_e32 v56, v56
	v_mul_f32_e32 v56, 0x4f7ffffe, v56
	v_cvt_u32_f32_e32 v56, v56
	v_mul_lo_u32 v57, s10, v56
	v_mul_hi_u32 v57, v56, v57
	v_add_u32_e32 v56, v56, v57
	v_mul_hi_u32 v56, v58, v56
	v_mul_lo_u32 v57, v56, s44
	v_sub_u32_e32 v57, v58, v57
	v_add_u32_e32 v61, 1, v56
	v_subrev_u32_e32 v62, s44, v57
	v_cmp_le_u32_e32 vcc, s44, v57
	v_cndmask_b32_e32 v57, v57, v62, vcc
	v_cndmask_b32_e32 v56, v56, v61, vcc
	v_add_u32_e32 v61, 1, v56
	v_cmp_le_u32_e32 vcc, s44, v57
	v_cndmask_b32_e32 v56, v56, v61, vcc
	v_mov_b32_e32 v57, 0
.LBB1144_301:
	s_or_b64 exec, exec, s[6:7]
	v_mul_lo_u32 v61, v57, s44
	v_mul_lo_u32 v64, v56, s45
	v_mad_u64_u32 v[62:63], s[6:7], v56, s44, 0
	v_add3_u32 v61, v63, v64, v61
	v_sub_co_u32_e32 v58, vcc, v58, v62
	v_subb_co_u32_e32 v59, vcc, v59, v61, vcc
	v_add_co_u32_e32 v56, vcc, v56, v58
	v_addc_co_u32_e32 v57, vcc, v57, v59, vcc
	s_or_b64 exec, exec, s[8:9]
                                        ; implicit-def: $vgpr58_vgpr59
	s_and_saveexec_b64 s[6:7], s[4:5]
	s_cbranch_execz .LBB1144_307
.LBB1144_302:
	v_mov_b32_e32 v59, s79
	v_add_co_u32_e32 v60, vcc, s78, v60
	v_addc_co_u32_e32 v61, vcc, 0, v59, vcc
	v_mov_b32_e32 v58, 0
	v_or_b32_e32 v59, s45, v61
	v_cmp_ne_u64_e32 vcc, 0, v[58:59]
                                        ; implicit-def: $vgpr58_vgpr59
	s_and_saveexec_b64 s[4:5], vcc
	s_xor_b64 s[8:9], exec, s[4:5]
	s_cbranch_execz .LBB1144_304
; %bb.303:
	s_ashr_i32 s10, s45, 31
	s_add_u32 s4, s44, s10
	s_mov_b32 s11, s10
	s_addc_u32 s5, s45, s10
	s_xor_b64 s[12:13], s[4:5], s[10:11]
	v_cvt_f32_u32_e32 v58, s12
	v_cvt_f32_u32_e32 v59, s13
	s_sub_u32 s4, 0, s12
	s_subb_u32 s5, 0, s13
	v_madmk_f32 v58, v59, 0x4f800000, v58
	v_rcp_f32_e32 v58, v58
	v_mul_f32_e32 v58, 0x5f7ffffc, v58
	v_mul_f32_e32 v59, 0x2f800000, v58
	v_trunc_f32_e32 v59, v59
	v_madmk_f32 v58, v59, 0xcf800000, v58
	v_cvt_u32_f32_e32 v59, v59
	v_cvt_u32_f32_e32 v58, v58
	v_mul_lo_u32 v62, s4, v59
	v_mul_hi_u32 v64, s4, v58
	v_mul_lo_u32 v63, s5, v58
	v_add_u32_e32 v62, v64, v62
	v_mul_lo_u32 v65, s4, v58
	v_add_u32_e32 v62, v62, v63
	v_mul_lo_u32 v64, v58, v62
	v_mul_hi_u32 v66, v58, v65
	v_mul_hi_u32 v63, v58, v62
	v_add_co_u32_e32 v64, vcc, v66, v64
	v_addc_co_u32_e32 v63, vcc, 0, v63, vcc
	v_mul_hi_u32 v67, v59, v65
	v_mul_lo_u32 v65, v59, v65
	v_add_co_u32_e32 v64, vcc, v64, v65
	v_mul_hi_u32 v66, v59, v62
	v_addc_co_u32_e32 v63, vcc, v63, v67, vcc
	v_addc_co_u32_e32 v64, vcc, 0, v66, vcc
	v_mul_lo_u32 v62, v59, v62
	v_add_co_u32_e32 v62, vcc, v63, v62
	v_addc_co_u32_e32 v63, vcc, 0, v64, vcc
	v_add_co_u32_e32 v58, vcc, v58, v62
	v_addc_co_u32_e32 v59, vcc, v59, v63, vcc
	v_mul_lo_u32 v62, s4, v59
	v_mul_hi_u32 v63, s4, v58
	v_add_u32_e32 v62, v63, v62
	v_mul_lo_u32 v63, s5, v58
	v_add_u32_e32 v62, v62, v63
	v_mul_lo_u32 v64, s4, v58
	v_mul_hi_u32 v65, v59, v64
	v_mul_lo_u32 v66, v59, v64
	v_mul_lo_u32 v68, v58, v62
	v_mul_hi_u32 v64, v58, v64
	v_mul_hi_u32 v67, v58, v62
	v_add_co_u32_e32 v64, vcc, v64, v68
	v_addc_co_u32_e32 v67, vcc, 0, v67, vcc
	v_add_co_u32_e32 v64, vcc, v64, v66
	v_mul_hi_u32 v63, v59, v62
	v_addc_co_u32_e32 v64, vcc, v67, v65, vcc
	v_addc_co_u32_e32 v63, vcc, 0, v63, vcc
	v_mul_lo_u32 v62, v59, v62
	v_add_co_u32_e32 v62, vcc, v64, v62
	v_addc_co_u32_e32 v63, vcc, 0, v63, vcc
	v_add_co_u32_e32 v62, vcc, v58, v62
	v_addc_co_u32_e32 v63, vcc, v59, v63, vcc
	v_ashrrev_i32_e32 v64, 31, v61
	v_add_co_u32_e32 v58, vcc, v60, v64
	v_addc_co_u32_e32 v59, vcc, v61, v64, vcc
	v_xor_b32_e32 v66, v58, v64
	v_xor_b32_e32 v65, v59, v64
	v_mad_u64_u32 v[58:59], s[4:5], v66, v63, 0
	v_mul_hi_u32 v67, v66, v62
	v_add_co_u32_e32 v67, vcc, v67, v58
	v_addc_co_u32_e32 v68, vcc, 0, v59, vcc
	v_mad_u64_u32 v[58:59], s[4:5], v65, v63, 0
	v_mad_u64_u32 v[62:63], s[4:5], v65, v62, 0
	v_add_co_u32_e32 v62, vcc, v67, v62
	v_addc_co_u32_e32 v62, vcc, v68, v63, vcc
	v_addc_co_u32_e32 v59, vcc, 0, v59, vcc
	v_add_co_u32_e32 v62, vcc, v62, v58
	v_addc_co_u32_e32 v63, vcc, 0, v59, vcc
	v_mul_lo_u32 v67, s13, v62
	v_mul_lo_u32 v68, s12, v63
	v_mad_u64_u32 v[58:59], s[4:5], s12, v62, 0
	v_add3_u32 v59, v59, v68, v67
	v_sub_u32_e32 v67, v65, v59
	v_mov_b32_e32 v68, s13
	v_sub_co_u32_e32 v58, vcc, v66, v58
	v_subb_co_u32_e64 v66, s[4:5], v67, v68, vcc
	v_subrev_co_u32_e64 v67, s[4:5], s12, v58
	v_subbrev_co_u32_e64 v66, s[4:5], 0, v66, s[4:5]
	v_cmp_le_u32_e64 s[4:5], s13, v66
	v_cndmask_b32_e64 v68, 0, -1, s[4:5]
	v_cmp_le_u32_e64 s[4:5], s12, v67
	v_cndmask_b32_e64 v67, 0, -1, s[4:5]
	v_cmp_eq_u32_e64 s[4:5], s13, v66
	v_cndmask_b32_e64 v66, v68, v67, s[4:5]
	v_add_co_u32_e64 v67, s[4:5], 2, v62
	v_subb_co_u32_e32 v59, vcc, v65, v59, vcc
	v_addc_co_u32_e64 v68, s[4:5], 0, v63, s[4:5]
	v_cmp_le_u32_e32 vcc, s13, v59
	v_add_co_u32_e64 v69, s[4:5], 1, v62
	v_cndmask_b32_e64 v65, 0, -1, vcc
	v_cmp_le_u32_e32 vcc, s12, v58
	v_addc_co_u32_e64 v70, s[4:5], 0, v63, s[4:5]
	v_cndmask_b32_e64 v58, 0, -1, vcc
	v_cmp_eq_u32_e32 vcc, s13, v59
	v_cmp_ne_u32_e64 s[4:5], 0, v66
	v_cndmask_b32_e32 v58, v65, v58, vcc
	v_cndmask_b32_e64 v66, v70, v68, s[4:5]
	v_cmp_ne_u32_e32 vcc, 0, v58
	v_cndmask_b32_e64 v59, v69, v67, s[4:5]
	v_cndmask_b32_e32 v58, v63, v66, vcc
	v_cndmask_b32_e32 v59, v62, v59, vcc
	v_xor_b32_e32 v62, s10, v64
	v_xor_b32_e32 v63, v58, v62
	;; [unrolled: 1-line block ×3, first 2 shown]
	v_sub_co_u32_e32 v58, vcc, v58, v62
	v_subb_co_u32_e32 v59, vcc, v63, v62, vcc
.LBB1144_304:
	s_andn2_saveexec_b64 s[4:5], s[8:9]
	s_cbranch_execz .LBB1144_306
; %bb.305:
	v_cvt_f32_u32_e32 v58, s44
	s_sub_i32 s8, 0, s44
	v_rcp_iflag_f32_e32 v58, v58
	v_mul_f32_e32 v58, 0x4f7ffffe, v58
	v_cvt_u32_f32_e32 v58, v58
	v_mul_lo_u32 v59, s8, v58
	v_mul_hi_u32 v59, v58, v59
	v_add_u32_e32 v58, v58, v59
	v_mul_hi_u32 v58, v60, v58
	v_mul_lo_u32 v59, v58, s44
	v_sub_u32_e32 v59, v60, v59
	v_add_u32_e32 v62, 1, v58
	v_subrev_u32_e32 v63, s44, v59
	v_cmp_le_u32_e32 vcc, s44, v59
	v_cndmask_b32_e32 v59, v59, v63, vcc
	v_cndmask_b32_e32 v58, v58, v62, vcc
	v_add_u32_e32 v62, 1, v58
	v_cmp_le_u32_e32 vcc, s44, v59
	v_cndmask_b32_e32 v58, v58, v62, vcc
	v_mov_b32_e32 v59, 0
.LBB1144_306:
	s_or_b64 exec, exec, s[4:5]
	v_mul_lo_u32 v64, v59, s44
	v_mul_lo_u32 v65, v58, s45
	v_mad_u64_u32 v[62:63], s[4:5], v58, s44, 0
	v_add3_u32 v63, v63, v65, v64
	v_sub_co_u32_e32 v60, vcc, v60, v62
	v_subb_co_u32_e32 v61, vcc, v61, v63, vcc
	v_add_co_u32_e32 v58, vcc, v58, v60
	v_addc_co_u32_e32 v59, vcc, v59, v61, vcc
.LBB1144_307:
	s_or_b64 exec, exec, s[6:7]
	ds_write2st64_b64 v1, v[30:31], v[32:33] offset1:4
	ds_write2st64_b64 v1, v[34:35], v[36:37] offset0:8 offset1:12
	ds_write2st64_b64 v1, v[38:39], v[40:41] offset0:16 offset1:20
	;; [unrolled: 1-line block ×6, first 2 shown]
	ds_write_b64 v1, v[58:59] offset:28672
	v_mov_b32_e32 v58, v26
	v_mov_b32_e32 v59, v27
	;; [unrolled: 1-line block ×14, first 2 shown]
	s_waitcnt lgkmcnt(0)
	s_barrier
.LBB1144_308:
	ds_read2_b64 v[54:57], v76 offset1:1
	ds_read2_b64 v[50:53], v76 offset0:2 offset1:3
	ds_read2_b64 v[46:49], v76 offset0:4 offset1:5
	;; [unrolled: 1-line block ×6, first 2 shown]
	ds_read_b64 v[72:73], v76 offset:112
	s_cmp_eq_u64 s[42:43], 0
	s_cselect_b64 s[36:37], -1, 0
	s_cmp_lg_u64 s[42:43], 0
	s_mov_b64 s[6:7], 0
	s_cselect_b64 s[30:31], -1, 0
	s_and_b64 vcc, exec, s[60:61]
	s_waitcnt lgkmcnt(0)
	s_barrier
	s_cbranch_vccz .LBB1144_317
; %bb.309:
	s_and_b64 vcc, exec, s[30:31]
	s_cbranch_vccz .LBB1144_318
; %bb.310:
	s_add_u32 s6, s76, -1
	s_addc_u32 s7, s77, -1
	s_or_b64 s[4:5], s[6:7], s[38:39]
	s_mov_b32 s4, 0
	s_cmp_lg_u64 s[4:5], 0
	s_mov_b64 s[8:9], -1
	s_cbranch_scc0 .LBB1144_543
; %bb.311:
	s_ashr_i32 s10, s39, 31
	s_add_u32 s4, s38, s10
	s_mov_b32 s11, s10
	s_addc_u32 s5, s39, s10
	s_xor_b64 s[12:13], s[4:5], s[10:11]
	v_cvt_f32_u32_e32 v1, s12
	v_cvt_f32_u32_e32 v76, s13
	s_sub_u32 s4, 0, s12
	s_subb_u32 s5, 0, s13
	v_madmk_f32 v1, v76, 0x4f800000, v1
	v_rcp_f32_e32 v1, v1
	v_mul_f32_e32 v1, 0x5f7ffffc, v1
	v_mul_f32_e32 v76, 0x2f800000, v1
	v_trunc_f32_e32 v76, v76
	v_madmk_f32 v1, v76, 0xcf800000, v1
	v_cvt_u32_f32_e32 v76, v76
	v_cvt_u32_f32_e32 v1, v1
	v_readfirstlane_b32 s14, v76
	v_readfirstlane_b32 s15, v1
	s_mul_i32 s16, s4, s14
	s_mul_hi_u32 s18, s4, s15
	s_mul_i32 s17, s5, s15
	s_add_i32 s16, s18, s16
	s_add_i32 s16, s16, s17
	s_mul_i32 s19, s4, s15
	s_mul_hi_u32 s17, s15, s16
	s_mul_i32 s18, s15, s16
	s_mul_hi_u32 s15, s15, s19
	s_add_u32 s15, s15, s18
	s_addc_u32 s17, 0, s17
	s_mul_hi_u32 s20, s14, s19
	s_mul_i32 s19, s14, s19
	s_add_u32 s15, s15, s19
	s_mul_hi_u32 s18, s14, s16
	s_addc_u32 s15, s17, s20
	s_addc_u32 s17, s18, 0
	s_mul_i32 s16, s14, s16
	s_add_u32 s15, s15, s16
	s_addc_u32 s16, 0, s17
	v_add_co_u32_e32 v1, vcc, s15, v1
	s_cmp_lg_u64 vcc, 0
	s_addc_u32 s14, s14, s16
	v_readfirstlane_b32 s16, v1
	s_mul_i32 s15, s4, s14
	s_mul_hi_u32 s17, s4, s16
	s_add_i32 s15, s17, s15
	s_mul_i32 s5, s5, s16
	s_add_i32 s15, s15, s5
	s_mul_i32 s4, s4, s16
	s_mul_hi_u32 s17, s14, s4
	s_mul_i32 s18, s14, s4
	s_mul_i32 s20, s16, s15
	s_mul_hi_u32 s4, s16, s4
	s_mul_hi_u32 s19, s16, s15
	s_add_u32 s4, s4, s20
	s_addc_u32 s16, 0, s19
	s_add_u32 s4, s4, s18
	s_mul_hi_u32 s5, s14, s15
	s_addc_u32 s4, s16, s17
	s_addc_u32 s5, s5, 0
	s_mul_i32 s15, s14, s15
	s_add_u32 s4, s4, s15
	s_addc_u32 s5, 0, s5
	v_add_co_u32_e32 v1, vcc, s4, v1
	s_cmp_lg_u64 vcc, 0
	s_addc_u32 s18, s14, s5
	s_ashr_i32 s14, s7, 31
	s_add_u32 s4, s6, s14
	s_mov_b32 s15, s14
	s_addc_u32 s5, s7, s14
	s_xor_b64 s[16:17], s[4:5], s[14:15]
	v_readfirstlane_b32 s7, v1
	s_mul_i32 s5, s16, s18
	s_mul_hi_u32 s19, s16, s7
	s_mul_hi_u32 s4, s16, s18
	s_add_u32 s5, s19, s5
	s_addc_u32 s4, 0, s4
	s_mul_hi_u32 s20, s17, s7
	s_mul_i32 s7, s17, s7
	s_add_u32 s5, s5, s7
	s_mul_hi_u32 s19, s17, s18
	s_addc_u32 s4, s4, s20
	s_addc_u32 s5, s19, 0
	s_mul_i32 s7, s17, s18
	s_add_u32 s7, s4, s7
	s_addc_u32 s18, 0, s5
	s_mul_i32 s4, s12, s18
	s_mul_hi_u32 s5, s12, s7
	s_add_i32 s4, s5, s4
	s_mul_i32 s5, s13, s7
	s_add_i32 s19, s4, s5
	s_mul_i32 s5, s12, s7
	v_mov_b32_e32 v1, s5
	s_sub_i32 s4, s17, s19
	v_sub_co_u32_e32 v1, vcc, s16, v1
	s_cmp_lg_u64 vcc, 0
	s_subb_u32 s16, s4, s13
	v_subrev_co_u32_e64 v76, s[4:5], s12, v1
	s_cmp_lg_u64 s[4:5], 0
	s_subb_u32 s16, s16, 0
	s_cmp_ge_u32 s16, s13
	s_cselect_b32 s20, -1, 0
	v_cmp_le_u32_e64 s[4:5], s12, v76
	s_cmp_eq_u32 s16, s13
	v_cndmask_b32_e64 v76, 0, -1, s[4:5]
	v_mov_b32_e32 v77, s20
	s_cselect_b64 s[4:5], -1, 0
	v_cndmask_b32_e64 v76, v77, v76, s[4:5]
	s_add_u32 s4, s7, 1
	s_addc_u32 s16, s18, 0
	s_add_u32 s5, s7, 2
	s_addc_u32 s20, s18, 0
	v_mov_b32_e32 v77, s4
	v_mov_b32_e32 v78, s5
	v_cmp_ne_u32_e64 s[4:5], 0, v76
	v_cndmask_b32_e64 v76, v77, v78, s[4:5]
	v_mov_b32_e32 v77, s16
	v_mov_b32_e32 v78, s20
	s_cmp_lg_u64 vcc, 0
	v_cndmask_b32_e64 v77, v77, v78, s[4:5]
	s_subb_u32 s4, s17, s19
	s_cmp_ge_u32 s4, s13
	s_cselect_b32 s5, -1, 0
	v_cmp_le_u32_e32 vcc, s12, v1
	s_cmp_eq_u32 s4, s13
	v_cndmask_b32_e64 v1, 0, -1, vcc
	v_mov_b32_e32 v78, s5
	s_cselect_b64 vcc, -1, 0
	v_cndmask_b32_e32 v1, v78, v1, vcc
	v_mov_b32_e32 v78, s18
	v_cmp_ne_u32_e32 vcc, 0, v1
	v_cndmask_b32_e32 v1, v78, v77, vcc
	v_mov_b32_e32 v77, s7
	v_cndmask_b32_e32 v76, v77, v76, vcc
	s_xor_b64 s[4:5], s[14:15], s[10:11]
	v_xor_b32_e32 v76, s4, v76
	v_xor_b32_e32 v1, s5, v1
	v_mov_b32_e32 v77, s5
	v_subrev_co_u32_e32 v76, vcc, s4, v76
	v_subb_co_u32_e32 v77, vcc, v1, v77, vcc
	s_cbranch_execnz .LBB1144_313
.LBB1144_312:
	v_cvt_f32_u32_e32 v1, s38
	s_sub_i32 s4, 0, s38
	s_mov_b32 s5, 0
	v_rcp_iflag_f32_e32 v1, v1
	v_mul_f32_e32 v1, 0x4f7ffffe, v1
	v_cvt_u32_f32_e32 v1, v1
	v_readfirstlane_b32 s7, v1
	s_mul_i32 s4, s4, s7
	s_mul_hi_u32 s4, s7, s4
	s_add_i32 s7, s7, s4
	s_mul_hi_u32 s4, s6, s7
	s_mul_i32 s8, s4, s38
	s_sub_i32 s6, s6, s8
	s_add_i32 s7, s4, 1
	s_sub_i32 s8, s6, s38
	s_cmp_ge_u32 s6, s38
	s_cselect_b32 s4, s7, s4
	s_cselect_b32 s6, s8, s6
	s_add_i32 s7, s4, 1
	s_cmp_ge_u32 s6, s38
	s_cselect_b32 s4, s7, s4
	v_pk_mov_b32 v[76:77], s[4:5], s[4:5] op_sel:[0,1]
.LBB1144_313:
	v_lshlrev_b32_e32 v1, 3, v0
	v_cmp_ne_u64_e32 vcc, v[4:5], v[74:75]
	v_cmp_ne_u64_e64 s[4:5], v[2:3], v[4:5]
	v_cmp_ne_u64_e64 s[6:7], v[8:9], v[2:3]
	;; [unrolled: 1-line block ×13, first 2 shown]
	ds_write_b64 v1, v[74:75]
	s_waitcnt lgkmcnt(0)
	s_barrier
	s_and_saveexec_b64 s[34:35], s[2:3]
	s_cbranch_execz .LBB1144_315
; %bb.314:
	v_add_u32_e32 v1, -8, v1
	ds_read_b64 v[76:77], v1
.LBB1144_315:
	s_or_b64 exec, exec, s[34:35]
	v_cndmask_b32_e64 v1, 0, 1, vcc
	v_cndmask_b32_e64 v100, 0, 1, s[4:5]
	v_cndmask_b32_e64 v101, 0, 1, s[6:7]
	;; [unrolled: 1-line block ×13, first 2 shown]
	s_waitcnt lgkmcnt(0)
	v_cmp_ne_u64_e64 s[4:5], v[76:77], v[26:27]
	s_mov_b64 s[6:7], -1
.LBB1144_316:
                                        ; implicit-def: $sgpr12
	s_branch .LBB1144_333
.LBB1144_317:
                                        ; implicit-def: $sgpr4_sgpr5
                                        ; implicit-def: $vgpr1
                                        ; implicit-def: $vgpr100
                                        ; implicit-def: $vgpr101
                                        ; implicit-def: $vgpr102
                                        ; implicit-def: $vgpr103
                                        ; implicit-def: $vgpr104
                                        ; implicit-def: $vgpr105
                                        ; implicit-def: $vgpr106
                                        ; implicit-def: $vgpr107
                                        ; implicit-def: $vgpr108
                                        ; implicit-def: $vgpr109
                                        ; implicit-def: $vgpr110
                                        ; implicit-def: $vgpr111
                                        ; implicit-def: $vgpr112
                                        ; implicit-def: $sgpr12
	s_cbranch_execnz .LBB1144_322
	s_branch .LBB1144_333
.LBB1144_318:
                                        ; implicit-def: $sgpr4_sgpr5
                                        ; implicit-def: $vgpr1
                                        ; implicit-def: $vgpr100
                                        ; implicit-def: $vgpr101
                                        ; implicit-def: $vgpr102
                                        ; implicit-def: $vgpr103
                                        ; implicit-def: $vgpr104
                                        ; implicit-def: $vgpr105
                                        ; implicit-def: $vgpr106
                                        ; implicit-def: $vgpr107
                                        ; implicit-def: $vgpr108
                                        ; implicit-def: $vgpr109
                                        ; implicit-def: $vgpr110
                                        ; implicit-def: $vgpr111
                                        ; implicit-def: $vgpr112
	s_cbranch_execz .LBB1144_316
; %bb.319:
	v_cmp_ne_u64_e32 vcc, v[28:29], v[58:59]
	v_cndmask_b32_e64 v112, 0, 1, vcc
	v_cmp_ne_u64_e32 vcc, v[28:29], v[60:61]
	v_cndmask_b32_e64 v111, 0, 1, vcc
	;; [unrolled: 2-line block ×13, first 2 shown]
	v_cmp_ne_u64_e32 vcc, v[4:5], v[74:75]
	v_lshlrev_b32_e32 v76, 3, v0
	v_cndmask_b32_e64 v1, 0, 1, vcc
	ds_write_b64 v76, v[74:75]
	s_waitcnt lgkmcnt(0)
	s_barrier
	s_waitcnt lgkmcnt(0)
                                        ; implicit-def: $sgpr4_sgpr5
	s_and_saveexec_b64 s[8:9], s[2:3]
	s_xor_b64 s[8:9], exec, s[8:9]
	s_cbranch_execz .LBB1144_321
; %bb.320:
	v_add_u32_e32 v58, -8, v76
	ds_read_b64 v[58:59], v58
	s_or_b64 s[6:7], s[6:7], exec
	s_waitcnt lgkmcnt(0)
	v_cmp_ne_u64_e32 vcc, v[58:59], v[26:27]
	s_and_b64 s[4:5], vcc, exec
.LBB1144_321:
	s_or_b64 exec, exec, s[8:9]
	s_mov_b32 s12, 1
	s_branch .LBB1144_333
.LBB1144_322:
	s_mul_hi_u32 s5, s42, 0xfffff100
	s_mul_i32 s4, s43, 0xfffff100
	s_sub_i32 s5, s5, s42
	s_add_i32 s5, s5, s4
	s_mul_i32 s4, s42, 0xfffff100
	s_add_u32 s8, s4, s64
	s_addc_u32 s9, s5, s65
	s_and_b64 vcc, exec, s[30:31]
	s_cbranch_vccz .LBB1144_330
; %bb.323:
	s_add_u32 s6, s76, -1
	s_addc_u32 s7, s77, -1
	s_or_b64 s[4:5], s[6:7], s[38:39]
	s_mov_b32 s4, 0
	s_cmp_lg_u64 s[4:5], 0
	s_mov_b64 s[10:11], -1
	s_cbranch_scc0 .LBB1144_544
; %bb.324:
	s_ashr_i32 s12, s39, 31
	s_add_u32 s4, s38, s12
	s_mov_b32 s13, s12
	s_addc_u32 s5, s39, s12
	s_xor_b64 s[14:15], s[4:5], s[12:13]
	v_cvt_f32_u32_e32 v1, s14
	v_cvt_f32_u32_e32 v58, s15
	s_sub_u32 s4, 0, s14
	s_subb_u32 s5, 0, s15
	v_madmk_f32 v1, v58, 0x4f800000, v1
	v_rcp_f32_e32 v1, v1
	v_mul_f32_e32 v1, 0x5f7ffffc, v1
	v_mul_f32_e32 v58, 0x2f800000, v1
	v_trunc_f32_e32 v58, v58
	v_madmk_f32 v1, v58, 0xcf800000, v1
	v_cvt_u32_f32_e32 v58, v58
	v_cvt_u32_f32_e32 v1, v1
	v_readfirstlane_b32 s16, v58
	v_readfirstlane_b32 s17, v1
	s_mul_i32 s18, s4, s16
	s_mul_hi_u32 s20, s4, s17
	s_mul_i32 s19, s5, s17
	s_add_i32 s18, s20, s18
	s_add_i32 s18, s18, s19
	s_mul_i32 s21, s4, s17
	s_mul_hi_u32 s19, s17, s18
	s_mul_i32 s20, s17, s18
	s_mul_hi_u32 s17, s17, s21
	s_add_u32 s17, s17, s20
	s_addc_u32 s19, 0, s19
	s_mul_hi_u32 s22, s16, s21
	s_mul_i32 s21, s16, s21
	s_add_u32 s17, s17, s21
	s_mul_hi_u32 s20, s16, s18
	s_addc_u32 s17, s19, s22
	s_addc_u32 s19, s20, 0
	s_mul_i32 s18, s16, s18
	s_add_u32 s17, s17, s18
	s_addc_u32 s18, 0, s19
	v_add_co_u32_e32 v1, vcc, s17, v1
	s_cmp_lg_u64 vcc, 0
	s_addc_u32 s16, s16, s18
	v_readfirstlane_b32 s18, v1
	s_mul_i32 s17, s4, s16
	s_mul_hi_u32 s19, s4, s18
	s_add_i32 s17, s19, s17
	s_mul_i32 s5, s5, s18
	s_add_i32 s17, s17, s5
	s_mul_i32 s4, s4, s18
	s_mul_hi_u32 s19, s16, s4
	s_mul_i32 s20, s16, s4
	s_mul_i32 s22, s18, s17
	s_mul_hi_u32 s4, s18, s4
	s_mul_hi_u32 s21, s18, s17
	s_add_u32 s4, s4, s22
	s_addc_u32 s18, 0, s21
	s_add_u32 s4, s4, s20
	s_mul_hi_u32 s5, s16, s17
	s_addc_u32 s4, s18, s19
	s_addc_u32 s5, s5, 0
	s_mul_i32 s17, s16, s17
	s_add_u32 s4, s4, s17
	s_addc_u32 s5, 0, s5
	v_add_co_u32_e32 v1, vcc, s4, v1
	s_cmp_lg_u64 vcc, 0
	s_addc_u32 s20, s16, s5
	s_ashr_i32 s16, s7, 31
	s_add_u32 s4, s6, s16
	s_mov_b32 s17, s16
	s_addc_u32 s5, s7, s16
	s_xor_b64 s[18:19], s[4:5], s[16:17]
	v_readfirstlane_b32 s7, v1
	s_mul_i32 s5, s18, s20
	s_mul_hi_u32 s21, s18, s7
	s_mul_hi_u32 s4, s18, s20
	s_add_u32 s5, s21, s5
	s_addc_u32 s4, 0, s4
	s_mul_hi_u32 s22, s19, s7
	s_mul_i32 s7, s19, s7
	s_add_u32 s5, s5, s7
	s_mul_hi_u32 s21, s19, s20
	s_addc_u32 s4, s4, s22
	s_addc_u32 s5, s21, 0
	s_mul_i32 s7, s19, s20
	s_add_u32 s7, s4, s7
	s_addc_u32 s20, 0, s5
	s_mul_i32 s4, s14, s20
	s_mul_hi_u32 s5, s14, s7
	s_add_i32 s4, s5, s4
	s_mul_i32 s5, s15, s7
	s_add_i32 s21, s4, s5
	s_mul_i32 s5, s14, s7
	v_mov_b32_e32 v1, s5
	s_sub_i32 s4, s19, s21
	v_sub_co_u32_e32 v1, vcc, s18, v1
	s_cmp_lg_u64 vcc, 0
	s_subb_u32 s18, s4, s15
	v_subrev_co_u32_e64 v58, s[4:5], s14, v1
	s_cmp_lg_u64 s[4:5], 0
	s_subb_u32 s18, s18, 0
	s_cmp_ge_u32 s18, s15
	s_cselect_b32 s22, -1, 0
	v_cmp_le_u32_e64 s[4:5], s14, v58
	s_cmp_eq_u32 s18, s15
	v_cndmask_b32_e64 v58, 0, -1, s[4:5]
	v_mov_b32_e32 v59, s22
	s_cselect_b64 s[4:5], -1, 0
	v_cndmask_b32_e64 v58, v59, v58, s[4:5]
	s_add_u32 s4, s7, 1
	s_addc_u32 s18, s20, 0
	s_add_u32 s5, s7, 2
	s_addc_u32 s22, s20, 0
	v_mov_b32_e32 v59, s4
	v_mov_b32_e32 v60, s5
	v_cmp_ne_u32_e64 s[4:5], 0, v58
	v_cndmask_b32_e64 v58, v59, v60, s[4:5]
	v_mov_b32_e32 v59, s18
	v_mov_b32_e32 v60, s22
	s_cmp_lg_u64 vcc, 0
	v_cndmask_b32_e64 v59, v59, v60, s[4:5]
	s_subb_u32 s4, s19, s21
	s_cmp_ge_u32 s4, s15
	s_cselect_b32 s5, -1, 0
	v_cmp_le_u32_e32 vcc, s14, v1
	s_cmp_eq_u32 s4, s15
	v_cndmask_b32_e64 v1, 0, -1, vcc
	v_mov_b32_e32 v60, s5
	s_cselect_b64 vcc, -1, 0
	v_cndmask_b32_e32 v1, v60, v1, vcc
	v_mov_b32_e32 v60, s20
	v_cmp_ne_u32_e32 vcc, 0, v1
	v_cndmask_b32_e32 v1, v60, v59, vcc
	v_mov_b32_e32 v59, s7
	v_cndmask_b32_e32 v58, v59, v58, vcc
	s_xor_b64 s[4:5], s[16:17], s[12:13]
	v_xor_b32_e32 v58, s4, v58
	v_xor_b32_e32 v1, s5, v1
	v_mov_b32_e32 v59, s5
	v_subrev_co_u32_e32 v58, vcc, s4, v58
	v_subb_co_u32_e32 v59, vcc, v1, v59, vcc
	s_cbranch_execnz .LBB1144_326
.LBB1144_325:
	v_cvt_f32_u32_e32 v1, s38
	s_sub_i32 s4, 0, s38
	s_mov_b32 s5, 0
	v_rcp_iflag_f32_e32 v1, v1
	v_mul_f32_e32 v1, 0x4f7ffffe, v1
	v_cvt_u32_f32_e32 v1, v1
	v_readfirstlane_b32 s7, v1
	s_mul_i32 s4, s4, s7
	s_mul_hi_u32 s4, s7, s4
	s_add_i32 s7, s7, s4
	s_mul_hi_u32 s4, s6, s7
	s_mul_i32 s10, s4, s38
	s_sub_i32 s6, s6, s10
	s_add_i32 s7, s4, 1
	s_sub_i32 s10, s6, s38
	s_cmp_ge_u32 s6, s38
	s_cselect_b32 s4, s7, s4
	s_cselect_b32 s6, s10, s6
	s_add_i32 s7, s4, 1
	s_cmp_ge_u32 s6, s38
	s_cselect_b32 s4, s7, s4
	v_pk_mov_b32 v[58:59], s[4:5], s[4:5] op_sel:[0,1]
.LBB1144_326:
	v_mad_u32_u24 v62, v0, 15, 14
	v_mov_b32_e32 v63, 0
	v_cmp_gt_u64_e32 vcc, s[8:9], v[62:63]
	v_cmp_ne_u64_e64 s[4:5], v[4:5], v[74:75]
	v_mad_u32_u24 v62, v0, 15, 13
	s_and_b64 s[6:7], vcc, s[4:5]
	v_cmp_gt_u64_e32 vcc, s[8:9], v[62:63]
	v_cmp_ne_u64_e64 s[4:5], v[2:3], v[4:5]
	v_mad_u32_u24 v62, v0, 15, 12
	s_and_b64 s[10:11], vcc, s[4:5]
	;; [unrolled: 4-line block ×13, first 2 shown]
	v_cmp_gt_u64_e32 vcc, s[8:9], v[62:63]
	v_cmp_ne_u64_e64 s[4:5], v[26:27], v[28:29]
	v_lshlrev_b32_e32 v1, 3, v0
	v_mul_u32_u24_e32 v60, 15, v0
	s_and_b64 s[4:5], vcc, s[4:5]
	ds_write_b64 v1, v[74:75]
	s_waitcnt lgkmcnt(0)
	s_barrier
	s_and_saveexec_b64 s[38:39], s[2:3]
	s_cbranch_execz .LBB1144_328
; %bb.327:
	v_add_u32_e32 v1, -8, v1
	ds_read_b64 v[58:59], v1
.LBB1144_328:
	s_or_b64 exec, exec, s[38:39]
	v_mov_b32_e32 v61, v63
	v_cndmask_b32_e64 v112, 0, 1, s[4:5]
	v_cmp_gt_u64_e32 vcc, s[8:9], v[60:61]
	s_waitcnt lgkmcnt(0)
	v_cmp_ne_u64_e64 s[4:5], v[58:59], v[26:27]
	v_cndmask_b32_e64 v1, 0, 1, s[6:7]
	v_cndmask_b32_e64 v100, 0, 1, s[10:11]
	;; [unrolled: 1-line block ×13, first 2 shown]
	s_and_b64 s[4:5], vcc, s[4:5]
	s_mov_b64 s[6:7], -1
.LBB1144_329:
                                        ; implicit-def: $sgpr12
	v_mov_b32_e32 v113, s12
	s_and_saveexec_b64 s[2:3], s[6:7]
	s_cbranch_execnz .LBB1144_334
	s_branch .LBB1144_335
.LBB1144_330:
                                        ; implicit-def: $sgpr4_sgpr5
                                        ; implicit-def: $vgpr1
                                        ; implicit-def: $vgpr100
                                        ; implicit-def: $vgpr101
                                        ; implicit-def: $vgpr102
                                        ; implicit-def: $vgpr103
                                        ; implicit-def: $vgpr104
                                        ; implicit-def: $vgpr105
                                        ; implicit-def: $vgpr106
                                        ; implicit-def: $vgpr107
                                        ; implicit-def: $vgpr108
                                        ; implicit-def: $vgpr109
                                        ; implicit-def: $vgpr110
                                        ; implicit-def: $vgpr111
                                        ; implicit-def: $vgpr112
	s_cbranch_execz .LBB1144_329
; %bb.331:
	v_mad_u32_u24 v58, v0, 15, 14
	v_mov_b32_e32 v59, 0
	v_cmp_gt_u64_e32 vcc, s[8:9], v[58:59]
	v_cmp_ne_u64_e64 s[4:5], v[4:5], v[74:75]
	s_and_b64 s[4:5], vcc, s[4:5]
	v_mad_u32_u24 v58, v0, 15, 13
	v_cndmask_b32_e64 v1, 0, 1, s[4:5]
	v_cmp_gt_u64_e32 vcc, s[8:9], v[58:59]
	v_cmp_ne_u64_e64 s[4:5], v[2:3], v[4:5]
	s_and_b64 s[4:5], vcc, s[4:5]
	v_mad_u32_u24 v58, v0, 15, 12
	v_cndmask_b32_e64 v100, 0, 1, s[4:5]
	;; [unrolled: 5-line block ×13, first 2 shown]
	v_cmp_gt_u64_e32 vcc, s[8:9], v[58:59]
	v_cmp_ne_u64_e64 s[4:5], v[26:27], v[28:29]
	s_and_b64 s[4:5], vcc, s[4:5]
	v_lshlrev_b32_e32 v60, 3, v0
	s_mov_b32 s12, 1
	v_cndmask_b32_e64 v112, 0, 1, s[4:5]
	ds_write_b64 v60, v[74:75]
	s_waitcnt lgkmcnt(0)
	s_barrier
	s_waitcnt lgkmcnt(0)
                                        ; implicit-def: $sgpr4_sgpr5
	s_and_saveexec_b64 s[10:11], s[2:3]
	s_cbranch_execz .LBB1144_474
; %bb.332:
	v_add_u32_e32 v58, -8, v60
	ds_read_b64 v[60:61], v58
	v_mul_u32_u24_e32 v58, 15, v0
	v_cmp_gt_u64_e32 vcc, s[8:9], v[58:59]
	s_or_b64 s[6:7], s[6:7], exec
	s_waitcnt lgkmcnt(0)
	v_cmp_ne_u64_e64 s[2:3], v[60:61], v[26:27]
	s_and_b64 s[2:3], vcc, s[2:3]
	s_and_b64 s[4:5], s[2:3], exec
	s_or_b64 exec, exec, s[10:11]
.LBB1144_333:
	v_mov_b32_e32 v113, s12
	s_and_saveexec_b64 s[2:3], s[6:7]
.LBB1144_334:
	v_cndmask_b32_e64 v113, 0, 1, s[4:5]
.LBB1144_335:
	s_or_b64 exec, exec, s[2:3]
	s_cmp_eq_u64 s[58:59], 0
	v_add3_u32 v58, v112, v113, v111
	v_mov_b32_e32 v64, v54
	v_mov_b32_e32 v65, v55
	s_cselect_b64 s[30:31], -1, 0
	s_cmp_lg_u32 s33, 0
	v_cmp_eq_u32_e64 s[26:27], 0, v112
	v_cmp_eq_u32_e64 s[24:25], 0, v111
	;; [unrolled: 1-line block ×3, first 2 shown]
	v_add3_u32 v115, v58, v110, v109
	v_cmp_eq_u32_e64 s[20:21], 0, v109
	v_cmp_eq_u32_e64 s[18:19], 0, v108
	;; [unrolled: 1-line block ×10, first 2 shown]
	v_cmp_eq_u32_e32 vcc, 0, v1
	v_mbcnt_lo_u32_b32 v114, -1, 0
	s_cbranch_scc0 .LBB1144_406
; %bb.336:
	v_cndmask_b32_e64 v59, 0, v54, s[26:27]
	v_cndmask_b32_e64 v58, 0, v55, s[26:27]
	v_add_co_u32_e64 v59, s[28:29], v59, v56
	v_addc_co_u32_e64 v58, s[28:29], v58, v57, s[28:29]
	v_cndmask_b32_e64 v59, 0, v59, s[24:25]
	v_cndmask_b32_e64 v58, 0, v58, s[24:25]
	v_add_co_u32_e64 v59, s[28:29], v59, v50
	v_addc_co_u32_e64 v58, s[28:29], v58, v51, s[28:29]
	;; [unrolled: 4-line block ×11, first 2 shown]
	v_cndmask_b32_e64 v59, 0, v59, s[4:5]
	v_add3_u32 v60, v115, v108, v107
	v_cndmask_b32_e64 v58, 0, v58, s[4:5]
	v_add_co_u32_e64 v59, s[28:29], v59, v30
	v_add3_u32 v60, v60, v106, v105
	v_addc_co_u32_e64 v58, s[28:29], v58, v31, s[28:29]
	v_cndmask_b32_e64 v59, 0, v59, s[2:3]
	v_add3_u32 v60, v60, v104, v103
	v_cndmask_b32_e64 v58, 0, v58, s[2:3]
	v_add_co_u32_e64 v59, s[28:29], v59, v32
	v_add3_u32 v60, v60, v102, v101
	v_addc_co_u32_e64 v58, s[28:29], v58, v33, s[28:29]
	v_cndmask_b32_e32 v59, 0, v59, vcc
	v_add3_u32 v62, v60, v100, v1
	v_cndmask_b32_e32 v58, 0, v58, vcc
	v_add_co_u32_e32 v60, vcc, v59, v72
	v_mbcnt_hi_u32_b32 v63, -1, v114
	v_addc_co_u32_e32 v61, vcc, v58, v73, vcc
	v_and_b32_e32 v58, 15, v63
	v_mov_b32_dpp v66, v62 row_shr:1 row_mask:0xf bank_mask:0xf
	v_mov_b32_dpp v59, v60 row_shr:1 row_mask:0xf bank_mask:0xf
	;; [unrolled: 1-line block ×3, first 2 shown]
	v_cmp_ne_u32_e32 vcc, 0, v58
	s_and_saveexec_b64 s[28:29], vcc
; %bb.337:
	v_cmp_eq_u32_e32 vcc, 0, v62
	v_cndmask_b32_e32 v59, 0, v59, vcc
	v_add_u32_e32 v66, v66, v62
	v_cndmask_b32_e32 v62, 0, v67, vcc
	v_add_co_u32_e32 v60, vcc, v59, v60
	v_addc_co_u32_e32 v61, vcc, v62, v61, vcc
	v_mov_b32_e32 v62, v66
; %bb.338:
	s_or_b64 exec, exec, s[28:29]
	s_nop 0
	v_mov_b32_dpp v66, v62 row_shr:2 row_mask:0xf bank_mask:0xf
	v_mov_b32_dpp v59, v60 row_shr:2 row_mask:0xf bank_mask:0xf
	v_mov_b32_dpp v67, v61 row_shr:2 row_mask:0xf bank_mask:0xf
	v_cmp_lt_u32_e32 vcc, 1, v58
	s_and_saveexec_b64 s[28:29], vcc
; %bb.339:
	v_cmp_eq_u32_e32 vcc, 0, v62
	v_cndmask_b32_e32 v59, 0, v59, vcc
	v_add_u32_e32 v66, v66, v62
	v_cndmask_b32_e32 v62, 0, v67, vcc
	v_add_co_u32_e32 v60, vcc, v59, v60
	v_addc_co_u32_e32 v61, vcc, v62, v61, vcc
	v_mov_b32_e32 v62, v66
; %bb.340:
	s_or_b64 exec, exec, s[28:29]
	s_nop 0
	v_mov_b32_dpp v66, v62 row_shr:4 row_mask:0xf bank_mask:0xf
	v_mov_b32_dpp v59, v60 row_shr:4 row_mask:0xf bank_mask:0xf
	v_mov_b32_dpp v67, v61 row_shr:4 row_mask:0xf bank_mask:0xf
	v_cmp_lt_u32_e32 vcc, 3, v58
	;; [unrolled: 16-line block ×3, first 2 shown]
	s_and_saveexec_b64 s[28:29], vcc
; %bb.343:
	v_cmp_eq_u32_e32 vcc, 0, v62
	v_cndmask_b32_e32 v59, 0, v59, vcc
	v_add_u32_e32 v58, v66, v62
	v_cndmask_b32_e32 v62, 0, v67, vcc
	v_add_co_u32_e32 v60, vcc, v59, v60
	v_addc_co_u32_e32 v61, vcc, v62, v61, vcc
	v_mov_b32_e32 v62, v58
; %bb.344:
	s_or_b64 exec, exec, s[28:29]
	v_and_b32_e32 v67, 16, v63
	v_mov_b32_dpp v59, v62 row_bcast:15 row_mask:0xf bank_mask:0xf
	v_mov_b32_dpp v58, v60 row_bcast:15 row_mask:0xf bank_mask:0xf
	;; [unrolled: 1-line block ×3, first 2 shown]
	v_cmp_ne_u32_e32 vcc, 0, v67
	s_and_saveexec_b64 s[28:29], vcc
; %bb.345:
	v_cmp_eq_u32_e32 vcc, 0, v62
	v_cndmask_b32_e32 v58, 0, v58, vcc
	v_add_u32_e32 v59, v59, v62
	v_cndmask_b32_e32 v62, 0, v66, vcc
	v_add_co_u32_e32 v60, vcc, v58, v60
	v_addc_co_u32_e32 v61, vcc, v62, v61, vcc
	v_mov_b32_e32 v62, v59
; %bb.346:
	s_or_b64 exec, exec, s[28:29]
	s_nop 0
	v_mov_b32_dpp v59, v62 row_bcast:31 row_mask:0xf bank_mask:0xf
	v_mov_b32_dpp v58, v60 row_bcast:31 row_mask:0xf bank_mask:0xf
	;; [unrolled: 1-line block ×3, first 2 shown]
	v_cmp_lt_u32_e32 vcc, 31, v63
	s_and_saveexec_b64 s[28:29], vcc
; %bb.347:
	v_cmp_eq_u32_e32 vcc, 0, v62
	v_cndmask_b32_e32 v58, 0, v58, vcc
	v_add_u32_e32 v59, v59, v62
	v_cndmask_b32_e32 v62, 0, v66, vcc
	v_add_co_u32_e32 v60, vcc, v58, v60
	v_addc_co_u32_e32 v61, vcc, v62, v61, vcc
	v_mov_b32_e32 v62, v59
; %bb.348:
	s_or_b64 exec, exec, s[28:29]
	v_lshrrev_b32_e32 v58, 6, v0
	v_or_b32_e32 v59, 63, v0
	v_cmp_eq_u32_e32 vcc, v59, v0
	v_lshlrev_b32_e32 v66, 4, v58
	s_and_saveexec_b64 s[28:29], vcc
	s_cbranch_execz .LBB1144_350
; %bb.349:
	ds_write_b32 v66, v62 offset:4128
	ds_write_b64 v66, v[60:61] offset:4136
.LBB1144_350:
	s_or_b64 exec, exec, s[28:29]
	v_cmp_gt_u32_e32 vcc, 4, v0
	s_waitcnt lgkmcnt(0)
	s_barrier
	s_and_saveexec_b64 s[28:29], vcc
	s_cbranch_execz .LBB1144_356
; %bb.351:
	v_lshlrev_b32_e32 v67, 4, v0
	ds_read_b32 v68, v67 offset:4128
	ds_read_b64 v[58:59], v67 offset:4136
	v_and_b32_e32 v69, 3, v63
	v_cmp_ne_u32_e32 vcc, 0, v69
	s_waitcnt lgkmcnt(1)
	v_mov_b32_dpp v71, v68 row_shr:1 row_mask:0xf bank_mask:0xf
	s_waitcnt lgkmcnt(0)
	v_mov_b32_dpp v70, v58 row_shr:1 row_mask:0xf bank_mask:0xf
	v_mov_b32_dpp v76, v59 row_shr:1 row_mask:0xf bank_mask:0xf
	s_and_saveexec_b64 s[34:35], vcc
; %bb.352:
	v_cmp_eq_u32_e32 vcc, 0, v68
	v_cndmask_b32_e32 v70, 0, v70, vcc
	v_add_u32_e32 v71, v71, v68
	v_cndmask_b32_e32 v68, 0, v76, vcc
	v_add_co_u32_e32 v58, vcc, v70, v58
	v_addc_co_u32_e32 v59, vcc, v68, v59, vcc
	v_mov_b32_e32 v68, v71
; %bb.353:
	s_or_b64 exec, exec, s[34:35]
	s_nop 0
	v_mov_b32_dpp v71, v68 row_shr:2 row_mask:0xf bank_mask:0xf
	v_mov_b32_dpp v70, v58 row_shr:2 row_mask:0xf bank_mask:0xf
	;; [unrolled: 1-line block ×3, first 2 shown]
	v_cmp_lt_u32_e32 vcc, 1, v69
	s_and_saveexec_b64 s[34:35], vcc
; %bb.354:
	v_cmp_eq_u32_e32 vcc, 0, v68
	v_cndmask_b32_e32 v70, 0, v70, vcc
	v_add_u32_e32 v69, v71, v68
	v_cndmask_b32_e32 v68, 0, v76, vcc
	v_add_co_u32_e32 v58, vcc, v70, v58
	v_addc_co_u32_e32 v59, vcc, v68, v59, vcc
	v_mov_b32_e32 v68, v69
; %bb.355:
	s_or_b64 exec, exec, s[34:35]
	ds_write_b32 v67, v68 offset:4128
	ds_write_b64 v67, v[58:59] offset:4136
.LBB1144_356:
	s_or_b64 exec, exec, s[28:29]
	v_cmp_gt_u32_e32 vcc, 64, v0
	v_cmp_lt_u32_e64 s[28:29], 63, v0
	v_pk_mov_b32 v[58:59], 0, 0
	v_mov_b32_e32 v76, 0
	s_waitcnt lgkmcnt(0)
	s_barrier
	s_and_saveexec_b64 s[34:35], s[28:29]
	s_cbranch_execz .LBB1144_358
; %bb.357:
	ds_read_b32 v76, v66 offset:4112
	ds_read_b64 v[58:59], v66 offset:4120
	v_cmp_eq_u32_e64 s[28:29], 0, v62
	s_waitcnt lgkmcnt(1)
	v_add_u32_e32 v66, v76, v62
	s_waitcnt lgkmcnt(0)
	v_cndmask_b32_e64 v67, 0, v58, s[28:29]
	v_cndmask_b32_e64 v62, 0, v59, s[28:29]
	v_add_co_u32_e64 v60, s[28:29], v67, v60
	v_addc_co_u32_e64 v61, s[28:29], v62, v61, s[28:29]
	v_mov_b32_e32 v62, v66
.LBB1144_358:
	s_or_b64 exec, exec, s[34:35]
	v_add_u32_e32 v66, -1, v63
	v_and_b32_e32 v67, 64, v63
	v_cmp_lt_i32_e64 s[28:29], v66, v67
	v_cndmask_b32_e64 v66, v66, v63, s[28:29]
	v_lshlrev_b32_e32 v66, 2, v66
	ds_bpermute_b32 v77, v66, v62
	ds_bpermute_b32 v78, v66, v60
	;; [unrolled: 1-line block ×3, first 2 shown]
	v_cmp_eq_u32_e64 s[28:29], 0, v63
	s_and_saveexec_b64 s[34:35], vcc
	s_cbranch_execz .LBB1144_405
; %bb.359:
	v_mov_b32_e32 v67, 0
	ds_read_b32 v80, v67 offset:4176
	ds_read_b64 v[60:61], v67 offset:4184
	s_and_saveexec_b64 s[38:39], s[28:29]
	s_cbranch_execz .LBB1144_361
; %bb.360:
	s_add_i32 s42, s33, 64
	s_mov_b32 s43, 0
	s_lshl_b64 s[44:45], s[42:43], 4
	s_add_u32 s44, s52, s44
	s_addc_u32 s45, s53, s45
	v_mov_b32_e32 v62, s42
	v_mov_b32_e32 v66, 1
	s_waitcnt lgkmcnt(1)
	global_store_dword v67, v80, s[44:45]
	s_waitcnt lgkmcnt(0)
	global_store_dwordx2 v67, v[60:61], s[44:45] offset:8
	s_waitcnt vmcnt(0)
	buffer_wbinvl1_vol
	global_store_byte v62, v66, s[56:57]
.LBB1144_361:
	s_or_b64 exec, exec, s[38:39]
	v_xad_u32 v62, v63, -1, s33
	v_add_u32_e32 v66, 64, v62
	global_load_ubyte v81, v66, s[56:57] glc
	s_waitcnt vmcnt(0)
	v_cmp_eq_u16_e32 vcc, 0, v81
	s_and_saveexec_b64 s[38:39], vcc
	s_cbranch_execz .LBB1144_367
; %bb.362:
	v_mov_b32_e32 v69, s57
	v_add_co_u32_e32 v68, vcc, s56, v66
	v_addc_co_u32_e32 v69, vcc, 0, v69, vcc
	s_mov_b32 s44, 1
	s_mov_b64 s[42:43], 0
.LBB1144_363:                           ; =>This Loop Header: Depth=1
                                        ;     Child Loop BB1144_364 Depth 2
	s_max_u32 s45, s44, 1
.LBB1144_364:                           ;   Parent Loop BB1144_363 Depth=1
                                        ; =>  This Inner Loop Header: Depth=2
	s_add_i32 s45, s45, -1
	s_cmp_eq_u32 s45, 0
	s_sleep 1
	s_cbranch_scc0 .LBB1144_364
; %bb.365:                              ;   in Loop: Header=BB1144_363 Depth=1
	global_load_ubyte v81, v[68:69], off glc
	s_cmp_lt_u32 s44, 32
	s_cselect_b64 s[58:59], -1, 0
	s_cmp_lg_u64 s[58:59], 0
	s_addc_u32 s44, s44, 0
	s_waitcnt vmcnt(0)
	v_cmp_ne_u16_e32 vcc, 0, v81
	s_or_b64 s[42:43], vcc, s[42:43]
	s_andn2_b64 exec, exec, s[42:43]
	s_cbranch_execnz .LBB1144_363
; %bb.366:
	s_or_b64 exec, exec, s[42:43]
.LBB1144_367:
	s_or_b64 exec, exec, s[38:39]
	v_mov_b32_e32 v68, s55
	v_mov_b32_e32 v69, s53
	v_cmp_eq_u16_e32 vcc, 1, v81
	v_cndmask_b32_e32 v68, v68, v69, vcc
	v_mov_b32_e32 v69, s54
	v_mov_b32_e32 v70, s52
	v_cndmask_b32_e32 v69, v69, v70, vcc
	v_lshlrev_b64 v[66:67], 4, v[66:67]
	v_add_co_u32_e32 v66, vcc, v69, v66
	v_addc_co_u32_e32 v67, vcc, v68, v67, vcc
	s_waitcnt lgkmcnt(0)
	buffer_wbinvl1_vol
	global_load_dword v96, v[66:67], off
	global_load_dwordx2 v[70:71], v[66:67], off offset:8
	v_cmp_eq_u16_e32 vcc, 2, v81
	v_lshlrev_b64 v[66:67], v63, -1
	v_and_b32_e32 v82, 63, v63
	v_and_b32_e32 v68, vcc_hi, v67
	v_and_b32_e32 v86, vcc_lo, v66
	v_cmp_ne_u32_e32 vcc, 63, v82
	v_addc_co_u32_e32 v69, vcc, 0, v63, vcc
	v_lshlrev_b32_e32 v83, 2, v69
	v_or_b32_e32 v68, 0x80000000, v68
	v_ffbl_b32_e32 v68, v68
	v_add_u32_e32 v68, 32, v68
	v_ffbl_b32_e32 v86, v86
	v_min_u32_e32 v68, v86, v68
	v_cmp_lt_u32_e32 vcc, v82, v68
	s_waitcnt vmcnt(1)
	ds_bpermute_b32 v84, v83, v96
	s_waitcnt vmcnt(0)
	ds_bpermute_b32 v69, v83, v70
	ds_bpermute_b32 v85, v83, v71
	s_and_saveexec_b64 s[38:39], vcc
	s_cbranch_execz .LBB1144_369
; %bb.368:
	v_cmp_eq_u32_e32 vcc, 0, v96
	s_waitcnt lgkmcnt(1)
	v_cndmask_b32_e32 v69, 0, v69, vcc
	v_add_u32_e32 v84, v84, v96
	s_waitcnt lgkmcnt(0)
	v_cndmask_b32_e32 v85, 0, v85, vcc
	v_add_co_u32_e32 v70, vcc, v69, v70
	v_addc_co_u32_e32 v71, vcc, v85, v71, vcc
	v_mov_b32_e32 v96, v84
.LBB1144_369:
	s_or_b64 exec, exec, s[38:39]
	v_cmp_gt_u32_e32 vcc, 62, v82
	s_waitcnt lgkmcnt(1)
	v_cndmask_b32_e64 v69, 0, 1, vcc
	v_lshlrev_b32_e32 v69, 1, v69
	v_add_lshl_u32 v84, v69, v63, 2
	ds_bpermute_b32 v86, v84, v96
	ds_bpermute_b32 v69, v84, v70
	ds_bpermute_b32 v87, v84, v71
	s_waitcnt lgkmcnt(3)
	v_add_u32_e32 v85, 2, v82
	v_cmp_le_u32_e32 vcc, v85, v68
	s_and_saveexec_b64 s[38:39], vcc
	s_cbranch_execz .LBB1144_371
; %bb.370:
	v_cmp_eq_u32_e32 vcc, 0, v96
	s_waitcnt lgkmcnt(1)
	v_cndmask_b32_e32 v69, 0, v69, vcc
	v_add_u32_e32 v86, v86, v96
	s_waitcnt lgkmcnt(0)
	v_cndmask_b32_e32 v87, 0, v87, vcc
	v_add_co_u32_e32 v70, vcc, v69, v70
	v_addc_co_u32_e32 v71, vcc, v87, v71, vcc
	v_mov_b32_e32 v96, v86
.LBB1144_371:
	s_or_b64 exec, exec, s[38:39]
	v_cmp_gt_u32_e32 vcc, 60, v82
	s_waitcnt lgkmcnt(1)
	v_cndmask_b32_e64 v69, 0, 1, vcc
	v_lshlrev_b32_e32 v69, 2, v69
	v_add_lshl_u32 v86, v69, v63, 2
	ds_bpermute_b32 v88, v86, v96
	ds_bpermute_b32 v69, v86, v70
	ds_bpermute_b32 v89, v86, v71
	s_waitcnt lgkmcnt(3)
	v_add_u32_e32 v87, 4, v82
	v_cmp_le_u32_e32 vcc, v87, v68
	;; [unrolled: 25-line block ×4, first 2 shown]
	s_and_saveexec_b64 s[38:39], vcc
	s_cbranch_execz .LBB1144_377
; %bb.376:
	v_cmp_eq_u32_e32 vcc, 0, v96
	s_waitcnt lgkmcnt(1)
	v_cndmask_b32_e32 v69, 0, v69, vcc
	v_add_u32_e32 v92, v92, v96
	s_waitcnt lgkmcnt(0)
	v_cndmask_b32_e32 v93, 0, v93, vcc
	v_add_co_u32_e32 v70, vcc, v69, v70
	v_addc_co_u32_e32 v71, vcc, v93, v71, vcc
	v_mov_b32_e32 v96, v92
.LBB1144_377:
	s_or_b64 exec, exec, s[38:39]
	v_cmp_gt_u32_e32 vcc, 32, v82
	s_waitcnt lgkmcnt(1)
	v_cndmask_b32_e64 v69, 0, 1, vcc
	v_lshlrev_b32_e32 v69, 5, v69
	v_add_lshl_u32 v92, v69, v63, 2
	ds_bpermute_b32 v69, v92, v96
	ds_bpermute_b32 v63, v92, v70
	s_waitcnt lgkmcnt(2)
	ds_bpermute_b32 v93, v92, v71
	v_add_u32_e32 v94, 32, v82
	v_cmp_le_u32_e32 vcc, v94, v68
	s_and_saveexec_b64 s[38:39], vcc
	s_cbranch_execz .LBB1144_379
; %bb.378:
	v_cmp_eq_u32_e32 vcc, 0, v96
	s_waitcnt lgkmcnt(1)
	v_cndmask_b32_e32 v63, 0, v63, vcc
	v_add_u32_e32 v68, v69, v96
	s_waitcnt lgkmcnt(0)
	v_cndmask_b32_e32 v69, 0, v93, vcc
	v_add_co_u32_e32 v70, vcc, v63, v70
	v_addc_co_u32_e32 v71, vcc, v69, v71, vcc
	v_mov_b32_e32 v96, v68
.LBB1144_379:
	s_or_b64 exec, exec, s[38:39]
	s_waitcnt lgkmcnt(1)
	v_mov_b32_e32 v63, 0
	v_mov_b32_e32 v95, 2
	s_branch .LBB1144_381
.LBB1144_380:                           ;   in Loop: Header=BB1144_381 Depth=1
	s_or_b64 exec, exec, s[38:39]
	v_cmp_eq_u32_e32 vcc, 0, v93
	v_cndmask_b32_e32 v70, 0, v70, vcc
	v_cndmask_b32_e32 v71, 0, v71, vcc
	v_add_co_u32_e32 v70, vcc, v70, v68
	v_subrev_u32_e32 v62, 64, v62
	v_add_u32_e32 v96, v97, v93
	v_addc_co_u32_e32 v71, vcc, v71, v69, vcc
.LBB1144_381:                           ; =>This Loop Header: Depth=1
                                        ;     Child Loop BB1144_384 Depth 2
                                        ;       Child Loop BB1144_385 Depth 3
	v_cmp_ne_u16_sdwa s[38:39], v81, v95 src0_sel:BYTE_0 src1_sel:DWORD
	v_pk_mov_b32 v[68:69], v[70:71], v[70:71] op_sel:[0,1]
	v_cndmask_b32_e64 v70, 0, 1, s[38:39]
	;;#ASMSTART
	;;#ASMEND
	v_cmp_ne_u32_e32 vcc, 0, v70
	s_cmp_lg_u64 vcc, exec
	s_waitcnt lgkmcnt(0)
	v_mov_b32_e32 v93, v96
	s_cbranch_scc1 .LBB1144_400
; %bb.382:                              ;   in Loop: Header=BB1144_381 Depth=1
	global_load_ubyte v81, v62, s[56:57] glc
	s_waitcnt vmcnt(0)
	v_cmp_eq_u16_e32 vcc, 0, v81
	s_and_saveexec_b64 s[38:39], vcc
	s_cbranch_execz .LBB1144_388
; %bb.383:                              ;   in Loop: Header=BB1144_381 Depth=1
	v_mov_b32_e32 v71, s57
	v_add_co_u32_e32 v70, vcc, s56, v62
	v_addc_co_u32_e32 v71, vcc, 0, v71, vcc
	s_mov_b32 s44, 1
	s_mov_b64 s[42:43], 0
.LBB1144_384:                           ;   Parent Loop BB1144_381 Depth=1
                                        ; =>  This Loop Header: Depth=2
                                        ;       Child Loop BB1144_385 Depth 3
	s_max_u32 s45, s44, 1
.LBB1144_385:                           ;   Parent Loop BB1144_381 Depth=1
                                        ;     Parent Loop BB1144_384 Depth=2
                                        ; =>    This Inner Loop Header: Depth=3
	s_add_i32 s45, s45, -1
	s_cmp_eq_u32 s45, 0
	s_sleep 1
	s_cbranch_scc0 .LBB1144_385
; %bb.386:                              ;   in Loop: Header=BB1144_384 Depth=2
	global_load_ubyte v81, v[70:71], off glc
	s_cmp_lt_u32 s44, 32
	s_cselect_b64 s[58:59], -1, 0
	s_cmp_lg_u64 s[58:59], 0
	s_addc_u32 s44, s44, 0
	s_waitcnt vmcnt(0)
	v_cmp_ne_u16_e32 vcc, 0, v81
	s_or_b64 s[42:43], vcc, s[42:43]
	s_andn2_b64 exec, exec, s[42:43]
	s_cbranch_execnz .LBB1144_384
; %bb.387:                              ;   in Loop: Header=BB1144_381 Depth=1
	s_or_b64 exec, exec, s[42:43]
.LBB1144_388:                           ;   in Loop: Header=BB1144_381 Depth=1
	s_or_b64 exec, exec, s[38:39]
	v_mov_b32_e32 v70, s55
	v_mov_b32_e32 v71, s53
	v_cmp_eq_u16_e32 vcc, 1, v81
	v_cndmask_b32_e32 v96, v70, v71, vcc
	v_mov_b32_e32 v70, s54
	v_mov_b32_e32 v71, s52
	v_cndmask_b32_e32 v97, v70, v71, vcc
	v_lshlrev_b64 v[70:71], 4, v[62:63]
	v_add_co_u32_e32 v70, vcc, v97, v70
	v_addc_co_u32_e32 v71, vcc, v96, v71, vcc
	buffer_wbinvl1_vol
	global_load_dword v97, v[70:71], off
	s_nop 0
	global_load_dwordx2 v[70:71], v[70:71], off offset:8
	v_cmp_eq_u16_e32 vcc, 2, v81
	v_and_b32_e32 v96, vcc_hi, v67
	v_or_b32_e32 v96, 0x80000000, v96
	v_and_b32_e32 v117, vcc_lo, v66
	v_ffbl_b32_e32 v96, v96
	v_add_u32_e32 v96, 32, v96
	v_ffbl_b32_e32 v117, v117
	v_min_u32_e32 v96, v117, v96
	v_cmp_lt_u32_e32 vcc, v82, v96
	s_waitcnt vmcnt(1)
	ds_bpermute_b32 v99, v83, v97
	s_waitcnt vmcnt(0)
	ds_bpermute_b32 v98, v83, v70
	ds_bpermute_b32 v116, v83, v71
	s_and_saveexec_b64 s[38:39], vcc
	s_cbranch_execz .LBB1144_390
; %bb.389:                              ;   in Loop: Header=BB1144_381 Depth=1
	v_cmp_eq_u32_e32 vcc, 0, v97
	s_waitcnt lgkmcnt(1)
	v_cndmask_b32_e32 v98, 0, v98, vcc
	v_add_u32_e32 v99, v99, v97
	s_waitcnt lgkmcnt(0)
	v_cndmask_b32_e32 v97, 0, v116, vcc
	v_add_co_u32_e32 v70, vcc, v98, v70
	v_addc_co_u32_e32 v71, vcc, v97, v71, vcc
	v_mov_b32_e32 v97, v99
.LBB1144_390:                           ;   in Loop: Header=BB1144_381 Depth=1
	s_or_b64 exec, exec, s[38:39]
	s_waitcnt lgkmcnt(2)
	ds_bpermute_b32 v99, v84, v97
	s_waitcnt lgkmcnt(2)
	ds_bpermute_b32 v98, v84, v70
	s_waitcnt lgkmcnt(2)
	ds_bpermute_b32 v116, v84, v71
	v_cmp_le_u32_e32 vcc, v85, v96
	s_and_saveexec_b64 s[38:39], vcc
	s_cbranch_execz .LBB1144_392
; %bb.391:                              ;   in Loop: Header=BB1144_381 Depth=1
	v_cmp_eq_u32_e32 vcc, 0, v97
	s_waitcnt lgkmcnt(1)
	v_cndmask_b32_e32 v98, 0, v98, vcc
	v_add_u32_e32 v99, v99, v97
	s_waitcnt lgkmcnt(0)
	v_cndmask_b32_e32 v97, 0, v116, vcc
	v_add_co_u32_e32 v70, vcc, v98, v70
	v_addc_co_u32_e32 v71, vcc, v97, v71, vcc
	v_mov_b32_e32 v97, v99
.LBB1144_392:                           ;   in Loop: Header=BB1144_381 Depth=1
	s_or_b64 exec, exec, s[38:39]
	s_waitcnt lgkmcnt(2)
	ds_bpermute_b32 v99, v86, v97
	s_waitcnt lgkmcnt(2)
	ds_bpermute_b32 v98, v86, v70
	s_waitcnt lgkmcnt(2)
	ds_bpermute_b32 v116, v86, v71
	v_cmp_le_u32_e32 vcc, v87, v96
	;; [unrolled: 21-line block ×5, first 2 shown]
	s_and_saveexec_b64 s[38:39], vcc
	s_cbranch_execz .LBB1144_380
; %bb.399:                              ;   in Loop: Header=BB1144_381 Depth=1
	v_cmp_eq_u32_e32 vcc, 0, v97
	s_waitcnt lgkmcnt(1)
	v_cndmask_b32_e32 v98, 0, v98, vcc
	v_add_u32_e32 v96, v99, v97
	s_waitcnt lgkmcnt(0)
	v_cndmask_b32_e32 v97, 0, v116, vcc
	v_add_co_u32_e32 v70, vcc, v98, v70
	v_addc_co_u32_e32 v71, vcc, v97, v71, vcc
	v_mov_b32_e32 v97, v96
	s_branch .LBB1144_380
.LBB1144_400:                           ;   in Loop: Header=BB1144_381 Depth=1
                                        ; implicit-def: $vgpr70_vgpr71
                                        ; implicit-def: $vgpr96
                                        ; implicit-def: $vgpr81
	s_cbranch_execz .LBB1144_381
; %bb.401:
	s_and_saveexec_b64 s[38:39], s[28:29]
	s_cbranch_execz .LBB1144_403
; %bb.402:
	s_mov_b32 s43, 0
	v_cmp_eq_u32_e32 vcc, 0, v80
	s_add_i32 s42, s33, 64
	v_cndmask_b32_e32 v62, 0, v68, vcc
	s_lshl_b64 s[44:45], s[42:43], 4
	v_cndmask_b32_e32 v63, 0, v69, vcc
	v_add_co_u32_e32 v62, vcc, v62, v60
	s_add_u32 s44, s54, s44
	v_add_u32_e32 v66, v93, v80
	v_addc_co_u32_e32 v63, vcc, v63, v61, vcc
	s_addc_u32 s45, s55, s45
	v_mov_b32_e32 v67, 0
	global_store_dword v67, v66, s[44:45]
	global_store_dwordx2 v67, v[62:63], s[44:45] offset:8
	v_mov_b32_e32 v62, s42
	v_mov_b32_e32 v63, 2
	s_waitcnt vmcnt(0) lgkmcnt(0)
	buffer_wbinvl1_vol
	global_store_byte v62, v63, s[56:57]
	ds_write_b32 v67, v80 offset:4096
	ds_write_b64 v67, v[60:61] offset:4104
	ds_write_b32 v67, v93 offset:4112
	ds_write_b64 v67, v[68:69] offset:4120
.LBB1144_403:
	s_or_b64 exec, exec, s[38:39]
	s_and_b64 exec, exec, s[0:1]
	s_cbranch_execz .LBB1144_405
; %bb.404:
	v_mov_b32_e32 v60, 0
	ds_write_b32 v60, v93 offset:4176
	ds_write_b64 v60, v[68:69] offset:4184
.LBB1144_405:
	s_or_b64 exec, exec, s[34:35]
	v_mov_b32_e32 v63, 0
	s_waitcnt lgkmcnt(0)
	s_barrier
	ds_read_b32 v62, v63 offset:4176
	ds_read_b64 v[60:61], v63 offset:4184
	v_cndmask_b32_e64 v66, v77, v76, s[28:29]
	v_cmp_eq_u32_e32 vcc, 0, v66
	v_cndmask_b32_e64 v58, v78, v58, s[28:29]
	v_cndmask_b32_e64 v59, v79, v59, s[28:29]
	s_waitcnt lgkmcnt(0)
	v_cndmask_b32_e32 v68, 0, v60, vcc
	v_cndmask_b32_e32 v67, 0, v61, vcc
	v_add_co_u32_e32 v58, vcc, v68, v58
	v_addc_co_u32_e32 v67, vcc, v67, v59, vcc
	v_cndmask_b32_e64 v94, v58, v60, s[0:1]
	v_cmp_eq_u32_e32 vcc, 0, v113
	v_cndmask_b32_e64 v95, v67, v61, s[0:1]
	v_cndmask_b32_e32 v60, 0, v94, vcc
	v_cndmask_b32_e64 v59, v66, 0, s[0:1]
	v_cndmask_b32_e32 v58, 0, v95, vcc
	v_add_co_u32_e32 v66, vcc, v60, v54
	v_addc_co_u32_e32 v67, vcc, v58, v55, vcc
	v_cndmask_b32_e64 v60, 0, v66, s[26:27]
	v_cndmask_b32_e64 v58, 0, v67, s[26:27]
	v_add_co_u32_e32 v68, vcc, v60, v56
	v_addc_co_u32_e32 v69, vcc, v58, v57, vcc
	v_cndmask_b32_e64 v60, 0, v68, s[24:25]
	v_cndmask_b32_e64 v58, 0, v69, s[24:25]
	;; [unrolled: 4-line block ×11, first 2 shown]
	v_add_co_u32_e32 v92, vcc, v60, v36
	v_add_u32_e32 v59, v62, v59
	v_addc_co_u32_e32 v93, vcc, v58, v37, vcc
	s_barrier
	ds_read_b32 v58, v63 offset:4096
	ds_read_b64 v[60:61], v63 offset:4104
	ds_read_b32 v62, v63 offset:4112
	ds_read_b64 v[116:117], v63 offset:4120
	v_cndmask_b32_e64 v96, 0, v92, s[4:5]
	v_cndmask_b32_e64 v97, 0, v93, s[4:5]
	v_add_co_u32_e32 v96, vcc, v96, v30
	v_addc_co_u32_e32 v97, vcc, v97, v31, vcc
	s_waitcnt lgkmcnt(3)
	v_cmp_eq_u32_e32 vcc, 0, v58
	s_waitcnt lgkmcnt(0)
	v_cndmask_b32_e32 v116, 0, v116, vcc
	v_cndmask_b32_e32 v63, 0, v117, vcc
	v_add_co_u32_e32 v60, vcc, v116, v60
	v_cndmask_b32_e64 v99, 0, v97, s[2:3]
	v_cndmask_b32_e64 v98, 0, v96, s[2:3]
	v_addc_co_u32_e32 v61, vcc, v63, v61, vcc
	s_branch .LBB1144_434
.LBB1144_406:
                                        ; implicit-def: $vgpr58
                                        ; implicit-def: $vgpr60_vgpr61
                                        ; implicit-def: $vgpr62
                                        ; implicit-def: $vgpr94_vgpr95
                                        ; implicit-def: $vgpr66_vgpr67
                                        ; implicit-def: $vgpr68_vgpr69
                                        ; implicit-def: $vgpr70_vgpr71
                                        ; implicit-def: $vgpr76_vgpr77
                                        ; implicit-def: $vgpr78_vgpr79
                                        ; implicit-def: $vgpr80_vgpr81
                                        ; implicit-def: $vgpr82_vgpr83
                                        ; implicit-def: $vgpr84_vgpr85
                                        ; implicit-def: $vgpr86_vgpr87
                                        ; implicit-def: $vgpr88_vgpr89
                                        ; implicit-def: $vgpr90_vgpr91
                                        ; implicit-def: $vgpr92_vgpr93
                                        ; implicit-def: $vgpr96_vgpr97
                                        ; implicit-def: $vgpr98_vgpr99
                                        ; implicit-def: $vgpr59
	s_cbranch_execz .LBB1144_434
; %bb.407:
	s_and_b64 s[2:3], s[30:31], exec
	s_cselect_b32 s3, 0, s69
	s_cselect_b32 s2, 0, s68
	s_cmp_eq_u64 s[2:3], 0
	s_cbranch_scc1 .LBB1144_409
; %bb.408:
	v_mov_b32_e32 v58, 0
	global_load_dwordx2 v[64:65], v58, s[2:3]
.LBB1144_409:
	v_cmp_eq_u32_e64 s[24:25], 0, v112
	v_cndmask_b32_e64 v59, 0, v54, s[24:25]
	v_cndmask_b32_e64 v58, 0, v55, s[24:25]
	v_add_co_u32_e32 v59, vcc, v59, v56
	v_cmp_eq_u32_e64 s[22:23], 0, v111
	v_addc_co_u32_e32 v58, vcc, v58, v57, vcc
	v_cndmask_b32_e64 v59, 0, v59, s[22:23]
	v_cndmask_b32_e64 v58, 0, v58, s[22:23]
	v_add_co_u32_e32 v59, vcc, v59, v50
	v_cmp_eq_u32_e64 s[20:21], 0, v110
	v_addc_co_u32_e32 v58, vcc, v58, v51, vcc
	;; [unrolled: 5-line block ×11, first 2 shown]
	v_cndmask_b32_e64 v59, 0, v59, s[4:5]
	v_cndmask_b32_e64 v58, 0, v58, s[4:5]
	v_add_co_u32_e32 v59, vcc, v59, v30
	v_addc_co_u32_e32 v58, vcc, v58, v31, vcc
	v_cmp_eq_u32_e32 vcc, 0, v100
	v_add3_u32 v60, v115, v108, v107
	v_cndmask_b32_e32 v59, 0, v59, vcc
	v_add3_u32 v60, v60, v106, v105
	v_cndmask_b32_e32 v58, 0, v58, vcc
	v_add_co_u32_e64 v59, s[26:27], v59, v32
	v_add3_u32 v60, v60, v104, v103
	v_addc_co_u32_e64 v58, s[26:27], v58, v33, s[26:27]
	v_add3_u32 v60, v60, v102, v101
	v_cmp_eq_u32_e64 s[26:27], 0, v1
	v_add3_u32 v63, v60, v100, v1
	v_cndmask_b32_e64 v60, 0, v58, s[26:27]
	v_cndmask_b32_e64 v58, 0, v59, s[26:27]
	v_add_co_u32_e64 v58, s[26:27], v58, v72
	v_mbcnt_hi_u32_b32 v62, -1, v114
	v_addc_co_u32_e64 v59, s[26:27], v60, v73, s[26:27]
	v_and_b32_e32 v60, 15, v62
	v_mov_b32_dpp v66, v63 row_shr:1 row_mask:0xf bank_mask:0xf
	v_mov_b32_dpp v61, v58 row_shr:1 row_mask:0xf bank_mask:0xf
	;; [unrolled: 1-line block ×3, first 2 shown]
	v_cmp_ne_u32_e64 s[26:27], 0, v60
	s_and_saveexec_b64 s[28:29], s[26:27]
; %bb.410:
	v_cmp_eq_u32_e64 s[26:27], 0, v63
	v_cndmask_b32_e64 v61, 0, v61, s[26:27]
	v_add_u32_e32 v66, v66, v63
	v_cndmask_b32_e64 v63, 0, v67, s[26:27]
	v_add_co_u32_e64 v58, s[26:27], v61, v58
	v_addc_co_u32_e64 v59, s[26:27], v63, v59, s[26:27]
	v_mov_b32_e32 v63, v66
; %bb.411:
	s_or_b64 exec, exec, s[28:29]
	s_nop 0
	v_mov_b32_dpp v66, v63 row_shr:2 row_mask:0xf bank_mask:0xf
	v_mov_b32_dpp v61, v58 row_shr:2 row_mask:0xf bank_mask:0xf
	v_mov_b32_dpp v67, v59 row_shr:2 row_mask:0xf bank_mask:0xf
	v_cmp_lt_u32_e64 s[26:27], 1, v60
	s_and_saveexec_b64 s[28:29], s[26:27]
; %bb.412:
	v_cmp_eq_u32_e64 s[26:27], 0, v63
	v_cndmask_b32_e64 v61, 0, v61, s[26:27]
	v_add_u32_e32 v66, v66, v63
	v_cndmask_b32_e64 v63, 0, v67, s[26:27]
	v_add_co_u32_e64 v58, s[26:27], v61, v58
	v_addc_co_u32_e64 v59, s[26:27], v63, v59, s[26:27]
	v_mov_b32_e32 v63, v66
; %bb.413:
	s_or_b64 exec, exec, s[28:29]
	s_nop 0
	v_mov_b32_dpp v66, v63 row_shr:4 row_mask:0xf bank_mask:0xf
	v_mov_b32_dpp v61, v58 row_shr:4 row_mask:0xf bank_mask:0xf
	v_mov_b32_dpp v67, v59 row_shr:4 row_mask:0xf bank_mask:0xf
	v_cmp_lt_u32_e64 s[26:27], 3, v60
	s_and_saveexec_b64 s[28:29], s[26:27]
; %bb.414:
	v_cmp_eq_u32_e64 s[26:27], 0, v63
	v_cndmask_b32_e64 v61, 0, v61, s[26:27]
	v_add_u32_e32 v66, v66, v63
	v_cndmask_b32_e64 v63, 0, v67, s[26:27]
	v_add_co_u32_e64 v58, s[26:27], v61, v58
	v_addc_co_u32_e64 v59, s[26:27], v63, v59, s[26:27]
	v_mov_b32_e32 v63, v66
; %bb.415:
	s_or_b64 exec, exec, s[28:29]
	s_nop 0
	v_mov_b32_dpp v66, v63 row_shr:8 row_mask:0xf bank_mask:0xf
	v_mov_b32_dpp v61, v58 row_shr:8 row_mask:0xf bank_mask:0xf
	v_mov_b32_dpp v67, v59 row_shr:8 row_mask:0xf bank_mask:0xf
	v_cmp_lt_u32_e64 s[26:27], 7, v60
	s_and_saveexec_b64 s[28:29], s[26:27]
; %bb.416:
	v_cmp_eq_u32_e64 s[26:27], 0, v63
	v_cndmask_b32_e64 v61, 0, v61, s[26:27]
	v_add_u32_e32 v60, v66, v63
	v_cndmask_b32_e64 v63, 0, v67, s[26:27]
	v_add_co_u32_e64 v58, s[26:27], v61, v58
	v_addc_co_u32_e64 v59, s[26:27], v63, v59, s[26:27]
	v_mov_b32_e32 v63, v60
; %bb.417:
	s_or_b64 exec, exec, s[28:29]
	v_and_b32_e32 v67, 16, v62
	v_mov_b32_dpp v61, v63 row_bcast:15 row_mask:0xf bank_mask:0xf
	v_mov_b32_dpp v60, v58 row_bcast:15 row_mask:0xf bank_mask:0xf
	;; [unrolled: 1-line block ×3, first 2 shown]
	v_cmp_ne_u32_e64 s[26:27], 0, v67
	s_and_saveexec_b64 s[28:29], s[26:27]
; %bb.418:
	v_cmp_eq_u32_e64 s[26:27], 0, v63
	v_cndmask_b32_e64 v60, 0, v60, s[26:27]
	v_add_u32_e32 v61, v61, v63
	v_cndmask_b32_e64 v63, 0, v66, s[26:27]
	v_add_co_u32_e64 v58, s[26:27], v60, v58
	v_addc_co_u32_e64 v59, s[26:27], v63, v59, s[26:27]
	v_mov_b32_e32 v63, v61
; %bb.419:
	s_or_b64 exec, exec, s[28:29]
	s_nop 0
	v_mov_b32_dpp v61, v63 row_bcast:31 row_mask:0xf bank_mask:0xf
	v_mov_b32_dpp v60, v58 row_bcast:31 row_mask:0xf bank_mask:0xf
	;; [unrolled: 1-line block ×3, first 2 shown]
	v_cmp_lt_u32_e64 s[26:27], 31, v62
	s_and_saveexec_b64 s[28:29], s[26:27]
; %bb.420:
	v_cmp_eq_u32_e64 s[26:27], 0, v63
	v_cndmask_b32_e64 v60, 0, v60, s[26:27]
	v_add_u32_e32 v61, v61, v63
	v_cndmask_b32_e64 v63, 0, v66, s[26:27]
	v_add_co_u32_e64 v58, s[26:27], v60, v58
	v_addc_co_u32_e64 v59, s[26:27], v63, v59, s[26:27]
	v_mov_b32_e32 v63, v61
; %bb.421:
	s_or_b64 exec, exec, s[28:29]
	v_or_b32_e32 v60, 63, v0
	v_lshrrev_b32_e32 v66, 6, v0
	v_cmp_eq_u32_e64 s[26:27], v60, v0
	s_and_saveexec_b64 s[28:29], s[26:27]
	s_cbranch_execz .LBB1144_423
; %bb.422:
	v_lshlrev_b32_e32 v60, 4, v66
	ds_write_b32 v60, v63 offset:4128
	ds_write_b64 v60, v[58:59] offset:4136
.LBB1144_423:
	s_or_b64 exec, exec, s[28:29]
	v_cmp_gt_u32_e64 s[26:27], 4, v0
	s_waitcnt lgkmcnt(0)
	s_barrier
	s_and_saveexec_b64 s[28:29], s[26:27]
	s_cbranch_execz .LBB1144_429
; %bb.424:
	v_lshlrev_b32_e32 v67, 4, v0
	ds_read_b32 v68, v67 offset:4128
	ds_read_b64 v[60:61], v67 offset:4136
	v_and_b32_e32 v69, 3, v62
	v_cmp_ne_u32_e64 s[26:27], 0, v69
	s_waitcnt lgkmcnt(1)
	v_mov_b32_dpp v71, v68 row_shr:1 row_mask:0xf bank_mask:0xf
	s_waitcnt lgkmcnt(0)
	v_mov_b32_dpp v70, v60 row_shr:1 row_mask:0xf bank_mask:0xf
	v_mov_b32_dpp v72, v61 row_shr:1 row_mask:0xf bank_mask:0xf
	s_and_saveexec_b64 s[34:35], s[26:27]
; %bb.425:
	v_cmp_eq_u32_e64 s[26:27], 0, v68
	v_cndmask_b32_e64 v70, 0, v70, s[26:27]
	v_add_u32_e32 v71, v71, v68
	v_cndmask_b32_e64 v68, 0, v72, s[26:27]
	v_add_co_u32_e64 v60, s[26:27], v70, v60
	v_addc_co_u32_e64 v61, s[26:27], v68, v61, s[26:27]
	v_mov_b32_e32 v68, v71
; %bb.426:
	s_or_b64 exec, exec, s[34:35]
	s_nop 0
	v_mov_b32_dpp v71, v68 row_shr:2 row_mask:0xf bank_mask:0xf
	v_mov_b32_dpp v70, v60 row_shr:2 row_mask:0xf bank_mask:0xf
	;; [unrolled: 1-line block ×3, first 2 shown]
	v_cmp_lt_u32_e64 s[26:27], 1, v69
	s_and_saveexec_b64 s[34:35], s[26:27]
; %bb.427:
	v_cmp_eq_u32_e64 s[26:27], 0, v68
	v_cndmask_b32_e64 v70, 0, v70, s[26:27]
	v_add_u32_e32 v69, v71, v68
	v_cndmask_b32_e64 v68, 0, v72, s[26:27]
	v_add_co_u32_e64 v60, s[26:27], v70, v60
	v_addc_co_u32_e64 v61, s[26:27], v68, v61, s[26:27]
	v_mov_b32_e32 v68, v69
; %bb.428:
	s_or_b64 exec, exec, s[34:35]
	ds_write_b32 v67, v68 offset:4128
	ds_write_b64 v67, v[60:61] offset:4136
.LBB1144_429:
	s_or_b64 exec, exec, s[28:29]
	v_cmp_lt_u32_e64 s[26:27], 63, v0
	v_mov_b32_e32 v72, 0
	v_mov_b32_e32 v67, 0
	s_waitcnt vmcnt(0)
	v_pk_mov_b32 v[60:61], v[64:65], v[64:65] op_sel:[0,1]
	s_waitcnt lgkmcnt(0)
	s_barrier
	s_and_saveexec_b64 s[28:29], s[26:27]
	s_cbranch_execz .LBB1144_431
; %bb.430:
	v_lshlrev_b32_e32 v60, 4, v66
	ds_read_b32 v67, v60 offset:4112
	ds_read_b64 v[60:61], v60 offset:4120
	s_waitcnt lgkmcnt(1)
	v_cmp_eq_u32_e64 s[26:27], 0, v67
	v_cndmask_b32_e64 v68, 0, v64, s[26:27]
	v_cndmask_b32_e64 v66, 0, v65, s[26:27]
	s_waitcnt lgkmcnt(0)
	v_add_co_u32_e64 v60, s[26:27], v68, v60
	v_addc_co_u32_e64 v61, s[26:27], v66, v61, s[26:27]
.LBB1144_431:
	s_or_b64 exec, exec, s[28:29]
	v_cmp_eq_u32_e64 s[26:27], 0, v63
	v_cndmask_b32_e64 v68, 0, v60, s[26:27]
	v_add_u32_e32 v66, v67, v63
	v_cndmask_b32_e64 v63, 0, v61, s[26:27]
	v_add_co_u32_e64 v58, s[26:27], v68, v58
	v_addc_co_u32_e64 v59, s[26:27], v63, v59, s[26:27]
	v_add_u32_e32 v63, -1, v62
	v_and_b32_e32 v68, 64, v62
	v_cmp_lt_i32_e64 s[26:27], v63, v68
	v_cndmask_b32_e64 v63, v63, v62, s[26:27]
	v_lshlrev_b32_e32 v63, 2, v63
	ds_bpermute_b32 v58, v63, v58
	ds_bpermute_b32 v66, v63, v66
	ds_bpermute_b32 v68, v63, v59
	v_cmp_eq_u32_e64 s[26:27], 0, v62
	s_waitcnt lgkmcnt(2)
	v_cndmask_b32_e64 v94, v58, v60, s[26:27]
	s_waitcnt lgkmcnt(1)
	v_cndmask_b32_e64 v59, v66, v67, s[26:27]
	;; [unrolled: 2-line block ×3, first 2 shown]
	v_cndmask_b32_e64 v58, v94, v64, s[0:1]
	v_cmp_eq_u32_e64 s[26:27], 0, v113
	v_cndmask_b32_e64 v60, v95, v65, s[0:1]
	v_cndmask_b32_e64 v58, 0, v58, s[26:27]
	;; [unrolled: 1-line block ×3, first 2 shown]
	v_add_co_u32_e64 v66, s[26:27], v58, v54
	v_addc_co_u32_e64 v67, s[26:27], v60, v55, s[26:27]
	v_cndmask_b32_e64 v55, 0, v66, s[24:25]
	v_cndmask_b32_e64 v54, 0, v67, s[24:25]
	v_add_co_u32_e64 v68, s[24:25], v55, v56
	v_addc_co_u32_e64 v69, s[24:25], v54, v57, s[24:25]
	v_cndmask_b32_e64 v55, 0, v68, s[22:23]
	v_cndmask_b32_e64 v54, 0, v69, s[22:23]
	;; [unrolled: 4-line block ×11, first 2 shown]
	v_add_co_u32_e64 v92, s[2:3], v35, v36
	v_addc_co_u32_e64 v93, s[2:3], v34, v37, s[2:3]
	v_cndmask_b32_e64 v35, 0, v92, s[4:5]
	ds_read_b32 v58, v72 offset:4176
	v_cndmask_b32_e64 v34, 0, v93, s[4:5]
	v_add_co_u32_e64 v96, s[2:3], v35, v30
	v_addc_co_u32_e64 v97, s[2:3], v34, v31, s[2:3]
	ds_read_b64 v[30:31], v72 offset:4184
	v_cndmask_b32_e32 v99, 0, v97, vcc
	v_cndmask_b32_e32 v98, 0, v96, vcc
	s_waitcnt lgkmcnt(1)
	v_cmp_eq_u32_e32 vcc, 0, v58
	v_cndmask_b32_e32 v35, 0, v64, vcc
	v_cndmask_b32_e32 v34, 0, v65, vcc
	s_waitcnt lgkmcnt(0)
	v_add_co_u32_e32 v60, vcc, v35, v30
	v_addc_co_u32_e32 v61, vcc, v34, v31, vcc
	s_and_saveexec_b64 s[2:3], s[0:1]
	s_cbranch_execz .LBB1144_433
; %bb.432:
	v_mov_b32_e32 v59, 0
	v_mov_b32_e32 v30, 2
	v_pk_mov_b32 v[94:95], v[64:65], v[64:65] op_sel:[0,1]
	global_store_dword v59, v58, s[54:55] offset:1024
	global_store_dwordx2 v59, v[60:61], s[54:55] offset:1032
	s_waitcnt vmcnt(0)
	buffer_wbinvl1_vol
	global_store_byte v59, v30, s[56:57] offset:64
.LBB1144_433:
	s_or_b64 exec, exec, s[2:3]
	v_mov_b32_e32 v62, 0
.LBB1144_434:
	s_and_b64 s[2:3], s[30:31], exec
	s_cselect_b32 s3, 0, s67
	s_cselect_b32 s2, 0, s66
	s_cmp_eq_u64 s[2:3], 0
	v_pk_mov_b32 v[30:31], 0, 0
	s_barrier
	s_cbranch_scc1 .LBB1144_436
; %bb.435:
	v_mov_b32_e32 v30, 0
	global_load_dwordx2 v[30:31], v30, s[2:3]
.LBB1144_436:
	s_waitcnt vmcnt(0)
	v_lshlrev_b64 v[34:35], 3, v[30:31]
	v_mov_b32_e32 v36, s47
	v_add_co_u32_e32 v52, vcc, s46, v34
	v_mov_b32_e32 v63, 0
	v_addc_co_u32_e32 v53, vcc, v36, v35, vcc
	v_lshlrev_b64 v[36:37], 3, v[62:63]
	v_add_co_u32_e32 v52, vcc, v52, v36
	v_addc_co_u32_e32 v53, vcc, v53, v37, vcc
	v_cmp_eq_u32_e32 vcc, 0, v113
	v_cndmask_b32_e64 v54, 1, 2, vcc
	v_cmp_eq_u32_e32 vcc, 0, v112
	v_cndmask_b32_e64 v55, 1, 2, vcc
	v_cmp_eq_u32_e32 vcc, 0, v111
	v_and_b32_e32 v54, v55, v54
	v_cndmask_b32_e64 v55, 1, 2, vcc
	v_cmp_eq_u32_e32 vcc, 0, v110
	v_add_u32_e32 v51, v59, v113
	v_and_b32_e32 v54, v54, v55
	v_cndmask_b32_e64 v55, 1, 2, vcc
	v_cmp_eq_u32_e32 vcc, 0, v109
	v_add_u32_e32 v50, v51, v112
	;; [unrolled: 4-line block ×12, first 2 shown]
	v_and_b32_e32 v54, v54, v55
	v_cndmask_b32_e64 v55, 1, 2, vcc
	s_movk_i32 s33, 0x100
	v_add_u32_e32 v39, v40, v101
	v_and_b32_e32 v54, v54, v55
	v_cmp_gt_u32_e32 vcc, s33, v58
	v_add_u32_e32 v38, v39, v100
	v_cmp_ne_u32_e64 s[30:31], 0, v113
	v_cmp_ne_u32_e64 s[28:29], 0, v112
	;; [unrolled: 1-line block ×15, first 2 shown]
	s_mov_b64 s[38:39], -1
	v_cmp_gt_i16_e64 s[34:35], 2, v54
	s_cbranch_vccz .LBB1144_443
; %bb.437:
	s_and_saveexec_b64 s[38:39], s[34:35]
	s_cbranch_execz .LBB1144_442
; %bb.438:
	v_cmp_ne_u16_e32 vcc, 1, v54
	s_mov_b64 s[42:43], 0
	s_and_saveexec_b64 s[34:35], vcc
	s_xor_b64 s[34:35], exec, s[34:35]
	s_cbranch_execnz .LBB1144_475
; %bb.439:
	s_andn2_saveexec_b64 s[34:35], s[34:35]
	s_cbranch_execnz .LBB1144_491
.LBB1144_440:
	s_or_b64 exec, exec, s[34:35]
	s_and_b64 exec, exec, s[42:43]
	s_cbranch_execz .LBB1144_442
.LBB1144_441:
	v_sub_u32_e32 v56, v38, v62
	v_mov_b32_e32 v57, 0
	v_lshlrev_b64 v[56:57], 3, v[56:57]
	v_add_co_u32_e32 v56, vcc, v52, v56
	v_addc_co_u32_e32 v57, vcc, v53, v57, vcc
	global_store_dwordx2 v[56:57], v[74:75], off
.LBB1144_442:
	s_or_b64 exec, exec, s[38:39]
	s_mov_b64 s[38:39], 0
.LBB1144_443:
	s_and_b64 vcc, exec, s[38:39]
	s_cbranch_vccz .LBB1144_453
; %bb.444:
	v_cmp_gt_i16_e32 vcc, 2, v54
	s_and_saveexec_b64 s[34:35], vcc
	s_cbranch_execz .LBB1144_449
; %bb.445:
	v_cmp_ne_u16_e32 vcc, 1, v54
	s_mov_b64 s[42:43], 0
	s_and_saveexec_b64 s[38:39], vcc
	s_xor_b64 s[38:39], exec, s[38:39]
	s_cbranch_execnz .LBB1144_492
; %bb.446:
	s_andn2_saveexec_b64 s[2:3], s[38:39]
	s_cbranch_execnz .LBB1144_508
.LBB1144_447:
	s_or_b64 exec, exec, s[2:3]
	s_and_b64 exec, exec, s[42:43]
	s_cbranch_execz .LBB1144_449
.LBB1144_448:
	v_sub_u32_e32 v2, v38, v62
	v_lshlrev_b32_e32 v2, 3, v2
	ds_write_b64 v2, v[74:75]
.LBB1144_449:
	s_or_b64 exec, exec, s[34:35]
	v_cmp_lt_u32_e32 vcc, v0, v58
	s_waitcnt lgkmcnt(0)
	s_barrier
	s_and_saveexec_b64 s[2:3], vcc
	s_cbranch_execz .LBB1144_452
; %bb.450:
	v_lshlrev_b32_e32 v4, 3, v0
	s_mov_b64 s[4:5], 0
	v_mov_b32_e32 v3, 0
	v_mov_b32_e32 v2, v0
.LBB1144_451:                           ; =>This Inner Loop Header: Depth=1
	v_lshlrev_b64 v[6:7], 3, v[2:3]
	ds_read_b64 v[8:9], v4
	v_add_co_u32_e32 v6, vcc, v52, v6
	v_add_u32_e32 v2, 0x100, v2
	v_addc_co_u32_e32 v7, vcc, v53, v7, vcc
	v_cmp_ge_u32_e32 vcc, v2, v58
	v_add_u32_e32 v4, 0x800, v4
	s_or_b64 s[4:5], vcc, s[4:5]
	s_waitcnt lgkmcnt(0)
	global_store_dwordx2 v[6:7], v[8:9], off
	s_andn2_b64 exec, exec, s[4:5]
	s_cbranch_execnz .LBB1144_451
.LBB1144_452:
	s_or_b64 exec, exec, s[2:3]
.LBB1144_453:
	s_cmpk_lg_i32 s80, 0xf00
	s_cselect_b64 s[2:3], -1, 0
	v_cndmask_b32_e64 v8, 0, 1, s[36:37]
	s_and_b64 s[2:3], s[2:3], s[40:41]
	v_sub_u32_e32 v4, v58, v8
	v_cndmask_b32_e64 v5, 0, 1, s[2:3]
	s_and_b64 s[0:1], s[0:1], s[36:37]
	v_add_co_u32_e32 v2, vcc, v98, v32
	v_add_u32_e32 v4, v4, v5
	v_cndmask_b32_e64 v5, v113, 0, s[0:1]
	s_mul_hi_u32 s0, s80, 0x88888889
	v_addc_co_u32_e32 v3, vcc, v99, v33, vcc
	s_lshr_b32 s0, s0, 3
	v_mad_i32_i24 v6, v0, -15, s80
	v_cmp_eq_u32_e32 vcc, s0, v0
	v_cmp_ne_u32_e64 s[0:1], 0, v6
	v_cndmask_b32_e64 v7, 1, v5, s[0:1]
	v_cmp_ne_u32_e64 s[0:1], 1, v6
	v_cndmask_b32_e64 v9, 1, v112, s[0:1]
	;; [unrolled: 2-line block ×15, first 2 shown]
	s_and_b64 vcc, vcc, s[40:41]
	v_cndmask_b32_e32 v22, v1, v6, vcc
	v_cndmask_b32_e32 v21, v100, v21, vcc
	;; [unrolled: 1-line block ×15, first 2 shown]
	v_mov_b32_e32 v1, s49
	v_add_co_u32_e32 v5, vcc, s48, v34
	v_addc_co_u32_e32 v6, vcc, v1, v35, vcc
	v_add_co_u32_e32 v1, vcc, v5, v36
	v_addc_co_u32_e32 v5, vcc, v6, v37, vcc
	v_lshlrev_b32_e32 v6, 3, v8
	v_add_co_u32_e32 v6, vcc, v6, v1
	v_addc_co_u32_e32 v7, vcc, 0, v5, vcc
	v_add_co_u32_e32 v6, vcc, -8, v6
	v_addc_co_u32_e32 v7, vcc, -1, v7, vcc
	v_cmp_eq_u32_e32 vcc, 0, v23
	v_cmp_ne_u32_e64 s[28:29], 0, v23
	v_cndmask_b32_e64 v23, 1, 2, vcc
	v_cmp_eq_u32_e32 vcc, 0, v9
	v_cmp_ne_u32_e64 s[26:27], 0, v9
	v_cndmask_b32_e64 v9, 1, 2, vcc
	v_cmp_eq_u32_e32 vcc, 0, v10
	v_and_b32_e32 v9, v9, v23
	v_cmp_ne_u32_e64 s[24:25], 0, v10
	v_cndmask_b32_e64 v10, 1, 2, vcc
	v_cmp_eq_u32_e32 vcc, 0, v11
	v_and_b32_e32 v9, v9, v10
	v_cndmask_b32_e64 v10, 1, 2, vcc
	v_cmp_eq_u32_e32 vcc, 0, v12
	v_and_b32_e32 v9, v9, v10
	;; [unrolled: 3-line block ×12, first 2 shown]
	v_cndmask_b32_e64 v10, 1, 2, vcc
	s_movk_i32 s30, 0x100
	v_and_b32_e32 v9, v9, v10
	v_cmp_gt_u32_e32 vcc, s30, v4
	v_add_u32_e32 v8, v62, v8
	v_cmp_ne_u32_e64 s[22:23], 0, v11
	v_cmp_ne_u32_e64 s[20:21], 0, v12
	;; [unrolled: 1-line block ×12, first 2 shown]
	s_mov_b64 s[34:35], -1
	v_cmp_gt_i16_e64 s[30:31], 2, v9
	s_barrier
	s_cbranch_vccz .LBB1144_460
; %bb.454:
	s_and_saveexec_b64 s[34:35], s[30:31]
	s_cbranch_execz .LBB1144_459
; %bb.455:
	v_cmp_ne_u16_e32 vcc, 1, v9
	s_mov_b64 s[36:37], 0
	s_and_saveexec_b64 s[30:31], vcc
	s_xor_b64 s[30:31], exec, s[30:31]
	s_cbranch_execnz .LBB1144_509
; %bb.456:
	s_andn2_saveexec_b64 s[30:31], s[30:31]
	s_cbranch_execnz .LBB1144_525
.LBB1144_457:
	s_or_b64 exec, exec, s[30:31]
	s_and_b64 exec, exec, s[36:37]
	s_cbranch_execz .LBB1144_459
.LBB1144_458:
	v_sub_u32_e32 v10, v38, v8
	v_mov_b32_e32 v11, 0
	v_lshlrev_b64 v[10:11], 3, v[10:11]
	v_add_co_u32_e32 v10, vcc, v6, v10
	v_addc_co_u32_e32 v11, vcc, v7, v11, vcc
	global_store_dwordx2 v[10:11], v[2:3], off
.LBB1144_459:
	s_or_b64 exec, exec, s[34:35]
	s_mov_b64 s[34:35], 0
.LBB1144_460:
	s_and_b64 vcc, exec, s[34:35]
	s_cbranch_vccz .LBB1144_470
; %bb.461:
	v_cmp_gt_i16_e32 vcc, 2, v9
	s_and_saveexec_b64 s[30:31], vcc
	s_cbranch_execz .LBB1144_466
; %bb.462:
	v_cmp_ne_u16_e32 vcc, 1, v9
	s_mov_b64 s[36:37], 0
	s_and_saveexec_b64 s[34:35], vcc
	s_xor_b64 s[34:35], exec, s[34:35]
	s_cbranch_execnz .LBB1144_526
; %bb.463:
	s_andn2_saveexec_b64 s[0:1], s[34:35]
	s_cbranch_execnz .LBB1144_542
.LBB1144_464:
	s_or_b64 exec, exec, s[0:1]
	s_and_b64 exec, exec, s[36:37]
	s_cbranch_execz .LBB1144_466
.LBB1144_465:
	v_sub_u32_e32 v8, v38, v8
	v_lshlrev_b32_e32 v8, 3, v8
	ds_write_b64 v8, v[2:3]
.LBB1144_466:
	s_or_b64 exec, exec, s[30:31]
	v_cmp_lt_u32_e32 vcc, v0, v4
	s_waitcnt lgkmcnt(0)
	s_barrier
	s_and_saveexec_b64 s[0:1], vcc
	s_cbranch_execz .LBB1144_469
; %bb.467:
	v_lshlrev_b32_e32 v8, 3, v0
	s_mov_b64 s[2:3], 0
	v_mov_b32_e32 v3, 0
	v_mov_b32_e32 v2, v0
.LBB1144_468:                           ; =>This Inner Loop Header: Depth=1
	v_lshlrev_b64 v[10:11], 3, v[2:3]
	ds_read_b64 v[12:13], v8
	v_add_co_u32_e32 v10, vcc, v6, v10
	v_add_u32_e32 v2, 0x100, v2
	v_addc_co_u32_e32 v11, vcc, v7, v11, vcc
	v_cmp_ge_u32_e32 vcc, v2, v4
	v_add_u32_e32 v8, 0x800, v8
	s_or_b64 s[2:3], vcc, s[2:3]
	s_waitcnt lgkmcnt(0)
	global_store_dwordx2 v[10:11], v[12:13], off
	s_andn2_b64 exec, exec, s[2:3]
	s_cbranch_execnz .LBB1144_468
.LBB1144_469:
	s_or_b64 exec, exec, s[0:1]
.LBB1144_470:
	s_movk_i32 s0, 0xff
	v_cmp_eq_u32_e32 vcc, s0, v0
	s_and_b64 s[0:1], vcc, s[40:41]
	s_and_saveexec_b64 s[2:3], s[0:1]
	s_cbranch_execz .LBB1144_473
; %bb.471:
	v_add_co_u32_e32 v0, vcc, v58, v62
	v_addc_co_u32_e64 v3, s[0:1], 0, 0, vcc
	v_add_co_u32_e32 v2, vcc, v0, v30
	v_mov_b32_e32 v59, 0
	v_addc_co_u32_e32 v3, vcc, v3, v31, vcc
	s_cmpk_lg_i32 s80, 0xf00
	global_store_dwordx2 v59, v[2:3], s[50:51]
	s_cbranch_scc1 .LBB1144_473
; %bb.472:
	v_lshlrev_b64 v[2:3], 3, v[58:59]
	v_add_co_u32_e32 v0, vcc, v1, v2
	v_addc_co_u32_e32 v1, vcc, v5, v3, vcc
	global_store_dwordx2 v[0:1], v[60:61], off offset:-8
.LBB1144_473:
	s_endpgm
.LBB1144_474:
	s_or_b64 exec, exec, s[10:11]
	v_mov_b32_e32 v113, s12
	s_and_saveexec_b64 s[2:3], s[6:7]
	s_cbranch_execnz .LBB1144_334
	s_branch .LBB1144_335
.LBB1144_475:
	s_and_saveexec_b64 s[42:43], s[30:31]
	s_cbranch_execnz .LBB1144_545
; %bb.476:
	s_or_b64 exec, exec, s[42:43]
	s_and_saveexec_b64 s[42:43], s[28:29]
	s_cbranch_execnz .LBB1144_546
.LBB1144_477:
	s_or_b64 exec, exec, s[42:43]
	s_and_saveexec_b64 s[42:43], s[26:27]
	s_cbranch_execnz .LBB1144_547
.LBB1144_478:
	s_or_b64 exec, exec, s[42:43]
	s_and_saveexec_b64 s[42:43], s[24:25]
	s_cbranch_execnz .LBB1144_548
.LBB1144_479:
	s_or_b64 exec, exec, s[42:43]
	s_and_saveexec_b64 s[42:43], s[22:23]
	s_cbranch_execnz .LBB1144_549
.LBB1144_480:
	s_or_b64 exec, exec, s[42:43]
	s_and_saveexec_b64 s[42:43], s[20:21]
	s_cbranch_execnz .LBB1144_550
.LBB1144_481:
	s_or_b64 exec, exec, s[42:43]
	s_and_saveexec_b64 s[42:43], s[18:19]
	s_cbranch_execnz .LBB1144_551
.LBB1144_482:
	s_or_b64 exec, exec, s[42:43]
	s_and_saveexec_b64 s[42:43], s[16:17]
	s_cbranch_execnz .LBB1144_552
.LBB1144_483:
	s_or_b64 exec, exec, s[42:43]
	s_and_saveexec_b64 s[42:43], s[14:15]
	s_cbranch_execnz .LBB1144_553
.LBB1144_484:
	s_or_b64 exec, exec, s[42:43]
	s_and_saveexec_b64 s[42:43], s[12:13]
	s_cbranch_execnz .LBB1144_554
.LBB1144_485:
	s_or_b64 exec, exec, s[42:43]
	s_and_saveexec_b64 s[42:43], s[10:11]
	s_cbranch_execnz .LBB1144_555
.LBB1144_486:
	s_or_b64 exec, exec, s[42:43]
	s_and_saveexec_b64 s[42:43], s[8:9]
	s_cbranch_execnz .LBB1144_556
.LBB1144_487:
	s_or_b64 exec, exec, s[42:43]
	s_and_saveexec_b64 s[42:43], s[6:7]
	s_cbranch_execnz .LBB1144_557
.LBB1144_488:
	s_or_b64 exec, exec, s[42:43]
	s_and_saveexec_b64 s[42:43], s[4:5]
	s_cbranch_execz .LBB1144_490
.LBB1144_489:
	v_sub_u32_e32 v56, v39, v62
	v_mov_b32_e32 v57, 0
	v_lshlrev_b64 v[56:57], 3, v[56:57]
	v_add_co_u32_e32 v56, vcc, v52, v56
	v_addc_co_u32_e32 v57, vcc, v53, v57, vcc
	global_store_dwordx2 v[56:57], v[4:5], off
.LBB1144_490:
	s_or_b64 exec, exec, s[42:43]
	s_and_b64 s[42:43], s[2:3], exec
	s_andn2_saveexec_b64 s[34:35], s[34:35]
	s_cbranch_execz .LBB1144_440
.LBB1144_491:
	v_sub_u32_e32 v56, v59, v62
	v_mov_b32_e32 v57, 0
	v_lshlrev_b64 v[64:65], 3, v[56:57]
	v_add_co_u32_e32 v64, vcc, v52, v64
	v_addc_co_u32_e32 v65, vcc, v53, v65, vcc
	v_sub_u32_e32 v56, v51, v62
	global_store_dwordx2 v[64:65], v[26:27], off
	v_lshlrev_b64 v[64:65], 3, v[56:57]
	v_add_co_u32_e32 v64, vcc, v52, v64
	v_addc_co_u32_e32 v65, vcc, v53, v65, vcc
	v_sub_u32_e32 v56, v50, v62
	global_store_dwordx2 v[64:65], v[28:29], off
	;; [unrolled: 5-line block ×12, first 2 shown]
	v_lshlrev_b64 v[64:65], 3, v[56:57]
	v_add_co_u32_e32 v64, vcc, v52, v64
	v_sub_u32_e32 v56, v39, v62
	v_addc_co_u32_e32 v65, vcc, v53, v65, vcc
	v_lshlrev_b64 v[56:57], 3, v[56:57]
	v_add_co_u32_e32 v56, vcc, v52, v56
	v_addc_co_u32_e32 v57, vcc, v53, v57, vcc
	s_or_b64 s[42:43], s[42:43], exec
	global_store_dwordx2 v[64:65], v[2:3], off
	global_store_dwordx2 v[56:57], v[4:5], off
	s_or_b64 exec, exec, s[34:35]
	s_and_b64 exec, exec, s[42:43]
	s_cbranch_execnz .LBB1144_441
	s_branch .LBB1144_442
.LBB1144_492:
	s_and_saveexec_b64 s[42:43], s[30:31]
	s_cbranch_execnz .LBB1144_558
; %bb.493:
	s_or_b64 exec, exec, s[42:43]
	s_and_saveexec_b64 s[30:31], s[28:29]
	s_cbranch_execnz .LBB1144_559
.LBB1144_494:
	s_or_b64 exec, exec, s[30:31]
	s_and_saveexec_b64 s[28:29], s[26:27]
	s_cbranch_execnz .LBB1144_560
.LBB1144_495:
	s_or_b64 exec, exec, s[28:29]
	s_and_saveexec_b64 s[26:27], s[24:25]
	s_cbranch_execnz .LBB1144_561
.LBB1144_496:
	s_or_b64 exec, exec, s[26:27]
	s_and_saveexec_b64 s[24:25], s[22:23]
	s_cbranch_execnz .LBB1144_562
.LBB1144_497:
	s_or_b64 exec, exec, s[24:25]
	s_and_saveexec_b64 s[22:23], s[20:21]
	s_cbranch_execnz .LBB1144_563
.LBB1144_498:
	s_or_b64 exec, exec, s[22:23]
	s_and_saveexec_b64 s[20:21], s[18:19]
	s_cbranch_execnz .LBB1144_564
.LBB1144_499:
	s_or_b64 exec, exec, s[20:21]
	s_and_saveexec_b64 s[18:19], s[16:17]
	s_cbranch_execnz .LBB1144_565
.LBB1144_500:
	s_or_b64 exec, exec, s[18:19]
	s_and_saveexec_b64 s[16:17], s[14:15]
	s_cbranch_execnz .LBB1144_566
.LBB1144_501:
	s_or_b64 exec, exec, s[16:17]
	s_and_saveexec_b64 s[14:15], s[12:13]
	s_cbranch_execnz .LBB1144_567
.LBB1144_502:
	s_or_b64 exec, exec, s[14:15]
	s_and_saveexec_b64 s[12:13], s[10:11]
	s_cbranch_execnz .LBB1144_568
.LBB1144_503:
	s_or_b64 exec, exec, s[12:13]
	s_and_saveexec_b64 s[10:11], s[8:9]
	s_cbranch_execnz .LBB1144_569
.LBB1144_504:
	s_or_b64 exec, exec, s[10:11]
	s_and_saveexec_b64 s[8:9], s[6:7]
	s_cbranch_execnz .LBB1144_570
.LBB1144_505:
	s_or_b64 exec, exec, s[8:9]
	s_and_saveexec_b64 s[6:7], s[4:5]
	s_cbranch_execz .LBB1144_507
.LBB1144_506:
	v_sub_u32_e32 v2, v39, v62
	v_lshlrev_b32_e32 v2, 3, v2
	ds_write_b64 v2, v[4:5]
.LBB1144_507:
	s_or_b64 exec, exec, s[6:7]
	s_and_b64 s[42:43], s[2:3], exec
                                        ; implicit-def: $vgpr2_vgpr3
                                        ; implicit-def: $vgpr6_vgpr7
                                        ; implicit-def: $vgpr10_vgpr11
                                        ; implicit-def: $vgpr14_vgpr15
                                        ; implicit-def: $vgpr18_vgpr19
                                        ; implicit-def: $vgpr22_vgpr23
                                        ; implicit-def: $vgpr26_vgpr27
	s_andn2_saveexec_b64 s[2:3], s[38:39]
	s_cbranch_execz .LBB1144_447
.LBB1144_508:
	v_sub_u32_e32 v54, v59, v62
	v_lshlrev_b32_e32 v54, 3, v54
	ds_write_b64 v54, v[26:27]
	v_sub_u32_e32 v26, v51, v62
	v_lshlrev_b32_e32 v26, 3, v26
	ds_write_b64 v26, v[28:29]
	;; [unrolled: 3-line block ×13, first 2 shown]
	v_sub_u32_e32 v2, v39, v62
	v_lshlrev_b32_e32 v2, 3, v2
	s_or_b64 s[42:43], s[42:43], exec
	ds_write_b64 v2, v[4:5]
	s_or_b64 exec, exec, s[2:3]
	s_and_b64 exec, exec, s[42:43]
	s_cbranch_execnz .LBB1144_448
	s_branch .LBB1144_449
.LBB1144_509:
	s_and_saveexec_b64 s[36:37], s[28:29]
	s_cbranch_execnz .LBB1144_571
; %bb.510:
	s_or_b64 exec, exec, s[36:37]
	s_and_saveexec_b64 s[36:37], s[26:27]
	s_cbranch_execnz .LBB1144_572
.LBB1144_511:
	s_or_b64 exec, exec, s[36:37]
	s_and_saveexec_b64 s[36:37], s[24:25]
	s_cbranch_execnz .LBB1144_573
.LBB1144_512:
	s_or_b64 exec, exec, s[36:37]
	s_and_saveexec_b64 s[36:37], s[22:23]
	s_cbranch_execnz .LBB1144_574
.LBB1144_513:
	s_or_b64 exec, exec, s[36:37]
	s_and_saveexec_b64 s[36:37], s[20:21]
	s_cbranch_execnz .LBB1144_575
.LBB1144_514:
	s_or_b64 exec, exec, s[36:37]
	s_and_saveexec_b64 s[36:37], s[18:19]
	s_cbranch_execnz .LBB1144_576
.LBB1144_515:
	s_or_b64 exec, exec, s[36:37]
	s_and_saveexec_b64 s[36:37], s[16:17]
	s_cbranch_execnz .LBB1144_577
.LBB1144_516:
	s_or_b64 exec, exec, s[36:37]
	s_and_saveexec_b64 s[36:37], s[14:15]
	s_cbranch_execnz .LBB1144_578
.LBB1144_517:
	s_or_b64 exec, exec, s[36:37]
	s_and_saveexec_b64 s[36:37], s[12:13]
	s_cbranch_execnz .LBB1144_579
.LBB1144_518:
	s_or_b64 exec, exec, s[36:37]
	s_and_saveexec_b64 s[36:37], s[10:11]
	s_cbranch_execnz .LBB1144_580
.LBB1144_519:
	s_or_b64 exec, exec, s[36:37]
	s_and_saveexec_b64 s[36:37], s[8:9]
	s_cbranch_execnz .LBB1144_581
.LBB1144_520:
	s_or_b64 exec, exec, s[36:37]
	s_and_saveexec_b64 s[36:37], s[6:7]
	s_cbranch_execnz .LBB1144_582
.LBB1144_521:
	s_or_b64 exec, exec, s[36:37]
	s_and_saveexec_b64 s[36:37], s[4:5]
	s_cbranch_execnz .LBB1144_583
.LBB1144_522:
	s_or_b64 exec, exec, s[36:37]
	s_and_saveexec_b64 s[36:37], s[2:3]
	s_cbranch_execz .LBB1144_524
.LBB1144_523:
	v_sub_u32_e32 v10, v39, v8
	v_mov_b32_e32 v11, 0
	v_lshlrev_b64 v[10:11], 3, v[10:11]
	v_add_co_u32_e32 v10, vcc, v6, v10
	v_addc_co_u32_e32 v11, vcc, v7, v11, vcc
	global_store_dwordx2 v[10:11], v[96:97], off
.LBB1144_524:
	s_or_b64 exec, exec, s[36:37]
	s_and_b64 s[36:37], s[0:1], exec
	s_andn2_saveexec_b64 s[30:31], s[30:31]
	s_cbranch_execz .LBB1144_457
.LBB1144_525:
	v_sub_u32_e32 v10, v59, v8
	v_mov_b32_e32 v11, 0
	v_lshlrev_b64 v[12:13], 3, v[10:11]
	v_add_co_u32_e32 v12, vcc, v6, v12
	v_addc_co_u32_e32 v13, vcc, v7, v13, vcc
	v_sub_u32_e32 v10, v51, v8
	global_store_dwordx2 v[12:13], v[94:95], off
	v_lshlrev_b64 v[12:13], 3, v[10:11]
	v_add_co_u32_e32 v12, vcc, v6, v12
	v_addc_co_u32_e32 v13, vcc, v7, v13, vcc
	v_sub_u32_e32 v10, v50, v8
	global_store_dwordx2 v[12:13], v[66:67], off
	;; [unrolled: 5-line block ×12, first 2 shown]
	v_lshlrev_b64 v[12:13], 3, v[10:11]
	v_add_co_u32_e32 v12, vcc, v6, v12
	v_sub_u32_e32 v10, v39, v8
	v_addc_co_u32_e32 v13, vcc, v7, v13, vcc
	v_lshlrev_b64 v[10:11], 3, v[10:11]
	v_add_co_u32_e32 v10, vcc, v6, v10
	v_addc_co_u32_e32 v11, vcc, v7, v11, vcc
	s_or_b64 s[36:37], s[36:37], exec
	global_store_dwordx2 v[12:13], v[92:93], off
	global_store_dwordx2 v[10:11], v[96:97], off
	s_or_b64 exec, exec, s[30:31]
	s_and_b64 exec, exec, s[36:37]
	s_cbranch_execnz .LBB1144_458
	s_branch .LBB1144_459
.LBB1144_526:
	s_and_saveexec_b64 s[36:37], s[28:29]
	s_cbranch_execnz .LBB1144_584
; %bb.527:
	s_or_b64 exec, exec, s[36:37]
	s_and_saveexec_b64 s[28:29], s[26:27]
	s_cbranch_execnz .LBB1144_585
.LBB1144_528:
	s_or_b64 exec, exec, s[28:29]
	s_and_saveexec_b64 s[26:27], s[24:25]
	s_cbranch_execnz .LBB1144_586
.LBB1144_529:
	s_or_b64 exec, exec, s[26:27]
	s_and_saveexec_b64 s[24:25], s[22:23]
	s_cbranch_execnz .LBB1144_587
.LBB1144_530:
	s_or_b64 exec, exec, s[24:25]
	s_and_saveexec_b64 s[22:23], s[20:21]
	s_cbranch_execnz .LBB1144_588
.LBB1144_531:
	s_or_b64 exec, exec, s[22:23]
	s_and_saveexec_b64 s[20:21], s[18:19]
	s_cbranch_execnz .LBB1144_589
.LBB1144_532:
	s_or_b64 exec, exec, s[20:21]
	s_and_saveexec_b64 s[18:19], s[16:17]
	s_cbranch_execnz .LBB1144_590
.LBB1144_533:
	s_or_b64 exec, exec, s[18:19]
	s_and_saveexec_b64 s[16:17], s[14:15]
	s_cbranch_execnz .LBB1144_591
.LBB1144_534:
	s_or_b64 exec, exec, s[16:17]
	s_and_saveexec_b64 s[14:15], s[12:13]
	s_cbranch_execnz .LBB1144_592
.LBB1144_535:
	s_or_b64 exec, exec, s[14:15]
	s_and_saveexec_b64 s[12:13], s[10:11]
	s_cbranch_execnz .LBB1144_593
.LBB1144_536:
	s_or_b64 exec, exec, s[12:13]
	s_and_saveexec_b64 s[10:11], s[8:9]
	s_cbranch_execnz .LBB1144_594
.LBB1144_537:
	s_or_b64 exec, exec, s[10:11]
	s_and_saveexec_b64 s[8:9], s[6:7]
	s_cbranch_execnz .LBB1144_595
.LBB1144_538:
	s_or_b64 exec, exec, s[8:9]
	s_and_saveexec_b64 s[6:7], s[4:5]
	s_cbranch_execnz .LBB1144_596
.LBB1144_539:
	s_or_b64 exec, exec, s[6:7]
	s_and_saveexec_b64 s[4:5], s[2:3]
	s_cbranch_execz .LBB1144_541
.LBB1144_540:
	v_sub_u32_e32 v9, v39, v8
	v_lshlrev_b32_e32 v9, 3, v9
	ds_write_b64 v9, v[96:97]
.LBB1144_541:
	s_or_b64 exec, exec, s[4:5]
	s_and_b64 s[36:37], s[0:1], exec
                                        ; implicit-def: $vgpr94_vgpr95
                                        ; implicit-def: $vgpr66_vgpr67
                                        ; implicit-def: $vgpr68_vgpr69
                                        ; implicit-def: $vgpr70_vgpr71
                                        ; implicit-def: $vgpr76_vgpr77
                                        ; implicit-def: $vgpr78_vgpr79
                                        ; implicit-def: $vgpr80_vgpr81
                                        ; implicit-def: $vgpr82_vgpr83
                                        ; implicit-def: $vgpr84_vgpr85
                                        ; implicit-def: $vgpr86_vgpr87
                                        ; implicit-def: $vgpr88_vgpr89
                                        ; implicit-def: $vgpr90_vgpr91
                                        ; implicit-def: $vgpr92_vgpr93
                                        ; implicit-def: $vgpr96_vgpr97
                                        ; implicit-def: $vgpr59
                                        ; implicit-def: $vgpr51
                                        ; implicit-def: $vgpr50
                                        ; implicit-def: $vgpr49
                                        ; implicit-def: $vgpr48
                                        ; implicit-def: $vgpr47
                                        ; implicit-def: $vgpr46
                                        ; implicit-def: $vgpr45
                                        ; implicit-def: $vgpr44
                                        ; implicit-def: $vgpr43
                                        ; implicit-def: $vgpr42
                                        ; implicit-def: $vgpr41
                                        ; implicit-def: $vgpr40
                                        ; implicit-def: $vgpr39
	s_andn2_saveexec_b64 s[0:1], s[34:35]
	s_cbranch_execz .LBB1144_464
.LBB1144_542:
	v_sub_u32_e32 v9, v59, v8
	v_lshlrev_b32_e32 v9, 3, v9
	ds_write_b64 v9, v[94:95]
	v_sub_u32_e32 v9, v51, v8
	v_lshlrev_b32_e32 v9, 3, v9
	ds_write_b64 v9, v[66:67]
	;; [unrolled: 3-line block ×13, first 2 shown]
	v_sub_u32_e32 v9, v39, v8
	v_lshlrev_b32_e32 v9, 3, v9
	s_or_b64 s[36:37], s[36:37], exec
	ds_write_b64 v9, v[96:97]
	s_or_b64 exec, exec, s[0:1]
	s_and_b64 exec, exec, s[36:37]
	s_cbranch_execnz .LBB1144_465
	s_branch .LBB1144_466
.LBB1144_543:
                                        ; implicit-def: $vgpr76_vgpr77
	s_andn2_b64 vcc, exec, s[8:9]
	s_cbranch_vccz .LBB1144_312
	s_branch .LBB1144_313
.LBB1144_544:
                                        ; implicit-def: $vgpr58_vgpr59
	s_andn2_b64 vcc, exec, s[10:11]
	s_cbranch_vccz .LBB1144_325
	s_branch .LBB1144_326
.LBB1144_545:
	v_sub_u32_e32 v56, v59, v62
	v_mov_b32_e32 v57, 0
	v_lshlrev_b64 v[56:57], 3, v[56:57]
	v_add_co_u32_e32 v56, vcc, v52, v56
	v_addc_co_u32_e32 v57, vcc, v53, v57, vcc
	global_store_dwordx2 v[56:57], v[26:27], off
	s_or_b64 exec, exec, s[42:43]
	s_and_saveexec_b64 s[42:43], s[28:29]
	s_cbranch_execz .LBB1144_477
.LBB1144_546:
	v_sub_u32_e32 v56, v51, v62
	v_mov_b32_e32 v57, 0
	v_lshlrev_b64 v[56:57], 3, v[56:57]
	v_add_co_u32_e32 v56, vcc, v52, v56
	v_addc_co_u32_e32 v57, vcc, v53, v57, vcc
	global_store_dwordx2 v[56:57], v[28:29], off
	s_or_b64 exec, exec, s[42:43]
	s_and_saveexec_b64 s[42:43], s[26:27]
	s_cbranch_execz .LBB1144_478
.LBB1144_547:
	v_sub_u32_e32 v56, v50, v62
	v_mov_b32_e32 v57, 0
	v_lshlrev_b64 v[56:57], 3, v[56:57]
	v_add_co_u32_e32 v56, vcc, v52, v56
	v_addc_co_u32_e32 v57, vcc, v53, v57, vcc
	global_store_dwordx2 v[56:57], v[22:23], off
	s_or_b64 exec, exec, s[42:43]
	s_and_saveexec_b64 s[42:43], s[24:25]
	s_cbranch_execz .LBB1144_479
.LBB1144_548:
	v_sub_u32_e32 v56, v49, v62
	v_mov_b32_e32 v57, 0
	v_lshlrev_b64 v[56:57], 3, v[56:57]
	v_add_co_u32_e32 v56, vcc, v52, v56
	v_addc_co_u32_e32 v57, vcc, v53, v57, vcc
	global_store_dwordx2 v[56:57], v[24:25], off
	s_or_b64 exec, exec, s[42:43]
	s_and_saveexec_b64 s[42:43], s[22:23]
	s_cbranch_execz .LBB1144_480
.LBB1144_549:
	v_sub_u32_e32 v56, v48, v62
	v_mov_b32_e32 v57, 0
	v_lshlrev_b64 v[56:57], 3, v[56:57]
	v_add_co_u32_e32 v56, vcc, v52, v56
	v_addc_co_u32_e32 v57, vcc, v53, v57, vcc
	global_store_dwordx2 v[56:57], v[18:19], off
	s_or_b64 exec, exec, s[42:43]
	s_and_saveexec_b64 s[42:43], s[20:21]
	s_cbranch_execz .LBB1144_481
.LBB1144_550:
	v_sub_u32_e32 v56, v47, v62
	v_mov_b32_e32 v57, 0
	v_lshlrev_b64 v[56:57], 3, v[56:57]
	v_add_co_u32_e32 v56, vcc, v52, v56
	v_addc_co_u32_e32 v57, vcc, v53, v57, vcc
	global_store_dwordx2 v[56:57], v[20:21], off
	s_or_b64 exec, exec, s[42:43]
	s_and_saveexec_b64 s[42:43], s[18:19]
	s_cbranch_execz .LBB1144_482
.LBB1144_551:
	v_sub_u32_e32 v56, v46, v62
	v_mov_b32_e32 v57, 0
	v_lshlrev_b64 v[56:57], 3, v[56:57]
	v_add_co_u32_e32 v56, vcc, v52, v56
	v_addc_co_u32_e32 v57, vcc, v53, v57, vcc
	global_store_dwordx2 v[56:57], v[14:15], off
	s_or_b64 exec, exec, s[42:43]
	s_and_saveexec_b64 s[42:43], s[16:17]
	s_cbranch_execz .LBB1144_483
.LBB1144_552:
	v_sub_u32_e32 v56, v45, v62
	v_mov_b32_e32 v57, 0
	v_lshlrev_b64 v[56:57], 3, v[56:57]
	v_add_co_u32_e32 v56, vcc, v52, v56
	v_addc_co_u32_e32 v57, vcc, v53, v57, vcc
	global_store_dwordx2 v[56:57], v[16:17], off
	s_or_b64 exec, exec, s[42:43]
	s_and_saveexec_b64 s[42:43], s[14:15]
	s_cbranch_execz .LBB1144_484
.LBB1144_553:
	v_sub_u32_e32 v56, v44, v62
	v_mov_b32_e32 v57, 0
	v_lshlrev_b64 v[56:57], 3, v[56:57]
	v_add_co_u32_e32 v56, vcc, v52, v56
	v_addc_co_u32_e32 v57, vcc, v53, v57, vcc
	global_store_dwordx2 v[56:57], v[10:11], off
	s_or_b64 exec, exec, s[42:43]
	s_and_saveexec_b64 s[42:43], s[12:13]
	s_cbranch_execz .LBB1144_485
.LBB1144_554:
	v_sub_u32_e32 v56, v43, v62
	v_mov_b32_e32 v57, 0
	v_lshlrev_b64 v[56:57], 3, v[56:57]
	v_add_co_u32_e32 v56, vcc, v52, v56
	v_addc_co_u32_e32 v57, vcc, v53, v57, vcc
	global_store_dwordx2 v[56:57], v[12:13], off
	s_or_b64 exec, exec, s[42:43]
	s_and_saveexec_b64 s[42:43], s[10:11]
	s_cbranch_execz .LBB1144_486
.LBB1144_555:
	v_sub_u32_e32 v56, v42, v62
	v_mov_b32_e32 v57, 0
	v_lshlrev_b64 v[56:57], 3, v[56:57]
	v_add_co_u32_e32 v56, vcc, v52, v56
	v_addc_co_u32_e32 v57, vcc, v53, v57, vcc
	global_store_dwordx2 v[56:57], v[6:7], off
	s_or_b64 exec, exec, s[42:43]
	s_and_saveexec_b64 s[42:43], s[8:9]
	s_cbranch_execz .LBB1144_487
.LBB1144_556:
	v_sub_u32_e32 v56, v41, v62
	v_mov_b32_e32 v57, 0
	v_lshlrev_b64 v[56:57], 3, v[56:57]
	v_add_co_u32_e32 v56, vcc, v52, v56
	v_addc_co_u32_e32 v57, vcc, v53, v57, vcc
	global_store_dwordx2 v[56:57], v[8:9], off
	s_or_b64 exec, exec, s[42:43]
	s_and_saveexec_b64 s[42:43], s[6:7]
	s_cbranch_execz .LBB1144_488
.LBB1144_557:
	v_sub_u32_e32 v56, v40, v62
	v_mov_b32_e32 v57, 0
	v_lshlrev_b64 v[56:57], 3, v[56:57]
	v_add_co_u32_e32 v56, vcc, v52, v56
	v_addc_co_u32_e32 v57, vcc, v53, v57, vcc
	global_store_dwordx2 v[56:57], v[2:3], off
	s_or_b64 exec, exec, s[42:43]
	s_and_saveexec_b64 s[42:43], s[4:5]
	s_cbranch_execnz .LBB1144_489
	s_branch .LBB1144_490
.LBB1144_558:
	v_sub_u32_e32 v54, v59, v62
	v_lshlrev_b32_e32 v54, 3, v54
	ds_write_b64 v54, v[26:27]
	s_or_b64 exec, exec, s[42:43]
	s_and_saveexec_b64 s[30:31], s[28:29]
	s_cbranch_execz .LBB1144_494
.LBB1144_559:
	v_sub_u32_e32 v26, v51, v62
	v_lshlrev_b32_e32 v26, 3, v26
	ds_write_b64 v26, v[28:29]
	s_or_b64 exec, exec, s[30:31]
	s_and_saveexec_b64 s[28:29], s[26:27]
	s_cbranch_execz .LBB1144_495
.LBB1144_560:
	v_sub_u32_e32 v26, v50, v62
	v_lshlrev_b32_e32 v26, 3, v26
	ds_write_b64 v26, v[22:23]
	s_or_b64 exec, exec, s[28:29]
	s_and_saveexec_b64 s[26:27], s[24:25]
	s_cbranch_execz .LBB1144_496
.LBB1144_561:
	v_sub_u32_e32 v22, v49, v62
	v_lshlrev_b32_e32 v22, 3, v22
	ds_write_b64 v22, v[24:25]
	s_or_b64 exec, exec, s[26:27]
	s_and_saveexec_b64 s[24:25], s[22:23]
	s_cbranch_execz .LBB1144_497
.LBB1144_562:
	v_sub_u32_e32 v22, v48, v62
	v_lshlrev_b32_e32 v22, 3, v22
	ds_write_b64 v22, v[18:19]
	s_or_b64 exec, exec, s[24:25]
	s_and_saveexec_b64 s[22:23], s[20:21]
	s_cbranch_execz .LBB1144_498
.LBB1144_563:
	v_sub_u32_e32 v18, v47, v62
	v_lshlrev_b32_e32 v18, 3, v18
	ds_write_b64 v18, v[20:21]
	s_or_b64 exec, exec, s[22:23]
	s_and_saveexec_b64 s[20:21], s[18:19]
	s_cbranch_execz .LBB1144_499
.LBB1144_564:
	v_sub_u32_e32 v18, v46, v62
	v_lshlrev_b32_e32 v18, 3, v18
	ds_write_b64 v18, v[14:15]
	s_or_b64 exec, exec, s[20:21]
	s_and_saveexec_b64 s[18:19], s[16:17]
	s_cbranch_execz .LBB1144_500
.LBB1144_565:
	v_sub_u32_e32 v14, v45, v62
	v_lshlrev_b32_e32 v14, 3, v14
	ds_write_b64 v14, v[16:17]
	s_or_b64 exec, exec, s[18:19]
	s_and_saveexec_b64 s[16:17], s[14:15]
	s_cbranch_execz .LBB1144_501
.LBB1144_566:
	v_sub_u32_e32 v14, v44, v62
	v_lshlrev_b32_e32 v14, 3, v14
	ds_write_b64 v14, v[10:11]
	s_or_b64 exec, exec, s[16:17]
	s_and_saveexec_b64 s[14:15], s[12:13]
	s_cbranch_execz .LBB1144_502
.LBB1144_567:
	v_sub_u32_e32 v10, v43, v62
	v_lshlrev_b32_e32 v10, 3, v10
	ds_write_b64 v10, v[12:13]
	s_or_b64 exec, exec, s[14:15]
	s_and_saveexec_b64 s[12:13], s[10:11]
	s_cbranch_execz .LBB1144_503
.LBB1144_568:
	v_sub_u32_e32 v10, v42, v62
	v_lshlrev_b32_e32 v10, 3, v10
	ds_write_b64 v10, v[6:7]
	s_or_b64 exec, exec, s[12:13]
	s_and_saveexec_b64 s[10:11], s[8:9]
	s_cbranch_execz .LBB1144_504
.LBB1144_569:
	v_sub_u32_e32 v6, v41, v62
	v_lshlrev_b32_e32 v6, 3, v6
	ds_write_b64 v6, v[8:9]
	s_or_b64 exec, exec, s[10:11]
	s_and_saveexec_b64 s[8:9], s[6:7]
	s_cbranch_execz .LBB1144_505
.LBB1144_570:
	v_sub_u32_e32 v6, v40, v62
	v_lshlrev_b32_e32 v6, 3, v6
	ds_write_b64 v6, v[2:3]
	s_or_b64 exec, exec, s[8:9]
	s_and_saveexec_b64 s[6:7], s[4:5]
	s_cbranch_execnz .LBB1144_506
	s_branch .LBB1144_507
.LBB1144_571:
	v_sub_u32_e32 v10, v59, v8
	v_mov_b32_e32 v11, 0
	v_lshlrev_b64 v[10:11], 3, v[10:11]
	v_add_co_u32_e32 v10, vcc, v6, v10
	v_addc_co_u32_e32 v11, vcc, v7, v11, vcc
	global_store_dwordx2 v[10:11], v[94:95], off
	s_or_b64 exec, exec, s[36:37]
	s_and_saveexec_b64 s[36:37], s[26:27]
	s_cbranch_execz .LBB1144_511
.LBB1144_572:
	v_sub_u32_e32 v10, v51, v8
	v_mov_b32_e32 v11, 0
	v_lshlrev_b64 v[10:11], 3, v[10:11]
	v_add_co_u32_e32 v10, vcc, v6, v10
	v_addc_co_u32_e32 v11, vcc, v7, v11, vcc
	global_store_dwordx2 v[10:11], v[66:67], off
	s_or_b64 exec, exec, s[36:37]
	s_and_saveexec_b64 s[36:37], s[24:25]
	s_cbranch_execz .LBB1144_512
.LBB1144_573:
	v_sub_u32_e32 v10, v50, v8
	v_mov_b32_e32 v11, 0
	v_lshlrev_b64 v[10:11], 3, v[10:11]
	v_add_co_u32_e32 v10, vcc, v6, v10
	v_addc_co_u32_e32 v11, vcc, v7, v11, vcc
	global_store_dwordx2 v[10:11], v[68:69], off
	s_or_b64 exec, exec, s[36:37]
	s_and_saveexec_b64 s[36:37], s[22:23]
	s_cbranch_execz .LBB1144_513
.LBB1144_574:
	v_sub_u32_e32 v10, v49, v8
	v_mov_b32_e32 v11, 0
	v_lshlrev_b64 v[10:11], 3, v[10:11]
	v_add_co_u32_e32 v10, vcc, v6, v10
	v_addc_co_u32_e32 v11, vcc, v7, v11, vcc
	global_store_dwordx2 v[10:11], v[70:71], off
	s_or_b64 exec, exec, s[36:37]
	s_and_saveexec_b64 s[36:37], s[20:21]
	s_cbranch_execz .LBB1144_514
.LBB1144_575:
	v_sub_u32_e32 v10, v48, v8
	v_mov_b32_e32 v11, 0
	v_lshlrev_b64 v[10:11], 3, v[10:11]
	v_add_co_u32_e32 v10, vcc, v6, v10
	v_addc_co_u32_e32 v11, vcc, v7, v11, vcc
	global_store_dwordx2 v[10:11], v[76:77], off
	s_or_b64 exec, exec, s[36:37]
	s_and_saveexec_b64 s[36:37], s[18:19]
	s_cbranch_execz .LBB1144_515
.LBB1144_576:
	v_sub_u32_e32 v10, v47, v8
	v_mov_b32_e32 v11, 0
	v_lshlrev_b64 v[10:11], 3, v[10:11]
	v_add_co_u32_e32 v10, vcc, v6, v10
	v_addc_co_u32_e32 v11, vcc, v7, v11, vcc
	global_store_dwordx2 v[10:11], v[78:79], off
	s_or_b64 exec, exec, s[36:37]
	s_and_saveexec_b64 s[36:37], s[16:17]
	s_cbranch_execz .LBB1144_516
.LBB1144_577:
	v_sub_u32_e32 v10, v46, v8
	v_mov_b32_e32 v11, 0
	v_lshlrev_b64 v[10:11], 3, v[10:11]
	v_add_co_u32_e32 v10, vcc, v6, v10
	v_addc_co_u32_e32 v11, vcc, v7, v11, vcc
	global_store_dwordx2 v[10:11], v[80:81], off
	s_or_b64 exec, exec, s[36:37]
	s_and_saveexec_b64 s[36:37], s[14:15]
	s_cbranch_execz .LBB1144_517
.LBB1144_578:
	v_sub_u32_e32 v10, v45, v8
	v_mov_b32_e32 v11, 0
	v_lshlrev_b64 v[10:11], 3, v[10:11]
	v_add_co_u32_e32 v10, vcc, v6, v10
	v_addc_co_u32_e32 v11, vcc, v7, v11, vcc
	global_store_dwordx2 v[10:11], v[82:83], off
	s_or_b64 exec, exec, s[36:37]
	s_and_saveexec_b64 s[36:37], s[12:13]
	s_cbranch_execz .LBB1144_518
.LBB1144_579:
	v_sub_u32_e32 v10, v44, v8
	v_mov_b32_e32 v11, 0
	v_lshlrev_b64 v[10:11], 3, v[10:11]
	v_add_co_u32_e32 v10, vcc, v6, v10
	v_addc_co_u32_e32 v11, vcc, v7, v11, vcc
	global_store_dwordx2 v[10:11], v[84:85], off
	s_or_b64 exec, exec, s[36:37]
	s_and_saveexec_b64 s[36:37], s[10:11]
	s_cbranch_execz .LBB1144_519
.LBB1144_580:
	v_sub_u32_e32 v10, v43, v8
	v_mov_b32_e32 v11, 0
	v_lshlrev_b64 v[10:11], 3, v[10:11]
	v_add_co_u32_e32 v10, vcc, v6, v10
	v_addc_co_u32_e32 v11, vcc, v7, v11, vcc
	global_store_dwordx2 v[10:11], v[86:87], off
	s_or_b64 exec, exec, s[36:37]
	s_and_saveexec_b64 s[36:37], s[8:9]
	s_cbranch_execz .LBB1144_520
.LBB1144_581:
	v_sub_u32_e32 v10, v42, v8
	v_mov_b32_e32 v11, 0
	v_lshlrev_b64 v[10:11], 3, v[10:11]
	v_add_co_u32_e32 v10, vcc, v6, v10
	v_addc_co_u32_e32 v11, vcc, v7, v11, vcc
	global_store_dwordx2 v[10:11], v[88:89], off
	s_or_b64 exec, exec, s[36:37]
	s_and_saveexec_b64 s[36:37], s[6:7]
	s_cbranch_execz .LBB1144_521
.LBB1144_582:
	v_sub_u32_e32 v10, v41, v8
	v_mov_b32_e32 v11, 0
	v_lshlrev_b64 v[10:11], 3, v[10:11]
	v_add_co_u32_e32 v10, vcc, v6, v10
	v_addc_co_u32_e32 v11, vcc, v7, v11, vcc
	global_store_dwordx2 v[10:11], v[90:91], off
	s_or_b64 exec, exec, s[36:37]
	s_and_saveexec_b64 s[36:37], s[4:5]
	s_cbranch_execz .LBB1144_522
.LBB1144_583:
	v_sub_u32_e32 v10, v40, v8
	v_mov_b32_e32 v11, 0
	v_lshlrev_b64 v[10:11], 3, v[10:11]
	v_add_co_u32_e32 v10, vcc, v6, v10
	v_addc_co_u32_e32 v11, vcc, v7, v11, vcc
	global_store_dwordx2 v[10:11], v[92:93], off
	s_or_b64 exec, exec, s[36:37]
	s_and_saveexec_b64 s[36:37], s[2:3]
	s_cbranch_execnz .LBB1144_523
	s_branch .LBB1144_524
.LBB1144_584:
	v_sub_u32_e32 v9, v59, v8
	v_lshlrev_b32_e32 v9, 3, v9
	ds_write_b64 v9, v[94:95]
	s_or_b64 exec, exec, s[36:37]
	s_and_saveexec_b64 s[28:29], s[26:27]
	s_cbranch_execz .LBB1144_528
.LBB1144_585:
	v_sub_u32_e32 v9, v51, v8
	v_lshlrev_b32_e32 v9, 3, v9
	ds_write_b64 v9, v[66:67]
	s_or_b64 exec, exec, s[28:29]
	s_and_saveexec_b64 s[26:27], s[24:25]
	s_cbranch_execz .LBB1144_529
.LBB1144_586:
	v_sub_u32_e32 v9, v50, v8
	v_lshlrev_b32_e32 v9, 3, v9
	ds_write_b64 v9, v[68:69]
	s_or_b64 exec, exec, s[26:27]
	s_and_saveexec_b64 s[24:25], s[22:23]
	s_cbranch_execz .LBB1144_530
.LBB1144_587:
	v_sub_u32_e32 v9, v49, v8
	v_lshlrev_b32_e32 v9, 3, v9
	ds_write_b64 v9, v[70:71]
	s_or_b64 exec, exec, s[24:25]
	s_and_saveexec_b64 s[22:23], s[20:21]
	s_cbranch_execz .LBB1144_531
.LBB1144_588:
	v_sub_u32_e32 v9, v48, v8
	v_lshlrev_b32_e32 v9, 3, v9
	ds_write_b64 v9, v[76:77]
	s_or_b64 exec, exec, s[22:23]
	s_and_saveexec_b64 s[20:21], s[18:19]
	s_cbranch_execz .LBB1144_532
.LBB1144_589:
	v_sub_u32_e32 v9, v47, v8
	v_lshlrev_b32_e32 v9, 3, v9
	ds_write_b64 v9, v[78:79]
	s_or_b64 exec, exec, s[20:21]
	s_and_saveexec_b64 s[18:19], s[16:17]
	s_cbranch_execz .LBB1144_533
.LBB1144_590:
	v_sub_u32_e32 v9, v46, v8
	v_lshlrev_b32_e32 v9, 3, v9
	ds_write_b64 v9, v[80:81]
	s_or_b64 exec, exec, s[18:19]
	s_and_saveexec_b64 s[16:17], s[14:15]
	s_cbranch_execz .LBB1144_534
.LBB1144_591:
	v_sub_u32_e32 v9, v45, v8
	v_lshlrev_b32_e32 v9, 3, v9
	ds_write_b64 v9, v[82:83]
	s_or_b64 exec, exec, s[16:17]
	s_and_saveexec_b64 s[14:15], s[12:13]
	s_cbranch_execz .LBB1144_535
.LBB1144_592:
	v_sub_u32_e32 v9, v44, v8
	v_lshlrev_b32_e32 v9, 3, v9
	ds_write_b64 v9, v[84:85]
	s_or_b64 exec, exec, s[14:15]
	s_and_saveexec_b64 s[12:13], s[10:11]
	s_cbranch_execz .LBB1144_536
.LBB1144_593:
	v_sub_u32_e32 v9, v43, v8
	v_lshlrev_b32_e32 v9, 3, v9
	ds_write_b64 v9, v[86:87]
	s_or_b64 exec, exec, s[12:13]
	s_and_saveexec_b64 s[10:11], s[8:9]
	s_cbranch_execz .LBB1144_537
.LBB1144_594:
	v_sub_u32_e32 v9, v42, v8
	v_lshlrev_b32_e32 v9, 3, v9
	ds_write_b64 v9, v[88:89]
	s_or_b64 exec, exec, s[10:11]
	s_and_saveexec_b64 s[8:9], s[6:7]
	s_cbranch_execz .LBB1144_538
.LBB1144_595:
	v_sub_u32_e32 v9, v41, v8
	v_lshlrev_b32_e32 v9, 3, v9
	ds_write_b64 v9, v[90:91]
	s_or_b64 exec, exec, s[8:9]
	s_and_saveexec_b64 s[6:7], s[4:5]
	s_cbranch_execz .LBB1144_539
.LBB1144_596:
	v_sub_u32_e32 v9, v40, v8
	v_lshlrev_b32_e32 v9, 3, v9
	ds_write_b64 v9, v[92:93]
	s_or_b64 exec, exec, s[6:7]
	s_and_saveexec_b64 s[4:5], s[2:3]
	s_cbranch_execnz .LBB1144_540
	s_branch .LBB1144_541
	.section	.rodata,"a",@progbits
	.p2align	6, 0x0
	.amdhsa_kernel _ZN7rocprim17ROCPRIM_400000_NS6detail17trampoline_kernelINS0_14default_configENS1_29reduce_by_key_config_selectorIllN6thrust23THRUST_200600_302600_NS4plusIlEEEEZZNS1_33reduce_by_key_impl_wrapped_configILNS1_25lookback_scan_determinismE0ES3_S9_NS6_18transform_iteratorI6div_opNS6_17counting_iteratorIlNS6_11use_defaultESF_SF_EESF_SF_EENSC_I6mod_opSG_SF_SF_EENS6_6detail15normal_iteratorINS6_10device_ptrIlEEEESO_PmS8_NS6_8equal_toIlEEEE10hipError_tPvRmT2_T3_mT4_T5_T6_T7_T8_P12ihipStream_tbENKUlT_T0_E_clISt17integral_constantIbLb1EES19_EEDaS14_S15_EUlS14_E_NS1_11comp_targetILNS1_3genE4ELNS1_11target_archE910ELNS1_3gpuE8ELNS1_3repE0EEENS1_30default_config_static_selectorELNS0_4arch9wavefront6targetE1EEEvT1_
		.amdhsa_group_segment_fixed_size 30720
		.amdhsa_private_segment_fixed_size 0
		.amdhsa_kernarg_size 152
		.amdhsa_user_sgpr_count 6
		.amdhsa_user_sgpr_private_segment_buffer 1
		.amdhsa_user_sgpr_dispatch_ptr 0
		.amdhsa_user_sgpr_queue_ptr 0
		.amdhsa_user_sgpr_kernarg_segment_ptr 1
		.amdhsa_user_sgpr_dispatch_id 0
		.amdhsa_user_sgpr_flat_scratch_init 0
		.amdhsa_user_sgpr_kernarg_preload_length 0
		.amdhsa_user_sgpr_kernarg_preload_offset 0
		.amdhsa_user_sgpr_private_segment_size 0
		.amdhsa_uses_dynamic_stack 0
		.amdhsa_system_sgpr_private_segment_wavefront_offset 0
		.amdhsa_system_sgpr_workgroup_id_x 1
		.amdhsa_system_sgpr_workgroup_id_y 0
		.amdhsa_system_sgpr_workgroup_id_z 0
		.amdhsa_system_sgpr_workgroup_info 0
		.amdhsa_system_vgpr_workitem_id 0
		.amdhsa_next_free_vgpr 118
		.amdhsa_next_free_sgpr 81
		.amdhsa_accum_offset 120
		.amdhsa_reserve_vcc 1
		.amdhsa_reserve_flat_scratch 0
		.amdhsa_float_round_mode_32 0
		.amdhsa_float_round_mode_16_64 0
		.amdhsa_float_denorm_mode_32 3
		.amdhsa_float_denorm_mode_16_64 3
		.amdhsa_dx10_clamp 1
		.amdhsa_ieee_mode 1
		.amdhsa_fp16_overflow 0
		.amdhsa_tg_split 0
		.amdhsa_exception_fp_ieee_invalid_op 0
		.amdhsa_exception_fp_denorm_src 0
		.amdhsa_exception_fp_ieee_div_zero 0
		.amdhsa_exception_fp_ieee_overflow 0
		.amdhsa_exception_fp_ieee_underflow 0
		.amdhsa_exception_fp_ieee_inexact 0
		.amdhsa_exception_int_div_zero 0
	.end_amdhsa_kernel
	.section	.text._ZN7rocprim17ROCPRIM_400000_NS6detail17trampoline_kernelINS0_14default_configENS1_29reduce_by_key_config_selectorIllN6thrust23THRUST_200600_302600_NS4plusIlEEEEZZNS1_33reduce_by_key_impl_wrapped_configILNS1_25lookback_scan_determinismE0ES3_S9_NS6_18transform_iteratorI6div_opNS6_17counting_iteratorIlNS6_11use_defaultESF_SF_EESF_SF_EENSC_I6mod_opSG_SF_SF_EENS6_6detail15normal_iteratorINS6_10device_ptrIlEEEESO_PmS8_NS6_8equal_toIlEEEE10hipError_tPvRmT2_T3_mT4_T5_T6_T7_T8_P12ihipStream_tbENKUlT_T0_E_clISt17integral_constantIbLb1EES19_EEDaS14_S15_EUlS14_E_NS1_11comp_targetILNS1_3genE4ELNS1_11target_archE910ELNS1_3gpuE8ELNS1_3repE0EEENS1_30default_config_static_selectorELNS0_4arch9wavefront6targetE1EEEvT1_,"axG",@progbits,_ZN7rocprim17ROCPRIM_400000_NS6detail17trampoline_kernelINS0_14default_configENS1_29reduce_by_key_config_selectorIllN6thrust23THRUST_200600_302600_NS4plusIlEEEEZZNS1_33reduce_by_key_impl_wrapped_configILNS1_25lookback_scan_determinismE0ES3_S9_NS6_18transform_iteratorI6div_opNS6_17counting_iteratorIlNS6_11use_defaultESF_SF_EESF_SF_EENSC_I6mod_opSG_SF_SF_EENS6_6detail15normal_iteratorINS6_10device_ptrIlEEEESO_PmS8_NS6_8equal_toIlEEEE10hipError_tPvRmT2_T3_mT4_T5_T6_T7_T8_P12ihipStream_tbENKUlT_T0_E_clISt17integral_constantIbLb1EES19_EEDaS14_S15_EUlS14_E_NS1_11comp_targetILNS1_3genE4ELNS1_11target_archE910ELNS1_3gpuE8ELNS1_3repE0EEENS1_30default_config_static_selectorELNS0_4arch9wavefront6targetE1EEEvT1_,comdat
.Lfunc_end1144:
	.size	_ZN7rocprim17ROCPRIM_400000_NS6detail17trampoline_kernelINS0_14default_configENS1_29reduce_by_key_config_selectorIllN6thrust23THRUST_200600_302600_NS4plusIlEEEEZZNS1_33reduce_by_key_impl_wrapped_configILNS1_25lookback_scan_determinismE0ES3_S9_NS6_18transform_iteratorI6div_opNS6_17counting_iteratorIlNS6_11use_defaultESF_SF_EESF_SF_EENSC_I6mod_opSG_SF_SF_EENS6_6detail15normal_iteratorINS6_10device_ptrIlEEEESO_PmS8_NS6_8equal_toIlEEEE10hipError_tPvRmT2_T3_mT4_T5_T6_T7_T8_P12ihipStream_tbENKUlT_T0_E_clISt17integral_constantIbLb1EES19_EEDaS14_S15_EUlS14_E_NS1_11comp_targetILNS1_3genE4ELNS1_11target_archE910ELNS1_3gpuE8ELNS1_3repE0EEENS1_30default_config_static_selectorELNS0_4arch9wavefront6targetE1EEEvT1_, .Lfunc_end1144-_ZN7rocprim17ROCPRIM_400000_NS6detail17trampoline_kernelINS0_14default_configENS1_29reduce_by_key_config_selectorIllN6thrust23THRUST_200600_302600_NS4plusIlEEEEZZNS1_33reduce_by_key_impl_wrapped_configILNS1_25lookback_scan_determinismE0ES3_S9_NS6_18transform_iteratorI6div_opNS6_17counting_iteratorIlNS6_11use_defaultESF_SF_EESF_SF_EENSC_I6mod_opSG_SF_SF_EENS6_6detail15normal_iteratorINS6_10device_ptrIlEEEESO_PmS8_NS6_8equal_toIlEEEE10hipError_tPvRmT2_T3_mT4_T5_T6_T7_T8_P12ihipStream_tbENKUlT_T0_E_clISt17integral_constantIbLb1EES19_EEDaS14_S15_EUlS14_E_NS1_11comp_targetILNS1_3genE4ELNS1_11target_archE910ELNS1_3gpuE8ELNS1_3repE0EEENS1_30default_config_static_selectorELNS0_4arch9wavefront6targetE1EEEvT1_
                                        ; -- End function
	.section	.AMDGPU.csdata,"",@progbits
; Kernel info:
; codeLenInByte = 68068
; NumSgprs: 85
; NumVgprs: 118
; NumAgprs: 0
; TotalNumVgprs: 118
; ScratchSize: 0
; MemoryBound: 0
; FloatMode: 240
; IeeeMode: 1
; LDSByteSize: 30720 bytes/workgroup (compile time only)
; SGPRBlocks: 10
; VGPRBlocks: 14
; NumSGPRsForWavesPerEU: 85
; NumVGPRsForWavesPerEU: 118
; AccumOffset: 120
; Occupancy: 2
; WaveLimiterHint : 1
; COMPUTE_PGM_RSRC2:SCRATCH_EN: 0
; COMPUTE_PGM_RSRC2:USER_SGPR: 6
; COMPUTE_PGM_RSRC2:TRAP_HANDLER: 0
; COMPUTE_PGM_RSRC2:TGID_X_EN: 1
; COMPUTE_PGM_RSRC2:TGID_Y_EN: 0
; COMPUTE_PGM_RSRC2:TGID_Z_EN: 0
; COMPUTE_PGM_RSRC2:TIDIG_COMP_CNT: 0
; COMPUTE_PGM_RSRC3_GFX90A:ACCUM_OFFSET: 29
; COMPUTE_PGM_RSRC3_GFX90A:TG_SPLIT: 0
	.section	.text._ZN7rocprim17ROCPRIM_400000_NS6detail17trampoline_kernelINS0_14default_configENS1_29reduce_by_key_config_selectorIllN6thrust23THRUST_200600_302600_NS4plusIlEEEEZZNS1_33reduce_by_key_impl_wrapped_configILNS1_25lookback_scan_determinismE0ES3_S9_NS6_18transform_iteratorI6div_opNS6_17counting_iteratorIlNS6_11use_defaultESF_SF_EESF_SF_EENSC_I6mod_opSG_SF_SF_EENS6_6detail15normal_iteratorINS6_10device_ptrIlEEEESO_PmS8_NS6_8equal_toIlEEEE10hipError_tPvRmT2_T3_mT4_T5_T6_T7_T8_P12ihipStream_tbENKUlT_T0_E_clISt17integral_constantIbLb1EES19_EEDaS14_S15_EUlS14_E_NS1_11comp_targetILNS1_3genE3ELNS1_11target_archE908ELNS1_3gpuE7ELNS1_3repE0EEENS1_30default_config_static_selectorELNS0_4arch9wavefront6targetE1EEEvT1_,"axG",@progbits,_ZN7rocprim17ROCPRIM_400000_NS6detail17trampoline_kernelINS0_14default_configENS1_29reduce_by_key_config_selectorIllN6thrust23THRUST_200600_302600_NS4plusIlEEEEZZNS1_33reduce_by_key_impl_wrapped_configILNS1_25lookback_scan_determinismE0ES3_S9_NS6_18transform_iteratorI6div_opNS6_17counting_iteratorIlNS6_11use_defaultESF_SF_EESF_SF_EENSC_I6mod_opSG_SF_SF_EENS6_6detail15normal_iteratorINS6_10device_ptrIlEEEESO_PmS8_NS6_8equal_toIlEEEE10hipError_tPvRmT2_T3_mT4_T5_T6_T7_T8_P12ihipStream_tbENKUlT_T0_E_clISt17integral_constantIbLb1EES19_EEDaS14_S15_EUlS14_E_NS1_11comp_targetILNS1_3genE3ELNS1_11target_archE908ELNS1_3gpuE7ELNS1_3repE0EEENS1_30default_config_static_selectorELNS0_4arch9wavefront6targetE1EEEvT1_,comdat
	.protected	_ZN7rocprim17ROCPRIM_400000_NS6detail17trampoline_kernelINS0_14default_configENS1_29reduce_by_key_config_selectorIllN6thrust23THRUST_200600_302600_NS4plusIlEEEEZZNS1_33reduce_by_key_impl_wrapped_configILNS1_25lookback_scan_determinismE0ES3_S9_NS6_18transform_iteratorI6div_opNS6_17counting_iteratorIlNS6_11use_defaultESF_SF_EESF_SF_EENSC_I6mod_opSG_SF_SF_EENS6_6detail15normal_iteratorINS6_10device_ptrIlEEEESO_PmS8_NS6_8equal_toIlEEEE10hipError_tPvRmT2_T3_mT4_T5_T6_T7_T8_P12ihipStream_tbENKUlT_T0_E_clISt17integral_constantIbLb1EES19_EEDaS14_S15_EUlS14_E_NS1_11comp_targetILNS1_3genE3ELNS1_11target_archE908ELNS1_3gpuE7ELNS1_3repE0EEENS1_30default_config_static_selectorELNS0_4arch9wavefront6targetE1EEEvT1_ ; -- Begin function _ZN7rocprim17ROCPRIM_400000_NS6detail17trampoline_kernelINS0_14default_configENS1_29reduce_by_key_config_selectorIllN6thrust23THRUST_200600_302600_NS4plusIlEEEEZZNS1_33reduce_by_key_impl_wrapped_configILNS1_25lookback_scan_determinismE0ES3_S9_NS6_18transform_iteratorI6div_opNS6_17counting_iteratorIlNS6_11use_defaultESF_SF_EESF_SF_EENSC_I6mod_opSG_SF_SF_EENS6_6detail15normal_iteratorINS6_10device_ptrIlEEEESO_PmS8_NS6_8equal_toIlEEEE10hipError_tPvRmT2_T3_mT4_T5_T6_T7_T8_P12ihipStream_tbENKUlT_T0_E_clISt17integral_constantIbLb1EES19_EEDaS14_S15_EUlS14_E_NS1_11comp_targetILNS1_3genE3ELNS1_11target_archE908ELNS1_3gpuE7ELNS1_3repE0EEENS1_30default_config_static_selectorELNS0_4arch9wavefront6targetE1EEEvT1_
	.globl	_ZN7rocprim17ROCPRIM_400000_NS6detail17trampoline_kernelINS0_14default_configENS1_29reduce_by_key_config_selectorIllN6thrust23THRUST_200600_302600_NS4plusIlEEEEZZNS1_33reduce_by_key_impl_wrapped_configILNS1_25lookback_scan_determinismE0ES3_S9_NS6_18transform_iteratorI6div_opNS6_17counting_iteratorIlNS6_11use_defaultESF_SF_EESF_SF_EENSC_I6mod_opSG_SF_SF_EENS6_6detail15normal_iteratorINS6_10device_ptrIlEEEESO_PmS8_NS6_8equal_toIlEEEE10hipError_tPvRmT2_T3_mT4_T5_T6_T7_T8_P12ihipStream_tbENKUlT_T0_E_clISt17integral_constantIbLb1EES19_EEDaS14_S15_EUlS14_E_NS1_11comp_targetILNS1_3genE3ELNS1_11target_archE908ELNS1_3gpuE7ELNS1_3repE0EEENS1_30default_config_static_selectorELNS0_4arch9wavefront6targetE1EEEvT1_
	.p2align	8
	.type	_ZN7rocprim17ROCPRIM_400000_NS6detail17trampoline_kernelINS0_14default_configENS1_29reduce_by_key_config_selectorIllN6thrust23THRUST_200600_302600_NS4plusIlEEEEZZNS1_33reduce_by_key_impl_wrapped_configILNS1_25lookback_scan_determinismE0ES3_S9_NS6_18transform_iteratorI6div_opNS6_17counting_iteratorIlNS6_11use_defaultESF_SF_EESF_SF_EENSC_I6mod_opSG_SF_SF_EENS6_6detail15normal_iteratorINS6_10device_ptrIlEEEESO_PmS8_NS6_8equal_toIlEEEE10hipError_tPvRmT2_T3_mT4_T5_T6_T7_T8_P12ihipStream_tbENKUlT_T0_E_clISt17integral_constantIbLb1EES19_EEDaS14_S15_EUlS14_E_NS1_11comp_targetILNS1_3genE3ELNS1_11target_archE908ELNS1_3gpuE7ELNS1_3repE0EEENS1_30default_config_static_selectorELNS0_4arch9wavefront6targetE1EEEvT1_,@function
_ZN7rocprim17ROCPRIM_400000_NS6detail17trampoline_kernelINS0_14default_configENS1_29reduce_by_key_config_selectorIllN6thrust23THRUST_200600_302600_NS4plusIlEEEEZZNS1_33reduce_by_key_impl_wrapped_configILNS1_25lookback_scan_determinismE0ES3_S9_NS6_18transform_iteratorI6div_opNS6_17counting_iteratorIlNS6_11use_defaultESF_SF_EESF_SF_EENSC_I6mod_opSG_SF_SF_EENS6_6detail15normal_iteratorINS6_10device_ptrIlEEEESO_PmS8_NS6_8equal_toIlEEEE10hipError_tPvRmT2_T3_mT4_T5_T6_T7_T8_P12ihipStream_tbENKUlT_T0_E_clISt17integral_constantIbLb1EES19_EEDaS14_S15_EUlS14_E_NS1_11comp_targetILNS1_3genE3ELNS1_11target_archE908ELNS1_3gpuE7ELNS1_3repE0EEENS1_30default_config_static_selectorELNS0_4arch9wavefront6targetE1EEEvT1_: ; @_ZN7rocprim17ROCPRIM_400000_NS6detail17trampoline_kernelINS0_14default_configENS1_29reduce_by_key_config_selectorIllN6thrust23THRUST_200600_302600_NS4plusIlEEEEZZNS1_33reduce_by_key_impl_wrapped_configILNS1_25lookback_scan_determinismE0ES3_S9_NS6_18transform_iteratorI6div_opNS6_17counting_iteratorIlNS6_11use_defaultESF_SF_EESF_SF_EENSC_I6mod_opSG_SF_SF_EENS6_6detail15normal_iteratorINS6_10device_ptrIlEEEESO_PmS8_NS6_8equal_toIlEEEE10hipError_tPvRmT2_T3_mT4_T5_T6_T7_T8_P12ihipStream_tbENKUlT_T0_E_clISt17integral_constantIbLb1EES19_EEDaS14_S15_EUlS14_E_NS1_11comp_targetILNS1_3genE3ELNS1_11target_archE908ELNS1_3gpuE7ELNS1_3repE0EEENS1_30default_config_static_selectorELNS0_4arch9wavefront6targetE1EEEvT1_
; %bb.0:
	.section	.rodata,"a",@progbits
	.p2align	6, 0x0
	.amdhsa_kernel _ZN7rocprim17ROCPRIM_400000_NS6detail17trampoline_kernelINS0_14default_configENS1_29reduce_by_key_config_selectorIllN6thrust23THRUST_200600_302600_NS4plusIlEEEEZZNS1_33reduce_by_key_impl_wrapped_configILNS1_25lookback_scan_determinismE0ES3_S9_NS6_18transform_iteratorI6div_opNS6_17counting_iteratorIlNS6_11use_defaultESF_SF_EESF_SF_EENSC_I6mod_opSG_SF_SF_EENS6_6detail15normal_iteratorINS6_10device_ptrIlEEEESO_PmS8_NS6_8equal_toIlEEEE10hipError_tPvRmT2_T3_mT4_T5_T6_T7_T8_P12ihipStream_tbENKUlT_T0_E_clISt17integral_constantIbLb1EES19_EEDaS14_S15_EUlS14_E_NS1_11comp_targetILNS1_3genE3ELNS1_11target_archE908ELNS1_3gpuE7ELNS1_3repE0EEENS1_30default_config_static_selectorELNS0_4arch9wavefront6targetE1EEEvT1_
		.amdhsa_group_segment_fixed_size 0
		.amdhsa_private_segment_fixed_size 0
		.amdhsa_kernarg_size 152
		.amdhsa_user_sgpr_count 6
		.amdhsa_user_sgpr_private_segment_buffer 1
		.amdhsa_user_sgpr_dispatch_ptr 0
		.amdhsa_user_sgpr_queue_ptr 0
		.amdhsa_user_sgpr_kernarg_segment_ptr 1
		.amdhsa_user_sgpr_dispatch_id 0
		.amdhsa_user_sgpr_flat_scratch_init 0
		.amdhsa_user_sgpr_kernarg_preload_length 0
		.amdhsa_user_sgpr_kernarg_preload_offset 0
		.amdhsa_user_sgpr_private_segment_size 0
		.amdhsa_uses_dynamic_stack 0
		.amdhsa_system_sgpr_private_segment_wavefront_offset 0
		.amdhsa_system_sgpr_workgroup_id_x 1
		.amdhsa_system_sgpr_workgroup_id_y 0
		.amdhsa_system_sgpr_workgroup_id_z 0
		.amdhsa_system_sgpr_workgroup_info 0
		.amdhsa_system_vgpr_workitem_id 0
		.amdhsa_next_free_vgpr 1
		.amdhsa_next_free_sgpr 0
		.amdhsa_accum_offset 4
		.amdhsa_reserve_vcc 0
		.amdhsa_reserve_flat_scratch 0
		.amdhsa_float_round_mode_32 0
		.amdhsa_float_round_mode_16_64 0
		.amdhsa_float_denorm_mode_32 3
		.amdhsa_float_denorm_mode_16_64 3
		.amdhsa_dx10_clamp 1
		.amdhsa_ieee_mode 1
		.amdhsa_fp16_overflow 0
		.amdhsa_tg_split 0
		.amdhsa_exception_fp_ieee_invalid_op 0
		.amdhsa_exception_fp_denorm_src 0
		.amdhsa_exception_fp_ieee_div_zero 0
		.amdhsa_exception_fp_ieee_overflow 0
		.amdhsa_exception_fp_ieee_underflow 0
		.amdhsa_exception_fp_ieee_inexact 0
		.amdhsa_exception_int_div_zero 0
	.end_amdhsa_kernel
	.section	.text._ZN7rocprim17ROCPRIM_400000_NS6detail17trampoline_kernelINS0_14default_configENS1_29reduce_by_key_config_selectorIllN6thrust23THRUST_200600_302600_NS4plusIlEEEEZZNS1_33reduce_by_key_impl_wrapped_configILNS1_25lookback_scan_determinismE0ES3_S9_NS6_18transform_iteratorI6div_opNS6_17counting_iteratorIlNS6_11use_defaultESF_SF_EESF_SF_EENSC_I6mod_opSG_SF_SF_EENS6_6detail15normal_iteratorINS6_10device_ptrIlEEEESO_PmS8_NS6_8equal_toIlEEEE10hipError_tPvRmT2_T3_mT4_T5_T6_T7_T8_P12ihipStream_tbENKUlT_T0_E_clISt17integral_constantIbLb1EES19_EEDaS14_S15_EUlS14_E_NS1_11comp_targetILNS1_3genE3ELNS1_11target_archE908ELNS1_3gpuE7ELNS1_3repE0EEENS1_30default_config_static_selectorELNS0_4arch9wavefront6targetE1EEEvT1_,"axG",@progbits,_ZN7rocprim17ROCPRIM_400000_NS6detail17trampoline_kernelINS0_14default_configENS1_29reduce_by_key_config_selectorIllN6thrust23THRUST_200600_302600_NS4plusIlEEEEZZNS1_33reduce_by_key_impl_wrapped_configILNS1_25lookback_scan_determinismE0ES3_S9_NS6_18transform_iteratorI6div_opNS6_17counting_iteratorIlNS6_11use_defaultESF_SF_EESF_SF_EENSC_I6mod_opSG_SF_SF_EENS6_6detail15normal_iteratorINS6_10device_ptrIlEEEESO_PmS8_NS6_8equal_toIlEEEE10hipError_tPvRmT2_T3_mT4_T5_T6_T7_T8_P12ihipStream_tbENKUlT_T0_E_clISt17integral_constantIbLb1EES19_EEDaS14_S15_EUlS14_E_NS1_11comp_targetILNS1_3genE3ELNS1_11target_archE908ELNS1_3gpuE7ELNS1_3repE0EEENS1_30default_config_static_selectorELNS0_4arch9wavefront6targetE1EEEvT1_,comdat
.Lfunc_end1145:
	.size	_ZN7rocprim17ROCPRIM_400000_NS6detail17trampoline_kernelINS0_14default_configENS1_29reduce_by_key_config_selectorIllN6thrust23THRUST_200600_302600_NS4plusIlEEEEZZNS1_33reduce_by_key_impl_wrapped_configILNS1_25lookback_scan_determinismE0ES3_S9_NS6_18transform_iteratorI6div_opNS6_17counting_iteratorIlNS6_11use_defaultESF_SF_EESF_SF_EENSC_I6mod_opSG_SF_SF_EENS6_6detail15normal_iteratorINS6_10device_ptrIlEEEESO_PmS8_NS6_8equal_toIlEEEE10hipError_tPvRmT2_T3_mT4_T5_T6_T7_T8_P12ihipStream_tbENKUlT_T0_E_clISt17integral_constantIbLb1EES19_EEDaS14_S15_EUlS14_E_NS1_11comp_targetILNS1_3genE3ELNS1_11target_archE908ELNS1_3gpuE7ELNS1_3repE0EEENS1_30default_config_static_selectorELNS0_4arch9wavefront6targetE1EEEvT1_, .Lfunc_end1145-_ZN7rocprim17ROCPRIM_400000_NS6detail17trampoline_kernelINS0_14default_configENS1_29reduce_by_key_config_selectorIllN6thrust23THRUST_200600_302600_NS4plusIlEEEEZZNS1_33reduce_by_key_impl_wrapped_configILNS1_25lookback_scan_determinismE0ES3_S9_NS6_18transform_iteratorI6div_opNS6_17counting_iteratorIlNS6_11use_defaultESF_SF_EESF_SF_EENSC_I6mod_opSG_SF_SF_EENS6_6detail15normal_iteratorINS6_10device_ptrIlEEEESO_PmS8_NS6_8equal_toIlEEEE10hipError_tPvRmT2_T3_mT4_T5_T6_T7_T8_P12ihipStream_tbENKUlT_T0_E_clISt17integral_constantIbLb1EES19_EEDaS14_S15_EUlS14_E_NS1_11comp_targetILNS1_3genE3ELNS1_11target_archE908ELNS1_3gpuE7ELNS1_3repE0EEENS1_30default_config_static_selectorELNS0_4arch9wavefront6targetE1EEEvT1_
                                        ; -- End function
	.section	.AMDGPU.csdata,"",@progbits
; Kernel info:
; codeLenInByte = 0
; NumSgprs: 4
; NumVgprs: 0
; NumAgprs: 0
; TotalNumVgprs: 0
; ScratchSize: 0
; MemoryBound: 0
; FloatMode: 240
; IeeeMode: 1
; LDSByteSize: 0 bytes/workgroup (compile time only)
; SGPRBlocks: 0
; VGPRBlocks: 0
; NumSGPRsForWavesPerEU: 4
; NumVGPRsForWavesPerEU: 1
; AccumOffset: 4
; Occupancy: 8
; WaveLimiterHint : 0
; COMPUTE_PGM_RSRC2:SCRATCH_EN: 0
; COMPUTE_PGM_RSRC2:USER_SGPR: 6
; COMPUTE_PGM_RSRC2:TRAP_HANDLER: 0
; COMPUTE_PGM_RSRC2:TGID_X_EN: 1
; COMPUTE_PGM_RSRC2:TGID_Y_EN: 0
; COMPUTE_PGM_RSRC2:TGID_Z_EN: 0
; COMPUTE_PGM_RSRC2:TIDIG_COMP_CNT: 0
; COMPUTE_PGM_RSRC3_GFX90A:ACCUM_OFFSET: 0
; COMPUTE_PGM_RSRC3_GFX90A:TG_SPLIT: 0
	.section	.text._ZN7rocprim17ROCPRIM_400000_NS6detail17trampoline_kernelINS0_14default_configENS1_29reduce_by_key_config_selectorIllN6thrust23THRUST_200600_302600_NS4plusIlEEEEZZNS1_33reduce_by_key_impl_wrapped_configILNS1_25lookback_scan_determinismE0ES3_S9_NS6_18transform_iteratorI6div_opNS6_17counting_iteratorIlNS6_11use_defaultESF_SF_EESF_SF_EENSC_I6mod_opSG_SF_SF_EENS6_6detail15normal_iteratorINS6_10device_ptrIlEEEESO_PmS8_NS6_8equal_toIlEEEE10hipError_tPvRmT2_T3_mT4_T5_T6_T7_T8_P12ihipStream_tbENKUlT_T0_E_clISt17integral_constantIbLb1EES19_EEDaS14_S15_EUlS14_E_NS1_11comp_targetILNS1_3genE2ELNS1_11target_archE906ELNS1_3gpuE6ELNS1_3repE0EEENS1_30default_config_static_selectorELNS0_4arch9wavefront6targetE1EEEvT1_,"axG",@progbits,_ZN7rocprim17ROCPRIM_400000_NS6detail17trampoline_kernelINS0_14default_configENS1_29reduce_by_key_config_selectorIllN6thrust23THRUST_200600_302600_NS4plusIlEEEEZZNS1_33reduce_by_key_impl_wrapped_configILNS1_25lookback_scan_determinismE0ES3_S9_NS6_18transform_iteratorI6div_opNS6_17counting_iteratorIlNS6_11use_defaultESF_SF_EESF_SF_EENSC_I6mod_opSG_SF_SF_EENS6_6detail15normal_iteratorINS6_10device_ptrIlEEEESO_PmS8_NS6_8equal_toIlEEEE10hipError_tPvRmT2_T3_mT4_T5_T6_T7_T8_P12ihipStream_tbENKUlT_T0_E_clISt17integral_constantIbLb1EES19_EEDaS14_S15_EUlS14_E_NS1_11comp_targetILNS1_3genE2ELNS1_11target_archE906ELNS1_3gpuE6ELNS1_3repE0EEENS1_30default_config_static_selectorELNS0_4arch9wavefront6targetE1EEEvT1_,comdat
	.protected	_ZN7rocprim17ROCPRIM_400000_NS6detail17trampoline_kernelINS0_14default_configENS1_29reduce_by_key_config_selectorIllN6thrust23THRUST_200600_302600_NS4plusIlEEEEZZNS1_33reduce_by_key_impl_wrapped_configILNS1_25lookback_scan_determinismE0ES3_S9_NS6_18transform_iteratorI6div_opNS6_17counting_iteratorIlNS6_11use_defaultESF_SF_EESF_SF_EENSC_I6mod_opSG_SF_SF_EENS6_6detail15normal_iteratorINS6_10device_ptrIlEEEESO_PmS8_NS6_8equal_toIlEEEE10hipError_tPvRmT2_T3_mT4_T5_T6_T7_T8_P12ihipStream_tbENKUlT_T0_E_clISt17integral_constantIbLb1EES19_EEDaS14_S15_EUlS14_E_NS1_11comp_targetILNS1_3genE2ELNS1_11target_archE906ELNS1_3gpuE6ELNS1_3repE0EEENS1_30default_config_static_selectorELNS0_4arch9wavefront6targetE1EEEvT1_ ; -- Begin function _ZN7rocprim17ROCPRIM_400000_NS6detail17trampoline_kernelINS0_14default_configENS1_29reduce_by_key_config_selectorIllN6thrust23THRUST_200600_302600_NS4plusIlEEEEZZNS1_33reduce_by_key_impl_wrapped_configILNS1_25lookback_scan_determinismE0ES3_S9_NS6_18transform_iteratorI6div_opNS6_17counting_iteratorIlNS6_11use_defaultESF_SF_EESF_SF_EENSC_I6mod_opSG_SF_SF_EENS6_6detail15normal_iteratorINS6_10device_ptrIlEEEESO_PmS8_NS6_8equal_toIlEEEE10hipError_tPvRmT2_T3_mT4_T5_T6_T7_T8_P12ihipStream_tbENKUlT_T0_E_clISt17integral_constantIbLb1EES19_EEDaS14_S15_EUlS14_E_NS1_11comp_targetILNS1_3genE2ELNS1_11target_archE906ELNS1_3gpuE6ELNS1_3repE0EEENS1_30default_config_static_selectorELNS0_4arch9wavefront6targetE1EEEvT1_
	.globl	_ZN7rocprim17ROCPRIM_400000_NS6detail17trampoline_kernelINS0_14default_configENS1_29reduce_by_key_config_selectorIllN6thrust23THRUST_200600_302600_NS4plusIlEEEEZZNS1_33reduce_by_key_impl_wrapped_configILNS1_25lookback_scan_determinismE0ES3_S9_NS6_18transform_iteratorI6div_opNS6_17counting_iteratorIlNS6_11use_defaultESF_SF_EESF_SF_EENSC_I6mod_opSG_SF_SF_EENS6_6detail15normal_iteratorINS6_10device_ptrIlEEEESO_PmS8_NS6_8equal_toIlEEEE10hipError_tPvRmT2_T3_mT4_T5_T6_T7_T8_P12ihipStream_tbENKUlT_T0_E_clISt17integral_constantIbLb1EES19_EEDaS14_S15_EUlS14_E_NS1_11comp_targetILNS1_3genE2ELNS1_11target_archE906ELNS1_3gpuE6ELNS1_3repE0EEENS1_30default_config_static_selectorELNS0_4arch9wavefront6targetE1EEEvT1_
	.p2align	8
	.type	_ZN7rocprim17ROCPRIM_400000_NS6detail17trampoline_kernelINS0_14default_configENS1_29reduce_by_key_config_selectorIllN6thrust23THRUST_200600_302600_NS4plusIlEEEEZZNS1_33reduce_by_key_impl_wrapped_configILNS1_25lookback_scan_determinismE0ES3_S9_NS6_18transform_iteratorI6div_opNS6_17counting_iteratorIlNS6_11use_defaultESF_SF_EESF_SF_EENSC_I6mod_opSG_SF_SF_EENS6_6detail15normal_iteratorINS6_10device_ptrIlEEEESO_PmS8_NS6_8equal_toIlEEEE10hipError_tPvRmT2_T3_mT4_T5_T6_T7_T8_P12ihipStream_tbENKUlT_T0_E_clISt17integral_constantIbLb1EES19_EEDaS14_S15_EUlS14_E_NS1_11comp_targetILNS1_3genE2ELNS1_11target_archE906ELNS1_3gpuE6ELNS1_3repE0EEENS1_30default_config_static_selectorELNS0_4arch9wavefront6targetE1EEEvT1_,@function
_ZN7rocprim17ROCPRIM_400000_NS6detail17trampoline_kernelINS0_14default_configENS1_29reduce_by_key_config_selectorIllN6thrust23THRUST_200600_302600_NS4plusIlEEEEZZNS1_33reduce_by_key_impl_wrapped_configILNS1_25lookback_scan_determinismE0ES3_S9_NS6_18transform_iteratorI6div_opNS6_17counting_iteratorIlNS6_11use_defaultESF_SF_EESF_SF_EENSC_I6mod_opSG_SF_SF_EENS6_6detail15normal_iteratorINS6_10device_ptrIlEEEESO_PmS8_NS6_8equal_toIlEEEE10hipError_tPvRmT2_T3_mT4_T5_T6_T7_T8_P12ihipStream_tbENKUlT_T0_E_clISt17integral_constantIbLb1EES19_EEDaS14_S15_EUlS14_E_NS1_11comp_targetILNS1_3genE2ELNS1_11target_archE906ELNS1_3gpuE6ELNS1_3repE0EEENS1_30default_config_static_selectorELNS0_4arch9wavefront6targetE1EEEvT1_: ; @_ZN7rocprim17ROCPRIM_400000_NS6detail17trampoline_kernelINS0_14default_configENS1_29reduce_by_key_config_selectorIllN6thrust23THRUST_200600_302600_NS4plusIlEEEEZZNS1_33reduce_by_key_impl_wrapped_configILNS1_25lookback_scan_determinismE0ES3_S9_NS6_18transform_iteratorI6div_opNS6_17counting_iteratorIlNS6_11use_defaultESF_SF_EESF_SF_EENSC_I6mod_opSG_SF_SF_EENS6_6detail15normal_iteratorINS6_10device_ptrIlEEEESO_PmS8_NS6_8equal_toIlEEEE10hipError_tPvRmT2_T3_mT4_T5_T6_T7_T8_P12ihipStream_tbENKUlT_T0_E_clISt17integral_constantIbLb1EES19_EEDaS14_S15_EUlS14_E_NS1_11comp_targetILNS1_3genE2ELNS1_11target_archE906ELNS1_3gpuE6ELNS1_3repE0EEENS1_30default_config_static_selectorELNS0_4arch9wavefront6targetE1EEEvT1_
; %bb.0:
	.section	.rodata,"a",@progbits
	.p2align	6, 0x0
	.amdhsa_kernel _ZN7rocprim17ROCPRIM_400000_NS6detail17trampoline_kernelINS0_14default_configENS1_29reduce_by_key_config_selectorIllN6thrust23THRUST_200600_302600_NS4plusIlEEEEZZNS1_33reduce_by_key_impl_wrapped_configILNS1_25lookback_scan_determinismE0ES3_S9_NS6_18transform_iteratorI6div_opNS6_17counting_iteratorIlNS6_11use_defaultESF_SF_EESF_SF_EENSC_I6mod_opSG_SF_SF_EENS6_6detail15normal_iteratorINS6_10device_ptrIlEEEESO_PmS8_NS6_8equal_toIlEEEE10hipError_tPvRmT2_T3_mT4_T5_T6_T7_T8_P12ihipStream_tbENKUlT_T0_E_clISt17integral_constantIbLb1EES19_EEDaS14_S15_EUlS14_E_NS1_11comp_targetILNS1_3genE2ELNS1_11target_archE906ELNS1_3gpuE6ELNS1_3repE0EEENS1_30default_config_static_selectorELNS0_4arch9wavefront6targetE1EEEvT1_
		.amdhsa_group_segment_fixed_size 0
		.amdhsa_private_segment_fixed_size 0
		.amdhsa_kernarg_size 152
		.amdhsa_user_sgpr_count 6
		.amdhsa_user_sgpr_private_segment_buffer 1
		.amdhsa_user_sgpr_dispatch_ptr 0
		.amdhsa_user_sgpr_queue_ptr 0
		.amdhsa_user_sgpr_kernarg_segment_ptr 1
		.amdhsa_user_sgpr_dispatch_id 0
		.amdhsa_user_sgpr_flat_scratch_init 0
		.amdhsa_user_sgpr_kernarg_preload_length 0
		.amdhsa_user_sgpr_kernarg_preload_offset 0
		.amdhsa_user_sgpr_private_segment_size 0
		.amdhsa_uses_dynamic_stack 0
		.amdhsa_system_sgpr_private_segment_wavefront_offset 0
		.amdhsa_system_sgpr_workgroup_id_x 1
		.amdhsa_system_sgpr_workgroup_id_y 0
		.amdhsa_system_sgpr_workgroup_id_z 0
		.amdhsa_system_sgpr_workgroup_info 0
		.amdhsa_system_vgpr_workitem_id 0
		.amdhsa_next_free_vgpr 1
		.amdhsa_next_free_sgpr 0
		.amdhsa_accum_offset 4
		.amdhsa_reserve_vcc 0
		.amdhsa_reserve_flat_scratch 0
		.amdhsa_float_round_mode_32 0
		.amdhsa_float_round_mode_16_64 0
		.amdhsa_float_denorm_mode_32 3
		.amdhsa_float_denorm_mode_16_64 3
		.amdhsa_dx10_clamp 1
		.amdhsa_ieee_mode 1
		.amdhsa_fp16_overflow 0
		.amdhsa_tg_split 0
		.amdhsa_exception_fp_ieee_invalid_op 0
		.amdhsa_exception_fp_denorm_src 0
		.amdhsa_exception_fp_ieee_div_zero 0
		.amdhsa_exception_fp_ieee_overflow 0
		.amdhsa_exception_fp_ieee_underflow 0
		.amdhsa_exception_fp_ieee_inexact 0
		.amdhsa_exception_int_div_zero 0
	.end_amdhsa_kernel
	.section	.text._ZN7rocprim17ROCPRIM_400000_NS6detail17trampoline_kernelINS0_14default_configENS1_29reduce_by_key_config_selectorIllN6thrust23THRUST_200600_302600_NS4plusIlEEEEZZNS1_33reduce_by_key_impl_wrapped_configILNS1_25lookback_scan_determinismE0ES3_S9_NS6_18transform_iteratorI6div_opNS6_17counting_iteratorIlNS6_11use_defaultESF_SF_EESF_SF_EENSC_I6mod_opSG_SF_SF_EENS6_6detail15normal_iteratorINS6_10device_ptrIlEEEESO_PmS8_NS6_8equal_toIlEEEE10hipError_tPvRmT2_T3_mT4_T5_T6_T7_T8_P12ihipStream_tbENKUlT_T0_E_clISt17integral_constantIbLb1EES19_EEDaS14_S15_EUlS14_E_NS1_11comp_targetILNS1_3genE2ELNS1_11target_archE906ELNS1_3gpuE6ELNS1_3repE0EEENS1_30default_config_static_selectorELNS0_4arch9wavefront6targetE1EEEvT1_,"axG",@progbits,_ZN7rocprim17ROCPRIM_400000_NS6detail17trampoline_kernelINS0_14default_configENS1_29reduce_by_key_config_selectorIllN6thrust23THRUST_200600_302600_NS4plusIlEEEEZZNS1_33reduce_by_key_impl_wrapped_configILNS1_25lookback_scan_determinismE0ES3_S9_NS6_18transform_iteratorI6div_opNS6_17counting_iteratorIlNS6_11use_defaultESF_SF_EESF_SF_EENSC_I6mod_opSG_SF_SF_EENS6_6detail15normal_iteratorINS6_10device_ptrIlEEEESO_PmS8_NS6_8equal_toIlEEEE10hipError_tPvRmT2_T3_mT4_T5_T6_T7_T8_P12ihipStream_tbENKUlT_T0_E_clISt17integral_constantIbLb1EES19_EEDaS14_S15_EUlS14_E_NS1_11comp_targetILNS1_3genE2ELNS1_11target_archE906ELNS1_3gpuE6ELNS1_3repE0EEENS1_30default_config_static_selectorELNS0_4arch9wavefront6targetE1EEEvT1_,comdat
.Lfunc_end1146:
	.size	_ZN7rocprim17ROCPRIM_400000_NS6detail17trampoline_kernelINS0_14default_configENS1_29reduce_by_key_config_selectorIllN6thrust23THRUST_200600_302600_NS4plusIlEEEEZZNS1_33reduce_by_key_impl_wrapped_configILNS1_25lookback_scan_determinismE0ES3_S9_NS6_18transform_iteratorI6div_opNS6_17counting_iteratorIlNS6_11use_defaultESF_SF_EESF_SF_EENSC_I6mod_opSG_SF_SF_EENS6_6detail15normal_iteratorINS6_10device_ptrIlEEEESO_PmS8_NS6_8equal_toIlEEEE10hipError_tPvRmT2_T3_mT4_T5_T6_T7_T8_P12ihipStream_tbENKUlT_T0_E_clISt17integral_constantIbLb1EES19_EEDaS14_S15_EUlS14_E_NS1_11comp_targetILNS1_3genE2ELNS1_11target_archE906ELNS1_3gpuE6ELNS1_3repE0EEENS1_30default_config_static_selectorELNS0_4arch9wavefront6targetE1EEEvT1_, .Lfunc_end1146-_ZN7rocprim17ROCPRIM_400000_NS6detail17trampoline_kernelINS0_14default_configENS1_29reduce_by_key_config_selectorIllN6thrust23THRUST_200600_302600_NS4plusIlEEEEZZNS1_33reduce_by_key_impl_wrapped_configILNS1_25lookback_scan_determinismE0ES3_S9_NS6_18transform_iteratorI6div_opNS6_17counting_iteratorIlNS6_11use_defaultESF_SF_EESF_SF_EENSC_I6mod_opSG_SF_SF_EENS6_6detail15normal_iteratorINS6_10device_ptrIlEEEESO_PmS8_NS6_8equal_toIlEEEE10hipError_tPvRmT2_T3_mT4_T5_T6_T7_T8_P12ihipStream_tbENKUlT_T0_E_clISt17integral_constantIbLb1EES19_EEDaS14_S15_EUlS14_E_NS1_11comp_targetILNS1_3genE2ELNS1_11target_archE906ELNS1_3gpuE6ELNS1_3repE0EEENS1_30default_config_static_selectorELNS0_4arch9wavefront6targetE1EEEvT1_
                                        ; -- End function
	.section	.AMDGPU.csdata,"",@progbits
; Kernel info:
; codeLenInByte = 0
; NumSgprs: 4
; NumVgprs: 0
; NumAgprs: 0
; TotalNumVgprs: 0
; ScratchSize: 0
; MemoryBound: 0
; FloatMode: 240
; IeeeMode: 1
; LDSByteSize: 0 bytes/workgroup (compile time only)
; SGPRBlocks: 0
; VGPRBlocks: 0
; NumSGPRsForWavesPerEU: 4
; NumVGPRsForWavesPerEU: 1
; AccumOffset: 4
; Occupancy: 8
; WaveLimiterHint : 0
; COMPUTE_PGM_RSRC2:SCRATCH_EN: 0
; COMPUTE_PGM_RSRC2:USER_SGPR: 6
; COMPUTE_PGM_RSRC2:TRAP_HANDLER: 0
; COMPUTE_PGM_RSRC2:TGID_X_EN: 1
; COMPUTE_PGM_RSRC2:TGID_Y_EN: 0
; COMPUTE_PGM_RSRC2:TGID_Z_EN: 0
; COMPUTE_PGM_RSRC2:TIDIG_COMP_CNT: 0
; COMPUTE_PGM_RSRC3_GFX90A:ACCUM_OFFSET: 0
; COMPUTE_PGM_RSRC3_GFX90A:TG_SPLIT: 0
	.section	.text._ZN7rocprim17ROCPRIM_400000_NS6detail17trampoline_kernelINS0_14default_configENS1_29reduce_by_key_config_selectorIllN6thrust23THRUST_200600_302600_NS4plusIlEEEEZZNS1_33reduce_by_key_impl_wrapped_configILNS1_25lookback_scan_determinismE0ES3_S9_NS6_18transform_iteratorI6div_opNS6_17counting_iteratorIlNS6_11use_defaultESF_SF_EESF_SF_EENSC_I6mod_opSG_SF_SF_EENS6_6detail15normal_iteratorINS6_10device_ptrIlEEEESO_PmS8_NS6_8equal_toIlEEEE10hipError_tPvRmT2_T3_mT4_T5_T6_T7_T8_P12ihipStream_tbENKUlT_T0_E_clISt17integral_constantIbLb1EES19_EEDaS14_S15_EUlS14_E_NS1_11comp_targetILNS1_3genE10ELNS1_11target_archE1201ELNS1_3gpuE5ELNS1_3repE0EEENS1_30default_config_static_selectorELNS0_4arch9wavefront6targetE1EEEvT1_,"axG",@progbits,_ZN7rocprim17ROCPRIM_400000_NS6detail17trampoline_kernelINS0_14default_configENS1_29reduce_by_key_config_selectorIllN6thrust23THRUST_200600_302600_NS4plusIlEEEEZZNS1_33reduce_by_key_impl_wrapped_configILNS1_25lookback_scan_determinismE0ES3_S9_NS6_18transform_iteratorI6div_opNS6_17counting_iteratorIlNS6_11use_defaultESF_SF_EESF_SF_EENSC_I6mod_opSG_SF_SF_EENS6_6detail15normal_iteratorINS6_10device_ptrIlEEEESO_PmS8_NS6_8equal_toIlEEEE10hipError_tPvRmT2_T3_mT4_T5_T6_T7_T8_P12ihipStream_tbENKUlT_T0_E_clISt17integral_constantIbLb1EES19_EEDaS14_S15_EUlS14_E_NS1_11comp_targetILNS1_3genE10ELNS1_11target_archE1201ELNS1_3gpuE5ELNS1_3repE0EEENS1_30default_config_static_selectorELNS0_4arch9wavefront6targetE1EEEvT1_,comdat
	.protected	_ZN7rocprim17ROCPRIM_400000_NS6detail17trampoline_kernelINS0_14default_configENS1_29reduce_by_key_config_selectorIllN6thrust23THRUST_200600_302600_NS4plusIlEEEEZZNS1_33reduce_by_key_impl_wrapped_configILNS1_25lookback_scan_determinismE0ES3_S9_NS6_18transform_iteratorI6div_opNS6_17counting_iteratorIlNS6_11use_defaultESF_SF_EESF_SF_EENSC_I6mod_opSG_SF_SF_EENS6_6detail15normal_iteratorINS6_10device_ptrIlEEEESO_PmS8_NS6_8equal_toIlEEEE10hipError_tPvRmT2_T3_mT4_T5_T6_T7_T8_P12ihipStream_tbENKUlT_T0_E_clISt17integral_constantIbLb1EES19_EEDaS14_S15_EUlS14_E_NS1_11comp_targetILNS1_3genE10ELNS1_11target_archE1201ELNS1_3gpuE5ELNS1_3repE0EEENS1_30default_config_static_selectorELNS0_4arch9wavefront6targetE1EEEvT1_ ; -- Begin function _ZN7rocprim17ROCPRIM_400000_NS6detail17trampoline_kernelINS0_14default_configENS1_29reduce_by_key_config_selectorIllN6thrust23THRUST_200600_302600_NS4plusIlEEEEZZNS1_33reduce_by_key_impl_wrapped_configILNS1_25lookback_scan_determinismE0ES3_S9_NS6_18transform_iteratorI6div_opNS6_17counting_iteratorIlNS6_11use_defaultESF_SF_EESF_SF_EENSC_I6mod_opSG_SF_SF_EENS6_6detail15normal_iteratorINS6_10device_ptrIlEEEESO_PmS8_NS6_8equal_toIlEEEE10hipError_tPvRmT2_T3_mT4_T5_T6_T7_T8_P12ihipStream_tbENKUlT_T0_E_clISt17integral_constantIbLb1EES19_EEDaS14_S15_EUlS14_E_NS1_11comp_targetILNS1_3genE10ELNS1_11target_archE1201ELNS1_3gpuE5ELNS1_3repE0EEENS1_30default_config_static_selectorELNS0_4arch9wavefront6targetE1EEEvT1_
	.globl	_ZN7rocprim17ROCPRIM_400000_NS6detail17trampoline_kernelINS0_14default_configENS1_29reduce_by_key_config_selectorIllN6thrust23THRUST_200600_302600_NS4plusIlEEEEZZNS1_33reduce_by_key_impl_wrapped_configILNS1_25lookback_scan_determinismE0ES3_S9_NS6_18transform_iteratorI6div_opNS6_17counting_iteratorIlNS6_11use_defaultESF_SF_EESF_SF_EENSC_I6mod_opSG_SF_SF_EENS6_6detail15normal_iteratorINS6_10device_ptrIlEEEESO_PmS8_NS6_8equal_toIlEEEE10hipError_tPvRmT2_T3_mT4_T5_T6_T7_T8_P12ihipStream_tbENKUlT_T0_E_clISt17integral_constantIbLb1EES19_EEDaS14_S15_EUlS14_E_NS1_11comp_targetILNS1_3genE10ELNS1_11target_archE1201ELNS1_3gpuE5ELNS1_3repE0EEENS1_30default_config_static_selectorELNS0_4arch9wavefront6targetE1EEEvT1_
	.p2align	8
	.type	_ZN7rocprim17ROCPRIM_400000_NS6detail17trampoline_kernelINS0_14default_configENS1_29reduce_by_key_config_selectorIllN6thrust23THRUST_200600_302600_NS4plusIlEEEEZZNS1_33reduce_by_key_impl_wrapped_configILNS1_25lookback_scan_determinismE0ES3_S9_NS6_18transform_iteratorI6div_opNS6_17counting_iteratorIlNS6_11use_defaultESF_SF_EESF_SF_EENSC_I6mod_opSG_SF_SF_EENS6_6detail15normal_iteratorINS6_10device_ptrIlEEEESO_PmS8_NS6_8equal_toIlEEEE10hipError_tPvRmT2_T3_mT4_T5_T6_T7_T8_P12ihipStream_tbENKUlT_T0_E_clISt17integral_constantIbLb1EES19_EEDaS14_S15_EUlS14_E_NS1_11comp_targetILNS1_3genE10ELNS1_11target_archE1201ELNS1_3gpuE5ELNS1_3repE0EEENS1_30default_config_static_selectorELNS0_4arch9wavefront6targetE1EEEvT1_,@function
_ZN7rocprim17ROCPRIM_400000_NS6detail17trampoline_kernelINS0_14default_configENS1_29reduce_by_key_config_selectorIllN6thrust23THRUST_200600_302600_NS4plusIlEEEEZZNS1_33reduce_by_key_impl_wrapped_configILNS1_25lookback_scan_determinismE0ES3_S9_NS6_18transform_iteratorI6div_opNS6_17counting_iteratorIlNS6_11use_defaultESF_SF_EESF_SF_EENSC_I6mod_opSG_SF_SF_EENS6_6detail15normal_iteratorINS6_10device_ptrIlEEEESO_PmS8_NS6_8equal_toIlEEEE10hipError_tPvRmT2_T3_mT4_T5_T6_T7_T8_P12ihipStream_tbENKUlT_T0_E_clISt17integral_constantIbLb1EES19_EEDaS14_S15_EUlS14_E_NS1_11comp_targetILNS1_3genE10ELNS1_11target_archE1201ELNS1_3gpuE5ELNS1_3repE0EEENS1_30default_config_static_selectorELNS0_4arch9wavefront6targetE1EEEvT1_: ; @_ZN7rocprim17ROCPRIM_400000_NS6detail17trampoline_kernelINS0_14default_configENS1_29reduce_by_key_config_selectorIllN6thrust23THRUST_200600_302600_NS4plusIlEEEEZZNS1_33reduce_by_key_impl_wrapped_configILNS1_25lookback_scan_determinismE0ES3_S9_NS6_18transform_iteratorI6div_opNS6_17counting_iteratorIlNS6_11use_defaultESF_SF_EESF_SF_EENSC_I6mod_opSG_SF_SF_EENS6_6detail15normal_iteratorINS6_10device_ptrIlEEEESO_PmS8_NS6_8equal_toIlEEEE10hipError_tPvRmT2_T3_mT4_T5_T6_T7_T8_P12ihipStream_tbENKUlT_T0_E_clISt17integral_constantIbLb1EES19_EEDaS14_S15_EUlS14_E_NS1_11comp_targetILNS1_3genE10ELNS1_11target_archE1201ELNS1_3gpuE5ELNS1_3repE0EEENS1_30default_config_static_selectorELNS0_4arch9wavefront6targetE1EEEvT1_
; %bb.0:
	.section	.rodata,"a",@progbits
	.p2align	6, 0x0
	.amdhsa_kernel _ZN7rocprim17ROCPRIM_400000_NS6detail17trampoline_kernelINS0_14default_configENS1_29reduce_by_key_config_selectorIllN6thrust23THRUST_200600_302600_NS4plusIlEEEEZZNS1_33reduce_by_key_impl_wrapped_configILNS1_25lookback_scan_determinismE0ES3_S9_NS6_18transform_iteratorI6div_opNS6_17counting_iteratorIlNS6_11use_defaultESF_SF_EESF_SF_EENSC_I6mod_opSG_SF_SF_EENS6_6detail15normal_iteratorINS6_10device_ptrIlEEEESO_PmS8_NS6_8equal_toIlEEEE10hipError_tPvRmT2_T3_mT4_T5_T6_T7_T8_P12ihipStream_tbENKUlT_T0_E_clISt17integral_constantIbLb1EES19_EEDaS14_S15_EUlS14_E_NS1_11comp_targetILNS1_3genE10ELNS1_11target_archE1201ELNS1_3gpuE5ELNS1_3repE0EEENS1_30default_config_static_selectorELNS0_4arch9wavefront6targetE1EEEvT1_
		.amdhsa_group_segment_fixed_size 0
		.amdhsa_private_segment_fixed_size 0
		.amdhsa_kernarg_size 152
		.amdhsa_user_sgpr_count 6
		.amdhsa_user_sgpr_private_segment_buffer 1
		.amdhsa_user_sgpr_dispatch_ptr 0
		.amdhsa_user_sgpr_queue_ptr 0
		.amdhsa_user_sgpr_kernarg_segment_ptr 1
		.amdhsa_user_sgpr_dispatch_id 0
		.amdhsa_user_sgpr_flat_scratch_init 0
		.amdhsa_user_sgpr_kernarg_preload_length 0
		.amdhsa_user_sgpr_kernarg_preload_offset 0
		.amdhsa_user_sgpr_private_segment_size 0
		.amdhsa_uses_dynamic_stack 0
		.amdhsa_system_sgpr_private_segment_wavefront_offset 0
		.amdhsa_system_sgpr_workgroup_id_x 1
		.amdhsa_system_sgpr_workgroup_id_y 0
		.amdhsa_system_sgpr_workgroup_id_z 0
		.amdhsa_system_sgpr_workgroup_info 0
		.amdhsa_system_vgpr_workitem_id 0
		.amdhsa_next_free_vgpr 1
		.amdhsa_next_free_sgpr 0
		.amdhsa_accum_offset 4
		.amdhsa_reserve_vcc 0
		.amdhsa_reserve_flat_scratch 0
		.amdhsa_float_round_mode_32 0
		.amdhsa_float_round_mode_16_64 0
		.amdhsa_float_denorm_mode_32 3
		.amdhsa_float_denorm_mode_16_64 3
		.amdhsa_dx10_clamp 1
		.amdhsa_ieee_mode 1
		.amdhsa_fp16_overflow 0
		.amdhsa_tg_split 0
		.amdhsa_exception_fp_ieee_invalid_op 0
		.amdhsa_exception_fp_denorm_src 0
		.amdhsa_exception_fp_ieee_div_zero 0
		.amdhsa_exception_fp_ieee_overflow 0
		.amdhsa_exception_fp_ieee_underflow 0
		.amdhsa_exception_fp_ieee_inexact 0
		.amdhsa_exception_int_div_zero 0
	.end_amdhsa_kernel
	.section	.text._ZN7rocprim17ROCPRIM_400000_NS6detail17trampoline_kernelINS0_14default_configENS1_29reduce_by_key_config_selectorIllN6thrust23THRUST_200600_302600_NS4plusIlEEEEZZNS1_33reduce_by_key_impl_wrapped_configILNS1_25lookback_scan_determinismE0ES3_S9_NS6_18transform_iteratorI6div_opNS6_17counting_iteratorIlNS6_11use_defaultESF_SF_EESF_SF_EENSC_I6mod_opSG_SF_SF_EENS6_6detail15normal_iteratorINS6_10device_ptrIlEEEESO_PmS8_NS6_8equal_toIlEEEE10hipError_tPvRmT2_T3_mT4_T5_T6_T7_T8_P12ihipStream_tbENKUlT_T0_E_clISt17integral_constantIbLb1EES19_EEDaS14_S15_EUlS14_E_NS1_11comp_targetILNS1_3genE10ELNS1_11target_archE1201ELNS1_3gpuE5ELNS1_3repE0EEENS1_30default_config_static_selectorELNS0_4arch9wavefront6targetE1EEEvT1_,"axG",@progbits,_ZN7rocprim17ROCPRIM_400000_NS6detail17trampoline_kernelINS0_14default_configENS1_29reduce_by_key_config_selectorIllN6thrust23THRUST_200600_302600_NS4plusIlEEEEZZNS1_33reduce_by_key_impl_wrapped_configILNS1_25lookback_scan_determinismE0ES3_S9_NS6_18transform_iteratorI6div_opNS6_17counting_iteratorIlNS6_11use_defaultESF_SF_EESF_SF_EENSC_I6mod_opSG_SF_SF_EENS6_6detail15normal_iteratorINS6_10device_ptrIlEEEESO_PmS8_NS6_8equal_toIlEEEE10hipError_tPvRmT2_T3_mT4_T5_T6_T7_T8_P12ihipStream_tbENKUlT_T0_E_clISt17integral_constantIbLb1EES19_EEDaS14_S15_EUlS14_E_NS1_11comp_targetILNS1_3genE10ELNS1_11target_archE1201ELNS1_3gpuE5ELNS1_3repE0EEENS1_30default_config_static_selectorELNS0_4arch9wavefront6targetE1EEEvT1_,comdat
.Lfunc_end1147:
	.size	_ZN7rocprim17ROCPRIM_400000_NS6detail17trampoline_kernelINS0_14default_configENS1_29reduce_by_key_config_selectorIllN6thrust23THRUST_200600_302600_NS4plusIlEEEEZZNS1_33reduce_by_key_impl_wrapped_configILNS1_25lookback_scan_determinismE0ES3_S9_NS6_18transform_iteratorI6div_opNS6_17counting_iteratorIlNS6_11use_defaultESF_SF_EESF_SF_EENSC_I6mod_opSG_SF_SF_EENS6_6detail15normal_iteratorINS6_10device_ptrIlEEEESO_PmS8_NS6_8equal_toIlEEEE10hipError_tPvRmT2_T3_mT4_T5_T6_T7_T8_P12ihipStream_tbENKUlT_T0_E_clISt17integral_constantIbLb1EES19_EEDaS14_S15_EUlS14_E_NS1_11comp_targetILNS1_3genE10ELNS1_11target_archE1201ELNS1_3gpuE5ELNS1_3repE0EEENS1_30default_config_static_selectorELNS0_4arch9wavefront6targetE1EEEvT1_, .Lfunc_end1147-_ZN7rocprim17ROCPRIM_400000_NS6detail17trampoline_kernelINS0_14default_configENS1_29reduce_by_key_config_selectorIllN6thrust23THRUST_200600_302600_NS4plusIlEEEEZZNS1_33reduce_by_key_impl_wrapped_configILNS1_25lookback_scan_determinismE0ES3_S9_NS6_18transform_iteratorI6div_opNS6_17counting_iteratorIlNS6_11use_defaultESF_SF_EESF_SF_EENSC_I6mod_opSG_SF_SF_EENS6_6detail15normal_iteratorINS6_10device_ptrIlEEEESO_PmS8_NS6_8equal_toIlEEEE10hipError_tPvRmT2_T3_mT4_T5_T6_T7_T8_P12ihipStream_tbENKUlT_T0_E_clISt17integral_constantIbLb1EES19_EEDaS14_S15_EUlS14_E_NS1_11comp_targetILNS1_3genE10ELNS1_11target_archE1201ELNS1_3gpuE5ELNS1_3repE0EEENS1_30default_config_static_selectorELNS0_4arch9wavefront6targetE1EEEvT1_
                                        ; -- End function
	.section	.AMDGPU.csdata,"",@progbits
; Kernel info:
; codeLenInByte = 0
; NumSgprs: 4
; NumVgprs: 0
; NumAgprs: 0
; TotalNumVgprs: 0
; ScratchSize: 0
; MemoryBound: 0
; FloatMode: 240
; IeeeMode: 1
; LDSByteSize: 0 bytes/workgroup (compile time only)
; SGPRBlocks: 0
; VGPRBlocks: 0
; NumSGPRsForWavesPerEU: 4
; NumVGPRsForWavesPerEU: 1
; AccumOffset: 4
; Occupancy: 8
; WaveLimiterHint : 0
; COMPUTE_PGM_RSRC2:SCRATCH_EN: 0
; COMPUTE_PGM_RSRC2:USER_SGPR: 6
; COMPUTE_PGM_RSRC2:TRAP_HANDLER: 0
; COMPUTE_PGM_RSRC2:TGID_X_EN: 1
; COMPUTE_PGM_RSRC2:TGID_Y_EN: 0
; COMPUTE_PGM_RSRC2:TGID_Z_EN: 0
; COMPUTE_PGM_RSRC2:TIDIG_COMP_CNT: 0
; COMPUTE_PGM_RSRC3_GFX90A:ACCUM_OFFSET: 0
; COMPUTE_PGM_RSRC3_GFX90A:TG_SPLIT: 0
	.section	.text._ZN7rocprim17ROCPRIM_400000_NS6detail17trampoline_kernelINS0_14default_configENS1_29reduce_by_key_config_selectorIllN6thrust23THRUST_200600_302600_NS4plusIlEEEEZZNS1_33reduce_by_key_impl_wrapped_configILNS1_25lookback_scan_determinismE0ES3_S9_NS6_18transform_iteratorI6div_opNS6_17counting_iteratorIlNS6_11use_defaultESF_SF_EESF_SF_EENSC_I6mod_opSG_SF_SF_EENS6_6detail15normal_iteratorINS6_10device_ptrIlEEEESO_PmS8_NS6_8equal_toIlEEEE10hipError_tPvRmT2_T3_mT4_T5_T6_T7_T8_P12ihipStream_tbENKUlT_T0_E_clISt17integral_constantIbLb1EES19_EEDaS14_S15_EUlS14_E_NS1_11comp_targetILNS1_3genE10ELNS1_11target_archE1200ELNS1_3gpuE4ELNS1_3repE0EEENS1_30default_config_static_selectorELNS0_4arch9wavefront6targetE1EEEvT1_,"axG",@progbits,_ZN7rocprim17ROCPRIM_400000_NS6detail17trampoline_kernelINS0_14default_configENS1_29reduce_by_key_config_selectorIllN6thrust23THRUST_200600_302600_NS4plusIlEEEEZZNS1_33reduce_by_key_impl_wrapped_configILNS1_25lookback_scan_determinismE0ES3_S9_NS6_18transform_iteratorI6div_opNS6_17counting_iteratorIlNS6_11use_defaultESF_SF_EESF_SF_EENSC_I6mod_opSG_SF_SF_EENS6_6detail15normal_iteratorINS6_10device_ptrIlEEEESO_PmS8_NS6_8equal_toIlEEEE10hipError_tPvRmT2_T3_mT4_T5_T6_T7_T8_P12ihipStream_tbENKUlT_T0_E_clISt17integral_constantIbLb1EES19_EEDaS14_S15_EUlS14_E_NS1_11comp_targetILNS1_3genE10ELNS1_11target_archE1200ELNS1_3gpuE4ELNS1_3repE0EEENS1_30default_config_static_selectorELNS0_4arch9wavefront6targetE1EEEvT1_,comdat
	.protected	_ZN7rocprim17ROCPRIM_400000_NS6detail17trampoline_kernelINS0_14default_configENS1_29reduce_by_key_config_selectorIllN6thrust23THRUST_200600_302600_NS4plusIlEEEEZZNS1_33reduce_by_key_impl_wrapped_configILNS1_25lookback_scan_determinismE0ES3_S9_NS6_18transform_iteratorI6div_opNS6_17counting_iteratorIlNS6_11use_defaultESF_SF_EESF_SF_EENSC_I6mod_opSG_SF_SF_EENS6_6detail15normal_iteratorINS6_10device_ptrIlEEEESO_PmS8_NS6_8equal_toIlEEEE10hipError_tPvRmT2_T3_mT4_T5_T6_T7_T8_P12ihipStream_tbENKUlT_T0_E_clISt17integral_constantIbLb1EES19_EEDaS14_S15_EUlS14_E_NS1_11comp_targetILNS1_3genE10ELNS1_11target_archE1200ELNS1_3gpuE4ELNS1_3repE0EEENS1_30default_config_static_selectorELNS0_4arch9wavefront6targetE1EEEvT1_ ; -- Begin function _ZN7rocprim17ROCPRIM_400000_NS6detail17trampoline_kernelINS0_14default_configENS1_29reduce_by_key_config_selectorIllN6thrust23THRUST_200600_302600_NS4plusIlEEEEZZNS1_33reduce_by_key_impl_wrapped_configILNS1_25lookback_scan_determinismE0ES3_S9_NS6_18transform_iteratorI6div_opNS6_17counting_iteratorIlNS6_11use_defaultESF_SF_EESF_SF_EENSC_I6mod_opSG_SF_SF_EENS6_6detail15normal_iteratorINS6_10device_ptrIlEEEESO_PmS8_NS6_8equal_toIlEEEE10hipError_tPvRmT2_T3_mT4_T5_T6_T7_T8_P12ihipStream_tbENKUlT_T0_E_clISt17integral_constantIbLb1EES19_EEDaS14_S15_EUlS14_E_NS1_11comp_targetILNS1_3genE10ELNS1_11target_archE1200ELNS1_3gpuE4ELNS1_3repE0EEENS1_30default_config_static_selectorELNS0_4arch9wavefront6targetE1EEEvT1_
	.globl	_ZN7rocprim17ROCPRIM_400000_NS6detail17trampoline_kernelINS0_14default_configENS1_29reduce_by_key_config_selectorIllN6thrust23THRUST_200600_302600_NS4plusIlEEEEZZNS1_33reduce_by_key_impl_wrapped_configILNS1_25lookback_scan_determinismE0ES3_S9_NS6_18transform_iteratorI6div_opNS6_17counting_iteratorIlNS6_11use_defaultESF_SF_EESF_SF_EENSC_I6mod_opSG_SF_SF_EENS6_6detail15normal_iteratorINS6_10device_ptrIlEEEESO_PmS8_NS6_8equal_toIlEEEE10hipError_tPvRmT2_T3_mT4_T5_T6_T7_T8_P12ihipStream_tbENKUlT_T0_E_clISt17integral_constantIbLb1EES19_EEDaS14_S15_EUlS14_E_NS1_11comp_targetILNS1_3genE10ELNS1_11target_archE1200ELNS1_3gpuE4ELNS1_3repE0EEENS1_30default_config_static_selectorELNS0_4arch9wavefront6targetE1EEEvT1_
	.p2align	8
	.type	_ZN7rocprim17ROCPRIM_400000_NS6detail17trampoline_kernelINS0_14default_configENS1_29reduce_by_key_config_selectorIllN6thrust23THRUST_200600_302600_NS4plusIlEEEEZZNS1_33reduce_by_key_impl_wrapped_configILNS1_25lookback_scan_determinismE0ES3_S9_NS6_18transform_iteratorI6div_opNS6_17counting_iteratorIlNS6_11use_defaultESF_SF_EESF_SF_EENSC_I6mod_opSG_SF_SF_EENS6_6detail15normal_iteratorINS6_10device_ptrIlEEEESO_PmS8_NS6_8equal_toIlEEEE10hipError_tPvRmT2_T3_mT4_T5_T6_T7_T8_P12ihipStream_tbENKUlT_T0_E_clISt17integral_constantIbLb1EES19_EEDaS14_S15_EUlS14_E_NS1_11comp_targetILNS1_3genE10ELNS1_11target_archE1200ELNS1_3gpuE4ELNS1_3repE0EEENS1_30default_config_static_selectorELNS0_4arch9wavefront6targetE1EEEvT1_,@function
_ZN7rocprim17ROCPRIM_400000_NS6detail17trampoline_kernelINS0_14default_configENS1_29reduce_by_key_config_selectorIllN6thrust23THRUST_200600_302600_NS4plusIlEEEEZZNS1_33reduce_by_key_impl_wrapped_configILNS1_25lookback_scan_determinismE0ES3_S9_NS6_18transform_iteratorI6div_opNS6_17counting_iteratorIlNS6_11use_defaultESF_SF_EESF_SF_EENSC_I6mod_opSG_SF_SF_EENS6_6detail15normal_iteratorINS6_10device_ptrIlEEEESO_PmS8_NS6_8equal_toIlEEEE10hipError_tPvRmT2_T3_mT4_T5_T6_T7_T8_P12ihipStream_tbENKUlT_T0_E_clISt17integral_constantIbLb1EES19_EEDaS14_S15_EUlS14_E_NS1_11comp_targetILNS1_3genE10ELNS1_11target_archE1200ELNS1_3gpuE4ELNS1_3repE0EEENS1_30default_config_static_selectorELNS0_4arch9wavefront6targetE1EEEvT1_: ; @_ZN7rocprim17ROCPRIM_400000_NS6detail17trampoline_kernelINS0_14default_configENS1_29reduce_by_key_config_selectorIllN6thrust23THRUST_200600_302600_NS4plusIlEEEEZZNS1_33reduce_by_key_impl_wrapped_configILNS1_25lookback_scan_determinismE0ES3_S9_NS6_18transform_iteratorI6div_opNS6_17counting_iteratorIlNS6_11use_defaultESF_SF_EESF_SF_EENSC_I6mod_opSG_SF_SF_EENS6_6detail15normal_iteratorINS6_10device_ptrIlEEEESO_PmS8_NS6_8equal_toIlEEEE10hipError_tPvRmT2_T3_mT4_T5_T6_T7_T8_P12ihipStream_tbENKUlT_T0_E_clISt17integral_constantIbLb1EES19_EEDaS14_S15_EUlS14_E_NS1_11comp_targetILNS1_3genE10ELNS1_11target_archE1200ELNS1_3gpuE4ELNS1_3repE0EEENS1_30default_config_static_selectorELNS0_4arch9wavefront6targetE1EEEvT1_
; %bb.0:
	.section	.rodata,"a",@progbits
	.p2align	6, 0x0
	.amdhsa_kernel _ZN7rocprim17ROCPRIM_400000_NS6detail17trampoline_kernelINS0_14default_configENS1_29reduce_by_key_config_selectorIllN6thrust23THRUST_200600_302600_NS4plusIlEEEEZZNS1_33reduce_by_key_impl_wrapped_configILNS1_25lookback_scan_determinismE0ES3_S9_NS6_18transform_iteratorI6div_opNS6_17counting_iteratorIlNS6_11use_defaultESF_SF_EESF_SF_EENSC_I6mod_opSG_SF_SF_EENS6_6detail15normal_iteratorINS6_10device_ptrIlEEEESO_PmS8_NS6_8equal_toIlEEEE10hipError_tPvRmT2_T3_mT4_T5_T6_T7_T8_P12ihipStream_tbENKUlT_T0_E_clISt17integral_constantIbLb1EES19_EEDaS14_S15_EUlS14_E_NS1_11comp_targetILNS1_3genE10ELNS1_11target_archE1200ELNS1_3gpuE4ELNS1_3repE0EEENS1_30default_config_static_selectorELNS0_4arch9wavefront6targetE1EEEvT1_
		.amdhsa_group_segment_fixed_size 0
		.amdhsa_private_segment_fixed_size 0
		.amdhsa_kernarg_size 152
		.amdhsa_user_sgpr_count 6
		.amdhsa_user_sgpr_private_segment_buffer 1
		.amdhsa_user_sgpr_dispatch_ptr 0
		.amdhsa_user_sgpr_queue_ptr 0
		.amdhsa_user_sgpr_kernarg_segment_ptr 1
		.amdhsa_user_sgpr_dispatch_id 0
		.amdhsa_user_sgpr_flat_scratch_init 0
		.amdhsa_user_sgpr_kernarg_preload_length 0
		.amdhsa_user_sgpr_kernarg_preload_offset 0
		.amdhsa_user_sgpr_private_segment_size 0
		.amdhsa_uses_dynamic_stack 0
		.amdhsa_system_sgpr_private_segment_wavefront_offset 0
		.amdhsa_system_sgpr_workgroup_id_x 1
		.amdhsa_system_sgpr_workgroup_id_y 0
		.amdhsa_system_sgpr_workgroup_id_z 0
		.amdhsa_system_sgpr_workgroup_info 0
		.amdhsa_system_vgpr_workitem_id 0
		.amdhsa_next_free_vgpr 1
		.amdhsa_next_free_sgpr 0
		.amdhsa_accum_offset 4
		.amdhsa_reserve_vcc 0
		.amdhsa_reserve_flat_scratch 0
		.amdhsa_float_round_mode_32 0
		.amdhsa_float_round_mode_16_64 0
		.amdhsa_float_denorm_mode_32 3
		.amdhsa_float_denorm_mode_16_64 3
		.amdhsa_dx10_clamp 1
		.amdhsa_ieee_mode 1
		.amdhsa_fp16_overflow 0
		.amdhsa_tg_split 0
		.amdhsa_exception_fp_ieee_invalid_op 0
		.amdhsa_exception_fp_denorm_src 0
		.amdhsa_exception_fp_ieee_div_zero 0
		.amdhsa_exception_fp_ieee_overflow 0
		.amdhsa_exception_fp_ieee_underflow 0
		.amdhsa_exception_fp_ieee_inexact 0
		.amdhsa_exception_int_div_zero 0
	.end_amdhsa_kernel
	.section	.text._ZN7rocprim17ROCPRIM_400000_NS6detail17trampoline_kernelINS0_14default_configENS1_29reduce_by_key_config_selectorIllN6thrust23THRUST_200600_302600_NS4plusIlEEEEZZNS1_33reduce_by_key_impl_wrapped_configILNS1_25lookback_scan_determinismE0ES3_S9_NS6_18transform_iteratorI6div_opNS6_17counting_iteratorIlNS6_11use_defaultESF_SF_EESF_SF_EENSC_I6mod_opSG_SF_SF_EENS6_6detail15normal_iteratorINS6_10device_ptrIlEEEESO_PmS8_NS6_8equal_toIlEEEE10hipError_tPvRmT2_T3_mT4_T5_T6_T7_T8_P12ihipStream_tbENKUlT_T0_E_clISt17integral_constantIbLb1EES19_EEDaS14_S15_EUlS14_E_NS1_11comp_targetILNS1_3genE10ELNS1_11target_archE1200ELNS1_3gpuE4ELNS1_3repE0EEENS1_30default_config_static_selectorELNS0_4arch9wavefront6targetE1EEEvT1_,"axG",@progbits,_ZN7rocprim17ROCPRIM_400000_NS6detail17trampoline_kernelINS0_14default_configENS1_29reduce_by_key_config_selectorIllN6thrust23THRUST_200600_302600_NS4plusIlEEEEZZNS1_33reduce_by_key_impl_wrapped_configILNS1_25lookback_scan_determinismE0ES3_S9_NS6_18transform_iteratorI6div_opNS6_17counting_iteratorIlNS6_11use_defaultESF_SF_EESF_SF_EENSC_I6mod_opSG_SF_SF_EENS6_6detail15normal_iteratorINS6_10device_ptrIlEEEESO_PmS8_NS6_8equal_toIlEEEE10hipError_tPvRmT2_T3_mT4_T5_T6_T7_T8_P12ihipStream_tbENKUlT_T0_E_clISt17integral_constantIbLb1EES19_EEDaS14_S15_EUlS14_E_NS1_11comp_targetILNS1_3genE10ELNS1_11target_archE1200ELNS1_3gpuE4ELNS1_3repE0EEENS1_30default_config_static_selectorELNS0_4arch9wavefront6targetE1EEEvT1_,comdat
.Lfunc_end1148:
	.size	_ZN7rocprim17ROCPRIM_400000_NS6detail17trampoline_kernelINS0_14default_configENS1_29reduce_by_key_config_selectorIllN6thrust23THRUST_200600_302600_NS4plusIlEEEEZZNS1_33reduce_by_key_impl_wrapped_configILNS1_25lookback_scan_determinismE0ES3_S9_NS6_18transform_iteratorI6div_opNS6_17counting_iteratorIlNS6_11use_defaultESF_SF_EESF_SF_EENSC_I6mod_opSG_SF_SF_EENS6_6detail15normal_iteratorINS6_10device_ptrIlEEEESO_PmS8_NS6_8equal_toIlEEEE10hipError_tPvRmT2_T3_mT4_T5_T6_T7_T8_P12ihipStream_tbENKUlT_T0_E_clISt17integral_constantIbLb1EES19_EEDaS14_S15_EUlS14_E_NS1_11comp_targetILNS1_3genE10ELNS1_11target_archE1200ELNS1_3gpuE4ELNS1_3repE0EEENS1_30default_config_static_selectorELNS0_4arch9wavefront6targetE1EEEvT1_, .Lfunc_end1148-_ZN7rocprim17ROCPRIM_400000_NS6detail17trampoline_kernelINS0_14default_configENS1_29reduce_by_key_config_selectorIllN6thrust23THRUST_200600_302600_NS4plusIlEEEEZZNS1_33reduce_by_key_impl_wrapped_configILNS1_25lookback_scan_determinismE0ES3_S9_NS6_18transform_iteratorI6div_opNS6_17counting_iteratorIlNS6_11use_defaultESF_SF_EESF_SF_EENSC_I6mod_opSG_SF_SF_EENS6_6detail15normal_iteratorINS6_10device_ptrIlEEEESO_PmS8_NS6_8equal_toIlEEEE10hipError_tPvRmT2_T3_mT4_T5_T6_T7_T8_P12ihipStream_tbENKUlT_T0_E_clISt17integral_constantIbLb1EES19_EEDaS14_S15_EUlS14_E_NS1_11comp_targetILNS1_3genE10ELNS1_11target_archE1200ELNS1_3gpuE4ELNS1_3repE0EEENS1_30default_config_static_selectorELNS0_4arch9wavefront6targetE1EEEvT1_
                                        ; -- End function
	.section	.AMDGPU.csdata,"",@progbits
; Kernel info:
; codeLenInByte = 0
; NumSgprs: 4
; NumVgprs: 0
; NumAgprs: 0
; TotalNumVgprs: 0
; ScratchSize: 0
; MemoryBound: 0
; FloatMode: 240
; IeeeMode: 1
; LDSByteSize: 0 bytes/workgroup (compile time only)
; SGPRBlocks: 0
; VGPRBlocks: 0
; NumSGPRsForWavesPerEU: 4
; NumVGPRsForWavesPerEU: 1
; AccumOffset: 4
; Occupancy: 8
; WaveLimiterHint : 0
; COMPUTE_PGM_RSRC2:SCRATCH_EN: 0
; COMPUTE_PGM_RSRC2:USER_SGPR: 6
; COMPUTE_PGM_RSRC2:TRAP_HANDLER: 0
; COMPUTE_PGM_RSRC2:TGID_X_EN: 1
; COMPUTE_PGM_RSRC2:TGID_Y_EN: 0
; COMPUTE_PGM_RSRC2:TGID_Z_EN: 0
; COMPUTE_PGM_RSRC2:TIDIG_COMP_CNT: 0
; COMPUTE_PGM_RSRC3_GFX90A:ACCUM_OFFSET: 0
; COMPUTE_PGM_RSRC3_GFX90A:TG_SPLIT: 0
	.section	.text._ZN7rocprim17ROCPRIM_400000_NS6detail17trampoline_kernelINS0_14default_configENS1_29reduce_by_key_config_selectorIllN6thrust23THRUST_200600_302600_NS4plusIlEEEEZZNS1_33reduce_by_key_impl_wrapped_configILNS1_25lookback_scan_determinismE0ES3_S9_NS6_18transform_iteratorI6div_opNS6_17counting_iteratorIlNS6_11use_defaultESF_SF_EESF_SF_EENSC_I6mod_opSG_SF_SF_EENS6_6detail15normal_iteratorINS6_10device_ptrIlEEEESO_PmS8_NS6_8equal_toIlEEEE10hipError_tPvRmT2_T3_mT4_T5_T6_T7_T8_P12ihipStream_tbENKUlT_T0_E_clISt17integral_constantIbLb1EES19_EEDaS14_S15_EUlS14_E_NS1_11comp_targetILNS1_3genE9ELNS1_11target_archE1100ELNS1_3gpuE3ELNS1_3repE0EEENS1_30default_config_static_selectorELNS0_4arch9wavefront6targetE1EEEvT1_,"axG",@progbits,_ZN7rocprim17ROCPRIM_400000_NS6detail17trampoline_kernelINS0_14default_configENS1_29reduce_by_key_config_selectorIllN6thrust23THRUST_200600_302600_NS4plusIlEEEEZZNS1_33reduce_by_key_impl_wrapped_configILNS1_25lookback_scan_determinismE0ES3_S9_NS6_18transform_iteratorI6div_opNS6_17counting_iteratorIlNS6_11use_defaultESF_SF_EESF_SF_EENSC_I6mod_opSG_SF_SF_EENS6_6detail15normal_iteratorINS6_10device_ptrIlEEEESO_PmS8_NS6_8equal_toIlEEEE10hipError_tPvRmT2_T3_mT4_T5_T6_T7_T8_P12ihipStream_tbENKUlT_T0_E_clISt17integral_constantIbLb1EES19_EEDaS14_S15_EUlS14_E_NS1_11comp_targetILNS1_3genE9ELNS1_11target_archE1100ELNS1_3gpuE3ELNS1_3repE0EEENS1_30default_config_static_selectorELNS0_4arch9wavefront6targetE1EEEvT1_,comdat
	.protected	_ZN7rocprim17ROCPRIM_400000_NS6detail17trampoline_kernelINS0_14default_configENS1_29reduce_by_key_config_selectorIllN6thrust23THRUST_200600_302600_NS4plusIlEEEEZZNS1_33reduce_by_key_impl_wrapped_configILNS1_25lookback_scan_determinismE0ES3_S9_NS6_18transform_iteratorI6div_opNS6_17counting_iteratorIlNS6_11use_defaultESF_SF_EESF_SF_EENSC_I6mod_opSG_SF_SF_EENS6_6detail15normal_iteratorINS6_10device_ptrIlEEEESO_PmS8_NS6_8equal_toIlEEEE10hipError_tPvRmT2_T3_mT4_T5_T6_T7_T8_P12ihipStream_tbENKUlT_T0_E_clISt17integral_constantIbLb1EES19_EEDaS14_S15_EUlS14_E_NS1_11comp_targetILNS1_3genE9ELNS1_11target_archE1100ELNS1_3gpuE3ELNS1_3repE0EEENS1_30default_config_static_selectorELNS0_4arch9wavefront6targetE1EEEvT1_ ; -- Begin function _ZN7rocprim17ROCPRIM_400000_NS6detail17trampoline_kernelINS0_14default_configENS1_29reduce_by_key_config_selectorIllN6thrust23THRUST_200600_302600_NS4plusIlEEEEZZNS1_33reduce_by_key_impl_wrapped_configILNS1_25lookback_scan_determinismE0ES3_S9_NS6_18transform_iteratorI6div_opNS6_17counting_iteratorIlNS6_11use_defaultESF_SF_EESF_SF_EENSC_I6mod_opSG_SF_SF_EENS6_6detail15normal_iteratorINS6_10device_ptrIlEEEESO_PmS8_NS6_8equal_toIlEEEE10hipError_tPvRmT2_T3_mT4_T5_T6_T7_T8_P12ihipStream_tbENKUlT_T0_E_clISt17integral_constantIbLb1EES19_EEDaS14_S15_EUlS14_E_NS1_11comp_targetILNS1_3genE9ELNS1_11target_archE1100ELNS1_3gpuE3ELNS1_3repE0EEENS1_30default_config_static_selectorELNS0_4arch9wavefront6targetE1EEEvT1_
	.globl	_ZN7rocprim17ROCPRIM_400000_NS6detail17trampoline_kernelINS0_14default_configENS1_29reduce_by_key_config_selectorIllN6thrust23THRUST_200600_302600_NS4plusIlEEEEZZNS1_33reduce_by_key_impl_wrapped_configILNS1_25lookback_scan_determinismE0ES3_S9_NS6_18transform_iteratorI6div_opNS6_17counting_iteratorIlNS6_11use_defaultESF_SF_EESF_SF_EENSC_I6mod_opSG_SF_SF_EENS6_6detail15normal_iteratorINS6_10device_ptrIlEEEESO_PmS8_NS6_8equal_toIlEEEE10hipError_tPvRmT2_T3_mT4_T5_T6_T7_T8_P12ihipStream_tbENKUlT_T0_E_clISt17integral_constantIbLb1EES19_EEDaS14_S15_EUlS14_E_NS1_11comp_targetILNS1_3genE9ELNS1_11target_archE1100ELNS1_3gpuE3ELNS1_3repE0EEENS1_30default_config_static_selectorELNS0_4arch9wavefront6targetE1EEEvT1_
	.p2align	8
	.type	_ZN7rocprim17ROCPRIM_400000_NS6detail17trampoline_kernelINS0_14default_configENS1_29reduce_by_key_config_selectorIllN6thrust23THRUST_200600_302600_NS4plusIlEEEEZZNS1_33reduce_by_key_impl_wrapped_configILNS1_25lookback_scan_determinismE0ES3_S9_NS6_18transform_iteratorI6div_opNS6_17counting_iteratorIlNS6_11use_defaultESF_SF_EESF_SF_EENSC_I6mod_opSG_SF_SF_EENS6_6detail15normal_iteratorINS6_10device_ptrIlEEEESO_PmS8_NS6_8equal_toIlEEEE10hipError_tPvRmT2_T3_mT4_T5_T6_T7_T8_P12ihipStream_tbENKUlT_T0_E_clISt17integral_constantIbLb1EES19_EEDaS14_S15_EUlS14_E_NS1_11comp_targetILNS1_3genE9ELNS1_11target_archE1100ELNS1_3gpuE3ELNS1_3repE0EEENS1_30default_config_static_selectorELNS0_4arch9wavefront6targetE1EEEvT1_,@function
_ZN7rocprim17ROCPRIM_400000_NS6detail17trampoline_kernelINS0_14default_configENS1_29reduce_by_key_config_selectorIllN6thrust23THRUST_200600_302600_NS4plusIlEEEEZZNS1_33reduce_by_key_impl_wrapped_configILNS1_25lookback_scan_determinismE0ES3_S9_NS6_18transform_iteratorI6div_opNS6_17counting_iteratorIlNS6_11use_defaultESF_SF_EESF_SF_EENSC_I6mod_opSG_SF_SF_EENS6_6detail15normal_iteratorINS6_10device_ptrIlEEEESO_PmS8_NS6_8equal_toIlEEEE10hipError_tPvRmT2_T3_mT4_T5_T6_T7_T8_P12ihipStream_tbENKUlT_T0_E_clISt17integral_constantIbLb1EES19_EEDaS14_S15_EUlS14_E_NS1_11comp_targetILNS1_3genE9ELNS1_11target_archE1100ELNS1_3gpuE3ELNS1_3repE0EEENS1_30default_config_static_selectorELNS0_4arch9wavefront6targetE1EEEvT1_: ; @_ZN7rocprim17ROCPRIM_400000_NS6detail17trampoline_kernelINS0_14default_configENS1_29reduce_by_key_config_selectorIllN6thrust23THRUST_200600_302600_NS4plusIlEEEEZZNS1_33reduce_by_key_impl_wrapped_configILNS1_25lookback_scan_determinismE0ES3_S9_NS6_18transform_iteratorI6div_opNS6_17counting_iteratorIlNS6_11use_defaultESF_SF_EESF_SF_EENSC_I6mod_opSG_SF_SF_EENS6_6detail15normal_iteratorINS6_10device_ptrIlEEEESO_PmS8_NS6_8equal_toIlEEEE10hipError_tPvRmT2_T3_mT4_T5_T6_T7_T8_P12ihipStream_tbENKUlT_T0_E_clISt17integral_constantIbLb1EES19_EEDaS14_S15_EUlS14_E_NS1_11comp_targetILNS1_3genE9ELNS1_11target_archE1100ELNS1_3gpuE3ELNS1_3repE0EEENS1_30default_config_static_selectorELNS0_4arch9wavefront6targetE1EEEvT1_
; %bb.0:
	.section	.rodata,"a",@progbits
	.p2align	6, 0x0
	.amdhsa_kernel _ZN7rocprim17ROCPRIM_400000_NS6detail17trampoline_kernelINS0_14default_configENS1_29reduce_by_key_config_selectorIllN6thrust23THRUST_200600_302600_NS4plusIlEEEEZZNS1_33reduce_by_key_impl_wrapped_configILNS1_25lookback_scan_determinismE0ES3_S9_NS6_18transform_iteratorI6div_opNS6_17counting_iteratorIlNS6_11use_defaultESF_SF_EESF_SF_EENSC_I6mod_opSG_SF_SF_EENS6_6detail15normal_iteratorINS6_10device_ptrIlEEEESO_PmS8_NS6_8equal_toIlEEEE10hipError_tPvRmT2_T3_mT4_T5_T6_T7_T8_P12ihipStream_tbENKUlT_T0_E_clISt17integral_constantIbLb1EES19_EEDaS14_S15_EUlS14_E_NS1_11comp_targetILNS1_3genE9ELNS1_11target_archE1100ELNS1_3gpuE3ELNS1_3repE0EEENS1_30default_config_static_selectorELNS0_4arch9wavefront6targetE1EEEvT1_
		.amdhsa_group_segment_fixed_size 0
		.amdhsa_private_segment_fixed_size 0
		.amdhsa_kernarg_size 152
		.amdhsa_user_sgpr_count 6
		.amdhsa_user_sgpr_private_segment_buffer 1
		.amdhsa_user_sgpr_dispatch_ptr 0
		.amdhsa_user_sgpr_queue_ptr 0
		.amdhsa_user_sgpr_kernarg_segment_ptr 1
		.amdhsa_user_sgpr_dispatch_id 0
		.amdhsa_user_sgpr_flat_scratch_init 0
		.amdhsa_user_sgpr_kernarg_preload_length 0
		.amdhsa_user_sgpr_kernarg_preload_offset 0
		.amdhsa_user_sgpr_private_segment_size 0
		.amdhsa_uses_dynamic_stack 0
		.amdhsa_system_sgpr_private_segment_wavefront_offset 0
		.amdhsa_system_sgpr_workgroup_id_x 1
		.amdhsa_system_sgpr_workgroup_id_y 0
		.amdhsa_system_sgpr_workgroup_id_z 0
		.amdhsa_system_sgpr_workgroup_info 0
		.amdhsa_system_vgpr_workitem_id 0
		.amdhsa_next_free_vgpr 1
		.amdhsa_next_free_sgpr 0
		.amdhsa_accum_offset 4
		.amdhsa_reserve_vcc 0
		.amdhsa_reserve_flat_scratch 0
		.amdhsa_float_round_mode_32 0
		.amdhsa_float_round_mode_16_64 0
		.amdhsa_float_denorm_mode_32 3
		.amdhsa_float_denorm_mode_16_64 3
		.amdhsa_dx10_clamp 1
		.amdhsa_ieee_mode 1
		.amdhsa_fp16_overflow 0
		.amdhsa_tg_split 0
		.amdhsa_exception_fp_ieee_invalid_op 0
		.amdhsa_exception_fp_denorm_src 0
		.amdhsa_exception_fp_ieee_div_zero 0
		.amdhsa_exception_fp_ieee_overflow 0
		.amdhsa_exception_fp_ieee_underflow 0
		.amdhsa_exception_fp_ieee_inexact 0
		.amdhsa_exception_int_div_zero 0
	.end_amdhsa_kernel
	.section	.text._ZN7rocprim17ROCPRIM_400000_NS6detail17trampoline_kernelINS0_14default_configENS1_29reduce_by_key_config_selectorIllN6thrust23THRUST_200600_302600_NS4plusIlEEEEZZNS1_33reduce_by_key_impl_wrapped_configILNS1_25lookback_scan_determinismE0ES3_S9_NS6_18transform_iteratorI6div_opNS6_17counting_iteratorIlNS6_11use_defaultESF_SF_EESF_SF_EENSC_I6mod_opSG_SF_SF_EENS6_6detail15normal_iteratorINS6_10device_ptrIlEEEESO_PmS8_NS6_8equal_toIlEEEE10hipError_tPvRmT2_T3_mT4_T5_T6_T7_T8_P12ihipStream_tbENKUlT_T0_E_clISt17integral_constantIbLb1EES19_EEDaS14_S15_EUlS14_E_NS1_11comp_targetILNS1_3genE9ELNS1_11target_archE1100ELNS1_3gpuE3ELNS1_3repE0EEENS1_30default_config_static_selectorELNS0_4arch9wavefront6targetE1EEEvT1_,"axG",@progbits,_ZN7rocprim17ROCPRIM_400000_NS6detail17trampoline_kernelINS0_14default_configENS1_29reduce_by_key_config_selectorIllN6thrust23THRUST_200600_302600_NS4plusIlEEEEZZNS1_33reduce_by_key_impl_wrapped_configILNS1_25lookback_scan_determinismE0ES3_S9_NS6_18transform_iteratorI6div_opNS6_17counting_iteratorIlNS6_11use_defaultESF_SF_EESF_SF_EENSC_I6mod_opSG_SF_SF_EENS6_6detail15normal_iteratorINS6_10device_ptrIlEEEESO_PmS8_NS6_8equal_toIlEEEE10hipError_tPvRmT2_T3_mT4_T5_T6_T7_T8_P12ihipStream_tbENKUlT_T0_E_clISt17integral_constantIbLb1EES19_EEDaS14_S15_EUlS14_E_NS1_11comp_targetILNS1_3genE9ELNS1_11target_archE1100ELNS1_3gpuE3ELNS1_3repE0EEENS1_30default_config_static_selectorELNS0_4arch9wavefront6targetE1EEEvT1_,comdat
.Lfunc_end1149:
	.size	_ZN7rocprim17ROCPRIM_400000_NS6detail17trampoline_kernelINS0_14default_configENS1_29reduce_by_key_config_selectorIllN6thrust23THRUST_200600_302600_NS4plusIlEEEEZZNS1_33reduce_by_key_impl_wrapped_configILNS1_25lookback_scan_determinismE0ES3_S9_NS6_18transform_iteratorI6div_opNS6_17counting_iteratorIlNS6_11use_defaultESF_SF_EESF_SF_EENSC_I6mod_opSG_SF_SF_EENS6_6detail15normal_iteratorINS6_10device_ptrIlEEEESO_PmS8_NS6_8equal_toIlEEEE10hipError_tPvRmT2_T3_mT4_T5_T6_T7_T8_P12ihipStream_tbENKUlT_T0_E_clISt17integral_constantIbLb1EES19_EEDaS14_S15_EUlS14_E_NS1_11comp_targetILNS1_3genE9ELNS1_11target_archE1100ELNS1_3gpuE3ELNS1_3repE0EEENS1_30default_config_static_selectorELNS0_4arch9wavefront6targetE1EEEvT1_, .Lfunc_end1149-_ZN7rocprim17ROCPRIM_400000_NS6detail17trampoline_kernelINS0_14default_configENS1_29reduce_by_key_config_selectorIllN6thrust23THRUST_200600_302600_NS4plusIlEEEEZZNS1_33reduce_by_key_impl_wrapped_configILNS1_25lookback_scan_determinismE0ES3_S9_NS6_18transform_iteratorI6div_opNS6_17counting_iteratorIlNS6_11use_defaultESF_SF_EESF_SF_EENSC_I6mod_opSG_SF_SF_EENS6_6detail15normal_iteratorINS6_10device_ptrIlEEEESO_PmS8_NS6_8equal_toIlEEEE10hipError_tPvRmT2_T3_mT4_T5_T6_T7_T8_P12ihipStream_tbENKUlT_T0_E_clISt17integral_constantIbLb1EES19_EEDaS14_S15_EUlS14_E_NS1_11comp_targetILNS1_3genE9ELNS1_11target_archE1100ELNS1_3gpuE3ELNS1_3repE0EEENS1_30default_config_static_selectorELNS0_4arch9wavefront6targetE1EEEvT1_
                                        ; -- End function
	.section	.AMDGPU.csdata,"",@progbits
; Kernel info:
; codeLenInByte = 0
; NumSgprs: 4
; NumVgprs: 0
; NumAgprs: 0
; TotalNumVgprs: 0
; ScratchSize: 0
; MemoryBound: 0
; FloatMode: 240
; IeeeMode: 1
; LDSByteSize: 0 bytes/workgroup (compile time only)
; SGPRBlocks: 0
; VGPRBlocks: 0
; NumSGPRsForWavesPerEU: 4
; NumVGPRsForWavesPerEU: 1
; AccumOffset: 4
; Occupancy: 8
; WaveLimiterHint : 0
; COMPUTE_PGM_RSRC2:SCRATCH_EN: 0
; COMPUTE_PGM_RSRC2:USER_SGPR: 6
; COMPUTE_PGM_RSRC2:TRAP_HANDLER: 0
; COMPUTE_PGM_RSRC2:TGID_X_EN: 1
; COMPUTE_PGM_RSRC2:TGID_Y_EN: 0
; COMPUTE_PGM_RSRC2:TGID_Z_EN: 0
; COMPUTE_PGM_RSRC2:TIDIG_COMP_CNT: 0
; COMPUTE_PGM_RSRC3_GFX90A:ACCUM_OFFSET: 0
; COMPUTE_PGM_RSRC3_GFX90A:TG_SPLIT: 0
	.section	.text._ZN7rocprim17ROCPRIM_400000_NS6detail17trampoline_kernelINS0_14default_configENS1_29reduce_by_key_config_selectorIllN6thrust23THRUST_200600_302600_NS4plusIlEEEEZZNS1_33reduce_by_key_impl_wrapped_configILNS1_25lookback_scan_determinismE0ES3_S9_NS6_18transform_iteratorI6div_opNS6_17counting_iteratorIlNS6_11use_defaultESF_SF_EESF_SF_EENSC_I6mod_opSG_SF_SF_EENS6_6detail15normal_iteratorINS6_10device_ptrIlEEEESO_PmS8_NS6_8equal_toIlEEEE10hipError_tPvRmT2_T3_mT4_T5_T6_T7_T8_P12ihipStream_tbENKUlT_T0_E_clISt17integral_constantIbLb1EES19_EEDaS14_S15_EUlS14_E_NS1_11comp_targetILNS1_3genE8ELNS1_11target_archE1030ELNS1_3gpuE2ELNS1_3repE0EEENS1_30default_config_static_selectorELNS0_4arch9wavefront6targetE1EEEvT1_,"axG",@progbits,_ZN7rocprim17ROCPRIM_400000_NS6detail17trampoline_kernelINS0_14default_configENS1_29reduce_by_key_config_selectorIllN6thrust23THRUST_200600_302600_NS4plusIlEEEEZZNS1_33reduce_by_key_impl_wrapped_configILNS1_25lookback_scan_determinismE0ES3_S9_NS6_18transform_iteratorI6div_opNS6_17counting_iteratorIlNS6_11use_defaultESF_SF_EESF_SF_EENSC_I6mod_opSG_SF_SF_EENS6_6detail15normal_iteratorINS6_10device_ptrIlEEEESO_PmS8_NS6_8equal_toIlEEEE10hipError_tPvRmT2_T3_mT4_T5_T6_T7_T8_P12ihipStream_tbENKUlT_T0_E_clISt17integral_constantIbLb1EES19_EEDaS14_S15_EUlS14_E_NS1_11comp_targetILNS1_3genE8ELNS1_11target_archE1030ELNS1_3gpuE2ELNS1_3repE0EEENS1_30default_config_static_selectorELNS0_4arch9wavefront6targetE1EEEvT1_,comdat
	.protected	_ZN7rocprim17ROCPRIM_400000_NS6detail17trampoline_kernelINS0_14default_configENS1_29reduce_by_key_config_selectorIllN6thrust23THRUST_200600_302600_NS4plusIlEEEEZZNS1_33reduce_by_key_impl_wrapped_configILNS1_25lookback_scan_determinismE0ES3_S9_NS6_18transform_iteratorI6div_opNS6_17counting_iteratorIlNS6_11use_defaultESF_SF_EESF_SF_EENSC_I6mod_opSG_SF_SF_EENS6_6detail15normal_iteratorINS6_10device_ptrIlEEEESO_PmS8_NS6_8equal_toIlEEEE10hipError_tPvRmT2_T3_mT4_T5_T6_T7_T8_P12ihipStream_tbENKUlT_T0_E_clISt17integral_constantIbLb1EES19_EEDaS14_S15_EUlS14_E_NS1_11comp_targetILNS1_3genE8ELNS1_11target_archE1030ELNS1_3gpuE2ELNS1_3repE0EEENS1_30default_config_static_selectorELNS0_4arch9wavefront6targetE1EEEvT1_ ; -- Begin function _ZN7rocprim17ROCPRIM_400000_NS6detail17trampoline_kernelINS0_14default_configENS1_29reduce_by_key_config_selectorIllN6thrust23THRUST_200600_302600_NS4plusIlEEEEZZNS1_33reduce_by_key_impl_wrapped_configILNS1_25lookback_scan_determinismE0ES3_S9_NS6_18transform_iteratorI6div_opNS6_17counting_iteratorIlNS6_11use_defaultESF_SF_EESF_SF_EENSC_I6mod_opSG_SF_SF_EENS6_6detail15normal_iteratorINS6_10device_ptrIlEEEESO_PmS8_NS6_8equal_toIlEEEE10hipError_tPvRmT2_T3_mT4_T5_T6_T7_T8_P12ihipStream_tbENKUlT_T0_E_clISt17integral_constantIbLb1EES19_EEDaS14_S15_EUlS14_E_NS1_11comp_targetILNS1_3genE8ELNS1_11target_archE1030ELNS1_3gpuE2ELNS1_3repE0EEENS1_30default_config_static_selectorELNS0_4arch9wavefront6targetE1EEEvT1_
	.globl	_ZN7rocprim17ROCPRIM_400000_NS6detail17trampoline_kernelINS0_14default_configENS1_29reduce_by_key_config_selectorIllN6thrust23THRUST_200600_302600_NS4plusIlEEEEZZNS1_33reduce_by_key_impl_wrapped_configILNS1_25lookback_scan_determinismE0ES3_S9_NS6_18transform_iteratorI6div_opNS6_17counting_iteratorIlNS6_11use_defaultESF_SF_EESF_SF_EENSC_I6mod_opSG_SF_SF_EENS6_6detail15normal_iteratorINS6_10device_ptrIlEEEESO_PmS8_NS6_8equal_toIlEEEE10hipError_tPvRmT2_T3_mT4_T5_T6_T7_T8_P12ihipStream_tbENKUlT_T0_E_clISt17integral_constantIbLb1EES19_EEDaS14_S15_EUlS14_E_NS1_11comp_targetILNS1_3genE8ELNS1_11target_archE1030ELNS1_3gpuE2ELNS1_3repE0EEENS1_30default_config_static_selectorELNS0_4arch9wavefront6targetE1EEEvT1_
	.p2align	8
	.type	_ZN7rocprim17ROCPRIM_400000_NS6detail17trampoline_kernelINS0_14default_configENS1_29reduce_by_key_config_selectorIllN6thrust23THRUST_200600_302600_NS4plusIlEEEEZZNS1_33reduce_by_key_impl_wrapped_configILNS1_25lookback_scan_determinismE0ES3_S9_NS6_18transform_iteratorI6div_opNS6_17counting_iteratorIlNS6_11use_defaultESF_SF_EESF_SF_EENSC_I6mod_opSG_SF_SF_EENS6_6detail15normal_iteratorINS6_10device_ptrIlEEEESO_PmS8_NS6_8equal_toIlEEEE10hipError_tPvRmT2_T3_mT4_T5_T6_T7_T8_P12ihipStream_tbENKUlT_T0_E_clISt17integral_constantIbLb1EES19_EEDaS14_S15_EUlS14_E_NS1_11comp_targetILNS1_3genE8ELNS1_11target_archE1030ELNS1_3gpuE2ELNS1_3repE0EEENS1_30default_config_static_selectorELNS0_4arch9wavefront6targetE1EEEvT1_,@function
_ZN7rocprim17ROCPRIM_400000_NS6detail17trampoline_kernelINS0_14default_configENS1_29reduce_by_key_config_selectorIllN6thrust23THRUST_200600_302600_NS4plusIlEEEEZZNS1_33reduce_by_key_impl_wrapped_configILNS1_25lookback_scan_determinismE0ES3_S9_NS6_18transform_iteratorI6div_opNS6_17counting_iteratorIlNS6_11use_defaultESF_SF_EESF_SF_EENSC_I6mod_opSG_SF_SF_EENS6_6detail15normal_iteratorINS6_10device_ptrIlEEEESO_PmS8_NS6_8equal_toIlEEEE10hipError_tPvRmT2_T3_mT4_T5_T6_T7_T8_P12ihipStream_tbENKUlT_T0_E_clISt17integral_constantIbLb1EES19_EEDaS14_S15_EUlS14_E_NS1_11comp_targetILNS1_3genE8ELNS1_11target_archE1030ELNS1_3gpuE2ELNS1_3repE0EEENS1_30default_config_static_selectorELNS0_4arch9wavefront6targetE1EEEvT1_: ; @_ZN7rocprim17ROCPRIM_400000_NS6detail17trampoline_kernelINS0_14default_configENS1_29reduce_by_key_config_selectorIllN6thrust23THRUST_200600_302600_NS4plusIlEEEEZZNS1_33reduce_by_key_impl_wrapped_configILNS1_25lookback_scan_determinismE0ES3_S9_NS6_18transform_iteratorI6div_opNS6_17counting_iteratorIlNS6_11use_defaultESF_SF_EESF_SF_EENSC_I6mod_opSG_SF_SF_EENS6_6detail15normal_iteratorINS6_10device_ptrIlEEEESO_PmS8_NS6_8equal_toIlEEEE10hipError_tPvRmT2_T3_mT4_T5_T6_T7_T8_P12ihipStream_tbENKUlT_T0_E_clISt17integral_constantIbLb1EES19_EEDaS14_S15_EUlS14_E_NS1_11comp_targetILNS1_3genE8ELNS1_11target_archE1030ELNS1_3gpuE2ELNS1_3repE0EEENS1_30default_config_static_selectorELNS0_4arch9wavefront6targetE1EEEvT1_
; %bb.0:
	.section	.rodata,"a",@progbits
	.p2align	6, 0x0
	.amdhsa_kernel _ZN7rocprim17ROCPRIM_400000_NS6detail17trampoline_kernelINS0_14default_configENS1_29reduce_by_key_config_selectorIllN6thrust23THRUST_200600_302600_NS4plusIlEEEEZZNS1_33reduce_by_key_impl_wrapped_configILNS1_25lookback_scan_determinismE0ES3_S9_NS6_18transform_iteratorI6div_opNS6_17counting_iteratorIlNS6_11use_defaultESF_SF_EESF_SF_EENSC_I6mod_opSG_SF_SF_EENS6_6detail15normal_iteratorINS6_10device_ptrIlEEEESO_PmS8_NS6_8equal_toIlEEEE10hipError_tPvRmT2_T3_mT4_T5_T6_T7_T8_P12ihipStream_tbENKUlT_T0_E_clISt17integral_constantIbLb1EES19_EEDaS14_S15_EUlS14_E_NS1_11comp_targetILNS1_3genE8ELNS1_11target_archE1030ELNS1_3gpuE2ELNS1_3repE0EEENS1_30default_config_static_selectorELNS0_4arch9wavefront6targetE1EEEvT1_
		.amdhsa_group_segment_fixed_size 0
		.amdhsa_private_segment_fixed_size 0
		.amdhsa_kernarg_size 152
		.amdhsa_user_sgpr_count 6
		.amdhsa_user_sgpr_private_segment_buffer 1
		.amdhsa_user_sgpr_dispatch_ptr 0
		.amdhsa_user_sgpr_queue_ptr 0
		.amdhsa_user_sgpr_kernarg_segment_ptr 1
		.amdhsa_user_sgpr_dispatch_id 0
		.amdhsa_user_sgpr_flat_scratch_init 0
		.amdhsa_user_sgpr_kernarg_preload_length 0
		.amdhsa_user_sgpr_kernarg_preload_offset 0
		.amdhsa_user_sgpr_private_segment_size 0
		.amdhsa_uses_dynamic_stack 0
		.amdhsa_system_sgpr_private_segment_wavefront_offset 0
		.amdhsa_system_sgpr_workgroup_id_x 1
		.amdhsa_system_sgpr_workgroup_id_y 0
		.amdhsa_system_sgpr_workgroup_id_z 0
		.amdhsa_system_sgpr_workgroup_info 0
		.amdhsa_system_vgpr_workitem_id 0
		.amdhsa_next_free_vgpr 1
		.amdhsa_next_free_sgpr 0
		.amdhsa_accum_offset 4
		.amdhsa_reserve_vcc 0
		.amdhsa_reserve_flat_scratch 0
		.amdhsa_float_round_mode_32 0
		.amdhsa_float_round_mode_16_64 0
		.amdhsa_float_denorm_mode_32 3
		.amdhsa_float_denorm_mode_16_64 3
		.amdhsa_dx10_clamp 1
		.amdhsa_ieee_mode 1
		.amdhsa_fp16_overflow 0
		.amdhsa_tg_split 0
		.amdhsa_exception_fp_ieee_invalid_op 0
		.amdhsa_exception_fp_denorm_src 0
		.amdhsa_exception_fp_ieee_div_zero 0
		.amdhsa_exception_fp_ieee_overflow 0
		.amdhsa_exception_fp_ieee_underflow 0
		.amdhsa_exception_fp_ieee_inexact 0
		.amdhsa_exception_int_div_zero 0
	.end_amdhsa_kernel
	.section	.text._ZN7rocprim17ROCPRIM_400000_NS6detail17trampoline_kernelINS0_14default_configENS1_29reduce_by_key_config_selectorIllN6thrust23THRUST_200600_302600_NS4plusIlEEEEZZNS1_33reduce_by_key_impl_wrapped_configILNS1_25lookback_scan_determinismE0ES3_S9_NS6_18transform_iteratorI6div_opNS6_17counting_iteratorIlNS6_11use_defaultESF_SF_EESF_SF_EENSC_I6mod_opSG_SF_SF_EENS6_6detail15normal_iteratorINS6_10device_ptrIlEEEESO_PmS8_NS6_8equal_toIlEEEE10hipError_tPvRmT2_T3_mT4_T5_T6_T7_T8_P12ihipStream_tbENKUlT_T0_E_clISt17integral_constantIbLb1EES19_EEDaS14_S15_EUlS14_E_NS1_11comp_targetILNS1_3genE8ELNS1_11target_archE1030ELNS1_3gpuE2ELNS1_3repE0EEENS1_30default_config_static_selectorELNS0_4arch9wavefront6targetE1EEEvT1_,"axG",@progbits,_ZN7rocprim17ROCPRIM_400000_NS6detail17trampoline_kernelINS0_14default_configENS1_29reduce_by_key_config_selectorIllN6thrust23THRUST_200600_302600_NS4plusIlEEEEZZNS1_33reduce_by_key_impl_wrapped_configILNS1_25lookback_scan_determinismE0ES3_S9_NS6_18transform_iteratorI6div_opNS6_17counting_iteratorIlNS6_11use_defaultESF_SF_EESF_SF_EENSC_I6mod_opSG_SF_SF_EENS6_6detail15normal_iteratorINS6_10device_ptrIlEEEESO_PmS8_NS6_8equal_toIlEEEE10hipError_tPvRmT2_T3_mT4_T5_T6_T7_T8_P12ihipStream_tbENKUlT_T0_E_clISt17integral_constantIbLb1EES19_EEDaS14_S15_EUlS14_E_NS1_11comp_targetILNS1_3genE8ELNS1_11target_archE1030ELNS1_3gpuE2ELNS1_3repE0EEENS1_30default_config_static_selectorELNS0_4arch9wavefront6targetE1EEEvT1_,comdat
.Lfunc_end1150:
	.size	_ZN7rocprim17ROCPRIM_400000_NS6detail17trampoline_kernelINS0_14default_configENS1_29reduce_by_key_config_selectorIllN6thrust23THRUST_200600_302600_NS4plusIlEEEEZZNS1_33reduce_by_key_impl_wrapped_configILNS1_25lookback_scan_determinismE0ES3_S9_NS6_18transform_iteratorI6div_opNS6_17counting_iteratorIlNS6_11use_defaultESF_SF_EESF_SF_EENSC_I6mod_opSG_SF_SF_EENS6_6detail15normal_iteratorINS6_10device_ptrIlEEEESO_PmS8_NS6_8equal_toIlEEEE10hipError_tPvRmT2_T3_mT4_T5_T6_T7_T8_P12ihipStream_tbENKUlT_T0_E_clISt17integral_constantIbLb1EES19_EEDaS14_S15_EUlS14_E_NS1_11comp_targetILNS1_3genE8ELNS1_11target_archE1030ELNS1_3gpuE2ELNS1_3repE0EEENS1_30default_config_static_selectorELNS0_4arch9wavefront6targetE1EEEvT1_, .Lfunc_end1150-_ZN7rocprim17ROCPRIM_400000_NS6detail17trampoline_kernelINS0_14default_configENS1_29reduce_by_key_config_selectorIllN6thrust23THRUST_200600_302600_NS4plusIlEEEEZZNS1_33reduce_by_key_impl_wrapped_configILNS1_25lookback_scan_determinismE0ES3_S9_NS6_18transform_iteratorI6div_opNS6_17counting_iteratorIlNS6_11use_defaultESF_SF_EESF_SF_EENSC_I6mod_opSG_SF_SF_EENS6_6detail15normal_iteratorINS6_10device_ptrIlEEEESO_PmS8_NS6_8equal_toIlEEEE10hipError_tPvRmT2_T3_mT4_T5_T6_T7_T8_P12ihipStream_tbENKUlT_T0_E_clISt17integral_constantIbLb1EES19_EEDaS14_S15_EUlS14_E_NS1_11comp_targetILNS1_3genE8ELNS1_11target_archE1030ELNS1_3gpuE2ELNS1_3repE0EEENS1_30default_config_static_selectorELNS0_4arch9wavefront6targetE1EEEvT1_
                                        ; -- End function
	.section	.AMDGPU.csdata,"",@progbits
; Kernel info:
; codeLenInByte = 0
; NumSgprs: 4
; NumVgprs: 0
; NumAgprs: 0
; TotalNumVgprs: 0
; ScratchSize: 0
; MemoryBound: 0
; FloatMode: 240
; IeeeMode: 1
; LDSByteSize: 0 bytes/workgroup (compile time only)
; SGPRBlocks: 0
; VGPRBlocks: 0
; NumSGPRsForWavesPerEU: 4
; NumVGPRsForWavesPerEU: 1
; AccumOffset: 4
; Occupancy: 8
; WaveLimiterHint : 0
; COMPUTE_PGM_RSRC2:SCRATCH_EN: 0
; COMPUTE_PGM_RSRC2:USER_SGPR: 6
; COMPUTE_PGM_RSRC2:TRAP_HANDLER: 0
; COMPUTE_PGM_RSRC2:TGID_X_EN: 1
; COMPUTE_PGM_RSRC2:TGID_Y_EN: 0
; COMPUTE_PGM_RSRC2:TGID_Z_EN: 0
; COMPUTE_PGM_RSRC2:TIDIG_COMP_CNT: 0
; COMPUTE_PGM_RSRC3_GFX90A:ACCUM_OFFSET: 0
; COMPUTE_PGM_RSRC3_GFX90A:TG_SPLIT: 0
	.section	.text._ZN7rocprim17ROCPRIM_400000_NS6detail25reduce_by_key_init_kernelINS1_19lookback_scan_stateINS0_5tupleIJjlEEELb1ELb0EEElNS1_16block_id_wrapperIjLb0EEEEEvT_jbjPmPT0_T1_,"axG",@progbits,_ZN7rocprim17ROCPRIM_400000_NS6detail25reduce_by_key_init_kernelINS1_19lookback_scan_stateINS0_5tupleIJjlEEELb1ELb0EEElNS1_16block_id_wrapperIjLb0EEEEEvT_jbjPmPT0_T1_,comdat
	.protected	_ZN7rocprim17ROCPRIM_400000_NS6detail25reduce_by_key_init_kernelINS1_19lookback_scan_stateINS0_5tupleIJjlEEELb1ELb0EEElNS1_16block_id_wrapperIjLb0EEEEEvT_jbjPmPT0_T1_ ; -- Begin function _ZN7rocprim17ROCPRIM_400000_NS6detail25reduce_by_key_init_kernelINS1_19lookback_scan_stateINS0_5tupleIJjlEEELb1ELb0EEElNS1_16block_id_wrapperIjLb0EEEEEvT_jbjPmPT0_T1_
	.globl	_ZN7rocprim17ROCPRIM_400000_NS6detail25reduce_by_key_init_kernelINS1_19lookback_scan_stateINS0_5tupleIJjlEEELb1ELb0EEElNS1_16block_id_wrapperIjLb0EEEEEvT_jbjPmPT0_T1_
	.p2align	8
	.type	_ZN7rocprim17ROCPRIM_400000_NS6detail25reduce_by_key_init_kernelINS1_19lookback_scan_stateINS0_5tupleIJjlEEELb1ELb0EEElNS1_16block_id_wrapperIjLb0EEEEEvT_jbjPmPT0_T1_,@function
_ZN7rocprim17ROCPRIM_400000_NS6detail25reduce_by_key_init_kernelINS1_19lookback_scan_stateINS0_5tupleIJjlEEELb1ELb0EEElNS1_16block_id_wrapperIjLb0EEEEEvT_jbjPmPT0_T1_: ; @_ZN7rocprim17ROCPRIM_400000_NS6detail25reduce_by_key_init_kernelINS1_19lookback_scan_stateINS0_5tupleIJjlEEELb1ELb0EEElNS1_16block_id_wrapperIjLb0EEEEEvT_jbjPmPT0_T1_
; %bb.0:
	s_load_dwordx8 s[8:15], s[4:5], 0x18
	s_load_dword s0, s[4:5], 0x4c
	s_load_dwordx2 s[16:17], s[4:5], 0x10
	s_waitcnt lgkmcnt(0)
	s_and_b32 s1, s9, 1
	s_and_b32 s0, s0, 0xffff
	s_mul_i32 s6, s6, s0
	s_cmp_eq_u32 s1, 0
	v_add_u32_e32 v0, s6, v0
	s_mov_b64 s[0:1], -1
	s_cbranch_scc1 .LBB1151_5
; %bb.1:
	s_andn2_b64 vcc, exec, s[0:1]
	s_cbranch_vccz .LBB1151_15
.LBB1151_2:
	v_cmp_gt_u32_e32 vcc, s8, v0
	s_and_saveexec_b64 s[0:1], vcc
	s_cbranch_execnz .LBB1151_18
.LBB1151_3:
	s_or_b64 exec, exec, s[0:1]
	v_cmp_gt_u32_e32 vcc, 64, v0
	s_and_saveexec_b64 s[0:1], vcc
	s_cbranch_execnz .LBB1151_19
.LBB1151_4:
	s_endpgm
.LBB1151_5:
	s_cmp_lt_u32 s10, s8
	s_cselect_b32 s0, s10, 0
	v_cmp_eq_u32_e32 vcc, s0, v0
	s_and_saveexec_b64 s[6:7], vcc
	s_cbranch_execz .LBB1151_14
; %bb.6:
	s_add_i32 s10, s10, 64
	v_mov_b32_e32 v1, s10
	global_load_ubyte v1, v1, s[16:17] glc
	s_load_dwordx4 s[0:3], s[4:5], 0x0
	s_add_u32 s4, s16, s10
	s_mov_b32 s11, 0
	s_addc_u32 s5, s17, 0
	s_waitcnt vmcnt(0)
	v_cmp_ne_u16_e32 vcc, 0, v1
	v_readfirstlane_b32 s9, v1
	s_cbranch_vccz .LBB1151_8
; %bb.7:
	s_and_b32 s4, 0xffff, s9
	s_branch .LBB1151_13
.LBB1151_8:
	s_mov_b32 s9, 1
	v_mov_b32_e32 v1, 0
.LBB1151_9:                             ; =>This Loop Header: Depth=1
                                        ;     Child Loop BB1151_10 Depth 2
	s_max_u32 s18, s9, 1
.LBB1151_10:                            ;   Parent Loop BB1151_9 Depth=1
                                        ; =>  This Inner Loop Header: Depth=2
	s_add_i32 s18, s18, -1
	s_cmp_eq_u32 s18, 0
	s_sleep 1
	s_cbranch_scc0 .LBB1151_10
; %bb.11:                               ;   in Loop: Header=BB1151_9 Depth=1
	global_load_ubyte v2, v1, s[4:5] glc
	s_cmp_lt_u32 s9, 32
	s_cselect_b64 s[18:19], -1, 0
	s_cmp_lg_u64 s[18:19], 0
	s_addc_u32 s9, s9, 0
	s_waitcnt vmcnt(0)
	v_cmp_ne_u16_e32 vcc, 0, v2
	v_readfirstlane_b32 s18, v2
	s_cbranch_vccz .LBB1151_9
; %bb.12:
	s_and_b32 s4, 0xffff, s18
.LBB1151_13:
	s_cmp_eq_u32 s4, 1
	s_waitcnt lgkmcnt(0)
	s_cselect_b32 s3, s1, s3
	s_cselect_b32 s2, s0, s2
	s_lshl_b64 s[0:1], s[10:11], 4
	v_mov_b32_e32 v1, 0
	s_add_u32 s0, s2, s0
	buffer_wbinvl1_vol
	s_addc_u32 s1, s3, s1
	global_load_dwordx2 v[2:3], v1, s[12:13]
	global_load_dword v6, v1, s[0:1]
	global_load_dwordx2 v[4:5], v1, s[0:1] offset:8
	s_waitcnt vmcnt(1)
	v_add_co_u32_e32 v2, vcc, v2, v6
	v_addc_co_u32_e32 v3, vcc, 0, v3, vcc
	global_store_dwordx2 v1, v[2:3], s[12:13]
	s_waitcnt vmcnt(1)
	global_store_dwordx2 v1, v[4:5], s[14:15]
.LBB1151_14:
	s_or_b64 exec, exec, s[6:7]
	s_cbranch_execnz .LBB1151_2
.LBB1151_15:
	s_cmp_lg_u64 s[12:13], 0
	s_cselect_b64 s[0:1], -1, 0
	v_cmp_eq_u32_e32 vcc, 0, v0
	s_and_b64 s[2:3], s[0:1], vcc
	s_and_saveexec_b64 s[0:1], s[2:3]
	s_cbranch_execz .LBB1151_17
; %bb.16:
	v_mov_b32_e32 v2, 0
	v_mov_b32_e32 v3, v2
	global_store_dwordx2 v2, v[2:3], s[12:13]
.LBB1151_17:
	s_or_b64 exec, exec, s[0:1]
	v_cmp_gt_u32_e32 vcc, s8, v0
	s_and_saveexec_b64 s[0:1], vcc
	s_cbranch_execz .LBB1151_3
.LBB1151_18:
	v_add_u32_e32 v1, 64, v0
	v_mov_b32_e32 v2, 0
	global_store_byte v1, v2, s[16:17]
	s_or_b64 exec, exec, s[0:1]
	v_cmp_gt_u32_e32 vcc, 64, v0
	s_and_saveexec_b64 s[0:1], vcc
	s_cbranch_execz .LBB1151_4
.LBB1151_19:
	v_mov_b32_e32 v1, 0xff
	global_store_byte v0, v1, s[16:17]
	s_endpgm
	.section	.rodata,"a",@progbits
	.p2align	6, 0x0
	.amdhsa_kernel _ZN7rocprim17ROCPRIM_400000_NS6detail25reduce_by_key_init_kernelINS1_19lookback_scan_stateINS0_5tupleIJjlEEELb1ELb0EEElNS1_16block_id_wrapperIjLb0EEEEEvT_jbjPmPT0_T1_
		.amdhsa_group_segment_fixed_size 0
		.amdhsa_private_segment_fixed_size 0
		.amdhsa_kernarg_size 320
		.amdhsa_user_sgpr_count 6
		.amdhsa_user_sgpr_private_segment_buffer 1
		.amdhsa_user_sgpr_dispatch_ptr 0
		.amdhsa_user_sgpr_queue_ptr 0
		.amdhsa_user_sgpr_kernarg_segment_ptr 1
		.amdhsa_user_sgpr_dispatch_id 0
		.amdhsa_user_sgpr_flat_scratch_init 0
		.amdhsa_user_sgpr_kernarg_preload_length 0
		.amdhsa_user_sgpr_kernarg_preload_offset 0
		.amdhsa_user_sgpr_private_segment_size 0
		.amdhsa_uses_dynamic_stack 0
		.amdhsa_system_sgpr_private_segment_wavefront_offset 0
		.amdhsa_system_sgpr_workgroup_id_x 1
		.amdhsa_system_sgpr_workgroup_id_y 0
		.amdhsa_system_sgpr_workgroup_id_z 0
		.amdhsa_system_sgpr_workgroup_info 0
		.amdhsa_system_vgpr_workitem_id 0
		.amdhsa_next_free_vgpr 7
		.amdhsa_next_free_sgpr 20
		.amdhsa_accum_offset 8
		.amdhsa_reserve_vcc 1
		.amdhsa_reserve_flat_scratch 0
		.amdhsa_float_round_mode_32 0
		.amdhsa_float_round_mode_16_64 0
		.amdhsa_float_denorm_mode_32 3
		.amdhsa_float_denorm_mode_16_64 3
		.amdhsa_dx10_clamp 1
		.amdhsa_ieee_mode 1
		.amdhsa_fp16_overflow 0
		.amdhsa_tg_split 0
		.amdhsa_exception_fp_ieee_invalid_op 0
		.amdhsa_exception_fp_denorm_src 0
		.amdhsa_exception_fp_ieee_div_zero 0
		.amdhsa_exception_fp_ieee_overflow 0
		.amdhsa_exception_fp_ieee_underflow 0
		.amdhsa_exception_fp_ieee_inexact 0
		.amdhsa_exception_int_div_zero 0
	.end_amdhsa_kernel
	.section	.text._ZN7rocprim17ROCPRIM_400000_NS6detail25reduce_by_key_init_kernelINS1_19lookback_scan_stateINS0_5tupleIJjlEEELb1ELb0EEElNS1_16block_id_wrapperIjLb0EEEEEvT_jbjPmPT0_T1_,"axG",@progbits,_ZN7rocprim17ROCPRIM_400000_NS6detail25reduce_by_key_init_kernelINS1_19lookback_scan_stateINS0_5tupleIJjlEEELb1ELb0EEElNS1_16block_id_wrapperIjLb0EEEEEvT_jbjPmPT0_T1_,comdat
.Lfunc_end1151:
	.size	_ZN7rocprim17ROCPRIM_400000_NS6detail25reduce_by_key_init_kernelINS1_19lookback_scan_stateINS0_5tupleIJjlEEELb1ELb0EEElNS1_16block_id_wrapperIjLb0EEEEEvT_jbjPmPT0_T1_, .Lfunc_end1151-_ZN7rocprim17ROCPRIM_400000_NS6detail25reduce_by_key_init_kernelINS1_19lookback_scan_stateINS0_5tupleIJjlEEELb1ELb0EEElNS1_16block_id_wrapperIjLb0EEEEEvT_jbjPmPT0_T1_
                                        ; -- End function
	.section	.AMDGPU.csdata,"",@progbits
; Kernel info:
; codeLenInByte = 472
; NumSgprs: 24
; NumVgprs: 7
; NumAgprs: 0
; TotalNumVgprs: 7
; ScratchSize: 0
; MemoryBound: 0
; FloatMode: 240
; IeeeMode: 1
; LDSByteSize: 0 bytes/workgroup (compile time only)
; SGPRBlocks: 2
; VGPRBlocks: 0
; NumSGPRsForWavesPerEU: 24
; NumVGPRsForWavesPerEU: 7
; AccumOffset: 8
; Occupancy: 8
; WaveLimiterHint : 0
; COMPUTE_PGM_RSRC2:SCRATCH_EN: 0
; COMPUTE_PGM_RSRC2:USER_SGPR: 6
; COMPUTE_PGM_RSRC2:TRAP_HANDLER: 0
; COMPUTE_PGM_RSRC2:TGID_X_EN: 1
; COMPUTE_PGM_RSRC2:TGID_Y_EN: 0
; COMPUTE_PGM_RSRC2:TGID_Z_EN: 0
; COMPUTE_PGM_RSRC2:TIDIG_COMP_CNT: 0
; COMPUTE_PGM_RSRC3_GFX90A:ACCUM_OFFSET: 1
; COMPUTE_PGM_RSRC3_GFX90A:TG_SPLIT: 0
	.section	.text._ZN7rocprim17ROCPRIM_400000_NS6detail17trampoline_kernelINS0_14default_configENS1_29reduce_by_key_config_selectorIllN6thrust23THRUST_200600_302600_NS4plusIlEEEEZZNS1_33reduce_by_key_impl_wrapped_configILNS1_25lookback_scan_determinismE0ES3_S9_NS6_18transform_iteratorI6div_opNS6_17counting_iteratorIlNS6_11use_defaultESF_SF_EESF_SF_EENSC_I6mod_opSG_SF_SF_EENS6_6detail15normal_iteratorINS6_10device_ptrIlEEEESO_PmS8_NS6_8equal_toIlEEEE10hipError_tPvRmT2_T3_mT4_T5_T6_T7_T8_P12ihipStream_tbENKUlT_T0_E_clISt17integral_constantIbLb1EES18_IbLb0EEEEDaS14_S15_EUlS14_E_NS1_11comp_targetILNS1_3genE0ELNS1_11target_archE4294967295ELNS1_3gpuE0ELNS1_3repE0EEENS1_30default_config_static_selectorELNS0_4arch9wavefront6targetE1EEEvT1_,"axG",@progbits,_ZN7rocprim17ROCPRIM_400000_NS6detail17trampoline_kernelINS0_14default_configENS1_29reduce_by_key_config_selectorIllN6thrust23THRUST_200600_302600_NS4plusIlEEEEZZNS1_33reduce_by_key_impl_wrapped_configILNS1_25lookback_scan_determinismE0ES3_S9_NS6_18transform_iteratorI6div_opNS6_17counting_iteratorIlNS6_11use_defaultESF_SF_EESF_SF_EENSC_I6mod_opSG_SF_SF_EENS6_6detail15normal_iteratorINS6_10device_ptrIlEEEESO_PmS8_NS6_8equal_toIlEEEE10hipError_tPvRmT2_T3_mT4_T5_T6_T7_T8_P12ihipStream_tbENKUlT_T0_E_clISt17integral_constantIbLb1EES18_IbLb0EEEEDaS14_S15_EUlS14_E_NS1_11comp_targetILNS1_3genE0ELNS1_11target_archE4294967295ELNS1_3gpuE0ELNS1_3repE0EEENS1_30default_config_static_selectorELNS0_4arch9wavefront6targetE1EEEvT1_,comdat
	.protected	_ZN7rocprim17ROCPRIM_400000_NS6detail17trampoline_kernelINS0_14default_configENS1_29reduce_by_key_config_selectorIllN6thrust23THRUST_200600_302600_NS4plusIlEEEEZZNS1_33reduce_by_key_impl_wrapped_configILNS1_25lookback_scan_determinismE0ES3_S9_NS6_18transform_iteratorI6div_opNS6_17counting_iteratorIlNS6_11use_defaultESF_SF_EESF_SF_EENSC_I6mod_opSG_SF_SF_EENS6_6detail15normal_iteratorINS6_10device_ptrIlEEEESO_PmS8_NS6_8equal_toIlEEEE10hipError_tPvRmT2_T3_mT4_T5_T6_T7_T8_P12ihipStream_tbENKUlT_T0_E_clISt17integral_constantIbLb1EES18_IbLb0EEEEDaS14_S15_EUlS14_E_NS1_11comp_targetILNS1_3genE0ELNS1_11target_archE4294967295ELNS1_3gpuE0ELNS1_3repE0EEENS1_30default_config_static_selectorELNS0_4arch9wavefront6targetE1EEEvT1_ ; -- Begin function _ZN7rocprim17ROCPRIM_400000_NS6detail17trampoline_kernelINS0_14default_configENS1_29reduce_by_key_config_selectorIllN6thrust23THRUST_200600_302600_NS4plusIlEEEEZZNS1_33reduce_by_key_impl_wrapped_configILNS1_25lookback_scan_determinismE0ES3_S9_NS6_18transform_iteratorI6div_opNS6_17counting_iteratorIlNS6_11use_defaultESF_SF_EESF_SF_EENSC_I6mod_opSG_SF_SF_EENS6_6detail15normal_iteratorINS6_10device_ptrIlEEEESO_PmS8_NS6_8equal_toIlEEEE10hipError_tPvRmT2_T3_mT4_T5_T6_T7_T8_P12ihipStream_tbENKUlT_T0_E_clISt17integral_constantIbLb1EES18_IbLb0EEEEDaS14_S15_EUlS14_E_NS1_11comp_targetILNS1_3genE0ELNS1_11target_archE4294967295ELNS1_3gpuE0ELNS1_3repE0EEENS1_30default_config_static_selectorELNS0_4arch9wavefront6targetE1EEEvT1_
	.globl	_ZN7rocprim17ROCPRIM_400000_NS6detail17trampoline_kernelINS0_14default_configENS1_29reduce_by_key_config_selectorIllN6thrust23THRUST_200600_302600_NS4plusIlEEEEZZNS1_33reduce_by_key_impl_wrapped_configILNS1_25lookback_scan_determinismE0ES3_S9_NS6_18transform_iteratorI6div_opNS6_17counting_iteratorIlNS6_11use_defaultESF_SF_EESF_SF_EENSC_I6mod_opSG_SF_SF_EENS6_6detail15normal_iteratorINS6_10device_ptrIlEEEESO_PmS8_NS6_8equal_toIlEEEE10hipError_tPvRmT2_T3_mT4_T5_T6_T7_T8_P12ihipStream_tbENKUlT_T0_E_clISt17integral_constantIbLb1EES18_IbLb0EEEEDaS14_S15_EUlS14_E_NS1_11comp_targetILNS1_3genE0ELNS1_11target_archE4294967295ELNS1_3gpuE0ELNS1_3repE0EEENS1_30default_config_static_selectorELNS0_4arch9wavefront6targetE1EEEvT1_
	.p2align	8
	.type	_ZN7rocprim17ROCPRIM_400000_NS6detail17trampoline_kernelINS0_14default_configENS1_29reduce_by_key_config_selectorIllN6thrust23THRUST_200600_302600_NS4plusIlEEEEZZNS1_33reduce_by_key_impl_wrapped_configILNS1_25lookback_scan_determinismE0ES3_S9_NS6_18transform_iteratorI6div_opNS6_17counting_iteratorIlNS6_11use_defaultESF_SF_EESF_SF_EENSC_I6mod_opSG_SF_SF_EENS6_6detail15normal_iteratorINS6_10device_ptrIlEEEESO_PmS8_NS6_8equal_toIlEEEE10hipError_tPvRmT2_T3_mT4_T5_T6_T7_T8_P12ihipStream_tbENKUlT_T0_E_clISt17integral_constantIbLb1EES18_IbLb0EEEEDaS14_S15_EUlS14_E_NS1_11comp_targetILNS1_3genE0ELNS1_11target_archE4294967295ELNS1_3gpuE0ELNS1_3repE0EEENS1_30default_config_static_selectorELNS0_4arch9wavefront6targetE1EEEvT1_,@function
_ZN7rocprim17ROCPRIM_400000_NS6detail17trampoline_kernelINS0_14default_configENS1_29reduce_by_key_config_selectorIllN6thrust23THRUST_200600_302600_NS4plusIlEEEEZZNS1_33reduce_by_key_impl_wrapped_configILNS1_25lookback_scan_determinismE0ES3_S9_NS6_18transform_iteratorI6div_opNS6_17counting_iteratorIlNS6_11use_defaultESF_SF_EESF_SF_EENSC_I6mod_opSG_SF_SF_EENS6_6detail15normal_iteratorINS6_10device_ptrIlEEEESO_PmS8_NS6_8equal_toIlEEEE10hipError_tPvRmT2_T3_mT4_T5_T6_T7_T8_P12ihipStream_tbENKUlT_T0_E_clISt17integral_constantIbLb1EES18_IbLb0EEEEDaS14_S15_EUlS14_E_NS1_11comp_targetILNS1_3genE0ELNS1_11target_archE4294967295ELNS1_3gpuE0ELNS1_3repE0EEENS1_30default_config_static_selectorELNS0_4arch9wavefront6targetE1EEEvT1_: ; @_ZN7rocprim17ROCPRIM_400000_NS6detail17trampoline_kernelINS0_14default_configENS1_29reduce_by_key_config_selectorIllN6thrust23THRUST_200600_302600_NS4plusIlEEEEZZNS1_33reduce_by_key_impl_wrapped_configILNS1_25lookback_scan_determinismE0ES3_S9_NS6_18transform_iteratorI6div_opNS6_17counting_iteratorIlNS6_11use_defaultESF_SF_EESF_SF_EENSC_I6mod_opSG_SF_SF_EENS6_6detail15normal_iteratorINS6_10device_ptrIlEEEESO_PmS8_NS6_8equal_toIlEEEE10hipError_tPvRmT2_T3_mT4_T5_T6_T7_T8_P12ihipStream_tbENKUlT_T0_E_clISt17integral_constantIbLb1EES18_IbLb0EEEEDaS14_S15_EUlS14_E_NS1_11comp_targetILNS1_3genE0ELNS1_11target_archE4294967295ELNS1_3gpuE0ELNS1_3repE0EEENS1_30default_config_static_selectorELNS0_4arch9wavefront6targetE1EEEvT1_
; %bb.0:
	.section	.rodata,"a",@progbits
	.p2align	6, 0x0
	.amdhsa_kernel _ZN7rocprim17ROCPRIM_400000_NS6detail17trampoline_kernelINS0_14default_configENS1_29reduce_by_key_config_selectorIllN6thrust23THRUST_200600_302600_NS4plusIlEEEEZZNS1_33reduce_by_key_impl_wrapped_configILNS1_25lookback_scan_determinismE0ES3_S9_NS6_18transform_iteratorI6div_opNS6_17counting_iteratorIlNS6_11use_defaultESF_SF_EESF_SF_EENSC_I6mod_opSG_SF_SF_EENS6_6detail15normal_iteratorINS6_10device_ptrIlEEEESO_PmS8_NS6_8equal_toIlEEEE10hipError_tPvRmT2_T3_mT4_T5_T6_T7_T8_P12ihipStream_tbENKUlT_T0_E_clISt17integral_constantIbLb1EES18_IbLb0EEEEDaS14_S15_EUlS14_E_NS1_11comp_targetILNS1_3genE0ELNS1_11target_archE4294967295ELNS1_3gpuE0ELNS1_3repE0EEENS1_30default_config_static_selectorELNS0_4arch9wavefront6targetE1EEEvT1_
		.amdhsa_group_segment_fixed_size 0
		.amdhsa_private_segment_fixed_size 0
		.amdhsa_kernarg_size 152
		.amdhsa_user_sgpr_count 6
		.amdhsa_user_sgpr_private_segment_buffer 1
		.amdhsa_user_sgpr_dispatch_ptr 0
		.amdhsa_user_sgpr_queue_ptr 0
		.amdhsa_user_sgpr_kernarg_segment_ptr 1
		.amdhsa_user_sgpr_dispatch_id 0
		.amdhsa_user_sgpr_flat_scratch_init 0
		.amdhsa_user_sgpr_kernarg_preload_length 0
		.amdhsa_user_sgpr_kernarg_preload_offset 0
		.amdhsa_user_sgpr_private_segment_size 0
		.amdhsa_uses_dynamic_stack 0
		.amdhsa_system_sgpr_private_segment_wavefront_offset 0
		.amdhsa_system_sgpr_workgroup_id_x 1
		.amdhsa_system_sgpr_workgroup_id_y 0
		.amdhsa_system_sgpr_workgroup_id_z 0
		.amdhsa_system_sgpr_workgroup_info 0
		.amdhsa_system_vgpr_workitem_id 0
		.amdhsa_next_free_vgpr 1
		.amdhsa_next_free_sgpr 0
		.amdhsa_accum_offset 4
		.amdhsa_reserve_vcc 0
		.amdhsa_reserve_flat_scratch 0
		.amdhsa_float_round_mode_32 0
		.amdhsa_float_round_mode_16_64 0
		.amdhsa_float_denorm_mode_32 3
		.amdhsa_float_denorm_mode_16_64 3
		.amdhsa_dx10_clamp 1
		.amdhsa_ieee_mode 1
		.amdhsa_fp16_overflow 0
		.amdhsa_tg_split 0
		.amdhsa_exception_fp_ieee_invalid_op 0
		.amdhsa_exception_fp_denorm_src 0
		.amdhsa_exception_fp_ieee_div_zero 0
		.amdhsa_exception_fp_ieee_overflow 0
		.amdhsa_exception_fp_ieee_underflow 0
		.amdhsa_exception_fp_ieee_inexact 0
		.amdhsa_exception_int_div_zero 0
	.end_amdhsa_kernel
	.section	.text._ZN7rocprim17ROCPRIM_400000_NS6detail17trampoline_kernelINS0_14default_configENS1_29reduce_by_key_config_selectorIllN6thrust23THRUST_200600_302600_NS4plusIlEEEEZZNS1_33reduce_by_key_impl_wrapped_configILNS1_25lookback_scan_determinismE0ES3_S9_NS6_18transform_iteratorI6div_opNS6_17counting_iteratorIlNS6_11use_defaultESF_SF_EESF_SF_EENSC_I6mod_opSG_SF_SF_EENS6_6detail15normal_iteratorINS6_10device_ptrIlEEEESO_PmS8_NS6_8equal_toIlEEEE10hipError_tPvRmT2_T3_mT4_T5_T6_T7_T8_P12ihipStream_tbENKUlT_T0_E_clISt17integral_constantIbLb1EES18_IbLb0EEEEDaS14_S15_EUlS14_E_NS1_11comp_targetILNS1_3genE0ELNS1_11target_archE4294967295ELNS1_3gpuE0ELNS1_3repE0EEENS1_30default_config_static_selectorELNS0_4arch9wavefront6targetE1EEEvT1_,"axG",@progbits,_ZN7rocprim17ROCPRIM_400000_NS6detail17trampoline_kernelINS0_14default_configENS1_29reduce_by_key_config_selectorIllN6thrust23THRUST_200600_302600_NS4plusIlEEEEZZNS1_33reduce_by_key_impl_wrapped_configILNS1_25lookback_scan_determinismE0ES3_S9_NS6_18transform_iteratorI6div_opNS6_17counting_iteratorIlNS6_11use_defaultESF_SF_EESF_SF_EENSC_I6mod_opSG_SF_SF_EENS6_6detail15normal_iteratorINS6_10device_ptrIlEEEESO_PmS8_NS6_8equal_toIlEEEE10hipError_tPvRmT2_T3_mT4_T5_T6_T7_T8_P12ihipStream_tbENKUlT_T0_E_clISt17integral_constantIbLb1EES18_IbLb0EEEEDaS14_S15_EUlS14_E_NS1_11comp_targetILNS1_3genE0ELNS1_11target_archE4294967295ELNS1_3gpuE0ELNS1_3repE0EEENS1_30default_config_static_selectorELNS0_4arch9wavefront6targetE1EEEvT1_,comdat
.Lfunc_end1152:
	.size	_ZN7rocprim17ROCPRIM_400000_NS6detail17trampoline_kernelINS0_14default_configENS1_29reduce_by_key_config_selectorIllN6thrust23THRUST_200600_302600_NS4plusIlEEEEZZNS1_33reduce_by_key_impl_wrapped_configILNS1_25lookback_scan_determinismE0ES3_S9_NS6_18transform_iteratorI6div_opNS6_17counting_iteratorIlNS6_11use_defaultESF_SF_EESF_SF_EENSC_I6mod_opSG_SF_SF_EENS6_6detail15normal_iteratorINS6_10device_ptrIlEEEESO_PmS8_NS6_8equal_toIlEEEE10hipError_tPvRmT2_T3_mT4_T5_T6_T7_T8_P12ihipStream_tbENKUlT_T0_E_clISt17integral_constantIbLb1EES18_IbLb0EEEEDaS14_S15_EUlS14_E_NS1_11comp_targetILNS1_3genE0ELNS1_11target_archE4294967295ELNS1_3gpuE0ELNS1_3repE0EEENS1_30default_config_static_selectorELNS0_4arch9wavefront6targetE1EEEvT1_, .Lfunc_end1152-_ZN7rocprim17ROCPRIM_400000_NS6detail17trampoline_kernelINS0_14default_configENS1_29reduce_by_key_config_selectorIllN6thrust23THRUST_200600_302600_NS4plusIlEEEEZZNS1_33reduce_by_key_impl_wrapped_configILNS1_25lookback_scan_determinismE0ES3_S9_NS6_18transform_iteratorI6div_opNS6_17counting_iteratorIlNS6_11use_defaultESF_SF_EESF_SF_EENSC_I6mod_opSG_SF_SF_EENS6_6detail15normal_iteratorINS6_10device_ptrIlEEEESO_PmS8_NS6_8equal_toIlEEEE10hipError_tPvRmT2_T3_mT4_T5_T6_T7_T8_P12ihipStream_tbENKUlT_T0_E_clISt17integral_constantIbLb1EES18_IbLb0EEEEDaS14_S15_EUlS14_E_NS1_11comp_targetILNS1_3genE0ELNS1_11target_archE4294967295ELNS1_3gpuE0ELNS1_3repE0EEENS1_30default_config_static_selectorELNS0_4arch9wavefront6targetE1EEEvT1_
                                        ; -- End function
	.section	.AMDGPU.csdata,"",@progbits
; Kernel info:
; codeLenInByte = 0
; NumSgprs: 4
; NumVgprs: 0
; NumAgprs: 0
; TotalNumVgprs: 0
; ScratchSize: 0
; MemoryBound: 0
; FloatMode: 240
; IeeeMode: 1
; LDSByteSize: 0 bytes/workgroup (compile time only)
; SGPRBlocks: 0
; VGPRBlocks: 0
; NumSGPRsForWavesPerEU: 4
; NumVGPRsForWavesPerEU: 1
; AccumOffset: 4
; Occupancy: 8
; WaveLimiterHint : 0
; COMPUTE_PGM_RSRC2:SCRATCH_EN: 0
; COMPUTE_PGM_RSRC2:USER_SGPR: 6
; COMPUTE_PGM_RSRC2:TRAP_HANDLER: 0
; COMPUTE_PGM_RSRC2:TGID_X_EN: 1
; COMPUTE_PGM_RSRC2:TGID_Y_EN: 0
; COMPUTE_PGM_RSRC2:TGID_Z_EN: 0
; COMPUTE_PGM_RSRC2:TIDIG_COMP_CNT: 0
; COMPUTE_PGM_RSRC3_GFX90A:ACCUM_OFFSET: 0
; COMPUTE_PGM_RSRC3_GFX90A:TG_SPLIT: 0
	.section	.text._ZN7rocprim17ROCPRIM_400000_NS6detail17trampoline_kernelINS0_14default_configENS1_29reduce_by_key_config_selectorIllN6thrust23THRUST_200600_302600_NS4plusIlEEEEZZNS1_33reduce_by_key_impl_wrapped_configILNS1_25lookback_scan_determinismE0ES3_S9_NS6_18transform_iteratorI6div_opNS6_17counting_iteratorIlNS6_11use_defaultESF_SF_EESF_SF_EENSC_I6mod_opSG_SF_SF_EENS6_6detail15normal_iteratorINS6_10device_ptrIlEEEESO_PmS8_NS6_8equal_toIlEEEE10hipError_tPvRmT2_T3_mT4_T5_T6_T7_T8_P12ihipStream_tbENKUlT_T0_E_clISt17integral_constantIbLb1EES18_IbLb0EEEEDaS14_S15_EUlS14_E_NS1_11comp_targetILNS1_3genE5ELNS1_11target_archE942ELNS1_3gpuE9ELNS1_3repE0EEENS1_30default_config_static_selectorELNS0_4arch9wavefront6targetE1EEEvT1_,"axG",@progbits,_ZN7rocprim17ROCPRIM_400000_NS6detail17trampoline_kernelINS0_14default_configENS1_29reduce_by_key_config_selectorIllN6thrust23THRUST_200600_302600_NS4plusIlEEEEZZNS1_33reduce_by_key_impl_wrapped_configILNS1_25lookback_scan_determinismE0ES3_S9_NS6_18transform_iteratorI6div_opNS6_17counting_iteratorIlNS6_11use_defaultESF_SF_EESF_SF_EENSC_I6mod_opSG_SF_SF_EENS6_6detail15normal_iteratorINS6_10device_ptrIlEEEESO_PmS8_NS6_8equal_toIlEEEE10hipError_tPvRmT2_T3_mT4_T5_T6_T7_T8_P12ihipStream_tbENKUlT_T0_E_clISt17integral_constantIbLb1EES18_IbLb0EEEEDaS14_S15_EUlS14_E_NS1_11comp_targetILNS1_3genE5ELNS1_11target_archE942ELNS1_3gpuE9ELNS1_3repE0EEENS1_30default_config_static_selectorELNS0_4arch9wavefront6targetE1EEEvT1_,comdat
	.protected	_ZN7rocprim17ROCPRIM_400000_NS6detail17trampoline_kernelINS0_14default_configENS1_29reduce_by_key_config_selectorIllN6thrust23THRUST_200600_302600_NS4plusIlEEEEZZNS1_33reduce_by_key_impl_wrapped_configILNS1_25lookback_scan_determinismE0ES3_S9_NS6_18transform_iteratorI6div_opNS6_17counting_iteratorIlNS6_11use_defaultESF_SF_EESF_SF_EENSC_I6mod_opSG_SF_SF_EENS6_6detail15normal_iteratorINS6_10device_ptrIlEEEESO_PmS8_NS6_8equal_toIlEEEE10hipError_tPvRmT2_T3_mT4_T5_T6_T7_T8_P12ihipStream_tbENKUlT_T0_E_clISt17integral_constantIbLb1EES18_IbLb0EEEEDaS14_S15_EUlS14_E_NS1_11comp_targetILNS1_3genE5ELNS1_11target_archE942ELNS1_3gpuE9ELNS1_3repE0EEENS1_30default_config_static_selectorELNS0_4arch9wavefront6targetE1EEEvT1_ ; -- Begin function _ZN7rocprim17ROCPRIM_400000_NS6detail17trampoline_kernelINS0_14default_configENS1_29reduce_by_key_config_selectorIllN6thrust23THRUST_200600_302600_NS4plusIlEEEEZZNS1_33reduce_by_key_impl_wrapped_configILNS1_25lookback_scan_determinismE0ES3_S9_NS6_18transform_iteratorI6div_opNS6_17counting_iteratorIlNS6_11use_defaultESF_SF_EESF_SF_EENSC_I6mod_opSG_SF_SF_EENS6_6detail15normal_iteratorINS6_10device_ptrIlEEEESO_PmS8_NS6_8equal_toIlEEEE10hipError_tPvRmT2_T3_mT4_T5_T6_T7_T8_P12ihipStream_tbENKUlT_T0_E_clISt17integral_constantIbLb1EES18_IbLb0EEEEDaS14_S15_EUlS14_E_NS1_11comp_targetILNS1_3genE5ELNS1_11target_archE942ELNS1_3gpuE9ELNS1_3repE0EEENS1_30default_config_static_selectorELNS0_4arch9wavefront6targetE1EEEvT1_
	.globl	_ZN7rocprim17ROCPRIM_400000_NS6detail17trampoline_kernelINS0_14default_configENS1_29reduce_by_key_config_selectorIllN6thrust23THRUST_200600_302600_NS4plusIlEEEEZZNS1_33reduce_by_key_impl_wrapped_configILNS1_25lookback_scan_determinismE0ES3_S9_NS6_18transform_iteratorI6div_opNS6_17counting_iteratorIlNS6_11use_defaultESF_SF_EESF_SF_EENSC_I6mod_opSG_SF_SF_EENS6_6detail15normal_iteratorINS6_10device_ptrIlEEEESO_PmS8_NS6_8equal_toIlEEEE10hipError_tPvRmT2_T3_mT4_T5_T6_T7_T8_P12ihipStream_tbENKUlT_T0_E_clISt17integral_constantIbLb1EES18_IbLb0EEEEDaS14_S15_EUlS14_E_NS1_11comp_targetILNS1_3genE5ELNS1_11target_archE942ELNS1_3gpuE9ELNS1_3repE0EEENS1_30default_config_static_selectorELNS0_4arch9wavefront6targetE1EEEvT1_
	.p2align	8
	.type	_ZN7rocprim17ROCPRIM_400000_NS6detail17trampoline_kernelINS0_14default_configENS1_29reduce_by_key_config_selectorIllN6thrust23THRUST_200600_302600_NS4plusIlEEEEZZNS1_33reduce_by_key_impl_wrapped_configILNS1_25lookback_scan_determinismE0ES3_S9_NS6_18transform_iteratorI6div_opNS6_17counting_iteratorIlNS6_11use_defaultESF_SF_EESF_SF_EENSC_I6mod_opSG_SF_SF_EENS6_6detail15normal_iteratorINS6_10device_ptrIlEEEESO_PmS8_NS6_8equal_toIlEEEE10hipError_tPvRmT2_T3_mT4_T5_T6_T7_T8_P12ihipStream_tbENKUlT_T0_E_clISt17integral_constantIbLb1EES18_IbLb0EEEEDaS14_S15_EUlS14_E_NS1_11comp_targetILNS1_3genE5ELNS1_11target_archE942ELNS1_3gpuE9ELNS1_3repE0EEENS1_30default_config_static_selectorELNS0_4arch9wavefront6targetE1EEEvT1_,@function
_ZN7rocprim17ROCPRIM_400000_NS6detail17trampoline_kernelINS0_14default_configENS1_29reduce_by_key_config_selectorIllN6thrust23THRUST_200600_302600_NS4plusIlEEEEZZNS1_33reduce_by_key_impl_wrapped_configILNS1_25lookback_scan_determinismE0ES3_S9_NS6_18transform_iteratorI6div_opNS6_17counting_iteratorIlNS6_11use_defaultESF_SF_EESF_SF_EENSC_I6mod_opSG_SF_SF_EENS6_6detail15normal_iteratorINS6_10device_ptrIlEEEESO_PmS8_NS6_8equal_toIlEEEE10hipError_tPvRmT2_T3_mT4_T5_T6_T7_T8_P12ihipStream_tbENKUlT_T0_E_clISt17integral_constantIbLb1EES18_IbLb0EEEEDaS14_S15_EUlS14_E_NS1_11comp_targetILNS1_3genE5ELNS1_11target_archE942ELNS1_3gpuE9ELNS1_3repE0EEENS1_30default_config_static_selectorELNS0_4arch9wavefront6targetE1EEEvT1_: ; @_ZN7rocprim17ROCPRIM_400000_NS6detail17trampoline_kernelINS0_14default_configENS1_29reduce_by_key_config_selectorIllN6thrust23THRUST_200600_302600_NS4plusIlEEEEZZNS1_33reduce_by_key_impl_wrapped_configILNS1_25lookback_scan_determinismE0ES3_S9_NS6_18transform_iteratorI6div_opNS6_17counting_iteratorIlNS6_11use_defaultESF_SF_EESF_SF_EENSC_I6mod_opSG_SF_SF_EENS6_6detail15normal_iteratorINS6_10device_ptrIlEEEESO_PmS8_NS6_8equal_toIlEEEE10hipError_tPvRmT2_T3_mT4_T5_T6_T7_T8_P12ihipStream_tbENKUlT_T0_E_clISt17integral_constantIbLb1EES18_IbLb0EEEEDaS14_S15_EUlS14_E_NS1_11comp_targetILNS1_3genE5ELNS1_11target_archE942ELNS1_3gpuE9ELNS1_3repE0EEENS1_30default_config_static_selectorELNS0_4arch9wavefront6targetE1EEEvT1_
; %bb.0:
	.section	.rodata,"a",@progbits
	.p2align	6, 0x0
	.amdhsa_kernel _ZN7rocprim17ROCPRIM_400000_NS6detail17trampoline_kernelINS0_14default_configENS1_29reduce_by_key_config_selectorIllN6thrust23THRUST_200600_302600_NS4plusIlEEEEZZNS1_33reduce_by_key_impl_wrapped_configILNS1_25lookback_scan_determinismE0ES3_S9_NS6_18transform_iteratorI6div_opNS6_17counting_iteratorIlNS6_11use_defaultESF_SF_EESF_SF_EENSC_I6mod_opSG_SF_SF_EENS6_6detail15normal_iteratorINS6_10device_ptrIlEEEESO_PmS8_NS6_8equal_toIlEEEE10hipError_tPvRmT2_T3_mT4_T5_T6_T7_T8_P12ihipStream_tbENKUlT_T0_E_clISt17integral_constantIbLb1EES18_IbLb0EEEEDaS14_S15_EUlS14_E_NS1_11comp_targetILNS1_3genE5ELNS1_11target_archE942ELNS1_3gpuE9ELNS1_3repE0EEENS1_30default_config_static_selectorELNS0_4arch9wavefront6targetE1EEEvT1_
		.amdhsa_group_segment_fixed_size 0
		.amdhsa_private_segment_fixed_size 0
		.amdhsa_kernarg_size 152
		.amdhsa_user_sgpr_count 6
		.amdhsa_user_sgpr_private_segment_buffer 1
		.amdhsa_user_sgpr_dispatch_ptr 0
		.amdhsa_user_sgpr_queue_ptr 0
		.amdhsa_user_sgpr_kernarg_segment_ptr 1
		.amdhsa_user_sgpr_dispatch_id 0
		.amdhsa_user_sgpr_flat_scratch_init 0
		.amdhsa_user_sgpr_kernarg_preload_length 0
		.amdhsa_user_sgpr_kernarg_preload_offset 0
		.amdhsa_user_sgpr_private_segment_size 0
		.amdhsa_uses_dynamic_stack 0
		.amdhsa_system_sgpr_private_segment_wavefront_offset 0
		.amdhsa_system_sgpr_workgroup_id_x 1
		.amdhsa_system_sgpr_workgroup_id_y 0
		.amdhsa_system_sgpr_workgroup_id_z 0
		.amdhsa_system_sgpr_workgroup_info 0
		.amdhsa_system_vgpr_workitem_id 0
		.amdhsa_next_free_vgpr 1
		.amdhsa_next_free_sgpr 0
		.amdhsa_accum_offset 4
		.amdhsa_reserve_vcc 0
		.amdhsa_reserve_flat_scratch 0
		.amdhsa_float_round_mode_32 0
		.amdhsa_float_round_mode_16_64 0
		.amdhsa_float_denorm_mode_32 3
		.amdhsa_float_denorm_mode_16_64 3
		.amdhsa_dx10_clamp 1
		.amdhsa_ieee_mode 1
		.amdhsa_fp16_overflow 0
		.amdhsa_tg_split 0
		.amdhsa_exception_fp_ieee_invalid_op 0
		.amdhsa_exception_fp_denorm_src 0
		.amdhsa_exception_fp_ieee_div_zero 0
		.amdhsa_exception_fp_ieee_overflow 0
		.amdhsa_exception_fp_ieee_underflow 0
		.amdhsa_exception_fp_ieee_inexact 0
		.amdhsa_exception_int_div_zero 0
	.end_amdhsa_kernel
	.section	.text._ZN7rocprim17ROCPRIM_400000_NS6detail17trampoline_kernelINS0_14default_configENS1_29reduce_by_key_config_selectorIllN6thrust23THRUST_200600_302600_NS4plusIlEEEEZZNS1_33reduce_by_key_impl_wrapped_configILNS1_25lookback_scan_determinismE0ES3_S9_NS6_18transform_iteratorI6div_opNS6_17counting_iteratorIlNS6_11use_defaultESF_SF_EESF_SF_EENSC_I6mod_opSG_SF_SF_EENS6_6detail15normal_iteratorINS6_10device_ptrIlEEEESO_PmS8_NS6_8equal_toIlEEEE10hipError_tPvRmT2_T3_mT4_T5_T6_T7_T8_P12ihipStream_tbENKUlT_T0_E_clISt17integral_constantIbLb1EES18_IbLb0EEEEDaS14_S15_EUlS14_E_NS1_11comp_targetILNS1_3genE5ELNS1_11target_archE942ELNS1_3gpuE9ELNS1_3repE0EEENS1_30default_config_static_selectorELNS0_4arch9wavefront6targetE1EEEvT1_,"axG",@progbits,_ZN7rocprim17ROCPRIM_400000_NS6detail17trampoline_kernelINS0_14default_configENS1_29reduce_by_key_config_selectorIllN6thrust23THRUST_200600_302600_NS4plusIlEEEEZZNS1_33reduce_by_key_impl_wrapped_configILNS1_25lookback_scan_determinismE0ES3_S9_NS6_18transform_iteratorI6div_opNS6_17counting_iteratorIlNS6_11use_defaultESF_SF_EESF_SF_EENSC_I6mod_opSG_SF_SF_EENS6_6detail15normal_iteratorINS6_10device_ptrIlEEEESO_PmS8_NS6_8equal_toIlEEEE10hipError_tPvRmT2_T3_mT4_T5_T6_T7_T8_P12ihipStream_tbENKUlT_T0_E_clISt17integral_constantIbLb1EES18_IbLb0EEEEDaS14_S15_EUlS14_E_NS1_11comp_targetILNS1_3genE5ELNS1_11target_archE942ELNS1_3gpuE9ELNS1_3repE0EEENS1_30default_config_static_selectorELNS0_4arch9wavefront6targetE1EEEvT1_,comdat
.Lfunc_end1153:
	.size	_ZN7rocprim17ROCPRIM_400000_NS6detail17trampoline_kernelINS0_14default_configENS1_29reduce_by_key_config_selectorIllN6thrust23THRUST_200600_302600_NS4plusIlEEEEZZNS1_33reduce_by_key_impl_wrapped_configILNS1_25lookback_scan_determinismE0ES3_S9_NS6_18transform_iteratorI6div_opNS6_17counting_iteratorIlNS6_11use_defaultESF_SF_EESF_SF_EENSC_I6mod_opSG_SF_SF_EENS6_6detail15normal_iteratorINS6_10device_ptrIlEEEESO_PmS8_NS6_8equal_toIlEEEE10hipError_tPvRmT2_T3_mT4_T5_T6_T7_T8_P12ihipStream_tbENKUlT_T0_E_clISt17integral_constantIbLb1EES18_IbLb0EEEEDaS14_S15_EUlS14_E_NS1_11comp_targetILNS1_3genE5ELNS1_11target_archE942ELNS1_3gpuE9ELNS1_3repE0EEENS1_30default_config_static_selectorELNS0_4arch9wavefront6targetE1EEEvT1_, .Lfunc_end1153-_ZN7rocprim17ROCPRIM_400000_NS6detail17trampoline_kernelINS0_14default_configENS1_29reduce_by_key_config_selectorIllN6thrust23THRUST_200600_302600_NS4plusIlEEEEZZNS1_33reduce_by_key_impl_wrapped_configILNS1_25lookback_scan_determinismE0ES3_S9_NS6_18transform_iteratorI6div_opNS6_17counting_iteratorIlNS6_11use_defaultESF_SF_EESF_SF_EENSC_I6mod_opSG_SF_SF_EENS6_6detail15normal_iteratorINS6_10device_ptrIlEEEESO_PmS8_NS6_8equal_toIlEEEE10hipError_tPvRmT2_T3_mT4_T5_T6_T7_T8_P12ihipStream_tbENKUlT_T0_E_clISt17integral_constantIbLb1EES18_IbLb0EEEEDaS14_S15_EUlS14_E_NS1_11comp_targetILNS1_3genE5ELNS1_11target_archE942ELNS1_3gpuE9ELNS1_3repE0EEENS1_30default_config_static_selectorELNS0_4arch9wavefront6targetE1EEEvT1_
                                        ; -- End function
	.section	.AMDGPU.csdata,"",@progbits
; Kernel info:
; codeLenInByte = 0
; NumSgprs: 4
; NumVgprs: 0
; NumAgprs: 0
; TotalNumVgprs: 0
; ScratchSize: 0
; MemoryBound: 0
; FloatMode: 240
; IeeeMode: 1
; LDSByteSize: 0 bytes/workgroup (compile time only)
; SGPRBlocks: 0
; VGPRBlocks: 0
; NumSGPRsForWavesPerEU: 4
; NumVGPRsForWavesPerEU: 1
; AccumOffset: 4
; Occupancy: 8
; WaveLimiterHint : 0
; COMPUTE_PGM_RSRC2:SCRATCH_EN: 0
; COMPUTE_PGM_RSRC2:USER_SGPR: 6
; COMPUTE_PGM_RSRC2:TRAP_HANDLER: 0
; COMPUTE_PGM_RSRC2:TGID_X_EN: 1
; COMPUTE_PGM_RSRC2:TGID_Y_EN: 0
; COMPUTE_PGM_RSRC2:TGID_Z_EN: 0
; COMPUTE_PGM_RSRC2:TIDIG_COMP_CNT: 0
; COMPUTE_PGM_RSRC3_GFX90A:ACCUM_OFFSET: 0
; COMPUTE_PGM_RSRC3_GFX90A:TG_SPLIT: 0
	.section	.text._ZN7rocprim17ROCPRIM_400000_NS6detail17trampoline_kernelINS0_14default_configENS1_29reduce_by_key_config_selectorIllN6thrust23THRUST_200600_302600_NS4plusIlEEEEZZNS1_33reduce_by_key_impl_wrapped_configILNS1_25lookback_scan_determinismE0ES3_S9_NS6_18transform_iteratorI6div_opNS6_17counting_iteratorIlNS6_11use_defaultESF_SF_EESF_SF_EENSC_I6mod_opSG_SF_SF_EENS6_6detail15normal_iteratorINS6_10device_ptrIlEEEESO_PmS8_NS6_8equal_toIlEEEE10hipError_tPvRmT2_T3_mT4_T5_T6_T7_T8_P12ihipStream_tbENKUlT_T0_E_clISt17integral_constantIbLb1EES18_IbLb0EEEEDaS14_S15_EUlS14_E_NS1_11comp_targetILNS1_3genE4ELNS1_11target_archE910ELNS1_3gpuE8ELNS1_3repE0EEENS1_30default_config_static_selectorELNS0_4arch9wavefront6targetE1EEEvT1_,"axG",@progbits,_ZN7rocprim17ROCPRIM_400000_NS6detail17trampoline_kernelINS0_14default_configENS1_29reduce_by_key_config_selectorIllN6thrust23THRUST_200600_302600_NS4plusIlEEEEZZNS1_33reduce_by_key_impl_wrapped_configILNS1_25lookback_scan_determinismE0ES3_S9_NS6_18transform_iteratorI6div_opNS6_17counting_iteratorIlNS6_11use_defaultESF_SF_EESF_SF_EENSC_I6mod_opSG_SF_SF_EENS6_6detail15normal_iteratorINS6_10device_ptrIlEEEESO_PmS8_NS6_8equal_toIlEEEE10hipError_tPvRmT2_T3_mT4_T5_T6_T7_T8_P12ihipStream_tbENKUlT_T0_E_clISt17integral_constantIbLb1EES18_IbLb0EEEEDaS14_S15_EUlS14_E_NS1_11comp_targetILNS1_3genE4ELNS1_11target_archE910ELNS1_3gpuE8ELNS1_3repE0EEENS1_30default_config_static_selectorELNS0_4arch9wavefront6targetE1EEEvT1_,comdat
	.protected	_ZN7rocprim17ROCPRIM_400000_NS6detail17trampoline_kernelINS0_14default_configENS1_29reduce_by_key_config_selectorIllN6thrust23THRUST_200600_302600_NS4plusIlEEEEZZNS1_33reduce_by_key_impl_wrapped_configILNS1_25lookback_scan_determinismE0ES3_S9_NS6_18transform_iteratorI6div_opNS6_17counting_iteratorIlNS6_11use_defaultESF_SF_EESF_SF_EENSC_I6mod_opSG_SF_SF_EENS6_6detail15normal_iteratorINS6_10device_ptrIlEEEESO_PmS8_NS6_8equal_toIlEEEE10hipError_tPvRmT2_T3_mT4_T5_T6_T7_T8_P12ihipStream_tbENKUlT_T0_E_clISt17integral_constantIbLb1EES18_IbLb0EEEEDaS14_S15_EUlS14_E_NS1_11comp_targetILNS1_3genE4ELNS1_11target_archE910ELNS1_3gpuE8ELNS1_3repE0EEENS1_30default_config_static_selectorELNS0_4arch9wavefront6targetE1EEEvT1_ ; -- Begin function _ZN7rocprim17ROCPRIM_400000_NS6detail17trampoline_kernelINS0_14default_configENS1_29reduce_by_key_config_selectorIllN6thrust23THRUST_200600_302600_NS4plusIlEEEEZZNS1_33reduce_by_key_impl_wrapped_configILNS1_25lookback_scan_determinismE0ES3_S9_NS6_18transform_iteratorI6div_opNS6_17counting_iteratorIlNS6_11use_defaultESF_SF_EESF_SF_EENSC_I6mod_opSG_SF_SF_EENS6_6detail15normal_iteratorINS6_10device_ptrIlEEEESO_PmS8_NS6_8equal_toIlEEEE10hipError_tPvRmT2_T3_mT4_T5_T6_T7_T8_P12ihipStream_tbENKUlT_T0_E_clISt17integral_constantIbLb1EES18_IbLb0EEEEDaS14_S15_EUlS14_E_NS1_11comp_targetILNS1_3genE4ELNS1_11target_archE910ELNS1_3gpuE8ELNS1_3repE0EEENS1_30default_config_static_selectorELNS0_4arch9wavefront6targetE1EEEvT1_
	.globl	_ZN7rocprim17ROCPRIM_400000_NS6detail17trampoline_kernelINS0_14default_configENS1_29reduce_by_key_config_selectorIllN6thrust23THRUST_200600_302600_NS4plusIlEEEEZZNS1_33reduce_by_key_impl_wrapped_configILNS1_25lookback_scan_determinismE0ES3_S9_NS6_18transform_iteratorI6div_opNS6_17counting_iteratorIlNS6_11use_defaultESF_SF_EESF_SF_EENSC_I6mod_opSG_SF_SF_EENS6_6detail15normal_iteratorINS6_10device_ptrIlEEEESO_PmS8_NS6_8equal_toIlEEEE10hipError_tPvRmT2_T3_mT4_T5_T6_T7_T8_P12ihipStream_tbENKUlT_T0_E_clISt17integral_constantIbLb1EES18_IbLb0EEEEDaS14_S15_EUlS14_E_NS1_11comp_targetILNS1_3genE4ELNS1_11target_archE910ELNS1_3gpuE8ELNS1_3repE0EEENS1_30default_config_static_selectorELNS0_4arch9wavefront6targetE1EEEvT1_
	.p2align	8
	.type	_ZN7rocprim17ROCPRIM_400000_NS6detail17trampoline_kernelINS0_14default_configENS1_29reduce_by_key_config_selectorIllN6thrust23THRUST_200600_302600_NS4plusIlEEEEZZNS1_33reduce_by_key_impl_wrapped_configILNS1_25lookback_scan_determinismE0ES3_S9_NS6_18transform_iteratorI6div_opNS6_17counting_iteratorIlNS6_11use_defaultESF_SF_EESF_SF_EENSC_I6mod_opSG_SF_SF_EENS6_6detail15normal_iteratorINS6_10device_ptrIlEEEESO_PmS8_NS6_8equal_toIlEEEE10hipError_tPvRmT2_T3_mT4_T5_T6_T7_T8_P12ihipStream_tbENKUlT_T0_E_clISt17integral_constantIbLb1EES18_IbLb0EEEEDaS14_S15_EUlS14_E_NS1_11comp_targetILNS1_3genE4ELNS1_11target_archE910ELNS1_3gpuE8ELNS1_3repE0EEENS1_30default_config_static_selectorELNS0_4arch9wavefront6targetE1EEEvT1_,@function
_ZN7rocprim17ROCPRIM_400000_NS6detail17trampoline_kernelINS0_14default_configENS1_29reduce_by_key_config_selectorIllN6thrust23THRUST_200600_302600_NS4plusIlEEEEZZNS1_33reduce_by_key_impl_wrapped_configILNS1_25lookback_scan_determinismE0ES3_S9_NS6_18transform_iteratorI6div_opNS6_17counting_iteratorIlNS6_11use_defaultESF_SF_EESF_SF_EENSC_I6mod_opSG_SF_SF_EENS6_6detail15normal_iteratorINS6_10device_ptrIlEEEESO_PmS8_NS6_8equal_toIlEEEE10hipError_tPvRmT2_T3_mT4_T5_T6_T7_T8_P12ihipStream_tbENKUlT_T0_E_clISt17integral_constantIbLb1EES18_IbLb0EEEEDaS14_S15_EUlS14_E_NS1_11comp_targetILNS1_3genE4ELNS1_11target_archE910ELNS1_3gpuE8ELNS1_3repE0EEENS1_30default_config_static_selectorELNS0_4arch9wavefront6targetE1EEEvT1_: ; @_ZN7rocprim17ROCPRIM_400000_NS6detail17trampoline_kernelINS0_14default_configENS1_29reduce_by_key_config_selectorIllN6thrust23THRUST_200600_302600_NS4plusIlEEEEZZNS1_33reduce_by_key_impl_wrapped_configILNS1_25lookback_scan_determinismE0ES3_S9_NS6_18transform_iteratorI6div_opNS6_17counting_iteratorIlNS6_11use_defaultESF_SF_EESF_SF_EENSC_I6mod_opSG_SF_SF_EENS6_6detail15normal_iteratorINS6_10device_ptrIlEEEESO_PmS8_NS6_8equal_toIlEEEE10hipError_tPvRmT2_T3_mT4_T5_T6_T7_T8_P12ihipStream_tbENKUlT_T0_E_clISt17integral_constantIbLb1EES18_IbLb0EEEEDaS14_S15_EUlS14_E_NS1_11comp_targetILNS1_3genE4ELNS1_11target_archE910ELNS1_3gpuE8ELNS1_3repE0EEENS1_30default_config_static_selectorELNS0_4arch9wavefront6targetE1EEEvT1_
; %bb.0:
	s_load_dwordx16 s[52:67], s[4:5], 0x48
	s_load_dwordx16 s[36:51], s[4:5], 0x0
	s_mul_i32 s2, s6, 0xf00
	s_waitcnt lgkmcnt(0)
	s_mul_i32 s0, s60, s59
	s_mul_hi_u32 s1, s60, s58
	s_add_i32 s0, s1, s0
	s_mul_i32 s1, s61, s58
	s_add_i32 s0, s0, s1
	s_add_u32 s2, s40, s2
	s_addc_u32 s3, s41, 0
	s_add_u32 s7, s2, s36
	s_addc_u32 s33, s3, s37
	s_add_u32 s74, s2, s42
	s_mul_i32 s1, s60, s58
	s_addc_u32 s75, s3, s43
	s_add_u32 s40, s1, s6
	s_addc_u32 s41, s0, 0
	s_add_u32 s2, s62, -1
	s_addc_u32 s3, s63, -1
	s_cmp_eq_u64 s[40:41], s[2:3]
	s_cselect_b64 s[36:37], -1, 0
	s_cmp_lg_u64 s[40:41], s[2:3]
	s_mov_b64 s[0:1], -1
	s_cselect_b64 s[42:43], -1, 0
	s_mul_i32 s76, s2, 0xfffff100
	s_and_b64 vcc, exec, s[36:37]
	s_cbranch_vccnz .LBB1154_122
; %bb.1:
	v_mov_b32_e32 v1, s33
	v_add_co_u32_e32 v30, vcc, s7, v0
	v_addc_co_u32_e32 v1, vcc, 0, v1, vcc
	v_mov_b32_e32 v2, 0
	v_or_b32_e32 v3, s39, v1
	v_cmp_ne_u64_e32 vcc, 0, v[2:3]
                                        ; implicit-def: $vgpr2_vgpr3
	s_and_saveexec_b64 s[0:1], vcc
	s_xor_b64 s[2:3], exec, s[0:1]
	s_cbranch_execz .LBB1154_3
; %bb.2:
	s_ashr_i32 s8, s39, 31
	s_add_u32 s0, s38, s8
	s_mov_b32 s9, s8
	s_addc_u32 s1, s39, s8
	s_xor_b64 s[10:11], s[0:1], s[8:9]
	v_cvt_f32_u32_e32 v2, s10
	v_cvt_f32_u32_e32 v3, s11
	s_sub_u32 s0, 0, s10
	s_subb_u32 s1, 0, s11
	v_madmk_f32 v2, v3, 0x4f800000, v2
	v_rcp_f32_e32 v2, v2
	v_mul_f32_e32 v2, 0x5f7ffffc, v2
	v_mul_f32_e32 v3, 0x2f800000, v2
	v_trunc_f32_e32 v3, v3
	v_madmk_f32 v2, v3, 0xcf800000, v2
	v_cvt_u32_f32_e32 v3, v3
	v_cvt_u32_f32_e32 v2, v2
	v_mul_lo_u32 v4, s0, v3
	v_mul_hi_u32 v6, s0, v2
	v_mul_lo_u32 v5, s1, v2
	v_add_u32_e32 v4, v6, v4
	v_mul_lo_u32 v7, s0, v2
	v_add_u32_e32 v4, v4, v5
	v_mul_lo_u32 v6, v2, v4
	v_mul_hi_u32 v8, v2, v7
	v_mul_hi_u32 v5, v2, v4
	v_add_co_u32_e32 v6, vcc, v8, v6
	v_addc_co_u32_e32 v5, vcc, 0, v5, vcc
	v_mul_hi_u32 v9, v3, v7
	v_mul_lo_u32 v7, v3, v7
	v_add_co_u32_e32 v6, vcc, v6, v7
	v_mul_hi_u32 v8, v3, v4
	v_addc_co_u32_e32 v5, vcc, v5, v9, vcc
	v_addc_co_u32_e32 v6, vcc, 0, v8, vcc
	v_mul_lo_u32 v4, v3, v4
	v_add_co_u32_e32 v4, vcc, v5, v4
	v_addc_co_u32_e32 v5, vcc, 0, v6, vcc
	v_add_co_u32_e32 v2, vcc, v2, v4
	v_addc_co_u32_e32 v3, vcc, v3, v5, vcc
	v_mul_lo_u32 v4, s0, v3
	v_mul_hi_u32 v5, s0, v2
	v_add_u32_e32 v4, v5, v4
	v_mul_lo_u32 v5, s1, v2
	v_add_u32_e32 v4, v4, v5
	v_mul_lo_u32 v6, s0, v2
	v_mul_hi_u32 v7, v3, v6
	v_mul_lo_u32 v8, v3, v6
	v_mul_lo_u32 v10, v2, v4
	v_mul_hi_u32 v6, v2, v6
	v_mul_hi_u32 v9, v2, v4
	v_add_co_u32_e32 v6, vcc, v6, v10
	v_addc_co_u32_e32 v9, vcc, 0, v9, vcc
	v_add_co_u32_e32 v6, vcc, v6, v8
	v_mul_hi_u32 v5, v3, v4
	v_addc_co_u32_e32 v6, vcc, v9, v7, vcc
	v_addc_co_u32_e32 v5, vcc, 0, v5, vcc
	v_mul_lo_u32 v4, v3, v4
	v_add_co_u32_e32 v4, vcc, v6, v4
	v_addc_co_u32_e32 v5, vcc, 0, v5, vcc
	v_add_co_u32_e32 v4, vcc, v2, v4
	v_addc_co_u32_e32 v5, vcc, v3, v5, vcc
	v_ashrrev_i32_e32 v6, 31, v1
	v_add_co_u32_e32 v2, vcc, v30, v6
	v_addc_co_u32_e32 v3, vcc, v1, v6, vcc
	v_xor_b32_e32 v8, v2, v6
	v_xor_b32_e32 v7, v3, v6
	v_mad_u64_u32 v[2:3], s[0:1], v8, v5, 0
	v_mul_hi_u32 v9, v8, v4
	v_add_co_u32_e32 v9, vcc, v9, v2
	v_addc_co_u32_e32 v10, vcc, 0, v3, vcc
	v_mad_u64_u32 v[2:3], s[0:1], v7, v5, 0
	v_mad_u64_u32 v[4:5], s[0:1], v7, v4, 0
	v_add_co_u32_e32 v4, vcc, v9, v4
	v_addc_co_u32_e32 v4, vcc, v10, v5, vcc
	v_addc_co_u32_e32 v3, vcc, 0, v3, vcc
	v_add_co_u32_e32 v4, vcc, v4, v2
	v_addc_co_u32_e32 v5, vcc, 0, v3, vcc
	v_mul_lo_u32 v9, s11, v4
	v_mul_lo_u32 v10, s10, v5
	v_mad_u64_u32 v[2:3], s[0:1], s10, v4, 0
	v_add3_u32 v3, v3, v10, v9
	v_sub_u32_e32 v9, v7, v3
	v_mov_b32_e32 v10, s11
	v_sub_co_u32_e32 v2, vcc, v8, v2
	v_subb_co_u32_e64 v8, s[0:1], v9, v10, vcc
	v_subrev_co_u32_e64 v9, s[0:1], s10, v2
	v_subbrev_co_u32_e64 v8, s[0:1], 0, v8, s[0:1]
	v_cmp_le_u32_e64 s[0:1], s11, v8
	v_cndmask_b32_e64 v10, 0, -1, s[0:1]
	v_cmp_le_u32_e64 s[0:1], s10, v9
	v_cndmask_b32_e64 v9, 0, -1, s[0:1]
	v_cmp_eq_u32_e64 s[0:1], s11, v8
	v_cndmask_b32_e64 v8, v10, v9, s[0:1]
	v_add_co_u32_e64 v9, s[0:1], 2, v4
	v_subb_co_u32_e32 v3, vcc, v7, v3, vcc
	v_addc_co_u32_e64 v10, s[0:1], 0, v5, s[0:1]
	v_cmp_le_u32_e32 vcc, s11, v3
	v_add_co_u32_e64 v11, s[0:1], 1, v4
	v_cndmask_b32_e64 v7, 0, -1, vcc
	v_cmp_le_u32_e32 vcc, s10, v2
	v_addc_co_u32_e64 v12, s[0:1], 0, v5, s[0:1]
	v_cndmask_b32_e64 v2, 0, -1, vcc
	v_cmp_eq_u32_e32 vcc, s11, v3
	v_cmp_ne_u32_e64 s[0:1], 0, v8
	v_cndmask_b32_e32 v2, v7, v2, vcc
	v_cndmask_b32_e64 v8, v12, v10, s[0:1]
	v_cmp_ne_u32_e32 vcc, 0, v2
	v_cndmask_b32_e64 v3, v11, v9, s[0:1]
	v_cndmask_b32_e32 v2, v5, v8, vcc
	v_cndmask_b32_e32 v3, v4, v3, vcc
	v_xor_b32_e32 v4, s8, v6
	v_xor_b32_e32 v5, v2, v4
	;; [unrolled: 1-line block ×3, first 2 shown]
	v_sub_co_u32_e32 v2, vcc, v2, v4
	v_subb_co_u32_e32 v3, vcc, v5, v4, vcc
.LBB1154_3:
	s_andn2_saveexec_b64 s[0:1], s[2:3]
	s_cbranch_execz .LBB1154_5
; %bb.4:
	v_cvt_f32_u32_e32 v2, s38
	s_sub_i32 s2, 0, s38
	v_rcp_iflag_f32_e32 v2, v2
	v_mul_f32_e32 v2, 0x4f7ffffe, v2
	v_cvt_u32_f32_e32 v2, v2
	v_mul_lo_u32 v3, s2, v2
	v_mul_hi_u32 v3, v2, v3
	v_add_u32_e32 v2, v2, v3
	v_mul_hi_u32 v2, v30, v2
	v_mul_lo_u32 v3, v2, s38
	v_sub_u32_e32 v3, v30, v3
	v_add_u32_e32 v4, 1, v2
	v_subrev_u32_e32 v5, s38, v3
	v_cmp_le_u32_e32 vcc, s38, v3
	v_cndmask_b32_e32 v3, v3, v5, vcc
	v_cndmask_b32_e32 v2, v2, v4, vcc
	v_add_u32_e32 v4, 1, v2
	v_cmp_le_u32_e32 vcc, s38, v3
	v_cndmask_b32_e32 v2, v2, v4, vcc
	v_mov_b32_e32 v3, 0
.LBB1154_5:
	s_or_b64 exec, exec, s[0:1]
	v_add_co_u32_e32 v6, vcc, 0x100, v30
	v_addc_co_u32_e32 v7, vcc, 0, v1, vcc
	v_or_b32_e32 v5, s39, v7
	v_mov_b32_e32 v4, 0
	v_cmp_ne_u64_e32 vcc, 0, v[4:5]
                                        ; implicit-def: $vgpr4_vgpr5
	s_and_saveexec_b64 s[0:1], vcc
	s_xor_b64 s[2:3], exec, s[0:1]
	s_cbranch_execz .LBB1154_7
; %bb.6:
	s_ashr_i32 s8, s39, 31
	s_add_u32 s0, s38, s8
	s_mov_b32 s9, s8
	s_addc_u32 s1, s39, s8
	s_xor_b64 s[10:11], s[0:1], s[8:9]
	v_cvt_f32_u32_e32 v4, s10
	v_cvt_f32_u32_e32 v5, s11
	s_sub_u32 s0, 0, s10
	s_subb_u32 s1, 0, s11
	v_madmk_f32 v4, v5, 0x4f800000, v4
	v_rcp_f32_e32 v4, v4
	v_mul_f32_e32 v4, 0x5f7ffffc, v4
	v_mul_f32_e32 v5, 0x2f800000, v4
	v_trunc_f32_e32 v5, v5
	v_madmk_f32 v4, v5, 0xcf800000, v4
	v_cvt_u32_f32_e32 v5, v5
	v_cvt_u32_f32_e32 v4, v4
	v_mul_lo_u32 v8, s0, v5
	v_mul_hi_u32 v10, s0, v4
	v_mul_lo_u32 v9, s1, v4
	v_add_u32_e32 v8, v10, v8
	v_mul_lo_u32 v11, s0, v4
	v_add_u32_e32 v8, v8, v9
	v_mul_lo_u32 v10, v4, v8
	v_mul_hi_u32 v12, v4, v11
	v_mul_hi_u32 v9, v4, v8
	v_add_co_u32_e32 v10, vcc, v12, v10
	v_addc_co_u32_e32 v9, vcc, 0, v9, vcc
	v_mul_hi_u32 v13, v5, v11
	v_mul_lo_u32 v11, v5, v11
	v_add_co_u32_e32 v10, vcc, v10, v11
	v_mul_hi_u32 v12, v5, v8
	v_addc_co_u32_e32 v9, vcc, v9, v13, vcc
	v_addc_co_u32_e32 v10, vcc, 0, v12, vcc
	v_mul_lo_u32 v8, v5, v8
	v_add_co_u32_e32 v8, vcc, v9, v8
	v_addc_co_u32_e32 v9, vcc, 0, v10, vcc
	v_add_co_u32_e32 v4, vcc, v4, v8
	v_addc_co_u32_e32 v5, vcc, v5, v9, vcc
	v_mul_lo_u32 v8, s0, v5
	v_mul_hi_u32 v9, s0, v4
	v_add_u32_e32 v8, v9, v8
	v_mul_lo_u32 v9, s1, v4
	v_add_u32_e32 v8, v8, v9
	v_mul_lo_u32 v10, s0, v4
	v_mul_hi_u32 v11, v5, v10
	v_mul_lo_u32 v12, v5, v10
	v_mul_lo_u32 v14, v4, v8
	v_mul_hi_u32 v10, v4, v10
	v_mul_hi_u32 v13, v4, v8
	v_add_co_u32_e32 v10, vcc, v10, v14
	v_addc_co_u32_e32 v13, vcc, 0, v13, vcc
	v_add_co_u32_e32 v10, vcc, v10, v12
	v_mul_hi_u32 v9, v5, v8
	v_addc_co_u32_e32 v10, vcc, v13, v11, vcc
	v_addc_co_u32_e32 v9, vcc, 0, v9, vcc
	v_mul_lo_u32 v8, v5, v8
	v_add_co_u32_e32 v8, vcc, v10, v8
	v_addc_co_u32_e32 v9, vcc, 0, v9, vcc
	v_add_co_u32_e32 v8, vcc, v4, v8
	v_addc_co_u32_e32 v9, vcc, v5, v9, vcc
	v_ashrrev_i32_e32 v10, 31, v7
	v_add_co_u32_e32 v4, vcc, v6, v10
	v_addc_co_u32_e32 v5, vcc, v7, v10, vcc
	v_xor_b32_e32 v12, v4, v10
	v_xor_b32_e32 v11, v5, v10
	v_mad_u64_u32 v[4:5], s[0:1], v12, v9, 0
	v_mul_hi_u32 v6, v12, v8
	v_add_co_u32_e32 v13, vcc, v6, v4
	v_addc_co_u32_e32 v14, vcc, 0, v5, vcc
	v_mad_u64_u32 v[6:7], s[0:1], v11, v8, 0
	v_add_co_u32_e32 v6, vcc, v13, v6
	v_mad_u64_u32 v[4:5], s[0:1], v11, v9, 0
	v_addc_co_u32_e32 v6, vcc, v14, v7, vcc
	v_addc_co_u32_e32 v5, vcc, 0, v5, vcc
	v_add_co_u32_e32 v6, vcc, v6, v4
	v_addc_co_u32_e32 v7, vcc, 0, v5, vcc
	v_mul_lo_u32 v8, s11, v6
	v_mul_lo_u32 v9, s10, v7
	v_mad_u64_u32 v[4:5], s[0:1], s10, v6, 0
	v_add3_u32 v5, v5, v9, v8
	v_sub_u32_e32 v8, v11, v5
	v_mov_b32_e32 v9, s11
	v_sub_co_u32_e32 v4, vcc, v12, v4
	v_subb_co_u32_e64 v8, s[0:1], v8, v9, vcc
	v_subrev_co_u32_e64 v9, s[0:1], s10, v4
	v_subbrev_co_u32_e64 v8, s[0:1], 0, v8, s[0:1]
	v_cmp_le_u32_e64 s[0:1], s11, v8
	v_cndmask_b32_e64 v12, 0, -1, s[0:1]
	v_cmp_le_u32_e64 s[0:1], s10, v9
	v_cndmask_b32_e64 v9, 0, -1, s[0:1]
	v_cmp_eq_u32_e64 s[0:1], s11, v8
	v_cndmask_b32_e64 v8, v12, v9, s[0:1]
	v_add_co_u32_e64 v9, s[0:1], 2, v6
	v_subb_co_u32_e32 v5, vcc, v11, v5, vcc
	v_addc_co_u32_e64 v12, s[0:1], 0, v7, s[0:1]
	v_cmp_le_u32_e32 vcc, s11, v5
	v_add_co_u32_e64 v13, s[0:1], 1, v6
	v_cndmask_b32_e64 v11, 0, -1, vcc
	v_cmp_le_u32_e32 vcc, s10, v4
	v_addc_co_u32_e64 v14, s[0:1], 0, v7, s[0:1]
	v_cndmask_b32_e64 v4, 0, -1, vcc
	v_cmp_eq_u32_e32 vcc, s11, v5
	v_cmp_ne_u32_e64 s[0:1], 0, v8
	v_cndmask_b32_e32 v4, v11, v4, vcc
	v_cndmask_b32_e64 v8, v14, v12, s[0:1]
	v_cmp_ne_u32_e32 vcc, 0, v4
	v_cndmask_b32_e64 v5, v13, v9, s[0:1]
	v_cndmask_b32_e32 v4, v7, v8, vcc
	v_cndmask_b32_e32 v5, v6, v5, vcc
	v_xor_b32_e32 v6, s8, v10
	v_xor_b32_e32 v7, v4, v6
	;; [unrolled: 1-line block ×3, first 2 shown]
	v_sub_co_u32_e32 v4, vcc, v4, v6
	v_subb_co_u32_e32 v5, vcc, v7, v6, vcc
                                        ; implicit-def: $vgpr6
.LBB1154_7:
	s_andn2_saveexec_b64 s[0:1], s[2:3]
	s_cbranch_execz .LBB1154_9
; %bb.8:
	v_cvt_f32_u32_e32 v4, s38
	s_sub_i32 s2, 0, s38
	v_rcp_iflag_f32_e32 v4, v4
	v_mul_f32_e32 v4, 0x4f7ffffe, v4
	v_cvt_u32_f32_e32 v4, v4
	v_mul_lo_u32 v5, s2, v4
	v_mul_hi_u32 v5, v4, v5
	v_add_u32_e32 v4, v4, v5
	v_mul_hi_u32 v4, v6, v4
	v_mul_lo_u32 v5, v4, s38
	v_sub_u32_e32 v5, v6, v5
	v_add_u32_e32 v7, 1, v4
	v_subrev_u32_e32 v6, s38, v5
	v_cmp_le_u32_e32 vcc, s38, v5
	v_cndmask_b32_e32 v5, v5, v6, vcc
	v_cndmask_b32_e32 v4, v4, v7, vcc
	v_add_u32_e32 v6, 1, v4
	v_cmp_le_u32_e32 vcc, s38, v5
	v_cndmask_b32_e32 v4, v4, v6, vcc
	v_mov_b32_e32 v5, 0
.LBB1154_9:
	s_or_b64 exec, exec, s[0:1]
	v_add_co_u32_e32 v8, vcc, 0x200, v30
	v_addc_co_u32_e32 v9, vcc, 0, v1, vcc
	v_or_b32_e32 v7, s39, v9
	v_mov_b32_e32 v6, 0
	v_cmp_ne_u64_e32 vcc, 0, v[6:7]
                                        ; implicit-def: $vgpr6_vgpr7
	s_and_saveexec_b64 s[0:1], vcc
	s_xor_b64 s[2:3], exec, s[0:1]
	s_cbranch_execz .LBB1154_11
; %bb.10:
	s_ashr_i32 s8, s39, 31
	s_add_u32 s0, s38, s8
	s_mov_b32 s9, s8
	s_addc_u32 s1, s39, s8
	s_xor_b64 s[10:11], s[0:1], s[8:9]
	v_cvt_f32_u32_e32 v6, s10
	v_cvt_f32_u32_e32 v7, s11
	s_sub_u32 s0, 0, s10
	s_subb_u32 s1, 0, s11
	v_madmk_f32 v6, v7, 0x4f800000, v6
	v_rcp_f32_e32 v6, v6
	v_mul_f32_e32 v6, 0x5f7ffffc, v6
	v_mul_f32_e32 v7, 0x2f800000, v6
	v_trunc_f32_e32 v7, v7
	v_madmk_f32 v6, v7, 0xcf800000, v6
	v_cvt_u32_f32_e32 v7, v7
	v_cvt_u32_f32_e32 v6, v6
	v_mul_lo_u32 v10, s0, v7
	v_mul_hi_u32 v12, s0, v6
	v_mul_lo_u32 v11, s1, v6
	v_add_u32_e32 v10, v12, v10
	v_mul_lo_u32 v13, s0, v6
	v_add_u32_e32 v10, v10, v11
	v_mul_lo_u32 v12, v6, v10
	v_mul_hi_u32 v14, v6, v13
	v_mul_hi_u32 v11, v6, v10
	v_add_co_u32_e32 v12, vcc, v14, v12
	v_addc_co_u32_e32 v11, vcc, 0, v11, vcc
	v_mul_hi_u32 v15, v7, v13
	v_mul_lo_u32 v13, v7, v13
	v_add_co_u32_e32 v12, vcc, v12, v13
	v_mul_hi_u32 v14, v7, v10
	v_addc_co_u32_e32 v11, vcc, v11, v15, vcc
	v_addc_co_u32_e32 v12, vcc, 0, v14, vcc
	v_mul_lo_u32 v10, v7, v10
	v_add_co_u32_e32 v10, vcc, v11, v10
	v_addc_co_u32_e32 v11, vcc, 0, v12, vcc
	v_add_co_u32_e32 v6, vcc, v6, v10
	v_addc_co_u32_e32 v7, vcc, v7, v11, vcc
	v_mul_lo_u32 v10, s0, v7
	v_mul_hi_u32 v11, s0, v6
	v_add_u32_e32 v10, v11, v10
	v_mul_lo_u32 v11, s1, v6
	v_add_u32_e32 v10, v10, v11
	v_mul_lo_u32 v12, s0, v6
	v_mul_hi_u32 v13, v7, v12
	v_mul_lo_u32 v14, v7, v12
	v_mul_lo_u32 v16, v6, v10
	v_mul_hi_u32 v12, v6, v12
	v_mul_hi_u32 v15, v6, v10
	v_add_co_u32_e32 v12, vcc, v12, v16
	v_addc_co_u32_e32 v15, vcc, 0, v15, vcc
	v_add_co_u32_e32 v12, vcc, v12, v14
	v_mul_hi_u32 v11, v7, v10
	v_addc_co_u32_e32 v12, vcc, v15, v13, vcc
	v_addc_co_u32_e32 v11, vcc, 0, v11, vcc
	v_mul_lo_u32 v10, v7, v10
	v_add_co_u32_e32 v10, vcc, v12, v10
	v_addc_co_u32_e32 v11, vcc, 0, v11, vcc
	v_add_co_u32_e32 v10, vcc, v6, v10
	v_addc_co_u32_e32 v11, vcc, v7, v11, vcc
	v_ashrrev_i32_e32 v12, 31, v9
	v_add_co_u32_e32 v6, vcc, v8, v12
	v_addc_co_u32_e32 v7, vcc, v9, v12, vcc
	v_xor_b32_e32 v14, v6, v12
	v_xor_b32_e32 v13, v7, v12
	v_mad_u64_u32 v[6:7], s[0:1], v14, v11, 0
	v_mul_hi_u32 v8, v14, v10
	v_add_co_u32_e32 v15, vcc, v8, v6
	v_addc_co_u32_e32 v16, vcc, 0, v7, vcc
	v_mad_u64_u32 v[8:9], s[0:1], v13, v10, 0
	v_add_co_u32_e32 v8, vcc, v15, v8
	v_mad_u64_u32 v[6:7], s[0:1], v13, v11, 0
	v_addc_co_u32_e32 v8, vcc, v16, v9, vcc
	v_addc_co_u32_e32 v7, vcc, 0, v7, vcc
	v_add_co_u32_e32 v8, vcc, v8, v6
	v_addc_co_u32_e32 v9, vcc, 0, v7, vcc
	v_mul_lo_u32 v10, s11, v8
	v_mul_lo_u32 v11, s10, v9
	v_mad_u64_u32 v[6:7], s[0:1], s10, v8, 0
	v_add3_u32 v7, v7, v11, v10
	v_sub_u32_e32 v10, v13, v7
	v_mov_b32_e32 v11, s11
	v_sub_co_u32_e32 v6, vcc, v14, v6
	v_subb_co_u32_e64 v10, s[0:1], v10, v11, vcc
	v_subrev_co_u32_e64 v11, s[0:1], s10, v6
	v_subbrev_co_u32_e64 v10, s[0:1], 0, v10, s[0:1]
	v_cmp_le_u32_e64 s[0:1], s11, v10
	v_cndmask_b32_e64 v14, 0, -1, s[0:1]
	v_cmp_le_u32_e64 s[0:1], s10, v11
	v_cndmask_b32_e64 v11, 0, -1, s[0:1]
	v_cmp_eq_u32_e64 s[0:1], s11, v10
	v_cndmask_b32_e64 v10, v14, v11, s[0:1]
	v_add_co_u32_e64 v11, s[0:1], 2, v8
	v_subb_co_u32_e32 v7, vcc, v13, v7, vcc
	v_addc_co_u32_e64 v14, s[0:1], 0, v9, s[0:1]
	v_cmp_le_u32_e32 vcc, s11, v7
	v_add_co_u32_e64 v15, s[0:1], 1, v8
	v_cndmask_b32_e64 v13, 0, -1, vcc
	v_cmp_le_u32_e32 vcc, s10, v6
	v_addc_co_u32_e64 v16, s[0:1], 0, v9, s[0:1]
	v_cndmask_b32_e64 v6, 0, -1, vcc
	v_cmp_eq_u32_e32 vcc, s11, v7
	v_cmp_ne_u32_e64 s[0:1], 0, v10
	v_cndmask_b32_e32 v6, v13, v6, vcc
	v_cndmask_b32_e64 v10, v16, v14, s[0:1]
	v_cmp_ne_u32_e32 vcc, 0, v6
	v_cndmask_b32_e64 v7, v15, v11, s[0:1]
	v_cndmask_b32_e32 v6, v9, v10, vcc
	v_cndmask_b32_e32 v7, v8, v7, vcc
	v_xor_b32_e32 v8, s8, v12
	v_xor_b32_e32 v9, v6, v8
	;; [unrolled: 1-line block ×3, first 2 shown]
	v_sub_co_u32_e32 v6, vcc, v6, v8
	v_subb_co_u32_e32 v7, vcc, v9, v8, vcc
                                        ; implicit-def: $vgpr8
.LBB1154_11:
	s_andn2_saveexec_b64 s[0:1], s[2:3]
	s_cbranch_execz .LBB1154_13
; %bb.12:
	v_cvt_f32_u32_e32 v6, s38
	s_sub_i32 s2, 0, s38
	v_rcp_iflag_f32_e32 v6, v6
	v_mul_f32_e32 v6, 0x4f7ffffe, v6
	v_cvt_u32_f32_e32 v6, v6
	v_mul_lo_u32 v7, s2, v6
	v_mul_hi_u32 v7, v6, v7
	v_add_u32_e32 v6, v6, v7
	v_mul_hi_u32 v6, v8, v6
	v_mul_lo_u32 v7, v6, s38
	v_sub_u32_e32 v7, v8, v7
	v_add_u32_e32 v9, 1, v6
	v_subrev_u32_e32 v8, s38, v7
	v_cmp_le_u32_e32 vcc, s38, v7
	v_cndmask_b32_e32 v7, v7, v8, vcc
	v_cndmask_b32_e32 v6, v6, v9, vcc
	v_add_u32_e32 v8, 1, v6
	v_cmp_le_u32_e32 vcc, s38, v7
	v_cndmask_b32_e32 v6, v6, v8, vcc
	v_mov_b32_e32 v7, 0
.LBB1154_13:
	s_or_b64 exec, exec, s[0:1]
	v_add_co_u32_e32 v10, vcc, 0x300, v30
	v_addc_co_u32_e32 v11, vcc, 0, v1, vcc
	v_or_b32_e32 v9, s39, v11
	v_mov_b32_e32 v8, 0
	v_cmp_ne_u64_e32 vcc, 0, v[8:9]
                                        ; implicit-def: $vgpr8_vgpr9
	s_and_saveexec_b64 s[0:1], vcc
	s_xor_b64 s[2:3], exec, s[0:1]
	s_cbranch_execz .LBB1154_15
; %bb.14:
	s_ashr_i32 s8, s39, 31
	s_add_u32 s0, s38, s8
	s_mov_b32 s9, s8
	s_addc_u32 s1, s39, s8
	s_xor_b64 s[10:11], s[0:1], s[8:9]
	v_cvt_f32_u32_e32 v8, s10
	v_cvt_f32_u32_e32 v9, s11
	s_sub_u32 s0, 0, s10
	s_subb_u32 s1, 0, s11
	v_madmk_f32 v8, v9, 0x4f800000, v8
	v_rcp_f32_e32 v8, v8
	v_mul_f32_e32 v8, 0x5f7ffffc, v8
	v_mul_f32_e32 v9, 0x2f800000, v8
	v_trunc_f32_e32 v9, v9
	v_madmk_f32 v8, v9, 0xcf800000, v8
	v_cvt_u32_f32_e32 v9, v9
	v_cvt_u32_f32_e32 v8, v8
	v_mul_lo_u32 v12, s0, v9
	v_mul_hi_u32 v14, s0, v8
	v_mul_lo_u32 v13, s1, v8
	v_add_u32_e32 v12, v14, v12
	v_mul_lo_u32 v15, s0, v8
	v_add_u32_e32 v12, v12, v13
	v_mul_lo_u32 v14, v8, v12
	v_mul_hi_u32 v16, v8, v15
	v_mul_hi_u32 v13, v8, v12
	v_add_co_u32_e32 v14, vcc, v16, v14
	v_addc_co_u32_e32 v13, vcc, 0, v13, vcc
	v_mul_hi_u32 v17, v9, v15
	v_mul_lo_u32 v15, v9, v15
	v_add_co_u32_e32 v14, vcc, v14, v15
	v_mul_hi_u32 v16, v9, v12
	v_addc_co_u32_e32 v13, vcc, v13, v17, vcc
	v_addc_co_u32_e32 v14, vcc, 0, v16, vcc
	v_mul_lo_u32 v12, v9, v12
	v_add_co_u32_e32 v12, vcc, v13, v12
	v_addc_co_u32_e32 v13, vcc, 0, v14, vcc
	v_add_co_u32_e32 v8, vcc, v8, v12
	v_addc_co_u32_e32 v9, vcc, v9, v13, vcc
	v_mul_lo_u32 v12, s0, v9
	v_mul_hi_u32 v13, s0, v8
	v_add_u32_e32 v12, v13, v12
	v_mul_lo_u32 v13, s1, v8
	v_add_u32_e32 v12, v12, v13
	v_mul_lo_u32 v14, s0, v8
	v_mul_hi_u32 v15, v9, v14
	v_mul_lo_u32 v16, v9, v14
	v_mul_lo_u32 v18, v8, v12
	v_mul_hi_u32 v14, v8, v14
	v_mul_hi_u32 v17, v8, v12
	v_add_co_u32_e32 v14, vcc, v14, v18
	v_addc_co_u32_e32 v17, vcc, 0, v17, vcc
	v_add_co_u32_e32 v14, vcc, v14, v16
	v_mul_hi_u32 v13, v9, v12
	v_addc_co_u32_e32 v14, vcc, v17, v15, vcc
	v_addc_co_u32_e32 v13, vcc, 0, v13, vcc
	v_mul_lo_u32 v12, v9, v12
	v_add_co_u32_e32 v12, vcc, v14, v12
	v_addc_co_u32_e32 v13, vcc, 0, v13, vcc
	v_add_co_u32_e32 v12, vcc, v8, v12
	v_addc_co_u32_e32 v13, vcc, v9, v13, vcc
	v_ashrrev_i32_e32 v14, 31, v11
	v_add_co_u32_e32 v8, vcc, v10, v14
	v_addc_co_u32_e32 v9, vcc, v11, v14, vcc
	v_xor_b32_e32 v16, v8, v14
	v_xor_b32_e32 v15, v9, v14
	v_mad_u64_u32 v[8:9], s[0:1], v16, v13, 0
	v_mul_hi_u32 v10, v16, v12
	v_add_co_u32_e32 v17, vcc, v10, v8
	v_addc_co_u32_e32 v18, vcc, 0, v9, vcc
	v_mad_u64_u32 v[10:11], s[0:1], v15, v12, 0
	v_add_co_u32_e32 v10, vcc, v17, v10
	v_mad_u64_u32 v[8:9], s[0:1], v15, v13, 0
	v_addc_co_u32_e32 v10, vcc, v18, v11, vcc
	v_addc_co_u32_e32 v9, vcc, 0, v9, vcc
	v_add_co_u32_e32 v10, vcc, v10, v8
	v_addc_co_u32_e32 v11, vcc, 0, v9, vcc
	v_mul_lo_u32 v12, s11, v10
	v_mul_lo_u32 v13, s10, v11
	v_mad_u64_u32 v[8:9], s[0:1], s10, v10, 0
	v_add3_u32 v9, v9, v13, v12
	v_sub_u32_e32 v12, v15, v9
	v_mov_b32_e32 v13, s11
	v_sub_co_u32_e32 v8, vcc, v16, v8
	v_subb_co_u32_e64 v12, s[0:1], v12, v13, vcc
	v_subrev_co_u32_e64 v13, s[0:1], s10, v8
	v_subbrev_co_u32_e64 v12, s[0:1], 0, v12, s[0:1]
	v_cmp_le_u32_e64 s[0:1], s11, v12
	v_cndmask_b32_e64 v16, 0, -1, s[0:1]
	v_cmp_le_u32_e64 s[0:1], s10, v13
	v_cndmask_b32_e64 v13, 0, -1, s[0:1]
	v_cmp_eq_u32_e64 s[0:1], s11, v12
	v_cndmask_b32_e64 v12, v16, v13, s[0:1]
	v_add_co_u32_e64 v13, s[0:1], 2, v10
	v_subb_co_u32_e32 v9, vcc, v15, v9, vcc
	v_addc_co_u32_e64 v16, s[0:1], 0, v11, s[0:1]
	v_cmp_le_u32_e32 vcc, s11, v9
	v_add_co_u32_e64 v17, s[0:1], 1, v10
	v_cndmask_b32_e64 v15, 0, -1, vcc
	v_cmp_le_u32_e32 vcc, s10, v8
	v_addc_co_u32_e64 v18, s[0:1], 0, v11, s[0:1]
	v_cndmask_b32_e64 v8, 0, -1, vcc
	v_cmp_eq_u32_e32 vcc, s11, v9
	v_cmp_ne_u32_e64 s[0:1], 0, v12
	v_cndmask_b32_e32 v8, v15, v8, vcc
	v_cndmask_b32_e64 v12, v18, v16, s[0:1]
	v_cmp_ne_u32_e32 vcc, 0, v8
	v_cndmask_b32_e64 v9, v17, v13, s[0:1]
	v_cndmask_b32_e32 v8, v11, v12, vcc
	v_cndmask_b32_e32 v9, v10, v9, vcc
	v_xor_b32_e32 v10, s8, v14
	v_xor_b32_e32 v11, v8, v10
	;; [unrolled: 1-line block ×3, first 2 shown]
	v_sub_co_u32_e32 v8, vcc, v8, v10
	v_subb_co_u32_e32 v9, vcc, v11, v10, vcc
                                        ; implicit-def: $vgpr10
.LBB1154_15:
	s_andn2_saveexec_b64 s[0:1], s[2:3]
	s_cbranch_execz .LBB1154_17
; %bb.16:
	v_cvt_f32_u32_e32 v8, s38
	s_sub_i32 s2, 0, s38
	v_rcp_iflag_f32_e32 v8, v8
	v_mul_f32_e32 v8, 0x4f7ffffe, v8
	v_cvt_u32_f32_e32 v8, v8
	v_mul_lo_u32 v9, s2, v8
	v_mul_hi_u32 v9, v8, v9
	v_add_u32_e32 v8, v8, v9
	v_mul_hi_u32 v8, v10, v8
	v_mul_lo_u32 v9, v8, s38
	v_sub_u32_e32 v9, v10, v9
	v_add_u32_e32 v11, 1, v8
	v_subrev_u32_e32 v10, s38, v9
	v_cmp_le_u32_e32 vcc, s38, v9
	v_cndmask_b32_e32 v9, v9, v10, vcc
	v_cndmask_b32_e32 v8, v8, v11, vcc
	v_add_u32_e32 v10, 1, v8
	v_cmp_le_u32_e32 vcc, s38, v9
	v_cndmask_b32_e32 v8, v8, v10, vcc
	v_mov_b32_e32 v9, 0
.LBB1154_17:
	s_or_b64 exec, exec, s[0:1]
	v_add_co_u32_e32 v12, vcc, 0x400, v30
	v_addc_co_u32_e32 v13, vcc, 0, v1, vcc
	v_or_b32_e32 v11, s39, v13
	v_mov_b32_e32 v10, 0
	v_cmp_ne_u64_e32 vcc, 0, v[10:11]
                                        ; implicit-def: $vgpr10_vgpr11
	s_and_saveexec_b64 s[0:1], vcc
	s_xor_b64 s[2:3], exec, s[0:1]
	s_cbranch_execz .LBB1154_19
; %bb.18:
	s_ashr_i32 s8, s39, 31
	s_add_u32 s0, s38, s8
	s_mov_b32 s9, s8
	s_addc_u32 s1, s39, s8
	s_xor_b64 s[10:11], s[0:1], s[8:9]
	v_cvt_f32_u32_e32 v10, s10
	v_cvt_f32_u32_e32 v11, s11
	s_sub_u32 s0, 0, s10
	s_subb_u32 s1, 0, s11
	v_madmk_f32 v10, v11, 0x4f800000, v10
	v_rcp_f32_e32 v10, v10
	v_mul_f32_e32 v10, 0x5f7ffffc, v10
	v_mul_f32_e32 v11, 0x2f800000, v10
	v_trunc_f32_e32 v11, v11
	v_madmk_f32 v10, v11, 0xcf800000, v10
	v_cvt_u32_f32_e32 v11, v11
	v_cvt_u32_f32_e32 v10, v10
	v_mul_lo_u32 v14, s0, v11
	v_mul_hi_u32 v16, s0, v10
	v_mul_lo_u32 v15, s1, v10
	v_add_u32_e32 v14, v16, v14
	v_mul_lo_u32 v17, s0, v10
	v_add_u32_e32 v14, v14, v15
	v_mul_lo_u32 v16, v10, v14
	v_mul_hi_u32 v18, v10, v17
	v_mul_hi_u32 v15, v10, v14
	v_add_co_u32_e32 v16, vcc, v18, v16
	v_addc_co_u32_e32 v15, vcc, 0, v15, vcc
	v_mul_hi_u32 v19, v11, v17
	v_mul_lo_u32 v17, v11, v17
	v_add_co_u32_e32 v16, vcc, v16, v17
	v_mul_hi_u32 v18, v11, v14
	v_addc_co_u32_e32 v15, vcc, v15, v19, vcc
	v_addc_co_u32_e32 v16, vcc, 0, v18, vcc
	v_mul_lo_u32 v14, v11, v14
	v_add_co_u32_e32 v14, vcc, v15, v14
	v_addc_co_u32_e32 v15, vcc, 0, v16, vcc
	v_add_co_u32_e32 v10, vcc, v10, v14
	v_addc_co_u32_e32 v11, vcc, v11, v15, vcc
	v_mul_lo_u32 v14, s0, v11
	v_mul_hi_u32 v15, s0, v10
	v_add_u32_e32 v14, v15, v14
	v_mul_lo_u32 v15, s1, v10
	v_add_u32_e32 v14, v14, v15
	v_mul_lo_u32 v16, s0, v10
	v_mul_hi_u32 v17, v11, v16
	v_mul_lo_u32 v18, v11, v16
	v_mul_lo_u32 v20, v10, v14
	v_mul_hi_u32 v16, v10, v16
	v_mul_hi_u32 v19, v10, v14
	v_add_co_u32_e32 v16, vcc, v16, v20
	v_addc_co_u32_e32 v19, vcc, 0, v19, vcc
	v_add_co_u32_e32 v16, vcc, v16, v18
	v_mul_hi_u32 v15, v11, v14
	v_addc_co_u32_e32 v16, vcc, v19, v17, vcc
	v_addc_co_u32_e32 v15, vcc, 0, v15, vcc
	v_mul_lo_u32 v14, v11, v14
	v_add_co_u32_e32 v14, vcc, v16, v14
	v_addc_co_u32_e32 v15, vcc, 0, v15, vcc
	v_add_co_u32_e32 v14, vcc, v10, v14
	v_addc_co_u32_e32 v15, vcc, v11, v15, vcc
	v_ashrrev_i32_e32 v16, 31, v13
	v_add_co_u32_e32 v10, vcc, v12, v16
	v_addc_co_u32_e32 v11, vcc, v13, v16, vcc
	v_xor_b32_e32 v18, v10, v16
	v_xor_b32_e32 v17, v11, v16
	v_mad_u64_u32 v[10:11], s[0:1], v18, v15, 0
	v_mul_hi_u32 v12, v18, v14
	v_add_co_u32_e32 v19, vcc, v12, v10
	v_addc_co_u32_e32 v20, vcc, 0, v11, vcc
	v_mad_u64_u32 v[12:13], s[0:1], v17, v14, 0
	v_add_co_u32_e32 v12, vcc, v19, v12
	v_mad_u64_u32 v[10:11], s[0:1], v17, v15, 0
	v_addc_co_u32_e32 v12, vcc, v20, v13, vcc
	v_addc_co_u32_e32 v11, vcc, 0, v11, vcc
	v_add_co_u32_e32 v12, vcc, v12, v10
	v_addc_co_u32_e32 v13, vcc, 0, v11, vcc
	v_mul_lo_u32 v14, s11, v12
	v_mul_lo_u32 v15, s10, v13
	v_mad_u64_u32 v[10:11], s[0:1], s10, v12, 0
	v_add3_u32 v11, v11, v15, v14
	v_sub_u32_e32 v14, v17, v11
	v_mov_b32_e32 v15, s11
	v_sub_co_u32_e32 v10, vcc, v18, v10
	v_subb_co_u32_e64 v14, s[0:1], v14, v15, vcc
	v_subrev_co_u32_e64 v15, s[0:1], s10, v10
	v_subbrev_co_u32_e64 v14, s[0:1], 0, v14, s[0:1]
	v_cmp_le_u32_e64 s[0:1], s11, v14
	v_cndmask_b32_e64 v18, 0, -1, s[0:1]
	v_cmp_le_u32_e64 s[0:1], s10, v15
	v_cndmask_b32_e64 v15, 0, -1, s[0:1]
	v_cmp_eq_u32_e64 s[0:1], s11, v14
	v_cndmask_b32_e64 v14, v18, v15, s[0:1]
	v_add_co_u32_e64 v15, s[0:1], 2, v12
	v_subb_co_u32_e32 v11, vcc, v17, v11, vcc
	v_addc_co_u32_e64 v18, s[0:1], 0, v13, s[0:1]
	v_cmp_le_u32_e32 vcc, s11, v11
	v_add_co_u32_e64 v19, s[0:1], 1, v12
	v_cndmask_b32_e64 v17, 0, -1, vcc
	v_cmp_le_u32_e32 vcc, s10, v10
	v_addc_co_u32_e64 v20, s[0:1], 0, v13, s[0:1]
	v_cndmask_b32_e64 v10, 0, -1, vcc
	v_cmp_eq_u32_e32 vcc, s11, v11
	v_cmp_ne_u32_e64 s[0:1], 0, v14
	v_cndmask_b32_e32 v10, v17, v10, vcc
	v_cndmask_b32_e64 v14, v20, v18, s[0:1]
	v_cmp_ne_u32_e32 vcc, 0, v10
	v_cndmask_b32_e64 v11, v19, v15, s[0:1]
	v_cndmask_b32_e32 v10, v13, v14, vcc
	v_cndmask_b32_e32 v11, v12, v11, vcc
	v_xor_b32_e32 v12, s8, v16
	v_xor_b32_e32 v13, v10, v12
	;; [unrolled: 1-line block ×3, first 2 shown]
	v_sub_co_u32_e32 v10, vcc, v10, v12
	v_subb_co_u32_e32 v11, vcc, v13, v12, vcc
                                        ; implicit-def: $vgpr12
.LBB1154_19:
	s_andn2_saveexec_b64 s[0:1], s[2:3]
	s_cbranch_execz .LBB1154_21
; %bb.20:
	v_cvt_f32_u32_e32 v10, s38
	s_sub_i32 s2, 0, s38
	v_rcp_iflag_f32_e32 v10, v10
	v_mul_f32_e32 v10, 0x4f7ffffe, v10
	v_cvt_u32_f32_e32 v10, v10
	v_mul_lo_u32 v11, s2, v10
	v_mul_hi_u32 v11, v10, v11
	v_add_u32_e32 v10, v10, v11
	v_mul_hi_u32 v10, v12, v10
	v_mul_lo_u32 v11, v10, s38
	v_sub_u32_e32 v11, v12, v11
	v_add_u32_e32 v13, 1, v10
	v_subrev_u32_e32 v12, s38, v11
	v_cmp_le_u32_e32 vcc, s38, v11
	v_cndmask_b32_e32 v11, v11, v12, vcc
	v_cndmask_b32_e32 v10, v10, v13, vcc
	v_add_u32_e32 v12, 1, v10
	v_cmp_le_u32_e32 vcc, s38, v11
	v_cndmask_b32_e32 v10, v10, v12, vcc
	v_mov_b32_e32 v11, 0
.LBB1154_21:
	s_or_b64 exec, exec, s[0:1]
	v_add_co_u32_e32 v14, vcc, 0x500, v30
	v_addc_co_u32_e32 v15, vcc, 0, v1, vcc
	v_or_b32_e32 v13, s39, v15
	v_mov_b32_e32 v12, 0
	v_cmp_ne_u64_e32 vcc, 0, v[12:13]
                                        ; implicit-def: $vgpr12_vgpr13
	s_and_saveexec_b64 s[0:1], vcc
	s_xor_b64 s[2:3], exec, s[0:1]
	s_cbranch_execz .LBB1154_23
; %bb.22:
	s_ashr_i32 s8, s39, 31
	s_add_u32 s0, s38, s8
	s_mov_b32 s9, s8
	s_addc_u32 s1, s39, s8
	s_xor_b64 s[10:11], s[0:1], s[8:9]
	v_cvt_f32_u32_e32 v12, s10
	v_cvt_f32_u32_e32 v13, s11
	s_sub_u32 s0, 0, s10
	s_subb_u32 s1, 0, s11
	v_madmk_f32 v12, v13, 0x4f800000, v12
	v_rcp_f32_e32 v12, v12
	v_mul_f32_e32 v12, 0x5f7ffffc, v12
	v_mul_f32_e32 v13, 0x2f800000, v12
	v_trunc_f32_e32 v13, v13
	v_madmk_f32 v12, v13, 0xcf800000, v12
	v_cvt_u32_f32_e32 v13, v13
	v_cvt_u32_f32_e32 v12, v12
	v_mul_lo_u32 v16, s0, v13
	v_mul_hi_u32 v18, s0, v12
	v_mul_lo_u32 v17, s1, v12
	v_add_u32_e32 v16, v18, v16
	v_mul_lo_u32 v19, s0, v12
	v_add_u32_e32 v16, v16, v17
	v_mul_lo_u32 v18, v12, v16
	v_mul_hi_u32 v20, v12, v19
	v_mul_hi_u32 v17, v12, v16
	v_add_co_u32_e32 v18, vcc, v20, v18
	v_addc_co_u32_e32 v17, vcc, 0, v17, vcc
	v_mul_hi_u32 v21, v13, v19
	v_mul_lo_u32 v19, v13, v19
	v_add_co_u32_e32 v18, vcc, v18, v19
	v_mul_hi_u32 v20, v13, v16
	v_addc_co_u32_e32 v17, vcc, v17, v21, vcc
	v_addc_co_u32_e32 v18, vcc, 0, v20, vcc
	v_mul_lo_u32 v16, v13, v16
	v_add_co_u32_e32 v16, vcc, v17, v16
	v_addc_co_u32_e32 v17, vcc, 0, v18, vcc
	v_add_co_u32_e32 v12, vcc, v12, v16
	v_addc_co_u32_e32 v13, vcc, v13, v17, vcc
	v_mul_lo_u32 v16, s0, v13
	v_mul_hi_u32 v17, s0, v12
	v_add_u32_e32 v16, v17, v16
	v_mul_lo_u32 v17, s1, v12
	v_add_u32_e32 v16, v16, v17
	v_mul_lo_u32 v18, s0, v12
	v_mul_hi_u32 v19, v13, v18
	v_mul_lo_u32 v20, v13, v18
	v_mul_lo_u32 v22, v12, v16
	v_mul_hi_u32 v18, v12, v18
	v_mul_hi_u32 v21, v12, v16
	v_add_co_u32_e32 v18, vcc, v18, v22
	v_addc_co_u32_e32 v21, vcc, 0, v21, vcc
	v_add_co_u32_e32 v18, vcc, v18, v20
	v_mul_hi_u32 v17, v13, v16
	v_addc_co_u32_e32 v18, vcc, v21, v19, vcc
	v_addc_co_u32_e32 v17, vcc, 0, v17, vcc
	v_mul_lo_u32 v16, v13, v16
	v_add_co_u32_e32 v16, vcc, v18, v16
	v_addc_co_u32_e32 v17, vcc, 0, v17, vcc
	v_add_co_u32_e32 v16, vcc, v12, v16
	v_addc_co_u32_e32 v17, vcc, v13, v17, vcc
	v_ashrrev_i32_e32 v18, 31, v15
	v_add_co_u32_e32 v12, vcc, v14, v18
	v_addc_co_u32_e32 v13, vcc, v15, v18, vcc
	v_xor_b32_e32 v20, v12, v18
	v_xor_b32_e32 v19, v13, v18
	v_mad_u64_u32 v[12:13], s[0:1], v20, v17, 0
	v_mul_hi_u32 v14, v20, v16
	v_add_co_u32_e32 v21, vcc, v14, v12
	v_addc_co_u32_e32 v22, vcc, 0, v13, vcc
	v_mad_u64_u32 v[14:15], s[0:1], v19, v16, 0
	v_add_co_u32_e32 v14, vcc, v21, v14
	v_mad_u64_u32 v[12:13], s[0:1], v19, v17, 0
	v_addc_co_u32_e32 v14, vcc, v22, v15, vcc
	v_addc_co_u32_e32 v13, vcc, 0, v13, vcc
	v_add_co_u32_e32 v14, vcc, v14, v12
	v_addc_co_u32_e32 v15, vcc, 0, v13, vcc
	v_mul_lo_u32 v16, s11, v14
	v_mul_lo_u32 v17, s10, v15
	v_mad_u64_u32 v[12:13], s[0:1], s10, v14, 0
	v_add3_u32 v13, v13, v17, v16
	v_sub_u32_e32 v16, v19, v13
	v_mov_b32_e32 v17, s11
	v_sub_co_u32_e32 v12, vcc, v20, v12
	v_subb_co_u32_e64 v16, s[0:1], v16, v17, vcc
	v_subrev_co_u32_e64 v17, s[0:1], s10, v12
	v_subbrev_co_u32_e64 v16, s[0:1], 0, v16, s[0:1]
	v_cmp_le_u32_e64 s[0:1], s11, v16
	v_cndmask_b32_e64 v20, 0, -1, s[0:1]
	v_cmp_le_u32_e64 s[0:1], s10, v17
	v_cndmask_b32_e64 v17, 0, -1, s[0:1]
	v_cmp_eq_u32_e64 s[0:1], s11, v16
	v_cndmask_b32_e64 v16, v20, v17, s[0:1]
	v_add_co_u32_e64 v17, s[0:1], 2, v14
	v_subb_co_u32_e32 v13, vcc, v19, v13, vcc
	v_addc_co_u32_e64 v20, s[0:1], 0, v15, s[0:1]
	v_cmp_le_u32_e32 vcc, s11, v13
	v_add_co_u32_e64 v21, s[0:1], 1, v14
	v_cndmask_b32_e64 v19, 0, -1, vcc
	v_cmp_le_u32_e32 vcc, s10, v12
	v_addc_co_u32_e64 v22, s[0:1], 0, v15, s[0:1]
	v_cndmask_b32_e64 v12, 0, -1, vcc
	v_cmp_eq_u32_e32 vcc, s11, v13
	v_cmp_ne_u32_e64 s[0:1], 0, v16
	v_cndmask_b32_e32 v12, v19, v12, vcc
	v_cndmask_b32_e64 v16, v22, v20, s[0:1]
	v_cmp_ne_u32_e32 vcc, 0, v12
	v_cndmask_b32_e64 v13, v21, v17, s[0:1]
	v_cndmask_b32_e32 v12, v15, v16, vcc
	v_cndmask_b32_e32 v13, v14, v13, vcc
	v_xor_b32_e32 v14, s8, v18
	v_xor_b32_e32 v15, v12, v14
	;; [unrolled: 1-line block ×3, first 2 shown]
	v_sub_co_u32_e32 v12, vcc, v12, v14
	v_subb_co_u32_e32 v13, vcc, v15, v14, vcc
                                        ; implicit-def: $vgpr14
.LBB1154_23:
	s_andn2_saveexec_b64 s[0:1], s[2:3]
	s_cbranch_execz .LBB1154_25
; %bb.24:
	v_cvt_f32_u32_e32 v12, s38
	s_sub_i32 s2, 0, s38
	v_rcp_iflag_f32_e32 v12, v12
	v_mul_f32_e32 v12, 0x4f7ffffe, v12
	v_cvt_u32_f32_e32 v12, v12
	v_mul_lo_u32 v13, s2, v12
	v_mul_hi_u32 v13, v12, v13
	v_add_u32_e32 v12, v12, v13
	v_mul_hi_u32 v12, v14, v12
	v_mul_lo_u32 v13, v12, s38
	v_sub_u32_e32 v13, v14, v13
	v_add_u32_e32 v15, 1, v12
	v_subrev_u32_e32 v14, s38, v13
	v_cmp_le_u32_e32 vcc, s38, v13
	v_cndmask_b32_e32 v13, v13, v14, vcc
	v_cndmask_b32_e32 v12, v12, v15, vcc
	v_add_u32_e32 v14, 1, v12
	v_cmp_le_u32_e32 vcc, s38, v13
	v_cndmask_b32_e32 v12, v12, v14, vcc
	v_mov_b32_e32 v13, 0
.LBB1154_25:
	s_or_b64 exec, exec, s[0:1]
	v_add_co_u32_e32 v16, vcc, 0x600, v30
	v_addc_co_u32_e32 v17, vcc, 0, v1, vcc
	v_or_b32_e32 v15, s39, v17
	v_mov_b32_e32 v14, 0
	v_cmp_ne_u64_e32 vcc, 0, v[14:15]
                                        ; implicit-def: $vgpr14_vgpr15
	s_and_saveexec_b64 s[0:1], vcc
	s_xor_b64 s[2:3], exec, s[0:1]
	s_cbranch_execz .LBB1154_27
; %bb.26:
	s_ashr_i32 s8, s39, 31
	s_add_u32 s0, s38, s8
	s_mov_b32 s9, s8
	s_addc_u32 s1, s39, s8
	s_xor_b64 s[10:11], s[0:1], s[8:9]
	v_cvt_f32_u32_e32 v14, s10
	v_cvt_f32_u32_e32 v15, s11
	s_sub_u32 s0, 0, s10
	s_subb_u32 s1, 0, s11
	v_madmk_f32 v14, v15, 0x4f800000, v14
	v_rcp_f32_e32 v14, v14
	v_mul_f32_e32 v14, 0x5f7ffffc, v14
	v_mul_f32_e32 v15, 0x2f800000, v14
	v_trunc_f32_e32 v15, v15
	v_madmk_f32 v14, v15, 0xcf800000, v14
	v_cvt_u32_f32_e32 v15, v15
	v_cvt_u32_f32_e32 v14, v14
	v_mul_lo_u32 v18, s0, v15
	v_mul_hi_u32 v20, s0, v14
	v_mul_lo_u32 v19, s1, v14
	v_add_u32_e32 v18, v20, v18
	v_mul_lo_u32 v21, s0, v14
	v_add_u32_e32 v18, v18, v19
	v_mul_lo_u32 v20, v14, v18
	v_mul_hi_u32 v22, v14, v21
	v_mul_hi_u32 v19, v14, v18
	v_add_co_u32_e32 v20, vcc, v22, v20
	v_addc_co_u32_e32 v19, vcc, 0, v19, vcc
	v_mul_hi_u32 v23, v15, v21
	v_mul_lo_u32 v21, v15, v21
	v_add_co_u32_e32 v20, vcc, v20, v21
	v_mul_hi_u32 v22, v15, v18
	v_addc_co_u32_e32 v19, vcc, v19, v23, vcc
	v_addc_co_u32_e32 v20, vcc, 0, v22, vcc
	v_mul_lo_u32 v18, v15, v18
	v_add_co_u32_e32 v18, vcc, v19, v18
	v_addc_co_u32_e32 v19, vcc, 0, v20, vcc
	v_add_co_u32_e32 v14, vcc, v14, v18
	v_addc_co_u32_e32 v15, vcc, v15, v19, vcc
	v_mul_lo_u32 v18, s0, v15
	v_mul_hi_u32 v19, s0, v14
	v_add_u32_e32 v18, v19, v18
	v_mul_lo_u32 v19, s1, v14
	v_add_u32_e32 v18, v18, v19
	v_mul_lo_u32 v20, s0, v14
	v_mul_hi_u32 v21, v15, v20
	v_mul_lo_u32 v22, v15, v20
	v_mul_lo_u32 v24, v14, v18
	v_mul_hi_u32 v20, v14, v20
	v_mul_hi_u32 v23, v14, v18
	v_add_co_u32_e32 v20, vcc, v20, v24
	v_addc_co_u32_e32 v23, vcc, 0, v23, vcc
	v_add_co_u32_e32 v20, vcc, v20, v22
	v_mul_hi_u32 v19, v15, v18
	v_addc_co_u32_e32 v20, vcc, v23, v21, vcc
	v_addc_co_u32_e32 v19, vcc, 0, v19, vcc
	v_mul_lo_u32 v18, v15, v18
	v_add_co_u32_e32 v18, vcc, v20, v18
	v_addc_co_u32_e32 v19, vcc, 0, v19, vcc
	v_add_co_u32_e32 v18, vcc, v14, v18
	v_addc_co_u32_e32 v19, vcc, v15, v19, vcc
	v_ashrrev_i32_e32 v20, 31, v17
	v_add_co_u32_e32 v14, vcc, v16, v20
	v_addc_co_u32_e32 v15, vcc, v17, v20, vcc
	v_xor_b32_e32 v22, v14, v20
	v_xor_b32_e32 v21, v15, v20
	v_mad_u64_u32 v[14:15], s[0:1], v22, v19, 0
	v_mul_hi_u32 v16, v22, v18
	v_add_co_u32_e32 v23, vcc, v16, v14
	v_addc_co_u32_e32 v24, vcc, 0, v15, vcc
	v_mad_u64_u32 v[16:17], s[0:1], v21, v18, 0
	v_add_co_u32_e32 v16, vcc, v23, v16
	v_mad_u64_u32 v[14:15], s[0:1], v21, v19, 0
	v_addc_co_u32_e32 v16, vcc, v24, v17, vcc
	v_addc_co_u32_e32 v15, vcc, 0, v15, vcc
	v_add_co_u32_e32 v16, vcc, v16, v14
	v_addc_co_u32_e32 v17, vcc, 0, v15, vcc
	v_mul_lo_u32 v18, s11, v16
	v_mul_lo_u32 v19, s10, v17
	v_mad_u64_u32 v[14:15], s[0:1], s10, v16, 0
	v_add3_u32 v15, v15, v19, v18
	v_sub_u32_e32 v18, v21, v15
	v_mov_b32_e32 v19, s11
	v_sub_co_u32_e32 v14, vcc, v22, v14
	v_subb_co_u32_e64 v18, s[0:1], v18, v19, vcc
	v_subrev_co_u32_e64 v19, s[0:1], s10, v14
	v_subbrev_co_u32_e64 v18, s[0:1], 0, v18, s[0:1]
	v_cmp_le_u32_e64 s[0:1], s11, v18
	v_cndmask_b32_e64 v22, 0, -1, s[0:1]
	v_cmp_le_u32_e64 s[0:1], s10, v19
	v_cndmask_b32_e64 v19, 0, -1, s[0:1]
	v_cmp_eq_u32_e64 s[0:1], s11, v18
	v_cndmask_b32_e64 v18, v22, v19, s[0:1]
	v_add_co_u32_e64 v19, s[0:1], 2, v16
	v_subb_co_u32_e32 v15, vcc, v21, v15, vcc
	v_addc_co_u32_e64 v22, s[0:1], 0, v17, s[0:1]
	v_cmp_le_u32_e32 vcc, s11, v15
	v_add_co_u32_e64 v23, s[0:1], 1, v16
	v_cndmask_b32_e64 v21, 0, -1, vcc
	v_cmp_le_u32_e32 vcc, s10, v14
	v_addc_co_u32_e64 v24, s[0:1], 0, v17, s[0:1]
	v_cndmask_b32_e64 v14, 0, -1, vcc
	v_cmp_eq_u32_e32 vcc, s11, v15
	v_cmp_ne_u32_e64 s[0:1], 0, v18
	v_cndmask_b32_e32 v14, v21, v14, vcc
	v_cndmask_b32_e64 v18, v24, v22, s[0:1]
	v_cmp_ne_u32_e32 vcc, 0, v14
	v_cndmask_b32_e64 v15, v23, v19, s[0:1]
	v_cndmask_b32_e32 v14, v17, v18, vcc
	v_cndmask_b32_e32 v15, v16, v15, vcc
	v_xor_b32_e32 v16, s8, v20
	v_xor_b32_e32 v17, v14, v16
	;; [unrolled: 1-line block ×3, first 2 shown]
	v_sub_co_u32_e32 v14, vcc, v14, v16
	v_subb_co_u32_e32 v15, vcc, v17, v16, vcc
                                        ; implicit-def: $vgpr16
.LBB1154_27:
	s_andn2_saveexec_b64 s[0:1], s[2:3]
	s_cbranch_execz .LBB1154_29
; %bb.28:
	v_cvt_f32_u32_e32 v14, s38
	s_sub_i32 s2, 0, s38
	v_rcp_iflag_f32_e32 v14, v14
	v_mul_f32_e32 v14, 0x4f7ffffe, v14
	v_cvt_u32_f32_e32 v14, v14
	v_mul_lo_u32 v15, s2, v14
	v_mul_hi_u32 v15, v14, v15
	v_add_u32_e32 v14, v14, v15
	v_mul_hi_u32 v14, v16, v14
	v_mul_lo_u32 v15, v14, s38
	v_sub_u32_e32 v15, v16, v15
	v_add_u32_e32 v17, 1, v14
	v_subrev_u32_e32 v16, s38, v15
	v_cmp_le_u32_e32 vcc, s38, v15
	v_cndmask_b32_e32 v15, v15, v16, vcc
	v_cndmask_b32_e32 v14, v14, v17, vcc
	v_add_u32_e32 v16, 1, v14
	v_cmp_le_u32_e32 vcc, s38, v15
	v_cndmask_b32_e32 v14, v14, v16, vcc
	v_mov_b32_e32 v15, 0
.LBB1154_29:
	s_or_b64 exec, exec, s[0:1]
	v_add_co_u32_e32 v18, vcc, 0x700, v30
	v_addc_co_u32_e32 v19, vcc, 0, v1, vcc
	v_or_b32_e32 v17, s39, v19
	v_mov_b32_e32 v16, 0
	v_cmp_ne_u64_e32 vcc, 0, v[16:17]
                                        ; implicit-def: $vgpr16_vgpr17
	s_and_saveexec_b64 s[0:1], vcc
	s_xor_b64 s[2:3], exec, s[0:1]
	s_cbranch_execz .LBB1154_31
; %bb.30:
	s_ashr_i32 s8, s39, 31
	s_add_u32 s0, s38, s8
	s_mov_b32 s9, s8
	s_addc_u32 s1, s39, s8
	s_xor_b64 s[10:11], s[0:1], s[8:9]
	v_cvt_f32_u32_e32 v16, s10
	v_cvt_f32_u32_e32 v17, s11
	s_sub_u32 s0, 0, s10
	s_subb_u32 s1, 0, s11
	v_madmk_f32 v16, v17, 0x4f800000, v16
	v_rcp_f32_e32 v16, v16
	v_mul_f32_e32 v16, 0x5f7ffffc, v16
	v_mul_f32_e32 v17, 0x2f800000, v16
	v_trunc_f32_e32 v17, v17
	v_madmk_f32 v16, v17, 0xcf800000, v16
	v_cvt_u32_f32_e32 v17, v17
	v_cvt_u32_f32_e32 v16, v16
	v_mul_lo_u32 v20, s0, v17
	v_mul_hi_u32 v22, s0, v16
	v_mul_lo_u32 v21, s1, v16
	v_add_u32_e32 v20, v22, v20
	v_mul_lo_u32 v23, s0, v16
	v_add_u32_e32 v20, v20, v21
	v_mul_lo_u32 v22, v16, v20
	v_mul_hi_u32 v24, v16, v23
	v_mul_hi_u32 v21, v16, v20
	v_add_co_u32_e32 v22, vcc, v24, v22
	v_addc_co_u32_e32 v21, vcc, 0, v21, vcc
	v_mul_hi_u32 v25, v17, v23
	v_mul_lo_u32 v23, v17, v23
	v_add_co_u32_e32 v22, vcc, v22, v23
	v_mul_hi_u32 v24, v17, v20
	v_addc_co_u32_e32 v21, vcc, v21, v25, vcc
	v_addc_co_u32_e32 v22, vcc, 0, v24, vcc
	v_mul_lo_u32 v20, v17, v20
	v_add_co_u32_e32 v20, vcc, v21, v20
	v_addc_co_u32_e32 v21, vcc, 0, v22, vcc
	v_add_co_u32_e32 v16, vcc, v16, v20
	v_addc_co_u32_e32 v17, vcc, v17, v21, vcc
	v_mul_lo_u32 v20, s0, v17
	v_mul_hi_u32 v21, s0, v16
	v_add_u32_e32 v20, v21, v20
	v_mul_lo_u32 v21, s1, v16
	v_add_u32_e32 v20, v20, v21
	v_mul_lo_u32 v22, s0, v16
	v_mul_hi_u32 v23, v17, v22
	v_mul_lo_u32 v24, v17, v22
	v_mul_lo_u32 v26, v16, v20
	v_mul_hi_u32 v22, v16, v22
	v_mul_hi_u32 v25, v16, v20
	v_add_co_u32_e32 v22, vcc, v22, v26
	v_addc_co_u32_e32 v25, vcc, 0, v25, vcc
	v_add_co_u32_e32 v22, vcc, v22, v24
	v_mul_hi_u32 v21, v17, v20
	v_addc_co_u32_e32 v22, vcc, v25, v23, vcc
	v_addc_co_u32_e32 v21, vcc, 0, v21, vcc
	v_mul_lo_u32 v20, v17, v20
	v_add_co_u32_e32 v20, vcc, v22, v20
	v_addc_co_u32_e32 v21, vcc, 0, v21, vcc
	v_add_co_u32_e32 v20, vcc, v16, v20
	v_addc_co_u32_e32 v21, vcc, v17, v21, vcc
	v_ashrrev_i32_e32 v22, 31, v19
	v_add_co_u32_e32 v16, vcc, v18, v22
	v_addc_co_u32_e32 v17, vcc, v19, v22, vcc
	v_xor_b32_e32 v24, v16, v22
	v_xor_b32_e32 v23, v17, v22
	v_mad_u64_u32 v[16:17], s[0:1], v24, v21, 0
	v_mul_hi_u32 v18, v24, v20
	v_add_co_u32_e32 v25, vcc, v18, v16
	v_addc_co_u32_e32 v26, vcc, 0, v17, vcc
	v_mad_u64_u32 v[18:19], s[0:1], v23, v20, 0
	v_add_co_u32_e32 v18, vcc, v25, v18
	v_mad_u64_u32 v[16:17], s[0:1], v23, v21, 0
	v_addc_co_u32_e32 v18, vcc, v26, v19, vcc
	v_addc_co_u32_e32 v17, vcc, 0, v17, vcc
	v_add_co_u32_e32 v18, vcc, v18, v16
	v_addc_co_u32_e32 v19, vcc, 0, v17, vcc
	v_mul_lo_u32 v20, s11, v18
	v_mul_lo_u32 v21, s10, v19
	v_mad_u64_u32 v[16:17], s[0:1], s10, v18, 0
	v_add3_u32 v17, v17, v21, v20
	v_sub_u32_e32 v20, v23, v17
	v_mov_b32_e32 v21, s11
	v_sub_co_u32_e32 v16, vcc, v24, v16
	v_subb_co_u32_e64 v20, s[0:1], v20, v21, vcc
	v_subrev_co_u32_e64 v21, s[0:1], s10, v16
	v_subbrev_co_u32_e64 v20, s[0:1], 0, v20, s[0:1]
	v_cmp_le_u32_e64 s[0:1], s11, v20
	v_cndmask_b32_e64 v24, 0, -1, s[0:1]
	v_cmp_le_u32_e64 s[0:1], s10, v21
	v_cndmask_b32_e64 v21, 0, -1, s[0:1]
	v_cmp_eq_u32_e64 s[0:1], s11, v20
	v_cndmask_b32_e64 v20, v24, v21, s[0:1]
	v_add_co_u32_e64 v21, s[0:1], 2, v18
	v_subb_co_u32_e32 v17, vcc, v23, v17, vcc
	v_addc_co_u32_e64 v24, s[0:1], 0, v19, s[0:1]
	v_cmp_le_u32_e32 vcc, s11, v17
	v_add_co_u32_e64 v25, s[0:1], 1, v18
	v_cndmask_b32_e64 v23, 0, -1, vcc
	v_cmp_le_u32_e32 vcc, s10, v16
	v_addc_co_u32_e64 v26, s[0:1], 0, v19, s[0:1]
	v_cndmask_b32_e64 v16, 0, -1, vcc
	v_cmp_eq_u32_e32 vcc, s11, v17
	v_cmp_ne_u32_e64 s[0:1], 0, v20
	v_cndmask_b32_e32 v16, v23, v16, vcc
	v_cndmask_b32_e64 v20, v26, v24, s[0:1]
	v_cmp_ne_u32_e32 vcc, 0, v16
	v_cndmask_b32_e64 v17, v25, v21, s[0:1]
	v_cndmask_b32_e32 v16, v19, v20, vcc
	v_cndmask_b32_e32 v17, v18, v17, vcc
	v_xor_b32_e32 v18, s8, v22
	v_xor_b32_e32 v19, v16, v18
	;; [unrolled: 1-line block ×3, first 2 shown]
	v_sub_co_u32_e32 v16, vcc, v16, v18
	v_subb_co_u32_e32 v17, vcc, v19, v18, vcc
                                        ; implicit-def: $vgpr18
.LBB1154_31:
	s_andn2_saveexec_b64 s[0:1], s[2:3]
	s_cbranch_execz .LBB1154_33
; %bb.32:
	v_cvt_f32_u32_e32 v16, s38
	s_sub_i32 s2, 0, s38
	v_rcp_iflag_f32_e32 v16, v16
	v_mul_f32_e32 v16, 0x4f7ffffe, v16
	v_cvt_u32_f32_e32 v16, v16
	v_mul_lo_u32 v17, s2, v16
	v_mul_hi_u32 v17, v16, v17
	v_add_u32_e32 v16, v16, v17
	v_mul_hi_u32 v16, v18, v16
	v_mul_lo_u32 v17, v16, s38
	v_sub_u32_e32 v17, v18, v17
	v_add_u32_e32 v19, 1, v16
	v_subrev_u32_e32 v18, s38, v17
	v_cmp_le_u32_e32 vcc, s38, v17
	v_cndmask_b32_e32 v17, v17, v18, vcc
	v_cndmask_b32_e32 v16, v16, v19, vcc
	v_add_u32_e32 v18, 1, v16
	v_cmp_le_u32_e32 vcc, s38, v17
	v_cndmask_b32_e32 v16, v16, v18, vcc
	v_mov_b32_e32 v17, 0
.LBB1154_33:
	s_or_b64 exec, exec, s[0:1]
	v_add_co_u32_e32 v20, vcc, 0x800, v30
	v_addc_co_u32_e32 v21, vcc, 0, v1, vcc
	v_or_b32_e32 v19, s39, v21
	v_mov_b32_e32 v18, 0
	v_cmp_ne_u64_e32 vcc, 0, v[18:19]
                                        ; implicit-def: $vgpr18_vgpr19
	s_and_saveexec_b64 s[0:1], vcc
	s_xor_b64 s[2:3], exec, s[0:1]
	s_cbranch_execz .LBB1154_35
; %bb.34:
	s_ashr_i32 s8, s39, 31
	s_add_u32 s0, s38, s8
	s_mov_b32 s9, s8
	s_addc_u32 s1, s39, s8
	s_xor_b64 s[10:11], s[0:1], s[8:9]
	v_cvt_f32_u32_e32 v18, s10
	v_cvt_f32_u32_e32 v19, s11
	s_sub_u32 s0, 0, s10
	s_subb_u32 s1, 0, s11
	v_madmk_f32 v18, v19, 0x4f800000, v18
	v_rcp_f32_e32 v18, v18
	v_mul_f32_e32 v18, 0x5f7ffffc, v18
	v_mul_f32_e32 v19, 0x2f800000, v18
	v_trunc_f32_e32 v19, v19
	v_madmk_f32 v18, v19, 0xcf800000, v18
	v_cvt_u32_f32_e32 v19, v19
	v_cvt_u32_f32_e32 v18, v18
	v_mul_lo_u32 v22, s0, v19
	v_mul_hi_u32 v24, s0, v18
	v_mul_lo_u32 v23, s1, v18
	v_add_u32_e32 v22, v24, v22
	v_mul_lo_u32 v25, s0, v18
	v_add_u32_e32 v22, v22, v23
	v_mul_lo_u32 v24, v18, v22
	v_mul_hi_u32 v26, v18, v25
	v_mul_hi_u32 v23, v18, v22
	v_add_co_u32_e32 v24, vcc, v26, v24
	v_addc_co_u32_e32 v23, vcc, 0, v23, vcc
	v_mul_hi_u32 v27, v19, v25
	v_mul_lo_u32 v25, v19, v25
	v_add_co_u32_e32 v24, vcc, v24, v25
	v_mul_hi_u32 v26, v19, v22
	v_addc_co_u32_e32 v23, vcc, v23, v27, vcc
	v_addc_co_u32_e32 v24, vcc, 0, v26, vcc
	v_mul_lo_u32 v22, v19, v22
	v_add_co_u32_e32 v22, vcc, v23, v22
	v_addc_co_u32_e32 v23, vcc, 0, v24, vcc
	v_add_co_u32_e32 v18, vcc, v18, v22
	v_addc_co_u32_e32 v19, vcc, v19, v23, vcc
	v_mul_lo_u32 v22, s0, v19
	v_mul_hi_u32 v23, s0, v18
	v_add_u32_e32 v22, v23, v22
	v_mul_lo_u32 v23, s1, v18
	v_add_u32_e32 v22, v22, v23
	v_mul_lo_u32 v24, s0, v18
	v_mul_hi_u32 v25, v19, v24
	v_mul_lo_u32 v26, v19, v24
	v_mul_lo_u32 v28, v18, v22
	v_mul_hi_u32 v24, v18, v24
	v_mul_hi_u32 v27, v18, v22
	v_add_co_u32_e32 v24, vcc, v24, v28
	v_addc_co_u32_e32 v27, vcc, 0, v27, vcc
	v_add_co_u32_e32 v24, vcc, v24, v26
	v_mul_hi_u32 v23, v19, v22
	v_addc_co_u32_e32 v24, vcc, v27, v25, vcc
	v_addc_co_u32_e32 v23, vcc, 0, v23, vcc
	v_mul_lo_u32 v22, v19, v22
	v_add_co_u32_e32 v22, vcc, v24, v22
	v_addc_co_u32_e32 v23, vcc, 0, v23, vcc
	v_add_co_u32_e32 v22, vcc, v18, v22
	v_addc_co_u32_e32 v23, vcc, v19, v23, vcc
	v_ashrrev_i32_e32 v24, 31, v21
	v_add_co_u32_e32 v18, vcc, v20, v24
	v_addc_co_u32_e32 v19, vcc, v21, v24, vcc
	v_xor_b32_e32 v26, v18, v24
	v_xor_b32_e32 v25, v19, v24
	v_mad_u64_u32 v[18:19], s[0:1], v26, v23, 0
	v_mul_hi_u32 v20, v26, v22
	v_add_co_u32_e32 v27, vcc, v20, v18
	v_addc_co_u32_e32 v28, vcc, 0, v19, vcc
	v_mad_u64_u32 v[20:21], s[0:1], v25, v22, 0
	v_add_co_u32_e32 v20, vcc, v27, v20
	v_mad_u64_u32 v[18:19], s[0:1], v25, v23, 0
	v_addc_co_u32_e32 v20, vcc, v28, v21, vcc
	v_addc_co_u32_e32 v19, vcc, 0, v19, vcc
	v_add_co_u32_e32 v20, vcc, v20, v18
	v_addc_co_u32_e32 v21, vcc, 0, v19, vcc
	v_mul_lo_u32 v22, s11, v20
	v_mul_lo_u32 v23, s10, v21
	v_mad_u64_u32 v[18:19], s[0:1], s10, v20, 0
	v_add3_u32 v19, v19, v23, v22
	v_sub_u32_e32 v22, v25, v19
	v_mov_b32_e32 v23, s11
	v_sub_co_u32_e32 v18, vcc, v26, v18
	v_subb_co_u32_e64 v22, s[0:1], v22, v23, vcc
	v_subrev_co_u32_e64 v23, s[0:1], s10, v18
	v_subbrev_co_u32_e64 v22, s[0:1], 0, v22, s[0:1]
	v_cmp_le_u32_e64 s[0:1], s11, v22
	v_cndmask_b32_e64 v26, 0, -1, s[0:1]
	v_cmp_le_u32_e64 s[0:1], s10, v23
	v_cndmask_b32_e64 v23, 0, -1, s[0:1]
	v_cmp_eq_u32_e64 s[0:1], s11, v22
	v_cndmask_b32_e64 v22, v26, v23, s[0:1]
	v_add_co_u32_e64 v23, s[0:1], 2, v20
	v_subb_co_u32_e32 v19, vcc, v25, v19, vcc
	v_addc_co_u32_e64 v26, s[0:1], 0, v21, s[0:1]
	v_cmp_le_u32_e32 vcc, s11, v19
	v_add_co_u32_e64 v27, s[0:1], 1, v20
	v_cndmask_b32_e64 v25, 0, -1, vcc
	v_cmp_le_u32_e32 vcc, s10, v18
	v_addc_co_u32_e64 v28, s[0:1], 0, v21, s[0:1]
	v_cndmask_b32_e64 v18, 0, -1, vcc
	v_cmp_eq_u32_e32 vcc, s11, v19
	v_cmp_ne_u32_e64 s[0:1], 0, v22
	v_cndmask_b32_e32 v18, v25, v18, vcc
	v_cndmask_b32_e64 v22, v28, v26, s[0:1]
	v_cmp_ne_u32_e32 vcc, 0, v18
	v_cndmask_b32_e64 v19, v27, v23, s[0:1]
	v_cndmask_b32_e32 v18, v21, v22, vcc
	v_cndmask_b32_e32 v19, v20, v19, vcc
	v_xor_b32_e32 v20, s8, v24
	v_xor_b32_e32 v21, v18, v20
	;; [unrolled: 1-line block ×3, first 2 shown]
	v_sub_co_u32_e32 v18, vcc, v18, v20
	v_subb_co_u32_e32 v19, vcc, v21, v20, vcc
                                        ; implicit-def: $vgpr20
.LBB1154_35:
	s_andn2_saveexec_b64 s[0:1], s[2:3]
	s_cbranch_execz .LBB1154_37
; %bb.36:
	v_cvt_f32_u32_e32 v18, s38
	s_sub_i32 s2, 0, s38
	v_rcp_iflag_f32_e32 v18, v18
	v_mul_f32_e32 v18, 0x4f7ffffe, v18
	v_cvt_u32_f32_e32 v18, v18
	v_mul_lo_u32 v19, s2, v18
	v_mul_hi_u32 v19, v18, v19
	v_add_u32_e32 v18, v18, v19
	v_mul_hi_u32 v18, v20, v18
	v_mul_lo_u32 v19, v18, s38
	v_sub_u32_e32 v19, v20, v19
	v_add_u32_e32 v21, 1, v18
	v_subrev_u32_e32 v20, s38, v19
	v_cmp_le_u32_e32 vcc, s38, v19
	v_cndmask_b32_e32 v19, v19, v20, vcc
	v_cndmask_b32_e32 v18, v18, v21, vcc
	v_add_u32_e32 v20, 1, v18
	v_cmp_le_u32_e32 vcc, s38, v19
	v_cndmask_b32_e32 v18, v18, v20, vcc
	v_mov_b32_e32 v19, 0
.LBB1154_37:
	s_or_b64 exec, exec, s[0:1]
	v_add_co_u32_e32 v22, vcc, 0x900, v30
	v_addc_co_u32_e32 v23, vcc, 0, v1, vcc
	v_or_b32_e32 v21, s39, v23
	v_mov_b32_e32 v20, 0
	v_cmp_ne_u64_e32 vcc, 0, v[20:21]
                                        ; implicit-def: $vgpr20_vgpr21
	s_and_saveexec_b64 s[0:1], vcc
	s_xor_b64 s[2:3], exec, s[0:1]
	s_cbranch_execz .LBB1154_39
; %bb.38:
	s_ashr_i32 s8, s39, 31
	s_add_u32 s0, s38, s8
	s_mov_b32 s9, s8
	s_addc_u32 s1, s39, s8
	s_xor_b64 s[10:11], s[0:1], s[8:9]
	v_cvt_f32_u32_e32 v20, s10
	v_cvt_f32_u32_e32 v21, s11
	s_sub_u32 s0, 0, s10
	s_subb_u32 s1, 0, s11
	v_madmk_f32 v20, v21, 0x4f800000, v20
	v_rcp_f32_e32 v20, v20
	v_mul_f32_e32 v20, 0x5f7ffffc, v20
	v_mul_f32_e32 v21, 0x2f800000, v20
	v_trunc_f32_e32 v21, v21
	v_madmk_f32 v20, v21, 0xcf800000, v20
	v_cvt_u32_f32_e32 v21, v21
	v_cvt_u32_f32_e32 v20, v20
	v_mul_lo_u32 v24, s0, v21
	v_mul_hi_u32 v26, s0, v20
	v_mul_lo_u32 v25, s1, v20
	v_add_u32_e32 v24, v26, v24
	v_mul_lo_u32 v27, s0, v20
	v_add_u32_e32 v24, v24, v25
	v_mul_lo_u32 v26, v20, v24
	v_mul_hi_u32 v28, v20, v27
	v_mul_hi_u32 v25, v20, v24
	v_add_co_u32_e32 v26, vcc, v28, v26
	v_addc_co_u32_e32 v25, vcc, 0, v25, vcc
	v_mul_hi_u32 v29, v21, v27
	v_mul_lo_u32 v27, v21, v27
	v_add_co_u32_e32 v26, vcc, v26, v27
	v_mul_hi_u32 v28, v21, v24
	v_addc_co_u32_e32 v25, vcc, v25, v29, vcc
	v_addc_co_u32_e32 v26, vcc, 0, v28, vcc
	v_mul_lo_u32 v24, v21, v24
	v_add_co_u32_e32 v24, vcc, v25, v24
	v_addc_co_u32_e32 v25, vcc, 0, v26, vcc
	v_add_co_u32_e32 v20, vcc, v20, v24
	v_addc_co_u32_e32 v21, vcc, v21, v25, vcc
	v_mul_lo_u32 v24, s0, v21
	v_mul_hi_u32 v25, s0, v20
	v_add_u32_e32 v24, v25, v24
	v_mul_lo_u32 v25, s1, v20
	v_add_u32_e32 v24, v24, v25
	v_mul_lo_u32 v26, s0, v20
	v_mul_hi_u32 v27, v21, v26
	v_mul_lo_u32 v28, v21, v26
	v_mul_lo_u32 v31, v20, v24
	v_mul_hi_u32 v26, v20, v26
	v_mul_hi_u32 v29, v20, v24
	v_add_co_u32_e32 v26, vcc, v26, v31
	v_addc_co_u32_e32 v29, vcc, 0, v29, vcc
	v_add_co_u32_e32 v26, vcc, v26, v28
	v_mul_hi_u32 v25, v21, v24
	v_addc_co_u32_e32 v26, vcc, v29, v27, vcc
	v_addc_co_u32_e32 v25, vcc, 0, v25, vcc
	v_mul_lo_u32 v24, v21, v24
	v_add_co_u32_e32 v24, vcc, v26, v24
	v_addc_co_u32_e32 v25, vcc, 0, v25, vcc
	v_add_co_u32_e32 v24, vcc, v20, v24
	v_addc_co_u32_e32 v25, vcc, v21, v25, vcc
	v_ashrrev_i32_e32 v26, 31, v23
	v_add_co_u32_e32 v20, vcc, v22, v26
	v_addc_co_u32_e32 v21, vcc, v23, v26, vcc
	v_xor_b32_e32 v28, v20, v26
	v_xor_b32_e32 v27, v21, v26
	v_mad_u64_u32 v[20:21], s[0:1], v28, v25, 0
	v_mul_hi_u32 v22, v28, v24
	v_add_co_u32_e32 v29, vcc, v22, v20
	v_addc_co_u32_e32 v31, vcc, 0, v21, vcc
	v_mad_u64_u32 v[22:23], s[0:1], v27, v24, 0
	v_add_co_u32_e32 v22, vcc, v29, v22
	v_mad_u64_u32 v[20:21], s[0:1], v27, v25, 0
	v_addc_co_u32_e32 v22, vcc, v31, v23, vcc
	v_addc_co_u32_e32 v21, vcc, 0, v21, vcc
	v_add_co_u32_e32 v22, vcc, v22, v20
	v_addc_co_u32_e32 v23, vcc, 0, v21, vcc
	v_mul_lo_u32 v24, s11, v22
	v_mul_lo_u32 v25, s10, v23
	v_mad_u64_u32 v[20:21], s[0:1], s10, v22, 0
	v_add3_u32 v21, v21, v25, v24
	v_sub_u32_e32 v24, v27, v21
	v_mov_b32_e32 v25, s11
	v_sub_co_u32_e32 v20, vcc, v28, v20
	v_subb_co_u32_e64 v24, s[0:1], v24, v25, vcc
	v_subrev_co_u32_e64 v25, s[0:1], s10, v20
	v_subbrev_co_u32_e64 v24, s[0:1], 0, v24, s[0:1]
	v_cmp_le_u32_e64 s[0:1], s11, v24
	v_cndmask_b32_e64 v28, 0, -1, s[0:1]
	v_cmp_le_u32_e64 s[0:1], s10, v25
	v_cndmask_b32_e64 v25, 0, -1, s[0:1]
	v_cmp_eq_u32_e64 s[0:1], s11, v24
	v_cndmask_b32_e64 v24, v28, v25, s[0:1]
	v_add_co_u32_e64 v25, s[0:1], 2, v22
	v_subb_co_u32_e32 v21, vcc, v27, v21, vcc
	v_addc_co_u32_e64 v28, s[0:1], 0, v23, s[0:1]
	v_cmp_le_u32_e32 vcc, s11, v21
	v_add_co_u32_e64 v29, s[0:1], 1, v22
	v_cndmask_b32_e64 v27, 0, -1, vcc
	v_cmp_le_u32_e32 vcc, s10, v20
	v_addc_co_u32_e64 v31, s[0:1], 0, v23, s[0:1]
	v_cndmask_b32_e64 v20, 0, -1, vcc
	v_cmp_eq_u32_e32 vcc, s11, v21
	v_cmp_ne_u32_e64 s[0:1], 0, v24
	v_cndmask_b32_e32 v20, v27, v20, vcc
	v_cndmask_b32_e64 v24, v31, v28, s[0:1]
	v_cmp_ne_u32_e32 vcc, 0, v20
	v_cndmask_b32_e64 v21, v29, v25, s[0:1]
	v_cndmask_b32_e32 v20, v23, v24, vcc
	v_cndmask_b32_e32 v21, v22, v21, vcc
	v_xor_b32_e32 v22, s8, v26
	v_xor_b32_e32 v23, v20, v22
	v_xor_b32_e32 v20, v21, v22
	v_sub_co_u32_e32 v20, vcc, v20, v22
	v_subb_co_u32_e32 v21, vcc, v23, v22, vcc
                                        ; implicit-def: $vgpr22
.LBB1154_39:
	s_andn2_saveexec_b64 s[0:1], s[2:3]
	s_cbranch_execz .LBB1154_41
; %bb.40:
	v_cvt_f32_u32_e32 v20, s38
	s_sub_i32 s2, 0, s38
	v_rcp_iflag_f32_e32 v20, v20
	v_mul_f32_e32 v20, 0x4f7ffffe, v20
	v_cvt_u32_f32_e32 v20, v20
	v_mul_lo_u32 v21, s2, v20
	v_mul_hi_u32 v21, v20, v21
	v_add_u32_e32 v20, v20, v21
	v_mul_hi_u32 v20, v22, v20
	v_mul_lo_u32 v21, v20, s38
	v_sub_u32_e32 v21, v22, v21
	v_add_u32_e32 v23, 1, v20
	v_subrev_u32_e32 v22, s38, v21
	v_cmp_le_u32_e32 vcc, s38, v21
	v_cndmask_b32_e32 v21, v21, v22, vcc
	v_cndmask_b32_e32 v20, v20, v23, vcc
	v_add_u32_e32 v22, 1, v20
	v_cmp_le_u32_e32 vcc, s38, v21
	v_cndmask_b32_e32 v20, v20, v22, vcc
	v_mov_b32_e32 v21, 0
.LBB1154_41:
	s_or_b64 exec, exec, s[0:1]
	v_add_co_u32_e32 v24, vcc, 0xa00, v30
	v_addc_co_u32_e32 v25, vcc, 0, v1, vcc
	v_or_b32_e32 v23, s39, v25
	v_mov_b32_e32 v22, 0
	v_cmp_ne_u64_e32 vcc, 0, v[22:23]
                                        ; implicit-def: $vgpr22_vgpr23
	s_and_saveexec_b64 s[0:1], vcc
	s_xor_b64 s[2:3], exec, s[0:1]
	s_cbranch_execz .LBB1154_43
; %bb.42:
	s_ashr_i32 s8, s39, 31
	s_add_u32 s0, s38, s8
	s_mov_b32 s9, s8
	s_addc_u32 s1, s39, s8
	s_xor_b64 s[10:11], s[0:1], s[8:9]
	v_cvt_f32_u32_e32 v22, s10
	v_cvt_f32_u32_e32 v23, s11
	s_sub_u32 s0, 0, s10
	s_subb_u32 s1, 0, s11
	v_madmk_f32 v22, v23, 0x4f800000, v22
	v_rcp_f32_e32 v22, v22
	v_mul_f32_e32 v22, 0x5f7ffffc, v22
	v_mul_f32_e32 v23, 0x2f800000, v22
	v_trunc_f32_e32 v23, v23
	v_madmk_f32 v22, v23, 0xcf800000, v22
	v_cvt_u32_f32_e32 v23, v23
	v_cvt_u32_f32_e32 v22, v22
	v_mul_lo_u32 v26, s0, v23
	v_mul_hi_u32 v28, s0, v22
	v_mul_lo_u32 v27, s1, v22
	v_add_u32_e32 v26, v28, v26
	v_mul_lo_u32 v29, s0, v22
	v_add_u32_e32 v26, v26, v27
	v_mul_lo_u32 v28, v22, v26
	v_mul_hi_u32 v31, v22, v29
	v_mul_hi_u32 v27, v22, v26
	v_add_co_u32_e32 v28, vcc, v31, v28
	v_addc_co_u32_e32 v27, vcc, 0, v27, vcc
	v_mul_hi_u32 v32, v23, v29
	v_mul_lo_u32 v29, v23, v29
	v_add_co_u32_e32 v28, vcc, v28, v29
	v_mul_hi_u32 v31, v23, v26
	v_addc_co_u32_e32 v27, vcc, v27, v32, vcc
	v_addc_co_u32_e32 v28, vcc, 0, v31, vcc
	v_mul_lo_u32 v26, v23, v26
	v_add_co_u32_e32 v26, vcc, v27, v26
	v_addc_co_u32_e32 v27, vcc, 0, v28, vcc
	v_add_co_u32_e32 v22, vcc, v22, v26
	v_addc_co_u32_e32 v23, vcc, v23, v27, vcc
	v_mul_lo_u32 v26, s0, v23
	v_mul_hi_u32 v27, s0, v22
	v_add_u32_e32 v26, v27, v26
	v_mul_lo_u32 v27, s1, v22
	v_add_u32_e32 v26, v26, v27
	v_mul_lo_u32 v28, s0, v22
	v_mul_hi_u32 v29, v23, v28
	v_mul_lo_u32 v31, v23, v28
	v_mul_lo_u32 v33, v22, v26
	v_mul_hi_u32 v28, v22, v28
	v_mul_hi_u32 v32, v22, v26
	v_add_co_u32_e32 v28, vcc, v28, v33
	v_addc_co_u32_e32 v32, vcc, 0, v32, vcc
	v_add_co_u32_e32 v28, vcc, v28, v31
	v_mul_hi_u32 v27, v23, v26
	v_addc_co_u32_e32 v28, vcc, v32, v29, vcc
	v_addc_co_u32_e32 v27, vcc, 0, v27, vcc
	v_mul_lo_u32 v26, v23, v26
	v_add_co_u32_e32 v26, vcc, v28, v26
	v_addc_co_u32_e32 v27, vcc, 0, v27, vcc
	v_add_co_u32_e32 v26, vcc, v22, v26
	v_addc_co_u32_e32 v27, vcc, v23, v27, vcc
	v_ashrrev_i32_e32 v28, 31, v25
	v_add_co_u32_e32 v22, vcc, v24, v28
	v_addc_co_u32_e32 v23, vcc, v25, v28, vcc
	v_xor_b32_e32 v31, v22, v28
	v_xor_b32_e32 v29, v23, v28
	v_mad_u64_u32 v[22:23], s[0:1], v31, v27, 0
	v_mul_hi_u32 v24, v31, v26
	v_add_co_u32_e32 v32, vcc, v24, v22
	v_addc_co_u32_e32 v33, vcc, 0, v23, vcc
	v_mad_u64_u32 v[24:25], s[0:1], v29, v26, 0
	v_add_co_u32_e32 v24, vcc, v32, v24
	v_mad_u64_u32 v[22:23], s[0:1], v29, v27, 0
	v_addc_co_u32_e32 v24, vcc, v33, v25, vcc
	v_addc_co_u32_e32 v23, vcc, 0, v23, vcc
	v_add_co_u32_e32 v24, vcc, v24, v22
	v_addc_co_u32_e32 v25, vcc, 0, v23, vcc
	v_mul_lo_u32 v26, s11, v24
	v_mul_lo_u32 v27, s10, v25
	v_mad_u64_u32 v[22:23], s[0:1], s10, v24, 0
	v_add3_u32 v23, v23, v27, v26
	v_sub_u32_e32 v26, v29, v23
	v_mov_b32_e32 v27, s11
	v_sub_co_u32_e32 v22, vcc, v31, v22
	v_subb_co_u32_e64 v26, s[0:1], v26, v27, vcc
	v_subrev_co_u32_e64 v27, s[0:1], s10, v22
	v_subbrev_co_u32_e64 v26, s[0:1], 0, v26, s[0:1]
	v_cmp_le_u32_e64 s[0:1], s11, v26
	v_cndmask_b32_e64 v31, 0, -1, s[0:1]
	v_cmp_le_u32_e64 s[0:1], s10, v27
	v_cndmask_b32_e64 v27, 0, -1, s[0:1]
	v_cmp_eq_u32_e64 s[0:1], s11, v26
	v_cndmask_b32_e64 v26, v31, v27, s[0:1]
	v_add_co_u32_e64 v27, s[0:1], 2, v24
	v_subb_co_u32_e32 v23, vcc, v29, v23, vcc
	v_addc_co_u32_e64 v31, s[0:1], 0, v25, s[0:1]
	v_cmp_le_u32_e32 vcc, s11, v23
	v_add_co_u32_e64 v32, s[0:1], 1, v24
	v_cndmask_b32_e64 v29, 0, -1, vcc
	v_cmp_le_u32_e32 vcc, s10, v22
	v_addc_co_u32_e64 v33, s[0:1], 0, v25, s[0:1]
	v_cndmask_b32_e64 v22, 0, -1, vcc
	v_cmp_eq_u32_e32 vcc, s11, v23
	v_cmp_ne_u32_e64 s[0:1], 0, v26
	v_cndmask_b32_e32 v22, v29, v22, vcc
	v_cndmask_b32_e64 v26, v33, v31, s[0:1]
	v_cmp_ne_u32_e32 vcc, 0, v22
	v_cndmask_b32_e64 v23, v32, v27, s[0:1]
	v_cndmask_b32_e32 v22, v25, v26, vcc
	v_cndmask_b32_e32 v23, v24, v23, vcc
	v_xor_b32_e32 v24, s8, v28
	v_xor_b32_e32 v25, v22, v24
	;; [unrolled: 1-line block ×3, first 2 shown]
	v_sub_co_u32_e32 v22, vcc, v22, v24
	v_subb_co_u32_e32 v23, vcc, v25, v24, vcc
                                        ; implicit-def: $vgpr24
.LBB1154_43:
	s_andn2_saveexec_b64 s[0:1], s[2:3]
	s_cbranch_execz .LBB1154_45
; %bb.44:
	v_cvt_f32_u32_e32 v22, s38
	s_sub_i32 s2, 0, s38
	v_rcp_iflag_f32_e32 v22, v22
	v_mul_f32_e32 v22, 0x4f7ffffe, v22
	v_cvt_u32_f32_e32 v22, v22
	v_mul_lo_u32 v23, s2, v22
	v_mul_hi_u32 v23, v22, v23
	v_add_u32_e32 v22, v22, v23
	v_mul_hi_u32 v22, v24, v22
	v_mul_lo_u32 v23, v22, s38
	v_sub_u32_e32 v23, v24, v23
	v_add_u32_e32 v25, 1, v22
	v_subrev_u32_e32 v24, s38, v23
	v_cmp_le_u32_e32 vcc, s38, v23
	v_cndmask_b32_e32 v23, v23, v24, vcc
	v_cndmask_b32_e32 v22, v22, v25, vcc
	v_add_u32_e32 v24, 1, v22
	v_cmp_le_u32_e32 vcc, s38, v23
	v_cndmask_b32_e32 v22, v22, v24, vcc
	v_mov_b32_e32 v23, 0
.LBB1154_45:
	s_or_b64 exec, exec, s[0:1]
	v_add_co_u32_e32 v26, vcc, 0xb00, v30
	v_addc_co_u32_e32 v27, vcc, 0, v1, vcc
	v_or_b32_e32 v25, s39, v27
	v_mov_b32_e32 v24, 0
	v_cmp_ne_u64_e32 vcc, 0, v[24:25]
                                        ; implicit-def: $vgpr24_vgpr25
	s_and_saveexec_b64 s[0:1], vcc
	s_xor_b64 s[2:3], exec, s[0:1]
	s_cbranch_execz .LBB1154_47
; %bb.46:
	s_ashr_i32 s8, s39, 31
	s_add_u32 s0, s38, s8
	s_mov_b32 s9, s8
	s_addc_u32 s1, s39, s8
	s_xor_b64 s[10:11], s[0:1], s[8:9]
	v_cvt_f32_u32_e32 v24, s10
	v_cvt_f32_u32_e32 v25, s11
	s_sub_u32 s0, 0, s10
	s_subb_u32 s1, 0, s11
	v_madmk_f32 v24, v25, 0x4f800000, v24
	v_rcp_f32_e32 v24, v24
	v_mul_f32_e32 v24, 0x5f7ffffc, v24
	v_mul_f32_e32 v25, 0x2f800000, v24
	v_trunc_f32_e32 v25, v25
	v_madmk_f32 v24, v25, 0xcf800000, v24
	v_cvt_u32_f32_e32 v25, v25
	v_cvt_u32_f32_e32 v24, v24
	v_mul_lo_u32 v28, s0, v25
	v_mul_hi_u32 v31, s0, v24
	v_mul_lo_u32 v29, s1, v24
	v_add_u32_e32 v28, v31, v28
	v_mul_lo_u32 v32, s0, v24
	v_add_u32_e32 v28, v28, v29
	v_mul_lo_u32 v31, v24, v28
	v_mul_hi_u32 v33, v24, v32
	v_mul_hi_u32 v29, v24, v28
	v_add_co_u32_e32 v31, vcc, v33, v31
	v_addc_co_u32_e32 v29, vcc, 0, v29, vcc
	v_mul_hi_u32 v34, v25, v32
	v_mul_lo_u32 v32, v25, v32
	v_add_co_u32_e32 v31, vcc, v31, v32
	v_mul_hi_u32 v33, v25, v28
	v_addc_co_u32_e32 v29, vcc, v29, v34, vcc
	v_addc_co_u32_e32 v31, vcc, 0, v33, vcc
	v_mul_lo_u32 v28, v25, v28
	v_add_co_u32_e32 v28, vcc, v29, v28
	v_addc_co_u32_e32 v29, vcc, 0, v31, vcc
	v_add_co_u32_e32 v24, vcc, v24, v28
	v_addc_co_u32_e32 v25, vcc, v25, v29, vcc
	v_mul_lo_u32 v28, s0, v25
	v_mul_hi_u32 v29, s0, v24
	v_add_u32_e32 v28, v29, v28
	v_mul_lo_u32 v29, s1, v24
	v_add_u32_e32 v28, v28, v29
	v_mul_lo_u32 v31, s0, v24
	v_mul_hi_u32 v32, v25, v31
	v_mul_lo_u32 v33, v25, v31
	v_mul_lo_u32 v35, v24, v28
	v_mul_hi_u32 v31, v24, v31
	v_mul_hi_u32 v34, v24, v28
	v_add_co_u32_e32 v31, vcc, v31, v35
	v_addc_co_u32_e32 v34, vcc, 0, v34, vcc
	v_add_co_u32_e32 v31, vcc, v31, v33
	v_mul_hi_u32 v29, v25, v28
	v_addc_co_u32_e32 v31, vcc, v34, v32, vcc
	v_addc_co_u32_e32 v29, vcc, 0, v29, vcc
	v_mul_lo_u32 v28, v25, v28
	v_add_co_u32_e32 v28, vcc, v31, v28
	v_addc_co_u32_e32 v29, vcc, 0, v29, vcc
	v_add_co_u32_e32 v28, vcc, v24, v28
	v_addc_co_u32_e32 v29, vcc, v25, v29, vcc
	v_ashrrev_i32_e32 v31, 31, v27
	v_add_co_u32_e32 v24, vcc, v26, v31
	v_addc_co_u32_e32 v25, vcc, v27, v31, vcc
	v_xor_b32_e32 v33, v24, v31
	v_xor_b32_e32 v32, v25, v31
	v_mad_u64_u32 v[24:25], s[0:1], v33, v29, 0
	v_mul_hi_u32 v26, v33, v28
	v_add_co_u32_e32 v34, vcc, v26, v24
	v_addc_co_u32_e32 v35, vcc, 0, v25, vcc
	v_mad_u64_u32 v[26:27], s[0:1], v32, v28, 0
	v_add_co_u32_e32 v26, vcc, v34, v26
	v_mad_u64_u32 v[24:25], s[0:1], v32, v29, 0
	v_addc_co_u32_e32 v26, vcc, v35, v27, vcc
	v_addc_co_u32_e32 v25, vcc, 0, v25, vcc
	v_add_co_u32_e32 v26, vcc, v26, v24
	v_addc_co_u32_e32 v27, vcc, 0, v25, vcc
	v_mul_lo_u32 v28, s11, v26
	v_mul_lo_u32 v29, s10, v27
	v_mad_u64_u32 v[24:25], s[0:1], s10, v26, 0
	v_add3_u32 v25, v25, v29, v28
	v_sub_u32_e32 v28, v32, v25
	v_mov_b32_e32 v29, s11
	v_sub_co_u32_e32 v24, vcc, v33, v24
	v_subb_co_u32_e64 v28, s[0:1], v28, v29, vcc
	v_subrev_co_u32_e64 v29, s[0:1], s10, v24
	v_subbrev_co_u32_e64 v28, s[0:1], 0, v28, s[0:1]
	v_cmp_le_u32_e64 s[0:1], s11, v28
	v_cndmask_b32_e64 v33, 0, -1, s[0:1]
	v_cmp_le_u32_e64 s[0:1], s10, v29
	v_cndmask_b32_e64 v29, 0, -1, s[0:1]
	v_cmp_eq_u32_e64 s[0:1], s11, v28
	v_cndmask_b32_e64 v28, v33, v29, s[0:1]
	v_add_co_u32_e64 v29, s[0:1], 2, v26
	v_subb_co_u32_e32 v25, vcc, v32, v25, vcc
	v_addc_co_u32_e64 v33, s[0:1], 0, v27, s[0:1]
	v_cmp_le_u32_e32 vcc, s11, v25
	v_add_co_u32_e64 v34, s[0:1], 1, v26
	v_cndmask_b32_e64 v32, 0, -1, vcc
	v_cmp_le_u32_e32 vcc, s10, v24
	v_addc_co_u32_e64 v35, s[0:1], 0, v27, s[0:1]
	v_cndmask_b32_e64 v24, 0, -1, vcc
	v_cmp_eq_u32_e32 vcc, s11, v25
	v_cmp_ne_u32_e64 s[0:1], 0, v28
	v_cndmask_b32_e32 v24, v32, v24, vcc
	v_cndmask_b32_e64 v28, v35, v33, s[0:1]
	v_cmp_ne_u32_e32 vcc, 0, v24
	v_cndmask_b32_e64 v25, v34, v29, s[0:1]
	v_cndmask_b32_e32 v24, v27, v28, vcc
	v_cndmask_b32_e32 v25, v26, v25, vcc
	v_xor_b32_e32 v26, s8, v31
	v_xor_b32_e32 v27, v24, v26
	;; [unrolled: 1-line block ×3, first 2 shown]
	v_sub_co_u32_e32 v24, vcc, v24, v26
	v_subb_co_u32_e32 v25, vcc, v27, v26, vcc
                                        ; implicit-def: $vgpr26
.LBB1154_47:
	s_andn2_saveexec_b64 s[0:1], s[2:3]
	s_cbranch_execz .LBB1154_49
; %bb.48:
	v_cvt_f32_u32_e32 v24, s38
	s_sub_i32 s2, 0, s38
	v_rcp_iflag_f32_e32 v24, v24
	v_mul_f32_e32 v24, 0x4f7ffffe, v24
	v_cvt_u32_f32_e32 v24, v24
	v_mul_lo_u32 v25, s2, v24
	v_mul_hi_u32 v25, v24, v25
	v_add_u32_e32 v24, v24, v25
	v_mul_hi_u32 v24, v26, v24
	v_mul_lo_u32 v25, v24, s38
	v_sub_u32_e32 v25, v26, v25
	v_add_u32_e32 v27, 1, v24
	v_subrev_u32_e32 v26, s38, v25
	v_cmp_le_u32_e32 vcc, s38, v25
	v_cndmask_b32_e32 v25, v25, v26, vcc
	v_cndmask_b32_e32 v24, v24, v27, vcc
	v_add_u32_e32 v26, 1, v24
	v_cmp_le_u32_e32 vcc, s38, v25
	v_cndmask_b32_e32 v24, v24, v26, vcc
	v_mov_b32_e32 v25, 0
.LBB1154_49:
	s_or_b64 exec, exec, s[0:1]
	v_add_co_u32_e32 v28, vcc, 0xc00, v30
	v_addc_co_u32_e32 v29, vcc, 0, v1, vcc
	v_or_b32_e32 v27, s39, v29
	v_mov_b32_e32 v26, 0
	v_cmp_ne_u64_e32 vcc, 0, v[26:27]
                                        ; implicit-def: $vgpr26_vgpr27
	s_and_saveexec_b64 s[0:1], vcc
	s_xor_b64 s[2:3], exec, s[0:1]
	s_cbranch_execz .LBB1154_51
; %bb.50:
	s_ashr_i32 s8, s39, 31
	s_add_u32 s0, s38, s8
	s_mov_b32 s9, s8
	s_addc_u32 s1, s39, s8
	s_xor_b64 s[10:11], s[0:1], s[8:9]
	v_cvt_f32_u32_e32 v26, s10
	v_cvt_f32_u32_e32 v27, s11
	s_sub_u32 s0, 0, s10
	s_subb_u32 s1, 0, s11
	v_madmk_f32 v26, v27, 0x4f800000, v26
	v_rcp_f32_e32 v26, v26
	v_mul_f32_e32 v26, 0x5f7ffffc, v26
	v_mul_f32_e32 v27, 0x2f800000, v26
	v_trunc_f32_e32 v27, v27
	v_madmk_f32 v26, v27, 0xcf800000, v26
	v_cvt_u32_f32_e32 v27, v27
	v_cvt_u32_f32_e32 v26, v26
	v_mul_lo_u32 v31, s0, v27
	v_mul_hi_u32 v33, s0, v26
	v_mul_lo_u32 v32, s1, v26
	v_add_u32_e32 v31, v33, v31
	v_mul_lo_u32 v34, s0, v26
	v_add_u32_e32 v31, v31, v32
	v_mul_lo_u32 v33, v26, v31
	v_mul_hi_u32 v35, v26, v34
	v_mul_hi_u32 v32, v26, v31
	v_add_co_u32_e32 v33, vcc, v35, v33
	v_addc_co_u32_e32 v32, vcc, 0, v32, vcc
	v_mul_hi_u32 v36, v27, v34
	v_mul_lo_u32 v34, v27, v34
	v_add_co_u32_e32 v33, vcc, v33, v34
	v_mul_hi_u32 v35, v27, v31
	v_addc_co_u32_e32 v32, vcc, v32, v36, vcc
	v_addc_co_u32_e32 v33, vcc, 0, v35, vcc
	v_mul_lo_u32 v31, v27, v31
	v_add_co_u32_e32 v31, vcc, v32, v31
	v_addc_co_u32_e32 v32, vcc, 0, v33, vcc
	v_add_co_u32_e32 v26, vcc, v26, v31
	v_addc_co_u32_e32 v27, vcc, v27, v32, vcc
	v_mul_lo_u32 v31, s0, v27
	v_mul_hi_u32 v32, s0, v26
	v_add_u32_e32 v31, v32, v31
	v_mul_lo_u32 v32, s1, v26
	v_add_u32_e32 v31, v31, v32
	v_mul_lo_u32 v33, s0, v26
	v_mul_hi_u32 v34, v27, v33
	v_mul_lo_u32 v35, v27, v33
	v_mul_lo_u32 v37, v26, v31
	v_mul_hi_u32 v33, v26, v33
	v_mul_hi_u32 v36, v26, v31
	v_add_co_u32_e32 v33, vcc, v33, v37
	v_addc_co_u32_e32 v36, vcc, 0, v36, vcc
	v_add_co_u32_e32 v33, vcc, v33, v35
	v_mul_hi_u32 v32, v27, v31
	v_addc_co_u32_e32 v33, vcc, v36, v34, vcc
	v_addc_co_u32_e32 v32, vcc, 0, v32, vcc
	v_mul_lo_u32 v31, v27, v31
	v_add_co_u32_e32 v31, vcc, v33, v31
	v_addc_co_u32_e32 v32, vcc, 0, v32, vcc
	v_add_co_u32_e32 v31, vcc, v26, v31
	v_addc_co_u32_e32 v32, vcc, v27, v32, vcc
	v_ashrrev_i32_e32 v33, 31, v29
	v_add_co_u32_e32 v26, vcc, v28, v33
	v_addc_co_u32_e32 v27, vcc, v29, v33, vcc
	v_xor_b32_e32 v35, v26, v33
	v_xor_b32_e32 v34, v27, v33
	v_mad_u64_u32 v[26:27], s[0:1], v35, v32, 0
	v_mul_hi_u32 v28, v35, v31
	v_add_co_u32_e32 v36, vcc, v28, v26
	v_addc_co_u32_e32 v37, vcc, 0, v27, vcc
	v_mad_u64_u32 v[28:29], s[0:1], v34, v31, 0
	v_add_co_u32_e32 v28, vcc, v36, v28
	v_mad_u64_u32 v[26:27], s[0:1], v34, v32, 0
	v_addc_co_u32_e32 v28, vcc, v37, v29, vcc
	v_addc_co_u32_e32 v27, vcc, 0, v27, vcc
	v_add_co_u32_e32 v28, vcc, v28, v26
	v_addc_co_u32_e32 v29, vcc, 0, v27, vcc
	v_mul_lo_u32 v31, s11, v28
	v_mul_lo_u32 v32, s10, v29
	v_mad_u64_u32 v[26:27], s[0:1], s10, v28, 0
	v_add3_u32 v27, v27, v32, v31
	v_sub_u32_e32 v31, v34, v27
	v_mov_b32_e32 v32, s11
	v_sub_co_u32_e32 v26, vcc, v35, v26
	v_subb_co_u32_e64 v31, s[0:1], v31, v32, vcc
	v_subrev_co_u32_e64 v32, s[0:1], s10, v26
	v_subbrev_co_u32_e64 v31, s[0:1], 0, v31, s[0:1]
	v_cmp_le_u32_e64 s[0:1], s11, v31
	v_cndmask_b32_e64 v35, 0, -1, s[0:1]
	v_cmp_le_u32_e64 s[0:1], s10, v32
	v_cndmask_b32_e64 v32, 0, -1, s[0:1]
	v_cmp_eq_u32_e64 s[0:1], s11, v31
	v_cndmask_b32_e64 v31, v35, v32, s[0:1]
	v_add_co_u32_e64 v32, s[0:1], 2, v28
	v_subb_co_u32_e32 v27, vcc, v34, v27, vcc
	v_addc_co_u32_e64 v35, s[0:1], 0, v29, s[0:1]
	v_cmp_le_u32_e32 vcc, s11, v27
	v_add_co_u32_e64 v36, s[0:1], 1, v28
	v_cndmask_b32_e64 v34, 0, -1, vcc
	v_cmp_le_u32_e32 vcc, s10, v26
	v_addc_co_u32_e64 v37, s[0:1], 0, v29, s[0:1]
	v_cndmask_b32_e64 v26, 0, -1, vcc
	v_cmp_eq_u32_e32 vcc, s11, v27
	v_cmp_ne_u32_e64 s[0:1], 0, v31
	v_cndmask_b32_e32 v26, v34, v26, vcc
	v_cndmask_b32_e64 v31, v37, v35, s[0:1]
	v_cmp_ne_u32_e32 vcc, 0, v26
	v_cndmask_b32_e64 v27, v36, v32, s[0:1]
	v_cndmask_b32_e32 v26, v29, v31, vcc
	v_cndmask_b32_e32 v27, v28, v27, vcc
	v_xor_b32_e32 v28, s8, v33
	v_xor_b32_e32 v29, v26, v28
	;; [unrolled: 1-line block ×3, first 2 shown]
	v_sub_co_u32_e32 v26, vcc, v26, v28
	v_subb_co_u32_e32 v27, vcc, v29, v28, vcc
                                        ; implicit-def: $vgpr28
.LBB1154_51:
	s_andn2_saveexec_b64 s[0:1], s[2:3]
	s_cbranch_execz .LBB1154_53
; %bb.52:
	v_cvt_f32_u32_e32 v26, s38
	s_sub_i32 s2, 0, s38
	v_rcp_iflag_f32_e32 v26, v26
	v_mul_f32_e32 v26, 0x4f7ffffe, v26
	v_cvt_u32_f32_e32 v26, v26
	v_mul_lo_u32 v27, s2, v26
	v_mul_hi_u32 v27, v26, v27
	v_add_u32_e32 v26, v26, v27
	v_mul_hi_u32 v26, v28, v26
	v_mul_lo_u32 v27, v26, s38
	v_sub_u32_e32 v27, v28, v27
	v_add_u32_e32 v29, 1, v26
	v_subrev_u32_e32 v28, s38, v27
	v_cmp_le_u32_e32 vcc, s38, v27
	v_cndmask_b32_e32 v27, v27, v28, vcc
	v_cndmask_b32_e32 v26, v26, v29, vcc
	v_add_u32_e32 v28, 1, v26
	v_cmp_le_u32_e32 vcc, s38, v27
	v_cndmask_b32_e32 v26, v26, v28, vcc
	v_mov_b32_e32 v27, 0
.LBB1154_53:
	s_or_b64 exec, exec, s[0:1]
	v_add_co_u32_e32 v31, vcc, 0xd00, v30
	v_addc_co_u32_e32 v32, vcc, 0, v1, vcc
	v_or_b32_e32 v29, s39, v32
	v_mov_b32_e32 v28, 0
	v_cmp_ne_u64_e32 vcc, 0, v[28:29]
                                        ; implicit-def: $vgpr28_vgpr29
	s_and_saveexec_b64 s[0:1], vcc
	s_xor_b64 s[2:3], exec, s[0:1]
	s_cbranch_execz .LBB1154_55
; %bb.54:
	s_ashr_i32 s8, s39, 31
	s_add_u32 s0, s38, s8
	s_mov_b32 s9, s8
	s_addc_u32 s1, s39, s8
	s_xor_b64 s[10:11], s[0:1], s[8:9]
	v_cvt_f32_u32_e32 v28, s10
	v_cvt_f32_u32_e32 v29, s11
	s_sub_u32 s0, 0, s10
	s_subb_u32 s1, 0, s11
	v_madmk_f32 v28, v29, 0x4f800000, v28
	v_rcp_f32_e32 v28, v28
	v_mul_f32_e32 v28, 0x5f7ffffc, v28
	v_mul_f32_e32 v29, 0x2f800000, v28
	v_trunc_f32_e32 v29, v29
	v_madmk_f32 v28, v29, 0xcf800000, v28
	v_cvt_u32_f32_e32 v29, v29
	v_cvt_u32_f32_e32 v28, v28
	v_mul_lo_u32 v33, s0, v29
	v_mul_hi_u32 v35, s0, v28
	v_mul_lo_u32 v34, s1, v28
	v_add_u32_e32 v33, v35, v33
	v_mul_lo_u32 v36, s0, v28
	v_add_u32_e32 v33, v33, v34
	v_mul_lo_u32 v35, v28, v33
	v_mul_hi_u32 v37, v28, v36
	v_mul_hi_u32 v34, v28, v33
	v_add_co_u32_e32 v35, vcc, v37, v35
	v_addc_co_u32_e32 v34, vcc, 0, v34, vcc
	v_mul_hi_u32 v38, v29, v36
	v_mul_lo_u32 v36, v29, v36
	v_add_co_u32_e32 v35, vcc, v35, v36
	v_mul_hi_u32 v37, v29, v33
	v_addc_co_u32_e32 v34, vcc, v34, v38, vcc
	v_addc_co_u32_e32 v35, vcc, 0, v37, vcc
	v_mul_lo_u32 v33, v29, v33
	v_add_co_u32_e32 v33, vcc, v34, v33
	v_addc_co_u32_e32 v34, vcc, 0, v35, vcc
	v_add_co_u32_e32 v28, vcc, v28, v33
	v_addc_co_u32_e32 v29, vcc, v29, v34, vcc
	v_mul_lo_u32 v33, s0, v29
	v_mul_hi_u32 v34, s0, v28
	v_add_u32_e32 v33, v34, v33
	v_mul_lo_u32 v34, s1, v28
	v_add_u32_e32 v33, v33, v34
	v_mul_lo_u32 v35, s0, v28
	v_mul_hi_u32 v36, v29, v35
	v_mul_lo_u32 v37, v29, v35
	v_mul_lo_u32 v39, v28, v33
	v_mul_hi_u32 v35, v28, v35
	v_mul_hi_u32 v38, v28, v33
	v_add_co_u32_e32 v35, vcc, v35, v39
	v_addc_co_u32_e32 v38, vcc, 0, v38, vcc
	v_add_co_u32_e32 v35, vcc, v35, v37
	v_mul_hi_u32 v34, v29, v33
	v_addc_co_u32_e32 v35, vcc, v38, v36, vcc
	v_addc_co_u32_e32 v34, vcc, 0, v34, vcc
	v_mul_lo_u32 v33, v29, v33
	v_add_co_u32_e32 v33, vcc, v35, v33
	v_addc_co_u32_e32 v34, vcc, 0, v34, vcc
	v_add_co_u32_e32 v33, vcc, v28, v33
	v_addc_co_u32_e32 v34, vcc, v29, v34, vcc
	v_ashrrev_i32_e32 v35, 31, v32
	v_add_co_u32_e32 v28, vcc, v31, v35
	v_addc_co_u32_e32 v29, vcc, v32, v35, vcc
	v_xor_b32_e32 v36, v28, v35
	v_xor_b32_e32 v31, v29, v35
	v_mad_u64_u32 v[28:29], s[0:1], v36, v34, 0
	v_mul_hi_u32 v32, v36, v33
	v_add_co_u32_e32 v37, vcc, v32, v28
	v_addc_co_u32_e32 v38, vcc, 0, v29, vcc
	v_mad_u64_u32 v[32:33], s[0:1], v31, v33, 0
	v_add_co_u32_e32 v32, vcc, v37, v32
	v_mad_u64_u32 v[28:29], s[0:1], v31, v34, 0
	v_addc_co_u32_e32 v32, vcc, v38, v33, vcc
	v_addc_co_u32_e32 v29, vcc, 0, v29, vcc
	v_add_co_u32_e32 v32, vcc, v32, v28
	v_addc_co_u32_e32 v33, vcc, 0, v29, vcc
	v_mul_lo_u32 v34, s11, v32
	v_mul_lo_u32 v37, s10, v33
	v_mad_u64_u32 v[28:29], s[0:1], s10, v32, 0
	v_add3_u32 v29, v29, v37, v34
	v_sub_u32_e32 v34, v31, v29
	v_mov_b32_e32 v37, s11
	v_sub_co_u32_e32 v28, vcc, v36, v28
	v_subb_co_u32_e64 v34, s[0:1], v34, v37, vcc
	v_subrev_co_u32_e64 v36, s[0:1], s10, v28
	v_subbrev_co_u32_e64 v34, s[0:1], 0, v34, s[0:1]
	v_cmp_le_u32_e64 s[0:1], s11, v34
	v_cndmask_b32_e64 v37, 0, -1, s[0:1]
	v_cmp_le_u32_e64 s[0:1], s10, v36
	v_cndmask_b32_e64 v36, 0, -1, s[0:1]
	v_cmp_eq_u32_e64 s[0:1], s11, v34
	v_cndmask_b32_e64 v34, v37, v36, s[0:1]
	v_add_co_u32_e64 v36, s[0:1], 2, v32
	v_subb_co_u32_e32 v29, vcc, v31, v29, vcc
	v_addc_co_u32_e64 v37, s[0:1], 0, v33, s[0:1]
	v_cmp_le_u32_e32 vcc, s11, v29
	v_add_co_u32_e64 v38, s[0:1], 1, v32
	v_cndmask_b32_e64 v31, 0, -1, vcc
	v_cmp_le_u32_e32 vcc, s10, v28
	v_addc_co_u32_e64 v39, s[0:1], 0, v33, s[0:1]
	v_cndmask_b32_e64 v28, 0, -1, vcc
	v_cmp_eq_u32_e32 vcc, s11, v29
	v_cmp_ne_u32_e64 s[0:1], 0, v34
	v_cndmask_b32_e32 v28, v31, v28, vcc
	v_cndmask_b32_e64 v34, v39, v37, s[0:1]
	v_cmp_ne_u32_e32 vcc, 0, v28
	v_cndmask_b32_e64 v29, v38, v36, s[0:1]
	v_cndmask_b32_e32 v28, v33, v34, vcc
	v_cndmask_b32_e32 v29, v32, v29, vcc
	v_xor_b32_e32 v31, s8, v35
	v_xor_b32_e32 v32, v28, v31
	v_xor_b32_e32 v28, v29, v31
	v_sub_co_u32_e32 v28, vcc, v28, v31
	v_subb_co_u32_e32 v29, vcc, v32, v31, vcc
                                        ; implicit-def: $vgpr31
.LBB1154_55:
	s_andn2_saveexec_b64 s[0:1], s[2:3]
	s_cbranch_execz .LBB1154_57
; %bb.56:
	v_cvt_f32_u32_e32 v28, s38
	s_sub_i32 s2, 0, s38
	v_rcp_iflag_f32_e32 v28, v28
	v_mul_f32_e32 v28, 0x4f7ffffe, v28
	v_cvt_u32_f32_e32 v28, v28
	v_mul_lo_u32 v29, s2, v28
	v_mul_hi_u32 v29, v28, v29
	v_add_u32_e32 v28, v28, v29
	v_mul_hi_u32 v28, v31, v28
	v_mul_lo_u32 v29, v28, s38
	v_sub_u32_e32 v29, v31, v29
	v_add_u32_e32 v32, 1, v28
	v_subrev_u32_e32 v31, s38, v29
	v_cmp_le_u32_e32 vcc, s38, v29
	v_cndmask_b32_e32 v29, v29, v31, vcc
	v_cndmask_b32_e32 v28, v28, v32, vcc
	v_add_u32_e32 v31, 1, v28
	v_cmp_le_u32_e32 vcc, s38, v29
	v_cndmask_b32_e32 v28, v28, v31, vcc
	v_mov_b32_e32 v29, 0
.LBB1154_57:
	s_or_b64 exec, exec, s[0:1]
	v_add_co_u32_e32 v32, vcc, 0xe00, v30
	v_addc_co_u32_e32 v1, vcc, 0, v1, vcc
	v_or_b32_e32 v31, s39, v1
	v_mov_b32_e32 v30, 0
	v_cmp_ne_u64_e32 vcc, 0, v[30:31]
                                        ; implicit-def: $vgpr30_vgpr31
	s_and_saveexec_b64 s[0:1], vcc
	s_xor_b64 s[2:3], exec, s[0:1]
	s_cbranch_execz .LBB1154_59
; %bb.58:
	s_ashr_i32 s8, s39, 31
	s_add_u32 s0, s38, s8
	s_mov_b32 s9, s8
	s_addc_u32 s1, s39, s8
	s_xor_b64 s[10:11], s[0:1], s[8:9]
	v_cvt_f32_u32_e32 v30, s10
	v_cvt_f32_u32_e32 v31, s11
	s_sub_u32 s0, 0, s10
	s_subb_u32 s1, 0, s11
	v_madmk_f32 v30, v31, 0x4f800000, v30
	v_rcp_f32_e32 v30, v30
	v_mul_f32_e32 v30, 0x5f7ffffc, v30
	v_mul_f32_e32 v31, 0x2f800000, v30
	v_trunc_f32_e32 v31, v31
	v_madmk_f32 v30, v31, 0xcf800000, v30
	v_cvt_u32_f32_e32 v31, v31
	v_cvt_u32_f32_e32 v30, v30
	v_mul_lo_u32 v33, s0, v31
	v_mul_hi_u32 v35, s0, v30
	v_mul_lo_u32 v34, s1, v30
	v_add_u32_e32 v33, v35, v33
	v_mul_lo_u32 v36, s0, v30
	v_add_u32_e32 v33, v33, v34
	v_mul_lo_u32 v35, v30, v33
	v_mul_hi_u32 v37, v30, v36
	v_mul_hi_u32 v34, v30, v33
	v_add_co_u32_e32 v35, vcc, v37, v35
	v_addc_co_u32_e32 v34, vcc, 0, v34, vcc
	v_mul_hi_u32 v38, v31, v36
	v_mul_lo_u32 v36, v31, v36
	v_add_co_u32_e32 v35, vcc, v35, v36
	v_mul_hi_u32 v37, v31, v33
	v_addc_co_u32_e32 v34, vcc, v34, v38, vcc
	v_addc_co_u32_e32 v35, vcc, 0, v37, vcc
	v_mul_lo_u32 v33, v31, v33
	v_add_co_u32_e32 v33, vcc, v34, v33
	v_addc_co_u32_e32 v34, vcc, 0, v35, vcc
	v_add_co_u32_e32 v30, vcc, v30, v33
	v_addc_co_u32_e32 v31, vcc, v31, v34, vcc
	v_mul_lo_u32 v33, s0, v31
	v_mul_hi_u32 v34, s0, v30
	v_add_u32_e32 v33, v34, v33
	v_mul_lo_u32 v34, s1, v30
	v_add_u32_e32 v33, v33, v34
	v_mul_lo_u32 v35, s0, v30
	v_mul_hi_u32 v36, v31, v35
	v_mul_lo_u32 v37, v31, v35
	v_mul_lo_u32 v39, v30, v33
	v_mul_hi_u32 v35, v30, v35
	v_mul_hi_u32 v38, v30, v33
	v_add_co_u32_e32 v35, vcc, v35, v39
	v_addc_co_u32_e32 v38, vcc, 0, v38, vcc
	v_add_co_u32_e32 v35, vcc, v35, v37
	v_mul_hi_u32 v34, v31, v33
	v_addc_co_u32_e32 v35, vcc, v38, v36, vcc
	v_addc_co_u32_e32 v34, vcc, 0, v34, vcc
	v_mul_lo_u32 v33, v31, v33
	v_add_co_u32_e32 v33, vcc, v35, v33
	v_addc_co_u32_e32 v34, vcc, 0, v34, vcc
	v_add_co_u32_e32 v33, vcc, v30, v33
	v_addc_co_u32_e32 v34, vcc, v31, v34, vcc
	v_ashrrev_i32_e32 v35, 31, v1
	v_add_co_u32_e32 v30, vcc, v32, v35
	v_xor_b32_e32 v36, v30, v35
	v_addc_co_u32_e32 v1, vcc, v1, v35, vcc
	v_mad_u64_u32 v[30:31], s[0:1], v36, v34, 0
	v_mul_hi_u32 v32, v36, v33
	v_xor_b32_e32 v1, v1, v35
	v_add_co_u32_e32 v37, vcc, v32, v30
	v_addc_co_u32_e32 v38, vcc, 0, v31, vcc
	v_mad_u64_u32 v[32:33], s[0:1], v1, v33, 0
	v_add_co_u32_e32 v32, vcc, v37, v32
	v_mad_u64_u32 v[30:31], s[0:1], v1, v34, 0
	v_addc_co_u32_e32 v32, vcc, v38, v33, vcc
	v_addc_co_u32_e32 v31, vcc, 0, v31, vcc
	v_add_co_u32_e32 v32, vcc, v32, v30
	v_addc_co_u32_e32 v33, vcc, 0, v31, vcc
	v_mul_lo_u32 v34, s11, v32
	v_mul_lo_u32 v37, s10, v33
	v_mad_u64_u32 v[30:31], s[0:1], s10, v32, 0
	v_add3_u32 v31, v31, v37, v34
	v_sub_u32_e32 v34, v1, v31
	v_mov_b32_e32 v37, s11
	v_sub_co_u32_e32 v30, vcc, v36, v30
	v_subb_co_u32_e64 v34, s[0:1], v34, v37, vcc
	v_subrev_co_u32_e64 v36, s[0:1], s10, v30
	v_subbrev_co_u32_e64 v34, s[0:1], 0, v34, s[0:1]
	v_cmp_le_u32_e64 s[0:1], s11, v34
	v_cndmask_b32_e64 v37, 0, -1, s[0:1]
	v_cmp_le_u32_e64 s[0:1], s10, v36
	v_cndmask_b32_e64 v36, 0, -1, s[0:1]
	v_cmp_eq_u32_e64 s[0:1], s11, v34
	v_cndmask_b32_e64 v34, v37, v36, s[0:1]
	v_add_co_u32_e64 v36, s[0:1], 2, v32
	v_subb_co_u32_e32 v1, vcc, v1, v31, vcc
	v_addc_co_u32_e64 v37, s[0:1], 0, v33, s[0:1]
	v_cmp_le_u32_e32 vcc, s11, v1
	v_add_co_u32_e64 v38, s[0:1], 1, v32
	v_cndmask_b32_e64 v31, 0, -1, vcc
	v_cmp_le_u32_e32 vcc, s10, v30
	v_addc_co_u32_e64 v39, s[0:1], 0, v33, s[0:1]
	v_cndmask_b32_e64 v30, 0, -1, vcc
	v_cmp_eq_u32_e32 vcc, s11, v1
	v_cmp_ne_u32_e64 s[0:1], 0, v34
	v_cndmask_b32_e32 v1, v31, v30, vcc
	v_cmp_ne_u32_e32 vcc, 0, v1
	v_cndmask_b32_e64 v30, v38, v36, s[0:1]
	v_cndmask_b32_e64 v34, v39, v37, s[0:1]
	v_cndmask_b32_e32 v30, v32, v30, vcc
	v_xor_b32_e32 v31, s8, v35
	v_cndmask_b32_e32 v1, v33, v34, vcc
	v_xor_b32_e32 v30, v30, v31
	v_xor_b32_e32 v1, v1, v31
	v_sub_co_u32_e32 v30, vcc, v30, v31
	v_subb_co_u32_e32 v31, vcc, v1, v31, vcc
                                        ; implicit-def: $vgpr32
.LBB1154_59:
	s_andn2_saveexec_b64 s[0:1], s[2:3]
	s_cbranch_execz .LBB1154_61
; %bb.60:
	v_cvt_f32_u32_e32 v1, s38
	s_sub_i32 s2, 0, s38
	v_rcp_iflag_f32_e32 v1, v1
	v_mul_f32_e32 v1, 0x4f7ffffe, v1
	v_cvt_u32_f32_e32 v1, v1
	v_mul_lo_u32 v30, s2, v1
	v_mul_hi_u32 v30, v1, v30
	v_add_u32_e32 v1, v1, v30
	v_mul_hi_u32 v1, v32, v1
	v_mul_lo_u32 v30, v1, s38
	v_sub_u32_e32 v30, v32, v30
	v_add_u32_e32 v31, 1, v1
	v_subrev_u32_e32 v32, s38, v30
	v_cmp_le_u32_e32 vcc, s38, v30
	v_cndmask_b32_e32 v30, v30, v32, vcc
	v_cndmask_b32_e32 v1, v1, v31, vcc
	v_add_u32_e32 v31, 1, v1
	v_cmp_le_u32_e32 vcc, s38, v30
	v_cndmask_b32_e32 v30, v1, v31, vcc
	v_mov_b32_e32 v31, 0
.LBB1154_61:
	s_or_b64 exec, exec, s[0:1]
	v_lshlrev_b32_e32 v62, 3, v0
	s_movk_i32 s0, 0x70
	v_mad_u32_u24 v76, v0, s0, v62
	ds_write2st64_b64 v62, v[2:3], v[4:5] offset1:4
	ds_write2st64_b64 v62, v[6:7], v[8:9] offset0:8 offset1:12
	ds_write2st64_b64 v62, v[10:11], v[12:13] offset0:16 offset1:20
	;; [unrolled: 1-line block ×6, first 2 shown]
	ds_write_b64 v62, v[30:31] offset:28672
	s_waitcnt lgkmcnt(0)
	s_barrier
	ds_read2_b64 v[26:29], v76 offset1:1
	ds_read2_b64 v[22:25], v76 offset0:2 offset1:3
	ds_read2_b64 v[18:21], v76 offset0:4 offset1:5
	;; [unrolled: 1-line block ×6, first 2 shown]
	ds_read_b64 v[74:75], v76 offset:112
	v_mov_b32_e32 v1, s75
	v_add_co_u32_e32 v30, vcc, s74, v0
	v_addc_co_u32_e32 v1, vcc, 0, v1, vcc
	v_or_b32_e32 v33, s45, v1
	v_mov_b32_e32 v32, 0
	v_cmp_ne_u64_e32 vcc, 0, v[32:33]
	s_waitcnt lgkmcnt(0)
	s_barrier
	s_waitcnt lgkmcnt(0)
                                        ; implicit-def: $vgpr32_vgpr33
	s_and_saveexec_b64 s[0:1], vcc
	s_xor_b64 s[2:3], exec, s[0:1]
	s_cbranch_execz .LBB1154_63
; %bb.62:
	s_ashr_i32 s8, s45, 31
	s_add_u32 s0, s44, s8
	s_mov_b32 s9, s8
	s_addc_u32 s1, s45, s8
	s_xor_b64 s[10:11], s[0:1], s[8:9]
	v_cvt_f32_u32_e32 v31, s10
	v_cvt_f32_u32_e32 v32, s11
	s_sub_u32 s0, 0, s10
	s_subb_u32 s1, 0, s11
	v_madmk_f32 v31, v32, 0x4f800000, v31
	v_rcp_f32_e32 v31, v31
	v_mul_f32_e32 v31, 0x5f7ffffc, v31
	v_mul_f32_e32 v32, 0x2f800000, v31
	v_trunc_f32_e32 v32, v32
	v_madmk_f32 v31, v32, 0xcf800000, v31
	v_cvt_u32_f32_e32 v32, v32
	v_cvt_u32_f32_e32 v31, v31
	v_mul_lo_u32 v33, s0, v32
	v_mul_hi_u32 v35, s0, v31
	v_mul_lo_u32 v34, s1, v31
	v_add_u32_e32 v33, v35, v33
	v_mul_lo_u32 v36, s0, v31
	v_add_u32_e32 v33, v33, v34
	v_mul_lo_u32 v35, v31, v33
	v_mul_hi_u32 v37, v31, v36
	v_mul_hi_u32 v34, v31, v33
	v_add_co_u32_e32 v35, vcc, v37, v35
	v_addc_co_u32_e32 v34, vcc, 0, v34, vcc
	v_mul_hi_u32 v38, v32, v36
	v_mul_lo_u32 v36, v32, v36
	v_add_co_u32_e32 v35, vcc, v35, v36
	v_mul_hi_u32 v37, v32, v33
	v_addc_co_u32_e32 v34, vcc, v34, v38, vcc
	v_addc_co_u32_e32 v35, vcc, 0, v37, vcc
	v_mul_lo_u32 v33, v32, v33
	v_add_co_u32_e32 v33, vcc, v34, v33
	v_addc_co_u32_e32 v34, vcc, 0, v35, vcc
	v_add_co_u32_e32 v31, vcc, v31, v33
	v_addc_co_u32_e32 v32, vcc, v32, v34, vcc
	v_mul_lo_u32 v33, s0, v32
	v_mul_hi_u32 v34, s0, v31
	v_add_u32_e32 v33, v34, v33
	v_mul_lo_u32 v34, s1, v31
	v_add_u32_e32 v33, v33, v34
	v_mul_lo_u32 v35, s0, v31
	v_mul_hi_u32 v36, v32, v35
	v_mul_lo_u32 v37, v32, v35
	v_mul_lo_u32 v39, v31, v33
	v_mul_hi_u32 v35, v31, v35
	v_mul_hi_u32 v38, v31, v33
	v_add_co_u32_e32 v35, vcc, v35, v39
	v_addc_co_u32_e32 v38, vcc, 0, v38, vcc
	v_add_co_u32_e32 v35, vcc, v35, v37
	v_mul_hi_u32 v34, v32, v33
	v_addc_co_u32_e32 v35, vcc, v38, v36, vcc
	v_addc_co_u32_e32 v34, vcc, 0, v34, vcc
	v_mul_lo_u32 v33, v32, v33
	v_add_co_u32_e32 v33, vcc, v35, v33
	v_addc_co_u32_e32 v34, vcc, 0, v34, vcc
	v_add_co_u32_e32 v31, vcc, v31, v33
	v_addc_co_u32_e32 v34, vcc, v32, v34, vcc
	v_ashrrev_i32_e32 v36, 31, v1
	v_add_co_u32_e32 v32, vcc, v30, v36
	v_addc_co_u32_e32 v33, vcc, v1, v36, vcc
	v_xor_b32_e32 v38, v32, v36
	v_xor_b32_e32 v37, v33, v36
	v_mad_u64_u32 v[32:33], s[0:1], v38, v34, 0
	v_mul_hi_u32 v35, v38, v31
	v_add_co_u32_e32 v39, vcc, v35, v32
	v_addc_co_u32_e32 v40, vcc, 0, v33, vcc
	v_mad_u64_u32 v[32:33], s[0:1], v37, v34, 0
	v_mad_u64_u32 v[34:35], s[0:1], v37, v31, 0
	v_add_co_u32_e32 v31, vcc, v39, v34
	v_addc_co_u32_e32 v31, vcc, v40, v35, vcc
	v_addc_co_u32_e32 v33, vcc, 0, v33, vcc
	v_add_co_u32_e32 v31, vcc, v31, v32
	v_addc_co_u32_e32 v34, vcc, 0, v33, vcc
	v_mul_lo_u32 v35, s11, v31
	v_mul_lo_u32 v39, s10, v34
	v_mad_u64_u32 v[32:33], s[0:1], s10, v31, 0
	v_add3_u32 v33, v33, v39, v35
	v_sub_u32_e32 v35, v37, v33
	v_mov_b32_e32 v39, s11
	v_sub_co_u32_e32 v32, vcc, v38, v32
	v_subb_co_u32_e64 v35, s[0:1], v35, v39, vcc
	v_subrev_co_u32_e64 v38, s[0:1], s10, v32
	v_subbrev_co_u32_e64 v35, s[0:1], 0, v35, s[0:1]
	v_cmp_le_u32_e64 s[0:1], s11, v35
	v_cndmask_b32_e64 v39, 0, -1, s[0:1]
	v_cmp_le_u32_e64 s[0:1], s10, v38
	v_cndmask_b32_e64 v38, 0, -1, s[0:1]
	v_cmp_eq_u32_e64 s[0:1], s11, v35
	v_cndmask_b32_e64 v35, v39, v38, s[0:1]
	v_add_co_u32_e64 v38, s[0:1], 2, v31
	v_subb_co_u32_e32 v33, vcc, v37, v33, vcc
	v_addc_co_u32_e64 v39, s[0:1], 0, v34, s[0:1]
	v_cmp_le_u32_e32 vcc, s11, v33
	v_add_co_u32_e64 v40, s[0:1], 1, v31
	v_cndmask_b32_e64 v37, 0, -1, vcc
	v_cmp_le_u32_e32 vcc, s10, v32
	v_addc_co_u32_e64 v41, s[0:1], 0, v34, s[0:1]
	v_cndmask_b32_e64 v32, 0, -1, vcc
	v_cmp_eq_u32_e32 vcc, s11, v33
	v_cmp_ne_u32_e64 s[0:1], 0, v35
	v_cndmask_b32_e32 v32, v37, v32, vcc
	v_cmp_ne_u32_e32 vcc, 0, v32
	v_cndmask_b32_e64 v33, v40, v38, s[0:1]
	v_cndmask_b32_e64 v35, v41, v39, s[0:1]
	v_cndmask_b32_e32 v31, v31, v33, vcc
	v_xor_b32_e32 v33, s8, v36
	v_cndmask_b32_e32 v32, v34, v35, vcc
	v_xor_b32_e32 v31, v31, v33
	v_xor_b32_e32 v34, v32, v33
	v_sub_co_u32_e32 v32, vcc, v31, v33
	v_subb_co_u32_e32 v33, vcc, v34, v33, vcc
.LBB1154_63:
	s_andn2_saveexec_b64 s[0:1], s[2:3]
	s_cbranch_execz .LBB1154_65
; %bb.64:
	v_cvt_f32_u32_e32 v31, s44
	s_sub_i32 s2, 0, s44
	v_rcp_iflag_f32_e32 v31, v31
	v_mul_f32_e32 v31, 0x4f7ffffe, v31
	v_cvt_u32_f32_e32 v31, v31
	v_mul_lo_u32 v32, s2, v31
	v_mul_hi_u32 v32, v31, v32
	v_add_u32_e32 v31, v31, v32
	v_mul_hi_u32 v31, v30, v31
	v_mul_lo_u32 v32, v31, s44
	v_sub_u32_e32 v32, v30, v32
	v_add_u32_e32 v33, 1, v31
	v_subrev_u32_e32 v34, s44, v32
	v_cmp_le_u32_e32 vcc, s44, v32
	v_cndmask_b32_e32 v32, v32, v34, vcc
	v_cndmask_b32_e32 v31, v31, v33, vcc
	v_add_u32_e32 v33, 1, v31
	v_cmp_le_u32_e32 vcc, s44, v32
	v_cndmask_b32_e32 v32, v31, v33, vcc
	v_mov_b32_e32 v33, 0
.LBB1154_65:
	s_or_b64 exec, exec, s[0:1]
	v_add_co_u32_e32 v31, vcc, 0x100, v30
	v_addc_co_u32_e32 v63, vcc, 0, v1, vcc
	v_or_b32_e32 v35, s45, v63
	v_mov_b32_e32 v34, 0
	v_cmp_ne_u64_e32 vcc, 0, v[34:35]
                                        ; implicit-def: $vgpr34_vgpr35
	s_and_saveexec_b64 s[0:1], vcc
	s_xor_b64 s[2:3], exec, s[0:1]
	s_cbranch_execz .LBB1154_67
; %bb.66:
	s_ashr_i32 s8, s45, 31
	s_add_u32 s0, s44, s8
	s_mov_b32 s9, s8
	s_addc_u32 s1, s45, s8
	s_xor_b64 s[10:11], s[0:1], s[8:9]
	v_cvt_f32_u32_e32 v34, s10
	v_cvt_f32_u32_e32 v35, s11
	s_sub_u32 s0, 0, s10
	s_subb_u32 s1, 0, s11
	v_madmk_f32 v34, v35, 0x4f800000, v34
	v_rcp_f32_e32 v34, v34
	v_mul_f32_e32 v34, 0x5f7ffffc, v34
	v_mul_f32_e32 v35, 0x2f800000, v34
	v_trunc_f32_e32 v35, v35
	v_madmk_f32 v34, v35, 0xcf800000, v34
	v_cvt_u32_f32_e32 v35, v35
	v_cvt_u32_f32_e32 v34, v34
	v_mul_lo_u32 v36, s0, v35
	v_mul_hi_u32 v38, s0, v34
	v_mul_lo_u32 v37, s1, v34
	v_add_u32_e32 v36, v38, v36
	v_mul_lo_u32 v39, s0, v34
	v_add_u32_e32 v36, v36, v37
	v_mul_lo_u32 v38, v34, v36
	v_mul_hi_u32 v40, v34, v39
	v_mul_hi_u32 v37, v34, v36
	v_add_co_u32_e32 v38, vcc, v40, v38
	v_addc_co_u32_e32 v37, vcc, 0, v37, vcc
	v_mul_hi_u32 v41, v35, v39
	v_mul_lo_u32 v39, v35, v39
	v_add_co_u32_e32 v38, vcc, v38, v39
	v_mul_hi_u32 v40, v35, v36
	v_addc_co_u32_e32 v37, vcc, v37, v41, vcc
	v_addc_co_u32_e32 v38, vcc, 0, v40, vcc
	v_mul_lo_u32 v36, v35, v36
	v_add_co_u32_e32 v36, vcc, v37, v36
	v_addc_co_u32_e32 v37, vcc, 0, v38, vcc
	v_add_co_u32_e32 v34, vcc, v34, v36
	v_addc_co_u32_e32 v35, vcc, v35, v37, vcc
	v_mul_lo_u32 v36, s0, v35
	v_mul_hi_u32 v37, s0, v34
	v_add_u32_e32 v36, v37, v36
	v_mul_lo_u32 v37, s1, v34
	v_add_u32_e32 v36, v36, v37
	v_mul_lo_u32 v38, s0, v34
	v_mul_hi_u32 v39, v35, v38
	v_mul_lo_u32 v40, v35, v38
	v_mul_lo_u32 v42, v34, v36
	v_mul_hi_u32 v38, v34, v38
	v_mul_hi_u32 v41, v34, v36
	v_add_co_u32_e32 v38, vcc, v38, v42
	v_addc_co_u32_e32 v41, vcc, 0, v41, vcc
	v_add_co_u32_e32 v38, vcc, v38, v40
	v_mul_hi_u32 v37, v35, v36
	v_addc_co_u32_e32 v38, vcc, v41, v39, vcc
	v_addc_co_u32_e32 v37, vcc, 0, v37, vcc
	v_mul_lo_u32 v36, v35, v36
	v_add_co_u32_e32 v36, vcc, v38, v36
	v_addc_co_u32_e32 v37, vcc, 0, v37, vcc
	v_add_co_u32_e32 v36, vcc, v34, v36
	v_addc_co_u32_e32 v37, vcc, v35, v37, vcc
	v_ashrrev_i32_e32 v38, 31, v63
	v_add_co_u32_e32 v34, vcc, v31, v38
	v_addc_co_u32_e32 v35, vcc, v63, v38, vcc
	v_xor_b32_e32 v40, v34, v38
	v_xor_b32_e32 v39, v35, v38
	v_mad_u64_u32 v[34:35], s[0:1], v40, v37, 0
	v_mul_hi_u32 v41, v40, v36
	v_add_co_u32_e32 v41, vcc, v41, v34
	v_addc_co_u32_e32 v42, vcc, 0, v35, vcc
	v_mad_u64_u32 v[34:35], s[0:1], v39, v37, 0
	v_mad_u64_u32 v[36:37], s[0:1], v39, v36, 0
	v_add_co_u32_e32 v36, vcc, v41, v36
	v_addc_co_u32_e32 v36, vcc, v42, v37, vcc
	v_addc_co_u32_e32 v35, vcc, 0, v35, vcc
	v_add_co_u32_e32 v36, vcc, v36, v34
	v_addc_co_u32_e32 v37, vcc, 0, v35, vcc
	v_mul_lo_u32 v41, s11, v36
	v_mul_lo_u32 v42, s10, v37
	v_mad_u64_u32 v[34:35], s[0:1], s10, v36, 0
	v_add3_u32 v35, v35, v42, v41
	v_sub_u32_e32 v41, v39, v35
	v_mov_b32_e32 v42, s11
	v_sub_co_u32_e32 v34, vcc, v40, v34
	v_subb_co_u32_e64 v40, s[0:1], v41, v42, vcc
	v_subrev_co_u32_e64 v41, s[0:1], s10, v34
	v_subbrev_co_u32_e64 v40, s[0:1], 0, v40, s[0:1]
	v_cmp_le_u32_e64 s[0:1], s11, v40
	v_cndmask_b32_e64 v42, 0, -1, s[0:1]
	v_cmp_le_u32_e64 s[0:1], s10, v41
	v_cndmask_b32_e64 v41, 0, -1, s[0:1]
	v_cmp_eq_u32_e64 s[0:1], s11, v40
	v_cndmask_b32_e64 v40, v42, v41, s[0:1]
	v_add_co_u32_e64 v41, s[0:1], 2, v36
	v_subb_co_u32_e32 v35, vcc, v39, v35, vcc
	v_addc_co_u32_e64 v42, s[0:1], 0, v37, s[0:1]
	v_cmp_le_u32_e32 vcc, s11, v35
	v_add_co_u32_e64 v43, s[0:1], 1, v36
	v_cndmask_b32_e64 v39, 0, -1, vcc
	v_cmp_le_u32_e32 vcc, s10, v34
	v_addc_co_u32_e64 v44, s[0:1], 0, v37, s[0:1]
	v_cndmask_b32_e64 v34, 0, -1, vcc
	v_cmp_eq_u32_e32 vcc, s11, v35
	v_cmp_ne_u32_e64 s[0:1], 0, v40
	v_cndmask_b32_e32 v34, v39, v34, vcc
	v_cndmask_b32_e64 v40, v44, v42, s[0:1]
	v_cmp_ne_u32_e32 vcc, 0, v34
	v_cndmask_b32_e64 v35, v43, v41, s[0:1]
	v_cndmask_b32_e32 v34, v37, v40, vcc
	v_cndmask_b32_e32 v35, v36, v35, vcc
	v_xor_b32_e32 v36, s8, v38
	v_xor_b32_e32 v37, v34, v36
	;; [unrolled: 1-line block ×3, first 2 shown]
	v_sub_co_u32_e32 v34, vcc, v34, v36
	v_subb_co_u32_e32 v35, vcc, v37, v36, vcc
.LBB1154_67:
	s_andn2_saveexec_b64 s[0:1], s[2:3]
	s_cbranch_execz .LBB1154_69
; %bb.68:
	v_cvt_f32_u32_e32 v34, s44
	s_sub_i32 s2, 0, s44
	v_rcp_iflag_f32_e32 v34, v34
	v_mul_f32_e32 v34, 0x4f7ffffe, v34
	v_cvt_u32_f32_e32 v34, v34
	v_mul_lo_u32 v35, s2, v34
	v_mul_hi_u32 v35, v34, v35
	v_add_u32_e32 v34, v34, v35
	v_mul_hi_u32 v34, v31, v34
	v_mul_lo_u32 v35, v34, s44
	v_sub_u32_e32 v35, v31, v35
	v_add_u32_e32 v36, 1, v34
	v_subrev_u32_e32 v37, s44, v35
	v_cmp_le_u32_e32 vcc, s44, v35
	v_cndmask_b32_e32 v35, v35, v37, vcc
	v_cndmask_b32_e32 v34, v34, v36, vcc
	v_add_u32_e32 v36, 1, v34
	v_cmp_le_u32_e32 vcc, s44, v35
	v_cndmask_b32_e32 v34, v34, v36, vcc
	v_mov_b32_e32 v35, 0
.LBB1154_69:
	s_or_b64 exec, exec, s[0:1]
	v_add_co_u32_e32 v64, vcc, 0x200, v30
	v_addc_co_u32_e32 v65, vcc, 0, v1, vcc
	v_or_b32_e32 v37, s45, v65
	v_mov_b32_e32 v36, 0
	v_cmp_ne_u64_e32 vcc, 0, v[36:37]
                                        ; implicit-def: $vgpr36_vgpr37
	s_and_saveexec_b64 s[0:1], vcc
	s_xor_b64 s[2:3], exec, s[0:1]
	s_cbranch_execz .LBB1154_71
; %bb.70:
	s_ashr_i32 s8, s45, 31
	s_add_u32 s0, s44, s8
	s_mov_b32 s9, s8
	s_addc_u32 s1, s45, s8
	s_xor_b64 s[10:11], s[0:1], s[8:9]
	v_cvt_f32_u32_e32 v36, s10
	v_cvt_f32_u32_e32 v37, s11
	s_sub_u32 s0, 0, s10
	s_subb_u32 s1, 0, s11
	v_madmk_f32 v36, v37, 0x4f800000, v36
	v_rcp_f32_e32 v36, v36
	v_mul_f32_e32 v36, 0x5f7ffffc, v36
	v_mul_f32_e32 v37, 0x2f800000, v36
	v_trunc_f32_e32 v37, v37
	v_madmk_f32 v36, v37, 0xcf800000, v36
	v_cvt_u32_f32_e32 v37, v37
	v_cvt_u32_f32_e32 v36, v36
	v_mul_lo_u32 v38, s0, v37
	v_mul_hi_u32 v40, s0, v36
	v_mul_lo_u32 v39, s1, v36
	v_add_u32_e32 v38, v40, v38
	v_mul_lo_u32 v41, s0, v36
	v_add_u32_e32 v38, v38, v39
	v_mul_lo_u32 v40, v36, v38
	v_mul_hi_u32 v42, v36, v41
	v_mul_hi_u32 v39, v36, v38
	v_add_co_u32_e32 v40, vcc, v42, v40
	v_addc_co_u32_e32 v39, vcc, 0, v39, vcc
	v_mul_hi_u32 v43, v37, v41
	v_mul_lo_u32 v41, v37, v41
	v_add_co_u32_e32 v40, vcc, v40, v41
	v_mul_hi_u32 v42, v37, v38
	v_addc_co_u32_e32 v39, vcc, v39, v43, vcc
	v_addc_co_u32_e32 v40, vcc, 0, v42, vcc
	v_mul_lo_u32 v38, v37, v38
	v_add_co_u32_e32 v38, vcc, v39, v38
	v_addc_co_u32_e32 v39, vcc, 0, v40, vcc
	v_add_co_u32_e32 v36, vcc, v36, v38
	v_addc_co_u32_e32 v37, vcc, v37, v39, vcc
	v_mul_lo_u32 v38, s0, v37
	v_mul_hi_u32 v39, s0, v36
	v_add_u32_e32 v38, v39, v38
	v_mul_lo_u32 v39, s1, v36
	v_add_u32_e32 v38, v38, v39
	v_mul_lo_u32 v40, s0, v36
	v_mul_hi_u32 v41, v37, v40
	v_mul_lo_u32 v42, v37, v40
	v_mul_lo_u32 v44, v36, v38
	v_mul_hi_u32 v40, v36, v40
	v_mul_hi_u32 v43, v36, v38
	v_add_co_u32_e32 v40, vcc, v40, v44
	v_addc_co_u32_e32 v43, vcc, 0, v43, vcc
	v_add_co_u32_e32 v40, vcc, v40, v42
	v_mul_hi_u32 v39, v37, v38
	v_addc_co_u32_e32 v40, vcc, v43, v41, vcc
	v_addc_co_u32_e32 v39, vcc, 0, v39, vcc
	v_mul_lo_u32 v38, v37, v38
	v_add_co_u32_e32 v38, vcc, v40, v38
	v_addc_co_u32_e32 v39, vcc, 0, v39, vcc
	v_add_co_u32_e32 v38, vcc, v36, v38
	v_addc_co_u32_e32 v39, vcc, v37, v39, vcc
	v_ashrrev_i32_e32 v40, 31, v65
	v_add_co_u32_e32 v36, vcc, v64, v40
	v_addc_co_u32_e32 v37, vcc, v65, v40, vcc
	v_xor_b32_e32 v42, v36, v40
	v_xor_b32_e32 v41, v37, v40
	v_mad_u64_u32 v[36:37], s[0:1], v42, v39, 0
	v_mul_hi_u32 v43, v42, v38
	v_add_co_u32_e32 v43, vcc, v43, v36
	v_addc_co_u32_e32 v44, vcc, 0, v37, vcc
	v_mad_u64_u32 v[36:37], s[0:1], v41, v39, 0
	v_mad_u64_u32 v[38:39], s[0:1], v41, v38, 0
	v_add_co_u32_e32 v38, vcc, v43, v38
	v_addc_co_u32_e32 v38, vcc, v44, v39, vcc
	v_addc_co_u32_e32 v37, vcc, 0, v37, vcc
	v_add_co_u32_e32 v38, vcc, v38, v36
	v_addc_co_u32_e32 v39, vcc, 0, v37, vcc
	v_mul_lo_u32 v43, s11, v38
	v_mul_lo_u32 v44, s10, v39
	v_mad_u64_u32 v[36:37], s[0:1], s10, v38, 0
	v_add3_u32 v37, v37, v44, v43
	v_sub_u32_e32 v43, v41, v37
	v_mov_b32_e32 v44, s11
	v_sub_co_u32_e32 v36, vcc, v42, v36
	v_subb_co_u32_e64 v42, s[0:1], v43, v44, vcc
	v_subrev_co_u32_e64 v43, s[0:1], s10, v36
	v_subbrev_co_u32_e64 v42, s[0:1], 0, v42, s[0:1]
	v_cmp_le_u32_e64 s[0:1], s11, v42
	v_cndmask_b32_e64 v44, 0, -1, s[0:1]
	v_cmp_le_u32_e64 s[0:1], s10, v43
	v_cndmask_b32_e64 v43, 0, -1, s[0:1]
	v_cmp_eq_u32_e64 s[0:1], s11, v42
	v_cndmask_b32_e64 v42, v44, v43, s[0:1]
	v_add_co_u32_e64 v43, s[0:1], 2, v38
	v_subb_co_u32_e32 v37, vcc, v41, v37, vcc
	v_addc_co_u32_e64 v44, s[0:1], 0, v39, s[0:1]
	v_cmp_le_u32_e32 vcc, s11, v37
	v_add_co_u32_e64 v45, s[0:1], 1, v38
	v_cndmask_b32_e64 v41, 0, -1, vcc
	v_cmp_le_u32_e32 vcc, s10, v36
	v_addc_co_u32_e64 v46, s[0:1], 0, v39, s[0:1]
	v_cndmask_b32_e64 v36, 0, -1, vcc
	v_cmp_eq_u32_e32 vcc, s11, v37
	v_cmp_ne_u32_e64 s[0:1], 0, v42
	v_cndmask_b32_e32 v36, v41, v36, vcc
	v_cndmask_b32_e64 v42, v46, v44, s[0:1]
	v_cmp_ne_u32_e32 vcc, 0, v36
	v_cndmask_b32_e64 v37, v45, v43, s[0:1]
	v_cndmask_b32_e32 v36, v39, v42, vcc
	v_cndmask_b32_e32 v37, v38, v37, vcc
	v_xor_b32_e32 v38, s8, v40
	v_xor_b32_e32 v39, v36, v38
	;; [unrolled: 1-line block ×3, first 2 shown]
	v_sub_co_u32_e32 v36, vcc, v36, v38
	v_subb_co_u32_e32 v37, vcc, v39, v38, vcc
.LBB1154_71:
	s_andn2_saveexec_b64 s[0:1], s[2:3]
	s_cbranch_execz .LBB1154_73
; %bb.72:
	v_cvt_f32_u32_e32 v36, s44
	s_sub_i32 s2, 0, s44
	v_rcp_iflag_f32_e32 v36, v36
	v_mul_f32_e32 v36, 0x4f7ffffe, v36
	v_cvt_u32_f32_e32 v36, v36
	v_mul_lo_u32 v37, s2, v36
	v_mul_hi_u32 v37, v36, v37
	v_add_u32_e32 v36, v36, v37
	v_mul_hi_u32 v36, v64, v36
	v_mul_lo_u32 v37, v36, s44
	v_sub_u32_e32 v37, v64, v37
	v_add_u32_e32 v38, 1, v36
	v_subrev_u32_e32 v39, s44, v37
	v_cmp_le_u32_e32 vcc, s44, v37
	v_cndmask_b32_e32 v37, v37, v39, vcc
	v_cndmask_b32_e32 v36, v36, v38, vcc
	v_add_u32_e32 v38, 1, v36
	v_cmp_le_u32_e32 vcc, s44, v37
	v_cndmask_b32_e32 v36, v36, v38, vcc
	v_mov_b32_e32 v37, 0
.LBB1154_73:
	s_or_b64 exec, exec, s[0:1]
	v_add_co_u32_e32 v66, vcc, 0x300, v30
	v_addc_co_u32_e32 v67, vcc, 0, v1, vcc
	v_or_b32_e32 v39, s45, v67
	v_mov_b32_e32 v38, 0
	v_cmp_ne_u64_e32 vcc, 0, v[38:39]
                                        ; implicit-def: $vgpr38_vgpr39
	s_and_saveexec_b64 s[0:1], vcc
	s_xor_b64 s[2:3], exec, s[0:1]
	s_cbranch_execz .LBB1154_75
; %bb.74:
	s_ashr_i32 s8, s45, 31
	s_add_u32 s0, s44, s8
	s_mov_b32 s9, s8
	s_addc_u32 s1, s45, s8
	s_xor_b64 s[10:11], s[0:1], s[8:9]
	v_cvt_f32_u32_e32 v38, s10
	v_cvt_f32_u32_e32 v39, s11
	s_sub_u32 s0, 0, s10
	s_subb_u32 s1, 0, s11
	v_madmk_f32 v38, v39, 0x4f800000, v38
	v_rcp_f32_e32 v38, v38
	v_mul_f32_e32 v38, 0x5f7ffffc, v38
	v_mul_f32_e32 v39, 0x2f800000, v38
	v_trunc_f32_e32 v39, v39
	v_madmk_f32 v38, v39, 0xcf800000, v38
	v_cvt_u32_f32_e32 v39, v39
	v_cvt_u32_f32_e32 v38, v38
	v_mul_lo_u32 v40, s0, v39
	v_mul_hi_u32 v42, s0, v38
	v_mul_lo_u32 v41, s1, v38
	v_add_u32_e32 v40, v42, v40
	v_mul_lo_u32 v43, s0, v38
	v_add_u32_e32 v40, v40, v41
	v_mul_lo_u32 v42, v38, v40
	v_mul_hi_u32 v44, v38, v43
	v_mul_hi_u32 v41, v38, v40
	v_add_co_u32_e32 v42, vcc, v44, v42
	v_addc_co_u32_e32 v41, vcc, 0, v41, vcc
	v_mul_hi_u32 v45, v39, v43
	v_mul_lo_u32 v43, v39, v43
	v_add_co_u32_e32 v42, vcc, v42, v43
	v_mul_hi_u32 v44, v39, v40
	v_addc_co_u32_e32 v41, vcc, v41, v45, vcc
	v_addc_co_u32_e32 v42, vcc, 0, v44, vcc
	v_mul_lo_u32 v40, v39, v40
	v_add_co_u32_e32 v40, vcc, v41, v40
	v_addc_co_u32_e32 v41, vcc, 0, v42, vcc
	v_add_co_u32_e32 v38, vcc, v38, v40
	v_addc_co_u32_e32 v39, vcc, v39, v41, vcc
	v_mul_lo_u32 v40, s0, v39
	v_mul_hi_u32 v41, s0, v38
	v_add_u32_e32 v40, v41, v40
	v_mul_lo_u32 v41, s1, v38
	v_add_u32_e32 v40, v40, v41
	v_mul_lo_u32 v42, s0, v38
	v_mul_hi_u32 v43, v39, v42
	v_mul_lo_u32 v44, v39, v42
	v_mul_lo_u32 v46, v38, v40
	v_mul_hi_u32 v42, v38, v42
	v_mul_hi_u32 v45, v38, v40
	v_add_co_u32_e32 v42, vcc, v42, v46
	v_addc_co_u32_e32 v45, vcc, 0, v45, vcc
	v_add_co_u32_e32 v42, vcc, v42, v44
	v_mul_hi_u32 v41, v39, v40
	v_addc_co_u32_e32 v42, vcc, v45, v43, vcc
	v_addc_co_u32_e32 v41, vcc, 0, v41, vcc
	v_mul_lo_u32 v40, v39, v40
	v_add_co_u32_e32 v40, vcc, v42, v40
	v_addc_co_u32_e32 v41, vcc, 0, v41, vcc
	v_add_co_u32_e32 v40, vcc, v38, v40
	v_addc_co_u32_e32 v41, vcc, v39, v41, vcc
	v_ashrrev_i32_e32 v42, 31, v67
	v_add_co_u32_e32 v38, vcc, v66, v42
	v_addc_co_u32_e32 v39, vcc, v67, v42, vcc
	v_xor_b32_e32 v44, v38, v42
	v_xor_b32_e32 v43, v39, v42
	v_mad_u64_u32 v[38:39], s[0:1], v44, v41, 0
	v_mul_hi_u32 v45, v44, v40
	v_add_co_u32_e32 v45, vcc, v45, v38
	v_addc_co_u32_e32 v46, vcc, 0, v39, vcc
	v_mad_u64_u32 v[38:39], s[0:1], v43, v41, 0
	v_mad_u64_u32 v[40:41], s[0:1], v43, v40, 0
	v_add_co_u32_e32 v40, vcc, v45, v40
	v_addc_co_u32_e32 v40, vcc, v46, v41, vcc
	v_addc_co_u32_e32 v39, vcc, 0, v39, vcc
	v_add_co_u32_e32 v40, vcc, v40, v38
	v_addc_co_u32_e32 v41, vcc, 0, v39, vcc
	v_mul_lo_u32 v45, s11, v40
	v_mul_lo_u32 v46, s10, v41
	v_mad_u64_u32 v[38:39], s[0:1], s10, v40, 0
	v_add3_u32 v39, v39, v46, v45
	v_sub_u32_e32 v45, v43, v39
	v_mov_b32_e32 v46, s11
	v_sub_co_u32_e32 v38, vcc, v44, v38
	v_subb_co_u32_e64 v44, s[0:1], v45, v46, vcc
	v_subrev_co_u32_e64 v45, s[0:1], s10, v38
	v_subbrev_co_u32_e64 v44, s[0:1], 0, v44, s[0:1]
	v_cmp_le_u32_e64 s[0:1], s11, v44
	v_cndmask_b32_e64 v46, 0, -1, s[0:1]
	v_cmp_le_u32_e64 s[0:1], s10, v45
	v_cndmask_b32_e64 v45, 0, -1, s[0:1]
	v_cmp_eq_u32_e64 s[0:1], s11, v44
	v_cndmask_b32_e64 v44, v46, v45, s[0:1]
	v_add_co_u32_e64 v45, s[0:1], 2, v40
	v_subb_co_u32_e32 v39, vcc, v43, v39, vcc
	v_addc_co_u32_e64 v46, s[0:1], 0, v41, s[0:1]
	v_cmp_le_u32_e32 vcc, s11, v39
	v_add_co_u32_e64 v47, s[0:1], 1, v40
	v_cndmask_b32_e64 v43, 0, -1, vcc
	v_cmp_le_u32_e32 vcc, s10, v38
	v_addc_co_u32_e64 v48, s[0:1], 0, v41, s[0:1]
	v_cndmask_b32_e64 v38, 0, -1, vcc
	v_cmp_eq_u32_e32 vcc, s11, v39
	v_cmp_ne_u32_e64 s[0:1], 0, v44
	v_cndmask_b32_e32 v38, v43, v38, vcc
	v_cndmask_b32_e64 v44, v48, v46, s[0:1]
	v_cmp_ne_u32_e32 vcc, 0, v38
	v_cndmask_b32_e64 v39, v47, v45, s[0:1]
	v_cndmask_b32_e32 v38, v41, v44, vcc
	v_cndmask_b32_e32 v39, v40, v39, vcc
	v_xor_b32_e32 v40, s8, v42
	v_xor_b32_e32 v41, v38, v40
	;; [unrolled: 1-line block ×3, first 2 shown]
	v_sub_co_u32_e32 v38, vcc, v38, v40
	v_subb_co_u32_e32 v39, vcc, v41, v40, vcc
.LBB1154_75:
	s_andn2_saveexec_b64 s[0:1], s[2:3]
	s_cbranch_execz .LBB1154_77
; %bb.76:
	v_cvt_f32_u32_e32 v38, s44
	s_sub_i32 s2, 0, s44
	v_rcp_iflag_f32_e32 v38, v38
	v_mul_f32_e32 v38, 0x4f7ffffe, v38
	v_cvt_u32_f32_e32 v38, v38
	v_mul_lo_u32 v39, s2, v38
	v_mul_hi_u32 v39, v38, v39
	v_add_u32_e32 v38, v38, v39
	v_mul_hi_u32 v38, v66, v38
	v_mul_lo_u32 v39, v38, s44
	v_sub_u32_e32 v39, v66, v39
	v_add_u32_e32 v40, 1, v38
	v_subrev_u32_e32 v41, s44, v39
	v_cmp_le_u32_e32 vcc, s44, v39
	v_cndmask_b32_e32 v39, v39, v41, vcc
	v_cndmask_b32_e32 v38, v38, v40, vcc
	v_add_u32_e32 v40, 1, v38
	v_cmp_le_u32_e32 vcc, s44, v39
	v_cndmask_b32_e32 v38, v38, v40, vcc
	v_mov_b32_e32 v39, 0
.LBB1154_77:
	s_or_b64 exec, exec, s[0:1]
	v_add_co_u32_e32 v68, vcc, 0x400, v30
	v_addc_co_u32_e32 v69, vcc, 0, v1, vcc
	v_or_b32_e32 v41, s45, v69
	v_mov_b32_e32 v40, 0
	v_cmp_ne_u64_e32 vcc, 0, v[40:41]
                                        ; implicit-def: $vgpr40_vgpr41
	s_and_saveexec_b64 s[0:1], vcc
	s_xor_b64 s[2:3], exec, s[0:1]
	s_cbranch_execz .LBB1154_79
; %bb.78:
	s_ashr_i32 s8, s45, 31
	s_add_u32 s0, s44, s8
	s_mov_b32 s9, s8
	s_addc_u32 s1, s45, s8
	s_xor_b64 s[10:11], s[0:1], s[8:9]
	v_cvt_f32_u32_e32 v40, s10
	v_cvt_f32_u32_e32 v41, s11
	s_sub_u32 s0, 0, s10
	s_subb_u32 s1, 0, s11
	v_madmk_f32 v40, v41, 0x4f800000, v40
	v_rcp_f32_e32 v40, v40
	v_mul_f32_e32 v40, 0x5f7ffffc, v40
	v_mul_f32_e32 v41, 0x2f800000, v40
	v_trunc_f32_e32 v41, v41
	v_madmk_f32 v40, v41, 0xcf800000, v40
	v_cvt_u32_f32_e32 v41, v41
	v_cvt_u32_f32_e32 v40, v40
	v_mul_lo_u32 v42, s0, v41
	v_mul_hi_u32 v44, s0, v40
	v_mul_lo_u32 v43, s1, v40
	v_add_u32_e32 v42, v44, v42
	v_mul_lo_u32 v45, s0, v40
	v_add_u32_e32 v42, v42, v43
	v_mul_lo_u32 v44, v40, v42
	v_mul_hi_u32 v46, v40, v45
	v_mul_hi_u32 v43, v40, v42
	v_add_co_u32_e32 v44, vcc, v46, v44
	v_addc_co_u32_e32 v43, vcc, 0, v43, vcc
	v_mul_hi_u32 v47, v41, v45
	v_mul_lo_u32 v45, v41, v45
	v_add_co_u32_e32 v44, vcc, v44, v45
	v_mul_hi_u32 v46, v41, v42
	v_addc_co_u32_e32 v43, vcc, v43, v47, vcc
	v_addc_co_u32_e32 v44, vcc, 0, v46, vcc
	v_mul_lo_u32 v42, v41, v42
	v_add_co_u32_e32 v42, vcc, v43, v42
	v_addc_co_u32_e32 v43, vcc, 0, v44, vcc
	v_add_co_u32_e32 v40, vcc, v40, v42
	v_addc_co_u32_e32 v41, vcc, v41, v43, vcc
	v_mul_lo_u32 v42, s0, v41
	v_mul_hi_u32 v43, s0, v40
	v_add_u32_e32 v42, v43, v42
	v_mul_lo_u32 v43, s1, v40
	v_add_u32_e32 v42, v42, v43
	v_mul_lo_u32 v44, s0, v40
	v_mul_hi_u32 v45, v41, v44
	v_mul_lo_u32 v46, v41, v44
	v_mul_lo_u32 v48, v40, v42
	v_mul_hi_u32 v44, v40, v44
	v_mul_hi_u32 v47, v40, v42
	v_add_co_u32_e32 v44, vcc, v44, v48
	v_addc_co_u32_e32 v47, vcc, 0, v47, vcc
	v_add_co_u32_e32 v44, vcc, v44, v46
	v_mul_hi_u32 v43, v41, v42
	v_addc_co_u32_e32 v44, vcc, v47, v45, vcc
	v_addc_co_u32_e32 v43, vcc, 0, v43, vcc
	v_mul_lo_u32 v42, v41, v42
	v_add_co_u32_e32 v42, vcc, v44, v42
	v_addc_co_u32_e32 v43, vcc, 0, v43, vcc
	v_add_co_u32_e32 v42, vcc, v40, v42
	v_addc_co_u32_e32 v43, vcc, v41, v43, vcc
	v_ashrrev_i32_e32 v44, 31, v69
	v_add_co_u32_e32 v40, vcc, v68, v44
	v_addc_co_u32_e32 v41, vcc, v69, v44, vcc
	v_xor_b32_e32 v46, v40, v44
	v_xor_b32_e32 v45, v41, v44
	v_mad_u64_u32 v[40:41], s[0:1], v46, v43, 0
	v_mul_hi_u32 v47, v46, v42
	v_add_co_u32_e32 v47, vcc, v47, v40
	v_addc_co_u32_e32 v48, vcc, 0, v41, vcc
	v_mad_u64_u32 v[40:41], s[0:1], v45, v43, 0
	v_mad_u64_u32 v[42:43], s[0:1], v45, v42, 0
	v_add_co_u32_e32 v42, vcc, v47, v42
	v_addc_co_u32_e32 v42, vcc, v48, v43, vcc
	v_addc_co_u32_e32 v41, vcc, 0, v41, vcc
	v_add_co_u32_e32 v42, vcc, v42, v40
	v_addc_co_u32_e32 v43, vcc, 0, v41, vcc
	v_mul_lo_u32 v47, s11, v42
	v_mul_lo_u32 v48, s10, v43
	v_mad_u64_u32 v[40:41], s[0:1], s10, v42, 0
	v_add3_u32 v41, v41, v48, v47
	v_sub_u32_e32 v47, v45, v41
	v_mov_b32_e32 v48, s11
	v_sub_co_u32_e32 v40, vcc, v46, v40
	v_subb_co_u32_e64 v46, s[0:1], v47, v48, vcc
	v_subrev_co_u32_e64 v47, s[0:1], s10, v40
	v_subbrev_co_u32_e64 v46, s[0:1], 0, v46, s[0:1]
	v_cmp_le_u32_e64 s[0:1], s11, v46
	v_cndmask_b32_e64 v48, 0, -1, s[0:1]
	v_cmp_le_u32_e64 s[0:1], s10, v47
	v_cndmask_b32_e64 v47, 0, -1, s[0:1]
	v_cmp_eq_u32_e64 s[0:1], s11, v46
	v_cndmask_b32_e64 v46, v48, v47, s[0:1]
	v_add_co_u32_e64 v47, s[0:1], 2, v42
	v_subb_co_u32_e32 v41, vcc, v45, v41, vcc
	v_addc_co_u32_e64 v48, s[0:1], 0, v43, s[0:1]
	v_cmp_le_u32_e32 vcc, s11, v41
	v_add_co_u32_e64 v49, s[0:1], 1, v42
	v_cndmask_b32_e64 v45, 0, -1, vcc
	v_cmp_le_u32_e32 vcc, s10, v40
	v_addc_co_u32_e64 v50, s[0:1], 0, v43, s[0:1]
	v_cndmask_b32_e64 v40, 0, -1, vcc
	v_cmp_eq_u32_e32 vcc, s11, v41
	v_cmp_ne_u32_e64 s[0:1], 0, v46
	v_cndmask_b32_e32 v40, v45, v40, vcc
	v_cndmask_b32_e64 v46, v50, v48, s[0:1]
	v_cmp_ne_u32_e32 vcc, 0, v40
	v_cndmask_b32_e64 v41, v49, v47, s[0:1]
	v_cndmask_b32_e32 v40, v43, v46, vcc
	v_cndmask_b32_e32 v41, v42, v41, vcc
	v_xor_b32_e32 v42, s8, v44
	v_xor_b32_e32 v43, v40, v42
	;; [unrolled: 1-line block ×3, first 2 shown]
	v_sub_co_u32_e32 v40, vcc, v40, v42
	v_subb_co_u32_e32 v41, vcc, v43, v42, vcc
.LBB1154_79:
	s_andn2_saveexec_b64 s[0:1], s[2:3]
	s_cbranch_execz .LBB1154_81
; %bb.80:
	v_cvt_f32_u32_e32 v40, s44
	s_sub_i32 s2, 0, s44
	v_rcp_iflag_f32_e32 v40, v40
	v_mul_f32_e32 v40, 0x4f7ffffe, v40
	v_cvt_u32_f32_e32 v40, v40
	v_mul_lo_u32 v41, s2, v40
	v_mul_hi_u32 v41, v40, v41
	v_add_u32_e32 v40, v40, v41
	v_mul_hi_u32 v40, v68, v40
	v_mul_lo_u32 v41, v40, s44
	v_sub_u32_e32 v41, v68, v41
	v_add_u32_e32 v42, 1, v40
	v_subrev_u32_e32 v43, s44, v41
	v_cmp_le_u32_e32 vcc, s44, v41
	v_cndmask_b32_e32 v41, v41, v43, vcc
	v_cndmask_b32_e32 v40, v40, v42, vcc
	v_add_u32_e32 v42, 1, v40
	v_cmp_le_u32_e32 vcc, s44, v41
	v_cndmask_b32_e32 v40, v40, v42, vcc
	v_mov_b32_e32 v41, 0
.LBB1154_81:
	s_or_b64 exec, exec, s[0:1]
	v_add_co_u32_e32 v70, vcc, 0x500, v30
	v_addc_co_u32_e32 v71, vcc, 0, v1, vcc
	v_or_b32_e32 v43, s45, v71
	v_mov_b32_e32 v42, 0
	v_cmp_ne_u64_e32 vcc, 0, v[42:43]
                                        ; implicit-def: $vgpr42_vgpr43
	s_and_saveexec_b64 s[0:1], vcc
	s_xor_b64 s[2:3], exec, s[0:1]
	s_cbranch_execz .LBB1154_83
; %bb.82:
	s_ashr_i32 s8, s45, 31
	s_add_u32 s0, s44, s8
	s_mov_b32 s9, s8
	s_addc_u32 s1, s45, s8
	s_xor_b64 s[10:11], s[0:1], s[8:9]
	v_cvt_f32_u32_e32 v42, s10
	v_cvt_f32_u32_e32 v43, s11
	s_sub_u32 s0, 0, s10
	s_subb_u32 s1, 0, s11
	v_madmk_f32 v42, v43, 0x4f800000, v42
	v_rcp_f32_e32 v42, v42
	v_mul_f32_e32 v42, 0x5f7ffffc, v42
	v_mul_f32_e32 v43, 0x2f800000, v42
	v_trunc_f32_e32 v43, v43
	v_madmk_f32 v42, v43, 0xcf800000, v42
	v_cvt_u32_f32_e32 v43, v43
	v_cvt_u32_f32_e32 v42, v42
	v_mul_lo_u32 v44, s0, v43
	v_mul_hi_u32 v46, s0, v42
	v_mul_lo_u32 v45, s1, v42
	v_add_u32_e32 v44, v46, v44
	v_mul_lo_u32 v47, s0, v42
	v_add_u32_e32 v44, v44, v45
	v_mul_lo_u32 v46, v42, v44
	v_mul_hi_u32 v48, v42, v47
	v_mul_hi_u32 v45, v42, v44
	v_add_co_u32_e32 v46, vcc, v48, v46
	v_addc_co_u32_e32 v45, vcc, 0, v45, vcc
	v_mul_hi_u32 v49, v43, v47
	v_mul_lo_u32 v47, v43, v47
	v_add_co_u32_e32 v46, vcc, v46, v47
	v_mul_hi_u32 v48, v43, v44
	v_addc_co_u32_e32 v45, vcc, v45, v49, vcc
	v_addc_co_u32_e32 v46, vcc, 0, v48, vcc
	v_mul_lo_u32 v44, v43, v44
	v_add_co_u32_e32 v44, vcc, v45, v44
	v_addc_co_u32_e32 v45, vcc, 0, v46, vcc
	v_add_co_u32_e32 v42, vcc, v42, v44
	v_addc_co_u32_e32 v43, vcc, v43, v45, vcc
	v_mul_lo_u32 v44, s0, v43
	v_mul_hi_u32 v45, s0, v42
	v_add_u32_e32 v44, v45, v44
	v_mul_lo_u32 v45, s1, v42
	v_add_u32_e32 v44, v44, v45
	v_mul_lo_u32 v46, s0, v42
	v_mul_hi_u32 v47, v43, v46
	v_mul_lo_u32 v48, v43, v46
	v_mul_lo_u32 v50, v42, v44
	v_mul_hi_u32 v46, v42, v46
	v_mul_hi_u32 v49, v42, v44
	v_add_co_u32_e32 v46, vcc, v46, v50
	v_addc_co_u32_e32 v49, vcc, 0, v49, vcc
	v_add_co_u32_e32 v46, vcc, v46, v48
	v_mul_hi_u32 v45, v43, v44
	v_addc_co_u32_e32 v46, vcc, v49, v47, vcc
	v_addc_co_u32_e32 v45, vcc, 0, v45, vcc
	v_mul_lo_u32 v44, v43, v44
	v_add_co_u32_e32 v44, vcc, v46, v44
	v_addc_co_u32_e32 v45, vcc, 0, v45, vcc
	v_add_co_u32_e32 v44, vcc, v42, v44
	v_addc_co_u32_e32 v45, vcc, v43, v45, vcc
	v_ashrrev_i32_e32 v46, 31, v71
	v_add_co_u32_e32 v42, vcc, v70, v46
	v_addc_co_u32_e32 v43, vcc, v71, v46, vcc
	v_xor_b32_e32 v48, v42, v46
	v_xor_b32_e32 v47, v43, v46
	v_mad_u64_u32 v[42:43], s[0:1], v48, v45, 0
	v_mul_hi_u32 v49, v48, v44
	v_add_co_u32_e32 v49, vcc, v49, v42
	v_addc_co_u32_e32 v50, vcc, 0, v43, vcc
	v_mad_u64_u32 v[42:43], s[0:1], v47, v45, 0
	v_mad_u64_u32 v[44:45], s[0:1], v47, v44, 0
	v_add_co_u32_e32 v44, vcc, v49, v44
	v_addc_co_u32_e32 v44, vcc, v50, v45, vcc
	v_addc_co_u32_e32 v43, vcc, 0, v43, vcc
	v_add_co_u32_e32 v44, vcc, v44, v42
	v_addc_co_u32_e32 v45, vcc, 0, v43, vcc
	v_mul_lo_u32 v49, s11, v44
	v_mul_lo_u32 v50, s10, v45
	v_mad_u64_u32 v[42:43], s[0:1], s10, v44, 0
	v_add3_u32 v43, v43, v50, v49
	v_sub_u32_e32 v49, v47, v43
	v_mov_b32_e32 v50, s11
	v_sub_co_u32_e32 v42, vcc, v48, v42
	v_subb_co_u32_e64 v48, s[0:1], v49, v50, vcc
	v_subrev_co_u32_e64 v49, s[0:1], s10, v42
	v_subbrev_co_u32_e64 v48, s[0:1], 0, v48, s[0:1]
	v_cmp_le_u32_e64 s[0:1], s11, v48
	v_cndmask_b32_e64 v50, 0, -1, s[0:1]
	v_cmp_le_u32_e64 s[0:1], s10, v49
	v_cndmask_b32_e64 v49, 0, -1, s[0:1]
	v_cmp_eq_u32_e64 s[0:1], s11, v48
	v_cndmask_b32_e64 v48, v50, v49, s[0:1]
	v_add_co_u32_e64 v49, s[0:1], 2, v44
	v_subb_co_u32_e32 v43, vcc, v47, v43, vcc
	v_addc_co_u32_e64 v50, s[0:1], 0, v45, s[0:1]
	v_cmp_le_u32_e32 vcc, s11, v43
	v_add_co_u32_e64 v51, s[0:1], 1, v44
	v_cndmask_b32_e64 v47, 0, -1, vcc
	v_cmp_le_u32_e32 vcc, s10, v42
	v_addc_co_u32_e64 v52, s[0:1], 0, v45, s[0:1]
	v_cndmask_b32_e64 v42, 0, -1, vcc
	v_cmp_eq_u32_e32 vcc, s11, v43
	v_cmp_ne_u32_e64 s[0:1], 0, v48
	v_cndmask_b32_e32 v42, v47, v42, vcc
	v_cndmask_b32_e64 v48, v52, v50, s[0:1]
	v_cmp_ne_u32_e32 vcc, 0, v42
	v_cndmask_b32_e64 v43, v51, v49, s[0:1]
	v_cndmask_b32_e32 v42, v45, v48, vcc
	v_cndmask_b32_e32 v43, v44, v43, vcc
	v_xor_b32_e32 v44, s8, v46
	v_xor_b32_e32 v45, v42, v44
	;; [unrolled: 1-line block ×3, first 2 shown]
	v_sub_co_u32_e32 v42, vcc, v42, v44
	v_subb_co_u32_e32 v43, vcc, v45, v44, vcc
.LBB1154_83:
	s_andn2_saveexec_b64 s[0:1], s[2:3]
	s_cbranch_execz .LBB1154_85
; %bb.84:
	v_cvt_f32_u32_e32 v42, s44
	s_sub_i32 s2, 0, s44
	v_rcp_iflag_f32_e32 v42, v42
	v_mul_f32_e32 v42, 0x4f7ffffe, v42
	v_cvt_u32_f32_e32 v42, v42
	v_mul_lo_u32 v43, s2, v42
	v_mul_hi_u32 v43, v42, v43
	v_add_u32_e32 v42, v42, v43
	v_mul_hi_u32 v42, v70, v42
	v_mul_lo_u32 v43, v42, s44
	v_sub_u32_e32 v43, v70, v43
	v_add_u32_e32 v44, 1, v42
	v_subrev_u32_e32 v45, s44, v43
	v_cmp_le_u32_e32 vcc, s44, v43
	v_cndmask_b32_e32 v43, v43, v45, vcc
	v_cndmask_b32_e32 v42, v42, v44, vcc
	v_add_u32_e32 v44, 1, v42
	v_cmp_le_u32_e32 vcc, s44, v43
	v_cndmask_b32_e32 v42, v42, v44, vcc
	v_mov_b32_e32 v43, 0
.LBB1154_85:
	s_or_b64 exec, exec, s[0:1]
	v_add_co_u32_e32 v72, vcc, 0x600, v30
	v_addc_co_u32_e32 v73, vcc, 0, v1, vcc
	v_or_b32_e32 v45, s45, v73
	v_mov_b32_e32 v44, 0
	v_cmp_ne_u64_e32 vcc, 0, v[44:45]
                                        ; implicit-def: $vgpr44_vgpr45
	s_and_saveexec_b64 s[0:1], vcc
	s_xor_b64 s[2:3], exec, s[0:1]
	s_cbranch_execz .LBB1154_87
; %bb.86:
	s_ashr_i32 s8, s45, 31
	s_add_u32 s0, s44, s8
	s_mov_b32 s9, s8
	s_addc_u32 s1, s45, s8
	s_xor_b64 s[10:11], s[0:1], s[8:9]
	v_cvt_f32_u32_e32 v44, s10
	v_cvt_f32_u32_e32 v45, s11
	s_sub_u32 s0, 0, s10
	s_subb_u32 s1, 0, s11
	v_madmk_f32 v44, v45, 0x4f800000, v44
	v_rcp_f32_e32 v44, v44
	v_mul_f32_e32 v44, 0x5f7ffffc, v44
	v_mul_f32_e32 v45, 0x2f800000, v44
	v_trunc_f32_e32 v45, v45
	v_madmk_f32 v44, v45, 0xcf800000, v44
	v_cvt_u32_f32_e32 v45, v45
	v_cvt_u32_f32_e32 v44, v44
	v_mul_lo_u32 v46, s0, v45
	v_mul_hi_u32 v48, s0, v44
	v_mul_lo_u32 v47, s1, v44
	v_add_u32_e32 v46, v48, v46
	v_mul_lo_u32 v49, s0, v44
	v_add_u32_e32 v46, v46, v47
	v_mul_lo_u32 v48, v44, v46
	v_mul_hi_u32 v50, v44, v49
	v_mul_hi_u32 v47, v44, v46
	v_add_co_u32_e32 v48, vcc, v50, v48
	v_addc_co_u32_e32 v47, vcc, 0, v47, vcc
	v_mul_hi_u32 v51, v45, v49
	v_mul_lo_u32 v49, v45, v49
	v_add_co_u32_e32 v48, vcc, v48, v49
	v_mul_hi_u32 v50, v45, v46
	v_addc_co_u32_e32 v47, vcc, v47, v51, vcc
	v_addc_co_u32_e32 v48, vcc, 0, v50, vcc
	v_mul_lo_u32 v46, v45, v46
	v_add_co_u32_e32 v46, vcc, v47, v46
	v_addc_co_u32_e32 v47, vcc, 0, v48, vcc
	v_add_co_u32_e32 v44, vcc, v44, v46
	v_addc_co_u32_e32 v45, vcc, v45, v47, vcc
	v_mul_lo_u32 v46, s0, v45
	v_mul_hi_u32 v47, s0, v44
	v_add_u32_e32 v46, v47, v46
	v_mul_lo_u32 v47, s1, v44
	v_add_u32_e32 v46, v46, v47
	v_mul_lo_u32 v48, s0, v44
	v_mul_hi_u32 v49, v45, v48
	v_mul_lo_u32 v50, v45, v48
	v_mul_lo_u32 v52, v44, v46
	v_mul_hi_u32 v48, v44, v48
	v_mul_hi_u32 v51, v44, v46
	v_add_co_u32_e32 v48, vcc, v48, v52
	v_addc_co_u32_e32 v51, vcc, 0, v51, vcc
	v_add_co_u32_e32 v48, vcc, v48, v50
	v_mul_hi_u32 v47, v45, v46
	v_addc_co_u32_e32 v48, vcc, v51, v49, vcc
	v_addc_co_u32_e32 v47, vcc, 0, v47, vcc
	v_mul_lo_u32 v46, v45, v46
	v_add_co_u32_e32 v46, vcc, v48, v46
	v_addc_co_u32_e32 v47, vcc, 0, v47, vcc
	v_add_co_u32_e32 v46, vcc, v44, v46
	v_addc_co_u32_e32 v47, vcc, v45, v47, vcc
	v_ashrrev_i32_e32 v48, 31, v73
	v_add_co_u32_e32 v44, vcc, v72, v48
	v_addc_co_u32_e32 v45, vcc, v73, v48, vcc
	v_xor_b32_e32 v50, v44, v48
	v_xor_b32_e32 v49, v45, v48
	v_mad_u64_u32 v[44:45], s[0:1], v50, v47, 0
	v_mul_hi_u32 v51, v50, v46
	v_add_co_u32_e32 v51, vcc, v51, v44
	v_addc_co_u32_e32 v52, vcc, 0, v45, vcc
	v_mad_u64_u32 v[44:45], s[0:1], v49, v47, 0
	v_mad_u64_u32 v[46:47], s[0:1], v49, v46, 0
	v_add_co_u32_e32 v46, vcc, v51, v46
	v_addc_co_u32_e32 v46, vcc, v52, v47, vcc
	v_addc_co_u32_e32 v45, vcc, 0, v45, vcc
	v_add_co_u32_e32 v46, vcc, v46, v44
	v_addc_co_u32_e32 v47, vcc, 0, v45, vcc
	v_mul_lo_u32 v51, s11, v46
	v_mul_lo_u32 v52, s10, v47
	v_mad_u64_u32 v[44:45], s[0:1], s10, v46, 0
	v_add3_u32 v45, v45, v52, v51
	v_sub_u32_e32 v51, v49, v45
	v_mov_b32_e32 v52, s11
	v_sub_co_u32_e32 v44, vcc, v50, v44
	v_subb_co_u32_e64 v50, s[0:1], v51, v52, vcc
	v_subrev_co_u32_e64 v51, s[0:1], s10, v44
	v_subbrev_co_u32_e64 v50, s[0:1], 0, v50, s[0:1]
	v_cmp_le_u32_e64 s[0:1], s11, v50
	v_cndmask_b32_e64 v52, 0, -1, s[0:1]
	v_cmp_le_u32_e64 s[0:1], s10, v51
	v_cndmask_b32_e64 v51, 0, -1, s[0:1]
	v_cmp_eq_u32_e64 s[0:1], s11, v50
	v_cndmask_b32_e64 v50, v52, v51, s[0:1]
	v_add_co_u32_e64 v51, s[0:1], 2, v46
	v_subb_co_u32_e32 v45, vcc, v49, v45, vcc
	v_addc_co_u32_e64 v52, s[0:1], 0, v47, s[0:1]
	v_cmp_le_u32_e32 vcc, s11, v45
	v_add_co_u32_e64 v53, s[0:1], 1, v46
	v_cndmask_b32_e64 v49, 0, -1, vcc
	v_cmp_le_u32_e32 vcc, s10, v44
	v_addc_co_u32_e64 v54, s[0:1], 0, v47, s[0:1]
	v_cndmask_b32_e64 v44, 0, -1, vcc
	v_cmp_eq_u32_e32 vcc, s11, v45
	v_cmp_ne_u32_e64 s[0:1], 0, v50
	v_cndmask_b32_e32 v44, v49, v44, vcc
	v_cndmask_b32_e64 v50, v54, v52, s[0:1]
	v_cmp_ne_u32_e32 vcc, 0, v44
	v_cndmask_b32_e64 v45, v53, v51, s[0:1]
	v_cndmask_b32_e32 v44, v47, v50, vcc
	v_cndmask_b32_e32 v45, v46, v45, vcc
	v_xor_b32_e32 v46, s8, v48
	v_xor_b32_e32 v47, v44, v46
	;; [unrolled: 1-line block ×3, first 2 shown]
	v_sub_co_u32_e32 v44, vcc, v44, v46
	v_subb_co_u32_e32 v45, vcc, v47, v46, vcc
.LBB1154_87:
	s_andn2_saveexec_b64 s[0:1], s[2:3]
	s_cbranch_execz .LBB1154_89
; %bb.88:
	v_cvt_f32_u32_e32 v44, s44
	s_sub_i32 s2, 0, s44
	v_rcp_iflag_f32_e32 v44, v44
	v_mul_f32_e32 v44, 0x4f7ffffe, v44
	v_cvt_u32_f32_e32 v44, v44
	v_mul_lo_u32 v45, s2, v44
	v_mul_hi_u32 v45, v44, v45
	v_add_u32_e32 v44, v44, v45
	v_mul_hi_u32 v44, v72, v44
	v_mul_lo_u32 v45, v44, s44
	v_sub_u32_e32 v45, v72, v45
	v_add_u32_e32 v46, 1, v44
	v_subrev_u32_e32 v47, s44, v45
	v_cmp_le_u32_e32 vcc, s44, v45
	v_cndmask_b32_e32 v45, v45, v47, vcc
	v_cndmask_b32_e32 v44, v44, v46, vcc
	v_add_u32_e32 v46, 1, v44
	v_cmp_le_u32_e32 vcc, s44, v45
	v_cndmask_b32_e32 v44, v44, v46, vcc
	v_mov_b32_e32 v45, 0
.LBB1154_89:
	s_or_b64 exec, exec, s[0:1]
	v_add_co_u32_e32 v77, vcc, 0x700, v30
	v_addc_co_u32_e32 v78, vcc, 0, v1, vcc
	v_or_b32_e32 v47, s45, v78
	v_mov_b32_e32 v46, 0
	v_cmp_ne_u64_e32 vcc, 0, v[46:47]
                                        ; implicit-def: $vgpr46_vgpr47
	s_and_saveexec_b64 s[0:1], vcc
	s_xor_b64 s[2:3], exec, s[0:1]
	s_cbranch_execz .LBB1154_91
; %bb.90:
	s_ashr_i32 s8, s45, 31
	s_add_u32 s0, s44, s8
	s_mov_b32 s9, s8
	s_addc_u32 s1, s45, s8
	s_xor_b64 s[10:11], s[0:1], s[8:9]
	v_cvt_f32_u32_e32 v46, s10
	v_cvt_f32_u32_e32 v47, s11
	s_sub_u32 s0, 0, s10
	s_subb_u32 s1, 0, s11
	v_madmk_f32 v46, v47, 0x4f800000, v46
	v_rcp_f32_e32 v46, v46
	v_mul_f32_e32 v46, 0x5f7ffffc, v46
	v_mul_f32_e32 v47, 0x2f800000, v46
	v_trunc_f32_e32 v47, v47
	v_madmk_f32 v46, v47, 0xcf800000, v46
	v_cvt_u32_f32_e32 v47, v47
	v_cvt_u32_f32_e32 v46, v46
	v_mul_lo_u32 v48, s0, v47
	v_mul_hi_u32 v50, s0, v46
	v_mul_lo_u32 v49, s1, v46
	v_add_u32_e32 v48, v50, v48
	v_mul_lo_u32 v51, s0, v46
	v_add_u32_e32 v48, v48, v49
	v_mul_lo_u32 v50, v46, v48
	v_mul_hi_u32 v52, v46, v51
	v_mul_hi_u32 v49, v46, v48
	v_add_co_u32_e32 v50, vcc, v52, v50
	v_addc_co_u32_e32 v49, vcc, 0, v49, vcc
	v_mul_hi_u32 v53, v47, v51
	v_mul_lo_u32 v51, v47, v51
	v_add_co_u32_e32 v50, vcc, v50, v51
	v_mul_hi_u32 v52, v47, v48
	v_addc_co_u32_e32 v49, vcc, v49, v53, vcc
	v_addc_co_u32_e32 v50, vcc, 0, v52, vcc
	v_mul_lo_u32 v48, v47, v48
	v_add_co_u32_e32 v48, vcc, v49, v48
	v_addc_co_u32_e32 v49, vcc, 0, v50, vcc
	v_add_co_u32_e32 v46, vcc, v46, v48
	v_addc_co_u32_e32 v47, vcc, v47, v49, vcc
	v_mul_lo_u32 v48, s0, v47
	v_mul_hi_u32 v49, s0, v46
	v_add_u32_e32 v48, v49, v48
	v_mul_lo_u32 v49, s1, v46
	v_add_u32_e32 v48, v48, v49
	v_mul_lo_u32 v50, s0, v46
	v_mul_hi_u32 v51, v47, v50
	v_mul_lo_u32 v52, v47, v50
	v_mul_lo_u32 v54, v46, v48
	v_mul_hi_u32 v50, v46, v50
	v_mul_hi_u32 v53, v46, v48
	v_add_co_u32_e32 v50, vcc, v50, v54
	v_addc_co_u32_e32 v53, vcc, 0, v53, vcc
	v_add_co_u32_e32 v50, vcc, v50, v52
	v_mul_hi_u32 v49, v47, v48
	v_addc_co_u32_e32 v50, vcc, v53, v51, vcc
	v_addc_co_u32_e32 v49, vcc, 0, v49, vcc
	v_mul_lo_u32 v48, v47, v48
	v_add_co_u32_e32 v48, vcc, v50, v48
	v_addc_co_u32_e32 v49, vcc, 0, v49, vcc
	v_add_co_u32_e32 v48, vcc, v46, v48
	v_addc_co_u32_e32 v49, vcc, v47, v49, vcc
	v_ashrrev_i32_e32 v50, 31, v78
	v_add_co_u32_e32 v46, vcc, v77, v50
	v_addc_co_u32_e32 v47, vcc, v78, v50, vcc
	v_xor_b32_e32 v52, v46, v50
	v_xor_b32_e32 v51, v47, v50
	v_mad_u64_u32 v[46:47], s[0:1], v52, v49, 0
	v_mul_hi_u32 v53, v52, v48
	v_add_co_u32_e32 v53, vcc, v53, v46
	v_addc_co_u32_e32 v54, vcc, 0, v47, vcc
	v_mad_u64_u32 v[46:47], s[0:1], v51, v49, 0
	v_mad_u64_u32 v[48:49], s[0:1], v51, v48, 0
	v_add_co_u32_e32 v48, vcc, v53, v48
	v_addc_co_u32_e32 v48, vcc, v54, v49, vcc
	v_addc_co_u32_e32 v47, vcc, 0, v47, vcc
	v_add_co_u32_e32 v48, vcc, v48, v46
	v_addc_co_u32_e32 v49, vcc, 0, v47, vcc
	v_mul_lo_u32 v53, s11, v48
	v_mul_lo_u32 v54, s10, v49
	v_mad_u64_u32 v[46:47], s[0:1], s10, v48, 0
	v_add3_u32 v47, v47, v54, v53
	v_sub_u32_e32 v53, v51, v47
	v_mov_b32_e32 v54, s11
	v_sub_co_u32_e32 v46, vcc, v52, v46
	v_subb_co_u32_e64 v52, s[0:1], v53, v54, vcc
	v_subrev_co_u32_e64 v53, s[0:1], s10, v46
	v_subbrev_co_u32_e64 v52, s[0:1], 0, v52, s[0:1]
	v_cmp_le_u32_e64 s[0:1], s11, v52
	v_cndmask_b32_e64 v54, 0, -1, s[0:1]
	v_cmp_le_u32_e64 s[0:1], s10, v53
	v_cndmask_b32_e64 v53, 0, -1, s[0:1]
	v_cmp_eq_u32_e64 s[0:1], s11, v52
	v_cndmask_b32_e64 v52, v54, v53, s[0:1]
	v_add_co_u32_e64 v53, s[0:1], 2, v48
	v_subb_co_u32_e32 v47, vcc, v51, v47, vcc
	v_addc_co_u32_e64 v54, s[0:1], 0, v49, s[0:1]
	v_cmp_le_u32_e32 vcc, s11, v47
	v_add_co_u32_e64 v55, s[0:1], 1, v48
	v_cndmask_b32_e64 v51, 0, -1, vcc
	v_cmp_le_u32_e32 vcc, s10, v46
	v_addc_co_u32_e64 v56, s[0:1], 0, v49, s[0:1]
	v_cndmask_b32_e64 v46, 0, -1, vcc
	v_cmp_eq_u32_e32 vcc, s11, v47
	v_cmp_ne_u32_e64 s[0:1], 0, v52
	v_cndmask_b32_e32 v46, v51, v46, vcc
	v_cndmask_b32_e64 v52, v56, v54, s[0:1]
	v_cmp_ne_u32_e32 vcc, 0, v46
	v_cndmask_b32_e64 v47, v55, v53, s[0:1]
	v_cndmask_b32_e32 v46, v49, v52, vcc
	v_cndmask_b32_e32 v47, v48, v47, vcc
	v_xor_b32_e32 v48, s8, v50
	v_xor_b32_e32 v49, v46, v48
	;; [unrolled: 1-line block ×3, first 2 shown]
	v_sub_co_u32_e32 v46, vcc, v46, v48
	v_subb_co_u32_e32 v47, vcc, v49, v48, vcc
.LBB1154_91:
	s_andn2_saveexec_b64 s[0:1], s[2:3]
	s_cbranch_execz .LBB1154_93
; %bb.92:
	v_cvt_f32_u32_e32 v46, s44
	s_sub_i32 s2, 0, s44
	v_rcp_iflag_f32_e32 v46, v46
	v_mul_f32_e32 v46, 0x4f7ffffe, v46
	v_cvt_u32_f32_e32 v46, v46
	v_mul_lo_u32 v47, s2, v46
	v_mul_hi_u32 v47, v46, v47
	v_add_u32_e32 v46, v46, v47
	v_mul_hi_u32 v46, v77, v46
	v_mul_lo_u32 v47, v46, s44
	v_sub_u32_e32 v47, v77, v47
	v_add_u32_e32 v48, 1, v46
	v_subrev_u32_e32 v49, s44, v47
	v_cmp_le_u32_e32 vcc, s44, v47
	v_cndmask_b32_e32 v47, v47, v49, vcc
	v_cndmask_b32_e32 v46, v46, v48, vcc
	v_add_u32_e32 v48, 1, v46
	v_cmp_le_u32_e32 vcc, s44, v47
	v_cndmask_b32_e32 v46, v46, v48, vcc
	v_mov_b32_e32 v47, 0
.LBB1154_93:
	s_or_b64 exec, exec, s[0:1]
	v_add_co_u32_e32 v79, vcc, 0x800, v30
	v_addc_co_u32_e32 v80, vcc, 0, v1, vcc
	v_or_b32_e32 v49, s45, v80
	v_mov_b32_e32 v48, 0
	v_cmp_ne_u64_e32 vcc, 0, v[48:49]
                                        ; implicit-def: $vgpr48_vgpr49
	s_and_saveexec_b64 s[0:1], vcc
	s_xor_b64 s[2:3], exec, s[0:1]
	s_cbranch_execz .LBB1154_95
; %bb.94:
	s_ashr_i32 s8, s45, 31
	s_add_u32 s0, s44, s8
	s_mov_b32 s9, s8
	s_addc_u32 s1, s45, s8
	s_xor_b64 s[10:11], s[0:1], s[8:9]
	v_cvt_f32_u32_e32 v48, s10
	v_cvt_f32_u32_e32 v49, s11
	s_sub_u32 s0, 0, s10
	s_subb_u32 s1, 0, s11
	v_madmk_f32 v48, v49, 0x4f800000, v48
	v_rcp_f32_e32 v48, v48
	v_mul_f32_e32 v48, 0x5f7ffffc, v48
	v_mul_f32_e32 v49, 0x2f800000, v48
	v_trunc_f32_e32 v49, v49
	v_madmk_f32 v48, v49, 0xcf800000, v48
	v_cvt_u32_f32_e32 v49, v49
	v_cvt_u32_f32_e32 v48, v48
	v_mul_lo_u32 v50, s0, v49
	v_mul_hi_u32 v52, s0, v48
	v_mul_lo_u32 v51, s1, v48
	v_add_u32_e32 v50, v52, v50
	v_mul_lo_u32 v53, s0, v48
	v_add_u32_e32 v50, v50, v51
	v_mul_lo_u32 v52, v48, v50
	v_mul_hi_u32 v54, v48, v53
	v_mul_hi_u32 v51, v48, v50
	v_add_co_u32_e32 v52, vcc, v54, v52
	v_addc_co_u32_e32 v51, vcc, 0, v51, vcc
	v_mul_hi_u32 v55, v49, v53
	v_mul_lo_u32 v53, v49, v53
	v_add_co_u32_e32 v52, vcc, v52, v53
	v_mul_hi_u32 v54, v49, v50
	v_addc_co_u32_e32 v51, vcc, v51, v55, vcc
	v_addc_co_u32_e32 v52, vcc, 0, v54, vcc
	v_mul_lo_u32 v50, v49, v50
	v_add_co_u32_e32 v50, vcc, v51, v50
	v_addc_co_u32_e32 v51, vcc, 0, v52, vcc
	v_add_co_u32_e32 v48, vcc, v48, v50
	v_addc_co_u32_e32 v49, vcc, v49, v51, vcc
	v_mul_lo_u32 v50, s0, v49
	v_mul_hi_u32 v51, s0, v48
	v_add_u32_e32 v50, v51, v50
	v_mul_lo_u32 v51, s1, v48
	v_add_u32_e32 v50, v50, v51
	v_mul_lo_u32 v52, s0, v48
	v_mul_hi_u32 v53, v49, v52
	v_mul_lo_u32 v54, v49, v52
	v_mul_lo_u32 v56, v48, v50
	v_mul_hi_u32 v52, v48, v52
	v_mul_hi_u32 v55, v48, v50
	v_add_co_u32_e32 v52, vcc, v52, v56
	v_addc_co_u32_e32 v55, vcc, 0, v55, vcc
	v_add_co_u32_e32 v52, vcc, v52, v54
	v_mul_hi_u32 v51, v49, v50
	v_addc_co_u32_e32 v52, vcc, v55, v53, vcc
	v_addc_co_u32_e32 v51, vcc, 0, v51, vcc
	v_mul_lo_u32 v50, v49, v50
	v_add_co_u32_e32 v50, vcc, v52, v50
	v_addc_co_u32_e32 v51, vcc, 0, v51, vcc
	v_add_co_u32_e32 v50, vcc, v48, v50
	v_addc_co_u32_e32 v51, vcc, v49, v51, vcc
	v_ashrrev_i32_e32 v52, 31, v80
	v_add_co_u32_e32 v48, vcc, v79, v52
	v_addc_co_u32_e32 v49, vcc, v80, v52, vcc
	v_xor_b32_e32 v54, v48, v52
	v_xor_b32_e32 v53, v49, v52
	v_mad_u64_u32 v[48:49], s[0:1], v54, v51, 0
	v_mul_hi_u32 v55, v54, v50
	v_add_co_u32_e32 v55, vcc, v55, v48
	v_addc_co_u32_e32 v56, vcc, 0, v49, vcc
	v_mad_u64_u32 v[48:49], s[0:1], v53, v51, 0
	v_mad_u64_u32 v[50:51], s[0:1], v53, v50, 0
	v_add_co_u32_e32 v50, vcc, v55, v50
	v_addc_co_u32_e32 v50, vcc, v56, v51, vcc
	v_addc_co_u32_e32 v49, vcc, 0, v49, vcc
	v_add_co_u32_e32 v50, vcc, v50, v48
	v_addc_co_u32_e32 v51, vcc, 0, v49, vcc
	v_mul_lo_u32 v55, s11, v50
	v_mul_lo_u32 v56, s10, v51
	v_mad_u64_u32 v[48:49], s[0:1], s10, v50, 0
	v_add3_u32 v49, v49, v56, v55
	v_sub_u32_e32 v55, v53, v49
	v_mov_b32_e32 v56, s11
	v_sub_co_u32_e32 v48, vcc, v54, v48
	v_subb_co_u32_e64 v54, s[0:1], v55, v56, vcc
	v_subrev_co_u32_e64 v55, s[0:1], s10, v48
	v_subbrev_co_u32_e64 v54, s[0:1], 0, v54, s[0:1]
	v_cmp_le_u32_e64 s[0:1], s11, v54
	v_cndmask_b32_e64 v56, 0, -1, s[0:1]
	v_cmp_le_u32_e64 s[0:1], s10, v55
	v_cndmask_b32_e64 v55, 0, -1, s[0:1]
	v_cmp_eq_u32_e64 s[0:1], s11, v54
	v_cndmask_b32_e64 v54, v56, v55, s[0:1]
	v_add_co_u32_e64 v55, s[0:1], 2, v50
	v_subb_co_u32_e32 v49, vcc, v53, v49, vcc
	v_addc_co_u32_e64 v56, s[0:1], 0, v51, s[0:1]
	v_cmp_le_u32_e32 vcc, s11, v49
	v_add_co_u32_e64 v57, s[0:1], 1, v50
	v_cndmask_b32_e64 v53, 0, -1, vcc
	v_cmp_le_u32_e32 vcc, s10, v48
	v_addc_co_u32_e64 v58, s[0:1], 0, v51, s[0:1]
	v_cndmask_b32_e64 v48, 0, -1, vcc
	v_cmp_eq_u32_e32 vcc, s11, v49
	v_cmp_ne_u32_e64 s[0:1], 0, v54
	v_cndmask_b32_e32 v48, v53, v48, vcc
	v_cndmask_b32_e64 v54, v58, v56, s[0:1]
	v_cmp_ne_u32_e32 vcc, 0, v48
	v_cndmask_b32_e64 v49, v57, v55, s[0:1]
	v_cndmask_b32_e32 v48, v51, v54, vcc
	v_cndmask_b32_e32 v49, v50, v49, vcc
	v_xor_b32_e32 v50, s8, v52
	v_xor_b32_e32 v51, v48, v50
	;; [unrolled: 1-line block ×3, first 2 shown]
	v_sub_co_u32_e32 v48, vcc, v48, v50
	v_subb_co_u32_e32 v49, vcc, v51, v50, vcc
.LBB1154_95:
	s_andn2_saveexec_b64 s[0:1], s[2:3]
	s_cbranch_execz .LBB1154_97
; %bb.96:
	v_cvt_f32_u32_e32 v48, s44
	s_sub_i32 s2, 0, s44
	v_rcp_iflag_f32_e32 v48, v48
	v_mul_f32_e32 v48, 0x4f7ffffe, v48
	v_cvt_u32_f32_e32 v48, v48
	v_mul_lo_u32 v49, s2, v48
	v_mul_hi_u32 v49, v48, v49
	v_add_u32_e32 v48, v48, v49
	v_mul_hi_u32 v48, v79, v48
	v_mul_lo_u32 v49, v48, s44
	v_sub_u32_e32 v49, v79, v49
	v_add_u32_e32 v50, 1, v48
	v_subrev_u32_e32 v51, s44, v49
	v_cmp_le_u32_e32 vcc, s44, v49
	v_cndmask_b32_e32 v49, v49, v51, vcc
	v_cndmask_b32_e32 v48, v48, v50, vcc
	v_add_u32_e32 v50, 1, v48
	v_cmp_le_u32_e32 vcc, s44, v49
	v_cndmask_b32_e32 v48, v48, v50, vcc
	v_mov_b32_e32 v49, 0
.LBB1154_97:
	s_or_b64 exec, exec, s[0:1]
	v_add_co_u32_e32 v81, vcc, 0x900, v30
	v_addc_co_u32_e32 v82, vcc, 0, v1, vcc
	v_or_b32_e32 v51, s45, v82
	v_mov_b32_e32 v50, 0
	v_cmp_ne_u64_e32 vcc, 0, v[50:51]
                                        ; implicit-def: $vgpr50_vgpr51
	s_and_saveexec_b64 s[0:1], vcc
	s_xor_b64 s[2:3], exec, s[0:1]
	s_cbranch_execz .LBB1154_99
; %bb.98:
	s_ashr_i32 s8, s45, 31
	s_add_u32 s0, s44, s8
	s_mov_b32 s9, s8
	s_addc_u32 s1, s45, s8
	s_xor_b64 s[10:11], s[0:1], s[8:9]
	v_cvt_f32_u32_e32 v50, s10
	v_cvt_f32_u32_e32 v51, s11
	s_sub_u32 s0, 0, s10
	s_subb_u32 s1, 0, s11
	v_madmk_f32 v50, v51, 0x4f800000, v50
	v_rcp_f32_e32 v50, v50
	v_mul_f32_e32 v50, 0x5f7ffffc, v50
	v_mul_f32_e32 v51, 0x2f800000, v50
	v_trunc_f32_e32 v51, v51
	v_madmk_f32 v50, v51, 0xcf800000, v50
	v_cvt_u32_f32_e32 v51, v51
	v_cvt_u32_f32_e32 v50, v50
	v_mul_lo_u32 v52, s0, v51
	v_mul_hi_u32 v54, s0, v50
	v_mul_lo_u32 v53, s1, v50
	v_add_u32_e32 v52, v54, v52
	v_mul_lo_u32 v55, s0, v50
	v_add_u32_e32 v52, v52, v53
	v_mul_lo_u32 v54, v50, v52
	v_mul_hi_u32 v56, v50, v55
	v_mul_hi_u32 v53, v50, v52
	v_add_co_u32_e32 v54, vcc, v56, v54
	v_addc_co_u32_e32 v53, vcc, 0, v53, vcc
	v_mul_hi_u32 v57, v51, v55
	v_mul_lo_u32 v55, v51, v55
	v_add_co_u32_e32 v54, vcc, v54, v55
	v_mul_hi_u32 v56, v51, v52
	v_addc_co_u32_e32 v53, vcc, v53, v57, vcc
	v_addc_co_u32_e32 v54, vcc, 0, v56, vcc
	v_mul_lo_u32 v52, v51, v52
	v_add_co_u32_e32 v52, vcc, v53, v52
	v_addc_co_u32_e32 v53, vcc, 0, v54, vcc
	v_add_co_u32_e32 v50, vcc, v50, v52
	v_addc_co_u32_e32 v51, vcc, v51, v53, vcc
	v_mul_lo_u32 v52, s0, v51
	v_mul_hi_u32 v53, s0, v50
	v_add_u32_e32 v52, v53, v52
	v_mul_lo_u32 v53, s1, v50
	v_add_u32_e32 v52, v52, v53
	v_mul_lo_u32 v54, s0, v50
	v_mul_hi_u32 v55, v51, v54
	v_mul_lo_u32 v56, v51, v54
	v_mul_lo_u32 v58, v50, v52
	v_mul_hi_u32 v54, v50, v54
	v_mul_hi_u32 v57, v50, v52
	v_add_co_u32_e32 v54, vcc, v54, v58
	v_addc_co_u32_e32 v57, vcc, 0, v57, vcc
	v_add_co_u32_e32 v54, vcc, v54, v56
	v_mul_hi_u32 v53, v51, v52
	v_addc_co_u32_e32 v54, vcc, v57, v55, vcc
	v_addc_co_u32_e32 v53, vcc, 0, v53, vcc
	v_mul_lo_u32 v52, v51, v52
	v_add_co_u32_e32 v52, vcc, v54, v52
	v_addc_co_u32_e32 v53, vcc, 0, v53, vcc
	v_add_co_u32_e32 v52, vcc, v50, v52
	v_addc_co_u32_e32 v53, vcc, v51, v53, vcc
	v_ashrrev_i32_e32 v54, 31, v82
	v_add_co_u32_e32 v50, vcc, v81, v54
	v_addc_co_u32_e32 v51, vcc, v82, v54, vcc
	v_xor_b32_e32 v56, v50, v54
	v_xor_b32_e32 v55, v51, v54
	v_mad_u64_u32 v[50:51], s[0:1], v56, v53, 0
	v_mul_hi_u32 v57, v56, v52
	v_add_co_u32_e32 v57, vcc, v57, v50
	v_addc_co_u32_e32 v58, vcc, 0, v51, vcc
	v_mad_u64_u32 v[50:51], s[0:1], v55, v53, 0
	v_mad_u64_u32 v[52:53], s[0:1], v55, v52, 0
	v_add_co_u32_e32 v52, vcc, v57, v52
	v_addc_co_u32_e32 v52, vcc, v58, v53, vcc
	v_addc_co_u32_e32 v51, vcc, 0, v51, vcc
	v_add_co_u32_e32 v52, vcc, v52, v50
	v_addc_co_u32_e32 v53, vcc, 0, v51, vcc
	v_mul_lo_u32 v57, s11, v52
	v_mul_lo_u32 v58, s10, v53
	v_mad_u64_u32 v[50:51], s[0:1], s10, v52, 0
	v_add3_u32 v51, v51, v58, v57
	v_sub_u32_e32 v57, v55, v51
	v_mov_b32_e32 v58, s11
	v_sub_co_u32_e32 v50, vcc, v56, v50
	v_subb_co_u32_e64 v56, s[0:1], v57, v58, vcc
	v_subrev_co_u32_e64 v57, s[0:1], s10, v50
	v_subbrev_co_u32_e64 v56, s[0:1], 0, v56, s[0:1]
	v_cmp_le_u32_e64 s[0:1], s11, v56
	v_cndmask_b32_e64 v58, 0, -1, s[0:1]
	v_cmp_le_u32_e64 s[0:1], s10, v57
	v_cndmask_b32_e64 v57, 0, -1, s[0:1]
	v_cmp_eq_u32_e64 s[0:1], s11, v56
	v_cndmask_b32_e64 v56, v58, v57, s[0:1]
	v_add_co_u32_e64 v57, s[0:1], 2, v52
	v_subb_co_u32_e32 v51, vcc, v55, v51, vcc
	v_addc_co_u32_e64 v58, s[0:1], 0, v53, s[0:1]
	v_cmp_le_u32_e32 vcc, s11, v51
	v_add_co_u32_e64 v59, s[0:1], 1, v52
	v_cndmask_b32_e64 v55, 0, -1, vcc
	v_cmp_le_u32_e32 vcc, s10, v50
	v_addc_co_u32_e64 v60, s[0:1], 0, v53, s[0:1]
	v_cndmask_b32_e64 v50, 0, -1, vcc
	v_cmp_eq_u32_e32 vcc, s11, v51
	v_cmp_ne_u32_e64 s[0:1], 0, v56
	v_cndmask_b32_e32 v50, v55, v50, vcc
	v_cndmask_b32_e64 v56, v60, v58, s[0:1]
	v_cmp_ne_u32_e32 vcc, 0, v50
	v_cndmask_b32_e64 v51, v59, v57, s[0:1]
	v_cndmask_b32_e32 v50, v53, v56, vcc
	v_cndmask_b32_e32 v51, v52, v51, vcc
	v_xor_b32_e32 v52, s8, v54
	v_xor_b32_e32 v53, v50, v52
	;; [unrolled: 1-line block ×3, first 2 shown]
	v_sub_co_u32_e32 v50, vcc, v50, v52
	v_subb_co_u32_e32 v51, vcc, v53, v52, vcc
.LBB1154_99:
	s_andn2_saveexec_b64 s[0:1], s[2:3]
	s_cbranch_execz .LBB1154_101
; %bb.100:
	v_cvt_f32_u32_e32 v50, s44
	s_sub_i32 s2, 0, s44
	v_rcp_iflag_f32_e32 v50, v50
	v_mul_f32_e32 v50, 0x4f7ffffe, v50
	v_cvt_u32_f32_e32 v50, v50
	v_mul_lo_u32 v51, s2, v50
	v_mul_hi_u32 v51, v50, v51
	v_add_u32_e32 v50, v50, v51
	v_mul_hi_u32 v50, v81, v50
	v_mul_lo_u32 v51, v50, s44
	v_sub_u32_e32 v51, v81, v51
	v_add_u32_e32 v52, 1, v50
	v_subrev_u32_e32 v53, s44, v51
	v_cmp_le_u32_e32 vcc, s44, v51
	v_cndmask_b32_e32 v51, v51, v53, vcc
	v_cndmask_b32_e32 v50, v50, v52, vcc
	v_add_u32_e32 v52, 1, v50
	v_cmp_le_u32_e32 vcc, s44, v51
	v_cndmask_b32_e32 v50, v50, v52, vcc
	v_mov_b32_e32 v51, 0
.LBB1154_101:
	s_or_b64 exec, exec, s[0:1]
	v_add_co_u32_e32 v83, vcc, 0xa00, v30
	v_addc_co_u32_e32 v84, vcc, 0, v1, vcc
	v_or_b32_e32 v53, s45, v84
	v_mov_b32_e32 v52, 0
	v_cmp_ne_u64_e32 vcc, 0, v[52:53]
                                        ; implicit-def: $vgpr52_vgpr53
	s_and_saveexec_b64 s[0:1], vcc
	s_xor_b64 s[2:3], exec, s[0:1]
	s_cbranch_execz .LBB1154_103
; %bb.102:
	s_ashr_i32 s8, s45, 31
	s_add_u32 s0, s44, s8
	s_mov_b32 s9, s8
	s_addc_u32 s1, s45, s8
	s_xor_b64 s[10:11], s[0:1], s[8:9]
	v_cvt_f32_u32_e32 v52, s10
	v_cvt_f32_u32_e32 v53, s11
	s_sub_u32 s0, 0, s10
	s_subb_u32 s1, 0, s11
	v_madmk_f32 v52, v53, 0x4f800000, v52
	v_rcp_f32_e32 v52, v52
	v_mul_f32_e32 v52, 0x5f7ffffc, v52
	v_mul_f32_e32 v53, 0x2f800000, v52
	v_trunc_f32_e32 v53, v53
	v_madmk_f32 v52, v53, 0xcf800000, v52
	v_cvt_u32_f32_e32 v53, v53
	v_cvt_u32_f32_e32 v52, v52
	v_mul_lo_u32 v54, s0, v53
	v_mul_hi_u32 v56, s0, v52
	v_mul_lo_u32 v55, s1, v52
	v_add_u32_e32 v54, v56, v54
	v_mul_lo_u32 v57, s0, v52
	v_add_u32_e32 v54, v54, v55
	v_mul_lo_u32 v56, v52, v54
	v_mul_hi_u32 v58, v52, v57
	v_mul_hi_u32 v55, v52, v54
	v_add_co_u32_e32 v56, vcc, v58, v56
	v_addc_co_u32_e32 v55, vcc, 0, v55, vcc
	v_mul_hi_u32 v59, v53, v57
	v_mul_lo_u32 v57, v53, v57
	v_add_co_u32_e32 v56, vcc, v56, v57
	v_mul_hi_u32 v58, v53, v54
	v_addc_co_u32_e32 v55, vcc, v55, v59, vcc
	v_addc_co_u32_e32 v56, vcc, 0, v58, vcc
	v_mul_lo_u32 v54, v53, v54
	v_add_co_u32_e32 v54, vcc, v55, v54
	v_addc_co_u32_e32 v55, vcc, 0, v56, vcc
	v_add_co_u32_e32 v52, vcc, v52, v54
	v_addc_co_u32_e32 v53, vcc, v53, v55, vcc
	v_mul_lo_u32 v54, s0, v53
	v_mul_hi_u32 v55, s0, v52
	v_add_u32_e32 v54, v55, v54
	v_mul_lo_u32 v55, s1, v52
	v_add_u32_e32 v54, v54, v55
	v_mul_lo_u32 v56, s0, v52
	v_mul_hi_u32 v57, v53, v56
	v_mul_lo_u32 v58, v53, v56
	v_mul_lo_u32 v60, v52, v54
	v_mul_hi_u32 v56, v52, v56
	v_mul_hi_u32 v59, v52, v54
	v_add_co_u32_e32 v56, vcc, v56, v60
	v_addc_co_u32_e32 v59, vcc, 0, v59, vcc
	v_add_co_u32_e32 v56, vcc, v56, v58
	v_mul_hi_u32 v55, v53, v54
	v_addc_co_u32_e32 v56, vcc, v59, v57, vcc
	v_addc_co_u32_e32 v55, vcc, 0, v55, vcc
	v_mul_lo_u32 v54, v53, v54
	v_add_co_u32_e32 v54, vcc, v56, v54
	v_addc_co_u32_e32 v55, vcc, 0, v55, vcc
	v_add_co_u32_e32 v54, vcc, v52, v54
	v_addc_co_u32_e32 v55, vcc, v53, v55, vcc
	v_ashrrev_i32_e32 v56, 31, v84
	v_add_co_u32_e32 v52, vcc, v83, v56
	v_addc_co_u32_e32 v53, vcc, v84, v56, vcc
	v_xor_b32_e32 v58, v52, v56
	v_xor_b32_e32 v57, v53, v56
	v_mad_u64_u32 v[52:53], s[0:1], v58, v55, 0
	v_mul_hi_u32 v59, v58, v54
	v_add_co_u32_e32 v59, vcc, v59, v52
	v_addc_co_u32_e32 v60, vcc, 0, v53, vcc
	v_mad_u64_u32 v[52:53], s[0:1], v57, v55, 0
	v_mad_u64_u32 v[54:55], s[0:1], v57, v54, 0
	v_add_co_u32_e32 v54, vcc, v59, v54
	v_addc_co_u32_e32 v54, vcc, v60, v55, vcc
	v_addc_co_u32_e32 v53, vcc, 0, v53, vcc
	v_add_co_u32_e32 v54, vcc, v54, v52
	v_addc_co_u32_e32 v55, vcc, 0, v53, vcc
	v_mul_lo_u32 v59, s11, v54
	v_mul_lo_u32 v60, s10, v55
	v_mad_u64_u32 v[52:53], s[0:1], s10, v54, 0
	v_add3_u32 v53, v53, v60, v59
	v_sub_u32_e32 v59, v57, v53
	v_mov_b32_e32 v60, s11
	v_sub_co_u32_e32 v52, vcc, v58, v52
	v_subb_co_u32_e64 v58, s[0:1], v59, v60, vcc
	v_subrev_co_u32_e64 v59, s[0:1], s10, v52
	v_subbrev_co_u32_e64 v58, s[0:1], 0, v58, s[0:1]
	v_cmp_le_u32_e64 s[0:1], s11, v58
	v_cndmask_b32_e64 v60, 0, -1, s[0:1]
	v_cmp_le_u32_e64 s[0:1], s10, v59
	v_cndmask_b32_e64 v59, 0, -1, s[0:1]
	v_cmp_eq_u32_e64 s[0:1], s11, v58
	v_cndmask_b32_e64 v58, v60, v59, s[0:1]
	v_add_co_u32_e64 v59, s[0:1], 2, v54
	v_subb_co_u32_e32 v53, vcc, v57, v53, vcc
	v_addc_co_u32_e64 v60, s[0:1], 0, v55, s[0:1]
	v_cmp_le_u32_e32 vcc, s11, v53
	v_add_co_u32_e64 v61, s[0:1], 1, v54
	v_cndmask_b32_e64 v57, 0, -1, vcc
	v_cmp_le_u32_e32 vcc, s10, v52
	v_addc_co_u32_e64 v85, s[0:1], 0, v55, s[0:1]
	v_cndmask_b32_e64 v52, 0, -1, vcc
	v_cmp_eq_u32_e32 vcc, s11, v53
	v_cmp_ne_u32_e64 s[0:1], 0, v58
	v_cndmask_b32_e32 v52, v57, v52, vcc
	v_cndmask_b32_e64 v58, v85, v60, s[0:1]
	v_cmp_ne_u32_e32 vcc, 0, v52
	v_cndmask_b32_e64 v53, v61, v59, s[0:1]
	v_cndmask_b32_e32 v52, v55, v58, vcc
	v_cndmask_b32_e32 v53, v54, v53, vcc
	v_xor_b32_e32 v54, s8, v56
	v_xor_b32_e32 v55, v52, v54
	;; [unrolled: 1-line block ×3, first 2 shown]
	v_sub_co_u32_e32 v52, vcc, v52, v54
	v_subb_co_u32_e32 v53, vcc, v55, v54, vcc
.LBB1154_103:
	s_andn2_saveexec_b64 s[0:1], s[2:3]
	s_cbranch_execz .LBB1154_105
; %bb.104:
	v_cvt_f32_u32_e32 v52, s44
	s_sub_i32 s2, 0, s44
	v_rcp_iflag_f32_e32 v52, v52
	v_mul_f32_e32 v52, 0x4f7ffffe, v52
	v_cvt_u32_f32_e32 v52, v52
	v_mul_lo_u32 v53, s2, v52
	v_mul_hi_u32 v53, v52, v53
	v_add_u32_e32 v52, v52, v53
	v_mul_hi_u32 v52, v83, v52
	v_mul_lo_u32 v53, v52, s44
	v_sub_u32_e32 v53, v83, v53
	v_add_u32_e32 v54, 1, v52
	v_subrev_u32_e32 v55, s44, v53
	v_cmp_le_u32_e32 vcc, s44, v53
	v_cndmask_b32_e32 v53, v53, v55, vcc
	v_cndmask_b32_e32 v52, v52, v54, vcc
	v_add_u32_e32 v54, 1, v52
	v_cmp_le_u32_e32 vcc, s44, v53
	v_cndmask_b32_e32 v52, v52, v54, vcc
	v_mov_b32_e32 v53, 0
.LBB1154_105:
	s_or_b64 exec, exec, s[0:1]
	v_add_co_u32_e32 v85, vcc, 0xb00, v30
	v_addc_co_u32_e32 v86, vcc, 0, v1, vcc
	v_or_b32_e32 v55, s45, v86
	v_mov_b32_e32 v54, 0
	v_cmp_ne_u64_e32 vcc, 0, v[54:55]
                                        ; implicit-def: $vgpr54_vgpr55
	s_and_saveexec_b64 s[0:1], vcc
	s_xor_b64 s[2:3], exec, s[0:1]
	s_cbranch_execz .LBB1154_107
; %bb.106:
	s_ashr_i32 s8, s45, 31
	s_add_u32 s0, s44, s8
	s_mov_b32 s9, s8
	s_addc_u32 s1, s45, s8
	s_xor_b64 s[10:11], s[0:1], s[8:9]
	v_cvt_f32_u32_e32 v54, s10
	v_cvt_f32_u32_e32 v55, s11
	s_sub_u32 s0, 0, s10
	s_subb_u32 s1, 0, s11
	v_madmk_f32 v54, v55, 0x4f800000, v54
	v_rcp_f32_e32 v54, v54
	v_mul_f32_e32 v54, 0x5f7ffffc, v54
	v_mul_f32_e32 v55, 0x2f800000, v54
	v_trunc_f32_e32 v55, v55
	v_madmk_f32 v54, v55, 0xcf800000, v54
	v_cvt_u32_f32_e32 v55, v55
	v_cvt_u32_f32_e32 v54, v54
	v_mul_lo_u32 v56, s0, v55
	v_mul_hi_u32 v58, s0, v54
	v_mul_lo_u32 v57, s1, v54
	v_add_u32_e32 v56, v58, v56
	v_mul_lo_u32 v59, s0, v54
	v_add_u32_e32 v56, v56, v57
	v_mul_lo_u32 v58, v54, v56
	v_mul_hi_u32 v60, v54, v59
	v_mul_hi_u32 v57, v54, v56
	v_add_co_u32_e32 v58, vcc, v60, v58
	v_addc_co_u32_e32 v57, vcc, 0, v57, vcc
	v_mul_hi_u32 v61, v55, v59
	v_mul_lo_u32 v59, v55, v59
	v_add_co_u32_e32 v58, vcc, v58, v59
	v_mul_hi_u32 v60, v55, v56
	v_addc_co_u32_e32 v57, vcc, v57, v61, vcc
	v_addc_co_u32_e32 v58, vcc, 0, v60, vcc
	v_mul_lo_u32 v56, v55, v56
	v_add_co_u32_e32 v56, vcc, v57, v56
	v_addc_co_u32_e32 v57, vcc, 0, v58, vcc
	v_add_co_u32_e32 v54, vcc, v54, v56
	v_addc_co_u32_e32 v55, vcc, v55, v57, vcc
	v_mul_lo_u32 v56, s0, v55
	v_mul_hi_u32 v57, s0, v54
	v_add_u32_e32 v56, v57, v56
	v_mul_lo_u32 v57, s1, v54
	v_add_u32_e32 v56, v56, v57
	v_mul_lo_u32 v58, s0, v54
	v_mul_hi_u32 v59, v55, v58
	v_mul_lo_u32 v60, v55, v58
	v_mul_lo_u32 v87, v54, v56
	v_mul_hi_u32 v58, v54, v58
	v_mul_hi_u32 v61, v54, v56
	v_add_co_u32_e32 v58, vcc, v58, v87
	v_addc_co_u32_e32 v61, vcc, 0, v61, vcc
	v_add_co_u32_e32 v58, vcc, v58, v60
	v_mul_hi_u32 v57, v55, v56
	v_addc_co_u32_e32 v58, vcc, v61, v59, vcc
	v_addc_co_u32_e32 v57, vcc, 0, v57, vcc
	v_mul_lo_u32 v56, v55, v56
	v_add_co_u32_e32 v56, vcc, v58, v56
	v_addc_co_u32_e32 v57, vcc, 0, v57, vcc
	v_add_co_u32_e32 v56, vcc, v54, v56
	v_addc_co_u32_e32 v57, vcc, v55, v57, vcc
	v_ashrrev_i32_e32 v58, 31, v86
	v_add_co_u32_e32 v54, vcc, v85, v58
	v_addc_co_u32_e32 v55, vcc, v86, v58, vcc
	v_xor_b32_e32 v60, v54, v58
	v_xor_b32_e32 v59, v55, v58
	v_mad_u64_u32 v[54:55], s[0:1], v60, v57, 0
	v_mul_hi_u32 v61, v60, v56
	v_add_co_u32_e32 v61, vcc, v61, v54
	v_addc_co_u32_e32 v87, vcc, 0, v55, vcc
	v_mad_u64_u32 v[54:55], s[0:1], v59, v57, 0
	v_mad_u64_u32 v[56:57], s[0:1], v59, v56, 0
	v_add_co_u32_e32 v56, vcc, v61, v56
	v_addc_co_u32_e32 v56, vcc, v87, v57, vcc
	v_addc_co_u32_e32 v55, vcc, 0, v55, vcc
	v_add_co_u32_e32 v56, vcc, v56, v54
	v_addc_co_u32_e32 v57, vcc, 0, v55, vcc
	v_mul_lo_u32 v61, s11, v56
	v_mul_lo_u32 v87, s10, v57
	v_mad_u64_u32 v[54:55], s[0:1], s10, v56, 0
	v_add3_u32 v55, v55, v87, v61
	v_sub_u32_e32 v61, v59, v55
	v_mov_b32_e32 v87, s11
	v_sub_co_u32_e32 v54, vcc, v60, v54
	v_subb_co_u32_e64 v60, s[0:1], v61, v87, vcc
	v_subrev_co_u32_e64 v61, s[0:1], s10, v54
	v_subbrev_co_u32_e64 v60, s[0:1], 0, v60, s[0:1]
	v_cmp_le_u32_e64 s[0:1], s11, v60
	v_cndmask_b32_e64 v87, 0, -1, s[0:1]
	v_cmp_le_u32_e64 s[0:1], s10, v61
	v_cndmask_b32_e64 v61, 0, -1, s[0:1]
	v_cmp_eq_u32_e64 s[0:1], s11, v60
	v_cndmask_b32_e64 v60, v87, v61, s[0:1]
	v_add_co_u32_e64 v61, s[0:1], 2, v56
	v_subb_co_u32_e32 v55, vcc, v59, v55, vcc
	v_addc_co_u32_e64 v87, s[0:1], 0, v57, s[0:1]
	v_cmp_le_u32_e32 vcc, s11, v55
	v_add_co_u32_e64 v88, s[0:1], 1, v56
	v_cndmask_b32_e64 v59, 0, -1, vcc
	v_cmp_le_u32_e32 vcc, s10, v54
	v_addc_co_u32_e64 v89, s[0:1], 0, v57, s[0:1]
	v_cndmask_b32_e64 v54, 0, -1, vcc
	v_cmp_eq_u32_e32 vcc, s11, v55
	v_cmp_ne_u32_e64 s[0:1], 0, v60
	v_cndmask_b32_e32 v54, v59, v54, vcc
	v_cndmask_b32_e64 v60, v89, v87, s[0:1]
	v_cmp_ne_u32_e32 vcc, 0, v54
	v_cndmask_b32_e64 v55, v88, v61, s[0:1]
	v_cndmask_b32_e32 v54, v57, v60, vcc
	v_cndmask_b32_e32 v55, v56, v55, vcc
	v_xor_b32_e32 v56, s8, v58
	v_xor_b32_e32 v57, v54, v56
	;; [unrolled: 1-line block ×3, first 2 shown]
	v_sub_co_u32_e32 v54, vcc, v54, v56
	v_subb_co_u32_e32 v55, vcc, v57, v56, vcc
.LBB1154_107:
	s_andn2_saveexec_b64 s[0:1], s[2:3]
	s_cbranch_execz .LBB1154_109
; %bb.108:
	v_cvt_f32_u32_e32 v54, s44
	s_sub_i32 s2, 0, s44
	v_rcp_iflag_f32_e32 v54, v54
	v_mul_f32_e32 v54, 0x4f7ffffe, v54
	v_cvt_u32_f32_e32 v54, v54
	v_mul_lo_u32 v55, s2, v54
	v_mul_hi_u32 v55, v54, v55
	v_add_u32_e32 v54, v54, v55
	v_mul_hi_u32 v54, v85, v54
	v_mul_lo_u32 v55, v54, s44
	v_sub_u32_e32 v55, v85, v55
	v_add_u32_e32 v56, 1, v54
	v_subrev_u32_e32 v57, s44, v55
	v_cmp_le_u32_e32 vcc, s44, v55
	v_cndmask_b32_e32 v55, v55, v57, vcc
	v_cndmask_b32_e32 v54, v54, v56, vcc
	v_add_u32_e32 v56, 1, v54
	v_cmp_le_u32_e32 vcc, s44, v55
	v_cndmask_b32_e32 v54, v54, v56, vcc
	v_mov_b32_e32 v55, 0
.LBB1154_109:
	s_or_b64 exec, exec, s[0:1]
	v_add_co_u32_e32 v87, vcc, 0xc00, v30
	v_addc_co_u32_e32 v88, vcc, 0, v1, vcc
	v_or_b32_e32 v57, s45, v88
	v_mov_b32_e32 v56, 0
	v_cmp_ne_u64_e32 vcc, 0, v[56:57]
                                        ; implicit-def: $vgpr56_vgpr57
	s_and_saveexec_b64 s[0:1], vcc
	s_xor_b64 s[2:3], exec, s[0:1]
	s_cbranch_execz .LBB1154_111
; %bb.110:
	s_ashr_i32 s8, s45, 31
	s_add_u32 s0, s44, s8
	s_mov_b32 s9, s8
	s_addc_u32 s1, s45, s8
	s_xor_b64 s[10:11], s[0:1], s[8:9]
	v_cvt_f32_u32_e32 v56, s10
	v_cvt_f32_u32_e32 v57, s11
	s_sub_u32 s0, 0, s10
	s_subb_u32 s1, 0, s11
	v_madmk_f32 v56, v57, 0x4f800000, v56
	v_rcp_f32_e32 v56, v56
	v_mul_f32_e32 v56, 0x5f7ffffc, v56
	v_mul_f32_e32 v57, 0x2f800000, v56
	v_trunc_f32_e32 v57, v57
	v_madmk_f32 v56, v57, 0xcf800000, v56
	v_cvt_u32_f32_e32 v57, v57
	v_cvt_u32_f32_e32 v56, v56
	v_mul_lo_u32 v58, s0, v57
	v_mul_hi_u32 v60, s0, v56
	v_mul_lo_u32 v59, s1, v56
	v_add_u32_e32 v58, v60, v58
	v_mul_lo_u32 v61, s0, v56
	v_add_u32_e32 v58, v58, v59
	v_mul_lo_u32 v60, v56, v58
	v_mul_hi_u32 v89, v56, v61
	v_mul_hi_u32 v59, v56, v58
	v_add_co_u32_e32 v60, vcc, v89, v60
	v_addc_co_u32_e32 v59, vcc, 0, v59, vcc
	v_mul_hi_u32 v90, v57, v61
	v_mul_lo_u32 v61, v57, v61
	v_add_co_u32_e32 v60, vcc, v60, v61
	v_mul_hi_u32 v89, v57, v58
	v_addc_co_u32_e32 v59, vcc, v59, v90, vcc
	v_addc_co_u32_e32 v60, vcc, 0, v89, vcc
	v_mul_lo_u32 v58, v57, v58
	v_add_co_u32_e32 v58, vcc, v59, v58
	v_addc_co_u32_e32 v59, vcc, 0, v60, vcc
	v_add_co_u32_e32 v56, vcc, v56, v58
	v_addc_co_u32_e32 v57, vcc, v57, v59, vcc
	v_mul_lo_u32 v58, s0, v57
	v_mul_hi_u32 v59, s0, v56
	v_add_u32_e32 v58, v59, v58
	v_mul_lo_u32 v59, s1, v56
	v_add_u32_e32 v58, v58, v59
	v_mul_lo_u32 v60, s0, v56
	v_mul_hi_u32 v61, v57, v60
	v_mul_lo_u32 v89, v57, v60
	v_mul_lo_u32 v91, v56, v58
	v_mul_hi_u32 v60, v56, v60
	v_mul_hi_u32 v90, v56, v58
	v_add_co_u32_e32 v60, vcc, v60, v91
	v_addc_co_u32_e32 v90, vcc, 0, v90, vcc
	v_add_co_u32_e32 v60, vcc, v60, v89
	v_mul_hi_u32 v59, v57, v58
	v_addc_co_u32_e32 v60, vcc, v90, v61, vcc
	v_addc_co_u32_e32 v59, vcc, 0, v59, vcc
	v_mul_lo_u32 v58, v57, v58
	v_add_co_u32_e32 v58, vcc, v60, v58
	v_addc_co_u32_e32 v59, vcc, 0, v59, vcc
	v_add_co_u32_e32 v58, vcc, v56, v58
	v_addc_co_u32_e32 v59, vcc, v57, v59, vcc
	v_ashrrev_i32_e32 v60, 31, v88
	v_add_co_u32_e32 v56, vcc, v87, v60
	v_addc_co_u32_e32 v57, vcc, v88, v60, vcc
	v_xor_b32_e32 v89, v56, v60
	v_xor_b32_e32 v61, v57, v60
	v_mad_u64_u32 v[56:57], s[0:1], v89, v59, 0
	v_mul_hi_u32 v90, v89, v58
	v_add_co_u32_e32 v90, vcc, v90, v56
	v_addc_co_u32_e32 v91, vcc, 0, v57, vcc
	v_mad_u64_u32 v[56:57], s[0:1], v61, v59, 0
	v_mad_u64_u32 v[58:59], s[0:1], v61, v58, 0
	v_add_co_u32_e32 v58, vcc, v90, v58
	v_addc_co_u32_e32 v58, vcc, v91, v59, vcc
	v_addc_co_u32_e32 v57, vcc, 0, v57, vcc
	v_add_co_u32_e32 v58, vcc, v58, v56
	v_addc_co_u32_e32 v59, vcc, 0, v57, vcc
	v_mul_lo_u32 v90, s11, v58
	v_mul_lo_u32 v91, s10, v59
	v_mad_u64_u32 v[56:57], s[0:1], s10, v58, 0
	v_add3_u32 v57, v57, v91, v90
	v_sub_u32_e32 v90, v61, v57
	v_mov_b32_e32 v91, s11
	v_sub_co_u32_e32 v56, vcc, v89, v56
	v_subb_co_u32_e64 v89, s[0:1], v90, v91, vcc
	v_subrev_co_u32_e64 v90, s[0:1], s10, v56
	v_subbrev_co_u32_e64 v89, s[0:1], 0, v89, s[0:1]
	v_cmp_le_u32_e64 s[0:1], s11, v89
	v_cndmask_b32_e64 v91, 0, -1, s[0:1]
	v_cmp_le_u32_e64 s[0:1], s10, v90
	v_cndmask_b32_e64 v90, 0, -1, s[0:1]
	v_cmp_eq_u32_e64 s[0:1], s11, v89
	v_cndmask_b32_e64 v89, v91, v90, s[0:1]
	v_add_co_u32_e64 v90, s[0:1], 2, v58
	v_subb_co_u32_e32 v57, vcc, v61, v57, vcc
	v_addc_co_u32_e64 v91, s[0:1], 0, v59, s[0:1]
	v_cmp_le_u32_e32 vcc, s11, v57
	v_add_co_u32_e64 v92, s[0:1], 1, v58
	v_cndmask_b32_e64 v61, 0, -1, vcc
	v_cmp_le_u32_e32 vcc, s10, v56
	v_addc_co_u32_e64 v93, s[0:1], 0, v59, s[0:1]
	v_cndmask_b32_e64 v56, 0, -1, vcc
	v_cmp_eq_u32_e32 vcc, s11, v57
	v_cmp_ne_u32_e64 s[0:1], 0, v89
	v_cndmask_b32_e32 v56, v61, v56, vcc
	v_cndmask_b32_e64 v89, v93, v91, s[0:1]
	v_cmp_ne_u32_e32 vcc, 0, v56
	v_cndmask_b32_e64 v57, v92, v90, s[0:1]
	v_cndmask_b32_e32 v56, v59, v89, vcc
	v_cndmask_b32_e32 v57, v58, v57, vcc
	v_xor_b32_e32 v58, s8, v60
	v_xor_b32_e32 v59, v56, v58
	v_xor_b32_e32 v56, v57, v58
	v_sub_co_u32_e32 v56, vcc, v56, v58
	v_subb_co_u32_e32 v57, vcc, v59, v58, vcc
.LBB1154_111:
	s_andn2_saveexec_b64 s[0:1], s[2:3]
	s_cbranch_execz .LBB1154_113
; %bb.112:
	v_cvt_f32_u32_e32 v56, s44
	s_sub_i32 s2, 0, s44
	v_rcp_iflag_f32_e32 v56, v56
	v_mul_f32_e32 v56, 0x4f7ffffe, v56
	v_cvt_u32_f32_e32 v56, v56
	v_mul_lo_u32 v57, s2, v56
	v_mul_hi_u32 v57, v56, v57
	v_add_u32_e32 v56, v56, v57
	v_mul_hi_u32 v56, v87, v56
	v_mul_lo_u32 v57, v56, s44
	v_sub_u32_e32 v57, v87, v57
	v_add_u32_e32 v58, 1, v56
	v_subrev_u32_e32 v59, s44, v57
	v_cmp_le_u32_e32 vcc, s44, v57
	v_cndmask_b32_e32 v57, v57, v59, vcc
	v_cndmask_b32_e32 v56, v56, v58, vcc
	v_add_u32_e32 v58, 1, v56
	v_cmp_le_u32_e32 vcc, s44, v57
	v_cndmask_b32_e32 v56, v56, v58, vcc
	v_mov_b32_e32 v57, 0
.LBB1154_113:
	s_or_b64 exec, exec, s[0:1]
	v_add_co_u32_e32 v91, vcc, 0xd00, v30
	v_addc_co_u32_e32 v92, vcc, 0, v1, vcc
	v_or_b32_e32 v59, s45, v92
	v_mov_b32_e32 v58, 0
	v_cmp_ne_u64_e32 vcc, 0, v[58:59]
                                        ; implicit-def: $vgpr60_vgpr61
	s_and_saveexec_b64 s[0:1], vcc
	s_xor_b64 s[2:3], exec, s[0:1]
	s_cbranch_execz .LBB1154_115
; %bb.114:
	s_ashr_i32 s8, s45, 31
	s_add_u32 s0, s44, s8
	s_mov_b32 s9, s8
	s_addc_u32 s1, s45, s8
	s_xor_b64 s[10:11], s[0:1], s[8:9]
	v_cvt_f32_u32_e32 v58, s10
	v_cvt_f32_u32_e32 v59, s11
	s_sub_u32 s0, 0, s10
	s_subb_u32 s1, 0, s11
	v_madmk_f32 v58, v59, 0x4f800000, v58
	v_rcp_f32_e32 v58, v58
	v_mul_f32_e32 v58, 0x5f7ffffc, v58
	v_mul_f32_e32 v59, 0x2f800000, v58
	v_trunc_f32_e32 v59, v59
	v_madmk_f32 v58, v59, 0xcf800000, v58
	v_cvt_u32_f32_e32 v59, v59
	v_cvt_u32_f32_e32 v58, v58
	v_mul_lo_u32 v60, s0, v59
	v_mul_hi_u32 v89, s0, v58
	v_mul_lo_u32 v61, s1, v58
	v_add_u32_e32 v60, v89, v60
	v_mul_lo_u32 v90, s0, v58
	v_add_u32_e32 v60, v60, v61
	v_mul_lo_u32 v89, v58, v60
	v_mul_hi_u32 v93, v58, v90
	v_mul_hi_u32 v61, v58, v60
	v_add_co_u32_e32 v89, vcc, v93, v89
	v_addc_co_u32_e32 v61, vcc, 0, v61, vcc
	v_mul_hi_u32 v94, v59, v90
	v_mul_lo_u32 v90, v59, v90
	v_add_co_u32_e32 v89, vcc, v89, v90
	v_mul_hi_u32 v93, v59, v60
	v_addc_co_u32_e32 v61, vcc, v61, v94, vcc
	v_addc_co_u32_e32 v89, vcc, 0, v93, vcc
	v_mul_lo_u32 v60, v59, v60
	v_add_co_u32_e32 v60, vcc, v61, v60
	v_addc_co_u32_e32 v61, vcc, 0, v89, vcc
	v_add_co_u32_e32 v58, vcc, v58, v60
	v_addc_co_u32_e32 v59, vcc, v59, v61, vcc
	v_mul_lo_u32 v60, s0, v59
	v_mul_hi_u32 v61, s0, v58
	v_add_u32_e32 v60, v61, v60
	v_mul_lo_u32 v61, s1, v58
	v_add_u32_e32 v60, v60, v61
	v_mul_lo_u32 v89, s0, v58
	v_mul_hi_u32 v90, v59, v89
	v_mul_lo_u32 v93, v59, v89
	v_mul_lo_u32 v95, v58, v60
	v_mul_hi_u32 v89, v58, v89
	v_mul_hi_u32 v94, v58, v60
	v_add_co_u32_e32 v89, vcc, v89, v95
	v_addc_co_u32_e32 v94, vcc, 0, v94, vcc
	v_add_co_u32_e32 v89, vcc, v89, v93
	v_mul_hi_u32 v61, v59, v60
	v_addc_co_u32_e32 v89, vcc, v94, v90, vcc
	v_addc_co_u32_e32 v61, vcc, 0, v61, vcc
	v_mul_lo_u32 v60, v59, v60
	v_add_co_u32_e32 v60, vcc, v89, v60
	v_addc_co_u32_e32 v61, vcc, 0, v61, vcc
	v_add_co_u32_e32 v60, vcc, v58, v60
	v_addc_co_u32_e32 v61, vcc, v59, v61, vcc
	v_ashrrev_i32_e32 v89, 31, v92
	v_add_co_u32_e32 v58, vcc, v91, v89
	v_addc_co_u32_e32 v59, vcc, v92, v89, vcc
	v_xor_b32_e32 v93, v58, v89
	v_xor_b32_e32 v90, v59, v89
	v_mad_u64_u32 v[58:59], s[0:1], v93, v61, 0
	v_mul_hi_u32 v94, v93, v60
	v_add_co_u32_e32 v94, vcc, v94, v58
	v_addc_co_u32_e32 v95, vcc, 0, v59, vcc
	v_mad_u64_u32 v[58:59], s[0:1], v90, v61, 0
	v_mad_u64_u32 v[60:61], s[0:1], v90, v60, 0
	v_add_co_u32_e32 v60, vcc, v94, v60
	v_addc_co_u32_e32 v60, vcc, v95, v61, vcc
	v_addc_co_u32_e32 v59, vcc, 0, v59, vcc
	v_add_co_u32_e32 v60, vcc, v60, v58
	v_addc_co_u32_e32 v61, vcc, 0, v59, vcc
	v_mul_lo_u32 v94, s11, v60
	v_mul_lo_u32 v95, s10, v61
	v_mad_u64_u32 v[58:59], s[0:1], s10, v60, 0
	v_add3_u32 v59, v59, v95, v94
	v_sub_u32_e32 v94, v90, v59
	v_mov_b32_e32 v95, s11
	v_sub_co_u32_e32 v58, vcc, v93, v58
	v_subb_co_u32_e64 v93, s[0:1], v94, v95, vcc
	v_subrev_co_u32_e64 v94, s[0:1], s10, v58
	v_subbrev_co_u32_e64 v93, s[0:1], 0, v93, s[0:1]
	v_cmp_le_u32_e64 s[0:1], s11, v93
	v_cndmask_b32_e64 v95, 0, -1, s[0:1]
	v_cmp_le_u32_e64 s[0:1], s10, v94
	v_cndmask_b32_e64 v94, 0, -1, s[0:1]
	v_cmp_eq_u32_e64 s[0:1], s11, v93
	v_cndmask_b32_e64 v93, v95, v94, s[0:1]
	v_add_co_u32_e64 v94, s[0:1], 2, v60
	v_subb_co_u32_e32 v59, vcc, v90, v59, vcc
	v_addc_co_u32_e64 v95, s[0:1], 0, v61, s[0:1]
	v_cmp_le_u32_e32 vcc, s11, v59
	v_add_co_u32_e64 v96, s[0:1], 1, v60
	v_cndmask_b32_e64 v90, 0, -1, vcc
	v_cmp_le_u32_e32 vcc, s10, v58
	v_addc_co_u32_e64 v97, s[0:1], 0, v61, s[0:1]
	v_cndmask_b32_e64 v58, 0, -1, vcc
	v_cmp_eq_u32_e32 vcc, s11, v59
	v_cmp_ne_u32_e64 s[0:1], 0, v93
	v_cndmask_b32_e32 v58, v90, v58, vcc
	v_cndmask_b32_e64 v93, v97, v95, s[0:1]
	v_cmp_ne_u32_e32 vcc, 0, v58
	v_cndmask_b32_e64 v59, v96, v94, s[0:1]
	v_cndmask_b32_e32 v58, v61, v93, vcc
	v_cndmask_b32_e32 v59, v60, v59, vcc
	v_xor_b32_e32 v61, s8, v89
	v_xor_b32_e32 v59, v59, v61
	v_xor_b32_e32 v58, v58, v61
	v_sub_co_u32_e32 v60, vcc, v59, v61
	v_subb_co_u32_e32 v61, vcc, v58, v61, vcc
.LBB1154_115:
	s_andn2_saveexec_b64 s[0:1], s[2:3]
	s_cbranch_execz .LBB1154_117
; %bb.116:
	v_cvt_f32_u32_e32 v58, s44
	s_sub_i32 s2, 0, s44
	v_rcp_iflag_f32_e32 v58, v58
	v_mul_f32_e32 v58, 0x4f7ffffe, v58
	v_cvt_u32_f32_e32 v58, v58
	v_mul_lo_u32 v59, s2, v58
	v_mul_hi_u32 v59, v58, v59
	v_add_u32_e32 v58, v58, v59
	v_mul_hi_u32 v58, v91, v58
	v_mul_lo_u32 v59, v58, s44
	v_sub_u32_e32 v59, v91, v59
	v_add_u32_e32 v60, 1, v58
	v_subrev_u32_e32 v61, s44, v59
	v_cmp_le_u32_e32 vcc, s44, v59
	v_cndmask_b32_e32 v59, v59, v61, vcc
	v_cndmask_b32_e32 v58, v58, v60, vcc
	v_add_u32_e32 v60, 1, v58
	v_cmp_le_u32_e32 vcc, s44, v59
	v_cndmask_b32_e32 v60, v58, v60, vcc
	v_mov_b32_e32 v61, 0
.LBB1154_117:
	s_or_b64 exec, exec, s[0:1]
	v_add_co_u32_e32 v89, vcc, 0xe00, v30
	v_addc_co_u32_e32 v90, vcc, 0, v1, vcc
	v_or_b32_e32 v59, s45, v90
	v_mov_b32_e32 v58, 0
	v_cmp_ne_u64_e32 vcc, 0, v[58:59]
                                        ; implicit-def: $vgpr58_vgpr59
	s_and_saveexec_b64 s[0:1], vcc
	s_xor_b64 s[2:3], exec, s[0:1]
	s_cbranch_execz .LBB1154_119
; %bb.118:
	s_ashr_i32 s8, s45, 31
	s_add_u32 s0, s44, s8
	s_mov_b32 s9, s8
	s_addc_u32 s1, s45, s8
	s_xor_b64 s[10:11], s[0:1], s[8:9]
	v_cvt_f32_u32_e32 v58, s10
	v_cvt_f32_u32_e32 v59, s11
	s_sub_u32 s0, 0, s10
	s_subb_u32 s1, 0, s11
	v_madmk_f32 v58, v59, 0x4f800000, v58
	v_rcp_f32_e32 v58, v58
	v_mul_f32_e32 v58, 0x5f7ffffc, v58
	v_mul_f32_e32 v59, 0x2f800000, v58
	v_trunc_f32_e32 v59, v59
	v_madmk_f32 v58, v59, 0xcf800000, v58
	v_cvt_u32_f32_e32 v59, v59
	v_cvt_u32_f32_e32 v58, v58
	v_mul_lo_u32 v93, s0, v59
	v_mul_hi_u32 v95, s0, v58
	v_mul_lo_u32 v94, s1, v58
	v_add_u32_e32 v93, v95, v93
	v_mul_lo_u32 v96, s0, v58
	v_add_u32_e32 v93, v93, v94
	v_mul_lo_u32 v95, v58, v93
	v_mul_hi_u32 v97, v58, v96
	v_mul_hi_u32 v94, v58, v93
	v_add_co_u32_e32 v95, vcc, v97, v95
	v_addc_co_u32_e32 v94, vcc, 0, v94, vcc
	v_mul_hi_u32 v98, v59, v96
	v_mul_lo_u32 v96, v59, v96
	v_add_co_u32_e32 v95, vcc, v95, v96
	v_mul_hi_u32 v97, v59, v93
	v_addc_co_u32_e32 v94, vcc, v94, v98, vcc
	v_addc_co_u32_e32 v95, vcc, 0, v97, vcc
	v_mul_lo_u32 v93, v59, v93
	v_add_co_u32_e32 v93, vcc, v94, v93
	v_addc_co_u32_e32 v94, vcc, 0, v95, vcc
	v_add_co_u32_e32 v58, vcc, v58, v93
	v_addc_co_u32_e32 v59, vcc, v59, v94, vcc
	v_mul_lo_u32 v93, s0, v59
	v_mul_hi_u32 v94, s0, v58
	v_add_u32_e32 v93, v94, v93
	v_mul_lo_u32 v94, s1, v58
	v_add_u32_e32 v93, v93, v94
	v_mul_lo_u32 v95, s0, v58
	v_mul_hi_u32 v96, v59, v95
	v_mul_lo_u32 v97, v59, v95
	v_mul_lo_u32 v99, v58, v93
	v_mul_hi_u32 v95, v58, v95
	v_mul_hi_u32 v98, v58, v93
	v_add_co_u32_e32 v95, vcc, v95, v99
	v_addc_co_u32_e32 v98, vcc, 0, v98, vcc
	v_add_co_u32_e32 v95, vcc, v95, v97
	v_mul_hi_u32 v94, v59, v93
	v_addc_co_u32_e32 v95, vcc, v98, v96, vcc
	v_addc_co_u32_e32 v94, vcc, 0, v94, vcc
	v_mul_lo_u32 v93, v59, v93
	v_add_co_u32_e32 v93, vcc, v95, v93
	v_addc_co_u32_e32 v94, vcc, 0, v94, vcc
	v_add_co_u32_e32 v93, vcc, v58, v93
	v_addc_co_u32_e32 v94, vcc, v59, v94, vcc
	v_ashrrev_i32_e32 v96, 31, v90
	v_add_co_u32_e32 v58, vcc, v89, v96
	v_addc_co_u32_e32 v59, vcc, v90, v96, vcc
	v_xor_b32_e32 v98, v58, v96
	v_xor_b32_e32 v97, v59, v96
	v_mad_u64_u32 v[58:59], s[0:1], v98, v94, 0
	v_mul_hi_u32 v95, v98, v93
	v_add_co_u32_e32 v99, vcc, v95, v58
	v_addc_co_u32_e32 v100, vcc, 0, v59, vcc
	v_mad_u64_u32 v[58:59], s[0:1], v97, v94, 0
	v_mad_u64_u32 v[94:95], s[0:1], v97, v93, 0
	v_add_co_u32_e32 v93, vcc, v99, v94
	v_addc_co_u32_e32 v93, vcc, v100, v95, vcc
	v_addc_co_u32_e32 v59, vcc, 0, v59, vcc
	v_add_co_u32_e32 v93, vcc, v93, v58
	v_addc_co_u32_e32 v94, vcc, 0, v59, vcc
	v_mul_lo_u32 v95, s11, v93
	v_mul_lo_u32 v99, s10, v94
	v_mad_u64_u32 v[58:59], s[0:1], s10, v93, 0
	v_add3_u32 v59, v59, v99, v95
	v_sub_u32_e32 v95, v97, v59
	v_mov_b32_e32 v99, s11
	v_sub_co_u32_e32 v58, vcc, v98, v58
	v_subb_co_u32_e64 v95, s[0:1], v95, v99, vcc
	v_subrev_co_u32_e64 v98, s[0:1], s10, v58
	v_subbrev_co_u32_e64 v95, s[0:1], 0, v95, s[0:1]
	v_cmp_le_u32_e64 s[0:1], s11, v95
	v_cndmask_b32_e64 v99, 0, -1, s[0:1]
	v_cmp_le_u32_e64 s[0:1], s10, v98
	v_cndmask_b32_e64 v98, 0, -1, s[0:1]
	v_cmp_eq_u32_e64 s[0:1], s11, v95
	v_cndmask_b32_e64 v95, v99, v98, s[0:1]
	v_add_co_u32_e64 v98, s[0:1], 2, v93
	v_subb_co_u32_e32 v59, vcc, v97, v59, vcc
	v_addc_co_u32_e64 v99, s[0:1], 0, v94, s[0:1]
	v_cmp_le_u32_e32 vcc, s11, v59
	v_add_co_u32_e64 v100, s[0:1], 1, v93
	v_cndmask_b32_e64 v97, 0, -1, vcc
	v_cmp_le_u32_e32 vcc, s10, v58
	v_addc_co_u32_e64 v101, s[0:1], 0, v94, s[0:1]
	v_cndmask_b32_e64 v58, 0, -1, vcc
	v_cmp_eq_u32_e32 vcc, s11, v59
	v_cmp_ne_u32_e64 s[0:1], 0, v95
	v_cndmask_b32_e32 v58, v97, v58, vcc
	v_cndmask_b32_e64 v95, v101, v99, s[0:1]
	v_cmp_ne_u32_e32 vcc, 0, v58
	v_cndmask_b32_e64 v59, v100, v98, s[0:1]
	v_cndmask_b32_e32 v58, v94, v95, vcc
	v_cndmask_b32_e32 v59, v93, v59, vcc
	v_xor_b32_e32 v93, s8, v96
	v_xor_b32_e32 v94, v58, v93
	;; [unrolled: 1-line block ×3, first 2 shown]
	v_sub_co_u32_e32 v58, vcc, v58, v93
	v_subb_co_u32_e32 v59, vcc, v94, v93, vcc
.LBB1154_119:
	s_andn2_saveexec_b64 s[0:1], s[2:3]
	s_cbranch_execz .LBB1154_121
; %bb.120:
	v_cvt_f32_u32_e32 v58, s44
	s_sub_i32 s2, 0, s44
	v_rcp_iflag_f32_e32 v58, v58
	v_mul_f32_e32 v58, 0x4f7ffffe, v58
	v_cvt_u32_f32_e32 v58, v58
	v_mul_lo_u32 v59, s2, v58
	v_mul_hi_u32 v59, v58, v59
	v_add_u32_e32 v58, v58, v59
	v_mul_hi_u32 v58, v89, v58
	v_mul_lo_u32 v59, v58, s44
	v_sub_u32_e32 v59, v89, v59
	v_add_u32_e32 v93, 1, v58
	v_subrev_u32_e32 v94, s44, v59
	v_cmp_le_u32_e32 vcc, s44, v59
	v_cndmask_b32_e32 v59, v59, v94, vcc
	v_cndmask_b32_e32 v58, v58, v93, vcc
	v_add_u32_e32 v93, 1, v58
	v_cmp_le_u32_e32 vcc, s44, v59
	v_cndmask_b32_e32 v58, v58, v93, vcc
	v_mov_b32_e32 v59, 0
.LBB1154_121:
	s_or_b64 exec, exec, s[0:1]
	v_mul_lo_u32 v93, v61, s44
	v_mul_lo_u32 v96, v60, s45
	v_mad_u64_u32 v[94:95], s[0:1], v60, s44, 0
	v_add3_u32 v93, v95, v96, v93
	v_sub_co_u32_e32 v91, vcc, v91, v94
	v_subb_co_u32_e32 v92, vcc, v92, v93, vcc
	v_add_co_u32_e32 v60, vcc, v60, v91
	v_addc_co_u32_e32 v61, vcc, v61, v92, vcc
	v_mul_lo_u32 v91, v57, s44
	v_mul_lo_u32 v94, v56, s45
	v_mad_u64_u32 v[92:93], s[0:1], v56, s44, 0
	v_add3_u32 v91, v93, v94, v91
	v_sub_co_u32_e32 v87, vcc, v87, v92
	v_subb_co_u32_e32 v88, vcc, v88, v91, vcc
	v_add_co_u32_e32 v56, vcc, v56, v87
	v_addc_co_u32_e32 v57, vcc, v57, v88, vcc
	;; [unrolled: 8-line block ×15, first 2 shown]
	ds_write2st64_b64 v62, v[30:31], v[34:35] offset1:4
	ds_write2st64_b64 v62, v[36:37], v[38:39] offset0:8 offset1:12
	ds_write2st64_b64 v62, v[40:41], v[42:43] offset0:16 offset1:20
	;; [unrolled: 1-line block ×6, first 2 shown]
	ds_write_b64 v62, v[32:33] offset:28672
	v_mov_b32_e32 v58, v26
	v_mov_b32_e32 v59, v27
	;; [unrolled: 1-line block ×14, first 2 shown]
	s_waitcnt lgkmcnt(0)
	s_barrier
	s_load_dwordx2 s[60:61], s[4:5], 0x88
	s_add_i32 s76, s76, s64
	s_branch .LBB1154_304
.LBB1154_122:
                                        ; implicit-def: $vgpr74_vgpr75
                                        ; implicit-def: $vgpr2_vgpr3
                                        ; implicit-def: $vgpr6_vgpr7
                                        ; implicit-def: $vgpr10_vgpr11
                                        ; implicit-def: $vgpr14_vgpr15
                                        ; implicit-def: $vgpr18_vgpr19
                                        ; implicit-def: $vgpr22_vgpr23
                                        ; implicit-def: $vgpr26_vgpr27
                                        ; implicit-def: $vgpr76
                                        ; implicit-def: $vgpr66_vgpr67_vgpr68_vgpr69
                                        ; implicit-def: $vgpr62_vgpr63_vgpr64_vgpr65
                                        ; implicit-def: $vgpr58_vgpr59_vgpr60_vgpr61
                                        ; implicit-def: $vgpr70_vgpr71_vgpr72_vgpr73
	s_load_dwordx2 s[60:61], s[4:5], 0x88
	s_add_i32 s76, s76, s64
	s_and_b64 vcc, exec, s[0:1]
	s_cbranch_vccz .LBB1154_304
; %bb.123:
	v_cmp_gt_u32_e64 s[28:29], s76, v0
                                        ; implicit-def: $vgpr2_vgpr3
	s_and_saveexec_b64 s[2:3], s[28:29]
	s_cbranch_execz .LBB1154_129
; %bb.124:
	v_mov_b32_e32 v3, s33
	v_add_co_u32_e32 v1, vcc, s7, v0
	v_addc_co_u32_e32 v4, vcc, 0, v3, vcc
	v_mov_b32_e32 v2, 0
	v_or_b32_e32 v3, s39, v4
	v_cmp_ne_u64_e32 vcc, 0, v[2:3]
                                        ; implicit-def: $vgpr2_vgpr3
	s_and_saveexec_b64 s[0:1], vcc
	s_xor_b64 s[4:5], exec, s[0:1]
	s_cbranch_execz .LBB1154_126
; %bb.125:
	s_ashr_i32 s8, s39, 31
	s_add_u32 s0, s38, s8
	s_mov_b32 s9, s8
	s_addc_u32 s1, s39, s8
	s_xor_b64 s[10:11], s[0:1], s[8:9]
	v_cvt_f32_u32_e32 v2, s10
	v_cvt_f32_u32_e32 v3, s11
	s_sub_u32 s0, 0, s10
	s_subb_u32 s1, 0, s11
	v_madmk_f32 v2, v3, 0x4f800000, v2
	v_rcp_f32_e32 v2, v2
	v_mul_f32_e32 v2, 0x5f7ffffc, v2
	v_mul_f32_e32 v3, 0x2f800000, v2
	v_trunc_f32_e32 v3, v3
	v_madmk_f32 v2, v3, 0xcf800000, v2
	v_cvt_u32_f32_e32 v3, v3
	v_cvt_u32_f32_e32 v2, v2
	v_mul_lo_u32 v5, s0, v3
	v_mul_hi_u32 v7, s0, v2
	v_mul_lo_u32 v6, s1, v2
	v_add_u32_e32 v5, v7, v5
	v_mul_lo_u32 v8, s0, v2
	v_add_u32_e32 v5, v5, v6
	v_mul_lo_u32 v7, v2, v5
	v_mul_hi_u32 v9, v2, v8
	v_mul_hi_u32 v6, v2, v5
	v_add_co_u32_e32 v7, vcc, v9, v7
	v_addc_co_u32_e32 v6, vcc, 0, v6, vcc
	v_mul_hi_u32 v10, v3, v8
	v_mul_lo_u32 v8, v3, v8
	v_add_co_u32_e32 v7, vcc, v7, v8
	v_mul_hi_u32 v9, v3, v5
	v_addc_co_u32_e32 v6, vcc, v6, v10, vcc
	v_addc_co_u32_e32 v7, vcc, 0, v9, vcc
	v_mul_lo_u32 v5, v3, v5
	v_add_co_u32_e32 v5, vcc, v6, v5
	v_addc_co_u32_e32 v6, vcc, 0, v7, vcc
	v_add_co_u32_e32 v2, vcc, v2, v5
	v_addc_co_u32_e32 v3, vcc, v3, v6, vcc
	v_mul_lo_u32 v5, s0, v3
	v_mul_hi_u32 v6, s0, v2
	v_add_u32_e32 v5, v6, v5
	v_mul_lo_u32 v6, s1, v2
	v_add_u32_e32 v5, v5, v6
	v_mul_lo_u32 v7, s0, v2
	v_mul_hi_u32 v8, v3, v7
	v_mul_lo_u32 v9, v3, v7
	v_mul_lo_u32 v11, v2, v5
	v_mul_hi_u32 v7, v2, v7
	v_mul_hi_u32 v10, v2, v5
	v_add_co_u32_e32 v7, vcc, v7, v11
	v_addc_co_u32_e32 v10, vcc, 0, v10, vcc
	v_add_co_u32_e32 v7, vcc, v7, v9
	v_mul_hi_u32 v6, v3, v5
	v_addc_co_u32_e32 v7, vcc, v10, v8, vcc
	v_addc_co_u32_e32 v6, vcc, 0, v6, vcc
	v_mul_lo_u32 v5, v3, v5
	v_add_co_u32_e32 v5, vcc, v7, v5
	v_addc_co_u32_e32 v6, vcc, 0, v6, vcc
	v_add_co_u32_e32 v5, vcc, v2, v5
	v_addc_co_u32_e32 v6, vcc, v3, v6, vcc
	v_ashrrev_i32_e32 v7, 31, v4
	v_add_co_u32_e32 v1, vcc, v1, v7
	v_addc_co_u32_e32 v2, vcc, v4, v7, vcc
	v_xor_b32_e32 v1, v1, v7
	v_xor_b32_e32 v8, v2, v7
	v_mad_u64_u32 v[2:3], s[0:1], v1, v6, 0
	v_mul_hi_u32 v4, v1, v5
	v_add_co_u32_e32 v9, vcc, v4, v2
	v_addc_co_u32_e32 v10, vcc, 0, v3, vcc
	v_mad_u64_u32 v[4:5], s[0:1], v8, v5, 0
	v_add_co_u32_e32 v4, vcc, v9, v4
	v_mad_u64_u32 v[2:3], s[0:1], v8, v6, 0
	v_addc_co_u32_e32 v4, vcc, v10, v5, vcc
	v_addc_co_u32_e32 v3, vcc, 0, v3, vcc
	v_add_co_u32_e32 v4, vcc, v4, v2
	v_addc_co_u32_e32 v5, vcc, 0, v3, vcc
	v_mul_lo_u32 v6, s11, v4
	v_mul_lo_u32 v9, s10, v5
	v_mad_u64_u32 v[2:3], s[0:1], s10, v4, 0
	v_add3_u32 v3, v3, v9, v6
	v_sub_u32_e32 v6, v8, v3
	v_mov_b32_e32 v9, s11
	v_sub_co_u32_e32 v1, vcc, v1, v2
	v_subb_co_u32_e64 v2, s[0:1], v6, v9, vcc
	v_subrev_co_u32_e64 v6, s[0:1], s10, v1
	v_subbrev_co_u32_e64 v2, s[0:1], 0, v2, s[0:1]
	v_cmp_le_u32_e64 s[0:1], s11, v2
	v_cndmask_b32_e64 v9, 0, -1, s[0:1]
	v_cmp_le_u32_e64 s[0:1], s10, v6
	v_cndmask_b32_e64 v6, 0, -1, s[0:1]
	v_cmp_eq_u32_e64 s[0:1], s11, v2
	v_cndmask_b32_e64 v2, v9, v6, s[0:1]
	v_add_co_u32_e64 v6, s[0:1], 2, v4
	v_subb_co_u32_e32 v3, vcc, v8, v3, vcc
	v_addc_co_u32_e64 v9, s[0:1], 0, v5, s[0:1]
	v_cmp_le_u32_e32 vcc, s11, v3
	v_add_co_u32_e64 v10, s[0:1], 1, v4
	v_cndmask_b32_e64 v8, 0, -1, vcc
	v_cmp_le_u32_e32 vcc, s10, v1
	v_addc_co_u32_e64 v11, s[0:1], 0, v5, s[0:1]
	v_cndmask_b32_e64 v1, 0, -1, vcc
	v_cmp_eq_u32_e32 vcc, s11, v3
	v_cmp_ne_u32_e64 s[0:1], 0, v2
	v_cndmask_b32_e32 v1, v8, v1, vcc
	v_cndmask_b32_e64 v2, v11, v9, s[0:1]
	v_cmp_ne_u32_e32 vcc, 0, v1
	v_cndmask_b32_e32 v1, v5, v2, vcc
	v_cndmask_b32_e64 v2, v10, v6, s[0:1]
	v_cndmask_b32_e32 v2, v4, v2, vcc
	v_xor_b32_e32 v3, s8, v7
	v_xor_b32_e32 v2, v2, v3
	;; [unrolled: 1-line block ×3, first 2 shown]
	v_sub_co_u32_e32 v2, vcc, v2, v3
	v_subb_co_u32_e32 v3, vcc, v1, v3, vcc
                                        ; implicit-def: $vgpr1
.LBB1154_126:
	s_andn2_saveexec_b64 s[0:1], s[4:5]
	s_cbranch_execz .LBB1154_128
; %bb.127:
	v_cvt_f32_u32_e32 v2, s38
	s_sub_i32 s4, 0, s38
	v_rcp_iflag_f32_e32 v2, v2
	v_mul_f32_e32 v2, 0x4f7ffffe, v2
	v_cvt_u32_f32_e32 v2, v2
	v_mul_lo_u32 v3, s4, v2
	v_mul_hi_u32 v3, v2, v3
	v_add_u32_e32 v2, v2, v3
	v_mul_hi_u32 v2, v1, v2
	v_mul_lo_u32 v3, v2, s38
	v_sub_u32_e32 v1, v1, v3
	v_add_u32_e32 v4, 1, v2
	v_subrev_u32_e32 v3, s38, v1
	v_cmp_le_u32_e32 vcc, s38, v1
	v_cndmask_b32_e32 v1, v1, v3, vcc
	v_cndmask_b32_e32 v2, v2, v4, vcc
	v_add_u32_e32 v3, 1, v2
	v_cmp_le_u32_e32 vcc, s38, v1
	v_cndmask_b32_e32 v2, v2, v3, vcc
	v_mov_b32_e32 v3, 0
.LBB1154_128:
	s_or_b64 exec, exec, s[0:1]
.LBB1154_129:
	s_or_b64 exec, exec, s[2:3]
	v_or_b32_e32 v34, 0x100, v0
	v_cmp_gt_u32_e64 s[26:27], s76, v34
                                        ; implicit-def: $vgpr4_vgpr5
	s_and_saveexec_b64 s[2:3], s[26:27]
	s_cbranch_execz .LBB1154_135
; %bb.130:
	v_mov_b32_e32 v5, s33
	v_add_co_u32_e32 v1, vcc, s7, v34
	v_addc_co_u32_e32 v6, vcc, 0, v5, vcc
	v_mov_b32_e32 v4, 0
	v_or_b32_e32 v5, s39, v6
	v_cmp_ne_u64_e32 vcc, 0, v[4:5]
                                        ; implicit-def: $vgpr4_vgpr5
	s_and_saveexec_b64 s[0:1], vcc
	s_xor_b64 s[4:5], exec, s[0:1]
	s_cbranch_execz .LBB1154_132
; %bb.131:
	s_ashr_i32 s8, s39, 31
	s_add_u32 s0, s38, s8
	s_mov_b32 s9, s8
	s_addc_u32 s1, s39, s8
	s_xor_b64 s[10:11], s[0:1], s[8:9]
	v_cvt_f32_u32_e32 v4, s10
	v_cvt_f32_u32_e32 v5, s11
	s_sub_u32 s0, 0, s10
	s_subb_u32 s1, 0, s11
	v_madmk_f32 v4, v5, 0x4f800000, v4
	v_rcp_f32_e32 v4, v4
	v_mul_f32_e32 v4, 0x5f7ffffc, v4
	v_mul_f32_e32 v5, 0x2f800000, v4
	v_trunc_f32_e32 v5, v5
	v_madmk_f32 v4, v5, 0xcf800000, v4
	v_cvt_u32_f32_e32 v5, v5
	v_cvt_u32_f32_e32 v4, v4
	v_mul_lo_u32 v7, s0, v5
	v_mul_hi_u32 v9, s0, v4
	v_mul_lo_u32 v8, s1, v4
	v_add_u32_e32 v7, v9, v7
	v_mul_lo_u32 v10, s0, v4
	v_add_u32_e32 v7, v7, v8
	v_mul_lo_u32 v9, v4, v7
	v_mul_hi_u32 v11, v4, v10
	v_mul_hi_u32 v8, v4, v7
	v_add_co_u32_e32 v9, vcc, v11, v9
	v_addc_co_u32_e32 v8, vcc, 0, v8, vcc
	v_mul_hi_u32 v12, v5, v10
	v_mul_lo_u32 v10, v5, v10
	v_add_co_u32_e32 v9, vcc, v9, v10
	v_mul_hi_u32 v11, v5, v7
	v_addc_co_u32_e32 v8, vcc, v8, v12, vcc
	v_addc_co_u32_e32 v9, vcc, 0, v11, vcc
	v_mul_lo_u32 v7, v5, v7
	v_add_co_u32_e32 v7, vcc, v8, v7
	v_addc_co_u32_e32 v8, vcc, 0, v9, vcc
	v_add_co_u32_e32 v4, vcc, v4, v7
	v_addc_co_u32_e32 v5, vcc, v5, v8, vcc
	v_mul_lo_u32 v7, s0, v5
	v_mul_hi_u32 v8, s0, v4
	v_add_u32_e32 v7, v8, v7
	v_mul_lo_u32 v8, s1, v4
	v_add_u32_e32 v7, v7, v8
	v_mul_lo_u32 v9, s0, v4
	v_mul_hi_u32 v10, v5, v9
	v_mul_lo_u32 v11, v5, v9
	v_mul_lo_u32 v13, v4, v7
	v_mul_hi_u32 v9, v4, v9
	v_mul_hi_u32 v12, v4, v7
	v_add_co_u32_e32 v9, vcc, v9, v13
	v_addc_co_u32_e32 v12, vcc, 0, v12, vcc
	v_add_co_u32_e32 v9, vcc, v9, v11
	v_mul_hi_u32 v8, v5, v7
	v_addc_co_u32_e32 v9, vcc, v12, v10, vcc
	v_addc_co_u32_e32 v8, vcc, 0, v8, vcc
	v_mul_lo_u32 v7, v5, v7
	v_add_co_u32_e32 v7, vcc, v9, v7
	v_addc_co_u32_e32 v8, vcc, 0, v8, vcc
	v_add_co_u32_e32 v7, vcc, v4, v7
	v_addc_co_u32_e32 v8, vcc, v5, v8, vcc
	v_ashrrev_i32_e32 v9, 31, v6
	v_add_co_u32_e32 v1, vcc, v1, v9
	v_addc_co_u32_e32 v4, vcc, v6, v9, vcc
	v_xor_b32_e32 v1, v1, v9
	v_xor_b32_e32 v10, v4, v9
	v_mad_u64_u32 v[4:5], s[0:1], v1, v8, 0
	v_mul_hi_u32 v6, v1, v7
	v_add_co_u32_e32 v11, vcc, v6, v4
	v_addc_co_u32_e32 v12, vcc, 0, v5, vcc
	v_mad_u64_u32 v[6:7], s[0:1], v10, v7, 0
	v_add_co_u32_e32 v6, vcc, v11, v6
	v_mad_u64_u32 v[4:5], s[0:1], v10, v8, 0
	v_addc_co_u32_e32 v6, vcc, v12, v7, vcc
	v_addc_co_u32_e32 v5, vcc, 0, v5, vcc
	v_add_co_u32_e32 v6, vcc, v6, v4
	v_addc_co_u32_e32 v7, vcc, 0, v5, vcc
	v_mul_lo_u32 v8, s11, v6
	v_mul_lo_u32 v11, s10, v7
	v_mad_u64_u32 v[4:5], s[0:1], s10, v6, 0
	v_add3_u32 v5, v5, v11, v8
	v_sub_u32_e32 v8, v10, v5
	v_mov_b32_e32 v11, s11
	v_sub_co_u32_e32 v1, vcc, v1, v4
	v_subb_co_u32_e64 v4, s[0:1], v8, v11, vcc
	v_subrev_co_u32_e64 v8, s[0:1], s10, v1
	v_subbrev_co_u32_e64 v4, s[0:1], 0, v4, s[0:1]
	v_cmp_le_u32_e64 s[0:1], s11, v4
	v_cndmask_b32_e64 v11, 0, -1, s[0:1]
	v_cmp_le_u32_e64 s[0:1], s10, v8
	v_cndmask_b32_e64 v8, 0, -1, s[0:1]
	v_cmp_eq_u32_e64 s[0:1], s11, v4
	v_cndmask_b32_e64 v4, v11, v8, s[0:1]
	v_add_co_u32_e64 v8, s[0:1], 2, v6
	v_subb_co_u32_e32 v5, vcc, v10, v5, vcc
	v_addc_co_u32_e64 v11, s[0:1], 0, v7, s[0:1]
	v_cmp_le_u32_e32 vcc, s11, v5
	v_add_co_u32_e64 v12, s[0:1], 1, v6
	v_cndmask_b32_e64 v10, 0, -1, vcc
	v_cmp_le_u32_e32 vcc, s10, v1
	v_addc_co_u32_e64 v13, s[0:1], 0, v7, s[0:1]
	v_cndmask_b32_e64 v1, 0, -1, vcc
	v_cmp_eq_u32_e32 vcc, s11, v5
	v_cmp_ne_u32_e64 s[0:1], 0, v4
	v_cndmask_b32_e32 v1, v10, v1, vcc
	v_cndmask_b32_e64 v4, v13, v11, s[0:1]
	v_cmp_ne_u32_e32 vcc, 0, v1
	v_cndmask_b32_e32 v1, v7, v4, vcc
	v_cndmask_b32_e64 v4, v12, v8, s[0:1]
	v_cndmask_b32_e32 v4, v6, v4, vcc
	v_xor_b32_e32 v5, s8, v9
	v_xor_b32_e32 v4, v4, v5
	;; [unrolled: 1-line block ×3, first 2 shown]
	v_sub_co_u32_e32 v4, vcc, v4, v5
	v_subb_co_u32_e32 v5, vcc, v1, v5, vcc
                                        ; implicit-def: $vgpr1
.LBB1154_132:
	s_andn2_saveexec_b64 s[0:1], s[4:5]
	s_cbranch_execz .LBB1154_134
; %bb.133:
	v_cvt_f32_u32_e32 v4, s38
	s_sub_i32 s4, 0, s38
	v_rcp_iflag_f32_e32 v4, v4
	v_mul_f32_e32 v4, 0x4f7ffffe, v4
	v_cvt_u32_f32_e32 v4, v4
	v_mul_lo_u32 v5, s4, v4
	v_mul_hi_u32 v5, v4, v5
	v_add_u32_e32 v4, v4, v5
	v_mul_hi_u32 v4, v1, v4
	v_mul_lo_u32 v5, v4, s38
	v_sub_u32_e32 v1, v1, v5
	v_add_u32_e32 v6, 1, v4
	v_subrev_u32_e32 v5, s38, v1
	v_cmp_le_u32_e32 vcc, s38, v1
	v_cndmask_b32_e32 v1, v1, v5, vcc
	v_cndmask_b32_e32 v4, v4, v6, vcc
	v_add_u32_e32 v5, 1, v4
	v_cmp_le_u32_e32 vcc, s38, v1
	v_cndmask_b32_e32 v4, v4, v5, vcc
	v_mov_b32_e32 v5, 0
.LBB1154_134:
	s_or_b64 exec, exec, s[0:1]
.LBB1154_135:
	s_or_b64 exec, exec, s[2:3]
	v_or_b32_e32 v36, 0x200, v0
	v_cmp_gt_u32_e64 s[24:25], s76, v36
                                        ; implicit-def: $vgpr6_vgpr7
	s_and_saveexec_b64 s[2:3], s[24:25]
	s_cbranch_execz .LBB1154_141
; %bb.136:
	v_mov_b32_e32 v7, s33
	v_add_co_u32_e32 v1, vcc, s7, v36
	v_addc_co_u32_e32 v8, vcc, 0, v7, vcc
	v_mov_b32_e32 v6, 0
	v_or_b32_e32 v7, s39, v8
	v_cmp_ne_u64_e32 vcc, 0, v[6:7]
                                        ; implicit-def: $vgpr6_vgpr7
	s_and_saveexec_b64 s[0:1], vcc
	s_xor_b64 s[4:5], exec, s[0:1]
	s_cbranch_execz .LBB1154_138
; %bb.137:
	s_ashr_i32 s8, s39, 31
	s_add_u32 s0, s38, s8
	s_mov_b32 s9, s8
	s_addc_u32 s1, s39, s8
	s_xor_b64 s[10:11], s[0:1], s[8:9]
	v_cvt_f32_u32_e32 v6, s10
	v_cvt_f32_u32_e32 v7, s11
	s_sub_u32 s0, 0, s10
	s_subb_u32 s1, 0, s11
	v_madmk_f32 v6, v7, 0x4f800000, v6
	v_rcp_f32_e32 v6, v6
	v_mul_f32_e32 v6, 0x5f7ffffc, v6
	v_mul_f32_e32 v7, 0x2f800000, v6
	v_trunc_f32_e32 v7, v7
	v_madmk_f32 v6, v7, 0xcf800000, v6
	v_cvt_u32_f32_e32 v7, v7
	v_cvt_u32_f32_e32 v6, v6
	v_mul_lo_u32 v9, s0, v7
	v_mul_hi_u32 v11, s0, v6
	v_mul_lo_u32 v10, s1, v6
	v_add_u32_e32 v9, v11, v9
	v_mul_lo_u32 v12, s0, v6
	v_add_u32_e32 v9, v9, v10
	v_mul_lo_u32 v11, v6, v9
	v_mul_hi_u32 v13, v6, v12
	v_mul_hi_u32 v10, v6, v9
	v_add_co_u32_e32 v11, vcc, v13, v11
	v_addc_co_u32_e32 v10, vcc, 0, v10, vcc
	v_mul_hi_u32 v14, v7, v12
	v_mul_lo_u32 v12, v7, v12
	v_add_co_u32_e32 v11, vcc, v11, v12
	v_mul_hi_u32 v13, v7, v9
	v_addc_co_u32_e32 v10, vcc, v10, v14, vcc
	v_addc_co_u32_e32 v11, vcc, 0, v13, vcc
	v_mul_lo_u32 v9, v7, v9
	v_add_co_u32_e32 v9, vcc, v10, v9
	v_addc_co_u32_e32 v10, vcc, 0, v11, vcc
	v_add_co_u32_e32 v6, vcc, v6, v9
	v_addc_co_u32_e32 v7, vcc, v7, v10, vcc
	v_mul_lo_u32 v9, s0, v7
	v_mul_hi_u32 v10, s0, v6
	v_add_u32_e32 v9, v10, v9
	v_mul_lo_u32 v10, s1, v6
	v_add_u32_e32 v9, v9, v10
	v_mul_lo_u32 v11, s0, v6
	v_mul_hi_u32 v12, v7, v11
	v_mul_lo_u32 v13, v7, v11
	v_mul_lo_u32 v15, v6, v9
	v_mul_hi_u32 v11, v6, v11
	v_mul_hi_u32 v14, v6, v9
	v_add_co_u32_e32 v11, vcc, v11, v15
	v_addc_co_u32_e32 v14, vcc, 0, v14, vcc
	v_add_co_u32_e32 v11, vcc, v11, v13
	v_mul_hi_u32 v10, v7, v9
	v_addc_co_u32_e32 v11, vcc, v14, v12, vcc
	v_addc_co_u32_e32 v10, vcc, 0, v10, vcc
	v_mul_lo_u32 v9, v7, v9
	v_add_co_u32_e32 v9, vcc, v11, v9
	v_addc_co_u32_e32 v10, vcc, 0, v10, vcc
	v_add_co_u32_e32 v9, vcc, v6, v9
	v_addc_co_u32_e32 v10, vcc, v7, v10, vcc
	v_ashrrev_i32_e32 v11, 31, v8
	v_add_co_u32_e32 v1, vcc, v1, v11
	v_addc_co_u32_e32 v6, vcc, v8, v11, vcc
	v_xor_b32_e32 v1, v1, v11
	v_xor_b32_e32 v12, v6, v11
	v_mad_u64_u32 v[6:7], s[0:1], v1, v10, 0
	v_mul_hi_u32 v8, v1, v9
	v_add_co_u32_e32 v13, vcc, v8, v6
	v_addc_co_u32_e32 v14, vcc, 0, v7, vcc
	v_mad_u64_u32 v[8:9], s[0:1], v12, v9, 0
	v_add_co_u32_e32 v8, vcc, v13, v8
	v_mad_u64_u32 v[6:7], s[0:1], v12, v10, 0
	v_addc_co_u32_e32 v8, vcc, v14, v9, vcc
	v_addc_co_u32_e32 v7, vcc, 0, v7, vcc
	v_add_co_u32_e32 v8, vcc, v8, v6
	v_addc_co_u32_e32 v9, vcc, 0, v7, vcc
	v_mul_lo_u32 v10, s11, v8
	v_mul_lo_u32 v13, s10, v9
	v_mad_u64_u32 v[6:7], s[0:1], s10, v8, 0
	v_add3_u32 v7, v7, v13, v10
	v_sub_u32_e32 v10, v12, v7
	v_mov_b32_e32 v13, s11
	v_sub_co_u32_e32 v1, vcc, v1, v6
	v_subb_co_u32_e64 v6, s[0:1], v10, v13, vcc
	v_subrev_co_u32_e64 v10, s[0:1], s10, v1
	v_subbrev_co_u32_e64 v6, s[0:1], 0, v6, s[0:1]
	v_cmp_le_u32_e64 s[0:1], s11, v6
	v_cndmask_b32_e64 v13, 0, -1, s[0:1]
	v_cmp_le_u32_e64 s[0:1], s10, v10
	v_cndmask_b32_e64 v10, 0, -1, s[0:1]
	v_cmp_eq_u32_e64 s[0:1], s11, v6
	v_cndmask_b32_e64 v6, v13, v10, s[0:1]
	v_add_co_u32_e64 v10, s[0:1], 2, v8
	v_subb_co_u32_e32 v7, vcc, v12, v7, vcc
	v_addc_co_u32_e64 v13, s[0:1], 0, v9, s[0:1]
	v_cmp_le_u32_e32 vcc, s11, v7
	v_add_co_u32_e64 v14, s[0:1], 1, v8
	v_cndmask_b32_e64 v12, 0, -1, vcc
	v_cmp_le_u32_e32 vcc, s10, v1
	v_addc_co_u32_e64 v15, s[0:1], 0, v9, s[0:1]
	v_cndmask_b32_e64 v1, 0, -1, vcc
	v_cmp_eq_u32_e32 vcc, s11, v7
	v_cmp_ne_u32_e64 s[0:1], 0, v6
	v_cndmask_b32_e32 v1, v12, v1, vcc
	v_cndmask_b32_e64 v6, v15, v13, s[0:1]
	v_cmp_ne_u32_e32 vcc, 0, v1
	v_cndmask_b32_e32 v1, v9, v6, vcc
	v_cndmask_b32_e64 v6, v14, v10, s[0:1]
	v_cndmask_b32_e32 v6, v8, v6, vcc
	v_xor_b32_e32 v7, s8, v11
	v_xor_b32_e32 v6, v6, v7
	;; [unrolled: 1-line block ×3, first 2 shown]
	v_sub_co_u32_e32 v6, vcc, v6, v7
	v_subb_co_u32_e32 v7, vcc, v1, v7, vcc
                                        ; implicit-def: $vgpr1
.LBB1154_138:
	s_andn2_saveexec_b64 s[0:1], s[4:5]
	s_cbranch_execz .LBB1154_140
; %bb.139:
	v_cvt_f32_u32_e32 v6, s38
	s_sub_i32 s4, 0, s38
	v_rcp_iflag_f32_e32 v6, v6
	v_mul_f32_e32 v6, 0x4f7ffffe, v6
	v_cvt_u32_f32_e32 v6, v6
	v_mul_lo_u32 v7, s4, v6
	v_mul_hi_u32 v7, v6, v7
	v_add_u32_e32 v6, v6, v7
	v_mul_hi_u32 v6, v1, v6
	v_mul_lo_u32 v7, v6, s38
	v_sub_u32_e32 v1, v1, v7
	v_add_u32_e32 v8, 1, v6
	v_subrev_u32_e32 v7, s38, v1
	v_cmp_le_u32_e32 vcc, s38, v1
	v_cndmask_b32_e32 v1, v1, v7, vcc
	v_cndmask_b32_e32 v6, v6, v8, vcc
	v_add_u32_e32 v7, 1, v6
	v_cmp_le_u32_e32 vcc, s38, v1
	v_cndmask_b32_e32 v6, v6, v7, vcc
	v_mov_b32_e32 v7, 0
.LBB1154_140:
	s_or_b64 exec, exec, s[0:1]
.LBB1154_141:
	s_or_b64 exec, exec, s[2:3]
	v_or_b32_e32 v38, 0x300, v0
	v_cmp_gt_u32_e64 s[22:23], s76, v38
                                        ; implicit-def: $vgpr8_vgpr9
	s_and_saveexec_b64 s[2:3], s[22:23]
	s_cbranch_execz .LBB1154_147
; %bb.142:
	v_mov_b32_e32 v9, s33
	v_add_co_u32_e32 v1, vcc, s7, v38
	v_addc_co_u32_e32 v10, vcc, 0, v9, vcc
	v_mov_b32_e32 v8, 0
	v_or_b32_e32 v9, s39, v10
	v_cmp_ne_u64_e32 vcc, 0, v[8:9]
                                        ; implicit-def: $vgpr8_vgpr9
	s_and_saveexec_b64 s[0:1], vcc
	s_xor_b64 s[4:5], exec, s[0:1]
	s_cbranch_execz .LBB1154_144
; %bb.143:
	s_ashr_i32 s8, s39, 31
	s_add_u32 s0, s38, s8
	s_mov_b32 s9, s8
	s_addc_u32 s1, s39, s8
	s_xor_b64 s[10:11], s[0:1], s[8:9]
	v_cvt_f32_u32_e32 v8, s10
	v_cvt_f32_u32_e32 v9, s11
	s_sub_u32 s0, 0, s10
	s_subb_u32 s1, 0, s11
	v_madmk_f32 v8, v9, 0x4f800000, v8
	v_rcp_f32_e32 v8, v8
	v_mul_f32_e32 v8, 0x5f7ffffc, v8
	v_mul_f32_e32 v9, 0x2f800000, v8
	v_trunc_f32_e32 v9, v9
	v_madmk_f32 v8, v9, 0xcf800000, v8
	v_cvt_u32_f32_e32 v9, v9
	v_cvt_u32_f32_e32 v8, v8
	v_mul_lo_u32 v11, s0, v9
	v_mul_hi_u32 v13, s0, v8
	v_mul_lo_u32 v12, s1, v8
	v_add_u32_e32 v11, v13, v11
	v_mul_lo_u32 v14, s0, v8
	v_add_u32_e32 v11, v11, v12
	v_mul_lo_u32 v13, v8, v11
	v_mul_hi_u32 v15, v8, v14
	v_mul_hi_u32 v12, v8, v11
	v_add_co_u32_e32 v13, vcc, v15, v13
	v_addc_co_u32_e32 v12, vcc, 0, v12, vcc
	v_mul_hi_u32 v16, v9, v14
	v_mul_lo_u32 v14, v9, v14
	v_add_co_u32_e32 v13, vcc, v13, v14
	v_mul_hi_u32 v15, v9, v11
	v_addc_co_u32_e32 v12, vcc, v12, v16, vcc
	v_addc_co_u32_e32 v13, vcc, 0, v15, vcc
	v_mul_lo_u32 v11, v9, v11
	v_add_co_u32_e32 v11, vcc, v12, v11
	v_addc_co_u32_e32 v12, vcc, 0, v13, vcc
	v_add_co_u32_e32 v8, vcc, v8, v11
	v_addc_co_u32_e32 v9, vcc, v9, v12, vcc
	v_mul_lo_u32 v11, s0, v9
	v_mul_hi_u32 v12, s0, v8
	v_add_u32_e32 v11, v12, v11
	v_mul_lo_u32 v12, s1, v8
	v_add_u32_e32 v11, v11, v12
	v_mul_lo_u32 v13, s0, v8
	v_mul_hi_u32 v14, v9, v13
	v_mul_lo_u32 v15, v9, v13
	v_mul_lo_u32 v17, v8, v11
	v_mul_hi_u32 v13, v8, v13
	v_mul_hi_u32 v16, v8, v11
	v_add_co_u32_e32 v13, vcc, v13, v17
	v_addc_co_u32_e32 v16, vcc, 0, v16, vcc
	v_add_co_u32_e32 v13, vcc, v13, v15
	v_mul_hi_u32 v12, v9, v11
	v_addc_co_u32_e32 v13, vcc, v16, v14, vcc
	v_addc_co_u32_e32 v12, vcc, 0, v12, vcc
	v_mul_lo_u32 v11, v9, v11
	v_add_co_u32_e32 v11, vcc, v13, v11
	v_addc_co_u32_e32 v12, vcc, 0, v12, vcc
	v_add_co_u32_e32 v11, vcc, v8, v11
	v_addc_co_u32_e32 v12, vcc, v9, v12, vcc
	v_ashrrev_i32_e32 v13, 31, v10
	v_add_co_u32_e32 v1, vcc, v1, v13
	v_addc_co_u32_e32 v8, vcc, v10, v13, vcc
	v_xor_b32_e32 v1, v1, v13
	v_xor_b32_e32 v14, v8, v13
	v_mad_u64_u32 v[8:9], s[0:1], v1, v12, 0
	v_mul_hi_u32 v10, v1, v11
	v_add_co_u32_e32 v15, vcc, v10, v8
	v_addc_co_u32_e32 v16, vcc, 0, v9, vcc
	v_mad_u64_u32 v[10:11], s[0:1], v14, v11, 0
	v_add_co_u32_e32 v10, vcc, v15, v10
	v_mad_u64_u32 v[8:9], s[0:1], v14, v12, 0
	v_addc_co_u32_e32 v10, vcc, v16, v11, vcc
	v_addc_co_u32_e32 v9, vcc, 0, v9, vcc
	v_add_co_u32_e32 v10, vcc, v10, v8
	v_addc_co_u32_e32 v11, vcc, 0, v9, vcc
	v_mul_lo_u32 v12, s11, v10
	v_mul_lo_u32 v15, s10, v11
	v_mad_u64_u32 v[8:9], s[0:1], s10, v10, 0
	v_add3_u32 v9, v9, v15, v12
	v_sub_u32_e32 v12, v14, v9
	v_mov_b32_e32 v15, s11
	v_sub_co_u32_e32 v1, vcc, v1, v8
	v_subb_co_u32_e64 v8, s[0:1], v12, v15, vcc
	v_subrev_co_u32_e64 v12, s[0:1], s10, v1
	v_subbrev_co_u32_e64 v8, s[0:1], 0, v8, s[0:1]
	v_cmp_le_u32_e64 s[0:1], s11, v8
	v_cndmask_b32_e64 v15, 0, -1, s[0:1]
	v_cmp_le_u32_e64 s[0:1], s10, v12
	v_cndmask_b32_e64 v12, 0, -1, s[0:1]
	v_cmp_eq_u32_e64 s[0:1], s11, v8
	v_cndmask_b32_e64 v8, v15, v12, s[0:1]
	v_add_co_u32_e64 v12, s[0:1], 2, v10
	v_subb_co_u32_e32 v9, vcc, v14, v9, vcc
	v_addc_co_u32_e64 v15, s[0:1], 0, v11, s[0:1]
	v_cmp_le_u32_e32 vcc, s11, v9
	v_add_co_u32_e64 v16, s[0:1], 1, v10
	v_cndmask_b32_e64 v14, 0, -1, vcc
	v_cmp_le_u32_e32 vcc, s10, v1
	v_addc_co_u32_e64 v17, s[0:1], 0, v11, s[0:1]
	v_cndmask_b32_e64 v1, 0, -1, vcc
	v_cmp_eq_u32_e32 vcc, s11, v9
	v_cmp_ne_u32_e64 s[0:1], 0, v8
	v_cndmask_b32_e32 v1, v14, v1, vcc
	v_cndmask_b32_e64 v8, v17, v15, s[0:1]
	v_cmp_ne_u32_e32 vcc, 0, v1
	v_cndmask_b32_e32 v1, v11, v8, vcc
	v_cndmask_b32_e64 v8, v16, v12, s[0:1]
	v_cndmask_b32_e32 v8, v10, v8, vcc
	v_xor_b32_e32 v9, s8, v13
	v_xor_b32_e32 v8, v8, v9
	;; [unrolled: 1-line block ×3, first 2 shown]
	v_sub_co_u32_e32 v8, vcc, v8, v9
	v_subb_co_u32_e32 v9, vcc, v1, v9, vcc
                                        ; implicit-def: $vgpr1
.LBB1154_144:
	s_andn2_saveexec_b64 s[0:1], s[4:5]
	s_cbranch_execz .LBB1154_146
; %bb.145:
	v_cvt_f32_u32_e32 v8, s38
	s_sub_i32 s4, 0, s38
	v_rcp_iflag_f32_e32 v8, v8
	v_mul_f32_e32 v8, 0x4f7ffffe, v8
	v_cvt_u32_f32_e32 v8, v8
	v_mul_lo_u32 v9, s4, v8
	v_mul_hi_u32 v9, v8, v9
	v_add_u32_e32 v8, v8, v9
	v_mul_hi_u32 v8, v1, v8
	v_mul_lo_u32 v9, v8, s38
	v_sub_u32_e32 v1, v1, v9
	v_add_u32_e32 v10, 1, v8
	v_subrev_u32_e32 v9, s38, v1
	v_cmp_le_u32_e32 vcc, s38, v1
	v_cndmask_b32_e32 v1, v1, v9, vcc
	v_cndmask_b32_e32 v8, v8, v10, vcc
	v_add_u32_e32 v9, 1, v8
	v_cmp_le_u32_e32 vcc, s38, v1
	v_cndmask_b32_e32 v8, v8, v9, vcc
	v_mov_b32_e32 v9, 0
.LBB1154_146:
	s_or_b64 exec, exec, s[0:1]
.LBB1154_147:
	s_or_b64 exec, exec, s[2:3]
	v_or_b32_e32 v40, 0x400, v0
	v_cmp_gt_u32_e64 s[20:21], s76, v40
                                        ; implicit-def: $vgpr10_vgpr11
	s_and_saveexec_b64 s[2:3], s[20:21]
	s_cbranch_execz .LBB1154_153
; %bb.148:
	v_mov_b32_e32 v11, s33
	v_add_co_u32_e32 v1, vcc, s7, v40
	v_addc_co_u32_e32 v12, vcc, 0, v11, vcc
	v_mov_b32_e32 v10, 0
	v_or_b32_e32 v11, s39, v12
	v_cmp_ne_u64_e32 vcc, 0, v[10:11]
                                        ; implicit-def: $vgpr10_vgpr11
	s_and_saveexec_b64 s[0:1], vcc
	s_xor_b64 s[4:5], exec, s[0:1]
	s_cbranch_execz .LBB1154_150
; %bb.149:
	s_ashr_i32 s8, s39, 31
	s_add_u32 s0, s38, s8
	s_mov_b32 s9, s8
	s_addc_u32 s1, s39, s8
	s_xor_b64 s[10:11], s[0:1], s[8:9]
	v_cvt_f32_u32_e32 v10, s10
	v_cvt_f32_u32_e32 v11, s11
	s_sub_u32 s0, 0, s10
	s_subb_u32 s1, 0, s11
	v_madmk_f32 v10, v11, 0x4f800000, v10
	v_rcp_f32_e32 v10, v10
	v_mul_f32_e32 v10, 0x5f7ffffc, v10
	v_mul_f32_e32 v11, 0x2f800000, v10
	v_trunc_f32_e32 v11, v11
	v_madmk_f32 v10, v11, 0xcf800000, v10
	v_cvt_u32_f32_e32 v11, v11
	v_cvt_u32_f32_e32 v10, v10
	v_mul_lo_u32 v13, s0, v11
	v_mul_hi_u32 v15, s0, v10
	v_mul_lo_u32 v14, s1, v10
	v_add_u32_e32 v13, v15, v13
	v_mul_lo_u32 v16, s0, v10
	v_add_u32_e32 v13, v13, v14
	v_mul_lo_u32 v15, v10, v13
	v_mul_hi_u32 v17, v10, v16
	v_mul_hi_u32 v14, v10, v13
	v_add_co_u32_e32 v15, vcc, v17, v15
	v_addc_co_u32_e32 v14, vcc, 0, v14, vcc
	v_mul_hi_u32 v18, v11, v16
	v_mul_lo_u32 v16, v11, v16
	v_add_co_u32_e32 v15, vcc, v15, v16
	v_mul_hi_u32 v17, v11, v13
	v_addc_co_u32_e32 v14, vcc, v14, v18, vcc
	v_addc_co_u32_e32 v15, vcc, 0, v17, vcc
	v_mul_lo_u32 v13, v11, v13
	v_add_co_u32_e32 v13, vcc, v14, v13
	v_addc_co_u32_e32 v14, vcc, 0, v15, vcc
	v_add_co_u32_e32 v10, vcc, v10, v13
	v_addc_co_u32_e32 v11, vcc, v11, v14, vcc
	v_mul_lo_u32 v13, s0, v11
	v_mul_hi_u32 v14, s0, v10
	v_add_u32_e32 v13, v14, v13
	v_mul_lo_u32 v14, s1, v10
	v_add_u32_e32 v13, v13, v14
	v_mul_lo_u32 v15, s0, v10
	v_mul_hi_u32 v16, v11, v15
	v_mul_lo_u32 v17, v11, v15
	v_mul_lo_u32 v19, v10, v13
	v_mul_hi_u32 v15, v10, v15
	v_mul_hi_u32 v18, v10, v13
	v_add_co_u32_e32 v15, vcc, v15, v19
	v_addc_co_u32_e32 v18, vcc, 0, v18, vcc
	v_add_co_u32_e32 v15, vcc, v15, v17
	v_mul_hi_u32 v14, v11, v13
	v_addc_co_u32_e32 v15, vcc, v18, v16, vcc
	v_addc_co_u32_e32 v14, vcc, 0, v14, vcc
	v_mul_lo_u32 v13, v11, v13
	v_add_co_u32_e32 v13, vcc, v15, v13
	v_addc_co_u32_e32 v14, vcc, 0, v14, vcc
	v_add_co_u32_e32 v13, vcc, v10, v13
	v_addc_co_u32_e32 v14, vcc, v11, v14, vcc
	v_ashrrev_i32_e32 v15, 31, v12
	v_add_co_u32_e32 v1, vcc, v1, v15
	v_addc_co_u32_e32 v10, vcc, v12, v15, vcc
	v_xor_b32_e32 v1, v1, v15
	v_xor_b32_e32 v16, v10, v15
	v_mad_u64_u32 v[10:11], s[0:1], v1, v14, 0
	v_mul_hi_u32 v12, v1, v13
	v_add_co_u32_e32 v17, vcc, v12, v10
	v_addc_co_u32_e32 v18, vcc, 0, v11, vcc
	v_mad_u64_u32 v[12:13], s[0:1], v16, v13, 0
	v_add_co_u32_e32 v12, vcc, v17, v12
	v_mad_u64_u32 v[10:11], s[0:1], v16, v14, 0
	v_addc_co_u32_e32 v12, vcc, v18, v13, vcc
	v_addc_co_u32_e32 v11, vcc, 0, v11, vcc
	v_add_co_u32_e32 v12, vcc, v12, v10
	v_addc_co_u32_e32 v13, vcc, 0, v11, vcc
	v_mul_lo_u32 v14, s11, v12
	v_mul_lo_u32 v17, s10, v13
	v_mad_u64_u32 v[10:11], s[0:1], s10, v12, 0
	v_add3_u32 v11, v11, v17, v14
	v_sub_u32_e32 v14, v16, v11
	v_mov_b32_e32 v17, s11
	v_sub_co_u32_e32 v1, vcc, v1, v10
	v_subb_co_u32_e64 v10, s[0:1], v14, v17, vcc
	v_subrev_co_u32_e64 v14, s[0:1], s10, v1
	v_subbrev_co_u32_e64 v10, s[0:1], 0, v10, s[0:1]
	v_cmp_le_u32_e64 s[0:1], s11, v10
	v_cndmask_b32_e64 v17, 0, -1, s[0:1]
	v_cmp_le_u32_e64 s[0:1], s10, v14
	v_cndmask_b32_e64 v14, 0, -1, s[0:1]
	v_cmp_eq_u32_e64 s[0:1], s11, v10
	v_cndmask_b32_e64 v10, v17, v14, s[0:1]
	v_add_co_u32_e64 v14, s[0:1], 2, v12
	v_subb_co_u32_e32 v11, vcc, v16, v11, vcc
	v_addc_co_u32_e64 v17, s[0:1], 0, v13, s[0:1]
	v_cmp_le_u32_e32 vcc, s11, v11
	v_add_co_u32_e64 v18, s[0:1], 1, v12
	v_cndmask_b32_e64 v16, 0, -1, vcc
	v_cmp_le_u32_e32 vcc, s10, v1
	v_addc_co_u32_e64 v19, s[0:1], 0, v13, s[0:1]
	v_cndmask_b32_e64 v1, 0, -1, vcc
	v_cmp_eq_u32_e32 vcc, s11, v11
	v_cmp_ne_u32_e64 s[0:1], 0, v10
	v_cndmask_b32_e32 v1, v16, v1, vcc
	v_cndmask_b32_e64 v10, v19, v17, s[0:1]
	v_cmp_ne_u32_e32 vcc, 0, v1
	v_cndmask_b32_e32 v1, v13, v10, vcc
	v_cndmask_b32_e64 v10, v18, v14, s[0:1]
	v_cndmask_b32_e32 v10, v12, v10, vcc
	v_xor_b32_e32 v11, s8, v15
	v_xor_b32_e32 v10, v10, v11
	;; [unrolled: 1-line block ×3, first 2 shown]
	v_sub_co_u32_e32 v10, vcc, v10, v11
	v_subb_co_u32_e32 v11, vcc, v1, v11, vcc
                                        ; implicit-def: $vgpr1
.LBB1154_150:
	s_andn2_saveexec_b64 s[0:1], s[4:5]
	s_cbranch_execz .LBB1154_152
; %bb.151:
	v_cvt_f32_u32_e32 v10, s38
	s_sub_i32 s4, 0, s38
	v_rcp_iflag_f32_e32 v10, v10
	v_mul_f32_e32 v10, 0x4f7ffffe, v10
	v_cvt_u32_f32_e32 v10, v10
	v_mul_lo_u32 v11, s4, v10
	v_mul_hi_u32 v11, v10, v11
	v_add_u32_e32 v10, v10, v11
	v_mul_hi_u32 v10, v1, v10
	v_mul_lo_u32 v11, v10, s38
	v_sub_u32_e32 v1, v1, v11
	v_add_u32_e32 v12, 1, v10
	v_subrev_u32_e32 v11, s38, v1
	v_cmp_le_u32_e32 vcc, s38, v1
	v_cndmask_b32_e32 v1, v1, v11, vcc
	v_cndmask_b32_e32 v10, v10, v12, vcc
	v_add_u32_e32 v11, 1, v10
	v_cmp_le_u32_e32 vcc, s38, v1
	v_cndmask_b32_e32 v10, v10, v11, vcc
	v_mov_b32_e32 v11, 0
.LBB1154_152:
	s_or_b64 exec, exec, s[0:1]
.LBB1154_153:
	s_or_b64 exec, exec, s[2:3]
	v_or_b32_e32 v42, 0x500, v0
	v_cmp_gt_u32_e64 s[18:19], s76, v42
                                        ; implicit-def: $vgpr12_vgpr13
	s_and_saveexec_b64 s[2:3], s[18:19]
	s_cbranch_execz .LBB1154_159
; %bb.154:
	v_mov_b32_e32 v13, s33
	v_add_co_u32_e32 v1, vcc, s7, v42
	v_addc_co_u32_e32 v14, vcc, 0, v13, vcc
	v_mov_b32_e32 v12, 0
	v_or_b32_e32 v13, s39, v14
	v_cmp_ne_u64_e32 vcc, 0, v[12:13]
                                        ; implicit-def: $vgpr12_vgpr13
	s_and_saveexec_b64 s[0:1], vcc
	s_xor_b64 s[4:5], exec, s[0:1]
	s_cbranch_execz .LBB1154_156
; %bb.155:
	s_ashr_i32 s8, s39, 31
	s_add_u32 s0, s38, s8
	s_mov_b32 s9, s8
	s_addc_u32 s1, s39, s8
	s_xor_b64 s[10:11], s[0:1], s[8:9]
	v_cvt_f32_u32_e32 v12, s10
	v_cvt_f32_u32_e32 v13, s11
	s_sub_u32 s0, 0, s10
	s_subb_u32 s1, 0, s11
	v_madmk_f32 v12, v13, 0x4f800000, v12
	v_rcp_f32_e32 v12, v12
	v_mul_f32_e32 v12, 0x5f7ffffc, v12
	v_mul_f32_e32 v13, 0x2f800000, v12
	v_trunc_f32_e32 v13, v13
	v_madmk_f32 v12, v13, 0xcf800000, v12
	v_cvt_u32_f32_e32 v13, v13
	v_cvt_u32_f32_e32 v12, v12
	v_mul_lo_u32 v15, s0, v13
	v_mul_hi_u32 v17, s0, v12
	v_mul_lo_u32 v16, s1, v12
	v_add_u32_e32 v15, v17, v15
	v_mul_lo_u32 v18, s0, v12
	v_add_u32_e32 v15, v15, v16
	v_mul_lo_u32 v17, v12, v15
	v_mul_hi_u32 v19, v12, v18
	v_mul_hi_u32 v16, v12, v15
	v_add_co_u32_e32 v17, vcc, v19, v17
	v_addc_co_u32_e32 v16, vcc, 0, v16, vcc
	v_mul_hi_u32 v20, v13, v18
	v_mul_lo_u32 v18, v13, v18
	v_add_co_u32_e32 v17, vcc, v17, v18
	v_mul_hi_u32 v19, v13, v15
	v_addc_co_u32_e32 v16, vcc, v16, v20, vcc
	v_addc_co_u32_e32 v17, vcc, 0, v19, vcc
	v_mul_lo_u32 v15, v13, v15
	v_add_co_u32_e32 v15, vcc, v16, v15
	v_addc_co_u32_e32 v16, vcc, 0, v17, vcc
	v_add_co_u32_e32 v12, vcc, v12, v15
	v_addc_co_u32_e32 v13, vcc, v13, v16, vcc
	v_mul_lo_u32 v15, s0, v13
	v_mul_hi_u32 v16, s0, v12
	v_add_u32_e32 v15, v16, v15
	v_mul_lo_u32 v16, s1, v12
	v_add_u32_e32 v15, v15, v16
	v_mul_lo_u32 v17, s0, v12
	v_mul_hi_u32 v18, v13, v17
	v_mul_lo_u32 v19, v13, v17
	v_mul_lo_u32 v21, v12, v15
	v_mul_hi_u32 v17, v12, v17
	v_mul_hi_u32 v20, v12, v15
	v_add_co_u32_e32 v17, vcc, v17, v21
	v_addc_co_u32_e32 v20, vcc, 0, v20, vcc
	v_add_co_u32_e32 v17, vcc, v17, v19
	v_mul_hi_u32 v16, v13, v15
	v_addc_co_u32_e32 v17, vcc, v20, v18, vcc
	v_addc_co_u32_e32 v16, vcc, 0, v16, vcc
	v_mul_lo_u32 v15, v13, v15
	v_add_co_u32_e32 v15, vcc, v17, v15
	v_addc_co_u32_e32 v16, vcc, 0, v16, vcc
	v_add_co_u32_e32 v15, vcc, v12, v15
	v_addc_co_u32_e32 v16, vcc, v13, v16, vcc
	v_ashrrev_i32_e32 v17, 31, v14
	v_add_co_u32_e32 v1, vcc, v1, v17
	v_addc_co_u32_e32 v12, vcc, v14, v17, vcc
	v_xor_b32_e32 v1, v1, v17
	v_xor_b32_e32 v18, v12, v17
	v_mad_u64_u32 v[12:13], s[0:1], v1, v16, 0
	v_mul_hi_u32 v14, v1, v15
	v_add_co_u32_e32 v19, vcc, v14, v12
	v_addc_co_u32_e32 v20, vcc, 0, v13, vcc
	v_mad_u64_u32 v[14:15], s[0:1], v18, v15, 0
	v_add_co_u32_e32 v14, vcc, v19, v14
	v_mad_u64_u32 v[12:13], s[0:1], v18, v16, 0
	v_addc_co_u32_e32 v14, vcc, v20, v15, vcc
	v_addc_co_u32_e32 v13, vcc, 0, v13, vcc
	v_add_co_u32_e32 v14, vcc, v14, v12
	v_addc_co_u32_e32 v15, vcc, 0, v13, vcc
	v_mul_lo_u32 v16, s11, v14
	v_mul_lo_u32 v19, s10, v15
	v_mad_u64_u32 v[12:13], s[0:1], s10, v14, 0
	v_add3_u32 v13, v13, v19, v16
	v_sub_u32_e32 v16, v18, v13
	v_mov_b32_e32 v19, s11
	v_sub_co_u32_e32 v1, vcc, v1, v12
	v_subb_co_u32_e64 v12, s[0:1], v16, v19, vcc
	v_subrev_co_u32_e64 v16, s[0:1], s10, v1
	v_subbrev_co_u32_e64 v12, s[0:1], 0, v12, s[0:1]
	v_cmp_le_u32_e64 s[0:1], s11, v12
	v_cndmask_b32_e64 v19, 0, -1, s[0:1]
	v_cmp_le_u32_e64 s[0:1], s10, v16
	v_cndmask_b32_e64 v16, 0, -1, s[0:1]
	v_cmp_eq_u32_e64 s[0:1], s11, v12
	v_cndmask_b32_e64 v12, v19, v16, s[0:1]
	v_add_co_u32_e64 v16, s[0:1], 2, v14
	v_subb_co_u32_e32 v13, vcc, v18, v13, vcc
	v_addc_co_u32_e64 v19, s[0:1], 0, v15, s[0:1]
	v_cmp_le_u32_e32 vcc, s11, v13
	v_add_co_u32_e64 v20, s[0:1], 1, v14
	v_cndmask_b32_e64 v18, 0, -1, vcc
	v_cmp_le_u32_e32 vcc, s10, v1
	v_addc_co_u32_e64 v21, s[0:1], 0, v15, s[0:1]
	v_cndmask_b32_e64 v1, 0, -1, vcc
	v_cmp_eq_u32_e32 vcc, s11, v13
	v_cmp_ne_u32_e64 s[0:1], 0, v12
	v_cndmask_b32_e32 v1, v18, v1, vcc
	v_cndmask_b32_e64 v12, v21, v19, s[0:1]
	v_cmp_ne_u32_e32 vcc, 0, v1
	v_cndmask_b32_e32 v1, v15, v12, vcc
	v_cndmask_b32_e64 v12, v20, v16, s[0:1]
	v_cndmask_b32_e32 v12, v14, v12, vcc
	v_xor_b32_e32 v13, s8, v17
	v_xor_b32_e32 v12, v12, v13
	;; [unrolled: 1-line block ×3, first 2 shown]
	v_sub_co_u32_e32 v12, vcc, v12, v13
	v_subb_co_u32_e32 v13, vcc, v1, v13, vcc
                                        ; implicit-def: $vgpr1
.LBB1154_156:
	s_andn2_saveexec_b64 s[0:1], s[4:5]
	s_cbranch_execz .LBB1154_158
; %bb.157:
	v_cvt_f32_u32_e32 v12, s38
	s_sub_i32 s4, 0, s38
	v_rcp_iflag_f32_e32 v12, v12
	v_mul_f32_e32 v12, 0x4f7ffffe, v12
	v_cvt_u32_f32_e32 v12, v12
	v_mul_lo_u32 v13, s4, v12
	v_mul_hi_u32 v13, v12, v13
	v_add_u32_e32 v12, v12, v13
	v_mul_hi_u32 v12, v1, v12
	v_mul_lo_u32 v13, v12, s38
	v_sub_u32_e32 v1, v1, v13
	v_add_u32_e32 v14, 1, v12
	v_subrev_u32_e32 v13, s38, v1
	v_cmp_le_u32_e32 vcc, s38, v1
	v_cndmask_b32_e32 v1, v1, v13, vcc
	v_cndmask_b32_e32 v12, v12, v14, vcc
	v_add_u32_e32 v13, 1, v12
	v_cmp_le_u32_e32 vcc, s38, v1
	v_cndmask_b32_e32 v12, v12, v13, vcc
	v_mov_b32_e32 v13, 0
.LBB1154_158:
	s_or_b64 exec, exec, s[0:1]
.LBB1154_159:
	s_or_b64 exec, exec, s[2:3]
	v_or_b32_e32 v44, 0x600, v0
	v_cmp_gt_u32_e64 s[16:17], s76, v44
                                        ; implicit-def: $vgpr14_vgpr15
	s_and_saveexec_b64 s[2:3], s[16:17]
	s_cbranch_execz .LBB1154_165
; %bb.160:
	v_mov_b32_e32 v15, s33
	v_add_co_u32_e32 v1, vcc, s7, v44
	v_addc_co_u32_e32 v16, vcc, 0, v15, vcc
	v_mov_b32_e32 v14, 0
	v_or_b32_e32 v15, s39, v16
	v_cmp_ne_u64_e32 vcc, 0, v[14:15]
                                        ; implicit-def: $vgpr14_vgpr15
	s_and_saveexec_b64 s[0:1], vcc
	s_xor_b64 s[4:5], exec, s[0:1]
	s_cbranch_execz .LBB1154_162
; %bb.161:
	s_ashr_i32 s8, s39, 31
	s_add_u32 s0, s38, s8
	s_mov_b32 s9, s8
	s_addc_u32 s1, s39, s8
	s_xor_b64 s[10:11], s[0:1], s[8:9]
	v_cvt_f32_u32_e32 v14, s10
	v_cvt_f32_u32_e32 v15, s11
	s_sub_u32 s0, 0, s10
	s_subb_u32 s1, 0, s11
	v_madmk_f32 v14, v15, 0x4f800000, v14
	v_rcp_f32_e32 v14, v14
	v_mul_f32_e32 v14, 0x5f7ffffc, v14
	v_mul_f32_e32 v15, 0x2f800000, v14
	v_trunc_f32_e32 v15, v15
	v_madmk_f32 v14, v15, 0xcf800000, v14
	v_cvt_u32_f32_e32 v15, v15
	v_cvt_u32_f32_e32 v14, v14
	v_mul_lo_u32 v17, s0, v15
	v_mul_hi_u32 v19, s0, v14
	v_mul_lo_u32 v18, s1, v14
	v_add_u32_e32 v17, v19, v17
	v_mul_lo_u32 v20, s0, v14
	v_add_u32_e32 v17, v17, v18
	v_mul_lo_u32 v19, v14, v17
	v_mul_hi_u32 v21, v14, v20
	v_mul_hi_u32 v18, v14, v17
	v_add_co_u32_e32 v19, vcc, v21, v19
	v_addc_co_u32_e32 v18, vcc, 0, v18, vcc
	v_mul_hi_u32 v22, v15, v20
	v_mul_lo_u32 v20, v15, v20
	v_add_co_u32_e32 v19, vcc, v19, v20
	v_mul_hi_u32 v21, v15, v17
	v_addc_co_u32_e32 v18, vcc, v18, v22, vcc
	v_addc_co_u32_e32 v19, vcc, 0, v21, vcc
	v_mul_lo_u32 v17, v15, v17
	v_add_co_u32_e32 v17, vcc, v18, v17
	v_addc_co_u32_e32 v18, vcc, 0, v19, vcc
	v_add_co_u32_e32 v14, vcc, v14, v17
	v_addc_co_u32_e32 v15, vcc, v15, v18, vcc
	v_mul_lo_u32 v17, s0, v15
	v_mul_hi_u32 v18, s0, v14
	v_add_u32_e32 v17, v18, v17
	v_mul_lo_u32 v18, s1, v14
	v_add_u32_e32 v17, v17, v18
	v_mul_lo_u32 v19, s0, v14
	v_mul_hi_u32 v20, v15, v19
	v_mul_lo_u32 v21, v15, v19
	v_mul_lo_u32 v23, v14, v17
	v_mul_hi_u32 v19, v14, v19
	v_mul_hi_u32 v22, v14, v17
	v_add_co_u32_e32 v19, vcc, v19, v23
	v_addc_co_u32_e32 v22, vcc, 0, v22, vcc
	v_add_co_u32_e32 v19, vcc, v19, v21
	v_mul_hi_u32 v18, v15, v17
	v_addc_co_u32_e32 v19, vcc, v22, v20, vcc
	v_addc_co_u32_e32 v18, vcc, 0, v18, vcc
	v_mul_lo_u32 v17, v15, v17
	v_add_co_u32_e32 v17, vcc, v19, v17
	v_addc_co_u32_e32 v18, vcc, 0, v18, vcc
	v_add_co_u32_e32 v17, vcc, v14, v17
	v_addc_co_u32_e32 v18, vcc, v15, v18, vcc
	v_ashrrev_i32_e32 v19, 31, v16
	v_add_co_u32_e32 v1, vcc, v1, v19
	v_addc_co_u32_e32 v14, vcc, v16, v19, vcc
	v_xor_b32_e32 v1, v1, v19
	v_xor_b32_e32 v20, v14, v19
	v_mad_u64_u32 v[14:15], s[0:1], v1, v18, 0
	v_mul_hi_u32 v16, v1, v17
	v_add_co_u32_e32 v21, vcc, v16, v14
	v_addc_co_u32_e32 v22, vcc, 0, v15, vcc
	v_mad_u64_u32 v[16:17], s[0:1], v20, v17, 0
	v_add_co_u32_e32 v16, vcc, v21, v16
	v_mad_u64_u32 v[14:15], s[0:1], v20, v18, 0
	v_addc_co_u32_e32 v16, vcc, v22, v17, vcc
	v_addc_co_u32_e32 v15, vcc, 0, v15, vcc
	v_add_co_u32_e32 v16, vcc, v16, v14
	v_addc_co_u32_e32 v17, vcc, 0, v15, vcc
	v_mul_lo_u32 v18, s11, v16
	v_mul_lo_u32 v21, s10, v17
	v_mad_u64_u32 v[14:15], s[0:1], s10, v16, 0
	v_add3_u32 v15, v15, v21, v18
	v_sub_u32_e32 v18, v20, v15
	v_mov_b32_e32 v21, s11
	v_sub_co_u32_e32 v1, vcc, v1, v14
	v_subb_co_u32_e64 v14, s[0:1], v18, v21, vcc
	v_subrev_co_u32_e64 v18, s[0:1], s10, v1
	v_subbrev_co_u32_e64 v14, s[0:1], 0, v14, s[0:1]
	v_cmp_le_u32_e64 s[0:1], s11, v14
	v_cndmask_b32_e64 v21, 0, -1, s[0:1]
	v_cmp_le_u32_e64 s[0:1], s10, v18
	v_cndmask_b32_e64 v18, 0, -1, s[0:1]
	v_cmp_eq_u32_e64 s[0:1], s11, v14
	v_cndmask_b32_e64 v14, v21, v18, s[0:1]
	v_add_co_u32_e64 v18, s[0:1], 2, v16
	v_subb_co_u32_e32 v15, vcc, v20, v15, vcc
	v_addc_co_u32_e64 v21, s[0:1], 0, v17, s[0:1]
	v_cmp_le_u32_e32 vcc, s11, v15
	v_add_co_u32_e64 v22, s[0:1], 1, v16
	v_cndmask_b32_e64 v20, 0, -1, vcc
	v_cmp_le_u32_e32 vcc, s10, v1
	v_addc_co_u32_e64 v23, s[0:1], 0, v17, s[0:1]
	v_cndmask_b32_e64 v1, 0, -1, vcc
	v_cmp_eq_u32_e32 vcc, s11, v15
	v_cmp_ne_u32_e64 s[0:1], 0, v14
	v_cndmask_b32_e32 v1, v20, v1, vcc
	v_cndmask_b32_e64 v14, v23, v21, s[0:1]
	v_cmp_ne_u32_e32 vcc, 0, v1
	v_cndmask_b32_e32 v1, v17, v14, vcc
	v_cndmask_b32_e64 v14, v22, v18, s[0:1]
	v_cndmask_b32_e32 v14, v16, v14, vcc
	v_xor_b32_e32 v15, s8, v19
	v_xor_b32_e32 v14, v14, v15
	;; [unrolled: 1-line block ×3, first 2 shown]
	v_sub_co_u32_e32 v14, vcc, v14, v15
	v_subb_co_u32_e32 v15, vcc, v1, v15, vcc
                                        ; implicit-def: $vgpr1
.LBB1154_162:
	s_andn2_saveexec_b64 s[0:1], s[4:5]
	s_cbranch_execz .LBB1154_164
; %bb.163:
	v_cvt_f32_u32_e32 v14, s38
	s_sub_i32 s4, 0, s38
	v_rcp_iflag_f32_e32 v14, v14
	v_mul_f32_e32 v14, 0x4f7ffffe, v14
	v_cvt_u32_f32_e32 v14, v14
	v_mul_lo_u32 v15, s4, v14
	v_mul_hi_u32 v15, v14, v15
	v_add_u32_e32 v14, v14, v15
	v_mul_hi_u32 v14, v1, v14
	v_mul_lo_u32 v15, v14, s38
	v_sub_u32_e32 v1, v1, v15
	v_add_u32_e32 v16, 1, v14
	v_subrev_u32_e32 v15, s38, v1
	v_cmp_le_u32_e32 vcc, s38, v1
	v_cndmask_b32_e32 v1, v1, v15, vcc
	v_cndmask_b32_e32 v14, v14, v16, vcc
	v_add_u32_e32 v15, 1, v14
	v_cmp_le_u32_e32 vcc, s38, v1
	v_cndmask_b32_e32 v14, v14, v15, vcc
	v_mov_b32_e32 v15, 0
.LBB1154_164:
	s_or_b64 exec, exec, s[0:1]
.LBB1154_165:
	s_or_b64 exec, exec, s[2:3]
	v_or_b32_e32 v46, 0x700, v0
	v_cmp_gt_u32_e64 s[14:15], s76, v46
                                        ; implicit-def: $vgpr16_vgpr17
	s_and_saveexec_b64 s[2:3], s[14:15]
	s_cbranch_execz .LBB1154_171
; %bb.166:
	v_mov_b32_e32 v17, s33
	v_add_co_u32_e32 v1, vcc, s7, v46
	v_addc_co_u32_e32 v18, vcc, 0, v17, vcc
	v_mov_b32_e32 v16, 0
	v_or_b32_e32 v17, s39, v18
	v_cmp_ne_u64_e32 vcc, 0, v[16:17]
                                        ; implicit-def: $vgpr16_vgpr17
	s_and_saveexec_b64 s[0:1], vcc
	s_xor_b64 s[4:5], exec, s[0:1]
	s_cbranch_execz .LBB1154_168
; %bb.167:
	s_ashr_i32 s8, s39, 31
	s_add_u32 s0, s38, s8
	s_mov_b32 s9, s8
	s_addc_u32 s1, s39, s8
	s_xor_b64 s[10:11], s[0:1], s[8:9]
	v_cvt_f32_u32_e32 v16, s10
	v_cvt_f32_u32_e32 v17, s11
	s_sub_u32 s0, 0, s10
	s_subb_u32 s1, 0, s11
	v_madmk_f32 v16, v17, 0x4f800000, v16
	v_rcp_f32_e32 v16, v16
	v_mul_f32_e32 v16, 0x5f7ffffc, v16
	v_mul_f32_e32 v17, 0x2f800000, v16
	v_trunc_f32_e32 v17, v17
	v_madmk_f32 v16, v17, 0xcf800000, v16
	v_cvt_u32_f32_e32 v17, v17
	v_cvt_u32_f32_e32 v16, v16
	v_mul_lo_u32 v19, s0, v17
	v_mul_hi_u32 v21, s0, v16
	v_mul_lo_u32 v20, s1, v16
	v_add_u32_e32 v19, v21, v19
	v_mul_lo_u32 v22, s0, v16
	v_add_u32_e32 v19, v19, v20
	v_mul_lo_u32 v21, v16, v19
	v_mul_hi_u32 v23, v16, v22
	v_mul_hi_u32 v20, v16, v19
	v_add_co_u32_e32 v21, vcc, v23, v21
	v_addc_co_u32_e32 v20, vcc, 0, v20, vcc
	v_mul_hi_u32 v24, v17, v22
	v_mul_lo_u32 v22, v17, v22
	v_add_co_u32_e32 v21, vcc, v21, v22
	v_mul_hi_u32 v23, v17, v19
	v_addc_co_u32_e32 v20, vcc, v20, v24, vcc
	v_addc_co_u32_e32 v21, vcc, 0, v23, vcc
	v_mul_lo_u32 v19, v17, v19
	v_add_co_u32_e32 v19, vcc, v20, v19
	v_addc_co_u32_e32 v20, vcc, 0, v21, vcc
	v_add_co_u32_e32 v16, vcc, v16, v19
	v_addc_co_u32_e32 v17, vcc, v17, v20, vcc
	v_mul_lo_u32 v19, s0, v17
	v_mul_hi_u32 v20, s0, v16
	v_add_u32_e32 v19, v20, v19
	v_mul_lo_u32 v20, s1, v16
	v_add_u32_e32 v19, v19, v20
	v_mul_lo_u32 v21, s0, v16
	v_mul_hi_u32 v22, v17, v21
	v_mul_lo_u32 v23, v17, v21
	v_mul_lo_u32 v25, v16, v19
	v_mul_hi_u32 v21, v16, v21
	v_mul_hi_u32 v24, v16, v19
	v_add_co_u32_e32 v21, vcc, v21, v25
	v_addc_co_u32_e32 v24, vcc, 0, v24, vcc
	v_add_co_u32_e32 v21, vcc, v21, v23
	v_mul_hi_u32 v20, v17, v19
	v_addc_co_u32_e32 v21, vcc, v24, v22, vcc
	v_addc_co_u32_e32 v20, vcc, 0, v20, vcc
	v_mul_lo_u32 v19, v17, v19
	v_add_co_u32_e32 v19, vcc, v21, v19
	v_addc_co_u32_e32 v20, vcc, 0, v20, vcc
	v_add_co_u32_e32 v19, vcc, v16, v19
	v_addc_co_u32_e32 v20, vcc, v17, v20, vcc
	v_ashrrev_i32_e32 v21, 31, v18
	v_add_co_u32_e32 v1, vcc, v1, v21
	v_addc_co_u32_e32 v16, vcc, v18, v21, vcc
	v_xor_b32_e32 v1, v1, v21
	v_xor_b32_e32 v22, v16, v21
	v_mad_u64_u32 v[16:17], s[0:1], v1, v20, 0
	v_mul_hi_u32 v18, v1, v19
	v_add_co_u32_e32 v23, vcc, v18, v16
	v_addc_co_u32_e32 v24, vcc, 0, v17, vcc
	v_mad_u64_u32 v[18:19], s[0:1], v22, v19, 0
	v_add_co_u32_e32 v18, vcc, v23, v18
	v_mad_u64_u32 v[16:17], s[0:1], v22, v20, 0
	v_addc_co_u32_e32 v18, vcc, v24, v19, vcc
	v_addc_co_u32_e32 v17, vcc, 0, v17, vcc
	v_add_co_u32_e32 v18, vcc, v18, v16
	v_addc_co_u32_e32 v19, vcc, 0, v17, vcc
	v_mul_lo_u32 v20, s11, v18
	v_mul_lo_u32 v23, s10, v19
	v_mad_u64_u32 v[16:17], s[0:1], s10, v18, 0
	v_add3_u32 v17, v17, v23, v20
	v_sub_u32_e32 v20, v22, v17
	v_mov_b32_e32 v23, s11
	v_sub_co_u32_e32 v1, vcc, v1, v16
	v_subb_co_u32_e64 v16, s[0:1], v20, v23, vcc
	v_subrev_co_u32_e64 v20, s[0:1], s10, v1
	v_subbrev_co_u32_e64 v16, s[0:1], 0, v16, s[0:1]
	v_cmp_le_u32_e64 s[0:1], s11, v16
	v_cndmask_b32_e64 v23, 0, -1, s[0:1]
	v_cmp_le_u32_e64 s[0:1], s10, v20
	v_cndmask_b32_e64 v20, 0, -1, s[0:1]
	v_cmp_eq_u32_e64 s[0:1], s11, v16
	v_cndmask_b32_e64 v16, v23, v20, s[0:1]
	v_add_co_u32_e64 v20, s[0:1], 2, v18
	v_subb_co_u32_e32 v17, vcc, v22, v17, vcc
	v_addc_co_u32_e64 v23, s[0:1], 0, v19, s[0:1]
	v_cmp_le_u32_e32 vcc, s11, v17
	v_add_co_u32_e64 v24, s[0:1], 1, v18
	v_cndmask_b32_e64 v22, 0, -1, vcc
	v_cmp_le_u32_e32 vcc, s10, v1
	v_addc_co_u32_e64 v25, s[0:1], 0, v19, s[0:1]
	v_cndmask_b32_e64 v1, 0, -1, vcc
	v_cmp_eq_u32_e32 vcc, s11, v17
	v_cmp_ne_u32_e64 s[0:1], 0, v16
	v_cndmask_b32_e32 v1, v22, v1, vcc
	v_cndmask_b32_e64 v16, v25, v23, s[0:1]
	v_cmp_ne_u32_e32 vcc, 0, v1
	v_cndmask_b32_e32 v1, v19, v16, vcc
	v_cndmask_b32_e64 v16, v24, v20, s[0:1]
	v_cndmask_b32_e32 v16, v18, v16, vcc
	v_xor_b32_e32 v17, s8, v21
	v_xor_b32_e32 v16, v16, v17
	;; [unrolled: 1-line block ×3, first 2 shown]
	v_sub_co_u32_e32 v16, vcc, v16, v17
	v_subb_co_u32_e32 v17, vcc, v1, v17, vcc
                                        ; implicit-def: $vgpr1
.LBB1154_168:
	s_andn2_saveexec_b64 s[0:1], s[4:5]
	s_cbranch_execz .LBB1154_170
; %bb.169:
	v_cvt_f32_u32_e32 v16, s38
	s_sub_i32 s4, 0, s38
	v_rcp_iflag_f32_e32 v16, v16
	v_mul_f32_e32 v16, 0x4f7ffffe, v16
	v_cvt_u32_f32_e32 v16, v16
	v_mul_lo_u32 v17, s4, v16
	v_mul_hi_u32 v17, v16, v17
	v_add_u32_e32 v16, v16, v17
	v_mul_hi_u32 v16, v1, v16
	v_mul_lo_u32 v17, v16, s38
	v_sub_u32_e32 v1, v1, v17
	v_add_u32_e32 v18, 1, v16
	v_subrev_u32_e32 v17, s38, v1
	v_cmp_le_u32_e32 vcc, s38, v1
	v_cndmask_b32_e32 v1, v1, v17, vcc
	v_cndmask_b32_e32 v16, v16, v18, vcc
	v_add_u32_e32 v17, 1, v16
	v_cmp_le_u32_e32 vcc, s38, v1
	v_cndmask_b32_e32 v16, v16, v17, vcc
	v_mov_b32_e32 v17, 0
.LBB1154_170:
	s_or_b64 exec, exec, s[0:1]
.LBB1154_171:
	s_or_b64 exec, exec, s[2:3]
	v_or_b32_e32 v48, 0x800, v0
	v_cmp_gt_u32_e64 s[12:13], s76, v48
                                        ; implicit-def: $vgpr18_vgpr19
	s_and_saveexec_b64 s[2:3], s[12:13]
	s_cbranch_execz .LBB1154_177
; %bb.172:
	v_mov_b32_e32 v19, s33
	v_add_co_u32_e32 v1, vcc, s7, v48
	v_addc_co_u32_e32 v20, vcc, 0, v19, vcc
	v_mov_b32_e32 v18, 0
	v_or_b32_e32 v19, s39, v20
	v_cmp_ne_u64_e32 vcc, 0, v[18:19]
                                        ; implicit-def: $vgpr18_vgpr19
	s_and_saveexec_b64 s[0:1], vcc
	s_xor_b64 s[4:5], exec, s[0:1]
	s_cbranch_execz .LBB1154_174
; %bb.173:
	s_ashr_i32 s8, s39, 31
	s_add_u32 s0, s38, s8
	s_mov_b32 s9, s8
	s_addc_u32 s1, s39, s8
	s_xor_b64 s[10:11], s[0:1], s[8:9]
	v_cvt_f32_u32_e32 v18, s10
	v_cvt_f32_u32_e32 v19, s11
	s_sub_u32 s0, 0, s10
	s_subb_u32 s1, 0, s11
	v_madmk_f32 v18, v19, 0x4f800000, v18
	v_rcp_f32_e32 v18, v18
	v_mul_f32_e32 v18, 0x5f7ffffc, v18
	v_mul_f32_e32 v19, 0x2f800000, v18
	v_trunc_f32_e32 v19, v19
	v_madmk_f32 v18, v19, 0xcf800000, v18
	v_cvt_u32_f32_e32 v19, v19
	v_cvt_u32_f32_e32 v18, v18
	v_mul_lo_u32 v21, s0, v19
	v_mul_hi_u32 v23, s0, v18
	v_mul_lo_u32 v22, s1, v18
	v_add_u32_e32 v21, v23, v21
	v_mul_lo_u32 v24, s0, v18
	v_add_u32_e32 v21, v21, v22
	v_mul_lo_u32 v23, v18, v21
	v_mul_hi_u32 v25, v18, v24
	v_mul_hi_u32 v22, v18, v21
	v_add_co_u32_e32 v23, vcc, v25, v23
	v_addc_co_u32_e32 v22, vcc, 0, v22, vcc
	v_mul_hi_u32 v26, v19, v24
	v_mul_lo_u32 v24, v19, v24
	v_add_co_u32_e32 v23, vcc, v23, v24
	v_mul_hi_u32 v25, v19, v21
	v_addc_co_u32_e32 v22, vcc, v22, v26, vcc
	v_addc_co_u32_e32 v23, vcc, 0, v25, vcc
	v_mul_lo_u32 v21, v19, v21
	v_add_co_u32_e32 v21, vcc, v22, v21
	v_addc_co_u32_e32 v22, vcc, 0, v23, vcc
	v_add_co_u32_e32 v18, vcc, v18, v21
	v_addc_co_u32_e32 v19, vcc, v19, v22, vcc
	v_mul_lo_u32 v21, s0, v19
	v_mul_hi_u32 v22, s0, v18
	v_add_u32_e32 v21, v22, v21
	v_mul_lo_u32 v22, s1, v18
	v_add_u32_e32 v21, v21, v22
	v_mul_lo_u32 v23, s0, v18
	v_mul_hi_u32 v24, v19, v23
	v_mul_lo_u32 v25, v19, v23
	v_mul_lo_u32 v27, v18, v21
	v_mul_hi_u32 v23, v18, v23
	v_mul_hi_u32 v26, v18, v21
	v_add_co_u32_e32 v23, vcc, v23, v27
	v_addc_co_u32_e32 v26, vcc, 0, v26, vcc
	v_add_co_u32_e32 v23, vcc, v23, v25
	v_mul_hi_u32 v22, v19, v21
	v_addc_co_u32_e32 v23, vcc, v26, v24, vcc
	v_addc_co_u32_e32 v22, vcc, 0, v22, vcc
	v_mul_lo_u32 v21, v19, v21
	v_add_co_u32_e32 v21, vcc, v23, v21
	v_addc_co_u32_e32 v22, vcc, 0, v22, vcc
	v_add_co_u32_e32 v21, vcc, v18, v21
	v_addc_co_u32_e32 v22, vcc, v19, v22, vcc
	v_ashrrev_i32_e32 v23, 31, v20
	v_add_co_u32_e32 v1, vcc, v1, v23
	v_addc_co_u32_e32 v18, vcc, v20, v23, vcc
	v_xor_b32_e32 v1, v1, v23
	v_xor_b32_e32 v24, v18, v23
	v_mad_u64_u32 v[18:19], s[0:1], v1, v22, 0
	v_mul_hi_u32 v20, v1, v21
	v_add_co_u32_e32 v25, vcc, v20, v18
	v_addc_co_u32_e32 v26, vcc, 0, v19, vcc
	v_mad_u64_u32 v[20:21], s[0:1], v24, v21, 0
	v_add_co_u32_e32 v20, vcc, v25, v20
	v_mad_u64_u32 v[18:19], s[0:1], v24, v22, 0
	v_addc_co_u32_e32 v20, vcc, v26, v21, vcc
	v_addc_co_u32_e32 v19, vcc, 0, v19, vcc
	v_add_co_u32_e32 v20, vcc, v20, v18
	v_addc_co_u32_e32 v21, vcc, 0, v19, vcc
	v_mul_lo_u32 v22, s11, v20
	v_mul_lo_u32 v25, s10, v21
	v_mad_u64_u32 v[18:19], s[0:1], s10, v20, 0
	v_add3_u32 v19, v19, v25, v22
	v_sub_u32_e32 v22, v24, v19
	v_mov_b32_e32 v25, s11
	v_sub_co_u32_e32 v1, vcc, v1, v18
	v_subb_co_u32_e64 v18, s[0:1], v22, v25, vcc
	v_subrev_co_u32_e64 v22, s[0:1], s10, v1
	v_subbrev_co_u32_e64 v18, s[0:1], 0, v18, s[0:1]
	v_cmp_le_u32_e64 s[0:1], s11, v18
	v_cndmask_b32_e64 v25, 0, -1, s[0:1]
	v_cmp_le_u32_e64 s[0:1], s10, v22
	v_cndmask_b32_e64 v22, 0, -1, s[0:1]
	v_cmp_eq_u32_e64 s[0:1], s11, v18
	v_cndmask_b32_e64 v18, v25, v22, s[0:1]
	v_add_co_u32_e64 v22, s[0:1], 2, v20
	v_subb_co_u32_e32 v19, vcc, v24, v19, vcc
	v_addc_co_u32_e64 v25, s[0:1], 0, v21, s[0:1]
	v_cmp_le_u32_e32 vcc, s11, v19
	v_add_co_u32_e64 v26, s[0:1], 1, v20
	v_cndmask_b32_e64 v24, 0, -1, vcc
	v_cmp_le_u32_e32 vcc, s10, v1
	v_addc_co_u32_e64 v27, s[0:1], 0, v21, s[0:1]
	v_cndmask_b32_e64 v1, 0, -1, vcc
	v_cmp_eq_u32_e32 vcc, s11, v19
	v_cmp_ne_u32_e64 s[0:1], 0, v18
	v_cndmask_b32_e32 v1, v24, v1, vcc
	v_cndmask_b32_e64 v18, v27, v25, s[0:1]
	v_cmp_ne_u32_e32 vcc, 0, v1
	v_cndmask_b32_e32 v1, v21, v18, vcc
	v_cndmask_b32_e64 v18, v26, v22, s[0:1]
	v_cndmask_b32_e32 v18, v20, v18, vcc
	v_xor_b32_e32 v19, s8, v23
	v_xor_b32_e32 v18, v18, v19
	;; [unrolled: 1-line block ×3, first 2 shown]
	v_sub_co_u32_e32 v18, vcc, v18, v19
	v_subb_co_u32_e32 v19, vcc, v1, v19, vcc
                                        ; implicit-def: $vgpr1
.LBB1154_174:
	s_andn2_saveexec_b64 s[0:1], s[4:5]
	s_cbranch_execz .LBB1154_176
; %bb.175:
	v_cvt_f32_u32_e32 v18, s38
	s_sub_i32 s4, 0, s38
	v_rcp_iflag_f32_e32 v18, v18
	v_mul_f32_e32 v18, 0x4f7ffffe, v18
	v_cvt_u32_f32_e32 v18, v18
	v_mul_lo_u32 v19, s4, v18
	v_mul_hi_u32 v19, v18, v19
	v_add_u32_e32 v18, v18, v19
	v_mul_hi_u32 v18, v1, v18
	v_mul_lo_u32 v19, v18, s38
	v_sub_u32_e32 v1, v1, v19
	v_add_u32_e32 v20, 1, v18
	v_subrev_u32_e32 v19, s38, v1
	v_cmp_le_u32_e32 vcc, s38, v1
	v_cndmask_b32_e32 v1, v1, v19, vcc
	v_cndmask_b32_e32 v18, v18, v20, vcc
	v_add_u32_e32 v19, 1, v18
	v_cmp_le_u32_e32 vcc, s38, v1
	v_cndmask_b32_e32 v18, v18, v19, vcc
	v_mov_b32_e32 v19, 0
.LBB1154_176:
	s_or_b64 exec, exec, s[0:1]
.LBB1154_177:
	s_or_b64 exec, exec, s[2:3]
	v_or_b32_e32 v50, 0x900, v0
	v_cmp_gt_u32_e64 s[10:11], s76, v50
                                        ; implicit-def: $vgpr20_vgpr21
	s_and_saveexec_b64 s[2:3], s[10:11]
	s_cbranch_execz .LBB1154_183
; %bb.178:
	v_mov_b32_e32 v21, s33
	v_add_co_u32_e32 v1, vcc, s7, v50
	v_addc_co_u32_e32 v22, vcc, 0, v21, vcc
	v_mov_b32_e32 v20, 0
	v_or_b32_e32 v21, s39, v22
	v_cmp_ne_u64_e32 vcc, 0, v[20:21]
                                        ; implicit-def: $vgpr20_vgpr21
	s_and_saveexec_b64 s[0:1], vcc
	s_xor_b64 s[4:5], exec, s[0:1]
	s_cbranch_execz .LBB1154_180
; %bb.179:
	s_ashr_i32 s8, s39, 31
	s_add_u32 s0, s38, s8
	s_mov_b32 s9, s8
	s_addc_u32 s1, s39, s8
	s_xor_b64 s[30:31], s[0:1], s[8:9]
	v_cvt_f32_u32_e32 v20, s30
	v_cvt_f32_u32_e32 v21, s31
	s_sub_u32 s0, 0, s30
	s_subb_u32 s1, 0, s31
	v_madmk_f32 v20, v21, 0x4f800000, v20
	v_rcp_f32_e32 v20, v20
	v_mul_f32_e32 v20, 0x5f7ffffc, v20
	v_mul_f32_e32 v21, 0x2f800000, v20
	v_trunc_f32_e32 v21, v21
	v_madmk_f32 v20, v21, 0xcf800000, v20
	v_cvt_u32_f32_e32 v21, v21
	v_cvt_u32_f32_e32 v20, v20
	v_mul_lo_u32 v23, s0, v21
	v_mul_hi_u32 v25, s0, v20
	v_mul_lo_u32 v24, s1, v20
	v_add_u32_e32 v23, v25, v23
	v_mul_lo_u32 v26, s0, v20
	v_add_u32_e32 v23, v23, v24
	v_mul_lo_u32 v25, v20, v23
	v_mul_hi_u32 v27, v20, v26
	v_mul_hi_u32 v24, v20, v23
	v_add_co_u32_e32 v25, vcc, v27, v25
	v_addc_co_u32_e32 v24, vcc, 0, v24, vcc
	v_mul_hi_u32 v28, v21, v26
	v_mul_lo_u32 v26, v21, v26
	v_add_co_u32_e32 v25, vcc, v25, v26
	v_mul_hi_u32 v27, v21, v23
	v_addc_co_u32_e32 v24, vcc, v24, v28, vcc
	v_addc_co_u32_e32 v25, vcc, 0, v27, vcc
	v_mul_lo_u32 v23, v21, v23
	v_add_co_u32_e32 v23, vcc, v24, v23
	v_addc_co_u32_e32 v24, vcc, 0, v25, vcc
	v_add_co_u32_e32 v20, vcc, v20, v23
	v_addc_co_u32_e32 v21, vcc, v21, v24, vcc
	v_mul_lo_u32 v23, s0, v21
	v_mul_hi_u32 v24, s0, v20
	v_add_u32_e32 v23, v24, v23
	v_mul_lo_u32 v24, s1, v20
	v_add_u32_e32 v23, v23, v24
	v_mul_lo_u32 v25, s0, v20
	v_mul_hi_u32 v26, v21, v25
	v_mul_lo_u32 v27, v21, v25
	v_mul_lo_u32 v29, v20, v23
	v_mul_hi_u32 v25, v20, v25
	v_mul_hi_u32 v28, v20, v23
	v_add_co_u32_e32 v25, vcc, v25, v29
	v_addc_co_u32_e32 v28, vcc, 0, v28, vcc
	v_add_co_u32_e32 v25, vcc, v25, v27
	v_mul_hi_u32 v24, v21, v23
	v_addc_co_u32_e32 v25, vcc, v28, v26, vcc
	v_addc_co_u32_e32 v24, vcc, 0, v24, vcc
	v_mul_lo_u32 v23, v21, v23
	v_add_co_u32_e32 v23, vcc, v25, v23
	v_addc_co_u32_e32 v24, vcc, 0, v24, vcc
	v_add_co_u32_e32 v23, vcc, v20, v23
	v_addc_co_u32_e32 v24, vcc, v21, v24, vcc
	v_ashrrev_i32_e32 v25, 31, v22
	v_add_co_u32_e32 v1, vcc, v1, v25
	v_addc_co_u32_e32 v20, vcc, v22, v25, vcc
	v_xor_b32_e32 v1, v1, v25
	v_xor_b32_e32 v26, v20, v25
	v_mad_u64_u32 v[20:21], s[0:1], v1, v24, 0
	v_mul_hi_u32 v22, v1, v23
	v_add_co_u32_e32 v27, vcc, v22, v20
	v_addc_co_u32_e32 v28, vcc, 0, v21, vcc
	v_mad_u64_u32 v[22:23], s[0:1], v26, v23, 0
	v_add_co_u32_e32 v22, vcc, v27, v22
	v_mad_u64_u32 v[20:21], s[0:1], v26, v24, 0
	v_addc_co_u32_e32 v22, vcc, v28, v23, vcc
	v_addc_co_u32_e32 v21, vcc, 0, v21, vcc
	v_add_co_u32_e32 v22, vcc, v22, v20
	v_addc_co_u32_e32 v23, vcc, 0, v21, vcc
	v_mul_lo_u32 v24, s31, v22
	v_mul_lo_u32 v27, s30, v23
	v_mad_u64_u32 v[20:21], s[0:1], s30, v22, 0
	v_add3_u32 v21, v21, v27, v24
	v_sub_u32_e32 v24, v26, v21
	v_mov_b32_e32 v27, s31
	v_sub_co_u32_e32 v1, vcc, v1, v20
	v_subb_co_u32_e64 v20, s[0:1], v24, v27, vcc
	v_subrev_co_u32_e64 v24, s[0:1], s30, v1
	v_subbrev_co_u32_e64 v20, s[0:1], 0, v20, s[0:1]
	v_cmp_le_u32_e64 s[0:1], s31, v20
	v_cndmask_b32_e64 v27, 0, -1, s[0:1]
	v_cmp_le_u32_e64 s[0:1], s30, v24
	v_cndmask_b32_e64 v24, 0, -1, s[0:1]
	v_cmp_eq_u32_e64 s[0:1], s31, v20
	v_cndmask_b32_e64 v20, v27, v24, s[0:1]
	v_add_co_u32_e64 v24, s[0:1], 2, v22
	v_subb_co_u32_e32 v21, vcc, v26, v21, vcc
	v_addc_co_u32_e64 v27, s[0:1], 0, v23, s[0:1]
	v_cmp_le_u32_e32 vcc, s31, v21
	v_add_co_u32_e64 v28, s[0:1], 1, v22
	v_cndmask_b32_e64 v26, 0, -1, vcc
	v_cmp_le_u32_e32 vcc, s30, v1
	v_addc_co_u32_e64 v29, s[0:1], 0, v23, s[0:1]
	v_cndmask_b32_e64 v1, 0, -1, vcc
	v_cmp_eq_u32_e32 vcc, s31, v21
	v_cmp_ne_u32_e64 s[0:1], 0, v20
	v_cndmask_b32_e32 v1, v26, v1, vcc
	v_cndmask_b32_e64 v20, v29, v27, s[0:1]
	v_cmp_ne_u32_e32 vcc, 0, v1
	v_cndmask_b32_e32 v1, v23, v20, vcc
	v_cndmask_b32_e64 v20, v28, v24, s[0:1]
	v_cndmask_b32_e32 v20, v22, v20, vcc
	v_xor_b32_e32 v21, s8, v25
	v_xor_b32_e32 v20, v20, v21
	;; [unrolled: 1-line block ×3, first 2 shown]
	v_sub_co_u32_e32 v20, vcc, v20, v21
	v_subb_co_u32_e32 v21, vcc, v1, v21, vcc
                                        ; implicit-def: $vgpr1
.LBB1154_180:
	s_andn2_saveexec_b64 s[0:1], s[4:5]
	s_cbranch_execz .LBB1154_182
; %bb.181:
	v_cvt_f32_u32_e32 v20, s38
	s_sub_i32 s4, 0, s38
	v_rcp_iflag_f32_e32 v20, v20
	v_mul_f32_e32 v20, 0x4f7ffffe, v20
	v_cvt_u32_f32_e32 v20, v20
	v_mul_lo_u32 v21, s4, v20
	v_mul_hi_u32 v21, v20, v21
	v_add_u32_e32 v20, v20, v21
	v_mul_hi_u32 v20, v1, v20
	v_mul_lo_u32 v21, v20, s38
	v_sub_u32_e32 v1, v1, v21
	v_add_u32_e32 v22, 1, v20
	v_subrev_u32_e32 v21, s38, v1
	v_cmp_le_u32_e32 vcc, s38, v1
	v_cndmask_b32_e32 v1, v1, v21, vcc
	v_cndmask_b32_e32 v20, v20, v22, vcc
	v_add_u32_e32 v21, 1, v20
	v_cmp_le_u32_e32 vcc, s38, v1
	v_cndmask_b32_e32 v20, v20, v21, vcc
	v_mov_b32_e32 v21, 0
.LBB1154_182:
	s_or_b64 exec, exec, s[0:1]
.LBB1154_183:
	s_or_b64 exec, exec, s[2:3]
	v_or_b32_e32 v52, 0xa00, v0
	v_cmp_gt_u32_e64 s[8:9], s76, v52
                                        ; implicit-def: $vgpr22_vgpr23
	s_and_saveexec_b64 s[2:3], s[8:9]
	s_cbranch_execz .LBB1154_189
; %bb.184:
	v_mov_b32_e32 v23, s33
	v_add_co_u32_e32 v1, vcc, s7, v52
	v_addc_co_u32_e32 v24, vcc, 0, v23, vcc
	v_mov_b32_e32 v22, 0
	v_or_b32_e32 v23, s39, v24
	v_cmp_ne_u64_e32 vcc, 0, v[22:23]
                                        ; implicit-def: $vgpr22_vgpr23
	s_and_saveexec_b64 s[0:1], vcc
	s_xor_b64 s[4:5], exec, s[0:1]
	s_cbranch_execz .LBB1154_186
; %bb.185:
	s_ashr_i32 s30, s39, 31
	s_add_u32 s0, s38, s30
	s_mov_b32 s31, s30
	s_addc_u32 s1, s39, s30
	s_xor_b64 s[34:35], s[0:1], s[30:31]
	v_cvt_f32_u32_e32 v22, s34
	v_cvt_f32_u32_e32 v23, s35
	s_sub_u32 s0, 0, s34
	s_subb_u32 s1, 0, s35
	v_madmk_f32 v22, v23, 0x4f800000, v22
	v_rcp_f32_e32 v22, v22
	v_mul_f32_e32 v22, 0x5f7ffffc, v22
	v_mul_f32_e32 v23, 0x2f800000, v22
	v_trunc_f32_e32 v23, v23
	v_madmk_f32 v22, v23, 0xcf800000, v22
	v_cvt_u32_f32_e32 v23, v23
	v_cvt_u32_f32_e32 v22, v22
	v_mul_lo_u32 v25, s0, v23
	v_mul_hi_u32 v27, s0, v22
	v_mul_lo_u32 v26, s1, v22
	v_add_u32_e32 v25, v27, v25
	v_mul_lo_u32 v28, s0, v22
	v_add_u32_e32 v25, v25, v26
	v_mul_lo_u32 v27, v22, v25
	v_mul_hi_u32 v29, v22, v28
	v_mul_hi_u32 v26, v22, v25
	v_add_co_u32_e32 v27, vcc, v29, v27
	v_addc_co_u32_e32 v26, vcc, 0, v26, vcc
	v_mul_hi_u32 v30, v23, v28
	v_mul_lo_u32 v28, v23, v28
	v_add_co_u32_e32 v27, vcc, v27, v28
	v_mul_hi_u32 v29, v23, v25
	v_addc_co_u32_e32 v26, vcc, v26, v30, vcc
	v_addc_co_u32_e32 v27, vcc, 0, v29, vcc
	v_mul_lo_u32 v25, v23, v25
	v_add_co_u32_e32 v25, vcc, v26, v25
	v_addc_co_u32_e32 v26, vcc, 0, v27, vcc
	v_add_co_u32_e32 v22, vcc, v22, v25
	v_addc_co_u32_e32 v23, vcc, v23, v26, vcc
	v_mul_lo_u32 v25, s0, v23
	v_mul_hi_u32 v26, s0, v22
	v_add_u32_e32 v25, v26, v25
	v_mul_lo_u32 v26, s1, v22
	v_add_u32_e32 v25, v25, v26
	v_mul_lo_u32 v27, s0, v22
	v_mul_hi_u32 v28, v23, v27
	v_mul_lo_u32 v29, v23, v27
	v_mul_lo_u32 v31, v22, v25
	v_mul_hi_u32 v27, v22, v27
	v_mul_hi_u32 v30, v22, v25
	v_add_co_u32_e32 v27, vcc, v27, v31
	v_addc_co_u32_e32 v30, vcc, 0, v30, vcc
	v_add_co_u32_e32 v27, vcc, v27, v29
	v_mul_hi_u32 v26, v23, v25
	v_addc_co_u32_e32 v27, vcc, v30, v28, vcc
	v_addc_co_u32_e32 v26, vcc, 0, v26, vcc
	v_mul_lo_u32 v25, v23, v25
	v_add_co_u32_e32 v25, vcc, v27, v25
	v_addc_co_u32_e32 v26, vcc, 0, v26, vcc
	v_add_co_u32_e32 v25, vcc, v22, v25
	v_addc_co_u32_e32 v26, vcc, v23, v26, vcc
	v_ashrrev_i32_e32 v27, 31, v24
	v_add_co_u32_e32 v1, vcc, v1, v27
	v_addc_co_u32_e32 v22, vcc, v24, v27, vcc
	v_xor_b32_e32 v1, v1, v27
	v_xor_b32_e32 v28, v22, v27
	v_mad_u64_u32 v[22:23], s[0:1], v1, v26, 0
	v_mul_hi_u32 v24, v1, v25
	v_add_co_u32_e32 v29, vcc, v24, v22
	v_addc_co_u32_e32 v30, vcc, 0, v23, vcc
	v_mad_u64_u32 v[24:25], s[0:1], v28, v25, 0
	v_add_co_u32_e32 v24, vcc, v29, v24
	v_mad_u64_u32 v[22:23], s[0:1], v28, v26, 0
	v_addc_co_u32_e32 v24, vcc, v30, v25, vcc
	v_addc_co_u32_e32 v23, vcc, 0, v23, vcc
	v_add_co_u32_e32 v24, vcc, v24, v22
	v_addc_co_u32_e32 v25, vcc, 0, v23, vcc
	v_mul_lo_u32 v26, s35, v24
	v_mul_lo_u32 v29, s34, v25
	v_mad_u64_u32 v[22:23], s[0:1], s34, v24, 0
	v_add3_u32 v23, v23, v29, v26
	v_sub_u32_e32 v26, v28, v23
	v_mov_b32_e32 v29, s35
	v_sub_co_u32_e32 v1, vcc, v1, v22
	v_subb_co_u32_e64 v22, s[0:1], v26, v29, vcc
	v_subrev_co_u32_e64 v26, s[0:1], s34, v1
	v_subbrev_co_u32_e64 v22, s[0:1], 0, v22, s[0:1]
	v_cmp_le_u32_e64 s[0:1], s35, v22
	v_cndmask_b32_e64 v29, 0, -1, s[0:1]
	v_cmp_le_u32_e64 s[0:1], s34, v26
	v_cndmask_b32_e64 v26, 0, -1, s[0:1]
	v_cmp_eq_u32_e64 s[0:1], s35, v22
	v_cndmask_b32_e64 v22, v29, v26, s[0:1]
	v_add_co_u32_e64 v26, s[0:1], 2, v24
	v_subb_co_u32_e32 v23, vcc, v28, v23, vcc
	v_addc_co_u32_e64 v29, s[0:1], 0, v25, s[0:1]
	v_cmp_le_u32_e32 vcc, s35, v23
	v_add_co_u32_e64 v30, s[0:1], 1, v24
	v_cndmask_b32_e64 v28, 0, -1, vcc
	v_cmp_le_u32_e32 vcc, s34, v1
	v_addc_co_u32_e64 v31, s[0:1], 0, v25, s[0:1]
	v_cndmask_b32_e64 v1, 0, -1, vcc
	v_cmp_eq_u32_e32 vcc, s35, v23
	v_cmp_ne_u32_e64 s[0:1], 0, v22
	v_cndmask_b32_e32 v1, v28, v1, vcc
	v_cndmask_b32_e64 v22, v31, v29, s[0:1]
	v_cmp_ne_u32_e32 vcc, 0, v1
	v_cndmask_b32_e32 v1, v25, v22, vcc
	v_cndmask_b32_e64 v22, v30, v26, s[0:1]
	v_cndmask_b32_e32 v22, v24, v22, vcc
	v_xor_b32_e32 v23, s30, v27
	v_xor_b32_e32 v22, v22, v23
	;; [unrolled: 1-line block ×3, first 2 shown]
	v_sub_co_u32_e32 v22, vcc, v22, v23
	v_subb_co_u32_e32 v23, vcc, v1, v23, vcc
                                        ; implicit-def: $vgpr1
.LBB1154_186:
	s_andn2_saveexec_b64 s[0:1], s[4:5]
	s_cbranch_execz .LBB1154_188
; %bb.187:
	v_cvt_f32_u32_e32 v22, s38
	s_sub_i32 s4, 0, s38
	v_rcp_iflag_f32_e32 v22, v22
	v_mul_f32_e32 v22, 0x4f7ffffe, v22
	v_cvt_u32_f32_e32 v22, v22
	v_mul_lo_u32 v23, s4, v22
	v_mul_hi_u32 v23, v22, v23
	v_add_u32_e32 v22, v22, v23
	v_mul_hi_u32 v22, v1, v22
	v_mul_lo_u32 v23, v22, s38
	v_sub_u32_e32 v1, v1, v23
	v_add_u32_e32 v24, 1, v22
	v_subrev_u32_e32 v23, s38, v1
	v_cmp_le_u32_e32 vcc, s38, v1
	v_cndmask_b32_e32 v1, v1, v23, vcc
	v_cndmask_b32_e32 v22, v22, v24, vcc
	v_add_u32_e32 v23, 1, v22
	v_cmp_le_u32_e32 vcc, s38, v1
	v_cndmask_b32_e32 v22, v22, v23, vcc
	v_mov_b32_e32 v23, 0
.LBB1154_188:
	s_or_b64 exec, exec, s[0:1]
.LBB1154_189:
	s_or_b64 exec, exec, s[2:3]
	v_or_b32_e32 v54, 0xb00, v0
	v_cmp_gt_u32_e64 s[30:31], s76, v54
                                        ; implicit-def: $vgpr24_vgpr25
	s_and_saveexec_b64 s[2:3], s[30:31]
	s_cbranch_execz .LBB1154_195
; %bb.190:
	v_mov_b32_e32 v25, s33
	v_add_co_u32_e32 v1, vcc, s7, v54
	v_addc_co_u32_e32 v26, vcc, 0, v25, vcc
	v_mov_b32_e32 v24, 0
	v_or_b32_e32 v25, s39, v26
	v_cmp_ne_u64_e32 vcc, 0, v[24:25]
                                        ; implicit-def: $vgpr24_vgpr25
	s_and_saveexec_b64 s[0:1], vcc
	s_xor_b64 s[4:5], exec, s[0:1]
	s_cbranch_execz .LBB1154_192
; %bb.191:
	s_ashr_i32 s34, s39, 31
	s_add_u32 s0, s38, s34
	s_mov_b32 s35, s34
	s_addc_u32 s1, s39, s34
	s_xor_b64 s[62:63], s[0:1], s[34:35]
	v_cvt_f32_u32_e32 v24, s62
	v_cvt_f32_u32_e32 v25, s63
	s_sub_u32 s0, 0, s62
	s_subb_u32 s1, 0, s63
	v_madmk_f32 v24, v25, 0x4f800000, v24
	v_rcp_f32_e32 v24, v24
	v_mul_f32_e32 v24, 0x5f7ffffc, v24
	v_mul_f32_e32 v25, 0x2f800000, v24
	v_trunc_f32_e32 v25, v25
	v_madmk_f32 v24, v25, 0xcf800000, v24
	v_cvt_u32_f32_e32 v25, v25
	v_cvt_u32_f32_e32 v24, v24
	v_mul_lo_u32 v27, s0, v25
	v_mul_hi_u32 v29, s0, v24
	v_mul_lo_u32 v28, s1, v24
	v_add_u32_e32 v27, v29, v27
	v_mul_lo_u32 v30, s0, v24
	v_add_u32_e32 v27, v27, v28
	v_mul_lo_u32 v29, v24, v27
	v_mul_hi_u32 v31, v24, v30
	v_mul_hi_u32 v28, v24, v27
	v_add_co_u32_e32 v29, vcc, v31, v29
	v_addc_co_u32_e32 v28, vcc, 0, v28, vcc
	v_mul_hi_u32 v32, v25, v30
	v_mul_lo_u32 v30, v25, v30
	v_add_co_u32_e32 v29, vcc, v29, v30
	v_mul_hi_u32 v31, v25, v27
	v_addc_co_u32_e32 v28, vcc, v28, v32, vcc
	v_addc_co_u32_e32 v29, vcc, 0, v31, vcc
	v_mul_lo_u32 v27, v25, v27
	v_add_co_u32_e32 v27, vcc, v28, v27
	v_addc_co_u32_e32 v28, vcc, 0, v29, vcc
	v_add_co_u32_e32 v24, vcc, v24, v27
	v_addc_co_u32_e32 v25, vcc, v25, v28, vcc
	v_mul_lo_u32 v27, s0, v25
	v_mul_hi_u32 v28, s0, v24
	v_add_u32_e32 v27, v28, v27
	v_mul_lo_u32 v28, s1, v24
	v_add_u32_e32 v27, v27, v28
	v_mul_lo_u32 v29, s0, v24
	v_mul_hi_u32 v30, v25, v29
	v_mul_lo_u32 v31, v25, v29
	v_mul_lo_u32 v33, v24, v27
	v_mul_hi_u32 v29, v24, v29
	v_mul_hi_u32 v32, v24, v27
	v_add_co_u32_e32 v29, vcc, v29, v33
	v_addc_co_u32_e32 v32, vcc, 0, v32, vcc
	v_add_co_u32_e32 v29, vcc, v29, v31
	v_mul_hi_u32 v28, v25, v27
	v_addc_co_u32_e32 v29, vcc, v32, v30, vcc
	v_addc_co_u32_e32 v28, vcc, 0, v28, vcc
	v_mul_lo_u32 v27, v25, v27
	v_add_co_u32_e32 v27, vcc, v29, v27
	v_addc_co_u32_e32 v28, vcc, 0, v28, vcc
	v_add_co_u32_e32 v27, vcc, v24, v27
	v_addc_co_u32_e32 v28, vcc, v25, v28, vcc
	v_ashrrev_i32_e32 v29, 31, v26
	v_add_co_u32_e32 v1, vcc, v1, v29
	v_addc_co_u32_e32 v24, vcc, v26, v29, vcc
	v_xor_b32_e32 v1, v1, v29
	v_xor_b32_e32 v30, v24, v29
	v_mad_u64_u32 v[24:25], s[0:1], v1, v28, 0
	v_mul_hi_u32 v26, v1, v27
	v_add_co_u32_e32 v31, vcc, v26, v24
	v_addc_co_u32_e32 v32, vcc, 0, v25, vcc
	v_mad_u64_u32 v[26:27], s[0:1], v30, v27, 0
	v_add_co_u32_e32 v26, vcc, v31, v26
	v_mad_u64_u32 v[24:25], s[0:1], v30, v28, 0
	v_addc_co_u32_e32 v26, vcc, v32, v27, vcc
	v_addc_co_u32_e32 v25, vcc, 0, v25, vcc
	v_add_co_u32_e32 v26, vcc, v26, v24
	v_addc_co_u32_e32 v27, vcc, 0, v25, vcc
	v_mul_lo_u32 v28, s63, v26
	v_mul_lo_u32 v31, s62, v27
	v_mad_u64_u32 v[24:25], s[0:1], s62, v26, 0
	v_add3_u32 v25, v25, v31, v28
	v_sub_u32_e32 v28, v30, v25
	v_mov_b32_e32 v31, s63
	v_sub_co_u32_e32 v1, vcc, v1, v24
	v_subb_co_u32_e64 v24, s[0:1], v28, v31, vcc
	v_subrev_co_u32_e64 v28, s[0:1], s62, v1
	v_subbrev_co_u32_e64 v24, s[0:1], 0, v24, s[0:1]
	v_cmp_le_u32_e64 s[0:1], s63, v24
	v_cndmask_b32_e64 v31, 0, -1, s[0:1]
	v_cmp_le_u32_e64 s[0:1], s62, v28
	v_cndmask_b32_e64 v28, 0, -1, s[0:1]
	v_cmp_eq_u32_e64 s[0:1], s63, v24
	v_cndmask_b32_e64 v24, v31, v28, s[0:1]
	v_add_co_u32_e64 v28, s[0:1], 2, v26
	v_subb_co_u32_e32 v25, vcc, v30, v25, vcc
	v_addc_co_u32_e64 v31, s[0:1], 0, v27, s[0:1]
	v_cmp_le_u32_e32 vcc, s63, v25
	v_add_co_u32_e64 v32, s[0:1], 1, v26
	v_cndmask_b32_e64 v30, 0, -1, vcc
	v_cmp_le_u32_e32 vcc, s62, v1
	v_addc_co_u32_e64 v33, s[0:1], 0, v27, s[0:1]
	v_cndmask_b32_e64 v1, 0, -1, vcc
	v_cmp_eq_u32_e32 vcc, s63, v25
	v_cmp_ne_u32_e64 s[0:1], 0, v24
	v_cndmask_b32_e32 v1, v30, v1, vcc
	v_cndmask_b32_e64 v24, v33, v31, s[0:1]
	v_cmp_ne_u32_e32 vcc, 0, v1
	v_cndmask_b32_e32 v1, v27, v24, vcc
	v_cndmask_b32_e64 v24, v32, v28, s[0:1]
	v_cndmask_b32_e32 v24, v26, v24, vcc
	v_xor_b32_e32 v25, s34, v29
	v_xor_b32_e32 v24, v24, v25
	;; [unrolled: 1-line block ×3, first 2 shown]
	v_sub_co_u32_e32 v24, vcc, v24, v25
	v_subb_co_u32_e32 v25, vcc, v1, v25, vcc
                                        ; implicit-def: $vgpr1
.LBB1154_192:
	s_andn2_saveexec_b64 s[0:1], s[4:5]
	s_cbranch_execz .LBB1154_194
; %bb.193:
	v_cvt_f32_u32_e32 v24, s38
	s_sub_i32 s4, 0, s38
	v_rcp_iflag_f32_e32 v24, v24
	v_mul_f32_e32 v24, 0x4f7ffffe, v24
	v_cvt_u32_f32_e32 v24, v24
	v_mul_lo_u32 v25, s4, v24
	v_mul_hi_u32 v25, v24, v25
	v_add_u32_e32 v24, v24, v25
	v_mul_hi_u32 v24, v1, v24
	v_mul_lo_u32 v25, v24, s38
	v_sub_u32_e32 v1, v1, v25
	v_add_u32_e32 v26, 1, v24
	v_subrev_u32_e32 v25, s38, v1
	v_cmp_le_u32_e32 vcc, s38, v1
	v_cndmask_b32_e32 v1, v1, v25, vcc
	v_cndmask_b32_e32 v24, v24, v26, vcc
	v_add_u32_e32 v25, 1, v24
	v_cmp_le_u32_e32 vcc, s38, v1
	v_cndmask_b32_e32 v24, v24, v25, vcc
	v_mov_b32_e32 v25, 0
.LBB1154_194:
	s_or_b64 exec, exec, s[0:1]
.LBB1154_195:
	s_or_b64 exec, exec, s[2:3]
	v_or_b32_e32 v56, 0xc00, v0
	v_cmp_gt_u32_e64 s[4:5], s76, v56
                                        ; implicit-def: $vgpr26_vgpr27
	s_and_saveexec_b64 s[2:3], s[4:5]
	s_cbranch_execz .LBB1154_201
; %bb.196:
	v_mov_b32_e32 v27, s33
	v_add_co_u32_e32 v1, vcc, s7, v56
	v_addc_co_u32_e32 v28, vcc, 0, v27, vcc
	v_mov_b32_e32 v26, 0
	v_or_b32_e32 v27, s39, v28
	v_cmp_ne_u64_e32 vcc, 0, v[26:27]
                                        ; implicit-def: $vgpr26_vgpr27
	s_and_saveexec_b64 s[0:1], vcc
	s_xor_b64 s[34:35], exec, s[0:1]
	s_cbranch_execz .LBB1154_198
; %bb.197:
	s_ashr_i32 s62, s39, 31
	s_add_u32 s0, s38, s62
	s_mov_b32 s63, s62
	s_addc_u32 s1, s39, s62
	s_xor_b64 s[68:69], s[0:1], s[62:63]
	v_cvt_f32_u32_e32 v26, s68
	v_cvt_f32_u32_e32 v27, s69
	s_sub_u32 s0, 0, s68
	s_subb_u32 s1, 0, s69
	v_madmk_f32 v26, v27, 0x4f800000, v26
	v_rcp_f32_e32 v26, v26
	v_mul_f32_e32 v26, 0x5f7ffffc, v26
	v_mul_f32_e32 v27, 0x2f800000, v26
	v_trunc_f32_e32 v27, v27
	v_madmk_f32 v26, v27, 0xcf800000, v26
	v_cvt_u32_f32_e32 v27, v27
	v_cvt_u32_f32_e32 v26, v26
	v_mul_lo_u32 v29, s0, v27
	v_mul_hi_u32 v31, s0, v26
	v_mul_lo_u32 v30, s1, v26
	v_add_u32_e32 v29, v31, v29
	v_mul_lo_u32 v32, s0, v26
	v_add_u32_e32 v29, v29, v30
	v_mul_lo_u32 v31, v26, v29
	v_mul_hi_u32 v33, v26, v32
	v_mul_hi_u32 v30, v26, v29
	v_add_co_u32_e32 v31, vcc, v33, v31
	v_addc_co_u32_e32 v30, vcc, 0, v30, vcc
	v_mul_hi_u32 v35, v27, v32
	v_mul_lo_u32 v32, v27, v32
	v_add_co_u32_e32 v31, vcc, v31, v32
	v_mul_hi_u32 v33, v27, v29
	v_addc_co_u32_e32 v30, vcc, v30, v35, vcc
	v_addc_co_u32_e32 v31, vcc, 0, v33, vcc
	v_mul_lo_u32 v29, v27, v29
	v_add_co_u32_e32 v29, vcc, v30, v29
	v_addc_co_u32_e32 v30, vcc, 0, v31, vcc
	v_add_co_u32_e32 v26, vcc, v26, v29
	v_addc_co_u32_e32 v27, vcc, v27, v30, vcc
	v_mul_lo_u32 v29, s0, v27
	v_mul_hi_u32 v30, s0, v26
	v_add_u32_e32 v29, v30, v29
	v_mul_lo_u32 v30, s1, v26
	v_add_u32_e32 v29, v29, v30
	v_mul_lo_u32 v31, s0, v26
	v_mul_hi_u32 v32, v27, v31
	v_mul_lo_u32 v33, v27, v31
	v_mul_lo_u32 v37, v26, v29
	v_mul_hi_u32 v31, v26, v31
	v_mul_hi_u32 v35, v26, v29
	v_add_co_u32_e32 v31, vcc, v31, v37
	v_addc_co_u32_e32 v35, vcc, 0, v35, vcc
	v_add_co_u32_e32 v31, vcc, v31, v33
	v_mul_hi_u32 v30, v27, v29
	v_addc_co_u32_e32 v31, vcc, v35, v32, vcc
	v_addc_co_u32_e32 v30, vcc, 0, v30, vcc
	v_mul_lo_u32 v29, v27, v29
	v_add_co_u32_e32 v29, vcc, v31, v29
	v_addc_co_u32_e32 v30, vcc, 0, v30, vcc
	v_add_co_u32_e32 v29, vcc, v26, v29
	v_addc_co_u32_e32 v30, vcc, v27, v30, vcc
	v_ashrrev_i32_e32 v31, 31, v28
	v_add_co_u32_e32 v1, vcc, v1, v31
	v_addc_co_u32_e32 v26, vcc, v28, v31, vcc
	v_xor_b32_e32 v1, v1, v31
	v_xor_b32_e32 v32, v26, v31
	v_mad_u64_u32 v[26:27], s[0:1], v1, v30, 0
	v_mul_hi_u32 v28, v1, v29
	v_add_co_u32_e32 v33, vcc, v28, v26
	v_addc_co_u32_e32 v35, vcc, 0, v27, vcc
	v_mad_u64_u32 v[28:29], s[0:1], v32, v29, 0
	v_add_co_u32_e32 v28, vcc, v33, v28
	v_mad_u64_u32 v[26:27], s[0:1], v32, v30, 0
	v_addc_co_u32_e32 v28, vcc, v35, v29, vcc
	v_addc_co_u32_e32 v27, vcc, 0, v27, vcc
	v_add_co_u32_e32 v28, vcc, v28, v26
	v_addc_co_u32_e32 v29, vcc, 0, v27, vcc
	v_mul_lo_u32 v30, s69, v28
	v_mul_lo_u32 v33, s68, v29
	v_mad_u64_u32 v[26:27], s[0:1], s68, v28, 0
	v_add3_u32 v27, v27, v33, v30
	v_sub_u32_e32 v30, v32, v27
	v_mov_b32_e32 v33, s69
	v_sub_co_u32_e32 v1, vcc, v1, v26
	v_subb_co_u32_e64 v26, s[0:1], v30, v33, vcc
	v_subrev_co_u32_e64 v30, s[0:1], s68, v1
	v_subbrev_co_u32_e64 v26, s[0:1], 0, v26, s[0:1]
	v_cmp_le_u32_e64 s[0:1], s69, v26
	v_cndmask_b32_e64 v33, 0, -1, s[0:1]
	v_cmp_le_u32_e64 s[0:1], s68, v30
	v_cndmask_b32_e64 v30, 0, -1, s[0:1]
	v_cmp_eq_u32_e64 s[0:1], s69, v26
	v_cndmask_b32_e64 v26, v33, v30, s[0:1]
	v_add_co_u32_e64 v30, s[0:1], 2, v28
	v_subb_co_u32_e32 v27, vcc, v32, v27, vcc
	v_addc_co_u32_e64 v33, s[0:1], 0, v29, s[0:1]
	v_cmp_le_u32_e32 vcc, s69, v27
	v_add_co_u32_e64 v35, s[0:1], 1, v28
	v_cndmask_b32_e64 v32, 0, -1, vcc
	v_cmp_le_u32_e32 vcc, s68, v1
	v_addc_co_u32_e64 v37, s[0:1], 0, v29, s[0:1]
	v_cndmask_b32_e64 v1, 0, -1, vcc
	v_cmp_eq_u32_e32 vcc, s69, v27
	v_cmp_ne_u32_e64 s[0:1], 0, v26
	v_cndmask_b32_e32 v1, v32, v1, vcc
	v_cndmask_b32_e64 v26, v37, v33, s[0:1]
	v_cmp_ne_u32_e32 vcc, 0, v1
	v_cndmask_b32_e32 v1, v29, v26, vcc
	v_cndmask_b32_e64 v26, v35, v30, s[0:1]
	v_cndmask_b32_e32 v26, v28, v26, vcc
	v_xor_b32_e32 v27, s62, v31
	v_xor_b32_e32 v26, v26, v27
	;; [unrolled: 1-line block ×3, first 2 shown]
	v_sub_co_u32_e32 v26, vcc, v26, v27
	v_subb_co_u32_e32 v27, vcc, v1, v27, vcc
                                        ; implicit-def: $vgpr1
.LBB1154_198:
	s_andn2_saveexec_b64 s[0:1], s[34:35]
	s_cbranch_execz .LBB1154_200
; %bb.199:
	v_cvt_f32_u32_e32 v26, s38
	s_sub_i32 s34, 0, s38
	v_rcp_iflag_f32_e32 v26, v26
	v_mul_f32_e32 v26, 0x4f7ffffe, v26
	v_cvt_u32_f32_e32 v26, v26
	v_mul_lo_u32 v27, s34, v26
	v_mul_hi_u32 v27, v26, v27
	v_add_u32_e32 v26, v26, v27
	v_mul_hi_u32 v26, v1, v26
	v_mul_lo_u32 v27, v26, s38
	v_sub_u32_e32 v1, v1, v27
	v_add_u32_e32 v28, 1, v26
	v_subrev_u32_e32 v27, s38, v1
	v_cmp_le_u32_e32 vcc, s38, v1
	v_cndmask_b32_e32 v1, v1, v27, vcc
	v_cndmask_b32_e32 v26, v26, v28, vcc
	v_add_u32_e32 v27, 1, v26
	v_cmp_le_u32_e32 vcc, s38, v1
	v_cndmask_b32_e32 v26, v26, v27, vcc
	v_mov_b32_e32 v27, 0
.LBB1154_200:
	s_or_b64 exec, exec, s[0:1]
.LBB1154_201:
	s_or_b64 exec, exec, s[2:3]
	v_or_b32_e32 v58, 0xd00, v0
	v_cmp_gt_u32_e64 s[2:3], s76, v58
                                        ; implicit-def: $vgpr28_vgpr29
	s_and_saveexec_b64 s[34:35], s[2:3]
	s_cbranch_execz .LBB1154_207
; %bb.202:
	v_mov_b32_e32 v29, s33
	v_add_co_u32_e32 v1, vcc, s7, v58
	v_addc_co_u32_e32 v30, vcc, 0, v29, vcc
	v_mov_b32_e32 v28, 0
	v_or_b32_e32 v29, s39, v30
	v_cmp_ne_u64_e32 vcc, 0, v[28:29]
                                        ; implicit-def: $vgpr28_vgpr29
	s_and_saveexec_b64 s[0:1], vcc
	s_xor_b64 s[62:63], exec, s[0:1]
	s_cbranch_execz .LBB1154_204
; %bb.203:
	s_ashr_i32 s68, s39, 31
	s_add_u32 s0, s38, s68
	s_mov_b32 s69, s68
	s_addc_u32 s1, s39, s68
	s_xor_b64 s[70:71], s[0:1], s[68:69]
	v_cvt_f32_u32_e32 v28, s70
	v_cvt_f32_u32_e32 v29, s71
	s_sub_u32 s0, 0, s70
	s_subb_u32 s1, 0, s71
	v_madmk_f32 v28, v29, 0x4f800000, v28
	v_rcp_f32_e32 v28, v28
	v_mul_f32_e32 v28, 0x5f7ffffc, v28
	v_mul_f32_e32 v29, 0x2f800000, v28
	v_trunc_f32_e32 v29, v29
	v_madmk_f32 v28, v29, 0xcf800000, v28
	v_cvt_u32_f32_e32 v29, v29
	v_cvt_u32_f32_e32 v28, v28
	v_mul_lo_u32 v31, s0, v29
	v_mul_hi_u32 v33, s0, v28
	v_mul_lo_u32 v32, s1, v28
	v_add_u32_e32 v31, v33, v31
	v_mul_lo_u32 v35, s0, v28
	v_add_u32_e32 v31, v31, v32
	v_mul_lo_u32 v33, v28, v31
	v_mul_hi_u32 v37, v28, v35
	v_mul_hi_u32 v32, v28, v31
	v_add_co_u32_e32 v33, vcc, v37, v33
	v_addc_co_u32_e32 v32, vcc, 0, v32, vcc
	v_mul_hi_u32 v39, v29, v35
	v_mul_lo_u32 v35, v29, v35
	v_add_co_u32_e32 v33, vcc, v33, v35
	v_mul_hi_u32 v37, v29, v31
	v_addc_co_u32_e32 v32, vcc, v32, v39, vcc
	v_addc_co_u32_e32 v33, vcc, 0, v37, vcc
	v_mul_lo_u32 v31, v29, v31
	v_add_co_u32_e32 v31, vcc, v32, v31
	v_addc_co_u32_e32 v32, vcc, 0, v33, vcc
	v_add_co_u32_e32 v28, vcc, v28, v31
	v_addc_co_u32_e32 v29, vcc, v29, v32, vcc
	v_mul_lo_u32 v31, s0, v29
	v_mul_hi_u32 v32, s0, v28
	v_add_u32_e32 v31, v32, v31
	v_mul_lo_u32 v32, s1, v28
	v_add_u32_e32 v31, v31, v32
	v_mul_lo_u32 v33, s0, v28
	v_mul_hi_u32 v35, v29, v33
	v_mul_lo_u32 v37, v29, v33
	v_mul_lo_u32 v41, v28, v31
	v_mul_hi_u32 v33, v28, v33
	v_mul_hi_u32 v39, v28, v31
	v_add_co_u32_e32 v33, vcc, v33, v41
	v_addc_co_u32_e32 v39, vcc, 0, v39, vcc
	v_add_co_u32_e32 v33, vcc, v33, v37
	v_mul_hi_u32 v32, v29, v31
	v_addc_co_u32_e32 v33, vcc, v39, v35, vcc
	v_addc_co_u32_e32 v32, vcc, 0, v32, vcc
	v_mul_lo_u32 v31, v29, v31
	v_add_co_u32_e32 v31, vcc, v33, v31
	v_addc_co_u32_e32 v32, vcc, 0, v32, vcc
	v_add_co_u32_e32 v31, vcc, v28, v31
	v_addc_co_u32_e32 v32, vcc, v29, v32, vcc
	v_ashrrev_i32_e32 v33, 31, v30
	v_add_co_u32_e32 v1, vcc, v1, v33
	v_addc_co_u32_e32 v28, vcc, v30, v33, vcc
	v_xor_b32_e32 v1, v1, v33
	v_xor_b32_e32 v35, v28, v33
	v_mad_u64_u32 v[28:29], s[0:1], v1, v32, 0
	v_mul_hi_u32 v30, v1, v31
	v_add_co_u32_e32 v37, vcc, v30, v28
	v_addc_co_u32_e32 v39, vcc, 0, v29, vcc
	v_mad_u64_u32 v[30:31], s[0:1], v35, v31, 0
	v_add_co_u32_e32 v30, vcc, v37, v30
	v_mad_u64_u32 v[28:29], s[0:1], v35, v32, 0
	v_addc_co_u32_e32 v30, vcc, v39, v31, vcc
	v_addc_co_u32_e32 v29, vcc, 0, v29, vcc
	v_add_co_u32_e32 v30, vcc, v30, v28
	v_addc_co_u32_e32 v31, vcc, 0, v29, vcc
	v_mul_lo_u32 v32, s71, v30
	v_mul_lo_u32 v37, s70, v31
	v_mad_u64_u32 v[28:29], s[0:1], s70, v30, 0
	v_add3_u32 v29, v29, v37, v32
	v_sub_u32_e32 v32, v35, v29
	v_mov_b32_e32 v37, s71
	v_sub_co_u32_e32 v1, vcc, v1, v28
	v_subb_co_u32_e64 v28, s[0:1], v32, v37, vcc
	v_subrev_co_u32_e64 v32, s[0:1], s70, v1
	v_subbrev_co_u32_e64 v28, s[0:1], 0, v28, s[0:1]
	v_cmp_le_u32_e64 s[0:1], s71, v28
	v_cndmask_b32_e64 v37, 0, -1, s[0:1]
	v_cmp_le_u32_e64 s[0:1], s70, v32
	v_cndmask_b32_e64 v32, 0, -1, s[0:1]
	v_cmp_eq_u32_e64 s[0:1], s71, v28
	v_cndmask_b32_e64 v28, v37, v32, s[0:1]
	v_add_co_u32_e64 v32, s[0:1], 2, v30
	v_subb_co_u32_e32 v29, vcc, v35, v29, vcc
	v_addc_co_u32_e64 v37, s[0:1], 0, v31, s[0:1]
	v_cmp_le_u32_e32 vcc, s71, v29
	v_add_co_u32_e64 v39, s[0:1], 1, v30
	v_cndmask_b32_e64 v35, 0, -1, vcc
	v_cmp_le_u32_e32 vcc, s70, v1
	v_addc_co_u32_e64 v41, s[0:1], 0, v31, s[0:1]
	v_cndmask_b32_e64 v1, 0, -1, vcc
	v_cmp_eq_u32_e32 vcc, s71, v29
	v_cmp_ne_u32_e64 s[0:1], 0, v28
	v_cndmask_b32_e32 v1, v35, v1, vcc
	v_cndmask_b32_e64 v28, v41, v37, s[0:1]
	v_cmp_ne_u32_e32 vcc, 0, v1
	v_cndmask_b32_e32 v1, v31, v28, vcc
	v_cndmask_b32_e64 v28, v39, v32, s[0:1]
	v_cndmask_b32_e32 v28, v30, v28, vcc
	v_xor_b32_e32 v29, s68, v33
	v_xor_b32_e32 v28, v28, v29
	;; [unrolled: 1-line block ×3, first 2 shown]
	v_sub_co_u32_e32 v28, vcc, v28, v29
	v_subb_co_u32_e32 v29, vcc, v1, v29, vcc
                                        ; implicit-def: $vgpr1
.LBB1154_204:
	s_andn2_saveexec_b64 s[0:1], s[62:63]
	s_cbranch_execz .LBB1154_206
; %bb.205:
	v_cvt_f32_u32_e32 v28, s38
	s_sub_i32 s62, 0, s38
	v_rcp_iflag_f32_e32 v28, v28
	v_mul_f32_e32 v28, 0x4f7ffffe, v28
	v_cvt_u32_f32_e32 v28, v28
	v_mul_lo_u32 v29, s62, v28
	v_mul_hi_u32 v29, v28, v29
	v_add_u32_e32 v28, v28, v29
	v_mul_hi_u32 v28, v1, v28
	v_mul_lo_u32 v29, v28, s38
	v_sub_u32_e32 v1, v1, v29
	v_add_u32_e32 v30, 1, v28
	v_subrev_u32_e32 v29, s38, v1
	v_cmp_le_u32_e32 vcc, s38, v1
	v_cndmask_b32_e32 v1, v1, v29, vcc
	v_cndmask_b32_e32 v28, v28, v30, vcc
	v_add_u32_e32 v29, 1, v28
	v_cmp_le_u32_e32 vcc, s38, v1
	v_cndmask_b32_e32 v28, v28, v29, vcc
	v_mov_b32_e32 v29, 0
.LBB1154_206:
	s_or_b64 exec, exec, s[0:1]
.LBB1154_207:
	s_or_b64 exec, exec, s[34:35]
	v_or_b32_e32 v60, 0xe00, v0
	v_cmp_gt_u32_e64 s[0:1], s76, v60
                                        ; implicit-def: $vgpr30_vgpr31
	s_and_saveexec_b64 s[62:63], s[0:1]
	s_cbranch_execz .LBB1154_213
; %bb.208:
	v_mov_b32_e32 v31, s33
	v_add_co_u32_e32 v1, vcc, s7, v60
	v_addc_co_u32_e32 v32, vcc, 0, v31, vcc
	v_mov_b32_e32 v30, 0
	v_or_b32_e32 v31, s39, v32
	v_cmp_ne_u64_e32 vcc, 0, v[30:31]
                                        ; implicit-def: $vgpr30_vgpr31
	s_and_saveexec_b64 s[34:35], vcc
	s_xor_b64 s[68:69], exec, s[34:35]
	s_cbranch_execz .LBB1154_210
; %bb.209:
	s_ashr_i32 s70, s39, 31
	s_add_u32 s34, s38, s70
	s_mov_b32 s71, s70
	s_addc_u32 s35, s39, s70
	s_xor_b64 s[72:73], s[34:35], s[70:71]
	v_cvt_f32_u32_e32 v30, s72
	v_cvt_f32_u32_e32 v31, s73
	s_sub_u32 s34, 0, s72
	s_subb_u32 s35, 0, s73
	v_madmk_f32 v30, v31, 0x4f800000, v30
	v_rcp_f32_e32 v30, v30
	v_mul_f32_e32 v30, 0x5f7ffffc, v30
	v_mul_f32_e32 v31, 0x2f800000, v30
	v_trunc_f32_e32 v31, v31
	v_madmk_f32 v30, v31, 0xcf800000, v30
	v_cvt_u32_f32_e32 v31, v31
	v_cvt_u32_f32_e32 v30, v30
	v_mul_lo_u32 v33, s34, v31
	v_mul_hi_u32 v37, s34, v30
	v_mul_lo_u32 v35, s35, v30
	v_add_u32_e32 v33, v37, v33
	v_mul_lo_u32 v39, s34, v30
	v_add_u32_e32 v33, v33, v35
	v_mul_lo_u32 v37, v30, v33
	v_mul_hi_u32 v41, v30, v39
	v_mul_hi_u32 v35, v30, v33
	v_add_co_u32_e32 v37, vcc, v41, v37
	v_addc_co_u32_e32 v35, vcc, 0, v35, vcc
	v_mul_hi_u32 v43, v31, v39
	v_mul_lo_u32 v39, v31, v39
	v_add_co_u32_e32 v37, vcc, v37, v39
	v_mul_hi_u32 v41, v31, v33
	v_addc_co_u32_e32 v35, vcc, v35, v43, vcc
	v_addc_co_u32_e32 v37, vcc, 0, v41, vcc
	v_mul_lo_u32 v33, v31, v33
	v_add_co_u32_e32 v33, vcc, v35, v33
	v_addc_co_u32_e32 v35, vcc, 0, v37, vcc
	v_add_co_u32_e32 v30, vcc, v30, v33
	v_addc_co_u32_e32 v31, vcc, v31, v35, vcc
	v_mul_lo_u32 v33, s34, v31
	v_mul_hi_u32 v35, s34, v30
	v_add_u32_e32 v33, v35, v33
	v_mul_lo_u32 v35, s35, v30
	v_add_u32_e32 v33, v33, v35
	v_mul_lo_u32 v37, s34, v30
	v_mul_hi_u32 v39, v31, v37
	v_mul_lo_u32 v41, v31, v37
	v_mul_lo_u32 v45, v30, v33
	v_mul_hi_u32 v37, v30, v37
	v_mul_hi_u32 v43, v30, v33
	v_add_co_u32_e32 v37, vcc, v37, v45
	v_addc_co_u32_e32 v43, vcc, 0, v43, vcc
	v_add_co_u32_e32 v37, vcc, v37, v41
	v_mul_hi_u32 v35, v31, v33
	v_addc_co_u32_e32 v37, vcc, v43, v39, vcc
	v_addc_co_u32_e32 v35, vcc, 0, v35, vcc
	v_mul_lo_u32 v33, v31, v33
	v_add_co_u32_e32 v33, vcc, v37, v33
	v_addc_co_u32_e32 v35, vcc, 0, v35, vcc
	v_add_co_u32_e32 v33, vcc, v30, v33
	v_addc_co_u32_e32 v35, vcc, v31, v35, vcc
	v_ashrrev_i32_e32 v37, 31, v32
	v_add_co_u32_e32 v1, vcc, v1, v37
	v_addc_co_u32_e32 v30, vcc, v32, v37, vcc
	v_xor_b32_e32 v1, v1, v37
	v_xor_b32_e32 v39, v30, v37
	v_mad_u64_u32 v[30:31], s[34:35], v1, v35, 0
	v_mul_hi_u32 v32, v1, v33
	v_add_co_u32_e32 v41, vcc, v32, v30
	v_addc_co_u32_e32 v43, vcc, 0, v31, vcc
	v_mad_u64_u32 v[32:33], s[34:35], v39, v33, 0
	v_add_co_u32_e32 v32, vcc, v41, v32
	v_mad_u64_u32 v[30:31], s[34:35], v39, v35, 0
	v_addc_co_u32_e32 v32, vcc, v43, v33, vcc
	v_addc_co_u32_e32 v31, vcc, 0, v31, vcc
	v_add_co_u32_e32 v32, vcc, v32, v30
	v_addc_co_u32_e32 v33, vcc, 0, v31, vcc
	v_mul_lo_u32 v35, s73, v32
	v_mul_lo_u32 v41, s72, v33
	v_mad_u64_u32 v[30:31], s[34:35], s72, v32, 0
	v_add3_u32 v31, v31, v41, v35
	v_sub_u32_e32 v35, v39, v31
	v_mov_b32_e32 v41, s73
	v_sub_co_u32_e32 v1, vcc, v1, v30
	v_subb_co_u32_e64 v30, s[34:35], v35, v41, vcc
	v_subrev_co_u32_e64 v35, s[34:35], s72, v1
	v_subbrev_co_u32_e64 v30, s[34:35], 0, v30, s[34:35]
	v_cmp_le_u32_e64 s[34:35], s73, v30
	v_cndmask_b32_e64 v41, 0, -1, s[34:35]
	v_cmp_le_u32_e64 s[34:35], s72, v35
	v_cndmask_b32_e64 v35, 0, -1, s[34:35]
	v_cmp_eq_u32_e64 s[34:35], s73, v30
	v_cndmask_b32_e64 v30, v41, v35, s[34:35]
	v_add_co_u32_e64 v35, s[34:35], 2, v32
	v_subb_co_u32_e32 v31, vcc, v39, v31, vcc
	v_addc_co_u32_e64 v41, s[34:35], 0, v33, s[34:35]
	v_cmp_le_u32_e32 vcc, s73, v31
	v_add_co_u32_e64 v43, s[34:35], 1, v32
	v_cndmask_b32_e64 v39, 0, -1, vcc
	v_cmp_le_u32_e32 vcc, s72, v1
	v_addc_co_u32_e64 v45, s[34:35], 0, v33, s[34:35]
	v_cndmask_b32_e64 v1, 0, -1, vcc
	v_cmp_eq_u32_e32 vcc, s73, v31
	v_cmp_ne_u32_e64 s[34:35], 0, v30
	v_cndmask_b32_e32 v1, v39, v1, vcc
	v_cndmask_b32_e64 v30, v45, v41, s[34:35]
	v_cmp_ne_u32_e32 vcc, 0, v1
	v_cndmask_b32_e32 v1, v33, v30, vcc
	v_cndmask_b32_e64 v30, v43, v35, s[34:35]
	v_cndmask_b32_e32 v30, v32, v30, vcc
	v_xor_b32_e32 v31, s70, v37
	v_xor_b32_e32 v30, v30, v31
	;; [unrolled: 1-line block ×3, first 2 shown]
	v_sub_co_u32_e32 v30, vcc, v30, v31
	v_subb_co_u32_e32 v31, vcc, v1, v31, vcc
                                        ; implicit-def: $vgpr1
.LBB1154_210:
	s_andn2_saveexec_b64 s[34:35], s[68:69]
	s_cbranch_execz .LBB1154_212
; %bb.211:
	v_cvt_f32_u32_e32 v30, s38
	s_sub_i32 s68, 0, s38
	v_rcp_iflag_f32_e32 v30, v30
	v_mul_f32_e32 v30, 0x4f7ffffe, v30
	v_cvt_u32_f32_e32 v30, v30
	v_mul_lo_u32 v31, s68, v30
	v_mul_hi_u32 v31, v30, v31
	v_add_u32_e32 v30, v30, v31
	v_mul_hi_u32 v30, v1, v30
	v_mul_lo_u32 v31, v30, s38
	v_sub_u32_e32 v1, v1, v31
	v_add_u32_e32 v32, 1, v30
	v_subrev_u32_e32 v31, s38, v1
	v_cmp_le_u32_e32 vcc, s38, v1
	v_cndmask_b32_e32 v1, v1, v31, vcc
	v_cndmask_b32_e32 v30, v30, v32, vcc
	v_add_u32_e32 v31, 1, v30
	v_cmp_le_u32_e32 vcc, s38, v1
	v_cndmask_b32_e32 v30, v30, v31, vcc
	v_mov_b32_e32 v31, 0
.LBB1154_212:
	s_or_b64 exec, exec, s[34:35]
.LBB1154_213:
	s_or_b64 exec, exec, s[62:63]
	v_lshlrev_b32_e32 v1, 3, v0
	s_movk_i32 s34, 0x70
	v_mad_u32_u24 v76, v0, s34, v1
	ds_write2st64_b64 v1, v[2:3], v[4:5] offset1:4
	ds_write2st64_b64 v1, v[6:7], v[8:9] offset0:8 offset1:12
	ds_write2st64_b64 v1, v[10:11], v[12:13] offset0:16 offset1:20
	;; [unrolled: 1-line block ×6, first 2 shown]
	ds_write_b64 v1, v[30:31] offset:28672
	s_waitcnt lgkmcnt(0)
	s_barrier
	ds_read2_b64 v[26:29], v76 offset1:1
	ds_read2_b64 v[22:25], v76 offset0:2 offset1:3
	ds_read2_b64 v[18:21], v76 offset0:4 offset1:5
	;; [unrolled: 1-line block ×6, first 2 shown]
	ds_read_b64 v[74:75], v76 offset:112
	s_waitcnt lgkmcnt(0)
	s_barrier
	s_waitcnt lgkmcnt(0)
                                        ; implicit-def: $vgpr30_vgpr31
	s_and_saveexec_b64 s[34:35], s[28:29]
	s_cbranch_execnz .LBB1154_228
; %bb.214:
	s_or_b64 exec, exec, s[34:35]
                                        ; implicit-def: $vgpr32_vgpr33
	s_and_saveexec_b64 s[28:29], s[26:27]
	s_cbranch_execnz .LBB1154_233
.LBB1154_215:
	s_or_b64 exec, exec, s[28:29]
                                        ; implicit-def: $vgpr34_vgpr35
	s_and_saveexec_b64 s[26:27], s[24:25]
	s_cbranch_execnz .LBB1154_238
.LBB1154_216:
	s_or_b64 exec, exec, s[26:27]
                                        ; implicit-def: $vgpr36_vgpr37
	s_and_saveexec_b64 s[24:25], s[22:23]
	s_cbranch_execnz .LBB1154_243
.LBB1154_217:
	s_or_b64 exec, exec, s[24:25]
                                        ; implicit-def: $vgpr38_vgpr39
	s_and_saveexec_b64 s[22:23], s[20:21]
	s_cbranch_execnz .LBB1154_248
.LBB1154_218:
	s_or_b64 exec, exec, s[22:23]
                                        ; implicit-def: $vgpr40_vgpr41
	s_and_saveexec_b64 s[20:21], s[18:19]
	s_cbranch_execnz .LBB1154_253
.LBB1154_219:
	s_or_b64 exec, exec, s[20:21]
                                        ; implicit-def: $vgpr42_vgpr43
	s_and_saveexec_b64 s[18:19], s[16:17]
	s_cbranch_execnz .LBB1154_258
.LBB1154_220:
	s_or_b64 exec, exec, s[18:19]
                                        ; implicit-def: $vgpr44_vgpr45
	s_and_saveexec_b64 s[16:17], s[14:15]
	s_cbranch_execnz .LBB1154_263
.LBB1154_221:
	s_or_b64 exec, exec, s[16:17]
                                        ; implicit-def: $vgpr46_vgpr47
	s_and_saveexec_b64 s[14:15], s[12:13]
	s_cbranch_execnz .LBB1154_268
.LBB1154_222:
	s_or_b64 exec, exec, s[14:15]
                                        ; implicit-def: $vgpr48_vgpr49
	s_and_saveexec_b64 s[12:13], s[10:11]
	s_cbranch_execnz .LBB1154_273
.LBB1154_223:
	s_or_b64 exec, exec, s[12:13]
                                        ; implicit-def: $vgpr50_vgpr51
	s_and_saveexec_b64 s[10:11], s[8:9]
	s_cbranch_execnz .LBB1154_278
.LBB1154_224:
	s_or_b64 exec, exec, s[10:11]
                                        ; implicit-def: $vgpr52_vgpr53
	s_and_saveexec_b64 s[10:11], s[30:31]
	s_cbranch_execnz .LBB1154_283
.LBB1154_225:
	s_or_b64 exec, exec, s[10:11]
                                        ; implicit-def: $vgpr54_vgpr55
	s_and_saveexec_b64 s[8:9], s[4:5]
	s_cbranch_execnz .LBB1154_288
.LBB1154_226:
	s_or_b64 exec, exec, s[8:9]
                                        ; implicit-def: $vgpr56_vgpr57
	s_and_saveexec_b64 s[4:5], s[2:3]
	s_cbranch_execnz .LBB1154_293
.LBB1154_227:
	s_or_b64 exec, exec, s[4:5]
                                        ; implicit-def: $vgpr58_vgpr59
	s_and_saveexec_b64 s[2:3], s[0:1]
	s_cbranch_execnz .LBB1154_298
	s_branch .LBB1154_303
.LBB1154_228:
	v_mov_b32_e32 v31, s75
	v_add_co_u32_e32 v32, vcc, s74, v0
	v_addc_co_u32_e32 v33, vcc, 0, v31, vcc
	v_mov_b32_e32 v30, 0
	v_or_b32_e32 v31, s45, v33
	v_cmp_ne_u64_e32 vcc, 0, v[30:31]
                                        ; implicit-def: $vgpr30_vgpr31
	s_and_saveexec_b64 s[28:29], vcc
	s_xor_b64 s[62:63], exec, s[28:29]
	s_cbranch_execz .LBB1154_230
; %bb.229:
	s_ashr_i32 s68, s45, 31
	s_add_u32 s28, s44, s68
	s_mov_b32 s69, s68
	s_addc_u32 s29, s45, s68
	s_xor_b64 s[70:71], s[28:29], s[68:69]
	v_cvt_f32_u32_e32 v30, s70
	v_cvt_f32_u32_e32 v31, s71
	s_sub_u32 s28, 0, s70
	s_subb_u32 s29, 0, s71
	v_madmk_f32 v30, v31, 0x4f800000, v30
	v_rcp_f32_e32 v30, v30
	v_mul_f32_e32 v30, 0x5f7ffffc, v30
	v_mul_f32_e32 v31, 0x2f800000, v30
	v_trunc_f32_e32 v31, v31
	v_madmk_f32 v30, v31, 0xcf800000, v30
	v_cvt_u32_f32_e32 v31, v31
	v_cvt_u32_f32_e32 v30, v30
	v_mul_lo_u32 v35, s28, v31
	v_mul_hi_u32 v39, s28, v30
	v_mul_lo_u32 v37, s29, v30
	v_add_u32_e32 v35, v39, v35
	v_mul_lo_u32 v41, s28, v30
	v_add_u32_e32 v35, v35, v37
	v_mul_lo_u32 v39, v30, v35
	v_mul_hi_u32 v43, v30, v41
	v_mul_hi_u32 v37, v30, v35
	v_add_co_u32_e32 v39, vcc, v43, v39
	v_addc_co_u32_e32 v37, vcc, 0, v37, vcc
	v_mul_hi_u32 v45, v31, v41
	v_mul_lo_u32 v41, v31, v41
	v_add_co_u32_e32 v39, vcc, v39, v41
	v_mul_hi_u32 v43, v31, v35
	v_addc_co_u32_e32 v37, vcc, v37, v45, vcc
	v_addc_co_u32_e32 v39, vcc, 0, v43, vcc
	v_mul_lo_u32 v35, v31, v35
	v_add_co_u32_e32 v35, vcc, v37, v35
	v_addc_co_u32_e32 v37, vcc, 0, v39, vcc
	v_add_co_u32_e32 v30, vcc, v30, v35
	v_addc_co_u32_e32 v31, vcc, v31, v37, vcc
	v_mul_lo_u32 v35, s28, v31
	v_mul_hi_u32 v37, s28, v30
	v_add_u32_e32 v35, v37, v35
	v_mul_lo_u32 v37, s29, v30
	v_add_u32_e32 v35, v35, v37
	v_mul_lo_u32 v39, s28, v30
	v_mul_hi_u32 v41, v31, v39
	v_mul_lo_u32 v43, v31, v39
	v_mul_lo_u32 v47, v30, v35
	v_mul_hi_u32 v39, v30, v39
	v_mul_hi_u32 v45, v30, v35
	v_add_co_u32_e32 v39, vcc, v39, v47
	v_addc_co_u32_e32 v45, vcc, 0, v45, vcc
	v_add_co_u32_e32 v39, vcc, v39, v43
	v_mul_hi_u32 v37, v31, v35
	v_addc_co_u32_e32 v39, vcc, v45, v41, vcc
	v_addc_co_u32_e32 v37, vcc, 0, v37, vcc
	v_mul_lo_u32 v35, v31, v35
	v_add_co_u32_e32 v35, vcc, v39, v35
	v_addc_co_u32_e32 v37, vcc, 0, v37, vcc
	v_add_co_u32_e32 v35, vcc, v30, v35
	v_addc_co_u32_e32 v37, vcc, v31, v37, vcc
	v_ashrrev_i32_e32 v39, 31, v33
	v_add_co_u32_e32 v30, vcc, v32, v39
	v_addc_co_u32_e32 v31, vcc, v33, v39, vcc
	v_xor_b32_e32 v43, v30, v39
	v_xor_b32_e32 v41, v31, v39
	v_mad_u64_u32 v[30:31], s[28:29], v43, v37, 0
	v_mul_hi_u32 v45, v43, v35
	v_add_co_u32_e32 v45, vcc, v45, v30
	v_addc_co_u32_e32 v47, vcc, 0, v31, vcc
	v_mad_u64_u32 v[62:63], s[28:29], v41, v35, 0
	v_add_co_u32_e32 v35, vcc, v45, v62
	v_mad_u64_u32 v[30:31], s[28:29], v41, v37, 0
	v_addc_co_u32_e32 v35, vcc, v47, v63, vcc
	v_addc_co_u32_e32 v31, vcc, 0, v31, vcc
	v_add_co_u32_e32 v35, vcc, v35, v30
	v_addc_co_u32_e32 v37, vcc, 0, v31, vcc
	v_mul_lo_u32 v45, s71, v35
	v_mul_lo_u32 v47, s70, v37
	v_mad_u64_u32 v[30:31], s[28:29], s70, v35, 0
	v_add3_u32 v31, v31, v47, v45
	v_sub_u32_e32 v45, v41, v31
	v_mov_b32_e32 v47, s71
	v_sub_co_u32_e32 v30, vcc, v43, v30
	v_subb_co_u32_e64 v43, s[28:29], v45, v47, vcc
	v_subrev_co_u32_e64 v45, s[28:29], s70, v30
	v_subbrev_co_u32_e64 v43, s[28:29], 0, v43, s[28:29]
	v_cmp_le_u32_e64 s[28:29], s71, v43
	v_cndmask_b32_e64 v47, 0, -1, s[28:29]
	v_cmp_le_u32_e64 s[28:29], s70, v45
	v_cndmask_b32_e64 v45, 0, -1, s[28:29]
	v_cmp_eq_u32_e64 s[28:29], s71, v43
	v_cndmask_b32_e64 v43, v47, v45, s[28:29]
	v_add_co_u32_e64 v45, s[28:29], 2, v35
	v_subb_co_u32_e32 v31, vcc, v41, v31, vcc
	v_addc_co_u32_e64 v47, s[28:29], 0, v37, s[28:29]
	v_cmp_le_u32_e32 vcc, s71, v31
	v_add_co_u32_e64 v49, s[28:29], 1, v35
	v_cndmask_b32_e64 v41, 0, -1, vcc
	v_cmp_le_u32_e32 vcc, s70, v30
	v_addc_co_u32_e64 v51, s[28:29], 0, v37, s[28:29]
	v_cndmask_b32_e64 v30, 0, -1, vcc
	v_cmp_eq_u32_e32 vcc, s71, v31
	v_cmp_ne_u32_e64 s[28:29], 0, v43
	v_cndmask_b32_e32 v30, v41, v30, vcc
	v_cndmask_b32_e64 v43, v51, v47, s[28:29]
	v_cmp_ne_u32_e32 vcc, 0, v30
	v_cndmask_b32_e64 v31, v49, v45, s[28:29]
	v_cndmask_b32_e32 v30, v37, v43, vcc
	v_cndmask_b32_e32 v31, v35, v31, vcc
	v_xor_b32_e32 v35, s68, v39
	v_xor_b32_e32 v37, v30, v35
	;; [unrolled: 1-line block ×3, first 2 shown]
	v_sub_co_u32_e32 v30, vcc, v30, v35
	v_subb_co_u32_e32 v31, vcc, v37, v35, vcc
.LBB1154_230:
	s_andn2_saveexec_b64 s[28:29], s[62:63]
	s_cbranch_execz .LBB1154_232
; %bb.231:
	v_cvt_f32_u32_e32 v30, s44
	s_sub_i32 s62, 0, s44
	v_rcp_iflag_f32_e32 v30, v30
	v_mul_f32_e32 v30, 0x4f7ffffe, v30
	v_cvt_u32_f32_e32 v30, v30
	v_mul_lo_u32 v31, s62, v30
	v_mul_hi_u32 v31, v30, v31
	v_add_u32_e32 v30, v30, v31
	v_mul_hi_u32 v30, v32, v30
	v_mul_lo_u32 v31, v30, s44
	v_sub_u32_e32 v31, v32, v31
	v_add_u32_e32 v35, 1, v30
	v_subrev_u32_e32 v37, s44, v31
	v_cmp_le_u32_e32 vcc, s44, v31
	v_cndmask_b32_e32 v31, v31, v37, vcc
	v_cndmask_b32_e32 v30, v30, v35, vcc
	v_add_u32_e32 v35, 1, v30
	v_cmp_le_u32_e32 vcc, s44, v31
	v_cndmask_b32_e32 v30, v30, v35, vcc
	v_mov_b32_e32 v31, 0
.LBB1154_232:
	s_or_b64 exec, exec, s[28:29]
	v_mul_lo_u32 v35, v31, s44
	v_mul_lo_u32 v37, v30, s45
	v_mad_u64_u32 v[62:63], s[28:29], v30, s44, 0
	v_add3_u32 v35, v63, v37, v35
	v_sub_co_u32_e32 v32, vcc, v32, v62
	v_subb_co_u32_e32 v33, vcc, v33, v35, vcc
	v_add_co_u32_e32 v30, vcc, v30, v32
	v_addc_co_u32_e32 v31, vcc, v31, v33, vcc
	s_or_b64 exec, exec, s[34:35]
                                        ; implicit-def: $vgpr32_vgpr33
	s_and_saveexec_b64 s[28:29], s[26:27]
	s_cbranch_execz .LBB1154_215
.LBB1154_233:
	v_mov_b32_e32 v33, s75
	v_add_co_u32_e32 v34, vcc, s74, v34
	v_addc_co_u32_e32 v35, vcc, 0, v33, vcc
	v_mov_b32_e32 v32, 0
	v_or_b32_e32 v33, s45, v35
	v_cmp_ne_u64_e32 vcc, 0, v[32:33]
                                        ; implicit-def: $vgpr32_vgpr33
	s_and_saveexec_b64 s[26:27], vcc
	s_xor_b64 s[34:35], exec, s[26:27]
	s_cbranch_execz .LBB1154_235
; %bb.234:
	s_ashr_i32 s62, s45, 31
	s_add_u32 s26, s44, s62
	s_mov_b32 s63, s62
	s_addc_u32 s27, s45, s62
	s_xor_b64 s[68:69], s[26:27], s[62:63]
	v_cvt_f32_u32_e32 v32, s68
	v_cvt_f32_u32_e32 v33, s69
	s_sub_u32 s26, 0, s68
	s_subb_u32 s27, 0, s69
	v_madmk_f32 v32, v33, 0x4f800000, v32
	v_rcp_f32_e32 v32, v32
	v_mul_f32_e32 v32, 0x5f7ffffc, v32
	v_mul_f32_e32 v33, 0x2f800000, v32
	v_trunc_f32_e32 v33, v33
	v_madmk_f32 v32, v33, 0xcf800000, v32
	v_cvt_u32_f32_e32 v33, v33
	v_cvt_u32_f32_e32 v32, v32
	v_mul_lo_u32 v37, s26, v33
	v_mul_hi_u32 v41, s26, v32
	v_mul_lo_u32 v39, s27, v32
	v_add_u32_e32 v37, v41, v37
	v_mul_lo_u32 v43, s26, v32
	v_add_u32_e32 v37, v37, v39
	v_mul_lo_u32 v41, v32, v37
	v_mul_hi_u32 v45, v32, v43
	v_mul_hi_u32 v39, v32, v37
	v_add_co_u32_e32 v41, vcc, v45, v41
	v_addc_co_u32_e32 v39, vcc, 0, v39, vcc
	v_mul_hi_u32 v47, v33, v43
	v_mul_lo_u32 v43, v33, v43
	v_add_co_u32_e32 v41, vcc, v41, v43
	v_mul_hi_u32 v45, v33, v37
	v_addc_co_u32_e32 v39, vcc, v39, v47, vcc
	v_addc_co_u32_e32 v41, vcc, 0, v45, vcc
	v_mul_lo_u32 v37, v33, v37
	v_add_co_u32_e32 v37, vcc, v39, v37
	v_addc_co_u32_e32 v39, vcc, 0, v41, vcc
	v_add_co_u32_e32 v32, vcc, v32, v37
	v_addc_co_u32_e32 v33, vcc, v33, v39, vcc
	v_mul_lo_u32 v37, s26, v33
	v_mul_hi_u32 v39, s26, v32
	v_add_u32_e32 v37, v39, v37
	v_mul_lo_u32 v39, s27, v32
	v_add_u32_e32 v37, v37, v39
	v_mul_lo_u32 v41, s26, v32
	v_mul_hi_u32 v43, v33, v41
	v_mul_lo_u32 v45, v33, v41
	v_mul_lo_u32 v49, v32, v37
	v_mul_hi_u32 v41, v32, v41
	v_mul_hi_u32 v47, v32, v37
	v_add_co_u32_e32 v41, vcc, v41, v49
	v_addc_co_u32_e32 v47, vcc, 0, v47, vcc
	v_add_co_u32_e32 v41, vcc, v41, v45
	v_mul_hi_u32 v39, v33, v37
	v_addc_co_u32_e32 v41, vcc, v47, v43, vcc
	v_addc_co_u32_e32 v39, vcc, 0, v39, vcc
	v_mul_lo_u32 v37, v33, v37
	v_add_co_u32_e32 v37, vcc, v41, v37
	v_addc_co_u32_e32 v39, vcc, 0, v39, vcc
	v_add_co_u32_e32 v37, vcc, v32, v37
	v_addc_co_u32_e32 v39, vcc, v33, v39, vcc
	v_ashrrev_i32_e32 v41, 31, v35
	v_add_co_u32_e32 v32, vcc, v34, v41
	v_addc_co_u32_e32 v33, vcc, v35, v41, vcc
	v_xor_b32_e32 v45, v32, v41
	v_xor_b32_e32 v43, v33, v41
	v_mad_u64_u32 v[32:33], s[26:27], v45, v39, 0
	v_mul_hi_u32 v47, v45, v37
	v_add_co_u32_e32 v47, vcc, v47, v32
	v_addc_co_u32_e32 v49, vcc, 0, v33, vcc
	v_mad_u64_u32 v[62:63], s[26:27], v43, v37, 0
	v_add_co_u32_e32 v37, vcc, v47, v62
	v_mad_u64_u32 v[32:33], s[26:27], v43, v39, 0
	v_addc_co_u32_e32 v37, vcc, v49, v63, vcc
	v_addc_co_u32_e32 v33, vcc, 0, v33, vcc
	v_add_co_u32_e32 v37, vcc, v37, v32
	v_addc_co_u32_e32 v39, vcc, 0, v33, vcc
	v_mul_lo_u32 v47, s69, v37
	v_mul_lo_u32 v49, s68, v39
	v_mad_u64_u32 v[32:33], s[26:27], s68, v37, 0
	v_add3_u32 v33, v33, v49, v47
	v_sub_u32_e32 v47, v43, v33
	v_mov_b32_e32 v49, s69
	v_sub_co_u32_e32 v32, vcc, v45, v32
	v_subb_co_u32_e64 v45, s[26:27], v47, v49, vcc
	v_subrev_co_u32_e64 v47, s[26:27], s68, v32
	v_subbrev_co_u32_e64 v45, s[26:27], 0, v45, s[26:27]
	v_cmp_le_u32_e64 s[26:27], s69, v45
	v_cndmask_b32_e64 v49, 0, -1, s[26:27]
	v_cmp_le_u32_e64 s[26:27], s68, v47
	v_cndmask_b32_e64 v47, 0, -1, s[26:27]
	v_cmp_eq_u32_e64 s[26:27], s69, v45
	v_cndmask_b32_e64 v45, v49, v47, s[26:27]
	v_add_co_u32_e64 v47, s[26:27], 2, v37
	v_subb_co_u32_e32 v33, vcc, v43, v33, vcc
	v_addc_co_u32_e64 v49, s[26:27], 0, v39, s[26:27]
	v_cmp_le_u32_e32 vcc, s69, v33
	v_add_co_u32_e64 v51, s[26:27], 1, v37
	v_cndmask_b32_e64 v43, 0, -1, vcc
	v_cmp_le_u32_e32 vcc, s68, v32
	v_addc_co_u32_e64 v53, s[26:27], 0, v39, s[26:27]
	v_cndmask_b32_e64 v32, 0, -1, vcc
	v_cmp_eq_u32_e32 vcc, s69, v33
	v_cmp_ne_u32_e64 s[26:27], 0, v45
	v_cndmask_b32_e32 v32, v43, v32, vcc
	v_cndmask_b32_e64 v45, v53, v49, s[26:27]
	v_cmp_ne_u32_e32 vcc, 0, v32
	v_cndmask_b32_e64 v33, v51, v47, s[26:27]
	v_cndmask_b32_e32 v32, v39, v45, vcc
	v_cndmask_b32_e32 v33, v37, v33, vcc
	v_xor_b32_e32 v37, s62, v41
	v_xor_b32_e32 v39, v32, v37
	;; [unrolled: 1-line block ×3, first 2 shown]
	v_sub_co_u32_e32 v32, vcc, v32, v37
	v_subb_co_u32_e32 v33, vcc, v39, v37, vcc
.LBB1154_235:
	s_andn2_saveexec_b64 s[26:27], s[34:35]
	s_cbranch_execz .LBB1154_237
; %bb.236:
	v_cvt_f32_u32_e32 v32, s44
	s_sub_i32 s34, 0, s44
	v_rcp_iflag_f32_e32 v32, v32
	v_mul_f32_e32 v32, 0x4f7ffffe, v32
	v_cvt_u32_f32_e32 v32, v32
	v_mul_lo_u32 v33, s34, v32
	v_mul_hi_u32 v33, v32, v33
	v_add_u32_e32 v32, v32, v33
	v_mul_hi_u32 v32, v34, v32
	v_mul_lo_u32 v33, v32, s44
	v_sub_u32_e32 v33, v34, v33
	v_add_u32_e32 v37, 1, v32
	v_subrev_u32_e32 v39, s44, v33
	v_cmp_le_u32_e32 vcc, s44, v33
	v_cndmask_b32_e32 v33, v33, v39, vcc
	v_cndmask_b32_e32 v32, v32, v37, vcc
	v_add_u32_e32 v37, 1, v32
	v_cmp_le_u32_e32 vcc, s44, v33
	v_cndmask_b32_e32 v32, v32, v37, vcc
	v_mov_b32_e32 v33, 0
.LBB1154_237:
	s_or_b64 exec, exec, s[26:27]
	v_mul_lo_u32 v37, v33, s44
	v_mul_lo_u32 v39, v32, s45
	v_mad_u64_u32 v[62:63], s[26:27], v32, s44, 0
	v_add3_u32 v37, v63, v39, v37
	v_sub_co_u32_e32 v34, vcc, v34, v62
	v_subb_co_u32_e32 v35, vcc, v35, v37, vcc
	v_add_co_u32_e32 v32, vcc, v32, v34
	v_addc_co_u32_e32 v33, vcc, v33, v35, vcc
	s_or_b64 exec, exec, s[28:29]
                                        ; implicit-def: $vgpr34_vgpr35
	s_and_saveexec_b64 s[26:27], s[24:25]
	s_cbranch_execz .LBB1154_216
.LBB1154_238:
	v_mov_b32_e32 v35, s75
	v_add_co_u32_e32 v36, vcc, s74, v36
	v_addc_co_u32_e32 v37, vcc, 0, v35, vcc
	v_mov_b32_e32 v34, 0
	v_or_b32_e32 v35, s45, v37
	v_cmp_ne_u64_e32 vcc, 0, v[34:35]
                                        ; implicit-def: $vgpr34_vgpr35
	s_and_saveexec_b64 s[24:25], vcc
	s_xor_b64 s[28:29], exec, s[24:25]
	s_cbranch_execz .LBB1154_240
; %bb.239:
	s_ashr_i32 s34, s45, 31
	s_add_u32 s24, s44, s34
	s_mov_b32 s35, s34
	s_addc_u32 s25, s45, s34
	s_xor_b64 s[62:63], s[24:25], s[34:35]
	v_cvt_f32_u32_e32 v34, s62
	v_cvt_f32_u32_e32 v35, s63
	s_sub_u32 s24, 0, s62
	s_subb_u32 s25, 0, s63
	v_madmk_f32 v34, v35, 0x4f800000, v34
	v_rcp_f32_e32 v34, v34
	v_mul_f32_e32 v34, 0x5f7ffffc, v34
	v_mul_f32_e32 v35, 0x2f800000, v34
	v_trunc_f32_e32 v35, v35
	v_madmk_f32 v34, v35, 0xcf800000, v34
	v_cvt_u32_f32_e32 v35, v35
	v_cvt_u32_f32_e32 v34, v34
	v_mul_lo_u32 v39, s24, v35
	v_mul_hi_u32 v43, s24, v34
	v_mul_lo_u32 v41, s25, v34
	v_add_u32_e32 v39, v43, v39
	v_mul_lo_u32 v45, s24, v34
	v_add_u32_e32 v39, v39, v41
	v_mul_lo_u32 v43, v34, v39
	v_mul_hi_u32 v47, v34, v45
	v_mul_hi_u32 v41, v34, v39
	v_add_co_u32_e32 v43, vcc, v47, v43
	v_addc_co_u32_e32 v41, vcc, 0, v41, vcc
	v_mul_hi_u32 v49, v35, v45
	v_mul_lo_u32 v45, v35, v45
	v_add_co_u32_e32 v43, vcc, v43, v45
	v_mul_hi_u32 v47, v35, v39
	v_addc_co_u32_e32 v41, vcc, v41, v49, vcc
	v_addc_co_u32_e32 v43, vcc, 0, v47, vcc
	v_mul_lo_u32 v39, v35, v39
	v_add_co_u32_e32 v39, vcc, v41, v39
	v_addc_co_u32_e32 v41, vcc, 0, v43, vcc
	v_add_co_u32_e32 v34, vcc, v34, v39
	v_addc_co_u32_e32 v35, vcc, v35, v41, vcc
	v_mul_lo_u32 v39, s24, v35
	v_mul_hi_u32 v41, s24, v34
	v_add_u32_e32 v39, v41, v39
	v_mul_lo_u32 v41, s25, v34
	v_add_u32_e32 v39, v39, v41
	v_mul_lo_u32 v43, s24, v34
	v_mul_hi_u32 v45, v35, v43
	v_mul_lo_u32 v47, v35, v43
	v_mul_lo_u32 v51, v34, v39
	v_mul_hi_u32 v43, v34, v43
	v_mul_hi_u32 v49, v34, v39
	v_add_co_u32_e32 v43, vcc, v43, v51
	v_addc_co_u32_e32 v49, vcc, 0, v49, vcc
	v_add_co_u32_e32 v43, vcc, v43, v47
	v_mul_hi_u32 v41, v35, v39
	v_addc_co_u32_e32 v43, vcc, v49, v45, vcc
	v_addc_co_u32_e32 v41, vcc, 0, v41, vcc
	v_mul_lo_u32 v39, v35, v39
	v_add_co_u32_e32 v39, vcc, v43, v39
	v_addc_co_u32_e32 v41, vcc, 0, v41, vcc
	v_add_co_u32_e32 v39, vcc, v34, v39
	v_addc_co_u32_e32 v41, vcc, v35, v41, vcc
	v_ashrrev_i32_e32 v43, 31, v37
	v_add_co_u32_e32 v34, vcc, v36, v43
	v_addc_co_u32_e32 v35, vcc, v37, v43, vcc
	v_xor_b32_e32 v47, v34, v43
	v_xor_b32_e32 v45, v35, v43
	v_mad_u64_u32 v[34:35], s[24:25], v47, v41, 0
	v_mul_hi_u32 v49, v47, v39
	v_add_co_u32_e32 v49, vcc, v49, v34
	v_addc_co_u32_e32 v51, vcc, 0, v35, vcc
	v_mad_u64_u32 v[62:63], s[24:25], v45, v39, 0
	v_add_co_u32_e32 v39, vcc, v49, v62
	v_mad_u64_u32 v[34:35], s[24:25], v45, v41, 0
	v_addc_co_u32_e32 v39, vcc, v51, v63, vcc
	v_addc_co_u32_e32 v35, vcc, 0, v35, vcc
	v_add_co_u32_e32 v39, vcc, v39, v34
	v_addc_co_u32_e32 v41, vcc, 0, v35, vcc
	v_mul_lo_u32 v49, s63, v39
	v_mul_lo_u32 v51, s62, v41
	v_mad_u64_u32 v[34:35], s[24:25], s62, v39, 0
	v_add3_u32 v35, v35, v51, v49
	v_sub_u32_e32 v49, v45, v35
	v_mov_b32_e32 v51, s63
	v_sub_co_u32_e32 v34, vcc, v47, v34
	v_subb_co_u32_e64 v47, s[24:25], v49, v51, vcc
	v_subrev_co_u32_e64 v49, s[24:25], s62, v34
	v_subbrev_co_u32_e64 v47, s[24:25], 0, v47, s[24:25]
	v_cmp_le_u32_e64 s[24:25], s63, v47
	v_cndmask_b32_e64 v51, 0, -1, s[24:25]
	v_cmp_le_u32_e64 s[24:25], s62, v49
	v_cndmask_b32_e64 v49, 0, -1, s[24:25]
	v_cmp_eq_u32_e64 s[24:25], s63, v47
	v_cndmask_b32_e64 v47, v51, v49, s[24:25]
	v_add_co_u32_e64 v49, s[24:25], 2, v39
	v_subb_co_u32_e32 v35, vcc, v45, v35, vcc
	v_addc_co_u32_e64 v51, s[24:25], 0, v41, s[24:25]
	v_cmp_le_u32_e32 vcc, s63, v35
	v_add_co_u32_e64 v53, s[24:25], 1, v39
	v_cndmask_b32_e64 v45, 0, -1, vcc
	v_cmp_le_u32_e32 vcc, s62, v34
	v_addc_co_u32_e64 v55, s[24:25], 0, v41, s[24:25]
	v_cndmask_b32_e64 v34, 0, -1, vcc
	v_cmp_eq_u32_e32 vcc, s63, v35
	v_cmp_ne_u32_e64 s[24:25], 0, v47
	v_cndmask_b32_e32 v34, v45, v34, vcc
	v_cndmask_b32_e64 v47, v55, v51, s[24:25]
	v_cmp_ne_u32_e32 vcc, 0, v34
	v_cndmask_b32_e64 v35, v53, v49, s[24:25]
	v_cndmask_b32_e32 v34, v41, v47, vcc
	v_cndmask_b32_e32 v35, v39, v35, vcc
	v_xor_b32_e32 v39, s34, v43
	v_xor_b32_e32 v41, v34, v39
	;; [unrolled: 1-line block ×3, first 2 shown]
	v_sub_co_u32_e32 v34, vcc, v34, v39
	v_subb_co_u32_e32 v35, vcc, v41, v39, vcc
.LBB1154_240:
	s_andn2_saveexec_b64 s[24:25], s[28:29]
	s_cbranch_execz .LBB1154_242
; %bb.241:
	v_cvt_f32_u32_e32 v34, s44
	s_sub_i32 s28, 0, s44
	v_rcp_iflag_f32_e32 v34, v34
	v_mul_f32_e32 v34, 0x4f7ffffe, v34
	v_cvt_u32_f32_e32 v34, v34
	v_mul_lo_u32 v35, s28, v34
	v_mul_hi_u32 v35, v34, v35
	v_add_u32_e32 v34, v34, v35
	v_mul_hi_u32 v34, v36, v34
	v_mul_lo_u32 v35, v34, s44
	v_sub_u32_e32 v35, v36, v35
	v_add_u32_e32 v39, 1, v34
	v_subrev_u32_e32 v41, s44, v35
	v_cmp_le_u32_e32 vcc, s44, v35
	v_cndmask_b32_e32 v35, v35, v41, vcc
	v_cndmask_b32_e32 v34, v34, v39, vcc
	v_add_u32_e32 v39, 1, v34
	v_cmp_le_u32_e32 vcc, s44, v35
	v_cndmask_b32_e32 v34, v34, v39, vcc
	v_mov_b32_e32 v35, 0
.LBB1154_242:
	s_or_b64 exec, exec, s[24:25]
	v_mul_lo_u32 v39, v35, s44
	v_mul_lo_u32 v41, v34, s45
	v_mad_u64_u32 v[62:63], s[24:25], v34, s44, 0
	v_add3_u32 v39, v63, v41, v39
	v_sub_co_u32_e32 v36, vcc, v36, v62
	v_subb_co_u32_e32 v37, vcc, v37, v39, vcc
	v_add_co_u32_e32 v34, vcc, v34, v36
	v_addc_co_u32_e32 v35, vcc, v35, v37, vcc
	s_or_b64 exec, exec, s[26:27]
                                        ; implicit-def: $vgpr36_vgpr37
	s_and_saveexec_b64 s[24:25], s[22:23]
	s_cbranch_execz .LBB1154_217
.LBB1154_243:
	v_mov_b32_e32 v37, s75
	v_add_co_u32_e32 v38, vcc, s74, v38
	v_addc_co_u32_e32 v39, vcc, 0, v37, vcc
	v_mov_b32_e32 v36, 0
	v_or_b32_e32 v37, s45, v39
	v_cmp_ne_u64_e32 vcc, 0, v[36:37]
                                        ; implicit-def: $vgpr36_vgpr37
	s_and_saveexec_b64 s[22:23], vcc
	s_xor_b64 s[26:27], exec, s[22:23]
	s_cbranch_execz .LBB1154_245
; %bb.244:
	s_ashr_i32 s28, s45, 31
	s_add_u32 s22, s44, s28
	s_mov_b32 s29, s28
	s_addc_u32 s23, s45, s28
	s_xor_b64 s[34:35], s[22:23], s[28:29]
	v_cvt_f32_u32_e32 v36, s34
	v_cvt_f32_u32_e32 v37, s35
	s_sub_u32 s22, 0, s34
	s_subb_u32 s23, 0, s35
	v_madmk_f32 v36, v37, 0x4f800000, v36
	v_rcp_f32_e32 v36, v36
	v_mul_f32_e32 v36, 0x5f7ffffc, v36
	v_mul_f32_e32 v37, 0x2f800000, v36
	v_trunc_f32_e32 v37, v37
	v_madmk_f32 v36, v37, 0xcf800000, v36
	v_cvt_u32_f32_e32 v37, v37
	v_cvt_u32_f32_e32 v36, v36
	v_mul_lo_u32 v41, s22, v37
	v_mul_hi_u32 v45, s22, v36
	v_mul_lo_u32 v43, s23, v36
	v_add_u32_e32 v41, v45, v41
	v_mul_lo_u32 v47, s22, v36
	v_add_u32_e32 v41, v41, v43
	v_mul_lo_u32 v45, v36, v41
	v_mul_hi_u32 v49, v36, v47
	v_mul_hi_u32 v43, v36, v41
	v_add_co_u32_e32 v45, vcc, v49, v45
	v_addc_co_u32_e32 v43, vcc, 0, v43, vcc
	v_mul_hi_u32 v51, v37, v47
	v_mul_lo_u32 v47, v37, v47
	v_add_co_u32_e32 v45, vcc, v45, v47
	v_mul_hi_u32 v49, v37, v41
	v_addc_co_u32_e32 v43, vcc, v43, v51, vcc
	v_addc_co_u32_e32 v45, vcc, 0, v49, vcc
	v_mul_lo_u32 v41, v37, v41
	v_add_co_u32_e32 v41, vcc, v43, v41
	v_addc_co_u32_e32 v43, vcc, 0, v45, vcc
	v_add_co_u32_e32 v36, vcc, v36, v41
	v_addc_co_u32_e32 v37, vcc, v37, v43, vcc
	v_mul_lo_u32 v41, s22, v37
	v_mul_hi_u32 v43, s22, v36
	v_add_u32_e32 v41, v43, v41
	v_mul_lo_u32 v43, s23, v36
	v_add_u32_e32 v41, v41, v43
	v_mul_lo_u32 v45, s22, v36
	v_mul_hi_u32 v47, v37, v45
	v_mul_lo_u32 v49, v37, v45
	v_mul_lo_u32 v53, v36, v41
	v_mul_hi_u32 v45, v36, v45
	v_mul_hi_u32 v51, v36, v41
	v_add_co_u32_e32 v45, vcc, v45, v53
	v_addc_co_u32_e32 v51, vcc, 0, v51, vcc
	v_add_co_u32_e32 v45, vcc, v45, v49
	v_mul_hi_u32 v43, v37, v41
	v_addc_co_u32_e32 v45, vcc, v51, v47, vcc
	v_addc_co_u32_e32 v43, vcc, 0, v43, vcc
	v_mul_lo_u32 v41, v37, v41
	v_add_co_u32_e32 v41, vcc, v45, v41
	v_addc_co_u32_e32 v43, vcc, 0, v43, vcc
	v_add_co_u32_e32 v41, vcc, v36, v41
	v_addc_co_u32_e32 v43, vcc, v37, v43, vcc
	v_ashrrev_i32_e32 v45, 31, v39
	v_add_co_u32_e32 v36, vcc, v38, v45
	v_addc_co_u32_e32 v37, vcc, v39, v45, vcc
	v_xor_b32_e32 v49, v36, v45
	v_xor_b32_e32 v47, v37, v45
	v_mad_u64_u32 v[36:37], s[22:23], v49, v43, 0
	v_mul_hi_u32 v51, v49, v41
	v_add_co_u32_e32 v51, vcc, v51, v36
	v_addc_co_u32_e32 v53, vcc, 0, v37, vcc
	v_mad_u64_u32 v[62:63], s[22:23], v47, v41, 0
	v_add_co_u32_e32 v41, vcc, v51, v62
	v_mad_u64_u32 v[36:37], s[22:23], v47, v43, 0
	v_addc_co_u32_e32 v41, vcc, v53, v63, vcc
	v_addc_co_u32_e32 v37, vcc, 0, v37, vcc
	v_add_co_u32_e32 v41, vcc, v41, v36
	v_addc_co_u32_e32 v43, vcc, 0, v37, vcc
	v_mul_lo_u32 v51, s35, v41
	v_mul_lo_u32 v53, s34, v43
	v_mad_u64_u32 v[36:37], s[22:23], s34, v41, 0
	v_add3_u32 v37, v37, v53, v51
	v_sub_u32_e32 v51, v47, v37
	v_mov_b32_e32 v53, s35
	v_sub_co_u32_e32 v36, vcc, v49, v36
	v_subb_co_u32_e64 v49, s[22:23], v51, v53, vcc
	v_subrev_co_u32_e64 v51, s[22:23], s34, v36
	v_subbrev_co_u32_e64 v49, s[22:23], 0, v49, s[22:23]
	v_cmp_le_u32_e64 s[22:23], s35, v49
	v_cndmask_b32_e64 v53, 0, -1, s[22:23]
	v_cmp_le_u32_e64 s[22:23], s34, v51
	v_cndmask_b32_e64 v51, 0, -1, s[22:23]
	v_cmp_eq_u32_e64 s[22:23], s35, v49
	v_cndmask_b32_e64 v49, v53, v51, s[22:23]
	v_add_co_u32_e64 v51, s[22:23], 2, v41
	v_subb_co_u32_e32 v37, vcc, v47, v37, vcc
	v_addc_co_u32_e64 v53, s[22:23], 0, v43, s[22:23]
	v_cmp_le_u32_e32 vcc, s35, v37
	v_add_co_u32_e64 v55, s[22:23], 1, v41
	v_cndmask_b32_e64 v47, 0, -1, vcc
	v_cmp_le_u32_e32 vcc, s34, v36
	v_addc_co_u32_e64 v57, s[22:23], 0, v43, s[22:23]
	v_cndmask_b32_e64 v36, 0, -1, vcc
	v_cmp_eq_u32_e32 vcc, s35, v37
	v_cmp_ne_u32_e64 s[22:23], 0, v49
	v_cndmask_b32_e32 v36, v47, v36, vcc
	v_cndmask_b32_e64 v49, v57, v53, s[22:23]
	v_cmp_ne_u32_e32 vcc, 0, v36
	v_cndmask_b32_e64 v37, v55, v51, s[22:23]
	v_cndmask_b32_e32 v36, v43, v49, vcc
	v_cndmask_b32_e32 v37, v41, v37, vcc
	v_xor_b32_e32 v41, s28, v45
	v_xor_b32_e32 v43, v36, v41
	;; [unrolled: 1-line block ×3, first 2 shown]
	v_sub_co_u32_e32 v36, vcc, v36, v41
	v_subb_co_u32_e32 v37, vcc, v43, v41, vcc
.LBB1154_245:
	s_andn2_saveexec_b64 s[22:23], s[26:27]
	s_cbranch_execz .LBB1154_247
; %bb.246:
	v_cvt_f32_u32_e32 v36, s44
	s_sub_i32 s26, 0, s44
	v_rcp_iflag_f32_e32 v36, v36
	v_mul_f32_e32 v36, 0x4f7ffffe, v36
	v_cvt_u32_f32_e32 v36, v36
	v_mul_lo_u32 v37, s26, v36
	v_mul_hi_u32 v37, v36, v37
	v_add_u32_e32 v36, v36, v37
	v_mul_hi_u32 v36, v38, v36
	v_mul_lo_u32 v37, v36, s44
	v_sub_u32_e32 v37, v38, v37
	v_add_u32_e32 v41, 1, v36
	v_subrev_u32_e32 v43, s44, v37
	v_cmp_le_u32_e32 vcc, s44, v37
	v_cndmask_b32_e32 v37, v37, v43, vcc
	v_cndmask_b32_e32 v36, v36, v41, vcc
	v_add_u32_e32 v41, 1, v36
	v_cmp_le_u32_e32 vcc, s44, v37
	v_cndmask_b32_e32 v36, v36, v41, vcc
	v_mov_b32_e32 v37, 0
.LBB1154_247:
	s_or_b64 exec, exec, s[22:23]
	v_mul_lo_u32 v41, v37, s44
	v_mul_lo_u32 v43, v36, s45
	v_mad_u64_u32 v[62:63], s[22:23], v36, s44, 0
	v_add3_u32 v41, v63, v43, v41
	v_sub_co_u32_e32 v38, vcc, v38, v62
	v_subb_co_u32_e32 v39, vcc, v39, v41, vcc
	v_add_co_u32_e32 v36, vcc, v36, v38
	v_addc_co_u32_e32 v37, vcc, v37, v39, vcc
	s_or_b64 exec, exec, s[24:25]
                                        ; implicit-def: $vgpr38_vgpr39
	s_and_saveexec_b64 s[22:23], s[20:21]
	s_cbranch_execz .LBB1154_218
.LBB1154_248:
	v_mov_b32_e32 v39, s75
	v_add_co_u32_e32 v40, vcc, s74, v40
	v_addc_co_u32_e32 v41, vcc, 0, v39, vcc
	v_mov_b32_e32 v38, 0
	v_or_b32_e32 v39, s45, v41
	v_cmp_ne_u64_e32 vcc, 0, v[38:39]
                                        ; implicit-def: $vgpr38_vgpr39
	s_and_saveexec_b64 s[20:21], vcc
	s_xor_b64 s[24:25], exec, s[20:21]
	s_cbranch_execz .LBB1154_250
; %bb.249:
	s_ashr_i32 s26, s45, 31
	s_add_u32 s20, s44, s26
	s_mov_b32 s27, s26
	s_addc_u32 s21, s45, s26
	s_xor_b64 s[28:29], s[20:21], s[26:27]
	v_cvt_f32_u32_e32 v38, s28
	v_cvt_f32_u32_e32 v39, s29
	s_sub_u32 s20, 0, s28
	s_subb_u32 s21, 0, s29
	v_madmk_f32 v38, v39, 0x4f800000, v38
	v_rcp_f32_e32 v38, v38
	v_mul_f32_e32 v38, 0x5f7ffffc, v38
	v_mul_f32_e32 v39, 0x2f800000, v38
	v_trunc_f32_e32 v39, v39
	v_madmk_f32 v38, v39, 0xcf800000, v38
	v_cvt_u32_f32_e32 v39, v39
	v_cvt_u32_f32_e32 v38, v38
	v_mul_lo_u32 v43, s20, v39
	v_mul_hi_u32 v47, s20, v38
	v_mul_lo_u32 v45, s21, v38
	v_add_u32_e32 v43, v47, v43
	v_mul_lo_u32 v49, s20, v38
	v_add_u32_e32 v43, v43, v45
	v_mul_lo_u32 v47, v38, v43
	v_mul_hi_u32 v51, v38, v49
	v_mul_hi_u32 v45, v38, v43
	v_add_co_u32_e32 v47, vcc, v51, v47
	v_addc_co_u32_e32 v45, vcc, 0, v45, vcc
	v_mul_hi_u32 v53, v39, v49
	v_mul_lo_u32 v49, v39, v49
	v_add_co_u32_e32 v47, vcc, v47, v49
	v_mul_hi_u32 v51, v39, v43
	v_addc_co_u32_e32 v45, vcc, v45, v53, vcc
	v_addc_co_u32_e32 v47, vcc, 0, v51, vcc
	v_mul_lo_u32 v43, v39, v43
	v_add_co_u32_e32 v43, vcc, v45, v43
	v_addc_co_u32_e32 v45, vcc, 0, v47, vcc
	v_add_co_u32_e32 v38, vcc, v38, v43
	v_addc_co_u32_e32 v39, vcc, v39, v45, vcc
	v_mul_lo_u32 v43, s20, v39
	v_mul_hi_u32 v45, s20, v38
	v_add_u32_e32 v43, v45, v43
	v_mul_lo_u32 v45, s21, v38
	v_add_u32_e32 v43, v43, v45
	v_mul_lo_u32 v47, s20, v38
	v_mul_hi_u32 v49, v39, v47
	v_mul_lo_u32 v51, v39, v47
	v_mul_lo_u32 v55, v38, v43
	v_mul_hi_u32 v47, v38, v47
	v_mul_hi_u32 v53, v38, v43
	v_add_co_u32_e32 v47, vcc, v47, v55
	v_addc_co_u32_e32 v53, vcc, 0, v53, vcc
	v_add_co_u32_e32 v47, vcc, v47, v51
	v_mul_hi_u32 v45, v39, v43
	v_addc_co_u32_e32 v47, vcc, v53, v49, vcc
	v_addc_co_u32_e32 v45, vcc, 0, v45, vcc
	v_mul_lo_u32 v43, v39, v43
	v_add_co_u32_e32 v43, vcc, v47, v43
	v_addc_co_u32_e32 v45, vcc, 0, v45, vcc
	v_add_co_u32_e32 v43, vcc, v38, v43
	v_addc_co_u32_e32 v45, vcc, v39, v45, vcc
	v_ashrrev_i32_e32 v47, 31, v41
	v_add_co_u32_e32 v38, vcc, v40, v47
	v_addc_co_u32_e32 v39, vcc, v41, v47, vcc
	v_xor_b32_e32 v51, v38, v47
	v_xor_b32_e32 v49, v39, v47
	v_mad_u64_u32 v[38:39], s[20:21], v51, v45, 0
	v_mul_hi_u32 v53, v51, v43
	v_add_co_u32_e32 v53, vcc, v53, v38
	v_addc_co_u32_e32 v55, vcc, 0, v39, vcc
	v_mad_u64_u32 v[62:63], s[20:21], v49, v43, 0
	v_add_co_u32_e32 v43, vcc, v53, v62
	v_mad_u64_u32 v[38:39], s[20:21], v49, v45, 0
	v_addc_co_u32_e32 v43, vcc, v55, v63, vcc
	v_addc_co_u32_e32 v39, vcc, 0, v39, vcc
	v_add_co_u32_e32 v43, vcc, v43, v38
	v_addc_co_u32_e32 v45, vcc, 0, v39, vcc
	v_mul_lo_u32 v53, s29, v43
	v_mul_lo_u32 v55, s28, v45
	v_mad_u64_u32 v[38:39], s[20:21], s28, v43, 0
	v_add3_u32 v39, v39, v55, v53
	v_sub_u32_e32 v53, v49, v39
	v_mov_b32_e32 v55, s29
	v_sub_co_u32_e32 v38, vcc, v51, v38
	v_subb_co_u32_e64 v51, s[20:21], v53, v55, vcc
	v_subrev_co_u32_e64 v53, s[20:21], s28, v38
	v_subbrev_co_u32_e64 v51, s[20:21], 0, v51, s[20:21]
	v_cmp_le_u32_e64 s[20:21], s29, v51
	v_cndmask_b32_e64 v55, 0, -1, s[20:21]
	v_cmp_le_u32_e64 s[20:21], s28, v53
	v_cndmask_b32_e64 v53, 0, -1, s[20:21]
	v_cmp_eq_u32_e64 s[20:21], s29, v51
	v_cndmask_b32_e64 v51, v55, v53, s[20:21]
	v_add_co_u32_e64 v53, s[20:21], 2, v43
	v_subb_co_u32_e32 v39, vcc, v49, v39, vcc
	v_addc_co_u32_e64 v55, s[20:21], 0, v45, s[20:21]
	v_cmp_le_u32_e32 vcc, s29, v39
	v_add_co_u32_e64 v57, s[20:21], 1, v43
	v_cndmask_b32_e64 v49, 0, -1, vcc
	v_cmp_le_u32_e32 vcc, s28, v38
	v_addc_co_u32_e64 v59, s[20:21], 0, v45, s[20:21]
	v_cndmask_b32_e64 v38, 0, -1, vcc
	v_cmp_eq_u32_e32 vcc, s29, v39
	v_cmp_ne_u32_e64 s[20:21], 0, v51
	v_cndmask_b32_e32 v38, v49, v38, vcc
	v_cndmask_b32_e64 v51, v59, v55, s[20:21]
	v_cmp_ne_u32_e32 vcc, 0, v38
	v_cndmask_b32_e64 v39, v57, v53, s[20:21]
	v_cndmask_b32_e32 v38, v45, v51, vcc
	v_cndmask_b32_e32 v39, v43, v39, vcc
	v_xor_b32_e32 v43, s26, v47
	v_xor_b32_e32 v45, v38, v43
	;; [unrolled: 1-line block ×3, first 2 shown]
	v_sub_co_u32_e32 v38, vcc, v38, v43
	v_subb_co_u32_e32 v39, vcc, v45, v43, vcc
.LBB1154_250:
	s_andn2_saveexec_b64 s[20:21], s[24:25]
	s_cbranch_execz .LBB1154_252
; %bb.251:
	v_cvt_f32_u32_e32 v38, s44
	s_sub_i32 s24, 0, s44
	v_rcp_iflag_f32_e32 v38, v38
	v_mul_f32_e32 v38, 0x4f7ffffe, v38
	v_cvt_u32_f32_e32 v38, v38
	v_mul_lo_u32 v39, s24, v38
	v_mul_hi_u32 v39, v38, v39
	v_add_u32_e32 v38, v38, v39
	v_mul_hi_u32 v38, v40, v38
	v_mul_lo_u32 v39, v38, s44
	v_sub_u32_e32 v39, v40, v39
	v_add_u32_e32 v43, 1, v38
	v_subrev_u32_e32 v45, s44, v39
	v_cmp_le_u32_e32 vcc, s44, v39
	v_cndmask_b32_e32 v39, v39, v45, vcc
	v_cndmask_b32_e32 v38, v38, v43, vcc
	v_add_u32_e32 v43, 1, v38
	v_cmp_le_u32_e32 vcc, s44, v39
	v_cndmask_b32_e32 v38, v38, v43, vcc
	v_mov_b32_e32 v39, 0
.LBB1154_252:
	s_or_b64 exec, exec, s[20:21]
	v_mul_lo_u32 v43, v39, s44
	v_mul_lo_u32 v45, v38, s45
	v_mad_u64_u32 v[62:63], s[20:21], v38, s44, 0
	v_add3_u32 v43, v63, v45, v43
	v_sub_co_u32_e32 v40, vcc, v40, v62
	v_subb_co_u32_e32 v41, vcc, v41, v43, vcc
	v_add_co_u32_e32 v38, vcc, v38, v40
	v_addc_co_u32_e32 v39, vcc, v39, v41, vcc
	s_or_b64 exec, exec, s[22:23]
                                        ; implicit-def: $vgpr40_vgpr41
	s_and_saveexec_b64 s[20:21], s[18:19]
	s_cbranch_execz .LBB1154_219
.LBB1154_253:
	v_mov_b32_e32 v41, s75
	v_add_co_u32_e32 v42, vcc, s74, v42
	v_addc_co_u32_e32 v43, vcc, 0, v41, vcc
	v_mov_b32_e32 v40, 0
	v_or_b32_e32 v41, s45, v43
	v_cmp_ne_u64_e32 vcc, 0, v[40:41]
                                        ; implicit-def: $vgpr40_vgpr41
	s_and_saveexec_b64 s[18:19], vcc
	s_xor_b64 s[22:23], exec, s[18:19]
	s_cbranch_execz .LBB1154_255
; %bb.254:
	s_ashr_i32 s24, s45, 31
	s_add_u32 s18, s44, s24
	s_mov_b32 s25, s24
	s_addc_u32 s19, s45, s24
	s_xor_b64 s[26:27], s[18:19], s[24:25]
	v_cvt_f32_u32_e32 v40, s26
	v_cvt_f32_u32_e32 v41, s27
	s_sub_u32 s18, 0, s26
	s_subb_u32 s19, 0, s27
	v_madmk_f32 v40, v41, 0x4f800000, v40
	v_rcp_f32_e32 v40, v40
	v_mul_f32_e32 v40, 0x5f7ffffc, v40
	v_mul_f32_e32 v41, 0x2f800000, v40
	v_trunc_f32_e32 v41, v41
	v_madmk_f32 v40, v41, 0xcf800000, v40
	v_cvt_u32_f32_e32 v41, v41
	v_cvt_u32_f32_e32 v40, v40
	v_mul_lo_u32 v45, s18, v41
	v_mul_hi_u32 v49, s18, v40
	v_mul_lo_u32 v47, s19, v40
	v_add_u32_e32 v45, v49, v45
	v_mul_lo_u32 v51, s18, v40
	v_add_u32_e32 v45, v45, v47
	v_mul_lo_u32 v49, v40, v45
	v_mul_hi_u32 v53, v40, v51
	v_mul_hi_u32 v47, v40, v45
	v_add_co_u32_e32 v49, vcc, v53, v49
	v_addc_co_u32_e32 v47, vcc, 0, v47, vcc
	v_mul_hi_u32 v55, v41, v51
	v_mul_lo_u32 v51, v41, v51
	v_add_co_u32_e32 v49, vcc, v49, v51
	v_mul_hi_u32 v53, v41, v45
	v_addc_co_u32_e32 v47, vcc, v47, v55, vcc
	v_addc_co_u32_e32 v49, vcc, 0, v53, vcc
	v_mul_lo_u32 v45, v41, v45
	v_add_co_u32_e32 v45, vcc, v47, v45
	v_addc_co_u32_e32 v47, vcc, 0, v49, vcc
	v_add_co_u32_e32 v40, vcc, v40, v45
	v_addc_co_u32_e32 v41, vcc, v41, v47, vcc
	v_mul_lo_u32 v45, s18, v41
	v_mul_hi_u32 v47, s18, v40
	v_add_u32_e32 v45, v47, v45
	v_mul_lo_u32 v47, s19, v40
	v_add_u32_e32 v45, v45, v47
	v_mul_lo_u32 v49, s18, v40
	v_mul_hi_u32 v51, v41, v49
	v_mul_lo_u32 v53, v41, v49
	v_mul_lo_u32 v57, v40, v45
	v_mul_hi_u32 v49, v40, v49
	v_mul_hi_u32 v55, v40, v45
	v_add_co_u32_e32 v49, vcc, v49, v57
	v_addc_co_u32_e32 v55, vcc, 0, v55, vcc
	v_add_co_u32_e32 v49, vcc, v49, v53
	v_mul_hi_u32 v47, v41, v45
	v_addc_co_u32_e32 v49, vcc, v55, v51, vcc
	v_addc_co_u32_e32 v47, vcc, 0, v47, vcc
	v_mul_lo_u32 v45, v41, v45
	v_add_co_u32_e32 v45, vcc, v49, v45
	v_addc_co_u32_e32 v47, vcc, 0, v47, vcc
	v_add_co_u32_e32 v45, vcc, v40, v45
	v_addc_co_u32_e32 v47, vcc, v41, v47, vcc
	v_ashrrev_i32_e32 v49, 31, v43
	v_add_co_u32_e32 v40, vcc, v42, v49
	v_addc_co_u32_e32 v41, vcc, v43, v49, vcc
	v_xor_b32_e32 v53, v40, v49
	v_xor_b32_e32 v51, v41, v49
	v_mad_u64_u32 v[40:41], s[18:19], v53, v47, 0
	v_mul_hi_u32 v55, v53, v45
	v_add_co_u32_e32 v55, vcc, v55, v40
	v_addc_co_u32_e32 v57, vcc, 0, v41, vcc
	v_mad_u64_u32 v[62:63], s[18:19], v51, v45, 0
	v_add_co_u32_e32 v45, vcc, v55, v62
	v_mad_u64_u32 v[40:41], s[18:19], v51, v47, 0
	v_addc_co_u32_e32 v45, vcc, v57, v63, vcc
	v_addc_co_u32_e32 v41, vcc, 0, v41, vcc
	v_add_co_u32_e32 v45, vcc, v45, v40
	v_addc_co_u32_e32 v47, vcc, 0, v41, vcc
	v_mul_lo_u32 v55, s27, v45
	v_mul_lo_u32 v57, s26, v47
	v_mad_u64_u32 v[40:41], s[18:19], s26, v45, 0
	v_add3_u32 v41, v41, v57, v55
	v_sub_u32_e32 v55, v51, v41
	v_mov_b32_e32 v57, s27
	v_sub_co_u32_e32 v40, vcc, v53, v40
	v_subb_co_u32_e64 v53, s[18:19], v55, v57, vcc
	v_subrev_co_u32_e64 v55, s[18:19], s26, v40
	v_subbrev_co_u32_e64 v53, s[18:19], 0, v53, s[18:19]
	v_cmp_le_u32_e64 s[18:19], s27, v53
	v_cndmask_b32_e64 v57, 0, -1, s[18:19]
	v_cmp_le_u32_e64 s[18:19], s26, v55
	v_cndmask_b32_e64 v55, 0, -1, s[18:19]
	v_cmp_eq_u32_e64 s[18:19], s27, v53
	v_cndmask_b32_e64 v53, v57, v55, s[18:19]
	v_add_co_u32_e64 v55, s[18:19], 2, v45
	v_subb_co_u32_e32 v41, vcc, v51, v41, vcc
	v_addc_co_u32_e64 v57, s[18:19], 0, v47, s[18:19]
	v_cmp_le_u32_e32 vcc, s27, v41
	v_add_co_u32_e64 v59, s[18:19], 1, v45
	v_cndmask_b32_e64 v51, 0, -1, vcc
	v_cmp_le_u32_e32 vcc, s26, v40
	v_addc_co_u32_e64 v61, s[18:19], 0, v47, s[18:19]
	v_cndmask_b32_e64 v40, 0, -1, vcc
	v_cmp_eq_u32_e32 vcc, s27, v41
	v_cmp_ne_u32_e64 s[18:19], 0, v53
	v_cndmask_b32_e32 v40, v51, v40, vcc
	v_cndmask_b32_e64 v53, v61, v57, s[18:19]
	v_cmp_ne_u32_e32 vcc, 0, v40
	v_cndmask_b32_e64 v41, v59, v55, s[18:19]
	v_cndmask_b32_e32 v40, v47, v53, vcc
	v_cndmask_b32_e32 v41, v45, v41, vcc
	v_xor_b32_e32 v45, s24, v49
	v_xor_b32_e32 v47, v40, v45
	;; [unrolled: 1-line block ×3, first 2 shown]
	v_sub_co_u32_e32 v40, vcc, v40, v45
	v_subb_co_u32_e32 v41, vcc, v47, v45, vcc
.LBB1154_255:
	s_andn2_saveexec_b64 s[18:19], s[22:23]
	s_cbranch_execz .LBB1154_257
; %bb.256:
	v_cvt_f32_u32_e32 v40, s44
	s_sub_i32 s22, 0, s44
	v_rcp_iflag_f32_e32 v40, v40
	v_mul_f32_e32 v40, 0x4f7ffffe, v40
	v_cvt_u32_f32_e32 v40, v40
	v_mul_lo_u32 v41, s22, v40
	v_mul_hi_u32 v41, v40, v41
	v_add_u32_e32 v40, v40, v41
	v_mul_hi_u32 v40, v42, v40
	v_mul_lo_u32 v41, v40, s44
	v_sub_u32_e32 v41, v42, v41
	v_add_u32_e32 v45, 1, v40
	v_subrev_u32_e32 v47, s44, v41
	v_cmp_le_u32_e32 vcc, s44, v41
	v_cndmask_b32_e32 v41, v41, v47, vcc
	v_cndmask_b32_e32 v40, v40, v45, vcc
	v_add_u32_e32 v45, 1, v40
	v_cmp_le_u32_e32 vcc, s44, v41
	v_cndmask_b32_e32 v40, v40, v45, vcc
	v_mov_b32_e32 v41, 0
.LBB1154_257:
	s_or_b64 exec, exec, s[18:19]
	v_mul_lo_u32 v45, v41, s44
	v_mul_lo_u32 v47, v40, s45
	v_mad_u64_u32 v[62:63], s[18:19], v40, s44, 0
	v_add3_u32 v45, v63, v47, v45
	v_sub_co_u32_e32 v42, vcc, v42, v62
	v_subb_co_u32_e32 v43, vcc, v43, v45, vcc
	v_add_co_u32_e32 v40, vcc, v40, v42
	v_addc_co_u32_e32 v41, vcc, v41, v43, vcc
	s_or_b64 exec, exec, s[20:21]
                                        ; implicit-def: $vgpr42_vgpr43
	s_and_saveexec_b64 s[18:19], s[16:17]
	s_cbranch_execz .LBB1154_220
.LBB1154_258:
	v_mov_b32_e32 v43, s75
	v_add_co_u32_e32 v44, vcc, s74, v44
	v_addc_co_u32_e32 v45, vcc, 0, v43, vcc
	v_mov_b32_e32 v42, 0
	v_or_b32_e32 v43, s45, v45
	v_cmp_ne_u64_e32 vcc, 0, v[42:43]
                                        ; implicit-def: $vgpr42_vgpr43
	s_and_saveexec_b64 s[16:17], vcc
	s_xor_b64 s[20:21], exec, s[16:17]
	s_cbranch_execz .LBB1154_260
; %bb.259:
	s_ashr_i32 s22, s45, 31
	s_add_u32 s16, s44, s22
	s_mov_b32 s23, s22
	s_addc_u32 s17, s45, s22
	s_xor_b64 s[24:25], s[16:17], s[22:23]
	v_cvt_f32_u32_e32 v42, s24
	v_cvt_f32_u32_e32 v43, s25
	s_sub_u32 s16, 0, s24
	s_subb_u32 s17, 0, s25
	v_madmk_f32 v42, v43, 0x4f800000, v42
	v_rcp_f32_e32 v42, v42
	v_mul_f32_e32 v42, 0x5f7ffffc, v42
	v_mul_f32_e32 v43, 0x2f800000, v42
	v_trunc_f32_e32 v43, v43
	v_madmk_f32 v42, v43, 0xcf800000, v42
	v_cvt_u32_f32_e32 v43, v43
	v_cvt_u32_f32_e32 v42, v42
	v_mul_lo_u32 v47, s16, v43
	v_mul_hi_u32 v51, s16, v42
	v_mul_lo_u32 v49, s17, v42
	v_add_u32_e32 v47, v51, v47
	v_mul_lo_u32 v53, s16, v42
	v_add_u32_e32 v47, v47, v49
	v_mul_lo_u32 v51, v42, v47
	v_mul_hi_u32 v55, v42, v53
	v_mul_hi_u32 v49, v42, v47
	v_add_co_u32_e32 v51, vcc, v55, v51
	v_addc_co_u32_e32 v49, vcc, 0, v49, vcc
	v_mul_hi_u32 v57, v43, v53
	v_mul_lo_u32 v53, v43, v53
	v_add_co_u32_e32 v51, vcc, v51, v53
	v_mul_hi_u32 v55, v43, v47
	v_addc_co_u32_e32 v49, vcc, v49, v57, vcc
	v_addc_co_u32_e32 v51, vcc, 0, v55, vcc
	v_mul_lo_u32 v47, v43, v47
	v_add_co_u32_e32 v47, vcc, v49, v47
	v_addc_co_u32_e32 v49, vcc, 0, v51, vcc
	v_add_co_u32_e32 v42, vcc, v42, v47
	v_addc_co_u32_e32 v43, vcc, v43, v49, vcc
	v_mul_lo_u32 v47, s16, v43
	v_mul_hi_u32 v49, s16, v42
	v_add_u32_e32 v47, v49, v47
	v_mul_lo_u32 v49, s17, v42
	v_add_u32_e32 v47, v47, v49
	v_mul_lo_u32 v51, s16, v42
	v_mul_hi_u32 v53, v43, v51
	v_mul_lo_u32 v55, v43, v51
	v_mul_lo_u32 v59, v42, v47
	v_mul_hi_u32 v51, v42, v51
	v_mul_hi_u32 v57, v42, v47
	v_add_co_u32_e32 v51, vcc, v51, v59
	v_addc_co_u32_e32 v57, vcc, 0, v57, vcc
	v_add_co_u32_e32 v51, vcc, v51, v55
	v_mul_hi_u32 v49, v43, v47
	v_addc_co_u32_e32 v51, vcc, v57, v53, vcc
	v_addc_co_u32_e32 v49, vcc, 0, v49, vcc
	v_mul_lo_u32 v47, v43, v47
	v_add_co_u32_e32 v47, vcc, v51, v47
	v_addc_co_u32_e32 v49, vcc, 0, v49, vcc
	v_add_co_u32_e32 v47, vcc, v42, v47
	v_addc_co_u32_e32 v49, vcc, v43, v49, vcc
	v_ashrrev_i32_e32 v51, 31, v45
	v_add_co_u32_e32 v42, vcc, v44, v51
	v_addc_co_u32_e32 v43, vcc, v45, v51, vcc
	v_xor_b32_e32 v55, v42, v51
	v_xor_b32_e32 v53, v43, v51
	v_mad_u64_u32 v[42:43], s[16:17], v55, v49, 0
	v_mul_hi_u32 v57, v55, v47
	v_add_co_u32_e32 v57, vcc, v57, v42
	v_addc_co_u32_e32 v59, vcc, 0, v43, vcc
	v_mad_u64_u32 v[62:63], s[16:17], v53, v47, 0
	v_add_co_u32_e32 v47, vcc, v57, v62
	v_mad_u64_u32 v[42:43], s[16:17], v53, v49, 0
	v_addc_co_u32_e32 v47, vcc, v59, v63, vcc
	v_addc_co_u32_e32 v43, vcc, 0, v43, vcc
	v_add_co_u32_e32 v47, vcc, v47, v42
	v_addc_co_u32_e32 v49, vcc, 0, v43, vcc
	v_mul_lo_u32 v57, s25, v47
	v_mul_lo_u32 v59, s24, v49
	v_mad_u64_u32 v[42:43], s[16:17], s24, v47, 0
	v_add3_u32 v43, v43, v59, v57
	v_sub_u32_e32 v57, v53, v43
	v_mov_b32_e32 v59, s25
	v_sub_co_u32_e32 v42, vcc, v55, v42
	v_subb_co_u32_e64 v55, s[16:17], v57, v59, vcc
	v_subrev_co_u32_e64 v57, s[16:17], s24, v42
	v_subbrev_co_u32_e64 v55, s[16:17], 0, v55, s[16:17]
	v_cmp_le_u32_e64 s[16:17], s25, v55
	v_cndmask_b32_e64 v59, 0, -1, s[16:17]
	v_cmp_le_u32_e64 s[16:17], s24, v57
	v_cndmask_b32_e64 v57, 0, -1, s[16:17]
	v_cmp_eq_u32_e64 s[16:17], s25, v55
	v_cndmask_b32_e64 v55, v59, v57, s[16:17]
	v_add_co_u32_e64 v57, s[16:17], 2, v47
	v_subb_co_u32_e32 v43, vcc, v53, v43, vcc
	v_addc_co_u32_e64 v59, s[16:17], 0, v49, s[16:17]
	v_cmp_le_u32_e32 vcc, s25, v43
	v_add_co_u32_e64 v61, s[16:17], 1, v47
	v_cndmask_b32_e64 v53, 0, -1, vcc
	v_cmp_le_u32_e32 vcc, s24, v42
	v_addc_co_u32_e64 v62, s[16:17], 0, v49, s[16:17]
	v_cndmask_b32_e64 v42, 0, -1, vcc
	v_cmp_eq_u32_e32 vcc, s25, v43
	v_cmp_ne_u32_e64 s[16:17], 0, v55
	v_cndmask_b32_e32 v42, v53, v42, vcc
	v_cndmask_b32_e64 v55, v62, v59, s[16:17]
	v_cmp_ne_u32_e32 vcc, 0, v42
	v_cndmask_b32_e64 v43, v61, v57, s[16:17]
	v_cndmask_b32_e32 v42, v49, v55, vcc
	v_cndmask_b32_e32 v43, v47, v43, vcc
	v_xor_b32_e32 v47, s22, v51
	v_xor_b32_e32 v49, v42, v47
	;; [unrolled: 1-line block ×3, first 2 shown]
	v_sub_co_u32_e32 v42, vcc, v42, v47
	v_subb_co_u32_e32 v43, vcc, v49, v47, vcc
.LBB1154_260:
	s_andn2_saveexec_b64 s[16:17], s[20:21]
	s_cbranch_execz .LBB1154_262
; %bb.261:
	v_cvt_f32_u32_e32 v42, s44
	s_sub_i32 s20, 0, s44
	v_rcp_iflag_f32_e32 v42, v42
	v_mul_f32_e32 v42, 0x4f7ffffe, v42
	v_cvt_u32_f32_e32 v42, v42
	v_mul_lo_u32 v43, s20, v42
	v_mul_hi_u32 v43, v42, v43
	v_add_u32_e32 v42, v42, v43
	v_mul_hi_u32 v42, v44, v42
	v_mul_lo_u32 v43, v42, s44
	v_sub_u32_e32 v43, v44, v43
	v_add_u32_e32 v47, 1, v42
	v_subrev_u32_e32 v49, s44, v43
	v_cmp_le_u32_e32 vcc, s44, v43
	v_cndmask_b32_e32 v43, v43, v49, vcc
	v_cndmask_b32_e32 v42, v42, v47, vcc
	v_add_u32_e32 v47, 1, v42
	v_cmp_le_u32_e32 vcc, s44, v43
	v_cndmask_b32_e32 v42, v42, v47, vcc
	v_mov_b32_e32 v43, 0
.LBB1154_262:
	s_or_b64 exec, exec, s[16:17]
	v_mul_lo_u32 v47, v43, s44
	v_mul_lo_u32 v49, v42, s45
	v_mad_u64_u32 v[62:63], s[16:17], v42, s44, 0
	v_add3_u32 v47, v63, v49, v47
	v_sub_co_u32_e32 v44, vcc, v44, v62
	v_subb_co_u32_e32 v45, vcc, v45, v47, vcc
	v_add_co_u32_e32 v42, vcc, v42, v44
	v_addc_co_u32_e32 v43, vcc, v43, v45, vcc
	s_or_b64 exec, exec, s[18:19]
                                        ; implicit-def: $vgpr44_vgpr45
	s_and_saveexec_b64 s[16:17], s[14:15]
	s_cbranch_execz .LBB1154_221
.LBB1154_263:
	v_mov_b32_e32 v45, s75
	v_add_co_u32_e32 v46, vcc, s74, v46
	v_addc_co_u32_e32 v47, vcc, 0, v45, vcc
	v_mov_b32_e32 v44, 0
	v_or_b32_e32 v45, s45, v47
	v_cmp_ne_u64_e32 vcc, 0, v[44:45]
                                        ; implicit-def: $vgpr44_vgpr45
	s_and_saveexec_b64 s[14:15], vcc
	s_xor_b64 s[18:19], exec, s[14:15]
	s_cbranch_execz .LBB1154_265
; %bb.264:
	s_ashr_i32 s20, s45, 31
	s_add_u32 s14, s44, s20
	s_mov_b32 s21, s20
	s_addc_u32 s15, s45, s20
	s_xor_b64 s[22:23], s[14:15], s[20:21]
	v_cvt_f32_u32_e32 v44, s22
	v_cvt_f32_u32_e32 v45, s23
	s_sub_u32 s14, 0, s22
	s_subb_u32 s15, 0, s23
	v_madmk_f32 v44, v45, 0x4f800000, v44
	v_rcp_f32_e32 v44, v44
	v_mul_f32_e32 v44, 0x5f7ffffc, v44
	v_mul_f32_e32 v45, 0x2f800000, v44
	v_trunc_f32_e32 v45, v45
	v_madmk_f32 v44, v45, 0xcf800000, v44
	v_cvt_u32_f32_e32 v45, v45
	v_cvt_u32_f32_e32 v44, v44
	v_mul_lo_u32 v49, s14, v45
	v_mul_hi_u32 v53, s14, v44
	v_mul_lo_u32 v51, s15, v44
	v_add_u32_e32 v49, v53, v49
	v_mul_lo_u32 v55, s14, v44
	v_add_u32_e32 v49, v49, v51
	v_mul_lo_u32 v53, v44, v49
	v_mul_hi_u32 v57, v44, v55
	v_mul_hi_u32 v51, v44, v49
	v_add_co_u32_e32 v53, vcc, v57, v53
	v_addc_co_u32_e32 v51, vcc, 0, v51, vcc
	v_mul_hi_u32 v59, v45, v55
	v_mul_lo_u32 v55, v45, v55
	v_add_co_u32_e32 v53, vcc, v53, v55
	v_mul_hi_u32 v57, v45, v49
	v_addc_co_u32_e32 v51, vcc, v51, v59, vcc
	v_addc_co_u32_e32 v53, vcc, 0, v57, vcc
	v_mul_lo_u32 v49, v45, v49
	v_add_co_u32_e32 v49, vcc, v51, v49
	v_addc_co_u32_e32 v51, vcc, 0, v53, vcc
	v_add_co_u32_e32 v44, vcc, v44, v49
	v_addc_co_u32_e32 v45, vcc, v45, v51, vcc
	v_mul_lo_u32 v49, s14, v45
	v_mul_hi_u32 v51, s14, v44
	v_add_u32_e32 v49, v51, v49
	v_mul_lo_u32 v51, s15, v44
	v_add_u32_e32 v49, v49, v51
	v_mul_lo_u32 v53, s14, v44
	v_mul_hi_u32 v55, v45, v53
	v_mul_lo_u32 v57, v45, v53
	v_mul_lo_u32 v61, v44, v49
	v_mul_hi_u32 v53, v44, v53
	v_mul_hi_u32 v59, v44, v49
	v_add_co_u32_e32 v53, vcc, v53, v61
	v_addc_co_u32_e32 v59, vcc, 0, v59, vcc
	v_add_co_u32_e32 v53, vcc, v53, v57
	v_mul_hi_u32 v51, v45, v49
	v_addc_co_u32_e32 v53, vcc, v59, v55, vcc
	v_addc_co_u32_e32 v51, vcc, 0, v51, vcc
	v_mul_lo_u32 v49, v45, v49
	v_add_co_u32_e32 v49, vcc, v53, v49
	v_addc_co_u32_e32 v51, vcc, 0, v51, vcc
	v_add_co_u32_e32 v49, vcc, v44, v49
	v_addc_co_u32_e32 v51, vcc, v45, v51, vcc
	v_ashrrev_i32_e32 v53, 31, v47
	v_add_co_u32_e32 v44, vcc, v46, v53
	v_addc_co_u32_e32 v45, vcc, v47, v53, vcc
	v_xor_b32_e32 v57, v44, v53
	v_xor_b32_e32 v55, v45, v53
	v_mad_u64_u32 v[44:45], s[14:15], v57, v51, 0
	v_mul_hi_u32 v59, v57, v49
	v_add_co_u32_e32 v59, vcc, v59, v44
	v_addc_co_u32_e32 v61, vcc, 0, v45, vcc
	v_mad_u64_u32 v[62:63], s[14:15], v55, v49, 0
	v_add_co_u32_e32 v49, vcc, v59, v62
	v_mad_u64_u32 v[44:45], s[14:15], v55, v51, 0
	v_addc_co_u32_e32 v49, vcc, v61, v63, vcc
	v_addc_co_u32_e32 v45, vcc, 0, v45, vcc
	v_add_co_u32_e32 v49, vcc, v49, v44
	v_addc_co_u32_e32 v51, vcc, 0, v45, vcc
	v_mul_lo_u32 v59, s23, v49
	v_mul_lo_u32 v61, s22, v51
	v_mad_u64_u32 v[44:45], s[14:15], s22, v49, 0
	v_add3_u32 v45, v45, v61, v59
	v_sub_u32_e32 v59, v55, v45
	v_mov_b32_e32 v61, s23
	v_sub_co_u32_e32 v44, vcc, v57, v44
	v_subb_co_u32_e64 v57, s[14:15], v59, v61, vcc
	v_subrev_co_u32_e64 v59, s[14:15], s22, v44
	v_subbrev_co_u32_e64 v57, s[14:15], 0, v57, s[14:15]
	v_cmp_le_u32_e64 s[14:15], s23, v57
	v_cndmask_b32_e64 v61, 0, -1, s[14:15]
	v_cmp_le_u32_e64 s[14:15], s22, v59
	v_cndmask_b32_e64 v59, 0, -1, s[14:15]
	v_cmp_eq_u32_e64 s[14:15], s23, v57
	v_cndmask_b32_e64 v57, v61, v59, s[14:15]
	v_add_co_u32_e64 v59, s[14:15], 2, v49
	v_subb_co_u32_e32 v45, vcc, v55, v45, vcc
	v_addc_co_u32_e64 v61, s[14:15], 0, v51, s[14:15]
	v_cmp_le_u32_e32 vcc, s23, v45
	v_add_co_u32_e64 v62, s[14:15], 1, v49
	v_cndmask_b32_e64 v55, 0, -1, vcc
	v_cmp_le_u32_e32 vcc, s22, v44
	v_addc_co_u32_e64 v63, s[14:15], 0, v51, s[14:15]
	v_cndmask_b32_e64 v44, 0, -1, vcc
	v_cmp_eq_u32_e32 vcc, s23, v45
	v_cmp_ne_u32_e64 s[14:15], 0, v57
	v_cndmask_b32_e32 v44, v55, v44, vcc
	v_cndmask_b32_e64 v57, v63, v61, s[14:15]
	v_cmp_ne_u32_e32 vcc, 0, v44
	v_cndmask_b32_e64 v45, v62, v59, s[14:15]
	v_cndmask_b32_e32 v44, v51, v57, vcc
	v_cndmask_b32_e32 v45, v49, v45, vcc
	v_xor_b32_e32 v49, s20, v53
	v_xor_b32_e32 v51, v44, v49
	;; [unrolled: 1-line block ×3, first 2 shown]
	v_sub_co_u32_e32 v44, vcc, v44, v49
	v_subb_co_u32_e32 v45, vcc, v51, v49, vcc
.LBB1154_265:
	s_andn2_saveexec_b64 s[14:15], s[18:19]
	s_cbranch_execz .LBB1154_267
; %bb.266:
	v_cvt_f32_u32_e32 v44, s44
	s_sub_i32 s18, 0, s44
	v_rcp_iflag_f32_e32 v44, v44
	v_mul_f32_e32 v44, 0x4f7ffffe, v44
	v_cvt_u32_f32_e32 v44, v44
	v_mul_lo_u32 v45, s18, v44
	v_mul_hi_u32 v45, v44, v45
	v_add_u32_e32 v44, v44, v45
	v_mul_hi_u32 v44, v46, v44
	v_mul_lo_u32 v45, v44, s44
	v_sub_u32_e32 v45, v46, v45
	v_add_u32_e32 v49, 1, v44
	v_subrev_u32_e32 v51, s44, v45
	v_cmp_le_u32_e32 vcc, s44, v45
	v_cndmask_b32_e32 v45, v45, v51, vcc
	v_cndmask_b32_e32 v44, v44, v49, vcc
	v_add_u32_e32 v49, 1, v44
	v_cmp_le_u32_e32 vcc, s44, v45
	v_cndmask_b32_e32 v44, v44, v49, vcc
	v_mov_b32_e32 v45, 0
.LBB1154_267:
	s_or_b64 exec, exec, s[14:15]
	v_mul_lo_u32 v49, v45, s44
	v_mul_lo_u32 v51, v44, s45
	v_mad_u64_u32 v[62:63], s[14:15], v44, s44, 0
	v_add3_u32 v49, v63, v51, v49
	v_sub_co_u32_e32 v46, vcc, v46, v62
	v_subb_co_u32_e32 v47, vcc, v47, v49, vcc
	v_add_co_u32_e32 v44, vcc, v44, v46
	v_addc_co_u32_e32 v45, vcc, v45, v47, vcc
	s_or_b64 exec, exec, s[16:17]
                                        ; implicit-def: $vgpr46_vgpr47
	s_and_saveexec_b64 s[14:15], s[12:13]
	s_cbranch_execz .LBB1154_222
.LBB1154_268:
	v_mov_b32_e32 v47, s75
	v_add_co_u32_e32 v48, vcc, s74, v48
	v_addc_co_u32_e32 v49, vcc, 0, v47, vcc
	v_mov_b32_e32 v46, 0
	v_or_b32_e32 v47, s45, v49
	v_cmp_ne_u64_e32 vcc, 0, v[46:47]
                                        ; implicit-def: $vgpr46_vgpr47
	s_and_saveexec_b64 s[12:13], vcc
	s_xor_b64 s[16:17], exec, s[12:13]
	s_cbranch_execz .LBB1154_270
; %bb.269:
	s_ashr_i32 s18, s45, 31
	s_add_u32 s12, s44, s18
	s_mov_b32 s19, s18
	s_addc_u32 s13, s45, s18
	s_xor_b64 s[20:21], s[12:13], s[18:19]
	v_cvt_f32_u32_e32 v46, s20
	v_cvt_f32_u32_e32 v47, s21
	s_sub_u32 s12, 0, s20
	s_subb_u32 s13, 0, s21
	v_madmk_f32 v46, v47, 0x4f800000, v46
	v_rcp_f32_e32 v46, v46
	v_mul_f32_e32 v46, 0x5f7ffffc, v46
	v_mul_f32_e32 v47, 0x2f800000, v46
	v_trunc_f32_e32 v47, v47
	v_madmk_f32 v46, v47, 0xcf800000, v46
	v_cvt_u32_f32_e32 v47, v47
	v_cvt_u32_f32_e32 v46, v46
	v_mul_lo_u32 v51, s12, v47
	v_mul_hi_u32 v55, s12, v46
	v_mul_lo_u32 v53, s13, v46
	v_add_u32_e32 v51, v55, v51
	v_mul_lo_u32 v57, s12, v46
	v_add_u32_e32 v51, v51, v53
	v_mul_lo_u32 v55, v46, v51
	v_mul_hi_u32 v59, v46, v57
	v_mul_hi_u32 v53, v46, v51
	v_add_co_u32_e32 v55, vcc, v59, v55
	v_addc_co_u32_e32 v53, vcc, 0, v53, vcc
	v_mul_hi_u32 v61, v47, v57
	v_mul_lo_u32 v57, v47, v57
	v_add_co_u32_e32 v55, vcc, v55, v57
	v_mul_hi_u32 v59, v47, v51
	v_addc_co_u32_e32 v53, vcc, v53, v61, vcc
	v_addc_co_u32_e32 v55, vcc, 0, v59, vcc
	v_mul_lo_u32 v51, v47, v51
	v_add_co_u32_e32 v51, vcc, v53, v51
	v_addc_co_u32_e32 v53, vcc, 0, v55, vcc
	v_add_co_u32_e32 v46, vcc, v46, v51
	v_addc_co_u32_e32 v47, vcc, v47, v53, vcc
	v_mul_lo_u32 v51, s12, v47
	v_mul_hi_u32 v53, s12, v46
	v_add_u32_e32 v51, v53, v51
	v_mul_lo_u32 v53, s13, v46
	v_add_u32_e32 v51, v51, v53
	v_mul_lo_u32 v55, s12, v46
	v_mul_hi_u32 v57, v47, v55
	v_mul_lo_u32 v59, v47, v55
	v_mul_lo_u32 v62, v46, v51
	v_mul_hi_u32 v55, v46, v55
	v_mul_hi_u32 v61, v46, v51
	v_add_co_u32_e32 v55, vcc, v55, v62
	v_addc_co_u32_e32 v61, vcc, 0, v61, vcc
	v_add_co_u32_e32 v55, vcc, v55, v59
	v_mul_hi_u32 v53, v47, v51
	v_addc_co_u32_e32 v55, vcc, v61, v57, vcc
	v_addc_co_u32_e32 v53, vcc, 0, v53, vcc
	v_mul_lo_u32 v51, v47, v51
	v_add_co_u32_e32 v51, vcc, v55, v51
	v_addc_co_u32_e32 v53, vcc, 0, v53, vcc
	v_add_co_u32_e32 v51, vcc, v46, v51
	v_addc_co_u32_e32 v53, vcc, v47, v53, vcc
	v_ashrrev_i32_e32 v55, 31, v49
	v_add_co_u32_e32 v46, vcc, v48, v55
	v_addc_co_u32_e32 v47, vcc, v49, v55, vcc
	v_xor_b32_e32 v59, v46, v55
	v_xor_b32_e32 v57, v47, v55
	v_mad_u64_u32 v[46:47], s[12:13], v59, v53, 0
	v_mul_hi_u32 v61, v59, v51
	v_add_co_u32_e32 v61, vcc, v61, v46
	v_addc_co_u32_e32 v64, vcc, 0, v47, vcc
	v_mad_u64_u32 v[62:63], s[12:13], v57, v51, 0
	v_add_co_u32_e32 v51, vcc, v61, v62
	v_mad_u64_u32 v[46:47], s[12:13], v57, v53, 0
	v_addc_co_u32_e32 v51, vcc, v64, v63, vcc
	v_addc_co_u32_e32 v47, vcc, 0, v47, vcc
	v_add_co_u32_e32 v51, vcc, v51, v46
	v_addc_co_u32_e32 v53, vcc, 0, v47, vcc
	v_mul_lo_u32 v61, s21, v51
	v_mul_lo_u32 v62, s20, v53
	v_mad_u64_u32 v[46:47], s[12:13], s20, v51, 0
	v_add3_u32 v47, v47, v62, v61
	v_sub_u32_e32 v61, v57, v47
	v_mov_b32_e32 v62, s21
	v_sub_co_u32_e32 v46, vcc, v59, v46
	v_subb_co_u32_e64 v59, s[12:13], v61, v62, vcc
	v_subrev_co_u32_e64 v61, s[12:13], s20, v46
	v_subbrev_co_u32_e64 v59, s[12:13], 0, v59, s[12:13]
	v_cmp_le_u32_e64 s[12:13], s21, v59
	v_cndmask_b32_e64 v62, 0, -1, s[12:13]
	v_cmp_le_u32_e64 s[12:13], s20, v61
	v_cndmask_b32_e64 v61, 0, -1, s[12:13]
	v_cmp_eq_u32_e64 s[12:13], s21, v59
	v_cndmask_b32_e64 v59, v62, v61, s[12:13]
	v_add_co_u32_e64 v61, s[12:13], 2, v51
	v_subb_co_u32_e32 v47, vcc, v57, v47, vcc
	v_addc_co_u32_e64 v62, s[12:13], 0, v53, s[12:13]
	v_cmp_le_u32_e32 vcc, s21, v47
	v_add_co_u32_e64 v63, s[12:13], 1, v51
	v_cndmask_b32_e64 v57, 0, -1, vcc
	v_cmp_le_u32_e32 vcc, s20, v46
	v_addc_co_u32_e64 v64, s[12:13], 0, v53, s[12:13]
	v_cndmask_b32_e64 v46, 0, -1, vcc
	v_cmp_eq_u32_e32 vcc, s21, v47
	v_cmp_ne_u32_e64 s[12:13], 0, v59
	v_cndmask_b32_e32 v46, v57, v46, vcc
	v_cndmask_b32_e64 v59, v64, v62, s[12:13]
	v_cmp_ne_u32_e32 vcc, 0, v46
	v_cndmask_b32_e64 v47, v63, v61, s[12:13]
	v_cndmask_b32_e32 v46, v53, v59, vcc
	v_cndmask_b32_e32 v47, v51, v47, vcc
	v_xor_b32_e32 v51, s18, v55
	v_xor_b32_e32 v53, v46, v51
	;; [unrolled: 1-line block ×3, first 2 shown]
	v_sub_co_u32_e32 v46, vcc, v46, v51
	v_subb_co_u32_e32 v47, vcc, v53, v51, vcc
.LBB1154_270:
	s_andn2_saveexec_b64 s[12:13], s[16:17]
	s_cbranch_execz .LBB1154_272
; %bb.271:
	v_cvt_f32_u32_e32 v46, s44
	s_sub_i32 s16, 0, s44
	v_rcp_iflag_f32_e32 v46, v46
	v_mul_f32_e32 v46, 0x4f7ffffe, v46
	v_cvt_u32_f32_e32 v46, v46
	v_mul_lo_u32 v47, s16, v46
	v_mul_hi_u32 v47, v46, v47
	v_add_u32_e32 v46, v46, v47
	v_mul_hi_u32 v46, v48, v46
	v_mul_lo_u32 v47, v46, s44
	v_sub_u32_e32 v47, v48, v47
	v_add_u32_e32 v51, 1, v46
	v_subrev_u32_e32 v53, s44, v47
	v_cmp_le_u32_e32 vcc, s44, v47
	v_cndmask_b32_e32 v47, v47, v53, vcc
	v_cndmask_b32_e32 v46, v46, v51, vcc
	v_add_u32_e32 v51, 1, v46
	v_cmp_le_u32_e32 vcc, s44, v47
	v_cndmask_b32_e32 v46, v46, v51, vcc
	v_mov_b32_e32 v47, 0
.LBB1154_272:
	s_or_b64 exec, exec, s[12:13]
	v_mul_lo_u32 v51, v47, s44
	v_mul_lo_u32 v53, v46, s45
	v_mad_u64_u32 v[62:63], s[12:13], v46, s44, 0
	v_add3_u32 v51, v63, v53, v51
	v_sub_co_u32_e32 v48, vcc, v48, v62
	v_subb_co_u32_e32 v49, vcc, v49, v51, vcc
	v_add_co_u32_e32 v46, vcc, v46, v48
	v_addc_co_u32_e32 v47, vcc, v47, v49, vcc
	s_or_b64 exec, exec, s[14:15]
                                        ; implicit-def: $vgpr48_vgpr49
	s_and_saveexec_b64 s[12:13], s[10:11]
	s_cbranch_execz .LBB1154_223
.LBB1154_273:
	v_mov_b32_e32 v49, s75
	v_add_co_u32_e32 v50, vcc, s74, v50
	v_addc_co_u32_e32 v51, vcc, 0, v49, vcc
	v_mov_b32_e32 v48, 0
	v_or_b32_e32 v49, s45, v51
	v_cmp_ne_u64_e32 vcc, 0, v[48:49]
                                        ; implicit-def: $vgpr48_vgpr49
	s_and_saveexec_b64 s[10:11], vcc
	s_xor_b64 s[14:15], exec, s[10:11]
	s_cbranch_execz .LBB1154_275
; %bb.274:
	s_ashr_i32 s16, s45, 31
	s_add_u32 s10, s44, s16
	s_mov_b32 s17, s16
	s_addc_u32 s11, s45, s16
	s_xor_b64 s[18:19], s[10:11], s[16:17]
	v_cvt_f32_u32_e32 v48, s18
	v_cvt_f32_u32_e32 v49, s19
	s_sub_u32 s10, 0, s18
	s_subb_u32 s11, 0, s19
	v_madmk_f32 v48, v49, 0x4f800000, v48
	v_rcp_f32_e32 v48, v48
	v_mul_f32_e32 v48, 0x5f7ffffc, v48
	v_mul_f32_e32 v49, 0x2f800000, v48
	v_trunc_f32_e32 v49, v49
	v_madmk_f32 v48, v49, 0xcf800000, v48
	v_cvt_u32_f32_e32 v49, v49
	v_cvt_u32_f32_e32 v48, v48
	v_mul_lo_u32 v53, s10, v49
	v_mul_hi_u32 v57, s10, v48
	v_mul_lo_u32 v55, s11, v48
	v_add_u32_e32 v53, v57, v53
	v_mul_lo_u32 v59, s10, v48
	v_add_u32_e32 v53, v53, v55
	v_mul_lo_u32 v57, v48, v53
	v_mul_hi_u32 v61, v48, v59
	v_mul_hi_u32 v55, v48, v53
	v_add_co_u32_e32 v57, vcc, v61, v57
	v_addc_co_u32_e32 v55, vcc, 0, v55, vcc
	v_mul_hi_u32 v62, v49, v59
	v_mul_lo_u32 v59, v49, v59
	v_add_co_u32_e32 v57, vcc, v57, v59
	v_mul_hi_u32 v61, v49, v53
	v_addc_co_u32_e32 v55, vcc, v55, v62, vcc
	v_addc_co_u32_e32 v57, vcc, 0, v61, vcc
	v_mul_lo_u32 v53, v49, v53
	v_add_co_u32_e32 v53, vcc, v55, v53
	v_addc_co_u32_e32 v55, vcc, 0, v57, vcc
	v_add_co_u32_e32 v48, vcc, v48, v53
	v_addc_co_u32_e32 v49, vcc, v49, v55, vcc
	v_mul_lo_u32 v53, s10, v49
	v_mul_hi_u32 v55, s10, v48
	v_add_u32_e32 v53, v55, v53
	v_mul_lo_u32 v55, s11, v48
	v_add_u32_e32 v53, v53, v55
	v_mul_lo_u32 v57, s10, v48
	v_mul_hi_u32 v59, v49, v57
	v_mul_lo_u32 v61, v49, v57
	v_mul_lo_u32 v63, v48, v53
	v_mul_hi_u32 v57, v48, v57
	v_mul_hi_u32 v62, v48, v53
	v_add_co_u32_e32 v57, vcc, v57, v63
	v_addc_co_u32_e32 v62, vcc, 0, v62, vcc
	v_add_co_u32_e32 v57, vcc, v57, v61
	v_mul_hi_u32 v55, v49, v53
	v_addc_co_u32_e32 v57, vcc, v62, v59, vcc
	v_addc_co_u32_e32 v55, vcc, 0, v55, vcc
	v_mul_lo_u32 v53, v49, v53
	v_add_co_u32_e32 v53, vcc, v57, v53
	v_addc_co_u32_e32 v55, vcc, 0, v55, vcc
	v_add_co_u32_e32 v53, vcc, v48, v53
	v_addc_co_u32_e32 v55, vcc, v49, v55, vcc
	v_ashrrev_i32_e32 v57, 31, v51
	v_add_co_u32_e32 v48, vcc, v50, v57
	v_addc_co_u32_e32 v49, vcc, v51, v57, vcc
	v_xor_b32_e32 v61, v48, v57
	v_xor_b32_e32 v59, v49, v57
	v_mad_u64_u32 v[48:49], s[10:11], v61, v55, 0
	v_mul_hi_u32 v62, v61, v53
	v_add_co_u32_e32 v64, vcc, v62, v48
	v_addc_co_u32_e32 v65, vcc, 0, v49, vcc
	v_mad_u64_u32 v[62:63], s[10:11], v59, v53, 0
	v_add_co_u32_e32 v53, vcc, v64, v62
	v_mad_u64_u32 v[48:49], s[10:11], v59, v55, 0
	v_addc_co_u32_e32 v53, vcc, v65, v63, vcc
	v_addc_co_u32_e32 v49, vcc, 0, v49, vcc
	v_add_co_u32_e32 v53, vcc, v53, v48
	v_addc_co_u32_e32 v55, vcc, 0, v49, vcc
	v_mul_lo_u32 v62, s19, v53
	v_mul_lo_u32 v63, s18, v55
	v_mad_u64_u32 v[48:49], s[10:11], s18, v53, 0
	v_add3_u32 v49, v49, v63, v62
	v_sub_u32_e32 v62, v59, v49
	v_mov_b32_e32 v63, s19
	v_sub_co_u32_e32 v48, vcc, v61, v48
	v_subb_co_u32_e64 v61, s[10:11], v62, v63, vcc
	v_subrev_co_u32_e64 v62, s[10:11], s18, v48
	v_subbrev_co_u32_e64 v61, s[10:11], 0, v61, s[10:11]
	v_cmp_le_u32_e64 s[10:11], s19, v61
	v_cndmask_b32_e64 v63, 0, -1, s[10:11]
	v_cmp_le_u32_e64 s[10:11], s18, v62
	v_cndmask_b32_e64 v62, 0, -1, s[10:11]
	v_cmp_eq_u32_e64 s[10:11], s19, v61
	v_cndmask_b32_e64 v61, v63, v62, s[10:11]
	v_add_co_u32_e64 v62, s[10:11], 2, v53
	v_subb_co_u32_e32 v49, vcc, v59, v49, vcc
	v_addc_co_u32_e64 v63, s[10:11], 0, v55, s[10:11]
	v_cmp_le_u32_e32 vcc, s19, v49
	v_add_co_u32_e64 v64, s[10:11], 1, v53
	v_cndmask_b32_e64 v59, 0, -1, vcc
	v_cmp_le_u32_e32 vcc, s18, v48
	v_addc_co_u32_e64 v65, s[10:11], 0, v55, s[10:11]
	v_cndmask_b32_e64 v48, 0, -1, vcc
	v_cmp_eq_u32_e32 vcc, s19, v49
	v_cmp_ne_u32_e64 s[10:11], 0, v61
	v_cndmask_b32_e32 v48, v59, v48, vcc
	v_cndmask_b32_e64 v61, v65, v63, s[10:11]
	v_cmp_ne_u32_e32 vcc, 0, v48
	v_cndmask_b32_e64 v49, v64, v62, s[10:11]
	v_cndmask_b32_e32 v48, v55, v61, vcc
	v_cndmask_b32_e32 v49, v53, v49, vcc
	v_xor_b32_e32 v53, s16, v57
	v_xor_b32_e32 v55, v48, v53
	;; [unrolled: 1-line block ×3, first 2 shown]
	v_sub_co_u32_e32 v48, vcc, v48, v53
	v_subb_co_u32_e32 v49, vcc, v55, v53, vcc
.LBB1154_275:
	s_andn2_saveexec_b64 s[10:11], s[14:15]
	s_cbranch_execz .LBB1154_277
; %bb.276:
	v_cvt_f32_u32_e32 v48, s44
	s_sub_i32 s14, 0, s44
	v_rcp_iflag_f32_e32 v48, v48
	v_mul_f32_e32 v48, 0x4f7ffffe, v48
	v_cvt_u32_f32_e32 v48, v48
	v_mul_lo_u32 v49, s14, v48
	v_mul_hi_u32 v49, v48, v49
	v_add_u32_e32 v48, v48, v49
	v_mul_hi_u32 v48, v50, v48
	v_mul_lo_u32 v49, v48, s44
	v_sub_u32_e32 v49, v50, v49
	v_add_u32_e32 v53, 1, v48
	v_subrev_u32_e32 v55, s44, v49
	v_cmp_le_u32_e32 vcc, s44, v49
	v_cndmask_b32_e32 v49, v49, v55, vcc
	v_cndmask_b32_e32 v48, v48, v53, vcc
	v_add_u32_e32 v53, 1, v48
	v_cmp_le_u32_e32 vcc, s44, v49
	v_cndmask_b32_e32 v48, v48, v53, vcc
	v_mov_b32_e32 v49, 0
.LBB1154_277:
	s_or_b64 exec, exec, s[10:11]
	v_mul_lo_u32 v53, v49, s44
	v_mul_lo_u32 v55, v48, s45
	v_mad_u64_u32 v[62:63], s[10:11], v48, s44, 0
	v_add3_u32 v53, v63, v55, v53
	v_sub_co_u32_e32 v50, vcc, v50, v62
	v_subb_co_u32_e32 v51, vcc, v51, v53, vcc
	v_add_co_u32_e32 v48, vcc, v48, v50
	v_addc_co_u32_e32 v49, vcc, v49, v51, vcc
	s_or_b64 exec, exec, s[12:13]
                                        ; implicit-def: $vgpr50_vgpr51
	s_and_saveexec_b64 s[10:11], s[8:9]
	s_cbranch_execz .LBB1154_224
.LBB1154_278:
	v_mov_b32_e32 v51, s75
	v_add_co_u32_e32 v52, vcc, s74, v52
	v_addc_co_u32_e32 v53, vcc, 0, v51, vcc
	v_mov_b32_e32 v50, 0
	v_or_b32_e32 v51, s45, v53
	v_cmp_ne_u64_e32 vcc, 0, v[50:51]
                                        ; implicit-def: $vgpr50_vgpr51
	s_and_saveexec_b64 s[8:9], vcc
	s_xor_b64 s[12:13], exec, s[8:9]
	s_cbranch_execz .LBB1154_280
; %bb.279:
	s_ashr_i32 s14, s45, 31
	s_add_u32 s8, s44, s14
	s_mov_b32 s15, s14
	s_addc_u32 s9, s45, s14
	s_xor_b64 s[16:17], s[8:9], s[14:15]
	v_cvt_f32_u32_e32 v50, s16
	v_cvt_f32_u32_e32 v51, s17
	s_sub_u32 s8, 0, s16
	s_subb_u32 s9, 0, s17
	v_madmk_f32 v50, v51, 0x4f800000, v50
	v_rcp_f32_e32 v50, v50
	v_mul_f32_e32 v50, 0x5f7ffffc, v50
	v_mul_f32_e32 v51, 0x2f800000, v50
	v_trunc_f32_e32 v51, v51
	v_madmk_f32 v50, v51, 0xcf800000, v50
	v_cvt_u32_f32_e32 v51, v51
	v_cvt_u32_f32_e32 v50, v50
	v_mul_lo_u32 v55, s8, v51
	v_mul_hi_u32 v59, s8, v50
	v_mul_lo_u32 v57, s9, v50
	v_add_u32_e32 v55, v59, v55
	v_mul_lo_u32 v61, s8, v50
	v_add_u32_e32 v55, v55, v57
	v_mul_lo_u32 v59, v50, v55
	v_mul_hi_u32 v62, v50, v61
	v_mul_hi_u32 v57, v50, v55
	v_add_co_u32_e32 v59, vcc, v62, v59
	v_addc_co_u32_e32 v57, vcc, 0, v57, vcc
	v_mul_hi_u32 v63, v51, v61
	v_mul_lo_u32 v61, v51, v61
	v_add_co_u32_e32 v59, vcc, v59, v61
	v_mul_hi_u32 v62, v51, v55
	v_addc_co_u32_e32 v57, vcc, v57, v63, vcc
	v_addc_co_u32_e32 v59, vcc, 0, v62, vcc
	v_mul_lo_u32 v55, v51, v55
	v_add_co_u32_e32 v55, vcc, v57, v55
	v_addc_co_u32_e32 v57, vcc, 0, v59, vcc
	v_add_co_u32_e32 v50, vcc, v50, v55
	v_addc_co_u32_e32 v51, vcc, v51, v57, vcc
	v_mul_lo_u32 v55, s8, v51
	v_mul_hi_u32 v57, s8, v50
	v_add_u32_e32 v55, v57, v55
	v_mul_lo_u32 v57, s9, v50
	v_add_u32_e32 v55, v55, v57
	v_mul_lo_u32 v59, s8, v50
	v_mul_hi_u32 v61, v51, v59
	v_mul_lo_u32 v62, v51, v59
	v_mul_lo_u32 v64, v50, v55
	v_mul_hi_u32 v59, v50, v59
	v_mul_hi_u32 v63, v50, v55
	v_add_co_u32_e32 v59, vcc, v59, v64
	v_addc_co_u32_e32 v63, vcc, 0, v63, vcc
	v_add_co_u32_e32 v59, vcc, v59, v62
	v_mul_hi_u32 v57, v51, v55
	v_addc_co_u32_e32 v59, vcc, v63, v61, vcc
	v_addc_co_u32_e32 v57, vcc, 0, v57, vcc
	v_mul_lo_u32 v55, v51, v55
	v_add_co_u32_e32 v55, vcc, v59, v55
	v_addc_co_u32_e32 v57, vcc, 0, v57, vcc
	v_add_co_u32_e32 v55, vcc, v50, v55
	v_addc_co_u32_e32 v57, vcc, v51, v57, vcc
	v_ashrrev_i32_e32 v59, 31, v53
	v_add_co_u32_e32 v50, vcc, v52, v59
	v_addc_co_u32_e32 v51, vcc, v53, v59, vcc
	v_xor_b32_e32 v64, v50, v59
	v_xor_b32_e32 v61, v51, v59
	v_mad_u64_u32 v[50:51], s[8:9], v64, v57, 0
	v_mul_hi_u32 v62, v64, v55
	v_add_co_u32_e32 v65, vcc, v62, v50
	v_addc_co_u32_e32 v66, vcc, 0, v51, vcc
	v_mad_u64_u32 v[62:63], s[8:9], v61, v55, 0
	v_add_co_u32_e32 v55, vcc, v65, v62
	v_mad_u64_u32 v[50:51], s[8:9], v61, v57, 0
	v_addc_co_u32_e32 v55, vcc, v66, v63, vcc
	v_addc_co_u32_e32 v51, vcc, 0, v51, vcc
	v_add_co_u32_e32 v55, vcc, v55, v50
	v_addc_co_u32_e32 v57, vcc, 0, v51, vcc
	v_mul_lo_u32 v62, s17, v55
	v_mul_lo_u32 v63, s16, v57
	v_mad_u64_u32 v[50:51], s[8:9], s16, v55, 0
	v_add3_u32 v51, v51, v63, v62
	v_sub_u32_e32 v62, v61, v51
	v_mov_b32_e32 v63, s17
	v_sub_co_u32_e32 v50, vcc, v64, v50
	v_subb_co_u32_e64 v62, s[8:9], v62, v63, vcc
	v_subrev_co_u32_e64 v63, s[8:9], s16, v50
	v_subbrev_co_u32_e64 v62, s[8:9], 0, v62, s[8:9]
	v_cmp_le_u32_e64 s[8:9], s17, v62
	v_cndmask_b32_e64 v64, 0, -1, s[8:9]
	v_cmp_le_u32_e64 s[8:9], s16, v63
	v_cndmask_b32_e64 v63, 0, -1, s[8:9]
	v_cmp_eq_u32_e64 s[8:9], s17, v62
	v_cndmask_b32_e64 v62, v64, v63, s[8:9]
	v_add_co_u32_e64 v63, s[8:9], 2, v55
	v_subb_co_u32_e32 v51, vcc, v61, v51, vcc
	v_addc_co_u32_e64 v64, s[8:9], 0, v57, s[8:9]
	v_cmp_le_u32_e32 vcc, s17, v51
	v_add_co_u32_e64 v65, s[8:9], 1, v55
	v_cndmask_b32_e64 v61, 0, -1, vcc
	v_cmp_le_u32_e32 vcc, s16, v50
	v_addc_co_u32_e64 v66, s[8:9], 0, v57, s[8:9]
	v_cndmask_b32_e64 v50, 0, -1, vcc
	v_cmp_eq_u32_e32 vcc, s17, v51
	v_cmp_ne_u32_e64 s[8:9], 0, v62
	v_cndmask_b32_e32 v50, v61, v50, vcc
	v_cndmask_b32_e64 v62, v66, v64, s[8:9]
	v_cmp_ne_u32_e32 vcc, 0, v50
	v_cndmask_b32_e64 v51, v65, v63, s[8:9]
	v_cndmask_b32_e32 v50, v57, v62, vcc
	v_cndmask_b32_e32 v51, v55, v51, vcc
	v_xor_b32_e32 v55, s14, v59
	v_xor_b32_e32 v57, v50, v55
	;; [unrolled: 1-line block ×3, first 2 shown]
	v_sub_co_u32_e32 v50, vcc, v50, v55
	v_subb_co_u32_e32 v51, vcc, v57, v55, vcc
.LBB1154_280:
	s_andn2_saveexec_b64 s[8:9], s[12:13]
	s_cbranch_execz .LBB1154_282
; %bb.281:
	v_cvt_f32_u32_e32 v50, s44
	s_sub_i32 s12, 0, s44
	v_rcp_iflag_f32_e32 v50, v50
	v_mul_f32_e32 v50, 0x4f7ffffe, v50
	v_cvt_u32_f32_e32 v50, v50
	v_mul_lo_u32 v51, s12, v50
	v_mul_hi_u32 v51, v50, v51
	v_add_u32_e32 v50, v50, v51
	v_mul_hi_u32 v50, v52, v50
	v_mul_lo_u32 v51, v50, s44
	v_sub_u32_e32 v51, v52, v51
	v_add_u32_e32 v55, 1, v50
	v_subrev_u32_e32 v57, s44, v51
	v_cmp_le_u32_e32 vcc, s44, v51
	v_cndmask_b32_e32 v51, v51, v57, vcc
	v_cndmask_b32_e32 v50, v50, v55, vcc
	v_add_u32_e32 v55, 1, v50
	v_cmp_le_u32_e32 vcc, s44, v51
	v_cndmask_b32_e32 v50, v50, v55, vcc
	v_mov_b32_e32 v51, 0
.LBB1154_282:
	s_or_b64 exec, exec, s[8:9]
	v_mul_lo_u32 v55, v51, s44
	v_mul_lo_u32 v57, v50, s45
	v_mad_u64_u32 v[62:63], s[8:9], v50, s44, 0
	v_add3_u32 v55, v63, v57, v55
	v_sub_co_u32_e32 v52, vcc, v52, v62
	v_subb_co_u32_e32 v53, vcc, v53, v55, vcc
	v_add_co_u32_e32 v50, vcc, v50, v52
	v_addc_co_u32_e32 v51, vcc, v51, v53, vcc
	s_or_b64 exec, exec, s[10:11]
                                        ; implicit-def: $vgpr52_vgpr53
	s_and_saveexec_b64 s[10:11], s[30:31]
	s_cbranch_execz .LBB1154_225
.LBB1154_283:
	v_mov_b32_e32 v53, s75
	v_add_co_u32_e32 v54, vcc, s74, v54
	v_addc_co_u32_e32 v55, vcc, 0, v53, vcc
	v_mov_b32_e32 v52, 0
	v_or_b32_e32 v53, s45, v55
	v_cmp_ne_u64_e32 vcc, 0, v[52:53]
                                        ; implicit-def: $vgpr52_vgpr53
	s_and_saveexec_b64 s[8:9], vcc
	s_xor_b64 s[12:13], exec, s[8:9]
	s_cbranch_execz .LBB1154_285
; %bb.284:
	s_ashr_i32 s14, s45, 31
	s_add_u32 s8, s44, s14
	s_mov_b32 s15, s14
	s_addc_u32 s9, s45, s14
	s_xor_b64 s[16:17], s[8:9], s[14:15]
	v_cvt_f32_u32_e32 v52, s16
	v_cvt_f32_u32_e32 v53, s17
	s_sub_u32 s8, 0, s16
	s_subb_u32 s9, 0, s17
	v_madmk_f32 v52, v53, 0x4f800000, v52
	v_rcp_f32_e32 v52, v52
	v_mul_f32_e32 v52, 0x5f7ffffc, v52
	v_mul_f32_e32 v53, 0x2f800000, v52
	v_trunc_f32_e32 v53, v53
	v_madmk_f32 v52, v53, 0xcf800000, v52
	v_cvt_u32_f32_e32 v53, v53
	v_cvt_u32_f32_e32 v52, v52
	v_mul_lo_u32 v57, s8, v53
	v_mul_hi_u32 v61, s8, v52
	v_mul_lo_u32 v59, s9, v52
	v_add_u32_e32 v57, v61, v57
	v_mul_lo_u32 v62, s8, v52
	v_add_u32_e32 v57, v57, v59
	v_mul_lo_u32 v61, v52, v57
	v_mul_hi_u32 v63, v52, v62
	v_mul_hi_u32 v59, v52, v57
	v_add_co_u32_e32 v61, vcc, v63, v61
	v_addc_co_u32_e32 v59, vcc, 0, v59, vcc
	v_mul_hi_u32 v64, v53, v62
	v_mul_lo_u32 v62, v53, v62
	v_add_co_u32_e32 v61, vcc, v61, v62
	v_mul_hi_u32 v63, v53, v57
	v_addc_co_u32_e32 v59, vcc, v59, v64, vcc
	v_addc_co_u32_e32 v61, vcc, 0, v63, vcc
	v_mul_lo_u32 v57, v53, v57
	v_add_co_u32_e32 v57, vcc, v59, v57
	v_addc_co_u32_e32 v59, vcc, 0, v61, vcc
	v_add_co_u32_e32 v52, vcc, v52, v57
	v_addc_co_u32_e32 v53, vcc, v53, v59, vcc
	v_mul_lo_u32 v57, s8, v53
	v_mul_hi_u32 v59, s8, v52
	v_add_u32_e32 v57, v59, v57
	v_mul_lo_u32 v59, s9, v52
	v_add_u32_e32 v57, v57, v59
	v_mul_lo_u32 v61, s8, v52
	v_mul_hi_u32 v62, v53, v61
	v_mul_lo_u32 v63, v53, v61
	v_mul_lo_u32 v65, v52, v57
	v_mul_hi_u32 v61, v52, v61
	v_mul_hi_u32 v64, v52, v57
	v_add_co_u32_e32 v61, vcc, v61, v65
	v_addc_co_u32_e32 v64, vcc, 0, v64, vcc
	v_add_co_u32_e32 v61, vcc, v61, v63
	v_mul_hi_u32 v59, v53, v57
	v_addc_co_u32_e32 v61, vcc, v64, v62, vcc
	v_addc_co_u32_e32 v59, vcc, 0, v59, vcc
	v_mul_lo_u32 v57, v53, v57
	v_add_co_u32_e32 v57, vcc, v61, v57
	v_addc_co_u32_e32 v59, vcc, 0, v59, vcc
	v_add_co_u32_e32 v57, vcc, v52, v57
	v_addc_co_u32_e32 v59, vcc, v53, v59, vcc
	v_ashrrev_i32_e32 v61, 31, v55
	v_add_co_u32_e32 v52, vcc, v54, v61
	v_addc_co_u32_e32 v53, vcc, v55, v61, vcc
	v_xor_b32_e32 v65, v52, v61
	v_xor_b32_e32 v64, v53, v61
	v_mad_u64_u32 v[52:53], s[8:9], v65, v59, 0
	v_mul_hi_u32 v62, v65, v57
	v_add_co_u32_e32 v66, vcc, v62, v52
	v_addc_co_u32_e32 v67, vcc, 0, v53, vcc
	v_mad_u64_u32 v[62:63], s[8:9], v64, v57, 0
	v_add_co_u32_e32 v57, vcc, v66, v62
	v_mad_u64_u32 v[52:53], s[8:9], v64, v59, 0
	v_addc_co_u32_e32 v57, vcc, v67, v63, vcc
	v_addc_co_u32_e32 v53, vcc, 0, v53, vcc
	v_add_co_u32_e32 v57, vcc, v57, v52
	v_addc_co_u32_e32 v59, vcc, 0, v53, vcc
	v_mul_lo_u32 v62, s17, v57
	v_mul_lo_u32 v63, s16, v59
	v_mad_u64_u32 v[52:53], s[8:9], s16, v57, 0
	v_add3_u32 v53, v53, v63, v62
	v_sub_u32_e32 v62, v64, v53
	v_mov_b32_e32 v63, s17
	v_sub_co_u32_e32 v52, vcc, v65, v52
	v_subb_co_u32_e64 v62, s[8:9], v62, v63, vcc
	v_subrev_co_u32_e64 v63, s[8:9], s16, v52
	v_subbrev_co_u32_e64 v62, s[8:9], 0, v62, s[8:9]
	v_cmp_le_u32_e64 s[8:9], s17, v62
	v_cndmask_b32_e64 v65, 0, -1, s[8:9]
	v_cmp_le_u32_e64 s[8:9], s16, v63
	v_cndmask_b32_e64 v63, 0, -1, s[8:9]
	v_cmp_eq_u32_e64 s[8:9], s17, v62
	v_cndmask_b32_e64 v62, v65, v63, s[8:9]
	v_add_co_u32_e64 v63, s[8:9], 2, v57
	v_subb_co_u32_e32 v53, vcc, v64, v53, vcc
	v_addc_co_u32_e64 v65, s[8:9], 0, v59, s[8:9]
	v_cmp_le_u32_e32 vcc, s17, v53
	v_add_co_u32_e64 v66, s[8:9], 1, v57
	v_cndmask_b32_e64 v64, 0, -1, vcc
	v_cmp_le_u32_e32 vcc, s16, v52
	v_addc_co_u32_e64 v67, s[8:9], 0, v59, s[8:9]
	v_cndmask_b32_e64 v52, 0, -1, vcc
	v_cmp_eq_u32_e32 vcc, s17, v53
	v_cmp_ne_u32_e64 s[8:9], 0, v62
	v_cndmask_b32_e32 v52, v64, v52, vcc
	v_cndmask_b32_e64 v62, v67, v65, s[8:9]
	v_cmp_ne_u32_e32 vcc, 0, v52
	v_cndmask_b32_e64 v53, v66, v63, s[8:9]
	v_cndmask_b32_e32 v52, v59, v62, vcc
	v_cndmask_b32_e32 v53, v57, v53, vcc
	v_xor_b32_e32 v57, s14, v61
	v_xor_b32_e32 v59, v52, v57
	;; [unrolled: 1-line block ×3, first 2 shown]
	v_sub_co_u32_e32 v52, vcc, v52, v57
	v_subb_co_u32_e32 v53, vcc, v59, v57, vcc
.LBB1154_285:
	s_andn2_saveexec_b64 s[8:9], s[12:13]
	s_cbranch_execz .LBB1154_287
; %bb.286:
	v_cvt_f32_u32_e32 v52, s44
	s_sub_i32 s12, 0, s44
	v_rcp_iflag_f32_e32 v52, v52
	v_mul_f32_e32 v52, 0x4f7ffffe, v52
	v_cvt_u32_f32_e32 v52, v52
	v_mul_lo_u32 v53, s12, v52
	v_mul_hi_u32 v53, v52, v53
	v_add_u32_e32 v52, v52, v53
	v_mul_hi_u32 v52, v54, v52
	v_mul_lo_u32 v53, v52, s44
	v_sub_u32_e32 v53, v54, v53
	v_add_u32_e32 v57, 1, v52
	v_subrev_u32_e32 v59, s44, v53
	v_cmp_le_u32_e32 vcc, s44, v53
	v_cndmask_b32_e32 v53, v53, v59, vcc
	v_cndmask_b32_e32 v52, v52, v57, vcc
	v_add_u32_e32 v57, 1, v52
	v_cmp_le_u32_e32 vcc, s44, v53
	v_cndmask_b32_e32 v52, v52, v57, vcc
	v_mov_b32_e32 v53, 0
.LBB1154_287:
	s_or_b64 exec, exec, s[8:9]
	v_mul_lo_u32 v57, v53, s44
	v_mul_lo_u32 v59, v52, s45
	v_mad_u64_u32 v[62:63], s[8:9], v52, s44, 0
	v_add3_u32 v57, v63, v59, v57
	v_sub_co_u32_e32 v54, vcc, v54, v62
	v_subb_co_u32_e32 v55, vcc, v55, v57, vcc
	v_add_co_u32_e32 v52, vcc, v52, v54
	v_addc_co_u32_e32 v53, vcc, v53, v55, vcc
	s_or_b64 exec, exec, s[10:11]
                                        ; implicit-def: $vgpr54_vgpr55
	s_and_saveexec_b64 s[8:9], s[4:5]
	s_cbranch_execz .LBB1154_226
.LBB1154_288:
	v_mov_b32_e32 v55, s75
	v_add_co_u32_e32 v56, vcc, s74, v56
	v_addc_co_u32_e32 v57, vcc, 0, v55, vcc
	v_mov_b32_e32 v54, 0
	v_or_b32_e32 v55, s45, v57
	v_cmp_ne_u64_e32 vcc, 0, v[54:55]
                                        ; implicit-def: $vgpr54_vgpr55
	s_and_saveexec_b64 s[4:5], vcc
	s_xor_b64 s[10:11], exec, s[4:5]
	s_cbranch_execz .LBB1154_290
; %bb.289:
	s_ashr_i32 s12, s45, 31
	s_add_u32 s4, s44, s12
	s_mov_b32 s13, s12
	s_addc_u32 s5, s45, s12
	s_xor_b64 s[14:15], s[4:5], s[12:13]
	v_cvt_f32_u32_e32 v54, s14
	v_cvt_f32_u32_e32 v55, s15
	s_sub_u32 s4, 0, s14
	s_subb_u32 s5, 0, s15
	v_madmk_f32 v54, v55, 0x4f800000, v54
	v_rcp_f32_e32 v54, v54
	v_mul_f32_e32 v54, 0x5f7ffffc, v54
	v_mul_f32_e32 v55, 0x2f800000, v54
	v_trunc_f32_e32 v55, v55
	v_madmk_f32 v54, v55, 0xcf800000, v54
	v_cvt_u32_f32_e32 v55, v55
	v_cvt_u32_f32_e32 v54, v54
	v_mul_lo_u32 v59, s4, v55
	v_mul_hi_u32 v62, s4, v54
	v_mul_lo_u32 v61, s5, v54
	v_add_u32_e32 v59, v62, v59
	v_mul_lo_u32 v63, s4, v54
	v_add_u32_e32 v59, v59, v61
	v_mul_lo_u32 v62, v54, v59
	v_mul_hi_u32 v64, v54, v63
	v_mul_hi_u32 v61, v54, v59
	v_add_co_u32_e32 v62, vcc, v64, v62
	v_addc_co_u32_e32 v61, vcc, 0, v61, vcc
	v_mul_hi_u32 v65, v55, v63
	v_mul_lo_u32 v63, v55, v63
	v_add_co_u32_e32 v62, vcc, v62, v63
	v_mul_hi_u32 v64, v55, v59
	v_addc_co_u32_e32 v61, vcc, v61, v65, vcc
	v_addc_co_u32_e32 v62, vcc, 0, v64, vcc
	v_mul_lo_u32 v59, v55, v59
	v_add_co_u32_e32 v59, vcc, v61, v59
	v_addc_co_u32_e32 v61, vcc, 0, v62, vcc
	v_add_co_u32_e32 v54, vcc, v54, v59
	v_addc_co_u32_e32 v55, vcc, v55, v61, vcc
	v_mul_lo_u32 v59, s4, v55
	v_mul_hi_u32 v61, s4, v54
	v_add_u32_e32 v59, v61, v59
	v_mul_lo_u32 v61, s5, v54
	v_add_u32_e32 v59, v59, v61
	v_mul_lo_u32 v62, s4, v54
	v_mul_hi_u32 v63, v55, v62
	v_mul_lo_u32 v64, v55, v62
	v_mul_lo_u32 v66, v54, v59
	v_mul_hi_u32 v62, v54, v62
	v_mul_hi_u32 v65, v54, v59
	v_add_co_u32_e32 v62, vcc, v62, v66
	v_addc_co_u32_e32 v65, vcc, 0, v65, vcc
	v_add_co_u32_e32 v62, vcc, v62, v64
	v_mul_hi_u32 v61, v55, v59
	v_addc_co_u32_e32 v62, vcc, v65, v63, vcc
	v_addc_co_u32_e32 v61, vcc, 0, v61, vcc
	v_mul_lo_u32 v59, v55, v59
	v_add_co_u32_e32 v59, vcc, v62, v59
	v_addc_co_u32_e32 v61, vcc, 0, v61, vcc
	v_add_co_u32_e32 v59, vcc, v54, v59
	v_addc_co_u32_e32 v61, vcc, v55, v61, vcc
	v_ashrrev_i32_e32 v64, 31, v57
	v_add_co_u32_e32 v54, vcc, v56, v64
	v_addc_co_u32_e32 v55, vcc, v57, v64, vcc
	v_xor_b32_e32 v66, v54, v64
	v_xor_b32_e32 v65, v55, v64
	v_mad_u64_u32 v[54:55], s[4:5], v66, v61, 0
	v_mul_hi_u32 v62, v66, v59
	v_add_co_u32_e32 v67, vcc, v62, v54
	v_addc_co_u32_e32 v68, vcc, 0, v55, vcc
	v_mad_u64_u32 v[62:63], s[4:5], v65, v59, 0
	v_add_co_u32_e32 v59, vcc, v67, v62
	v_mad_u64_u32 v[54:55], s[4:5], v65, v61, 0
	v_addc_co_u32_e32 v59, vcc, v68, v63, vcc
	v_addc_co_u32_e32 v55, vcc, 0, v55, vcc
	v_add_co_u32_e32 v59, vcc, v59, v54
	v_addc_co_u32_e32 v61, vcc, 0, v55, vcc
	v_mul_lo_u32 v62, s15, v59
	v_mul_lo_u32 v63, s14, v61
	v_mad_u64_u32 v[54:55], s[4:5], s14, v59, 0
	v_add3_u32 v55, v55, v63, v62
	v_sub_u32_e32 v62, v65, v55
	v_mov_b32_e32 v63, s15
	v_sub_co_u32_e32 v54, vcc, v66, v54
	v_subb_co_u32_e64 v62, s[4:5], v62, v63, vcc
	v_subrev_co_u32_e64 v63, s[4:5], s14, v54
	v_subbrev_co_u32_e64 v62, s[4:5], 0, v62, s[4:5]
	v_cmp_le_u32_e64 s[4:5], s15, v62
	v_cndmask_b32_e64 v66, 0, -1, s[4:5]
	v_cmp_le_u32_e64 s[4:5], s14, v63
	v_cndmask_b32_e64 v63, 0, -1, s[4:5]
	v_cmp_eq_u32_e64 s[4:5], s15, v62
	v_cndmask_b32_e64 v62, v66, v63, s[4:5]
	v_add_co_u32_e64 v63, s[4:5], 2, v59
	v_subb_co_u32_e32 v55, vcc, v65, v55, vcc
	v_addc_co_u32_e64 v66, s[4:5], 0, v61, s[4:5]
	v_cmp_le_u32_e32 vcc, s15, v55
	v_add_co_u32_e64 v67, s[4:5], 1, v59
	v_cndmask_b32_e64 v65, 0, -1, vcc
	v_cmp_le_u32_e32 vcc, s14, v54
	v_addc_co_u32_e64 v68, s[4:5], 0, v61, s[4:5]
	v_cndmask_b32_e64 v54, 0, -1, vcc
	v_cmp_eq_u32_e32 vcc, s15, v55
	v_cmp_ne_u32_e64 s[4:5], 0, v62
	v_cndmask_b32_e32 v54, v65, v54, vcc
	v_cndmask_b32_e64 v62, v68, v66, s[4:5]
	v_cmp_ne_u32_e32 vcc, 0, v54
	v_cndmask_b32_e64 v55, v67, v63, s[4:5]
	v_cndmask_b32_e32 v54, v61, v62, vcc
	v_cndmask_b32_e32 v55, v59, v55, vcc
	v_xor_b32_e32 v59, s12, v64
	v_xor_b32_e32 v61, v54, v59
	;; [unrolled: 1-line block ×3, first 2 shown]
	v_sub_co_u32_e32 v54, vcc, v54, v59
	v_subb_co_u32_e32 v55, vcc, v61, v59, vcc
.LBB1154_290:
	s_andn2_saveexec_b64 s[4:5], s[10:11]
	s_cbranch_execz .LBB1154_292
; %bb.291:
	v_cvt_f32_u32_e32 v54, s44
	s_sub_i32 s10, 0, s44
	v_rcp_iflag_f32_e32 v54, v54
	v_mul_f32_e32 v54, 0x4f7ffffe, v54
	v_cvt_u32_f32_e32 v54, v54
	v_mul_lo_u32 v55, s10, v54
	v_mul_hi_u32 v55, v54, v55
	v_add_u32_e32 v54, v54, v55
	v_mul_hi_u32 v54, v56, v54
	v_mul_lo_u32 v55, v54, s44
	v_sub_u32_e32 v55, v56, v55
	v_add_u32_e32 v59, 1, v54
	v_subrev_u32_e32 v61, s44, v55
	v_cmp_le_u32_e32 vcc, s44, v55
	v_cndmask_b32_e32 v55, v55, v61, vcc
	v_cndmask_b32_e32 v54, v54, v59, vcc
	v_add_u32_e32 v59, 1, v54
	v_cmp_le_u32_e32 vcc, s44, v55
	v_cndmask_b32_e32 v54, v54, v59, vcc
	v_mov_b32_e32 v55, 0
.LBB1154_292:
	s_or_b64 exec, exec, s[4:5]
	v_mul_lo_u32 v59, v55, s44
	v_mul_lo_u32 v61, v54, s45
	v_mad_u64_u32 v[62:63], s[4:5], v54, s44, 0
	v_add3_u32 v59, v63, v61, v59
	v_sub_co_u32_e32 v56, vcc, v56, v62
	v_subb_co_u32_e32 v57, vcc, v57, v59, vcc
	v_add_co_u32_e32 v54, vcc, v54, v56
	v_addc_co_u32_e32 v55, vcc, v55, v57, vcc
	s_or_b64 exec, exec, s[8:9]
                                        ; implicit-def: $vgpr56_vgpr57
	s_and_saveexec_b64 s[4:5], s[2:3]
	s_cbranch_execz .LBB1154_227
.LBB1154_293:
	v_mov_b32_e32 v57, s75
	v_add_co_u32_e32 v58, vcc, s74, v58
	v_addc_co_u32_e32 v59, vcc, 0, v57, vcc
	v_mov_b32_e32 v56, 0
	v_or_b32_e32 v57, s45, v59
	v_cmp_ne_u64_e32 vcc, 0, v[56:57]
                                        ; implicit-def: $vgpr56_vgpr57
	s_and_saveexec_b64 s[2:3], vcc
	s_xor_b64 s[8:9], exec, s[2:3]
	s_cbranch_execz .LBB1154_295
; %bb.294:
	s_ashr_i32 s10, s45, 31
	s_add_u32 s2, s44, s10
	s_mov_b32 s11, s10
	s_addc_u32 s3, s45, s10
	s_xor_b64 s[12:13], s[2:3], s[10:11]
	v_cvt_f32_u32_e32 v56, s12
	v_cvt_f32_u32_e32 v57, s13
	s_sub_u32 s2, 0, s12
	s_subb_u32 s3, 0, s13
	v_madmk_f32 v56, v57, 0x4f800000, v56
	v_rcp_f32_e32 v56, v56
	v_mul_f32_e32 v56, 0x5f7ffffc, v56
	v_mul_f32_e32 v57, 0x2f800000, v56
	v_trunc_f32_e32 v57, v57
	v_madmk_f32 v56, v57, 0xcf800000, v56
	v_cvt_u32_f32_e32 v57, v57
	v_cvt_u32_f32_e32 v56, v56
	v_mul_lo_u32 v61, s2, v57
	v_mul_hi_u32 v63, s2, v56
	v_mul_lo_u32 v62, s3, v56
	v_add_u32_e32 v61, v63, v61
	v_mul_lo_u32 v64, s2, v56
	v_add_u32_e32 v61, v61, v62
	v_mul_lo_u32 v63, v56, v61
	v_mul_hi_u32 v65, v56, v64
	v_mul_hi_u32 v62, v56, v61
	v_add_co_u32_e32 v63, vcc, v65, v63
	v_addc_co_u32_e32 v62, vcc, 0, v62, vcc
	v_mul_hi_u32 v66, v57, v64
	v_mul_lo_u32 v64, v57, v64
	v_add_co_u32_e32 v63, vcc, v63, v64
	v_mul_hi_u32 v65, v57, v61
	v_addc_co_u32_e32 v62, vcc, v62, v66, vcc
	v_addc_co_u32_e32 v63, vcc, 0, v65, vcc
	v_mul_lo_u32 v61, v57, v61
	v_add_co_u32_e32 v61, vcc, v62, v61
	v_addc_co_u32_e32 v62, vcc, 0, v63, vcc
	v_add_co_u32_e32 v56, vcc, v56, v61
	v_addc_co_u32_e32 v57, vcc, v57, v62, vcc
	v_mul_lo_u32 v61, s2, v57
	v_mul_hi_u32 v62, s2, v56
	v_add_u32_e32 v61, v62, v61
	v_mul_lo_u32 v62, s3, v56
	v_add_u32_e32 v61, v61, v62
	v_mul_lo_u32 v63, s2, v56
	v_mul_hi_u32 v64, v57, v63
	v_mul_lo_u32 v65, v57, v63
	v_mul_lo_u32 v67, v56, v61
	v_mul_hi_u32 v63, v56, v63
	v_mul_hi_u32 v66, v56, v61
	v_add_co_u32_e32 v63, vcc, v63, v67
	v_addc_co_u32_e32 v66, vcc, 0, v66, vcc
	v_add_co_u32_e32 v63, vcc, v63, v65
	v_mul_hi_u32 v62, v57, v61
	v_addc_co_u32_e32 v63, vcc, v66, v64, vcc
	v_addc_co_u32_e32 v62, vcc, 0, v62, vcc
	v_mul_lo_u32 v61, v57, v61
	v_add_co_u32_e32 v61, vcc, v63, v61
	v_addc_co_u32_e32 v62, vcc, 0, v62, vcc
	v_add_co_u32_e32 v61, vcc, v56, v61
	v_addc_co_u32_e32 v62, vcc, v57, v62, vcc
	v_ashrrev_i32_e32 v64, 31, v59
	v_add_co_u32_e32 v56, vcc, v58, v64
	v_addc_co_u32_e32 v57, vcc, v59, v64, vcc
	v_xor_b32_e32 v66, v56, v64
	v_xor_b32_e32 v65, v57, v64
	v_mad_u64_u32 v[56:57], s[2:3], v66, v62, 0
	v_mul_hi_u32 v63, v66, v61
	v_add_co_u32_e32 v67, vcc, v63, v56
	v_addc_co_u32_e32 v68, vcc, 0, v57, vcc
	v_mad_u64_u32 v[56:57], s[2:3], v65, v62, 0
	v_mad_u64_u32 v[62:63], s[2:3], v65, v61, 0
	v_add_co_u32_e32 v61, vcc, v67, v62
	v_addc_co_u32_e32 v61, vcc, v68, v63, vcc
	v_addc_co_u32_e32 v57, vcc, 0, v57, vcc
	v_add_co_u32_e32 v61, vcc, v61, v56
	v_addc_co_u32_e32 v62, vcc, 0, v57, vcc
	v_mul_lo_u32 v63, s13, v61
	v_mul_lo_u32 v67, s12, v62
	v_mad_u64_u32 v[56:57], s[2:3], s12, v61, 0
	v_add3_u32 v57, v57, v67, v63
	v_sub_u32_e32 v63, v65, v57
	v_mov_b32_e32 v67, s13
	v_sub_co_u32_e32 v56, vcc, v66, v56
	v_subb_co_u32_e64 v63, s[2:3], v63, v67, vcc
	v_subrev_co_u32_e64 v66, s[2:3], s12, v56
	v_subbrev_co_u32_e64 v63, s[2:3], 0, v63, s[2:3]
	v_cmp_le_u32_e64 s[2:3], s13, v63
	v_cndmask_b32_e64 v67, 0, -1, s[2:3]
	v_cmp_le_u32_e64 s[2:3], s12, v66
	v_cndmask_b32_e64 v66, 0, -1, s[2:3]
	v_cmp_eq_u32_e64 s[2:3], s13, v63
	v_cndmask_b32_e64 v63, v67, v66, s[2:3]
	v_add_co_u32_e64 v66, s[2:3], 2, v61
	v_subb_co_u32_e32 v57, vcc, v65, v57, vcc
	v_addc_co_u32_e64 v67, s[2:3], 0, v62, s[2:3]
	v_cmp_le_u32_e32 vcc, s13, v57
	v_add_co_u32_e64 v68, s[2:3], 1, v61
	v_cndmask_b32_e64 v65, 0, -1, vcc
	v_cmp_le_u32_e32 vcc, s12, v56
	v_addc_co_u32_e64 v69, s[2:3], 0, v62, s[2:3]
	v_cndmask_b32_e64 v56, 0, -1, vcc
	v_cmp_eq_u32_e32 vcc, s13, v57
	v_cmp_ne_u32_e64 s[2:3], 0, v63
	v_cndmask_b32_e32 v56, v65, v56, vcc
	v_cndmask_b32_e64 v63, v69, v67, s[2:3]
	v_cmp_ne_u32_e32 vcc, 0, v56
	v_cndmask_b32_e64 v57, v68, v66, s[2:3]
	v_cndmask_b32_e32 v56, v62, v63, vcc
	v_cndmask_b32_e32 v57, v61, v57, vcc
	v_xor_b32_e32 v61, s10, v64
	v_xor_b32_e32 v62, v56, v61
	v_xor_b32_e32 v56, v57, v61
	v_sub_co_u32_e32 v56, vcc, v56, v61
	v_subb_co_u32_e32 v57, vcc, v62, v61, vcc
.LBB1154_295:
	s_andn2_saveexec_b64 s[2:3], s[8:9]
	s_cbranch_execz .LBB1154_297
; %bb.296:
	v_cvt_f32_u32_e32 v56, s44
	s_sub_i32 s8, 0, s44
	v_rcp_iflag_f32_e32 v56, v56
	v_mul_f32_e32 v56, 0x4f7ffffe, v56
	v_cvt_u32_f32_e32 v56, v56
	v_mul_lo_u32 v57, s8, v56
	v_mul_hi_u32 v57, v56, v57
	v_add_u32_e32 v56, v56, v57
	v_mul_hi_u32 v56, v58, v56
	v_mul_lo_u32 v57, v56, s44
	v_sub_u32_e32 v57, v58, v57
	v_add_u32_e32 v61, 1, v56
	v_subrev_u32_e32 v62, s44, v57
	v_cmp_le_u32_e32 vcc, s44, v57
	v_cndmask_b32_e32 v57, v57, v62, vcc
	v_cndmask_b32_e32 v56, v56, v61, vcc
	v_add_u32_e32 v61, 1, v56
	v_cmp_le_u32_e32 vcc, s44, v57
	v_cndmask_b32_e32 v56, v56, v61, vcc
	v_mov_b32_e32 v57, 0
.LBB1154_297:
	s_or_b64 exec, exec, s[2:3]
	v_mul_lo_u32 v61, v57, s44
	v_mul_lo_u32 v64, v56, s45
	v_mad_u64_u32 v[62:63], s[2:3], v56, s44, 0
	v_add3_u32 v61, v63, v64, v61
	v_sub_co_u32_e32 v58, vcc, v58, v62
	v_subb_co_u32_e32 v59, vcc, v59, v61, vcc
	v_add_co_u32_e32 v56, vcc, v56, v58
	v_addc_co_u32_e32 v57, vcc, v57, v59, vcc
	s_or_b64 exec, exec, s[4:5]
                                        ; implicit-def: $vgpr58_vgpr59
	s_and_saveexec_b64 s[2:3], s[0:1]
	s_cbranch_execz .LBB1154_303
.LBB1154_298:
	v_mov_b32_e32 v59, s75
	v_add_co_u32_e32 v60, vcc, s74, v60
	v_addc_co_u32_e32 v61, vcc, 0, v59, vcc
	v_mov_b32_e32 v58, 0
	v_or_b32_e32 v59, s45, v61
	v_cmp_ne_u64_e32 vcc, 0, v[58:59]
                                        ; implicit-def: $vgpr58_vgpr59
	s_and_saveexec_b64 s[0:1], vcc
	s_xor_b64 s[4:5], exec, s[0:1]
	s_cbranch_execz .LBB1154_300
; %bb.299:
	s_ashr_i32 s8, s45, 31
	s_add_u32 s0, s44, s8
	s_mov_b32 s9, s8
	s_addc_u32 s1, s45, s8
	s_xor_b64 s[10:11], s[0:1], s[8:9]
	v_cvt_f32_u32_e32 v58, s10
	v_cvt_f32_u32_e32 v59, s11
	s_sub_u32 s0, 0, s10
	s_subb_u32 s1, 0, s11
	v_madmk_f32 v58, v59, 0x4f800000, v58
	v_rcp_f32_e32 v58, v58
	v_mul_f32_e32 v58, 0x5f7ffffc, v58
	v_mul_f32_e32 v59, 0x2f800000, v58
	v_trunc_f32_e32 v59, v59
	v_madmk_f32 v58, v59, 0xcf800000, v58
	v_cvt_u32_f32_e32 v59, v59
	v_cvt_u32_f32_e32 v58, v58
	v_mul_lo_u32 v62, s0, v59
	v_mul_hi_u32 v64, s0, v58
	v_mul_lo_u32 v63, s1, v58
	v_add_u32_e32 v62, v64, v62
	v_mul_lo_u32 v65, s0, v58
	v_add_u32_e32 v62, v62, v63
	v_mul_lo_u32 v64, v58, v62
	v_mul_hi_u32 v66, v58, v65
	v_mul_hi_u32 v63, v58, v62
	v_add_co_u32_e32 v64, vcc, v66, v64
	v_addc_co_u32_e32 v63, vcc, 0, v63, vcc
	v_mul_hi_u32 v67, v59, v65
	v_mul_lo_u32 v65, v59, v65
	v_add_co_u32_e32 v64, vcc, v64, v65
	v_mul_hi_u32 v66, v59, v62
	v_addc_co_u32_e32 v63, vcc, v63, v67, vcc
	v_addc_co_u32_e32 v64, vcc, 0, v66, vcc
	v_mul_lo_u32 v62, v59, v62
	v_add_co_u32_e32 v62, vcc, v63, v62
	v_addc_co_u32_e32 v63, vcc, 0, v64, vcc
	v_add_co_u32_e32 v58, vcc, v58, v62
	v_addc_co_u32_e32 v59, vcc, v59, v63, vcc
	v_mul_lo_u32 v62, s0, v59
	v_mul_hi_u32 v63, s0, v58
	v_add_u32_e32 v62, v63, v62
	v_mul_lo_u32 v63, s1, v58
	v_add_u32_e32 v62, v62, v63
	v_mul_lo_u32 v64, s0, v58
	v_mul_hi_u32 v65, v59, v64
	v_mul_lo_u32 v66, v59, v64
	v_mul_lo_u32 v68, v58, v62
	v_mul_hi_u32 v64, v58, v64
	v_mul_hi_u32 v67, v58, v62
	v_add_co_u32_e32 v64, vcc, v64, v68
	v_addc_co_u32_e32 v67, vcc, 0, v67, vcc
	v_add_co_u32_e32 v64, vcc, v64, v66
	v_mul_hi_u32 v63, v59, v62
	v_addc_co_u32_e32 v64, vcc, v67, v65, vcc
	v_addc_co_u32_e32 v63, vcc, 0, v63, vcc
	v_mul_lo_u32 v62, v59, v62
	v_add_co_u32_e32 v62, vcc, v64, v62
	v_addc_co_u32_e32 v63, vcc, 0, v63, vcc
	v_add_co_u32_e32 v62, vcc, v58, v62
	v_addc_co_u32_e32 v63, vcc, v59, v63, vcc
	v_ashrrev_i32_e32 v64, 31, v61
	v_add_co_u32_e32 v58, vcc, v60, v64
	v_addc_co_u32_e32 v59, vcc, v61, v64, vcc
	v_xor_b32_e32 v66, v58, v64
	v_xor_b32_e32 v65, v59, v64
	v_mad_u64_u32 v[58:59], s[0:1], v66, v63, 0
	v_mul_hi_u32 v67, v66, v62
	v_add_co_u32_e32 v67, vcc, v67, v58
	v_addc_co_u32_e32 v68, vcc, 0, v59, vcc
	v_mad_u64_u32 v[58:59], s[0:1], v65, v63, 0
	v_mad_u64_u32 v[62:63], s[0:1], v65, v62, 0
	v_add_co_u32_e32 v62, vcc, v67, v62
	v_addc_co_u32_e32 v62, vcc, v68, v63, vcc
	v_addc_co_u32_e32 v59, vcc, 0, v59, vcc
	v_add_co_u32_e32 v62, vcc, v62, v58
	v_addc_co_u32_e32 v63, vcc, 0, v59, vcc
	v_mul_lo_u32 v67, s11, v62
	v_mul_lo_u32 v68, s10, v63
	v_mad_u64_u32 v[58:59], s[0:1], s10, v62, 0
	v_add3_u32 v59, v59, v68, v67
	v_sub_u32_e32 v67, v65, v59
	v_mov_b32_e32 v68, s11
	v_sub_co_u32_e32 v58, vcc, v66, v58
	v_subb_co_u32_e64 v66, s[0:1], v67, v68, vcc
	v_subrev_co_u32_e64 v67, s[0:1], s10, v58
	v_subbrev_co_u32_e64 v66, s[0:1], 0, v66, s[0:1]
	v_cmp_le_u32_e64 s[0:1], s11, v66
	v_cndmask_b32_e64 v68, 0, -1, s[0:1]
	v_cmp_le_u32_e64 s[0:1], s10, v67
	v_cndmask_b32_e64 v67, 0, -1, s[0:1]
	v_cmp_eq_u32_e64 s[0:1], s11, v66
	v_cndmask_b32_e64 v66, v68, v67, s[0:1]
	v_add_co_u32_e64 v67, s[0:1], 2, v62
	v_subb_co_u32_e32 v59, vcc, v65, v59, vcc
	v_addc_co_u32_e64 v68, s[0:1], 0, v63, s[0:1]
	v_cmp_le_u32_e32 vcc, s11, v59
	v_add_co_u32_e64 v69, s[0:1], 1, v62
	v_cndmask_b32_e64 v65, 0, -1, vcc
	v_cmp_le_u32_e32 vcc, s10, v58
	v_addc_co_u32_e64 v70, s[0:1], 0, v63, s[0:1]
	v_cndmask_b32_e64 v58, 0, -1, vcc
	v_cmp_eq_u32_e32 vcc, s11, v59
	v_cmp_ne_u32_e64 s[0:1], 0, v66
	v_cndmask_b32_e32 v58, v65, v58, vcc
	v_cndmask_b32_e64 v66, v70, v68, s[0:1]
	v_cmp_ne_u32_e32 vcc, 0, v58
	v_cndmask_b32_e64 v59, v69, v67, s[0:1]
	v_cndmask_b32_e32 v58, v63, v66, vcc
	v_cndmask_b32_e32 v59, v62, v59, vcc
	v_xor_b32_e32 v62, s8, v64
	v_xor_b32_e32 v63, v58, v62
	;; [unrolled: 1-line block ×3, first 2 shown]
	v_sub_co_u32_e32 v58, vcc, v58, v62
	v_subb_co_u32_e32 v59, vcc, v63, v62, vcc
.LBB1154_300:
	s_andn2_saveexec_b64 s[0:1], s[4:5]
	s_cbranch_execz .LBB1154_302
; %bb.301:
	v_cvt_f32_u32_e32 v58, s44
	s_sub_i32 s4, 0, s44
	v_rcp_iflag_f32_e32 v58, v58
	v_mul_f32_e32 v58, 0x4f7ffffe, v58
	v_cvt_u32_f32_e32 v58, v58
	v_mul_lo_u32 v59, s4, v58
	v_mul_hi_u32 v59, v58, v59
	v_add_u32_e32 v58, v58, v59
	v_mul_hi_u32 v58, v60, v58
	v_mul_lo_u32 v59, v58, s44
	v_sub_u32_e32 v59, v60, v59
	v_add_u32_e32 v62, 1, v58
	v_subrev_u32_e32 v63, s44, v59
	v_cmp_le_u32_e32 vcc, s44, v59
	v_cndmask_b32_e32 v59, v59, v63, vcc
	v_cndmask_b32_e32 v58, v58, v62, vcc
	v_add_u32_e32 v62, 1, v58
	v_cmp_le_u32_e32 vcc, s44, v59
	v_cndmask_b32_e32 v58, v58, v62, vcc
	v_mov_b32_e32 v59, 0
.LBB1154_302:
	s_or_b64 exec, exec, s[0:1]
	v_mul_lo_u32 v64, v59, s44
	v_mul_lo_u32 v65, v58, s45
	v_mad_u64_u32 v[62:63], s[0:1], v58, s44, 0
	v_add3_u32 v63, v63, v65, v64
	v_sub_co_u32_e32 v60, vcc, v60, v62
	v_subb_co_u32_e32 v61, vcc, v61, v63, vcc
	v_add_co_u32_e32 v58, vcc, v58, v60
	v_addc_co_u32_e32 v59, vcc, v59, v61, vcc
.LBB1154_303:
	s_or_b64 exec, exec, s[2:3]
	ds_write2st64_b64 v1, v[30:31], v[32:33] offset1:4
	ds_write2st64_b64 v1, v[34:35], v[36:37] offset0:8 offset1:12
	ds_write2st64_b64 v1, v[38:39], v[40:41] offset0:16 offset1:20
	;; [unrolled: 1-line block ×6, first 2 shown]
	ds_write_b64 v1, v[58:59] offset:28672
	v_mov_b32_e32 v58, v26
	v_mov_b32_e32 v59, v27
	;; [unrolled: 1-line block ×14, first 2 shown]
	s_waitcnt lgkmcnt(0)
	s_barrier
.LBB1154_304:
	s_waitcnt lgkmcnt(0)
	ds_read2_b64 v[54:57], v76 offset1:1
	ds_read2_b64 v[50:53], v76 offset0:2 offset1:3
	ds_read2_b64 v[46:49], v76 offset0:4 offset1:5
	;; [unrolled: 1-line block ×6, first 2 shown]
	ds_read_b64 v[72:73], v76 offset:112
	s_cmp_eq_u64 s[40:41], 0
	s_cselect_b64 s[34:35], -1, 0
	s_cmp_lg_u64 s[40:41], 0
	s_mov_b64 s[2:3], 0
	s_cselect_b64 s[30:31], -1, 0
	s_and_b64 vcc, exec, s[42:43]
	s_waitcnt lgkmcnt(0)
	s_barrier
	s_cbranch_vccz .LBB1154_313
; %bb.305:
	s_and_b64 vcc, exec, s[30:31]
	s_cbranch_vccz .LBB1154_314
; %bb.306:
	s_add_u32 s2, s7, -1
	s_addc_u32 s3, s33, -1
	s_or_b64 s[0:1], s[2:3], s[38:39]
	s_mov_b32 s0, 0
	s_cmp_lg_u64 s[0:1], 0
	s_mov_b64 s[4:5], -1
	s_cbranch_scc0 .LBB1154_539
; %bb.307:
	s_ashr_i32 s8, s39, 31
	s_add_u32 s0, s38, s8
	s_mov_b32 s9, s8
	s_addc_u32 s1, s39, s8
	s_xor_b64 s[10:11], s[0:1], s[8:9]
	v_cvt_f32_u32_e32 v1, s10
	v_cvt_f32_u32_e32 v76, s11
	s_sub_u32 s0, 0, s10
	s_subb_u32 s1, 0, s11
	v_madmk_f32 v1, v76, 0x4f800000, v1
	v_rcp_f32_e32 v1, v1
	v_mul_f32_e32 v1, 0x5f7ffffc, v1
	v_mul_f32_e32 v76, 0x2f800000, v1
	v_trunc_f32_e32 v76, v76
	v_madmk_f32 v1, v76, 0xcf800000, v1
	v_cvt_u32_f32_e32 v76, v76
	v_cvt_u32_f32_e32 v1, v1
	v_readfirstlane_b32 s12, v76
	v_readfirstlane_b32 s13, v1
	s_mul_i32 s14, s0, s12
	s_mul_hi_u32 s16, s0, s13
	s_mul_i32 s15, s1, s13
	s_add_i32 s14, s16, s14
	s_add_i32 s14, s14, s15
	s_mul_i32 s17, s0, s13
	s_mul_hi_u32 s15, s13, s14
	s_mul_i32 s16, s13, s14
	s_mul_hi_u32 s13, s13, s17
	s_add_u32 s13, s13, s16
	s_addc_u32 s15, 0, s15
	s_mul_hi_u32 s18, s12, s17
	s_mul_i32 s17, s12, s17
	s_add_u32 s13, s13, s17
	s_mul_hi_u32 s16, s12, s14
	s_addc_u32 s13, s15, s18
	s_addc_u32 s15, s16, 0
	s_mul_i32 s14, s12, s14
	s_add_u32 s13, s13, s14
	s_addc_u32 s14, 0, s15
	v_add_co_u32_e32 v1, vcc, s13, v1
	s_cmp_lg_u64 vcc, 0
	s_addc_u32 s12, s12, s14
	v_readfirstlane_b32 s14, v1
	s_mul_i32 s13, s0, s12
	s_mul_hi_u32 s15, s0, s14
	s_add_i32 s13, s15, s13
	s_mul_i32 s1, s1, s14
	s_add_i32 s13, s13, s1
	s_mul_i32 s0, s0, s14
	s_mul_hi_u32 s15, s12, s0
	s_mul_i32 s16, s12, s0
	s_mul_i32 s18, s14, s13
	s_mul_hi_u32 s0, s14, s0
	s_mul_hi_u32 s17, s14, s13
	s_add_u32 s0, s0, s18
	s_addc_u32 s14, 0, s17
	s_add_u32 s0, s0, s16
	s_mul_hi_u32 s1, s12, s13
	s_addc_u32 s0, s14, s15
	s_addc_u32 s1, s1, 0
	s_mul_i32 s13, s12, s13
	s_add_u32 s0, s0, s13
	s_addc_u32 s1, 0, s1
	v_add_co_u32_e32 v1, vcc, s0, v1
	s_cmp_lg_u64 vcc, 0
	s_addc_u32 s16, s12, s1
	s_ashr_i32 s12, s3, 31
	s_add_u32 s0, s2, s12
	s_mov_b32 s13, s12
	s_addc_u32 s1, s3, s12
	s_xor_b64 s[14:15], s[0:1], s[12:13]
	v_readfirstlane_b32 s3, v1
	s_mul_i32 s1, s14, s16
	s_mul_hi_u32 s17, s14, s3
	s_mul_hi_u32 s0, s14, s16
	s_add_u32 s1, s17, s1
	s_addc_u32 s0, 0, s0
	s_mul_hi_u32 s18, s15, s3
	s_mul_i32 s3, s15, s3
	s_add_u32 s1, s1, s3
	s_mul_hi_u32 s17, s15, s16
	s_addc_u32 s0, s0, s18
	s_addc_u32 s1, s17, 0
	s_mul_i32 s3, s15, s16
	s_add_u32 s3, s0, s3
	s_addc_u32 s16, 0, s1
	s_mul_i32 s0, s10, s16
	s_mul_hi_u32 s1, s10, s3
	s_add_i32 s0, s1, s0
	s_mul_i32 s1, s11, s3
	s_add_i32 s17, s0, s1
	s_mul_i32 s1, s10, s3
	v_mov_b32_e32 v1, s1
	s_sub_i32 s0, s15, s17
	v_sub_co_u32_e32 v1, vcc, s14, v1
	s_cmp_lg_u64 vcc, 0
	s_subb_u32 s14, s0, s11
	v_subrev_co_u32_e64 v76, s[0:1], s10, v1
	s_cmp_lg_u64 s[0:1], 0
	s_subb_u32 s14, s14, 0
	s_cmp_ge_u32 s14, s11
	s_cselect_b32 s18, -1, 0
	v_cmp_le_u32_e64 s[0:1], s10, v76
	s_cmp_eq_u32 s14, s11
	v_cndmask_b32_e64 v76, 0, -1, s[0:1]
	v_mov_b32_e32 v77, s18
	s_cselect_b64 s[0:1], -1, 0
	v_cndmask_b32_e64 v76, v77, v76, s[0:1]
	s_add_u32 s0, s3, 1
	s_addc_u32 s14, s16, 0
	s_add_u32 s1, s3, 2
	s_addc_u32 s18, s16, 0
	v_mov_b32_e32 v77, s0
	v_mov_b32_e32 v78, s1
	v_cmp_ne_u32_e64 s[0:1], 0, v76
	v_cndmask_b32_e64 v76, v77, v78, s[0:1]
	v_mov_b32_e32 v77, s14
	v_mov_b32_e32 v78, s18
	s_cmp_lg_u64 vcc, 0
	v_cndmask_b32_e64 v77, v77, v78, s[0:1]
	s_subb_u32 s0, s15, s17
	s_cmp_ge_u32 s0, s11
	s_cselect_b32 s1, -1, 0
	v_cmp_le_u32_e32 vcc, s10, v1
	s_cmp_eq_u32 s0, s11
	v_cndmask_b32_e64 v1, 0, -1, vcc
	v_mov_b32_e32 v78, s1
	s_cselect_b64 vcc, -1, 0
	v_cndmask_b32_e32 v1, v78, v1, vcc
	v_mov_b32_e32 v78, s16
	v_cmp_ne_u32_e32 vcc, 0, v1
	v_cndmask_b32_e32 v1, v78, v77, vcc
	v_mov_b32_e32 v77, s3
	v_cndmask_b32_e32 v76, v77, v76, vcc
	s_xor_b64 s[0:1], s[12:13], s[8:9]
	v_xor_b32_e32 v76, s0, v76
	v_xor_b32_e32 v1, s1, v1
	v_mov_b32_e32 v77, s1
	v_subrev_co_u32_e32 v76, vcc, s0, v76
	v_subb_co_u32_e32 v77, vcc, v1, v77, vcc
	s_cbranch_execnz .LBB1154_309
.LBB1154_308:
	v_cvt_f32_u32_e32 v1, s38
	s_sub_i32 s0, 0, s38
	s_mov_b32 s1, 0
	v_rcp_iflag_f32_e32 v1, v1
	v_mul_f32_e32 v1, 0x4f7ffffe, v1
	v_cvt_u32_f32_e32 v1, v1
	v_readfirstlane_b32 s3, v1
	s_mul_i32 s0, s0, s3
	s_mul_hi_u32 s0, s3, s0
	s_add_i32 s3, s3, s0
	s_mul_hi_u32 s0, s2, s3
	s_mul_i32 s4, s0, s38
	s_sub_i32 s2, s2, s4
	s_add_i32 s3, s0, 1
	s_sub_i32 s4, s2, s38
	s_cmp_ge_u32 s2, s38
	s_cselect_b32 s0, s3, s0
	s_cselect_b32 s2, s4, s2
	s_add_i32 s3, s0, 1
	s_cmp_ge_u32 s2, s38
	s_cselect_b32 s0, s3, s0
	v_pk_mov_b32 v[76:77], s[0:1], s[0:1] op_sel:[0,1]
.LBB1154_309:
	v_lshlrev_b32_e32 v1, 3, v0
	v_cmp_ne_u64_e32 vcc, v[4:5], v[74:75]
	v_cmp_ne_u64_e64 s[0:1], v[2:3], v[4:5]
	v_cmp_ne_u64_e64 s[2:3], v[8:9], v[2:3]
	v_cmp_ne_u64_e64 s[4:5], v[6:7], v[8:9]
	v_cmp_ne_u64_e64 s[26:27], v[12:13], v[6:7]
	v_cmp_ne_u64_e64 s[8:9], v[10:11], v[12:13]
	v_cmp_ne_u64_e64 s[10:11], v[16:17], v[10:11]
	v_cmp_ne_u64_e64 s[12:13], v[14:15], v[16:17]
	v_cmp_ne_u64_e64 s[14:15], v[20:21], v[14:15]
	v_cmp_ne_u64_e64 s[16:17], v[18:19], v[20:21]
	v_cmp_ne_u64_e64 s[18:19], v[24:25], v[18:19]
	v_cmp_ne_u64_e64 s[20:21], v[22:23], v[24:25]
	v_cmp_ne_u64_e64 s[22:23], v[28:29], v[22:23]
	v_cmp_ne_u64_e64 s[24:25], v[26:27], v[28:29]
	v_cmp_ne_u32_e64 s[28:29], 0, v0
	ds_write_b64 v1, v[74:75]
	s_waitcnt lgkmcnt(0)
	s_barrier
	s_and_saveexec_b64 s[42:43], s[28:29]
	s_cbranch_execz .LBB1154_311
; %bb.310:
	v_add_u32_e32 v1, -8, v1
	ds_read_b64 v[76:77], v1
.LBB1154_311:
	s_or_b64 exec, exec, s[42:43]
	v_cndmask_b32_e64 v1, 0, 1, vcc
	v_cndmask_b32_e64 v100, 0, 1, s[0:1]
	v_cndmask_b32_e64 v101, 0, 1, s[2:3]
	;; [unrolled: 1-line block ×13, first 2 shown]
	s_waitcnt lgkmcnt(0)
	v_cmp_ne_u64_e64 s[0:1], v[76:77], v[26:27]
	s_mov_b64 s[2:3], -1
.LBB1154_312:
                                        ; implicit-def: $sgpr10
	s_branch .LBB1154_329
.LBB1154_313:
                                        ; implicit-def: $sgpr0_sgpr1
                                        ; implicit-def: $vgpr1
                                        ; implicit-def: $vgpr100
                                        ; implicit-def: $vgpr101
                                        ; implicit-def: $vgpr102
                                        ; implicit-def: $vgpr103
                                        ; implicit-def: $vgpr104
                                        ; implicit-def: $vgpr105
                                        ; implicit-def: $vgpr106
                                        ; implicit-def: $vgpr107
                                        ; implicit-def: $vgpr108
                                        ; implicit-def: $vgpr109
                                        ; implicit-def: $vgpr110
                                        ; implicit-def: $vgpr111
                                        ; implicit-def: $vgpr112
                                        ; implicit-def: $sgpr10
	s_cbranch_execnz .LBB1154_318
	s_branch .LBB1154_329
.LBB1154_314:
                                        ; implicit-def: $sgpr0_sgpr1
                                        ; implicit-def: $vgpr1
                                        ; implicit-def: $vgpr100
                                        ; implicit-def: $vgpr101
                                        ; implicit-def: $vgpr102
                                        ; implicit-def: $vgpr103
                                        ; implicit-def: $vgpr104
                                        ; implicit-def: $vgpr105
                                        ; implicit-def: $vgpr106
                                        ; implicit-def: $vgpr107
                                        ; implicit-def: $vgpr108
                                        ; implicit-def: $vgpr109
                                        ; implicit-def: $vgpr110
                                        ; implicit-def: $vgpr111
                                        ; implicit-def: $vgpr112
	s_cbranch_execz .LBB1154_312
; %bb.315:
	v_cmp_ne_u64_e32 vcc, v[28:29], v[58:59]
	v_cndmask_b32_e64 v112, 0, 1, vcc
	v_cmp_ne_u64_e32 vcc, v[28:29], v[60:61]
	v_cndmask_b32_e64 v111, 0, 1, vcc
	;; [unrolled: 2-line block ×13, first 2 shown]
	v_cmp_ne_u64_e32 vcc, v[4:5], v[74:75]
	v_lshlrev_b32_e32 v76, 3, v0
	v_cndmask_b32_e64 v1, 0, 1, vcc
	v_cmp_ne_u32_e32 vcc, 0, v0
	ds_write_b64 v76, v[74:75]
	s_waitcnt lgkmcnt(0)
	s_barrier
	s_waitcnt lgkmcnt(0)
                                        ; implicit-def: $sgpr0_sgpr1
	s_and_saveexec_b64 s[4:5], vcc
	s_xor_b64 s[4:5], exec, s[4:5]
	s_cbranch_execz .LBB1154_317
; %bb.316:
	v_add_u32_e32 v58, -8, v76
	ds_read_b64 v[58:59], v58
	s_or_b64 s[2:3], s[2:3], exec
	s_waitcnt lgkmcnt(0)
	v_cmp_ne_u64_e32 vcc, v[58:59], v[26:27]
	s_and_b64 s[0:1], vcc, exec
.LBB1154_317:
	s_or_b64 exec, exec, s[4:5]
	s_mov_b32 s10, 1
	s_branch .LBB1154_329
.LBB1154_318:
	s_mul_hi_u32 s1, s40, 0xfffff100
	s_mul_i32 s0, s41, 0xfffff100
	s_sub_i32 s1, s1, s40
	s_add_i32 s1, s1, s0
	s_mul_i32 s0, s40, 0xfffff100
	s_add_u32 s4, s0, s64
	s_addc_u32 s5, s1, s65
	s_and_b64 vcc, exec, s[30:31]
	s_cbranch_vccz .LBB1154_326
; %bb.319:
	s_add_u32 s2, s7, -1
	s_addc_u32 s3, s33, -1
	s_or_b64 s[0:1], s[2:3], s[38:39]
	s_mov_b32 s0, 0
	s_cmp_lg_u64 s[0:1], 0
	s_mov_b64 s[8:9], -1
	s_cbranch_scc0 .LBB1154_540
; %bb.320:
	s_ashr_i32 s10, s39, 31
	s_add_u32 s0, s38, s10
	s_mov_b32 s11, s10
	s_addc_u32 s1, s39, s10
	s_xor_b64 s[12:13], s[0:1], s[10:11]
	v_cvt_f32_u32_e32 v1, s12
	v_cvt_f32_u32_e32 v58, s13
	s_sub_u32 s0, 0, s12
	s_subb_u32 s1, 0, s13
	v_madmk_f32 v1, v58, 0x4f800000, v1
	v_rcp_f32_e32 v1, v1
	v_mul_f32_e32 v1, 0x5f7ffffc, v1
	v_mul_f32_e32 v58, 0x2f800000, v1
	v_trunc_f32_e32 v58, v58
	v_madmk_f32 v1, v58, 0xcf800000, v1
	v_cvt_u32_f32_e32 v58, v58
	v_cvt_u32_f32_e32 v1, v1
	v_readfirstlane_b32 s7, v58
	v_readfirstlane_b32 s14, v1
	s_mul_i32 s15, s0, s7
	s_mul_hi_u32 s17, s0, s14
	s_mul_i32 s16, s1, s14
	s_add_i32 s15, s17, s15
	s_add_i32 s15, s15, s16
	s_mul_i32 s18, s0, s14
	s_mul_hi_u32 s16, s14, s15
	s_mul_i32 s17, s14, s15
	s_mul_hi_u32 s14, s14, s18
	s_add_u32 s14, s14, s17
	s_addc_u32 s16, 0, s16
	s_mul_hi_u32 s19, s7, s18
	s_mul_i32 s18, s7, s18
	s_add_u32 s14, s14, s18
	s_mul_hi_u32 s17, s7, s15
	s_addc_u32 s14, s16, s19
	s_addc_u32 s16, s17, 0
	s_mul_i32 s15, s7, s15
	s_add_u32 s14, s14, s15
	s_addc_u32 s15, 0, s16
	v_add_co_u32_e32 v1, vcc, s14, v1
	s_cmp_lg_u64 vcc, 0
	s_addc_u32 s7, s7, s15
	v_readfirstlane_b32 s15, v1
	s_mul_i32 s14, s0, s7
	s_mul_hi_u32 s16, s0, s15
	s_add_i32 s14, s16, s14
	s_mul_i32 s1, s1, s15
	s_add_i32 s14, s14, s1
	s_mul_i32 s0, s0, s15
	s_mul_hi_u32 s16, s7, s0
	s_mul_i32 s17, s7, s0
	s_mul_i32 s19, s15, s14
	s_mul_hi_u32 s0, s15, s0
	s_mul_hi_u32 s18, s15, s14
	s_add_u32 s0, s0, s19
	s_addc_u32 s15, 0, s18
	s_add_u32 s0, s0, s17
	s_mul_hi_u32 s1, s7, s14
	s_addc_u32 s0, s15, s16
	s_addc_u32 s1, s1, 0
	s_mul_i32 s14, s7, s14
	s_add_u32 s0, s0, s14
	s_addc_u32 s1, 0, s1
	v_add_co_u32_e32 v1, vcc, s0, v1
	s_cmp_lg_u64 vcc, 0
	s_addc_u32 s7, s7, s1
	s_ashr_i32 s14, s3, 31
	s_add_u32 s0, s2, s14
	s_mov_b32 s15, s14
	s_addc_u32 s1, s3, s14
	s_xor_b64 s[16:17], s[0:1], s[14:15]
	v_readfirstlane_b32 s3, v1
	s_mul_i32 s1, s16, s7
	s_mul_hi_u32 s18, s16, s3
	s_mul_hi_u32 s0, s16, s7
	s_add_u32 s1, s18, s1
	s_addc_u32 s0, 0, s0
	s_mul_hi_u32 s19, s17, s3
	s_mul_i32 s3, s17, s3
	s_add_u32 s1, s1, s3
	s_mul_hi_u32 s18, s17, s7
	s_addc_u32 s0, s0, s19
	s_addc_u32 s1, s18, 0
	s_mul_i32 s3, s17, s7
	s_add_u32 s3, s0, s3
	s_addc_u32 s7, 0, s1
	s_mul_i32 s0, s12, s7
	s_mul_hi_u32 s1, s12, s3
	s_add_i32 s0, s1, s0
	s_mul_i32 s1, s13, s3
	s_add_i32 s18, s0, s1
	s_mul_i32 s1, s12, s3
	v_mov_b32_e32 v1, s1
	s_sub_i32 s0, s17, s18
	v_sub_co_u32_e32 v1, vcc, s16, v1
	s_cmp_lg_u64 vcc, 0
	s_subb_u32 s16, s0, s13
	v_subrev_co_u32_e64 v58, s[0:1], s12, v1
	s_cmp_lg_u64 s[0:1], 0
	s_subb_u32 s16, s16, 0
	s_cmp_ge_u32 s16, s13
	s_cselect_b32 s19, -1, 0
	v_cmp_le_u32_e64 s[0:1], s12, v58
	s_cmp_eq_u32 s16, s13
	v_cndmask_b32_e64 v58, 0, -1, s[0:1]
	v_mov_b32_e32 v59, s19
	s_cselect_b64 s[0:1], -1, 0
	v_cndmask_b32_e64 v58, v59, v58, s[0:1]
	s_add_u32 s0, s3, 1
	s_addc_u32 s16, s7, 0
	s_add_u32 s1, s3, 2
	s_addc_u32 s19, s7, 0
	v_mov_b32_e32 v59, s0
	v_mov_b32_e32 v60, s1
	v_cmp_ne_u32_e64 s[0:1], 0, v58
	v_cndmask_b32_e64 v58, v59, v60, s[0:1]
	v_mov_b32_e32 v59, s16
	v_mov_b32_e32 v60, s19
	s_cmp_lg_u64 vcc, 0
	v_cndmask_b32_e64 v59, v59, v60, s[0:1]
	s_subb_u32 s0, s17, s18
	s_cmp_ge_u32 s0, s13
	s_cselect_b32 s1, -1, 0
	v_cmp_le_u32_e32 vcc, s12, v1
	s_cmp_eq_u32 s0, s13
	v_cndmask_b32_e64 v1, 0, -1, vcc
	v_mov_b32_e32 v60, s1
	s_cselect_b64 vcc, -1, 0
	v_cndmask_b32_e32 v1, v60, v1, vcc
	v_mov_b32_e32 v60, s7
	v_cmp_ne_u32_e32 vcc, 0, v1
	v_cndmask_b32_e32 v1, v60, v59, vcc
	v_mov_b32_e32 v59, s3
	v_cndmask_b32_e32 v58, v59, v58, vcc
	s_xor_b64 s[0:1], s[14:15], s[10:11]
	v_xor_b32_e32 v58, s0, v58
	v_xor_b32_e32 v1, s1, v1
	v_mov_b32_e32 v59, s1
	v_subrev_co_u32_e32 v58, vcc, s0, v58
	v_subb_co_u32_e32 v59, vcc, v1, v59, vcc
	s_cbranch_execnz .LBB1154_322
.LBB1154_321:
	v_cvt_f32_u32_e32 v1, s38
	s_sub_i32 s0, 0, s38
	s_mov_b32 s1, 0
	v_rcp_iflag_f32_e32 v1, v1
	v_mul_f32_e32 v1, 0x4f7ffffe, v1
	v_cvt_u32_f32_e32 v1, v1
	v_readfirstlane_b32 s3, v1
	s_mul_i32 s0, s0, s3
	s_mul_hi_u32 s0, s3, s0
	s_add_i32 s3, s3, s0
	s_mul_hi_u32 s0, s2, s3
	s_mul_i32 s7, s0, s38
	s_sub_i32 s2, s2, s7
	s_add_i32 s3, s0, 1
	s_sub_i32 s7, s2, s38
	s_cmp_ge_u32 s2, s38
	s_cselect_b32 s0, s3, s0
	s_cselect_b32 s2, s7, s2
	s_add_i32 s3, s0, 1
	s_cmp_ge_u32 s2, s38
	s_cselect_b32 s0, s3, s0
	v_pk_mov_b32 v[58:59], s[0:1], s[0:1] op_sel:[0,1]
.LBB1154_322:
	v_mad_u32_u24 v62, v0, 15, 14
	v_mov_b32_e32 v63, 0
	v_cmp_gt_u64_e32 vcc, s[4:5], v[62:63]
	v_cmp_ne_u64_e64 s[0:1], v[4:5], v[74:75]
	v_mad_u32_u24 v62, v0, 15, 13
	s_and_b64 s[2:3], vcc, s[0:1]
	v_cmp_gt_u64_e32 vcc, s[4:5], v[62:63]
	v_cmp_ne_u64_e64 s[0:1], v[2:3], v[4:5]
	v_mad_u32_u24 v62, v0, 15, 12
	s_and_b64 s[8:9], vcc, s[0:1]
	;; [unrolled: 4-line block ×13, first 2 shown]
	v_cmp_gt_u64_e32 vcc, s[4:5], v[62:63]
	v_cmp_ne_u64_e64 s[0:1], v[26:27], v[28:29]
	v_lshlrev_b32_e32 v1, 3, v0
	v_mul_u32_u24_e32 v60, 15, v0
	s_and_b64 s[0:1], vcc, s[0:1]
	v_cmp_ne_u32_e32 vcc, 0, v0
	ds_write_b64 v1, v[74:75]
	s_waitcnt lgkmcnt(0)
	s_barrier
	s_and_saveexec_b64 s[38:39], vcc
	s_cbranch_execz .LBB1154_324
; %bb.323:
	v_add_u32_e32 v1, -8, v1
	ds_read_b64 v[58:59], v1
.LBB1154_324:
	s_or_b64 exec, exec, s[38:39]
	v_mov_b32_e32 v61, v63
	v_cndmask_b32_e64 v112, 0, 1, s[0:1]
	v_cmp_gt_u64_e32 vcc, s[4:5], v[60:61]
	s_waitcnt lgkmcnt(0)
	v_cmp_ne_u64_e64 s[0:1], v[58:59], v[26:27]
	v_cndmask_b32_e64 v1, 0, 1, s[2:3]
	v_cndmask_b32_e64 v100, 0, 1, s[8:9]
	v_cndmask_b32_e64 v101, 0, 1, s[10:11]
	v_cndmask_b32_e64 v102, 0, 1, s[12:13]
	v_cndmask_b32_e64 v103, 0, 1, s[14:15]
	v_cndmask_b32_e64 v104, 0, 1, s[16:17]
	v_cndmask_b32_e64 v105, 0, 1, s[18:19]
	v_cndmask_b32_e64 v106, 0, 1, s[20:21]
	v_cndmask_b32_e64 v107, 0, 1, s[22:23]
	v_cndmask_b32_e64 v108, 0, 1, s[24:25]
	v_cndmask_b32_e64 v109, 0, 1, s[26:27]
	v_cndmask_b32_e64 v110, 0, 1, s[28:29]
	v_cndmask_b32_e64 v111, 0, 1, s[30:31]
	s_and_b64 s[0:1], vcc, s[0:1]
	s_mov_b64 s[2:3], -1
.LBB1154_325:
                                        ; implicit-def: $sgpr10
	v_mov_b32_e32 v113, s10
	s_and_saveexec_b64 s[4:5], s[2:3]
	s_cbranch_execnz .LBB1154_330
	s_branch .LBB1154_331
.LBB1154_326:
                                        ; implicit-def: $sgpr0_sgpr1
                                        ; implicit-def: $vgpr1
                                        ; implicit-def: $vgpr100
                                        ; implicit-def: $vgpr101
                                        ; implicit-def: $vgpr102
                                        ; implicit-def: $vgpr103
                                        ; implicit-def: $vgpr104
                                        ; implicit-def: $vgpr105
                                        ; implicit-def: $vgpr106
                                        ; implicit-def: $vgpr107
                                        ; implicit-def: $vgpr108
                                        ; implicit-def: $vgpr109
                                        ; implicit-def: $vgpr110
                                        ; implicit-def: $vgpr111
                                        ; implicit-def: $vgpr112
	s_cbranch_execz .LBB1154_325
; %bb.327:
	v_mad_u32_u24 v58, v0, 15, 14
	v_mov_b32_e32 v59, 0
	v_cmp_gt_u64_e32 vcc, s[4:5], v[58:59]
	v_cmp_ne_u64_e64 s[0:1], v[4:5], v[74:75]
	s_and_b64 s[0:1], vcc, s[0:1]
	v_mad_u32_u24 v58, v0, 15, 13
	v_cndmask_b32_e64 v1, 0, 1, s[0:1]
	v_cmp_gt_u64_e32 vcc, s[4:5], v[58:59]
	v_cmp_ne_u64_e64 s[0:1], v[2:3], v[4:5]
	s_and_b64 s[0:1], vcc, s[0:1]
	v_mad_u32_u24 v58, v0, 15, 12
	v_cndmask_b32_e64 v100, 0, 1, s[0:1]
	;; [unrolled: 5-line block ×13, first 2 shown]
	v_cmp_gt_u64_e32 vcc, s[4:5], v[58:59]
	v_cmp_ne_u64_e64 s[0:1], v[26:27], v[28:29]
	s_and_b64 s[0:1], vcc, s[0:1]
	v_lshlrev_b32_e32 v60, 3, v0
	s_mov_b32 s10, 1
	v_cndmask_b32_e64 v112, 0, 1, s[0:1]
	v_cmp_ne_u32_e32 vcc, 0, v0
	ds_write_b64 v60, v[74:75]
	s_waitcnt lgkmcnt(0)
	s_barrier
	s_waitcnt lgkmcnt(0)
                                        ; implicit-def: $sgpr0_sgpr1
	s_and_saveexec_b64 s[8:9], vcc
	s_cbranch_execz .LBB1154_470
; %bb.328:
	v_add_u32_e32 v58, -8, v60
	ds_read_b64 v[60:61], v58
	v_mul_u32_u24_e32 v58, 15, v0
	v_cmp_gt_u64_e32 vcc, s[4:5], v[58:59]
	s_or_b64 s[2:3], s[2:3], exec
	s_waitcnt lgkmcnt(0)
	v_cmp_ne_u64_e64 s[0:1], v[60:61], v[26:27]
	s_and_b64 s[0:1], vcc, s[0:1]
	s_and_b64 s[0:1], s[0:1], exec
	s_or_b64 exec, exec, s[8:9]
.LBB1154_329:
	v_mov_b32_e32 v113, s10
	s_and_saveexec_b64 s[4:5], s[2:3]
.LBB1154_330:
	v_cndmask_b32_e64 v113, 0, 1, s[0:1]
.LBB1154_331:
	s_or_b64 exec, exec, s[4:5]
	s_cmp_eq_u64 s[58:59], 0
	v_add3_u32 v58, v112, v113, v111
	v_mov_b32_e32 v64, v54
	v_mov_b32_e32 v65, v55
	s_cselect_b64 s[30:31], -1, 0
	s_cmp_lg_u32 s6, 0
	v_cmp_eq_u32_e64 s[24:25], 0, v112
	v_cmp_eq_u32_e64 s[22:23], 0, v111
	;; [unrolled: 1-line block ×3, first 2 shown]
	v_add3_u32 v115, v58, v110, v109
	v_cmp_eq_u32_e64 s[18:19], 0, v109
	v_cmp_eq_u32_e64 s[16:17], 0, v108
	;; [unrolled: 1-line block ×10, first 2 shown]
	v_cmp_eq_u32_e32 vcc, 0, v1
	v_mbcnt_lo_u32_b32 v114, -1, 0
	s_cbranch_scc0 .LBB1154_402
; %bb.332:
	v_cndmask_b32_e64 v59, 0, v54, s[24:25]
	v_cndmask_b32_e64 v58, 0, v55, s[24:25]
	v_add_co_u32_e64 v59, s[26:27], v59, v56
	v_addc_co_u32_e64 v58, s[26:27], v58, v57, s[26:27]
	v_cndmask_b32_e64 v59, 0, v59, s[22:23]
	v_cndmask_b32_e64 v58, 0, v58, s[22:23]
	v_add_co_u32_e64 v59, s[26:27], v59, v50
	v_addc_co_u32_e64 v58, s[26:27], v58, v51, s[26:27]
	;; [unrolled: 4-line block ×11, first 2 shown]
	v_cndmask_b32_e64 v59, 0, v59, s[2:3]
	v_add3_u32 v60, v115, v108, v107
	v_cndmask_b32_e64 v58, 0, v58, s[2:3]
	v_add_co_u32_e64 v59, s[26:27], v59, v30
	v_add3_u32 v60, v60, v106, v105
	v_addc_co_u32_e64 v58, s[26:27], v58, v31, s[26:27]
	v_cndmask_b32_e64 v59, 0, v59, s[0:1]
	v_add3_u32 v60, v60, v104, v103
	v_cndmask_b32_e64 v58, 0, v58, s[0:1]
	v_add_co_u32_e64 v59, s[26:27], v59, v32
	v_add3_u32 v60, v60, v102, v101
	v_addc_co_u32_e64 v58, s[26:27], v58, v33, s[26:27]
	v_cndmask_b32_e32 v59, 0, v59, vcc
	v_add3_u32 v62, v60, v100, v1
	v_cndmask_b32_e32 v58, 0, v58, vcc
	v_add_co_u32_e32 v60, vcc, v59, v72
	v_mbcnt_hi_u32_b32 v63, -1, v114
	v_addc_co_u32_e32 v61, vcc, v58, v73, vcc
	v_and_b32_e32 v58, 15, v63
	v_mov_b32_dpp v66, v62 row_shr:1 row_mask:0xf bank_mask:0xf
	v_mov_b32_dpp v59, v60 row_shr:1 row_mask:0xf bank_mask:0xf
	;; [unrolled: 1-line block ×3, first 2 shown]
	v_cmp_ne_u32_e32 vcc, 0, v58
	s_and_saveexec_b64 s[26:27], vcc
; %bb.333:
	v_cmp_eq_u32_e32 vcc, 0, v62
	v_cndmask_b32_e32 v59, 0, v59, vcc
	v_add_u32_e32 v66, v66, v62
	v_cndmask_b32_e32 v62, 0, v67, vcc
	v_add_co_u32_e32 v60, vcc, v59, v60
	v_addc_co_u32_e32 v61, vcc, v62, v61, vcc
	v_mov_b32_e32 v62, v66
; %bb.334:
	s_or_b64 exec, exec, s[26:27]
	s_nop 0
	v_mov_b32_dpp v66, v62 row_shr:2 row_mask:0xf bank_mask:0xf
	v_mov_b32_dpp v59, v60 row_shr:2 row_mask:0xf bank_mask:0xf
	v_mov_b32_dpp v67, v61 row_shr:2 row_mask:0xf bank_mask:0xf
	v_cmp_lt_u32_e32 vcc, 1, v58
	s_and_saveexec_b64 s[26:27], vcc
; %bb.335:
	v_cmp_eq_u32_e32 vcc, 0, v62
	v_cndmask_b32_e32 v59, 0, v59, vcc
	v_add_u32_e32 v66, v66, v62
	v_cndmask_b32_e32 v62, 0, v67, vcc
	v_add_co_u32_e32 v60, vcc, v59, v60
	v_addc_co_u32_e32 v61, vcc, v62, v61, vcc
	v_mov_b32_e32 v62, v66
; %bb.336:
	s_or_b64 exec, exec, s[26:27]
	s_nop 0
	v_mov_b32_dpp v66, v62 row_shr:4 row_mask:0xf bank_mask:0xf
	v_mov_b32_dpp v59, v60 row_shr:4 row_mask:0xf bank_mask:0xf
	v_mov_b32_dpp v67, v61 row_shr:4 row_mask:0xf bank_mask:0xf
	v_cmp_lt_u32_e32 vcc, 3, v58
	;; [unrolled: 16-line block ×3, first 2 shown]
	s_and_saveexec_b64 s[26:27], vcc
; %bb.339:
	v_cmp_eq_u32_e32 vcc, 0, v62
	v_cndmask_b32_e32 v59, 0, v59, vcc
	v_add_u32_e32 v58, v66, v62
	v_cndmask_b32_e32 v62, 0, v67, vcc
	v_add_co_u32_e32 v60, vcc, v59, v60
	v_addc_co_u32_e32 v61, vcc, v62, v61, vcc
	v_mov_b32_e32 v62, v58
; %bb.340:
	s_or_b64 exec, exec, s[26:27]
	v_and_b32_e32 v67, 16, v63
	v_mov_b32_dpp v59, v62 row_bcast:15 row_mask:0xf bank_mask:0xf
	v_mov_b32_dpp v58, v60 row_bcast:15 row_mask:0xf bank_mask:0xf
	;; [unrolled: 1-line block ×3, first 2 shown]
	v_cmp_ne_u32_e32 vcc, 0, v67
	s_and_saveexec_b64 s[26:27], vcc
; %bb.341:
	v_cmp_eq_u32_e32 vcc, 0, v62
	v_cndmask_b32_e32 v58, 0, v58, vcc
	v_add_u32_e32 v59, v59, v62
	v_cndmask_b32_e32 v62, 0, v66, vcc
	v_add_co_u32_e32 v60, vcc, v58, v60
	v_addc_co_u32_e32 v61, vcc, v62, v61, vcc
	v_mov_b32_e32 v62, v59
; %bb.342:
	s_or_b64 exec, exec, s[26:27]
	s_nop 0
	v_mov_b32_dpp v59, v62 row_bcast:31 row_mask:0xf bank_mask:0xf
	v_mov_b32_dpp v58, v60 row_bcast:31 row_mask:0xf bank_mask:0xf
	;; [unrolled: 1-line block ×3, first 2 shown]
	v_cmp_lt_u32_e32 vcc, 31, v63
	s_and_saveexec_b64 s[26:27], vcc
; %bb.343:
	v_cmp_eq_u32_e32 vcc, 0, v62
	v_cndmask_b32_e32 v58, 0, v58, vcc
	v_add_u32_e32 v59, v59, v62
	v_cndmask_b32_e32 v62, 0, v66, vcc
	v_add_co_u32_e32 v60, vcc, v58, v60
	v_addc_co_u32_e32 v61, vcc, v62, v61, vcc
	v_mov_b32_e32 v62, v59
; %bb.344:
	s_or_b64 exec, exec, s[26:27]
	v_lshrrev_b32_e32 v58, 6, v0
	v_or_b32_e32 v59, 63, v0
	v_cmp_eq_u32_e32 vcc, v59, v0
	v_lshlrev_b32_e32 v66, 4, v58
	s_and_saveexec_b64 s[26:27], vcc
	s_cbranch_execz .LBB1154_346
; %bb.345:
	ds_write_b32 v66, v62 offset:4128
	ds_write_b64 v66, v[60:61] offset:4136
.LBB1154_346:
	s_or_b64 exec, exec, s[26:27]
	v_cmp_gt_u32_e32 vcc, 4, v0
	s_waitcnt lgkmcnt(0)
	s_barrier
	s_and_saveexec_b64 s[26:27], vcc
	s_cbranch_execz .LBB1154_352
; %bb.347:
	v_lshlrev_b32_e32 v67, 4, v0
	ds_read_b32 v68, v67 offset:4128
	ds_read_b64 v[58:59], v67 offset:4136
	v_and_b32_e32 v69, 3, v63
	v_cmp_ne_u32_e32 vcc, 0, v69
	s_waitcnt lgkmcnt(1)
	v_mov_b32_dpp v71, v68 row_shr:1 row_mask:0xf bank_mask:0xf
	s_waitcnt lgkmcnt(0)
	v_mov_b32_dpp v70, v58 row_shr:1 row_mask:0xf bank_mask:0xf
	v_mov_b32_dpp v76, v59 row_shr:1 row_mask:0xf bank_mask:0xf
	s_and_saveexec_b64 s[38:39], vcc
; %bb.348:
	v_cmp_eq_u32_e32 vcc, 0, v68
	v_cndmask_b32_e32 v70, 0, v70, vcc
	v_add_u32_e32 v71, v71, v68
	v_cndmask_b32_e32 v68, 0, v76, vcc
	v_add_co_u32_e32 v58, vcc, v70, v58
	v_addc_co_u32_e32 v59, vcc, v68, v59, vcc
	v_mov_b32_e32 v68, v71
; %bb.349:
	s_or_b64 exec, exec, s[38:39]
	s_nop 0
	v_mov_b32_dpp v71, v68 row_shr:2 row_mask:0xf bank_mask:0xf
	v_mov_b32_dpp v70, v58 row_shr:2 row_mask:0xf bank_mask:0xf
	;; [unrolled: 1-line block ×3, first 2 shown]
	v_cmp_lt_u32_e32 vcc, 1, v69
	s_and_saveexec_b64 s[38:39], vcc
; %bb.350:
	v_cmp_eq_u32_e32 vcc, 0, v68
	v_cndmask_b32_e32 v70, 0, v70, vcc
	v_add_u32_e32 v69, v71, v68
	v_cndmask_b32_e32 v68, 0, v76, vcc
	v_add_co_u32_e32 v58, vcc, v70, v58
	v_addc_co_u32_e32 v59, vcc, v68, v59, vcc
	v_mov_b32_e32 v68, v69
; %bb.351:
	s_or_b64 exec, exec, s[38:39]
	ds_write_b32 v67, v68 offset:4128
	ds_write_b64 v67, v[58:59] offset:4136
.LBB1154_352:
	s_or_b64 exec, exec, s[26:27]
	v_cmp_gt_u32_e32 vcc, 64, v0
	v_cmp_lt_u32_e64 s[26:27], 63, v0
	v_pk_mov_b32 v[58:59], 0, 0
	v_mov_b32_e32 v76, 0
	s_waitcnt lgkmcnt(0)
	s_barrier
	s_and_saveexec_b64 s[38:39], s[26:27]
	s_cbranch_execz .LBB1154_354
; %bb.353:
	ds_read_b32 v76, v66 offset:4112
	ds_read_b64 v[58:59], v66 offset:4120
	v_cmp_eq_u32_e64 s[26:27], 0, v62
	s_waitcnt lgkmcnt(1)
	v_add_u32_e32 v66, v76, v62
	s_waitcnt lgkmcnt(0)
	v_cndmask_b32_e64 v67, 0, v58, s[26:27]
	v_cndmask_b32_e64 v62, 0, v59, s[26:27]
	v_add_co_u32_e64 v60, s[26:27], v67, v60
	v_addc_co_u32_e64 v61, s[26:27], v62, v61, s[26:27]
	v_mov_b32_e32 v62, v66
.LBB1154_354:
	s_or_b64 exec, exec, s[38:39]
	v_add_u32_e32 v66, -1, v63
	v_and_b32_e32 v67, 64, v63
	v_cmp_lt_i32_e64 s[26:27], v66, v67
	v_cndmask_b32_e64 v66, v66, v63, s[26:27]
	v_lshlrev_b32_e32 v66, 2, v66
	ds_bpermute_b32 v77, v66, v62
	ds_bpermute_b32 v78, v66, v60
	;; [unrolled: 1-line block ×3, first 2 shown]
	v_cmp_eq_u32_e64 s[26:27], 0, v63
	s_and_saveexec_b64 s[38:39], vcc
	s_cbranch_execz .LBB1154_401
; %bb.355:
	v_mov_b32_e32 v67, 0
	ds_read_b32 v80, v67 offset:4176
	ds_read_b64 v[60:61], v67 offset:4184
	s_and_saveexec_b64 s[40:41], s[26:27]
	s_cbranch_execz .LBB1154_357
; %bb.356:
	s_add_i32 s42, s6, 64
	s_mov_b32 s43, 0
	s_lshl_b64 s[44:45], s[42:43], 4
	s_add_u32 s44, s52, s44
	s_addc_u32 s45, s53, s45
	v_mov_b32_e32 v62, s42
	v_mov_b32_e32 v66, 1
	s_waitcnt lgkmcnt(1)
	global_store_dword v67, v80, s[44:45]
	s_waitcnt lgkmcnt(0)
	global_store_dwordx2 v67, v[60:61], s[44:45] offset:8
	s_waitcnt vmcnt(0)
	buffer_wbinvl1_vol
	global_store_byte v62, v66, s[56:57]
.LBB1154_357:
	s_or_b64 exec, exec, s[40:41]
	v_xad_u32 v62, v63, -1, s6
	v_add_u32_e32 v66, 64, v62
	global_load_ubyte v81, v66, s[56:57] glc
	s_waitcnt vmcnt(0)
	v_cmp_eq_u16_e32 vcc, 0, v81
	s_and_saveexec_b64 s[40:41], vcc
	s_cbranch_execz .LBB1154_363
; %bb.358:
	v_mov_b32_e32 v69, s57
	v_add_co_u32_e32 v68, vcc, s56, v66
	v_addc_co_u32_e32 v69, vcc, 0, v69, vcc
	s_mov_b32 s7, 1
	s_mov_b64 s[42:43], 0
.LBB1154_359:                           ; =>This Loop Header: Depth=1
                                        ;     Child Loop BB1154_360 Depth 2
	s_max_u32 s33, s7, 1
.LBB1154_360:                           ;   Parent Loop BB1154_359 Depth=1
                                        ; =>  This Inner Loop Header: Depth=2
	s_add_i32 s33, s33, -1
	s_cmp_eq_u32 s33, 0
	s_sleep 1
	s_cbranch_scc0 .LBB1154_360
; %bb.361:                              ;   in Loop: Header=BB1154_359 Depth=1
	global_load_ubyte v81, v[68:69], off glc
	s_cmp_lt_u32 s7, 32
	s_cselect_b64 s[44:45], -1, 0
	s_cmp_lg_u64 s[44:45], 0
	s_addc_u32 s7, s7, 0
	s_waitcnt vmcnt(0)
	v_cmp_ne_u16_e32 vcc, 0, v81
	s_or_b64 s[42:43], vcc, s[42:43]
	s_andn2_b64 exec, exec, s[42:43]
	s_cbranch_execnz .LBB1154_359
; %bb.362:
	s_or_b64 exec, exec, s[42:43]
.LBB1154_363:
	s_or_b64 exec, exec, s[40:41]
	v_mov_b32_e32 v68, s55
	v_mov_b32_e32 v69, s53
	v_cmp_eq_u16_e32 vcc, 1, v81
	v_cndmask_b32_e32 v68, v68, v69, vcc
	v_mov_b32_e32 v69, s54
	v_mov_b32_e32 v70, s52
	v_cndmask_b32_e32 v69, v69, v70, vcc
	v_lshlrev_b64 v[66:67], 4, v[66:67]
	v_add_co_u32_e32 v66, vcc, v69, v66
	v_addc_co_u32_e32 v67, vcc, v68, v67, vcc
	s_waitcnt lgkmcnt(0)
	buffer_wbinvl1_vol
	global_load_dword v96, v[66:67], off
	global_load_dwordx2 v[70:71], v[66:67], off offset:8
	v_cmp_eq_u16_e32 vcc, 2, v81
	v_lshlrev_b64 v[66:67], v63, -1
	v_and_b32_e32 v82, 63, v63
	v_and_b32_e32 v68, vcc_hi, v67
	v_and_b32_e32 v86, vcc_lo, v66
	v_cmp_ne_u32_e32 vcc, 63, v82
	v_addc_co_u32_e32 v69, vcc, 0, v63, vcc
	v_lshlrev_b32_e32 v83, 2, v69
	v_or_b32_e32 v68, 0x80000000, v68
	v_ffbl_b32_e32 v68, v68
	v_add_u32_e32 v68, 32, v68
	v_ffbl_b32_e32 v86, v86
	v_min_u32_e32 v68, v86, v68
	v_cmp_lt_u32_e32 vcc, v82, v68
	s_waitcnt vmcnt(1)
	ds_bpermute_b32 v84, v83, v96
	s_waitcnt vmcnt(0)
	ds_bpermute_b32 v69, v83, v70
	ds_bpermute_b32 v85, v83, v71
	s_and_saveexec_b64 s[40:41], vcc
	s_cbranch_execz .LBB1154_365
; %bb.364:
	v_cmp_eq_u32_e32 vcc, 0, v96
	s_waitcnt lgkmcnt(1)
	v_cndmask_b32_e32 v69, 0, v69, vcc
	v_add_u32_e32 v84, v84, v96
	s_waitcnt lgkmcnt(0)
	v_cndmask_b32_e32 v85, 0, v85, vcc
	v_add_co_u32_e32 v70, vcc, v69, v70
	v_addc_co_u32_e32 v71, vcc, v85, v71, vcc
	v_mov_b32_e32 v96, v84
.LBB1154_365:
	s_or_b64 exec, exec, s[40:41]
	v_cmp_gt_u32_e32 vcc, 62, v82
	s_waitcnt lgkmcnt(1)
	v_cndmask_b32_e64 v69, 0, 1, vcc
	v_lshlrev_b32_e32 v69, 1, v69
	v_add_lshl_u32 v84, v69, v63, 2
	ds_bpermute_b32 v86, v84, v96
	ds_bpermute_b32 v69, v84, v70
	ds_bpermute_b32 v87, v84, v71
	s_waitcnt lgkmcnt(3)
	v_add_u32_e32 v85, 2, v82
	v_cmp_le_u32_e32 vcc, v85, v68
	s_and_saveexec_b64 s[40:41], vcc
	s_cbranch_execz .LBB1154_367
; %bb.366:
	v_cmp_eq_u32_e32 vcc, 0, v96
	s_waitcnt lgkmcnt(1)
	v_cndmask_b32_e32 v69, 0, v69, vcc
	v_add_u32_e32 v86, v86, v96
	s_waitcnt lgkmcnt(0)
	v_cndmask_b32_e32 v87, 0, v87, vcc
	v_add_co_u32_e32 v70, vcc, v69, v70
	v_addc_co_u32_e32 v71, vcc, v87, v71, vcc
	v_mov_b32_e32 v96, v86
.LBB1154_367:
	s_or_b64 exec, exec, s[40:41]
	v_cmp_gt_u32_e32 vcc, 60, v82
	s_waitcnt lgkmcnt(1)
	v_cndmask_b32_e64 v69, 0, 1, vcc
	v_lshlrev_b32_e32 v69, 2, v69
	v_add_lshl_u32 v86, v69, v63, 2
	ds_bpermute_b32 v88, v86, v96
	ds_bpermute_b32 v69, v86, v70
	ds_bpermute_b32 v89, v86, v71
	s_waitcnt lgkmcnt(3)
	v_add_u32_e32 v87, 4, v82
	v_cmp_le_u32_e32 vcc, v87, v68
	;; [unrolled: 25-line block ×4, first 2 shown]
	s_and_saveexec_b64 s[40:41], vcc
	s_cbranch_execz .LBB1154_373
; %bb.372:
	v_cmp_eq_u32_e32 vcc, 0, v96
	s_waitcnt lgkmcnt(1)
	v_cndmask_b32_e32 v69, 0, v69, vcc
	v_add_u32_e32 v92, v92, v96
	s_waitcnt lgkmcnt(0)
	v_cndmask_b32_e32 v93, 0, v93, vcc
	v_add_co_u32_e32 v70, vcc, v69, v70
	v_addc_co_u32_e32 v71, vcc, v93, v71, vcc
	v_mov_b32_e32 v96, v92
.LBB1154_373:
	s_or_b64 exec, exec, s[40:41]
	v_cmp_gt_u32_e32 vcc, 32, v82
	s_waitcnt lgkmcnt(1)
	v_cndmask_b32_e64 v69, 0, 1, vcc
	v_lshlrev_b32_e32 v69, 5, v69
	v_add_lshl_u32 v92, v69, v63, 2
	ds_bpermute_b32 v69, v92, v96
	ds_bpermute_b32 v63, v92, v70
	s_waitcnt lgkmcnt(2)
	ds_bpermute_b32 v93, v92, v71
	v_add_u32_e32 v94, 32, v82
	v_cmp_le_u32_e32 vcc, v94, v68
	s_and_saveexec_b64 s[40:41], vcc
	s_cbranch_execz .LBB1154_375
; %bb.374:
	v_cmp_eq_u32_e32 vcc, 0, v96
	s_waitcnt lgkmcnt(1)
	v_cndmask_b32_e32 v63, 0, v63, vcc
	v_add_u32_e32 v68, v69, v96
	s_waitcnt lgkmcnt(0)
	v_cndmask_b32_e32 v69, 0, v93, vcc
	v_add_co_u32_e32 v70, vcc, v63, v70
	v_addc_co_u32_e32 v71, vcc, v69, v71, vcc
	v_mov_b32_e32 v96, v68
.LBB1154_375:
	s_or_b64 exec, exec, s[40:41]
	s_waitcnt lgkmcnt(1)
	v_mov_b32_e32 v63, 0
	v_mov_b32_e32 v95, 2
	s_branch .LBB1154_377
.LBB1154_376:                           ;   in Loop: Header=BB1154_377 Depth=1
	s_or_b64 exec, exec, s[40:41]
	v_cmp_eq_u32_e32 vcc, 0, v93
	v_cndmask_b32_e32 v70, 0, v70, vcc
	v_cndmask_b32_e32 v71, 0, v71, vcc
	v_add_co_u32_e32 v70, vcc, v70, v68
	v_subrev_u32_e32 v62, 64, v62
	v_add_u32_e32 v96, v97, v93
	v_addc_co_u32_e32 v71, vcc, v71, v69, vcc
.LBB1154_377:                           ; =>This Loop Header: Depth=1
                                        ;     Child Loop BB1154_380 Depth 2
                                        ;       Child Loop BB1154_381 Depth 3
	v_cmp_ne_u16_sdwa s[40:41], v81, v95 src0_sel:BYTE_0 src1_sel:DWORD
	v_pk_mov_b32 v[68:69], v[70:71], v[70:71] op_sel:[0,1]
	v_cndmask_b32_e64 v70, 0, 1, s[40:41]
	;;#ASMSTART
	;;#ASMEND
	v_cmp_ne_u32_e32 vcc, 0, v70
	s_cmp_lg_u64 vcc, exec
	s_waitcnt lgkmcnt(0)
	v_mov_b32_e32 v93, v96
	s_cbranch_scc1 .LBB1154_396
; %bb.378:                              ;   in Loop: Header=BB1154_377 Depth=1
	global_load_ubyte v81, v62, s[56:57] glc
	s_waitcnt vmcnt(0)
	v_cmp_eq_u16_e32 vcc, 0, v81
	s_and_saveexec_b64 s[40:41], vcc
	s_cbranch_execz .LBB1154_384
; %bb.379:                              ;   in Loop: Header=BB1154_377 Depth=1
	v_mov_b32_e32 v71, s57
	v_add_co_u32_e32 v70, vcc, s56, v62
	v_addc_co_u32_e32 v71, vcc, 0, v71, vcc
	s_mov_b32 s7, 1
	s_mov_b64 s[42:43], 0
.LBB1154_380:                           ;   Parent Loop BB1154_377 Depth=1
                                        ; =>  This Loop Header: Depth=2
                                        ;       Child Loop BB1154_381 Depth 3
	s_max_u32 s33, s7, 1
.LBB1154_381:                           ;   Parent Loop BB1154_377 Depth=1
                                        ;     Parent Loop BB1154_380 Depth=2
                                        ; =>    This Inner Loop Header: Depth=3
	s_add_i32 s33, s33, -1
	s_cmp_eq_u32 s33, 0
	s_sleep 1
	s_cbranch_scc0 .LBB1154_381
; %bb.382:                              ;   in Loop: Header=BB1154_380 Depth=2
	global_load_ubyte v81, v[70:71], off glc
	s_cmp_lt_u32 s7, 32
	s_cselect_b64 s[44:45], -1, 0
	s_cmp_lg_u64 s[44:45], 0
	s_addc_u32 s7, s7, 0
	s_waitcnt vmcnt(0)
	v_cmp_ne_u16_e32 vcc, 0, v81
	s_or_b64 s[42:43], vcc, s[42:43]
	s_andn2_b64 exec, exec, s[42:43]
	s_cbranch_execnz .LBB1154_380
; %bb.383:                              ;   in Loop: Header=BB1154_377 Depth=1
	s_or_b64 exec, exec, s[42:43]
.LBB1154_384:                           ;   in Loop: Header=BB1154_377 Depth=1
	s_or_b64 exec, exec, s[40:41]
	v_mov_b32_e32 v70, s55
	v_mov_b32_e32 v71, s53
	v_cmp_eq_u16_e32 vcc, 1, v81
	v_cndmask_b32_e32 v96, v70, v71, vcc
	v_mov_b32_e32 v70, s54
	v_mov_b32_e32 v71, s52
	v_cndmask_b32_e32 v97, v70, v71, vcc
	v_lshlrev_b64 v[70:71], 4, v[62:63]
	v_add_co_u32_e32 v70, vcc, v97, v70
	v_addc_co_u32_e32 v71, vcc, v96, v71, vcc
	buffer_wbinvl1_vol
	global_load_dword v97, v[70:71], off
	s_nop 0
	global_load_dwordx2 v[70:71], v[70:71], off offset:8
	v_cmp_eq_u16_e32 vcc, 2, v81
	v_and_b32_e32 v96, vcc_hi, v67
	v_or_b32_e32 v96, 0x80000000, v96
	v_and_b32_e32 v117, vcc_lo, v66
	v_ffbl_b32_e32 v96, v96
	v_add_u32_e32 v96, 32, v96
	v_ffbl_b32_e32 v117, v117
	v_min_u32_e32 v96, v117, v96
	v_cmp_lt_u32_e32 vcc, v82, v96
	s_waitcnt vmcnt(1)
	ds_bpermute_b32 v99, v83, v97
	s_waitcnt vmcnt(0)
	ds_bpermute_b32 v98, v83, v70
	ds_bpermute_b32 v116, v83, v71
	s_and_saveexec_b64 s[40:41], vcc
	s_cbranch_execz .LBB1154_386
; %bb.385:                              ;   in Loop: Header=BB1154_377 Depth=1
	v_cmp_eq_u32_e32 vcc, 0, v97
	s_waitcnt lgkmcnt(1)
	v_cndmask_b32_e32 v98, 0, v98, vcc
	v_add_u32_e32 v99, v99, v97
	s_waitcnt lgkmcnt(0)
	v_cndmask_b32_e32 v97, 0, v116, vcc
	v_add_co_u32_e32 v70, vcc, v98, v70
	v_addc_co_u32_e32 v71, vcc, v97, v71, vcc
	v_mov_b32_e32 v97, v99
.LBB1154_386:                           ;   in Loop: Header=BB1154_377 Depth=1
	s_or_b64 exec, exec, s[40:41]
	s_waitcnt lgkmcnt(2)
	ds_bpermute_b32 v99, v84, v97
	s_waitcnt lgkmcnt(2)
	ds_bpermute_b32 v98, v84, v70
	s_waitcnt lgkmcnt(2)
	ds_bpermute_b32 v116, v84, v71
	v_cmp_le_u32_e32 vcc, v85, v96
	s_and_saveexec_b64 s[40:41], vcc
	s_cbranch_execz .LBB1154_388
; %bb.387:                              ;   in Loop: Header=BB1154_377 Depth=1
	v_cmp_eq_u32_e32 vcc, 0, v97
	s_waitcnt lgkmcnt(1)
	v_cndmask_b32_e32 v98, 0, v98, vcc
	v_add_u32_e32 v99, v99, v97
	s_waitcnt lgkmcnt(0)
	v_cndmask_b32_e32 v97, 0, v116, vcc
	v_add_co_u32_e32 v70, vcc, v98, v70
	v_addc_co_u32_e32 v71, vcc, v97, v71, vcc
	v_mov_b32_e32 v97, v99
.LBB1154_388:                           ;   in Loop: Header=BB1154_377 Depth=1
	s_or_b64 exec, exec, s[40:41]
	s_waitcnt lgkmcnt(2)
	ds_bpermute_b32 v99, v86, v97
	s_waitcnt lgkmcnt(2)
	ds_bpermute_b32 v98, v86, v70
	s_waitcnt lgkmcnt(2)
	ds_bpermute_b32 v116, v86, v71
	v_cmp_le_u32_e32 vcc, v87, v96
	;; [unrolled: 21-line block ×5, first 2 shown]
	s_and_saveexec_b64 s[40:41], vcc
	s_cbranch_execz .LBB1154_376
; %bb.395:                              ;   in Loop: Header=BB1154_377 Depth=1
	v_cmp_eq_u32_e32 vcc, 0, v97
	s_waitcnt lgkmcnt(1)
	v_cndmask_b32_e32 v98, 0, v98, vcc
	v_add_u32_e32 v96, v99, v97
	s_waitcnt lgkmcnt(0)
	v_cndmask_b32_e32 v97, 0, v116, vcc
	v_add_co_u32_e32 v70, vcc, v98, v70
	v_addc_co_u32_e32 v71, vcc, v97, v71, vcc
	v_mov_b32_e32 v97, v96
	s_branch .LBB1154_376
.LBB1154_396:                           ;   in Loop: Header=BB1154_377 Depth=1
                                        ; implicit-def: $vgpr70_vgpr71
                                        ; implicit-def: $vgpr96
                                        ; implicit-def: $vgpr81
	s_cbranch_execz .LBB1154_377
; %bb.397:
	s_and_saveexec_b64 s[40:41], s[26:27]
	s_cbranch_execz .LBB1154_399
; %bb.398:
	s_mov_b32 s7, 0
	v_cmp_eq_u32_e32 vcc, 0, v80
	s_add_i32 s6, s6, 64
	v_cndmask_b32_e32 v62, 0, v68, vcc
	s_lshl_b64 s[42:43], s[6:7], 4
	v_cndmask_b32_e32 v63, 0, v69, vcc
	v_add_co_u32_e32 v62, vcc, v62, v60
	s_add_u32 s42, s54, s42
	v_add_u32_e32 v66, v93, v80
	v_addc_co_u32_e32 v63, vcc, v63, v61, vcc
	s_addc_u32 s43, s55, s43
	v_mov_b32_e32 v67, 0
	global_store_dword v67, v66, s[42:43]
	global_store_dwordx2 v67, v[62:63], s[42:43] offset:8
	v_mov_b32_e32 v62, s6
	v_mov_b32_e32 v63, 2
	s_waitcnt vmcnt(0) lgkmcnt(0)
	buffer_wbinvl1_vol
	global_store_byte v62, v63, s[56:57]
	ds_write_b32 v67, v80 offset:4096
	ds_write_b64 v67, v[60:61] offset:4104
	ds_write_b32 v67, v93 offset:4112
	ds_write_b64 v67, v[68:69] offset:4120
.LBB1154_399:
	s_or_b64 exec, exec, s[40:41]
	v_cmp_eq_u32_e32 vcc, 0, v0
	s_and_b64 exec, exec, vcc
	s_cbranch_execz .LBB1154_401
; %bb.400:
	v_mov_b32_e32 v60, 0
	ds_write_b32 v60, v93 offset:4176
	ds_write_b64 v60, v[68:69] offset:4184
.LBB1154_401:
	s_or_b64 exec, exec, s[38:39]
	v_mov_b32_e32 v63, 0
	s_waitcnt lgkmcnt(0)
	s_barrier
	ds_read_b32 v62, v63 offset:4176
	ds_read_b64 v[60:61], v63 offset:4184
	v_cndmask_b32_e64 v66, v77, v76, s[26:27]
	v_cmp_eq_u32_e32 vcc, 0, v66
	v_cndmask_b32_e64 v58, v78, v58, s[26:27]
	v_cndmask_b32_e64 v59, v79, v59, s[26:27]
	s_waitcnt lgkmcnt(0)
	v_cndmask_b32_e32 v68, 0, v60, vcc
	v_cndmask_b32_e32 v67, 0, v61, vcc
	v_add_co_u32_e32 v58, vcc, v68, v58
	v_addc_co_u32_e32 v67, vcc, v67, v59, vcc
	v_cmp_eq_u32_e32 vcc, 0, v0
	v_cndmask_b32_e64 v59, v66, 0, vcc
	v_cndmask_b32_e32 v95, v67, v61, vcc
	v_cndmask_b32_e32 v94, v58, v60, vcc
	v_cmp_eq_u32_e32 vcc, 0, v113
	v_cndmask_b32_e32 v60, 0, v94, vcc
	v_cndmask_b32_e32 v58, 0, v95, vcc
	v_add_co_u32_e32 v66, vcc, v60, v54
	v_addc_co_u32_e32 v67, vcc, v58, v55, vcc
	v_cndmask_b32_e64 v60, 0, v66, s[24:25]
	v_cndmask_b32_e64 v58, 0, v67, s[24:25]
	v_add_co_u32_e32 v68, vcc, v60, v56
	v_addc_co_u32_e32 v69, vcc, v58, v57, vcc
	v_cndmask_b32_e64 v60, 0, v68, s[22:23]
	v_cndmask_b32_e64 v58, 0, v69, s[22:23]
	;; [unrolled: 4-line block ×11, first 2 shown]
	v_add_co_u32_e32 v92, vcc, v60, v36
	v_add_u32_e32 v59, v62, v59
	v_addc_co_u32_e32 v93, vcc, v58, v37, vcc
	s_barrier
	ds_read_b32 v58, v63 offset:4096
	ds_read_b64 v[60:61], v63 offset:4104
	ds_read_b32 v62, v63 offset:4112
	ds_read_b64 v[116:117], v63 offset:4120
	v_cndmask_b32_e64 v96, 0, v92, s[2:3]
	v_cndmask_b32_e64 v97, 0, v93, s[2:3]
	v_add_co_u32_e32 v96, vcc, v96, v30
	v_addc_co_u32_e32 v97, vcc, v97, v31, vcc
	s_waitcnt lgkmcnt(3)
	v_cmp_eq_u32_e32 vcc, 0, v58
	s_waitcnt lgkmcnt(0)
	v_cndmask_b32_e32 v116, 0, v116, vcc
	v_cndmask_b32_e32 v63, 0, v117, vcc
	v_add_co_u32_e32 v60, vcc, v116, v60
	v_cndmask_b32_e64 v99, 0, v97, s[0:1]
	v_cndmask_b32_e64 v98, 0, v96, s[0:1]
	v_addc_co_u32_e32 v61, vcc, v63, v61, vcc
	s_branch .LBB1154_430
.LBB1154_402:
                                        ; implicit-def: $vgpr58
                                        ; implicit-def: $vgpr60_vgpr61
                                        ; implicit-def: $vgpr62
                                        ; implicit-def: $vgpr94_vgpr95
                                        ; implicit-def: $vgpr66_vgpr67
                                        ; implicit-def: $vgpr68_vgpr69
                                        ; implicit-def: $vgpr70_vgpr71
                                        ; implicit-def: $vgpr76_vgpr77
                                        ; implicit-def: $vgpr78_vgpr79
                                        ; implicit-def: $vgpr80_vgpr81
                                        ; implicit-def: $vgpr82_vgpr83
                                        ; implicit-def: $vgpr84_vgpr85
                                        ; implicit-def: $vgpr86_vgpr87
                                        ; implicit-def: $vgpr88_vgpr89
                                        ; implicit-def: $vgpr90_vgpr91
                                        ; implicit-def: $vgpr92_vgpr93
                                        ; implicit-def: $vgpr96_vgpr97
                                        ; implicit-def: $vgpr98_vgpr99
                                        ; implicit-def: $vgpr59
	s_cbranch_execz .LBB1154_430
; %bb.403:
	s_and_b64 s[0:1], s[30:31], exec
	s_cselect_b32 s1, 0, s61
	s_cselect_b32 s0, 0, s60
	s_cmp_eq_u64 s[0:1], 0
	s_cbranch_scc1 .LBB1154_405
; %bb.404:
	v_mov_b32_e32 v58, 0
	global_load_dwordx2 v[64:65], v58, s[0:1]
.LBB1154_405:
	v_cmp_eq_u32_e64 s[22:23], 0, v112
	v_cndmask_b32_e64 v59, 0, v54, s[22:23]
	v_cndmask_b32_e64 v58, 0, v55, s[22:23]
	v_add_co_u32_e32 v59, vcc, v59, v56
	v_cmp_eq_u32_e64 s[20:21], 0, v111
	v_addc_co_u32_e32 v58, vcc, v58, v57, vcc
	v_cndmask_b32_e64 v59, 0, v59, s[20:21]
	v_cndmask_b32_e64 v58, 0, v58, s[20:21]
	v_add_co_u32_e32 v59, vcc, v59, v50
	v_cmp_eq_u32_e64 s[18:19], 0, v110
	v_addc_co_u32_e32 v58, vcc, v58, v51, vcc
	v_cndmask_b32_e64 v59, 0, v59, s[18:19]
	v_cndmask_b32_e64 v58, 0, v58, s[18:19]
	v_add_co_u32_e32 v59, vcc, v59, v52
	v_cmp_eq_u32_e64 s[16:17], 0, v109
	v_addc_co_u32_e32 v58, vcc, v58, v53, vcc
	v_cndmask_b32_e64 v59, 0, v59, s[16:17]
	v_cndmask_b32_e64 v58, 0, v58, s[16:17]
	v_add_co_u32_e32 v59, vcc, v59, v46
	v_cmp_eq_u32_e64 s[12:13], 0, v108
	v_addc_co_u32_e32 v58, vcc, v58, v47, vcc
	v_cndmask_b32_e64 v59, 0, v59, s[12:13]
	v_cndmask_b32_e64 v58, 0, v58, s[12:13]
	v_add_co_u32_e32 v59, vcc, v59, v48
	v_cmp_eq_u32_e64 s[14:15], 0, v107
	v_addc_co_u32_e32 v58, vcc, v58, v49, vcc
	v_cndmask_b32_e64 v59, 0, v59, s[14:15]
	v_cndmask_b32_e64 v58, 0, v58, s[14:15]
	v_add_co_u32_e32 v59, vcc, v59, v42
	v_cmp_eq_u32_e64 s[8:9], 0, v106
	v_addc_co_u32_e32 v58, vcc, v58, v43, vcc
	v_cndmask_b32_e64 v59, 0, v59, s[8:9]
	v_cndmask_b32_e64 v58, 0, v58, s[8:9]
	v_add_co_u32_e32 v59, vcc, v59, v44
	v_cmp_eq_u32_e64 s[10:11], 0, v105
	v_addc_co_u32_e32 v58, vcc, v58, v45, vcc
	v_cndmask_b32_e64 v59, 0, v59, s[10:11]
	v_cndmask_b32_e64 v58, 0, v58, s[10:11]
	v_add_co_u32_e32 v59, vcc, v59, v38
	v_cmp_eq_u32_e64 s[4:5], 0, v104
	v_addc_co_u32_e32 v58, vcc, v58, v39, vcc
	v_cndmask_b32_e64 v59, 0, v59, s[4:5]
	v_cndmask_b32_e64 v58, 0, v58, s[4:5]
	v_add_co_u32_e32 v59, vcc, v59, v40
	v_cmp_eq_u32_e64 s[6:7], 0, v103
	v_addc_co_u32_e32 v58, vcc, v58, v41, vcc
	v_cndmask_b32_e64 v59, 0, v59, s[6:7]
	v_cndmask_b32_e64 v58, 0, v58, s[6:7]
	v_add_co_u32_e32 v59, vcc, v59, v34
	v_cmp_eq_u32_e64 s[0:1], 0, v102
	v_addc_co_u32_e32 v58, vcc, v58, v35, vcc
	v_cndmask_b32_e64 v59, 0, v59, s[0:1]
	v_cndmask_b32_e64 v58, 0, v58, s[0:1]
	v_add_co_u32_e32 v59, vcc, v59, v36
	v_cmp_eq_u32_e64 s[2:3], 0, v101
	v_addc_co_u32_e32 v58, vcc, v58, v37, vcc
	v_cndmask_b32_e64 v59, 0, v59, s[2:3]
	v_cndmask_b32_e64 v58, 0, v58, s[2:3]
	v_add_co_u32_e32 v59, vcc, v59, v30
	v_addc_co_u32_e32 v58, vcc, v58, v31, vcc
	v_cmp_eq_u32_e32 vcc, 0, v100
	v_add3_u32 v60, v115, v108, v107
	v_cndmask_b32_e32 v59, 0, v59, vcc
	v_add3_u32 v60, v60, v106, v105
	v_cndmask_b32_e32 v58, 0, v58, vcc
	v_add_co_u32_e64 v59, s[24:25], v59, v32
	v_add3_u32 v60, v60, v104, v103
	v_addc_co_u32_e64 v58, s[24:25], v58, v33, s[24:25]
	v_add3_u32 v60, v60, v102, v101
	v_cmp_eq_u32_e64 s[24:25], 0, v1
	v_add3_u32 v63, v60, v100, v1
	v_cndmask_b32_e64 v60, 0, v58, s[24:25]
	v_cndmask_b32_e64 v58, 0, v59, s[24:25]
	v_add_co_u32_e64 v58, s[24:25], v58, v72
	v_mbcnt_hi_u32_b32 v62, -1, v114
	v_addc_co_u32_e64 v59, s[24:25], v60, v73, s[24:25]
	v_and_b32_e32 v60, 15, v62
	v_mov_b32_dpp v66, v63 row_shr:1 row_mask:0xf bank_mask:0xf
	v_mov_b32_dpp v61, v58 row_shr:1 row_mask:0xf bank_mask:0xf
	;; [unrolled: 1-line block ×3, first 2 shown]
	v_cmp_ne_u32_e64 s[24:25], 0, v60
	s_and_saveexec_b64 s[26:27], s[24:25]
; %bb.406:
	v_cmp_eq_u32_e64 s[24:25], 0, v63
	v_cndmask_b32_e64 v61, 0, v61, s[24:25]
	v_add_u32_e32 v66, v66, v63
	v_cndmask_b32_e64 v63, 0, v67, s[24:25]
	v_add_co_u32_e64 v58, s[24:25], v61, v58
	v_addc_co_u32_e64 v59, s[24:25], v63, v59, s[24:25]
	v_mov_b32_e32 v63, v66
; %bb.407:
	s_or_b64 exec, exec, s[26:27]
	s_nop 0
	v_mov_b32_dpp v66, v63 row_shr:2 row_mask:0xf bank_mask:0xf
	v_mov_b32_dpp v61, v58 row_shr:2 row_mask:0xf bank_mask:0xf
	v_mov_b32_dpp v67, v59 row_shr:2 row_mask:0xf bank_mask:0xf
	v_cmp_lt_u32_e64 s[24:25], 1, v60
	s_and_saveexec_b64 s[26:27], s[24:25]
; %bb.408:
	v_cmp_eq_u32_e64 s[24:25], 0, v63
	v_cndmask_b32_e64 v61, 0, v61, s[24:25]
	v_add_u32_e32 v66, v66, v63
	v_cndmask_b32_e64 v63, 0, v67, s[24:25]
	v_add_co_u32_e64 v58, s[24:25], v61, v58
	v_addc_co_u32_e64 v59, s[24:25], v63, v59, s[24:25]
	v_mov_b32_e32 v63, v66
; %bb.409:
	s_or_b64 exec, exec, s[26:27]
	s_nop 0
	v_mov_b32_dpp v66, v63 row_shr:4 row_mask:0xf bank_mask:0xf
	v_mov_b32_dpp v61, v58 row_shr:4 row_mask:0xf bank_mask:0xf
	v_mov_b32_dpp v67, v59 row_shr:4 row_mask:0xf bank_mask:0xf
	v_cmp_lt_u32_e64 s[24:25], 3, v60
	;; [unrolled: 16-line block ×3, first 2 shown]
	s_and_saveexec_b64 s[26:27], s[24:25]
; %bb.412:
	v_cmp_eq_u32_e64 s[24:25], 0, v63
	v_cndmask_b32_e64 v61, 0, v61, s[24:25]
	v_add_u32_e32 v60, v66, v63
	v_cndmask_b32_e64 v63, 0, v67, s[24:25]
	v_add_co_u32_e64 v58, s[24:25], v61, v58
	v_addc_co_u32_e64 v59, s[24:25], v63, v59, s[24:25]
	v_mov_b32_e32 v63, v60
; %bb.413:
	s_or_b64 exec, exec, s[26:27]
	v_and_b32_e32 v67, 16, v62
	v_mov_b32_dpp v61, v63 row_bcast:15 row_mask:0xf bank_mask:0xf
	v_mov_b32_dpp v60, v58 row_bcast:15 row_mask:0xf bank_mask:0xf
	;; [unrolled: 1-line block ×3, first 2 shown]
	v_cmp_ne_u32_e64 s[24:25], 0, v67
	s_and_saveexec_b64 s[26:27], s[24:25]
; %bb.414:
	v_cmp_eq_u32_e64 s[24:25], 0, v63
	v_cndmask_b32_e64 v60, 0, v60, s[24:25]
	v_add_u32_e32 v61, v61, v63
	v_cndmask_b32_e64 v63, 0, v66, s[24:25]
	v_add_co_u32_e64 v58, s[24:25], v60, v58
	v_addc_co_u32_e64 v59, s[24:25], v63, v59, s[24:25]
	v_mov_b32_e32 v63, v61
; %bb.415:
	s_or_b64 exec, exec, s[26:27]
	s_nop 0
	v_mov_b32_dpp v61, v63 row_bcast:31 row_mask:0xf bank_mask:0xf
	v_mov_b32_dpp v60, v58 row_bcast:31 row_mask:0xf bank_mask:0xf
	;; [unrolled: 1-line block ×3, first 2 shown]
	v_cmp_lt_u32_e64 s[24:25], 31, v62
	s_and_saveexec_b64 s[26:27], s[24:25]
; %bb.416:
	v_cmp_eq_u32_e64 s[24:25], 0, v63
	v_cndmask_b32_e64 v60, 0, v60, s[24:25]
	v_add_u32_e32 v61, v61, v63
	v_cndmask_b32_e64 v63, 0, v66, s[24:25]
	v_add_co_u32_e64 v58, s[24:25], v60, v58
	v_addc_co_u32_e64 v59, s[24:25], v63, v59, s[24:25]
	v_mov_b32_e32 v63, v61
; %bb.417:
	s_or_b64 exec, exec, s[26:27]
	v_or_b32_e32 v60, 63, v0
	v_lshrrev_b32_e32 v66, 6, v0
	v_cmp_eq_u32_e64 s[24:25], v60, v0
	s_and_saveexec_b64 s[26:27], s[24:25]
	s_cbranch_execz .LBB1154_419
; %bb.418:
	v_lshlrev_b32_e32 v60, 4, v66
	ds_write_b32 v60, v63 offset:4128
	ds_write_b64 v60, v[58:59] offset:4136
.LBB1154_419:
	s_or_b64 exec, exec, s[26:27]
	v_cmp_gt_u32_e64 s[24:25], 4, v0
	s_waitcnt lgkmcnt(0)
	s_barrier
	s_and_saveexec_b64 s[26:27], s[24:25]
	s_cbranch_execz .LBB1154_425
; %bb.420:
	v_lshlrev_b32_e32 v67, 4, v0
	ds_read_b32 v68, v67 offset:4128
	ds_read_b64 v[60:61], v67 offset:4136
	v_and_b32_e32 v69, 3, v62
	v_cmp_ne_u32_e64 s[24:25], 0, v69
	s_waitcnt lgkmcnt(1)
	v_mov_b32_dpp v71, v68 row_shr:1 row_mask:0xf bank_mask:0xf
	s_waitcnt lgkmcnt(0)
	v_mov_b32_dpp v70, v60 row_shr:1 row_mask:0xf bank_mask:0xf
	v_mov_b32_dpp v72, v61 row_shr:1 row_mask:0xf bank_mask:0xf
	s_and_saveexec_b64 s[28:29], s[24:25]
; %bb.421:
	v_cmp_eq_u32_e64 s[24:25], 0, v68
	v_cndmask_b32_e64 v70, 0, v70, s[24:25]
	v_add_u32_e32 v71, v71, v68
	v_cndmask_b32_e64 v68, 0, v72, s[24:25]
	v_add_co_u32_e64 v60, s[24:25], v70, v60
	v_addc_co_u32_e64 v61, s[24:25], v68, v61, s[24:25]
	v_mov_b32_e32 v68, v71
; %bb.422:
	s_or_b64 exec, exec, s[28:29]
	s_nop 0
	v_mov_b32_dpp v71, v68 row_shr:2 row_mask:0xf bank_mask:0xf
	v_mov_b32_dpp v70, v60 row_shr:2 row_mask:0xf bank_mask:0xf
	;; [unrolled: 1-line block ×3, first 2 shown]
	v_cmp_lt_u32_e64 s[24:25], 1, v69
	s_and_saveexec_b64 s[28:29], s[24:25]
; %bb.423:
	v_cmp_eq_u32_e64 s[24:25], 0, v68
	v_cndmask_b32_e64 v70, 0, v70, s[24:25]
	v_add_u32_e32 v69, v71, v68
	v_cndmask_b32_e64 v68, 0, v72, s[24:25]
	v_add_co_u32_e64 v60, s[24:25], v70, v60
	v_addc_co_u32_e64 v61, s[24:25], v68, v61, s[24:25]
	v_mov_b32_e32 v68, v69
; %bb.424:
	s_or_b64 exec, exec, s[28:29]
	ds_write_b32 v67, v68 offset:4128
	ds_write_b64 v67, v[60:61] offset:4136
.LBB1154_425:
	s_or_b64 exec, exec, s[26:27]
	v_cmp_lt_u32_e64 s[24:25], 63, v0
	v_mov_b32_e32 v72, 0
	v_mov_b32_e32 v67, 0
	s_waitcnt vmcnt(0)
	v_pk_mov_b32 v[60:61], v[64:65], v[64:65] op_sel:[0,1]
	s_waitcnt lgkmcnt(0)
	s_barrier
	s_and_saveexec_b64 s[26:27], s[24:25]
	s_cbranch_execz .LBB1154_427
; %bb.426:
	v_lshlrev_b32_e32 v60, 4, v66
	ds_read_b32 v67, v60 offset:4112
	ds_read_b64 v[60:61], v60 offset:4120
	s_waitcnt lgkmcnt(1)
	v_cmp_eq_u32_e64 s[24:25], 0, v67
	v_cndmask_b32_e64 v68, 0, v64, s[24:25]
	v_cndmask_b32_e64 v66, 0, v65, s[24:25]
	s_waitcnt lgkmcnt(0)
	v_add_co_u32_e64 v60, s[24:25], v68, v60
	v_addc_co_u32_e64 v61, s[24:25], v66, v61, s[24:25]
.LBB1154_427:
	s_or_b64 exec, exec, s[26:27]
	v_cmp_eq_u32_e64 s[24:25], 0, v63
	v_cndmask_b32_e64 v68, 0, v60, s[24:25]
	v_add_u32_e32 v66, v67, v63
	v_cndmask_b32_e64 v63, 0, v61, s[24:25]
	v_add_co_u32_e64 v58, s[24:25], v68, v58
	v_addc_co_u32_e64 v59, s[24:25], v63, v59, s[24:25]
	v_add_u32_e32 v63, -1, v62
	v_and_b32_e32 v68, 64, v62
	v_cmp_lt_i32_e64 s[24:25], v63, v68
	v_cndmask_b32_e64 v63, v63, v62, s[24:25]
	v_lshlrev_b32_e32 v63, 2, v63
	ds_bpermute_b32 v66, v63, v66
	ds_bpermute_b32 v68, v63, v59
	;; [unrolled: 1-line block ×3, first 2 shown]
	v_cmp_eq_u32_e64 s[24:25], 0, v62
	v_cmp_eq_u32_e64 s[26:27], 0, v113
	s_waitcnt lgkmcnt(2)
	v_cndmask_b32_e64 v59, v66, v67, s[24:25]
	s_waitcnt lgkmcnt(1)
	v_cndmask_b32_e64 v95, v68, v61, s[24:25]
	;; [unrolled: 2-line block ×3, first 2 shown]
	v_cmp_eq_u32_e64 s[24:25], 0, v0
	v_cndmask_b32_e64 v58, v94, v64, s[24:25]
	v_cndmask_b32_e64 v60, v95, v65, s[24:25]
	;; [unrolled: 1-line block ×4, first 2 shown]
	v_add_co_u32_e64 v66, s[26:27], v58, v54
	v_addc_co_u32_e64 v67, s[26:27], v60, v55, s[26:27]
	v_cndmask_b32_e64 v55, 0, v66, s[22:23]
	v_cndmask_b32_e64 v54, 0, v67, s[22:23]
	v_add_co_u32_e64 v68, s[22:23], v55, v56
	v_addc_co_u32_e64 v69, s[22:23], v54, v57, s[22:23]
	v_cndmask_b32_e64 v55, 0, v68, s[20:21]
	v_cndmask_b32_e64 v54, 0, v69, s[20:21]
	v_add_co_u32_e64 v70, s[20:21], v55, v50
	v_addc_co_u32_e64 v71, s[20:21], v54, v51, s[20:21]
	v_cndmask_b32_e64 v51, 0, v70, s[18:19]
	v_cndmask_b32_e64 v50, 0, v71, s[18:19]
	v_add_co_u32_e64 v76, s[18:19], v51, v52
	v_addc_co_u32_e64 v77, s[18:19], v50, v53, s[18:19]
	v_cndmask_b32_e64 v51, 0, v76, s[16:17]
	v_cndmask_b32_e64 v50, 0, v77, s[16:17]
	v_add_co_u32_e64 v78, s[16:17], v51, v46
	v_addc_co_u32_e64 v79, s[16:17], v50, v47, s[16:17]
	v_cndmask_b32_e64 v47, 0, v78, s[12:13]
	v_cndmask_b32_e64 v46, 0, v79, s[12:13]
	v_add_co_u32_e64 v80, s[12:13], v47, v48
	v_addc_co_u32_e64 v81, s[12:13], v46, v49, s[12:13]
	v_cndmask_b32_e64 v47, 0, v80, s[14:15]
	v_cndmask_b32_e64 v46, 0, v81, s[14:15]
	v_add_co_u32_e64 v82, s[12:13], v47, v42
	v_addc_co_u32_e64 v83, s[12:13], v46, v43, s[12:13]
	v_cndmask_b32_e64 v43, 0, v82, s[8:9]
	v_cndmask_b32_e64 v42, 0, v83, s[8:9]
	v_add_co_u32_e64 v84, s[8:9], v43, v44
	v_addc_co_u32_e64 v85, s[8:9], v42, v45, s[8:9]
	v_cndmask_b32_e64 v43, 0, v84, s[10:11]
	v_cndmask_b32_e64 v42, 0, v85, s[10:11]
	v_add_co_u32_e64 v86, s[8:9], v43, v38
	v_addc_co_u32_e64 v87, s[8:9], v42, v39, s[8:9]
	v_cndmask_b32_e64 v39, 0, v86, s[4:5]
	v_cndmask_b32_e64 v38, 0, v87, s[4:5]
	v_add_co_u32_e64 v88, s[4:5], v39, v40
	v_addc_co_u32_e64 v89, s[4:5], v38, v41, s[4:5]
	v_cndmask_b32_e64 v39, 0, v88, s[6:7]
	v_cndmask_b32_e64 v38, 0, v89, s[6:7]
	v_add_co_u32_e64 v90, s[4:5], v39, v34
	v_addc_co_u32_e64 v91, s[4:5], v38, v35, s[4:5]
	v_cndmask_b32_e64 v35, 0, v90, s[0:1]
	v_cndmask_b32_e64 v34, 0, v91, s[0:1]
	v_add_co_u32_e64 v92, s[0:1], v35, v36
	v_addc_co_u32_e64 v93, s[0:1], v34, v37, s[0:1]
	v_cndmask_b32_e64 v35, 0, v92, s[2:3]
	ds_read_b32 v58, v72 offset:4176
	v_cndmask_b32_e64 v34, 0, v93, s[2:3]
	v_add_co_u32_e64 v96, s[0:1], v35, v30
	v_addc_co_u32_e64 v97, s[0:1], v34, v31, s[0:1]
	ds_read_b64 v[30:31], v72 offset:4184
	v_cndmask_b32_e32 v99, 0, v97, vcc
	v_cndmask_b32_e32 v98, 0, v96, vcc
	s_waitcnt lgkmcnt(1)
	v_cmp_eq_u32_e32 vcc, 0, v58
	v_cndmask_b32_e32 v35, 0, v64, vcc
	v_cndmask_b32_e32 v34, 0, v65, vcc
	s_waitcnt lgkmcnt(0)
	v_add_co_u32_e32 v60, vcc, v35, v30
	v_addc_co_u32_e32 v61, vcc, v34, v31, vcc
	s_and_saveexec_b64 s[0:1], s[24:25]
	s_cbranch_execz .LBB1154_429
; %bb.428:
	v_mov_b32_e32 v59, 0
	v_mov_b32_e32 v30, 2
	v_pk_mov_b32 v[94:95], v[64:65], v[64:65] op_sel:[0,1]
	global_store_dword v59, v58, s[54:55] offset:1024
	global_store_dwordx2 v59, v[60:61], s[54:55] offset:1032
	s_waitcnt vmcnt(0)
	buffer_wbinvl1_vol
	global_store_byte v59, v30, s[56:57] offset:64
.LBB1154_429:
	s_or_b64 exec, exec, s[0:1]
	v_mov_b32_e32 v62, 0
.LBB1154_430:
	s_and_b64 s[0:1], s[30:31], exec
	s_cselect_b32 s1, 0, s67
	s_cselect_b32 s0, 0, s66
	s_cmp_eq_u64 s[0:1], 0
	v_pk_mov_b32 v[30:31], 0, 0
	s_barrier
	s_cbranch_scc1 .LBB1154_432
; %bb.431:
	v_mov_b32_e32 v30, 0
	global_load_dwordx2 v[30:31], v30, s[0:1]
.LBB1154_432:
	s_waitcnt vmcnt(0)
	v_lshlrev_b64 v[34:35], 3, v[30:31]
	v_mov_b32_e32 v36, s47
	v_add_co_u32_e32 v52, vcc, s46, v34
	v_mov_b32_e32 v63, 0
	v_addc_co_u32_e32 v53, vcc, v36, v35, vcc
	v_lshlrev_b64 v[36:37], 3, v[62:63]
	v_add_co_u32_e32 v52, vcc, v52, v36
	v_addc_co_u32_e32 v53, vcc, v53, v37, vcc
	v_cmp_eq_u32_e32 vcc, 0, v113
	v_cndmask_b32_e64 v54, 1, 2, vcc
	v_cmp_eq_u32_e32 vcc, 0, v112
	v_cndmask_b32_e64 v55, 1, 2, vcc
	v_cmp_eq_u32_e32 vcc, 0, v111
	v_and_b32_e32 v54, v55, v54
	v_cndmask_b32_e64 v55, 1, 2, vcc
	v_cmp_eq_u32_e32 vcc, 0, v110
	v_add_u32_e32 v51, v59, v113
	v_and_b32_e32 v54, v54, v55
	v_cndmask_b32_e64 v55, 1, 2, vcc
	v_cmp_eq_u32_e32 vcc, 0, v109
	v_add_u32_e32 v50, v51, v112
	;; [unrolled: 4-line block ×12, first 2 shown]
	v_and_b32_e32 v54, v54, v55
	v_cndmask_b32_e64 v55, 1, 2, vcc
	s_movk_i32 s30, 0x100
	v_add_u32_e32 v39, v40, v101
	v_and_b32_e32 v54, v54, v55
	v_cmp_gt_u32_e32 vcc, s30, v58
	v_add_u32_e32 v38, v39, v100
	v_cmp_ne_u32_e64 s[28:29], 0, v113
	v_cmp_ne_u32_e64 s[26:27], 0, v112
	;; [unrolled: 1-line block ×15, first 2 shown]
	s_mov_b64 s[38:39], -1
	v_cmp_gt_i16_e64 s[30:31], 2, v54
	s_cbranch_vccz .LBB1154_439
; %bb.433:
	s_and_saveexec_b64 s[38:39], s[30:31]
	s_cbranch_execz .LBB1154_438
; %bb.434:
	v_cmp_ne_u16_e32 vcc, 1, v54
	s_mov_b64 s[40:41], 0
	s_and_saveexec_b64 s[30:31], vcc
	s_xor_b64 s[30:31], exec, s[30:31]
	s_cbranch_execnz .LBB1154_471
; %bb.435:
	s_andn2_saveexec_b64 s[30:31], s[30:31]
	s_cbranch_execnz .LBB1154_487
.LBB1154_436:
	s_or_b64 exec, exec, s[30:31]
	s_and_b64 exec, exec, s[40:41]
	s_cbranch_execz .LBB1154_438
.LBB1154_437:
	v_sub_u32_e32 v56, v38, v62
	v_mov_b32_e32 v57, 0
	v_lshlrev_b64 v[56:57], 3, v[56:57]
	v_add_co_u32_e32 v56, vcc, v52, v56
	v_addc_co_u32_e32 v57, vcc, v53, v57, vcc
	global_store_dwordx2 v[56:57], v[74:75], off
.LBB1154_438:
	s_or_b64 exec, exec, s[38:39]
	s_mov_b64 s[38:39], 0
.LBB1154_439:
	s_and_b64 vcc, exec, s[38:39]
	s_cbranch_vccz .LBB1154_449
; %bb.440:
	v_cmp_gt_i16_e32 vcc, 2, v54
	s_and_saveexec_b64 s[30:31], vcc
	s_cbranch_execz .LBB1154_445
; %bb.441:
	v_cmp_ne_u16_e32 vcc, 1, v54
	s_mov_b64 s[40:41], 0
	s_and_saveexec_b64 s[38:39], vcc
	s_xor_b64 s[38:39], exec, s[38:39]
	s_cbranch_execnz .LBB1154_488
; %bb.442:
	s_andn2_saveexec_b64 s[0:1], s[38:39]
	s_cbranch_execnz .LBB1154_504
.LBB1154_443:
	s_or_b64 exec, exec, s[0:1]
	s_and_b64 exec, exec, s[40:41]
	s_cbranch_execz .LBB1154_445
.LBB1154_444:
	v_sub_u32_e32 v2, v38, v62
	v_lshlrev_b32_e32 v2, 3, v2
	ds_write_b64 v2, v[74:75]
.LBB1154_445:
	s_or_b64 exec, exec, s[30:31]
	v_cmp_lt_u32_e32 vcc, v0, v58
	s_waitcnt lgkmcnt(0)
	s_barrier
	s_and_saveexec_b64 s[0:1], vcc
	s_cbranch_execz .LBB1154_448
; %bb.446:
	v_lshlrev_b32_e32 v4, 3, v0
	s_mov_b64 s[2:3], 0
	v_mov_b32_e32 v3, 0
	v_mov_b32_e32 v2, v0
.LBB1154_447:                           ; =>This Inner Loop Header: Depth=1
	v_lshlrev_b64 v[6:7], 3, v[2:3]
	ds_read_b64 v[8:9], v4
	v_add_co_u32_e32 v6, vcc, v52, v6
	v_add_u32_e32 v2, 0x100, v2
	v_addc_co_u32_e32 v7, vcc, v53, v7, vcc
	v_cmp_ge_u32_e32 vcc, v2, v58
	v_add_u32_e32 v4, 0x800, v4
	s_or_b64 s[2:3], vcc, s[2:3]
	s_waitcnt lgkmcnt(0)
	global_store_dwordx2 v[6:7], v[8:9], off
	s_andn2_b64 exec, exec, s[2:3]
	s_cbranch_execnz .LBB1154_447
.LBB1154_448:
	s_or_b64 exec, exec, s[0:1]
.LBB1154_449:
	v_add_co_u32_e32 v2, vcc, v98, v32
	s_cmpk_lg_i32 s76, 0xf00
	v_addc_co_u32_e32 v3, vcc, v99, v33, vcc
	s_cselect_b64 s[0:1], -1, 0
	v_cndmask_b32_e64 v8, 0, 1, s[34:35]
	s_and_b64 s[0:1], s[36:37], s[0:1]
	v_cmp_eq_u32_e32 vcc, 0, v0
	v_sub_u32_e32 v4, v58, v8
	v_cndmask_b32_e64 v5, 0, 1, s[0:1]
	s_and_b64 s[0:1], vcc, s[34:35]
	v_add_u32_e32 v4, v4, v5
	v_cndmask_b32_e64 v5, v113, 0, s[0:1]
	s_mul_hi_u32 s0, s76, 0x88888889
	s_lshr_b32 s0, s0, 3
	v_mad_i32_i24 v6, v0, -15, s76
	v_cmp_eq_u32_e32 vcc, s0, v0
	v_cmp_ne_u32_e64 s[0:1], 0, v6
	v_cndmask_b32_e64 v7, 1, v5, s[0:1]
	v_cmp_ne_u32_e64 s[0:1], 1, v6
	v_cndmask_b32_e64 v9, 1, v112, s[0:1]
	;; [unrolled: 2-line block ×15, first 2 shown]
	s_and_b64 vcc, s[36:37], vcc
	v_cndmask_b32_e32 v22, v1, v6, vcc
	v_cndmask_b32_e32 v21, v100, v21, vcc
	;; [unrolled: 1-line block ×15, first 2 shown]
	v_mov_b32_e32 v1, s49
	v_add_co_u32_e32 v5, vcc, s48, v34
	v_addc_co_u32_e32 v6, vcc, v1, v35, vcc
	v_add_co_u32_e32 v1, vcc, v5, v36
	v_addc_co_u32_e32 v5, vcc, v6, v37, vcc
	v_lshlrev_b32_e32 v6, 3, v8
	v_add_co_u32_e32 v6, vcc, v6, v1
	v_addc_co_u32_e32 v7, vcc, 0, v5, vcc
	v_add_co_u32_e32 v6, vcc, -8, v6
	v_addc_co_u32_e32 v7, vcc, -1, v7, vcc
	v_cmp_eq_u32_e32 vcc, 0, v23
	v_cmp_ne_u32_e64 s[28:29], 0, v23
	v_cndmask_b32_e64 v23, 1, 2, vcc
	v_cmp_eq_u32_e32 vcc, 0, v9
	v_cmp_ne_u32_e64 s[26:27], 0, v9
	v_cndmask_b32_e64 v9, 1, 2, vcc
	v_cmp_eq_u32_e32 vcc, 0, v10
	v_and_b32_e32 v9, v9, v23
	v_cmp_ne_u32_e64 s[24:25], 0, v10
	v_cndmask_b32_e64 v10, 1, 2, vcc
	v_cmp_eq_u32_e32 vcc, 0, v11
	v_and_b32_e32 v9, v9, v10
	v_cndmask_b32_e64 v10, 1, 2, vcc
	v_cmp_eq_u32_e32 vcc, 0, v12
	v_and_b32_e32 v9, v9, v10
	;; [unrolled: 3-line block ×12, first 2 shown]
	v_cndmask_b32_e64 v10, 1, 2, vcc
	s_movk_i32 s30, 0x100
	v_and_b32_e32 v9, v9, v10
	v_cmp_gt_u32_e32 vcc, s30, v4
	v_add_u32_e32 v8, v62, v8
	v_cmp_ne_u32_e64 s[22:23], 0, v11
	v_cmp_ne_u32_e64 s[20:21], 0, v12
	;; [unrolled: 1-line block ×12, first 2 shown]
	s_mov_b64 s[34:35], -1
	v_cmp_gt_i16_e64 s[30:31], 2, v9
	s_barrier
	s_cbranch_vccz .LBB1154_456
; %bb.450:
	s_and_saveexec_b64 s[34:35], s[30:31]
	s_cbranch_execz .LBB1154_455
; %bb.451:
	v_cmp_ne_u16_e32 vcc, 1, v9
	s_mov_b64 s[38:39], 0
	s_and_saveexec_b64 s[30:31], vcc
	s_xor_b64 s[30:31], exec, s[30:31]
	s_cbranch_execnz .LBB1154_505
; %bb.452:
	s_andn2_saveexec_b64 s[30:31], s[30:31]
	s_cbranch_execnz .LBB1154_521
.LBB1154_453:
	s_or_b64 exec, exec, s[30:31]
	s_and_b64 exec, exec, s[38:39]
	s_cbranch_execz .LBB1154_455
.LBB1154_454:
	v_sub_u32_e32 v10, v38, v8
	v_mov_b32_e32 v11, 0
	v_lshlrev_b64 v[10:11], 3, v[10:11]
	v_add_co_u32_e32 v10, vcc, v6, v10
	v_addc_co_u32_e32 v11, vcc, v7, v11, vcc
	global_store_dwordx2 v[10:11], v[2:3], off
.LBB1154_455:
	s_or_b64 exec, exec, s[34:35]
	s_mov_b64 s[34:35], 0
.LBB1154_456:
	s_and_b64 vcc, exec, s[34:35]
	s_cbranch_vccz .LBB1154_466
; %bb.457:
	v_cmp_gt_i16_e32 vcc, 2, v9
	s_and_saveexec_b64 s[30:31], vcc
	s_cbranch_execz .LBB1154_462
; %bb.458:
	v_cmp_ne_u16_e32 vcc, 1, v9
	s_mov_b64 s[38:39], 0
	s_and_saveexec_b64 s[34:35], vcc
	s_xor_b64 s[34:35], exec, s[34:35]
	s_cbranch_execnz .LBB1154_522
; %bb.459:
	s_andn2_saveexec_b64 s[0:1], s[34:35]
	s_cbranch_execnz .LBB1154_538
.LBB1154_460:
	s_or_b64 exec, exec, s[0:1]
	s_and_b64 exec, exec, s[38:39]
	s_cbranch_execz .LBB1154_462
.LBB1154_461:
	v_sub_u32_e32 v8, v38, v8
	v_lshlrev_b32_e32 v8, 3, v8
	ds_write_b64 v8, v[2:3]
.LBB1154_462:
	s_or_b64 exec, exec, s[30:31]
	v_cmp_lt_u32_e32 vcc, v0, v4
	s_waitcnt lgkmcnt(0)
	s_barrier
	s_and_saveexec_b64 s[0:1], vcc
	s_cbranch_execz .LBB1154_465
; %bb.463:
	v_lshlrev_b32_e32 v8, 3, v0
	s_mov_b64 s[2:3], 0
	v_mov_b32_e32 v3, 0
	v_mov_b32_e32 v2, v0
.LBB1154_464:                           ; =>This Inner Loop Header: Depth=1
	v_lshlrev_b64 v[10:11], 3, v[2:3]
	ds_read_b64 v[12:13], v8
	v_add_co_u32_e32 v10, vcc, v6, v10
	v_add_u32_e32 v2, 0x100, v2
	v_addc_co_u32_e32 v11, vcc, v7, v11, vcc
	v_cmp_ge_u32_e32 vcc, v2, v4
	v_add_u32_e32 v8, 0x800, v8
	s_or_b64 s[2:3], vcc, s[2:3]
	s_waitcnt lgkmcnt(0)
	global_store_dwordx2 v[10:11], v[12:13], off
	s_andn2_b64 exec, exec, s[2:3]
	s_cbranch_execnz .LBB1154_464
.LBB1154_465:
	s_or_b64 exec, exec, s[0:1]
.LBB1154_466:
	s_movk_i32 s0, 0xff
	v_cmp_eq_u32_e32 vcc, s0, v0
	s_and_b64 s[0:1], vcc, s[36:37]
	s_and_saveexec_b64 s[2:3], s[0:1]
	s_cbranch_execz .LBB1154_469
; %bb.467:
	v_add_co_u32_e32 v0, vcc, v58, v62
	v_addc_co_u32_e64 v3, s[0:1], 0, 0, vcc
	v_add_co_u32_e32 v2, vcc, v0, v30
	v_mov_b32_e32 v59, 0
	v_addc_co_u32_e32 v3, vcc, v3, v31, vcc
	s_cmpk_lg_i32 s76, 0xf00
	global_store_dwordx2 v59, v[2:3], s[50:51]
	s_cbranch_scc1 .LBB1154_469
; %bb.468:
	v_lshlrev_b64 v[2:3], 3, v[58:59]
	v_add_co_u32_e32 v0, vcc, v1, v2
	v_addc_co_u32_e32 v1, vcc, v5, v3, vcc
	global_store_dwordx2 v[0:1], v[60:61], off offset:-8
.LBB1154_469:
	s_endpgm
.LBB1154_470:
	s_or_b64 exec, exec, s[8:9]
	v_mov_b32_e32 v113, s10
	s_and_saveexec_b64 s[4:5], s[2:3]
	s_cbranch_execnz .LBB1154_330
	s_branch .LBB1154_331
.LBB1154_471:
	s_and_saveexec_b64 s[40:41], s[28:29]
	s_cbranch_execnz .LBB1154_541
; %bb.472:
	s_or_b64 exec, exec, s[40:41]
	s_and_saveexec_b64 s[40:41], s[26:27]
	s_cbranch_execnz .LBB1154_542
.LBB1154_473:
	s_or_b64 exec, exec, s[40:41]
	s_and_saveexec_b64 s[40:41], s[24:25]
	s_cbranch_execnz .LBB1154_543
.LBB1154_474:
	s_or_b64 exec, exec, s[40:41]
	s_and_saveexec_b64 s[40:41], s[22:23]
	s_cbranch_execnz .LBB1154_544
.LBB1154_475:
	s_or_b64 exec, exec, s[40:41]
	s_and_saveexec_b64 s[40:41], s[20:21]
	s_cbranch_execnz .LBB1154_545
.LBB1154_476:
	s_or_b64 exec, exec, s[40:41]
	s_and_saveexec_b64 s[40:41], s[18:19]
	s_cbranch_execnz .LBB1154_546
.LBB1154_477:
	s_or_b64 exec, exec, s[40:41]
	s_and_saveexec_b64 s[40:41], s[16:17]
	s_cbranch_execnz .LBB1154_547
.LBB1154_478:
	s_or_b64 exec, exec, s[40:41]
	s_and_saveexec_b64 s[40:41], s[14:15]
	s_cbranch_execnz .LBB1154_548
.LBB1154_479:
	s_or_b64 exec, exec, s[40:41]
	s_and_saveexec_b64 s[40:41], s[12:13]
	s_cbranch_execnz .LBB1154_549
.LBB1154_480:
	s_or_b64 exec, exec, s[40:41]
	s_and_saveexec_b64 s[40:41], s[10:11]
	s_cbranch_execnz .LBB1154_550
.LBB1154_481:
	s_or_b64 exec, exec, s[40:41]
	s_and_saveexec_b64 s[40:41], s[8:9]
	s_cbranch_execnz .LBB1154_551
.LBB1154_482:
	s_or_b64 exec, exec, s[40:41]
	s_and_saveexec_b64 s[40:41], s[6:7]
	s_cbranch_execnz .LBB1154_552
.LBB1154_483:
	s_or_b64 exec, exec, s[40:41]
	s_and_saveexec_b64 s[40:41], s[4:5]
	s_cbranch_execnz .LBB1154_553
.LBB1154_484:
	s_or_b64 exec, exec, s[40:41]
	s_and_saveexec_b64 s[40:41], s[2:3]
	s_cbranch_execz .LBB1154_486
.LBB1154_485:
	v_sub_u32_e32 v56, v39, v62
	v_mov_b32_e32 v57, 0
	v_lshlrev_b64 v[56:57], 3, v[56:57]
	v_add_co_u32_e32 v56, vcc, v52, v56
	v_addc_co_u32_e32 v57, vcc, v53, v57, vcc
	global_store_dwordx2 v[56:57], v[4:5], off
.LBB1154_486:
	s_or_b64 exec, exec, s[40:41]
	s_and_b64 s[40:41], s[0:1], exec
	s_andn2_saveexec_b64 s[30:31], s[30:31]
	s_cbranch_execz .LBB1154_436
.LBB1154_487:
	v_sub_u32_e32 v56, v59, v62
	v_mov_b32_e32 v57, 0
	v_lshlrev_b64 v[64:65], 3, v[56:57]
	v_add_co_u32_e32 v64, vcc, v52, v64
	v_addc_co_u32_e32 v65, vcc, v53, v65, vcc
	v_sub_u32_e32 v56, v51, v62
	global_store_dwordx2 v[64:65], v[26:27], off
	v_lshlrev_b64 v[64:65], 3, v[56:57]
	v_add_co_u32_e32 v64, vcc, v52, v64
	v_addc_co_u32_e32 v65, vcc, v53, v65, vcc
	v_sub_u32_e32 v56, v50, v62
	global_store_dwordx2 v[64:65], v[28:29], off
	;; [unrolled: 5-line block ×12, first 2 shown]
	v_lshlrev_b64 v[64:65], 3, v[56:57]
	v_add_co_u32_e32 v64, vcc, v52, v64
	v_sub_u32_e32 v56, v39, v62
	v_addc_co_u32_e32 v65, vcc, v53, v65, vcc
	v_lshlrev_b64 v[56:57], 3, v[56:57]
	v_add_co_u32_e32 v56, vcc, v52, v56
	v_addc_co_u32_e32 v57, vcc, v53, v57, vcc
	s_or_b64 s[40:41], s[40:41], exec
	global_store_dwordx2 v[64:65], v[2:3], off
	global_store_dwordx2 v[56:57], v[4:5], off
	s_or_b64 exec, exec, s[30:31]
	s_and_b64 exec, exec, s[40:41]
	s_cbranch_execnz .LBB1154_437
	s_branch .LBB1154_438
.LBB1154_488:
	s_and_saveexec_b64 s[40:41], s[28:29]
	s_cbranch_execnz .LBB1154_554
; %bb.489:
	s_or_b64 exec, exec, s[40:41]
	s_and_saveexec_b64 s[28:29], s[26:27]
	s_cbranch_execnz .LBB1154_555
.LBB1154_490:
	s_or_b64 exec, exec, s[28:29]
	s_and_saveexec_b64 s[26:27], s[24:25]
	s_cbranch_execnz .LBB1154_556
.LBB1154_491:
	s_or_b64 exec, exec, s[26:27]
	s_and_saveexec_b64 s[24:25], s[22:23]
	s_cbranch_execnz .LBB1154_557
.LBB1154_492:
	s_or_b64 exec, exec, s[24:25]
	s_and_saveexec_b64 s[22:23], s[20:21]
	s_cbranch_execnz .LBB1154_558
.LBB1154_493:
	s_or_b64 exec, exec, s[22:23]
	s_and_saveexec_b64 s[20:21], s[18:19]
	s_cbranch_execnz .LBB1154_559
.LBB1154_494:
	s_or_b64 exec, exec, s[20:21]
	s_and_saveexec_b64 s[18:19], s[16:17]
	s_cbranch_execnz .LBB1154_560
.LBB1154_495:
	s_or_b64 exec, exec, s[18:19]
	s_and_saveexec_b64 s[16:17], s[14:15]
	s_cbranch_execnz .LBB1154_561
.LBB1154_496:
	s_or_b64 exec, exec, s[16:17]
	s_and_saveexec_b64 s[14:15], s[12:13]
	s_cbranch_execnz .LBB1154_562
.LBB1154_497:
	s_or_b64 exec, exec, s[14:15]
	s_and_saveexec_b64 s[12:13], s[10:11]
	s_cbranch_execnz .LBB1154_563
.LBB1154_498:
	s_or_b64 exec, exec, s[12:13]
	s_and_saveexec_b64 s[10:11], s[8:9]
	s_cbranch_execnz .LBB1154_564
.LBB1154_499:
	s_or_b64 exec, exec, s[10:11]
	s_and_saveexec_b64 s[8:9], s[6:7]
	s_cbranch_execnz .LBB1154_565
.LBB1154_500:
	s_or_b64 exec, exec, s[8:9]
	s_and_saveexec_b64 s[6:7], s[4:5]
	s_cbranch_execnz .LBB1154_566
.LBB1154_501:
	s_or_b64 exec, exec, s[6:7]
	s_and_saveexec_b64 s[4:5], s[2:3]
	s_cbranch_execz .LBB1154_503
.LBB1154_502:
	v_sub_u32_e32 v2, v39, v62
	v_lshlrev_b32_e32 v2, 3, v2
	ds_write_b64 v2, v[4:5]
.LBB1154_503:
	s_or_b64 exec, exec, s[4:5]
	s_and_b64 s[40:41], s[0:1], exec
                                        ; implicit-def: $vgpr2_vgpr3
                                        ; implicit-def: $vgpr6_vgpr7
                                        ; implicit-def: $vgpr10_vgpr11
                                        ; implicit-def: $vgpr14_vgpr15
                                        ; implicit-def: $vgpr18_vgpr19
                                        ; implicit-def: $vgpr22_vgpr23
                                        ; implicit-def: $vgpr26_vgpr27
	s_andn2_saveexec_b64 s[0:1], s[38:39]
	s_cbranch_execz .LBB1154_443
.LBB1154_504:
	v_sub_u32_e32 v54, v59, v62
	v_lshlrev_b32_e32 v54, 3, v54
	ds_write_b64 v54, v[26:27]
	v_sub_u32_e32 v26, v51, v62
	v_lshlrev_b32_e32 v26, 3, v26
	ds_write_b64 v26, v[28:29]
	;; [unrolled: 3-line block ×13, first 2 shown]
	v_sub_u32_e32 v2, v39, v62
	v_lshlrev_b32_e32 v2, 3, v2
	s_or_b64 s[40:41], s[40:41], exec
	ds_write_b64 v2, v[4:5]
	s_or_b64 exec, exec, s[0:1]
	s_and_b64 exec, exec, s[40:41]
	s_cbranch_execnz .LBB1154_444
	s_branch .LBB1154_445
.LBB1154_505:
	s_and_saveexec_b64 s[38:39], s[28:29]
	s_cbranch_execnz .LBB1154_567
; %bb.506:
	s_or_b64 exec, exec, s[38:39]
	s_and_saveexec_b64 s[38:39], s[26:27]
	s_cbranch_execnz .LBB1154_568
.LBB1154_507:
	s_or_b64 exec, exec, s[38:39]
	s_and_saveexec_b64 s[38:39], s[24:25]
	s_cbranch_execnz .LBB1154_569
.LBB1154_508:
	s_or_b64 exec, exec, s[38:39]
	s_and_saveexec_b64 s[38:39], s[22:23]
	s_cbranch_execnz .LBB1154_570
.LBB1154_509:
	s_or_b64 exec, exec, s[38:39]
	s_and_saveexec_b64 s[38:39], s[20:21]
	s_cbranch_execnz .LBB1154_571
.LBB1154_510:
	s_or_b64 exec, exec, s[38:39]
	s_and_saveexec_b64 s[38:39], s[18:19]
	s_cbranch_execnz .LBB1154_572
.LBB1154_511:
	s_or_b64 exec, exec, s[38:39]
	s_and_saveexec_b64 s[38:39], s[16:17]
	s_cbranch_execnz .LBB1154_573
.LBB1154_512:
	s_or_b64 exec, exec, s[38:39]
	s_and_saveexec_b64 s[38:39], s[14:15]
	s_cbranch_execnz .LBB1154_574
.LBB1154_513:
	s_or_b64 exec, exec, s[38:39]
	s_and_saveexec_b64 s[38:39], s[12:13]
	s_cbranch_execnz .LBB1154_575
.LBB1154_514:
	s_or_b64 exec, exec, s[38:39]
	s_and_saveexec_b64 s[38:39], s[10:11]
	s_cbranch_execnz .LBB1154_576
.LBB1154_515:
	s_or_b64 exec, exec, s[38:39]
	s_and_saveexec_b64 s[38:39], s[8:9]
	s_cbranch_execnz .LBB1154_577
.LBB1154_516:
	s_or_b64 exec, exec, s[38:39]
	s_and_saveexec_b64 s[38:39], s[6:7]
	s_cbranch_execnz .LBB1154_578
.LBB1154_517:
	s_or_b64 exec, exec, s[38:39]
	s_and_saveexec_b64 s[38:39], s[4:5]
	s_cbranch_execnz .LBB1154_579
.LBB1154_518:
	s_or_b64 exec, exec, s[38:39]
	s_and_saveexec_b64 s[38:39], s[2:3]
	s_cbranch_execz .LBB1154_520
.LBB1154_519:
	v_sub_u32_e32 v10, v39, v8
	v_mov_b32_e32 v11, 0
	v_lshlrev_b64 v[10:11], 3, v[10:11]
	v_add_co_u32_e32 v10, vcc, v6, v10
	v_addc_co_u32_e32 v11, vcc, v7, v11, vcc
	global_store_dwordx2 v[10:11], v[96:97], off
.LBB1154_520:
	s_or_b64 exec, exec, s[38:39]
	s_and_b64 s[38:39], s[0:1], exec
	s_andn2_saveexec_b64 s[30:31], s[30:31]
	s_cbranch_execz .LBB1154_453
.LBB1154_521:
	v_sub_u32_e32 v10, v59, v8
	v_mov_b32_e32 v11, 0
	v_lshlrev_b64 v[12:13], 3, v[10:11]
	v_add_co_u32_e32 v12, vcc, v6, v12
	v_addc_co_u32_e32 v13, vcc, v7, v13, vcc
	v_sub_u32_e32 v10, v51, v8
	global_store_dwordx2 v[12:13], v[94:95], off
	v_lshlrev_b64 v[12:13], 3, v[10:11]
	v_add_co_u32_e32 v12, vcc, v6, v12
	v_addc_co_u32_e32 v13, vcc, v7, v13, vcc
	v_sub_u32_e32 v10, v50, v8
	global_store_dwordx2 v[12:13], v[66:67], off
	;; [unrolled: 5-line block ×12, first 2 shown]
	v_lshlrev_b64 v[12:13], 3, v[10:11]
	v_add_co_u32_e32 v12, vcc, v6, v12
	v_sub_u32_e32 v10, v39, v8
	v_addc_co_u32_e32 v13, vcc, v7, v13, vcc
	v_lshlrev_b64 v[10:11], 3, v[10:11]
	v_add_co_u32_e32 v10, vcc, v6, v10
	v_addc_co_u32_e32 v11, vcc, v7, v11, vcc
	s_or_b64 s[38:39], s[38:39], exec
	global_store_dwordx2 v[12:13], v[92:93], off
	global_store_dwordx2 v[10:11], v[96:97], off
	s_or_b64 exec, exec, s[30:31]
	s_and_b64 exec, exec, s[38:39]
	s_cbranch_execnz .LBB1154_454
	s_branch .LBB1154_455
.LBB1154_522:
	s_and_saveexec_b64 s[38:39], s[28:29]
	s_cbranch_execnz .LBB1154_580
; %bb.523:
	s_or_b64 exec, exec, s[38:39]
	s_and_saveexec_b64 s[28:29], s[26:27]
	s_cbranch_execnz .LBB1154_581
.LBB1154_524:
	s_or_b64 exec, exec, s[28:29]
	s_and_saveexec_b64 s[26:27], s[24:25]
	s_cbranch_execnz .LBB1154_582
.LBB1154_525:
	s_or_b64 exec, exec, s[26:27]
	s_and_saveexec_b64 s[24:25], s[22:23]
	s_cbranch_execnz .LBB1154_583
.LBB1154_526:
	s_or_b64 exec, exec, s[24:25]
	s_and_saveexec_b64 s[22:23], s[20:21]
	s_cbranch_execnz .LBB1154_584
.LBB1154_527:
	s_or_b64 exec, exec, s[22:23]
	s_and_saveexec_b64 s[20:21], s[18:19]
	s_cbranch_execnz .LBB1154_585
.LBB1154_528:
	s_or_b64 exec, exec, s[20:21]
	s_and_saveexec_b64 s[18:19], s[16:17]
	s_cbranch_execnz .LBB1154_586
.LBB1154_529:
	s_or_b64 exec, exec, s[18:19]
	s_and_saveexec_b64 s[16:17], s[14:15]
	s_cbranch_execnz .LBB1154_587
.LBB1154_530:
	s_or_b64 exec, exec, s[16:17]
	s_and_saveexec_b64 s[14:15], s[12:13]
	s_cbranch_execnz .LBB1154_588
.LBB1154_531:
	s_or_b64 exec, exec, s[14:15]
	s_and_saveexec_b64 s[12:13], s[10:11]
	s_cbranch_execnz .LBB1154_589
.LBB1154_532:
	s_or_b64 exec, exec, s[12:13]
	s_and_saveexec_b64 s[10:11], s[8:9]
	s_cbranch_execnz .LBB1154_590
.LBB1154_533:
	s_or_b64 exec, exec, s[10:11]
	s_and_saveexec_b64 s[8:9], s[6:7]
	s_cbranch_execnz .LBB1154_591
.LBB1154_534:
	s_or_b64 exec, exec, s[8:9]
	s_and_saveexec_b64 s[6:7], s[4:5]
	s_cbranch_execnz .LBB1154_592
.LBB1154_535:
	s_or_b64 exec, exec, s[6:7]
	s_and_saveexec_b64 s[4:5], s[2:3]
	s_cbranch_execz .LBB1154_537
.LBB1154_536:
	v_sub_u32_e32 v9, v39, v8
	v_lshlrev_b32_e32 v9, 3, v9
	ds_write_b64 v9, v[96:97]
.LBB1154_537:
	s_or_b64 exec, exec, s[4:5]
	s_and_b64 s[38:39], s[0:1], exec
                                        ; implicit-def: $vgpr94_vgpr95
                                        ; implicit-def: $vgpr66_vgpr67
                                        ; implicit-def: $vgpr68_vgpr69
                                        ; implicit-def: $vgpr70_vgpr71
                                        ; implicit-def: $vgpr76_vgpr77
                                        ; implicit-def: $vgpr78_vgpr79
                                        ; implicit-def: $vgpr80_vgpr81
                                        ; implicit-def: $vgpr82_vgpr83
                                        ; implicit-def: $vgpr84_vgpr85
                                        ; implicit-def: $vgpr86_vgpr87
                                        ; implicit-def: $vgpr88_vgpr89
                                        ; implicit-def: $vgpr90_vgpr91
                                        ; implicit-def: $vgpr92_vgpr93
                                        ; implicit-def: $vgpr96_vgpr97
                                        ; implicit-def: $vgpr59
                                        ; implicit-def: $vgpr51
                                        ; implicit-def: $vgpr50
                                        ; implicit-def: $vgpr49
                                        ; implicit-def: $vgpr48
                                        ; implicit-def: $vgpr47
                                        ; implicit-def: $vgpr46
                                        ; implicit-def: $vgpr45
                                        ; implicit-def: $vgpr44
                                        ; implicit-def: $vgpr43
                                        ; implicit-def: $vgpr42
                                        ; implicit-def: $vgpr41
                                        ; implicit-def: $vgpr40
                                        ; implicit-def: $vgpr39
	s_andn2_saveexec_b64 s[0:1], s[34:35]
	s_cbranch_execz .LBB1154_460
.LBB1154_538:
	v_sub_u32_e32 v9, v59, v8
	v_lshlrev_b32_e32 v9, 3, v9
	ds_write_b64 v9, v[94:95]
	v_sub_u32_e32 v9, v51, v8
	v_lshlrev_b32_e32 v9, 3, v9
	ds_write_b64 v9, v[66:67]
	;; [unrolled: 3-line block ×13, first 2 shown]
	v_sub_u32_e32 v9, v39, v8
	v_lshlrev_b32_e32 v9, 3, v9
	s_or_b64 s[38:39], s[38:39], exec
	ds_write_b64 v9, v[96:97]
	s_or_b64 exec, exec, s[0:1]
	s_and_b64 exec, exec, s[38:39]
	s_cbranch_execnz .LBB1154_461
	s_branch .LBB1154_462
.LBB1154_539:
                                        ; implicit-def: $vgpr76_vgpr77
	s_andn2_b64 vcc, exec, s[4:5]
	s_cbranch_vccz .LBB1154_308
	s_branch .LBB1154_309
.LBB1154_540:
                                        ; implicit-def: $vgpr58_vgpr59
	s_andn2_b64 vcc, exec, s[8:9]
	s_cbranch_vccz .LBB1154_321
	s_branch .LBB1154_322
.LBB1154_541:
	v_sub_u32_e32 v56, v59, v62
	v_mov_b32_e32 v57, 0
	v_lshlrev_b64 v[56:57], 3, v[56:57]
	v_add_co_u32_e32 v56, vcc, v52, v56
	v_addc_co_u32_e32 v57, vcc, v53, v57, vcc
	global_store_dwordx2 v[56:57], v[26:27], off
	s_or_b64 exec, exec, s[40:41]
	s_and_saveexec_b64 s[40:41], s[26:27]
	s_cbranch_execz .LBB1154_473
.LBB1154_542:
	v_sub_u32_e32 v56, v51, v62
	v_mov_b32_e32 v57, 0
	v_lshlrev_b64 v[56:57], 3, v[56:57]
	v_add_co_u32_e32 v56, vcc, v52, v56
	v_addc_co_u32_e32 v57, vcc, v53, v57, vcc
	global_store_dwordx2 v[56:57], v[28:29], off
	s_or_b64 exec, exec, s[40:41]
	s_and_saveexec_b64 s[40:41], s[24:25]
	s_cbranch_execz .LBB1154_474
.LBB1154_543:
	v_sub_u32_e32 v56, v50, v62
	v_mov_b32_e32 v57, 0
	v_lshlrev_b64 v[56:57], 3, v[56:57]
	v_add_co_u32_e32 v56, vcc, v52, v56
	v_addc_co_u32_e32 v57, vcc, v53, v57, vcc
	global_store_dwordx2 v[56:57], v[22:23], off
	s_or_b64 exec, exec, s[40:41]
	s_and_saveexec_b64 s[40:41], s[22:23]
	s_cbranch_execz .LBB1154_475
.LBB1154_544:
	v_sub_u32_e32 v56, v49, v62
	v_mov_b32_e32 v57, 0
	v_lshlrev_b64 v[56:57], 3, v[56:57]
	v_add_co_u32_e32 v56, vcc, v52, v56
	v_addc_co_u32_e32 v57, vcc, v53, v57, vcc
	global_store_dwordx2 v[56:57], v[24:25], off
	s_or_b64 exec, exec, s[40:41]
	s_and_saveexec_b64 s[40:41], s[20:21]
	s_cbranch_execz .LBB1154_476
.LBB1154_545:
	v_sub_u32_e32 v56, v48, v62
	v_mov_b32_e32 v57, 0
	v_lshlrev_b64 v[56:57], 3, v[56:57]
	v_add_co_u32_e32 v56, vcc, v52, v56
	v_addc_co_u32_e32 v57, vcc, v53, v57, vcc
	global_store_dwordx2 v[56:57], v[18:19], off
	s_or_b64 exec, exec, s[40:41]
	s_and_saveexec_b64 s[40:41], s[18:19]
	s_cbranch_execz .LBB1154_477
.LBB1154_546:
	v_sub_u32_e32 v56, v47, v62
	v_mov_b32_e32 v57, 0
	v_lshlrev_b64 v[56:57], 3, v[56:57]
	v_add_co_u32_e32 v56, vcc, v52, v56
	v_addc_co_u32_e32 v57, vcc, v53, v57, vcc
	global_store_dwordx2 v[56:57], v[20:21], off
	s_or_b64 exec, exec, s[40:41]
	s_and_saveexec_b64 s[40:41], s[16:17]
	s_cbranch_execz .LBB1154_478
.LBB1154_547:
	v_sub_u32_e32 v56, v46, v62
	v_mov_b32_e32 v57, 0
	v_lshlrev_b64 v[56:57], 3, v[56:57]
	v_add_co_u32_e32 v56, vcc, v52, v56
	v_addc_co_u32_e32 v57, vcc, v53, v57, vcc
	global_store_dwordx2 v[56:57], v[14:15], off
	s_or_b64 exec, exec, s[40:41]
	s_and_saveexec_b64 s[40:41], s[14:15]
	s_cbranch_execz .LBB1154_479
.LBB1154_548:
	v_sub_u32_e32 v56, v45, v62
	v_mov_b32_e32 v57, 0
	v_lshlrev_b64 v[56:57], 3, v[56:57]
	v_add_co_u32_e32 v56, vcc, v52, v56
	v_addc_co_u32_e32 v57, vcc, v53, v57, vcc
	global_store_dwordx2 v[56:57], v[16:17], off
	s_or_b64 exec, exec, s[40:41]
	s_and_saveexec_b64 s[40:41], s[12:13]
	s_cbranch_execz .LBB1154_480
.LBB1154_549:
	v_sub_u32_e32 v56, v44, v62
	v_mov_b32_e32 v57, 0
	v_lshlrev_b64 v[56:57], 3, v[56:57]
	v_add_co_u32_e32 v56, vcc, v52, v56
	v_addc_co_u32_e32 v57, vcc, v53, v57, vcc
	global_store_dwordx2 v[56:57], v[10:11], off
	s_or_b64 exec, exec, s[40:41]
	s_and_saveexec_b64 s[40:41], s[10:11]
	s_cbranch_execz .LBB1154_481
.LBB1154_550:
	v_sub_u32_e32 v56, v43, v62
	v_mov_b32_e32 v57, 0
	v_lshlrev_b64 v[56:57], 3, v[56:57]
	v_add_co_u32_e32 v56, vcc, v52, v56
	v_addc_co_u32_e32 v57, vcc, v53, v57, vcc
	global_store_dwordx2 v[56:57], v[12:13], off
	s_or_b64 exec, exec, s[40:41]
	s_and_saveexec_b64 s[40:41], s[8:9]
	s_cbranch_execz .LBB1154_482
.LBB1154_551:
	v_sub_u32_e32 v56, v42, v62
	v_mov_b32_e32 v57, 0
	v_lshlrev_b64 v[56:57], 3, v[56:57]
	v_add_co_u32_e32 v56, vcc, v52, v56
	v_addc_co_u32_e32 v57, vcc, v53, v57, vcc
	global_store_dwordx2 v[56:57], v[6:7], off
	s_or_b64 exec, exec, s[40:41]
	s_and_saveexec_b64 s[40:41], s[6:7]
	s_cbranch_execz .LBB1154_483
.LBB1154_552:
	v_sub_u32_e32 v56, v41, v62
	v_mov_b32_e32 v57, 0
	v_lshlrev_b64 v[56:57], 3, v[56:57]
	v_add_co_u32_e32 v56, vcc, v52, v56
	v_addc_co_u32_e32 v57, vcc, v53, v57, vcc
	global_store_dwordx2 v[56:57], v[8:9], off
	s_or_b64 exec, exec, s[40:41]
	s_and_saveexec_b64 s[40:41], s[4:5]
	s_cbranch_execz .LBB1154_484
.LBB1154_553:
	v_sub_u32_e32 v56, v40, v62
	v_mov_b32_e32 v57, 0
	v_lshlrev_b64 v[56:57], 3, v[56:57]
	v_add_co_u32_e32 v56, vcc, v52, v56
	v_addc_co_u32_e32 v57, vcc, v53, v57, vcc
	global_store_dwordx2 v[56:57], v[2:3], off
	s_or_b64 exec, exec, s[40:41]
	s_and_saveexec_b64 s[40:41], s[2:3]
	s_cbranch_execnz .LBB1154_485
	s_branch .LBB1154_486
.LBB1154_554:
	v_sub_u32_e32 v54, v59, v62
	v_lshlrev_b32_e32 v54, 3, v54
	ds_write_b64 v54, v[26:27]
	s_or_b64 exec, exec, s[40:41]
	s_and_saveexec_b64 s[28:29], s[26:27]
	s_cbranch_execz .LBB1154_490
.LBB1154_555:
	v_sub_u32_e32 v26, v51, v62
	v_lshlrev_b32_e32 v26, 3, v26
	ds_write_b64 v26, v[28:29]
	s_or_b64 exec, exec, s[28:29]
	s_and_saveexec_b64 s[26:27], s[24:25]
	s_cbranch_execz .LBB1154_491
.LBB1154_556:
	v_sub_u32_e32 v26, v50, v62
	v_lshlrev_b32_e32 v26, 3, v26
	ds_write_b64 v26, v[22:23]
	s_or_b64 exec, exec, s[26:27]
	s_and_saveexec_b64 s[24:25], s[22:23]
	s_cbranch_execz .LBB1154_492
.LBB1154_557:
	v_sub_u32_e32 v22, v49, v62
	v_lshlrev_b32_e32 v22, 3, v22
	ds_write_b64 v22, v[24:25]
	s_or_b64 exec, exec, s[24:25]
	s_and_saveexec_b64 s[22:23], s[20:21]
	s_cbranch_execz .LBB1154_493
.LBB1154_558:
	v_sub_u32_e32 v22, v48, v62
	v_lshlrev_b32_e32 v22, 3, v22
	ds_write_b64 v22, v[18:19]
	s_or_b64 exec, exec, s[22:23]
	s_and_saveexec_b64 s[20:21], s[18:19]
	s_cbranch_execz .LBB1154_494
.LBB1154_559:
	v_sub_u32_e32 v18, v47, v62
	v_lshlrev_b32_e32 v18, 3, v18
	ds_write_b64 v18, v[20:21]
	s_or_b64 exec, exec, s[20:21]
	s_and_saveexec_b64 s[18:19], s[16:17]
	s_cbranch_execz .LBB1154_495
.LBB1154_560:
	v_sub_u32_e32 v18, v46, v62
	v_lshlrev_b32_e32 v18, 3, v18
	ds_write_b64 v18, v[14:15]
	s_or_b64 exec, exec, s[18:19]
	s_and_saveexec_b64 s[16:17], s[14:15]
	s_cbranch_execz .LBB1154_496
.LBB1154_561:
	v_sub_u32_e32 v14, v45, v62
	v_lshlrev_b32_e32 v14, 3, v14
	ds_write_b64 v14, v[16:17]
	s_or_b64 exec, exec, s[16:17]
	s_and_saveexec_b64 s[14:15], s[12:13]
	s_cbranch_execz .LBB1154_497
.LBB1154_562:
	v_sub_u32_e32 v14, v44, v62
	v_lshlrev_b32_e32 v14, 3, v14
	ds_write_b64 v14, v[10:11]
	s_or_b64 exec, exec, s[14:15]
	s_and_saveexec_b64 s[12:13], s[10:11]
	s_cbranch_execz .LBB1154_498
.LBB1154_563:
	v_sub_u32_e32 v10, v43, v62
	v_lshlrev_b32_e32 v10, 3, v10
	ds_write_b64 v10, v[12:13]
	s_or_b64 exec, exec, s[12:13]
	s_and_saveexec_b64 s[10:11], s[8:9]
	s_cbranch_execz .LBB1154_499
.LBB1154_564:
	v_sub_u32_e32 v10, v42, v62
	v_lshlrev_b32_e32 v10, 3, v10
	ds_write_b64 v10, v[6:7]
	s_or_b64 exec, exec, s[10:11]
	s_and_saveexec_b64 s[8:9], s[6:7]
	s_cbranch_execz .LBB1154_500
.LBB1154_565:
	v_sub_u32_e32 v6, v41, v62
	v_lshlrev_b32_e32 v6, 3, v6
	ds_write_b64 v6, v[8:9]
	s_or_b64 exec, exec, s[8:9]
	s_and_saveexec_b64 s[6:7], s[4:5]
	s_cbranch_execz .LBB1154_501
.LBB1154_566:
	v_sub_u32_e32 v6, v40, v62
	v_lshlrev_b32_e32 v6, 3, v6
	ds_write_b64 v6, v[2:3]
	s_or_b64 exec, exec, s[6:7]
	s_and_saveexec_b64 s[4:5], s[2:3]
	s_cbranch_execnz .LBB1154_502
	s_branch .LBB1154_503
.LBB1154_567:
	v_sub_u32_e32 v10, v59, v8
	v_mov_b32_e32 v11, 0
	v_lshlrev_b64 v[10:11], 3, v[10:11]
	v_add_co_u32_e32 v10, vcc, v6, v10
	v_addc_co_u32_e32 v11, vcc, v7, v11, vcc
	global_store_dwordx2 v[10:11], v[94:95], off
	s_or_b64 exec, exec, s[38:39]
	s_and_saveexec_b64 s[38:39], s[26:27]
	s_cbranch_execz .LBB1154_507
.LBB1154_568:
	v_sub_u32_e32 v10, v51, v8
	v_mov_b32_e32 v11, 0
	v_lshlrev_b64 v[10:11], 3, v[10:11]
	v_add_co_u32_e32 v10, vcc, v6, v10
	v_addc_co_u32_e32 v11, vcc, v7, v11, vcc
	global_store_dwordx2 v[10:11], v[66:67], off
	s_or_b64 exec, exec, s[38:39]
	s_and_saveexec_b64 s[38:39], s[24:25]
	s_cbranch_execz .LBB1154_508
.LBB1154_569:
	v_sub_u32_e32 v10, v50, v8
	v_mov_b32_e32 v11, 0
	v_lshlrev_b64 v[10:11], 3, v[10:11]
	v_add_co_u32_e32 v10, vcc, v6, v10
	v_addc_co_u32_e32 v11, vcc, v7, v11, vcc
	global_store_dwordx2 v[10:11], v[68:69], off
	s_or_b64 exec, exec, s[38:39]
	s_and_saveexec_b64 s[38:39], s[22:23]
	s_cbranch_execz .LBB1154_509
.LBB1154_570:
	v_sub_u32_e32 v10, v49, v8
	v_mov_b32_e32 v11, 0
	v_lshlrev_b64 v[10:11], 3, v[10:11]
	v_add_co_u32_e32 v10, vcc, v6, v10
	v_addc_co_u32_e32 v11, vcc, v7, v11, vcc
	global_store_dwordx2 v[10:11], v[70:71], off
	s_or_b64 exec, exec, s[38:39]
	s_and_saveexec_b64 s[38:39], s[20:21]
	s_cbranch_execz .LBB1154_510
.LBB1154_571:
	v_sub_u32_e32 v10, v48, v8
	v_mov_b32_e32 v11, 0
	v_lshlrev_b64 v[10:11], 3, v[10:11]
	v_add_co_u32_e32 v10, vcc, v6, v10
	v_addc_co_u32_e32 v11, vcc, v7, v11, vcc
	global_store_dwordx2 v[10:11], v[76:77], off
	s_or_b64 exec, exec, s[38:39]
	s_and_saveexec_b64 s[38:39], s[18:19]
	s_cbranch_execz .LBB1154_511
.LBB1154_572:
	v_sub_u32_e32 v10, v47, v8
	v_mov_b32_e32 v11, 0
	v_lshlrev_b64 v[10:11], 3, v[10:11]
	v_add_co_u32_e32 v10, vcc, v6, v10
	v_addc_co_u32_e32 v11, vcc, v7, v11, vcc
	global_store_dwordx2 v[10:11], v[78:79], off
	s_or_b64 exec, exec, s[38:39]
	s_and_saveexec_b64 s[38:39], s[16:17]
	s_cbranch_execz .LBB1154_512
.LBB1154_573:
	v_sub_u32_e32 v10, v46, v8
	v_mov_b32_e32 v11, 0
	v_lshlrev_b64 v[10:11], 3, v[10:11]
	v_add_co_u32_e32 v10, vcc, v6, v10
	v_addc_co_u32_e32 v11, vcc, v7, v11, vcc
	global_store_dwordx2 v[10:11], v[80:81], off
	s_or_b64 exec, exec, s[38:39]
	s_and_saveexec_b64 s[38:39], s[14:15]
	s_cbranch_execz .LBB1154_513
.LBB1154_574:
	v_sub_u32_e32 v10, v45, v8
	v_mov_b32_e32 v11, 0
	v_lshlrev_b64 v[10:11], 3, v[10:11]
	v_add_co_u32_e32 v10, vcc, v6, v10
	v_addc_co_u32_e32 v11, vcc, v7, v11, vcc
	global_store_dwordx2 v[10:11], v[82:83], off
	s_or_b64 exec, exec, s[38:39]
	s_and_saveexec_b64 s[38:39], s[12:13]
	s_cbranch_execz .LBB1154_514
.LBB1154_575:
	v_sub_u32_e32 v10, v44, v8
	v_mov_b32_e32 v11, 0
	v_lshlrev_b64 v[10:11], 3, v[10:11]
	v_add_co_u32_e32 v10, vcc, v6, v10
	v_addc_co_u32_e32 v11, vcc, v7, v11, vcc
	global_store_dwordx2 v[10:11], v[84:85], off
	s_or_b64 exec, exec, s[38:39]
	s_and_saveexec_b64 s[38:39], s[10:11]
	s_cbranch_execz .LBB1154_515
.LBB1154_576:
	v_sub_u32_e32 v10, v43, v8
	v_mov_b32_e32 v11, 0
	v_lshlrev_b64 v[10:11], 3, v[10:11]
	v_add_co_u32_e32 v10, vcc, v6, v10
	v_addc_co_u32_e32 v11, vcc, v7, v11, vcc
	global_store_dwordx2 v[10:11], v[86:87], off
	s_or_b64 exec, exec, s[38:39]
	s_and_saveexec_b64 s[38:39], s[8:9]
	s_cbranch_execz .LBB1154_516
.LBB1154_577:
	v_sub_u32_e32 v10, v42, v8
	v_mov_b32_e32 v11, 0
	v_lshlrev_b64 v[10:11], 3, v[10:11]
	v_add_co_u32_e32 v10, vcc, v6, v10
	v_addc_co_u32_e32 v11, vcc, v7, v11, vcc
	global_store_dwordx2 v[10:11], v[88:89], off
	s_or_b64 exec, exec, s[38:39]
	s_and_saveexec_b64 s[38:39], s[6:7]
	s_cbranch_execz .LBB1154_517
.LBB1154_578:
	v_sub_u32_e32 v10, v41, v8
	v_mov_b32_e32 v11, 0
	v_lshlrev_b64 v[10:11], 3, v[10:11]
	v_add_co_u32_e32 v10, vcc, v6, v10
	v_addc_co_u32_e32 v11, vcc, v7, v11, vcc
	global_store_dwordx2 v[10:11], v[90:91], off
	s_or_b64 exec, exec, s[38:39]
	s_and_saveexec_b64 s[38:39], s[4:5]
	s_cbranch_execz .LBB1154_518
.LBB1154_579:
	v_sub_u32_e32 v10, v40, v8
	v_mov_b32_e32 v11, 0
	v_lshlrev_b64 v[10:11], 3, v[10:11]
	v_add_co_u32_e32 v10, vcc, v6, v10
	v_addc_co_u32_e32 v11, vcc, v7, v11, vcc
	global_store_dwordx2 v[10:11], v[92:93], off
	s_or_b64 exec, exec, s[38:39]
	s_and_saveexec_b64 s[38:39], s[2:3]
	s_cbranch_execnz .LBB1154_519
	s_branch .LBB1154_520
.LBB1154_580:
	v_sub_u32_e32 v9, v59, v8
	v_lshlrev_b32_e32 v9, 3, v9
	ds_write_b64 v9, v[94:95]
	s_or_b64 exec, exec, s[38:39]
	s_and_saveexec_b64 s[28:29], s[26:27]
	s_cbranch_execz .LBB1154_524
.LBB1154_581:
	v_sub_u32_e32 v9, v51, v8
	v_lshlrev_b32_e32 v9, 3, v9
	ds_write_b64 v9, v[66:67]
	s_or_b64 exec, exec, s[28:29]
	s_and_saveexec_b64 s[26:27], s[24:25]
	s_cbranch_execz .LBB1154_525
.LBB1154_582:
	v_sub_u32_e32 v9, v50, v8
	v_lshlrev_b32_e32 v9, 3, v9
	ds_write_b64 v9, v[68:69]
	s_or_b64 exec, exec, s[26:27]
	s_and_saveexec_b64 s[24:25], s[22:23]
	s_cbranch_execz .LBB1154_526
.LBB1154_583:
	v_sub_u32_e32 v9, v49, v8
	v_lshlrev_b32_e32 v9, 3, v9
	ds_write_b64 v9, v[70:71]
	s_or_b64 exec, exec, s[24:25]
	s_and_saveexec_b64 s[22:23], s[20:21]
	s_cbranch_execz .LBB1154_527
.LBB1154_584:
	v_sub_u32_e32 v9, v48, v8
	v_lshlrev_b32_e32 v9, 3, v9
	ds_write_b64 v9, v[76:77]
	s_or_b64 exec, exec, s[22:23]
	s_and_saveexec_b64 s[20:21], s[18:19]
	s_cbranch_execz .LBB1154_528
.LBB1154_585:
	v_sub_u32_e32 v9, v47, v8
	v_lshlrev_b32_e32 v9, 3, v9
	ds_write_b64 v9, v[78:79]
	s_or_b64 exec, exec, s[20:21]
	s_and_saveexec_b64 s[18:19], s[16:17]
	s_cbranch_execz .LBB1154_529
.LBB1154_586:
	v_sub_u32_e32 v9, v46, v8
	v_lshlrev_b32_e32 v9, 3, v9
	ds_write_b64 v9, v[80:81]
	s_or_b64 exec, exec, s[18:19]
	s_and_saveexec_b64 s[16:17], s[14:15]
	s_cbranch_execz .LBB1154_530
.LBB1154_587:
	v_sub_u32_e32 v9, v45, v8
	v_lshlrev_b32_e32 v9, 3, v9
	ds_write_b64 v9, v[82:83]
	s_or_b64 exec, exec, s[16:17]
	s_and_saveexec_b64 s[14:15], s[12:13]
	s_cbranch_execz .LBB1154_531
.LBB1154_588:
	v_sub_u32_e32 v9, v44, v8
	v_lshlrev_b32_e32 v9, 3, v9
	ds_write_b64 v9, v[84:85]
	s_or_b64 exec, exec, s[14:15]
	s_and_saveexec_b64 s[12:13], s[10:11]
	s_cbranch_execz .LBB1154_532
.LBB1154_589:
	v_sub_u32_e32 v9, v43, v8
	v_lshlrev_b32_e32 v9, 3, v9
	ds_write_b64 v9, v[86:87]
	s_or_b64 exec, exec, s[12:13]
	s_and_saveexec_b64 s[10:11], s[8:9]
	s_cbranch_execz .LBB1154_533
.LBB1154_590:
	v_sub_u32_e32 v9, v42, v8
	v_lshlrev_b32_e32 v9, 3, v9
	ds_write_b64 v9, v[88:89]
	s_or_b64 exec, exec, s[10:11]
	s_and_saveexec_b64 s[8:9], s[6:7]
	s_cbranch_execz .LBB1154_534
.LBB1154_591:
	v_sub_u32_e32 v9, v41, v8
	v_lshlrev_b32_e32 v9, 3, v9
	ds_write_b64 v9, v[90:91]
	s_or_b64 exec, exec, s[8:9]
	s_and_saveexec_b64 s[6:7], s[4:5]
	s_cbranch_execz .LBB1154_535
.LBB1154_592:
	v_sub_u32_e32 v9, v40, v8
	v_lshlrev_b32_e32 v9, 3, v9
	ds_write_b64 v9, v[92:93]
	s_or_b64 exec, exec, s[6:7]
	s_and_saveexec_b64 s[4:5], s[2:3]
	s_cbranch_execnz .LBB1154_536
	s_branch .LBB1154_537
	.section	.rodata,"a",@progbits
	.p2align	6, 0x0
	.amdhsa_kernel _ZN7rocprim17ROCPRIM_400000_NS6detail17trampoline_kernelINS0_14default_configENS1_29reduce_by_key_config_selectorIllN6thrust23THRUST_200600_302600_NS4plusIlEEEEZZNS1_33reduce_by_key_impl_wrapped_configILNS1_25lookback_scan_determinismE0ES3_S9_NS6_18transform_iteratorI6div_opNS6_17counting_iteratorIlNS6_11use_defaultESF_SF_EESF_SF_EENSC_I6mod_opSG_SF_SF_EENS6_6detail15normal_iteratorINS6_10device_ptrIlEEEESO_PmS8_NS6_8equal_toIlEEEE10hipError_tPvRmT2_T3_mT4_T5_T6_T7_T8_P12ihipStream_tbENKUlT_T0_E_clISt17integral_constantIbLb1EES18_IbLb0EEEEDaS14_S15_EUlS14_E_NS1_11comp_targetILNS1_3genE4ELNS1_11target_archE910ELNS1_3gpuE8ELNS1_3repE0EEENS1_30default_config_static_selectorELNS0_4arch9wavefront6targetE1EEEvT1_
		.amdhsa_group_segment_fixed_size 30720
		.amdhsa_private_segment_fixed_size 0
		.amdhsa_kernarg_size 152
		.amdhsa_user_sgpr_count 6
		.amdhsa_user_sgpr_private_segment_buffer 1
		.amdhsa_user_sgpr_dispatch_ptr 0
		.amdhsa_user_sgpr_queue_ptr 0
		.amdhsa_user_sgpr_kernarg_segment_ptr 1
		.amdhsa_user_sgpr_dispatch_id 0
		.amdhsa_user_sgpr_flat_scratch_init 0
		.amdhsa_user_sgpr_kernarg_preload_length 0
		.amdhsa_user_sgpr_kernarg_preload_offset 0
		.amdhsa_user_sgpr_private_segment_size 0
		.amdhsa_uses_dynamic_stack 0
		.amdhsa_system_sgpr_private_segment_wavefront_offset 0
		.amdhsa_system_sgpr_workgroup_id_x 1
		.amdhsa_system_sgpr_workgroup_id_y 0
		.amdhsa_system_sgpr_workgroup_id_z 0
		.amdhsa_system_sgpr_workgroup_info 0
		.amdhsa_system_vgpr_workitem_id 0
		.amdhsa_next_free_vgpr 118
		.amdhsa_next_free_sgpr 77
		.amdhsa_accum_offset 120
		.amdhsa_reserve_vcc 1
		.amdhsa_reserve_flat_scratch 0
		.amdhsa_float_round_mode_32 0
		.amdhsa_float_round_mode_16_64 0
		.amdhsa_float_denorm_mode_32 3
		.amdhsa_float_denorm_mode_16_64 3
		.amdhsa_dx10_clamp 1
		.amdhsa_ieee_mode 1
		.amdhsa_fp16_overflow 0
		.amdhsa_tg_split 0
		.amdhsa_exception_fp_ieee_invalid_op 0
		.amdhsa_exception_fp_denorm_src 0
		.amdhsa_exception_fp_ieee_div_zero 0
		.amdhsa_exception_fp_ieee_overflow 0
		.amdhsa_exception_fp_ieee_underflow 0
		.amdhsa_exception_fp_ieee_inexact 0
		.amdhsa_exception_int_div_zero 0
	.end_amdhsa_kernel
	.section	.text._ZN7rocprim17ROCPRIM_400000_NS6detail17trampoline_kernelINS0_14default_configENS1_29reduce_by_key_config_selectorIllN6thrust23THRUST_200600_302600_NS4plusIlEEEEZZNS1_33reduce_by_key_impl_wrapped_configILNS1_25lookback_scan_determinismE0ES3_S9_NS6_18transform_iteratorI6div_opNS6_17counting_iteratorIlNS6_11use_defaultESF_SF_EESF_SF_EENSC_I6mod_opSG_SF_SF_EENS6_6detail15normal_iteratorINS6_10device_ptrIlEEEESO_PmS8_NS6_8equal_toIlEEEE10hipError_tPvRmT2_T3_mT4_T5_T6_T7_T8_P12ihipStream_tbENKUlT_T0_E_clISt17integral_constantIbLb1EES18_IbLb0EEEEDaS14_S15_EUlS14_E_NS1_11comp_targetILNS1_3genE4ELNS1_11target_archE910ELNS1_3gpuE8ELNS1_3repE0EEENS1_30default_config_static_selectorELNS0_4arch9wavefront6targetE1EEEvT1_,"axG",@progbits,_ZN7rocprim17ROCPRIM_400000_NS6detail17trampoline_kernelINS0_14default_configENS1_29reduce_by_key_config_selectorIllN6thrust23THRUST_200600_302600_NS4plusIlEEEEZZNS1_33reduce_by_key_impl_wrapped_configILNS1_25lookback_scan_determinismE0ES3_S9_NS6_18transform_iteratorI6div_opNS6_17counting_iteratorIlNS6_11use_defaultESF_SF_EESF_SF_EENSC_I6mod_opSG_SF_SF_EENS6_6detail15normal_iteratorINS6_10device_ptrIlEEEESO_PmS8_NS6_8equal_toIlEEEE10hipError_tPvRmT2_T3_mT4_T5_T6_T7_T8_P12ihipStream_tbENKUlT_T0_E_clISt17integral_constantIbLb1EES18_IbLb0EEEEDaS14_S15_EUlS14_E_NS1_11comp_targetILNS1_3genE4ELNS1_11target_archE910ELNS1_3gpuE8ELNS1_3repE0EEENS1_30default_config_static_selectorELNS0_4arch9wavefront6targetE1EEEvT1_,comdat
.Lfunc_end1154:
	.size	_ZN7rocprim17ROCPRIM_400000_NS6detail17trampoline_kernelINS0_14default_configENS1_29reduce_by_key_config_selectorIllN6thrust23THRUST_200600_302600_NS4plusIlEEEEZZNS1_33reduce_by_key_impl_wrapped_configILNS1_25lookback_scan_determinismE0ES3_S9_NS6_18transform_iteratorI6div_opNS6_17counting_iteratorIlNS6_11use_defaultESF_SF_EESF_SF_EENSC_I6mod_opSG_SF_SF_EENS6_6detail15normal_iteratorINS6_10device_ptrIlEEEESO_PmS8_NS6_8equal_toIlEEEE10hipError_tPvRmT2_T3_mT4_T5_T6_T7_T8_P12ihipStream_tbENKUlT_T0_E_clISt17integral_constantIbLb1EES18_IbLb0EEEEDaS14_S15_EUlS14_E_NS1_11comp_targetILNS1_3genE4ELNS1_11target_archE910ELNS1_3gpuE8ELNS1_3repE0EEENS1_30default_config_static_selectorELNS0_4arch9wavefront6targetE1EEEvT1_, .Lfunc_end1154-_ZN7rocprim17ROCPRIM_400000_NS6detail17trampoline_kernelINS0_14default_configENS1_29reduce_by_key_config_selectorIllN6thrust23THRUST_200600_302600_NS4plusIlEEEEZZNS1_33reduce_by_key_impl_wrapped_configILNS1_25lookback_scan_determinismE0ES3_S9_NS6_18transform_iteratorI6div_opNS6_17counting_iteratorIlNS6_11use_defaultESF_SF_EESF_SF_EENSC_I6mod_opSG_SF_SF_EENS6_6detail15normal_iteratorINS6_10device_ptrIlEEEESO_PmS8_NS6_8equal_toIlEEEE10hipError_tPvRmT2_T3_mT4_T5_T6_T7_T8_P12ihipStream_tbENKUlT_T0_E_clISt17integral_constantIbLb1EES18_IbLb0EEEEDaS14_S15_EUlS14_E_NS1_11comp_targetILNS1_3genE4ELNS1_11target_archE910ELNS1_3gpuE8ELNS1_3repE0EEENS1_30default_config_static_selectorELNS0_4arch9wavefront6targetE1EEEvT1_
                                        ; -- End function
	.section	.AMDGPU.csdata,"",@progbits
; Kernel info:
; codeLenInByte = 67960
; NumSgprs: 81
; NumVgprs: 118
; NumAgprs: 0
; TotalNumVgprs: 118
; ScratchSize: 0
; MemoryBound: 0
; FloatMode: 240
; IeeeMode: 1
; LDSByteSize: 30720 bytes/workgroup (compile time only)
; SGPRBlocks: 10
; VGPRBlocks: 14
; NumSGPRsForWavesPerEU: 81
; NumVGPRsForWavesPerEU: 118
; AccumOffset: 120
; Occupancy: 2
; WaveLimiterHint : 1
; COMPUTE_PGM_RSRC2:SCRATCH_EN: 0
; COMPUTE_PGM_RSRC2:USER_SGPR: 6
; COMPUTE_PGM_RSRC2:TRAP_HANDLER: 0
; COMPUTE_PGM_RSRC2:TGID_X_EN: 1
; COMPUTE_PGM_RSRC2:TGID_Y_EN: 0
; COMPUTE_PGM_RSRC2:TGID_Z_EN: 0
; COMPUTE_PGM_RSRC2:TIDIG_COMP_CNT: 0
; COMPUTE_PGM_RSRC3_GFX90A:ACCUM_OFFSET: 29
; COMPUTE_PGM_RSRC3_GFX90A:TG_SPLIT: 0
	.section	.text._ZN7rocprim17ROCPRIM_400000_NS6detail17trampoline_kernelINS0_14default_configENS1_29reduce_by_key_config_selectorIllN6thrust23THRUST_200600_302600_NS4plusIlEEEEZZNS1_33reduce_by_key_impl_wrapped_configILNS1_25lookback_scan_determinismE0ES3_S9_NS6_18transform_iteratorI6div_opNS6_17counting_iteratorIlNS6_11use_defaultESF_SF_EESF_SF_EENSC_I6mod_opSG_SF_SF_EENS6_6detail15normal_iteratorINS6_10device_ptrIlEEEESO_PmS8_NS6_8equal_toIlEEEE10hipError_tPvRmT2_T3_mT4_T5_T6_T7_T8_P12ihipStream_tbENKUlT_T0_E_clISt17integral_constantIbLb1EES18_IbLb0EEEEDaS14_S15_EUlS14_E_NS1_11comp_targetILNS1_3genE3ELNS1_11target_archE908ELNS1_3gpuE7ELNS1_3repE0EEENS1_30default_config_static_selectorELNS0_4arch9wavefront6targetE1EEEvT1_,"axG",@progbits,_ZN7rocprim17ROCPRIM_400000_NS6detail17trampoline_kernelINS0_14default_configENS1_29reduce_by_key_config_selectorIllN6thrust23THRUST_200600_302600_NS4plusIlEEEEZZNS1_33reduce_by_key_impl_wrapped_configILNS1_25lookback_scan_determinismE0ES3_S9_NS6_18transform_iteratorI6div_opNS6_17counting_iteratorIlNS6_11use_defaultESF_SF_EESF_SF_EENSC_I6mod_opSG_SF_SF_EENS6_6detail15normal_iteratorINS6_10device_ptrIlEEEESO_PmS8_NS6_8equal_toIlEEEE10hipError_tPvRmT2_T3_mT4_T5_T6_T7_T8_P12ihipStream_tbENKUlT_T0_E_clISt17integral_constantIbLb1EES18_IbLb0EEEEDaS14_S15_EUlS14_E_NS1_11comp_targetILNS1_3genE3ELNS1_11target_archE908ELNS1_3gpuE7ELNS1_3repE0EEENS1_30default_config_static_selectorELNS0_4arch9wavefront6targetE1EEEvT1_,comdat
	.protected	_ZN7rocprim17ROCPRIM_400000_NS6detail17trampoline_kernelINS0_14default_configENS1_29reduce_by_key_config_selectorIllN6thrust23THRUST_200600_302600_NS4plusIlEEEEZZNS1_33reduce_by_key_impl_wrapped_configILNS1_25lookback_scan_determinismE0ES3_S9_NS6_18transform_iteratorI6div_opNS6_17counting_iteratorIlNS6_11use_defaultESF_SF_EESF_SF_EENSC_I6mod_opSG_SF_SF_EENS6_6detail15normal_iteratorINS6_10device_ptrIlEEEESO_PmS8_NS6_8equal_toIlEEEE10hipError_tPvRmT2_T3_mT4_T5_T6_T7_T8_P12ihipStream_tbENKUlT_T0_E_clISt17integral_constantIbLb1EES18_IbLb0EEEEDaS14_S15_EUlS14_E_NS1_11comp_targetILNS1_3genE3ELNS1_11target_archE908ELNS1_3gpuE7ELNS1_3repE0EEENS1_30default_config_static_selectorELNS0_4arch9wavefront6targetE1EEEvT1_ ; -- Begin function _ZN7rocprim17ROCPRIM_400000_NS6detail17trampoline_kernelINS0_14default_configENS1_29reduce_by_key_config_selectorIllN6thrust23THRUST_200600_302600_NS4plusIlEEEEZZNS1_33reduce_by_key_impl_wrapped_configILNS1_25lookback_scan_determinismE0ES3_S9_NS6_18transform_iteratorI6div_opNS6_17counting_iteratorIlNS6_11use_defaultESF_SF_EESF_SF_EENSC_I6mod_opSG_SF_SF_EENS6_6detail15normal_iteratorINS6_10device_ptrIlEEEESO_PmS8_NS6_8equal_toIlEEEE10hipError_tPvRmT2_T3_mT4_T5_T6_T7_T8_P12ihipStream_tbENKUlT_T0_E_clISt17integral_constantIbLb1EES18_IbLb0EEEEDaS14_S15_EUlS14_E_NS1_11comp_targetILNS1_3genE3ELNS1_11target_archE908ELNS1_3gpuE7ELNS1_3repE0EEENS1_30default_config_static_selectorELNS0_4arch9wavefront6targetE1EEEvT1_
	.globl	_ZN7rocprim17ROCPRIM_400000_NS6detail17trampoline_kernelINS0_14default_configENS1_29reduce_by_key_config_selectorIllN6thrust23THRUST_200600_302600_NS4plusIlEEEEZZNS1_33reduce_by_key_impl_wrapped_configILNS1_25lookback_scan_determinismE0ES3_S9_NS6_18transform_iteratorI6div_opNS6_17counting_iteratorIlNS6_11use_defaultESF_SF_EESF_SF_EENSC_I6mod_opSG_SF_SF_EENS6_6detail15normal_iteratorINS6_10device_ptrIlEEEESO_PmS8_NS6_8equal_toIlEEEE10hipError_tPvRmT2_T3_mT4_T5_T6_T7_T8_P12ihipStream_tbENKUlT_T0_E_clISt17integral_constantIbLb1EES18_IbLb0EEEEDaS14_S15_EUlS14_E_NS1_11comp_targetILNS1_3genE3ELNS1_11target_archE908ELNS1_3gpuE7ELNS1_3repE0EEENS1_30default_config_static_selectorELNS0_4arch9wavefront6targetE1EEEvT1_
	.p2align	8
	.type	_ZN7rocprim17ROCPRIM_400000_NS6detail17trampoline_kernelINS0_14default_configENS1_29reduce_by_key_config_selectorIllN6thrust23THRUST_200600_302600_NS4plusIlEEEEZZNS1_33reduce_by_key_impl_wrapped_configILNS1_25lookback_scan_determinismE0ES3_S9_NS6_18transform_iteratorI6div_opNS6_17counting_iteratorIlNS6_11use_defaultESF_SF_EESF_SF_EENSC_I6mod_opSG_SF_SF_EENS6_6detail15normal_iteratorINS6_10device_ptrIlEEEESO_PmS8_NS6_8equal_toIlEEEE10hipError_tPvRmT2_T3_mT4_T5_T6_T7_T8_P12ihipStream_tbENKUlT_T0_E_clISt17integral_constantIbLb1EES18_IbLb0EEEEDaS14_S15_EUlS14_E_NS1_11comp_targetILNS1_3genE3ELNS1_11target_archE908ELNS1_3gpuE7ELNS1_3repE0EEENS1_30default_config_static_selectorELNS0_4arch9wavefront6targetE1EEEvT1_,@function
_ZN7rocprim17ROCPRIM_400000_NS6detail17trampoline_kernelINS0_14default_configENS1_29reduce_by_key_config_selectorIllN6thrust23THRUST_200600_302600_NS4plusIlEEEEZZNS1_33reduce_by_key_impl_wrapped_configILNS1_25lookback_scan_determinismE0ES3_S9_NS6_18transform_iteratorI6div_opNS6_17counting_iteratorIlNS6_11use_defaultESF_SF_EESF_SF_EENSC_I6mod_opSG_SF_SF_EENS6_6detail15normal_iteratorINS6_10device_ptrIlEEEESO_PmS8_NS6_8equal_toIlEEEE10hipError_tPvRmT2_T3_mT4_T5_T6_T7_T8_P12ihipStream_tbENKUlT_T0_E_clISt17integral_constantIbLb1EES18_IbLb0EEEEDaS14_S15_EUlS14_E_NS1_11comp_targetILNS1_3genE3ELNS1_11target_archE908ELNS1_3gpuE7ELNS1_3repE0EEENS1_30default_config_static_selectorELNS0_4arch9wavefront6targetE1EEEvT1_: ; @_ZN7rocprim17ROCPRIM_400000_NS6detail17trampoline_kernelINS0_14default_configENS1_29reduce_by_key_config_selectorIllN6thrust23THRUST_200600_302600_NS4plusIlEEEEZZNS1_33reduce_by_key_impl_wrapped_configILNS1_25lookback_scan_determinismE0ES3_S9_NS6_18transform_iteratorI6div_opNS6_17counting_iteratorIlNS6_11use_defaultESF_SF_EESF_SF_EENSC_I6mod_opSG_SF_SF_EENS6_6detail15normal_iteratorINS6_10device_ptrIlEEEESO_PmS8_NS6_8equal_toIlEEEE10hipError_tPvRmT2_T3_mT4_T5_T6_T7_T8_P12ihipStream_tbENKUlT_T0_E_clISt17integral_constantIbLb1EES18_IbLb0EEEEDaS14_S15_EUlS14_E_NS1_11comp_targetILNS1_3genE3ELNS1_11target_archE908ELNS1_3gpuE7ELNS1_3repE0EEENS1_30default_config_static_selectorELNS0_4arch9wavefront6targetE1EEEvT1_
; %bb.0:
	.section	.rodata,"a",@progbits
	.p2align	6, 0x0
	.amdhsa_kernel _ZN7rocprim17ROCPRIM_400000_NS6detail17trampoline_kernelINS0_14default_configENS1_29reduce_by_key_config_selectorIllN6thrust23THRUST_200600_302600_NS4plusIlEEEEZZNS1_33reduce_by_key_impl_wrapped_configILNS1_25lookback_scan_determinismE0ES3_S9_NS6_18transform_iteratorI6div_opNS6_17counting_iteratorIlNS6_11use_defaultESF_SF_EESF_SF_EENSC_I6mod_opSG_SF_SF_EENS6_6detail15normal_iteratorINS6_10device_ptrIlEEEESO_PmS8_NS6_8equal_toIlEEEE10hipError_tPvRmT2_T3_mT4_T5_T6_T7_T8_P12ihipStream_tbENKUlT_T0_E_clISt17integral_constantIbLb1EES18_IbLb0EEEEDaS14_S15_EUlS14_E_NS1_11comp_targetILNS1_3genE3ELNS1_11target_archE908ELNS1_3gpuE7ELNS1_3repE0EEENS1_30default_config_static_selectorELNS0_4arch9wavefront6targetE1EEEvT1_
		.amdhsa_group_segment_fixed_size 0
		.amdhsa_private_segment_fixed_size 0
		.amdhsa_kernarg_size 152
		.amdhsa_user_sgpr_count 6
		.amdhsa_user_sgpr_private_segment_buffer 1
		.amdhsa_user_sgpr_dispatch_ptr 0
		.amdhsa_user_sgpr_queue_ptr 0
		.amdhsa_user_sgpr_kernarg_segment_ptr 1
		.amdhsa_user_sgpr_dispatch_id 0
		.amdhsa_user_sgpr_flat_scratch_init 0
		.amdhsa_user_sgpr_kernarg_preload_length 0
		.amdhsa_user_sgpr_kernarg_preload_offset 0
		.amdhsa_user_sgpr_private_segment_size 0
		.amdhsa_uses_dynamic_stack 0
		.amdhsa_system_sgpr_private_segment_wavefront_offset 0
		.amdhsa_system_sgpr_workgroup_id_x 1
		.amdhsa_system_sgpr_workgroup_id_y 0
		.amdhsa_system_sgpr_workgroup_id_z 0
		.amdhsa_system_sgpr_workgroup_info 0
		.amdhsa_system_vgpr_workitem_id 0
		.amdhsa_next_free_vgpr 1
		.amdhsa_next_free_sgpr 0
		.amdhsa_accum_offset 4
		.amdhsa_reserve_vcc 0
		.amdhsa_reserve_flat_scratch 0
		.amdhsa_float_round_mode_32 0
		.amdhsa_float_round_mode_16_64 0
		.amdhsa_float_denorm_mode_32 3
		.amdhsa_float_denorm_mode_16_64 3
		.amdhsa_dx10_clamp 1
		.amdhsa_ieee_mode 1
		.amdhsa_fp16_overflow 0
		.amdhsa_tg_split 0
		.amdhsa_exception_fp_ieee_invalid_op 0
		.amdhsa_exception_fp_denorm_src 0
		.amdhsa_exception_fp_ieee_div_zero 0
		.amdhsa_exception_fp_ieee_overflow 0
		.amdhsa_exception_fp_ieee_underflow 0
		.amdhsa_exception_fp_ieee_inexact 0
		.amdhsa_exception_int_div_zero 0
	.end_amdhsa_kernel
	.section	.text._ZN7rocprim17ROCPRIM_400000_NS6detail17trampoline_kernelINS0_14default_configENS1_29reduce_by_key_config_selectorIllN6thrust23THRUST_200600_302600_NS4plusIlEEEEZZNS1_33reduce_by_key_impl_wrapped_configILNS1_25lookback_scan_determinismE0ES3_S9_NS6_18transform_iteratorI6div_opNS6_17counting_iteratorIlNS6_11use_defaultESF_SF_EESF_SF_EENSC_I6mod_opSG_SF_SF_EENS6_6detail15normal_iteratorINS6_10device_ptrIlEEEESO_PmS8_NS6_8equal_toIlEEEE10hipError_tPvRmT2_T3_mT4_T5_T6_T7_T8_P12ihipStream_tbENKUlT_T0_E_clISt17integral_constantIbLb1EES18_IbLb0EEEEDaS14_S15_EUlS14_E_NS1_11comp_targetILNS1_3genE3ELNS1_11target_archE908ELNS1_3gpuE7ELNS1_3repE0EEENS1_30default_config_static_selectorELNS0_4arch9wavefront6targetE1EEEvT1_,"axG",@progbits,_ZN7rocprim17ROCPRIM_400000_NS6detail17trampoline_kernelINS0_14default_configENS1_29reduce_by_key_config_selectorIllN6thrust23THRUST_200600_302600_NS4plusIlEEEEZZNS1_33reduce_by_key_impl_wrapped_configILNS1_25lookback_scan_determinismE0ES3_S9_NS6_18transform_iteratorI6div_opNS6_17counting_iteratorIlNS6_11use_defaultESF_SF_EESF_SF_EENSC_I6mod_opSG_SF_SF_EENS6_6detail15normal_iteratorINS6_10device_ptrIlEEEESO_PmS8_NS6_8equal_toIlEEEE10hipError_tPvRmT2_T3_mT4_T5_T6_T7_T8_P12ihipStream_tbENKUlT_T0_E_clISt17integral_constantIbLb1EES18_IbLb0EEEEDaS14_S15_EUlS14_E_NS1_11comp_targetILNS1_3genE3ELNS1_11target_archE908ELNS1_3gpuE7ELNS1_3repE0EEENS1_30default_config_static_selectorELNS0_4arch9wavefront6targetE1EEEvT1_,comdat
.Lfunc_end1155:
	.size	_ZN7rocprim17ROCPRIM_400000_NS6detail17trampoline_kernelINS0_14default_configENS1_29reduce_by_key_config_selectorIllN6thrust23THRUST_200600_302600_NS4plusIlEEEEZZNS1_33reduce_by_key_impl_wrapped_configILNS1_25lookback_scan_determinismE0ES3_S9_NS6_18transform_iteratorI6div_opNS6_17counting_iteratorIlNS6_11use_defaultESF_SF_EESF_SF_EENSC_I6mod_opSG_SF_SF_EENS6_6detail15normal_iteratorINS6_10device_ptrIlEEEESO_PmS8_NS6_8equal_toIlEEEE10hipError_tPvRmT2_T3_mT4_T5_T6_T7_T8_P12ihipStream_tbENKUlT_T0_E_clISt17integral_constantIbLb1EES18_IbLb0EEEEDaS14_S15_EUlS14_E_NS1_11comp_targetILNS1_3genE3ELNS1_11target_archE908ELNS1_3gpuE7ELNS1_3repE0EEENS1_30default_config_static_selectorELNS0_4arch9wavefront6targetE1EEEvT1_, .Lfunc_end1155-_ZN7rocprim17ROCPRIM_400000_NS6detail17trampoline_kernelINS0_14default_configENS1_29reduce_by_key_config_selectorIllN6thrust23THRUST_200600_302600_NS4plusIlEEEEZZNS1_33reduce_by_key_impl_wrapped_configILNS1_25lookback_scan_determinismE0ES3_S9_NS6_18transform_iteratorI6div_opNS6_17counting_iteratorIlNS6_11use_defaultESF_SF_EESF_SF_EENSC_I6mod_opSG_SF_SF_EENS6_6detail15normal_iteratorINS6_10device_ptrIlEEEESO_PmS8_NS6_8equal_toIlEEEE10hipError_tPvRmT2_T3_mT4_T5_T6_T7_T8_P12ihipStream_tbENKUlT_T0_E_clISt17integral_constantIbLb1EES18_IbLb0EEEEDaS14_S15_EUlS14_E_NS1_11comp_targetILNS1_3genE3ELNS1_11target_archE908ELNS1_3gpuE7ELNS1_3repE0EEENS1_30default_config_static_selectorELNS0_4arch9wavefront6targetE1EEEvT1_
                                        ; -- End function
	.section	.AMDGPU.csdata,"",@progbits
; Kernel info:
; codeLenInByte = 0
; NumSgprs: 4
; NumVgprs: 0
; NumAgprs: 0
; TotalNumVgprs: 0
; ScratchSize: 0
; MemoryBound: 0
; FloatMode: 240
; IeeeMode: 1
; LDSByteSize: 0 bytes/workgroup (compile time only)
; SGPRBlocks: 0
; VGPRBlocks: 0
; NumSGPRsForWavesPerEU: 4
; NumVGPRsForWavesPerEU: 1
; AccumOffset: 4
; Occupancy: 8
; WaveLimiterHint : 0
; COMPUTE_PGM_RSRC2:SCRATCH_EN: 0
; COMPUTE_PGM_RSRC2:USER_SGPR: 6
; COMPUTE_PGM_RSRC2:TRAP_HANDLER: 0
; COMPUTE_PGM_RSRC2:TGID_X_EN: 1
; COMPUTE_PGM_RSRC2:TGID_Y_EN: 0
; COMPUTE_PGM_RSRC2:TGID_Z_EN: 0
; COMPUTE_PGM_RSRC2:TIDIG_COMP_CNT: 0
; COMPUTE_PGM_RSRC3_GFX90A:ACCUM_OFFSET: 0
; COMPUTE_PGM_RSRC3_GFX90A:TG_SPLIT: 0
	.section	.text._ZN7rocprim17ROCPRIM_400000_NS6detail17trampoline_kernelINS0_14default_configENS1_29reduce_by_key_config_selectorIllN6thrust23THRUST_200600_302600_NS4plusIlEEEEZZNS1_33reduce_by_key_impl_wrapped_configILNS1_25lookback_scan_determinismE0ES3_S9_NS6_18transform_iteratorI6div_opNS6_17counting_iteratorIlNS6_11use_defaultESF_SF_EESF_SF_EENSC_I6mod_opSG_SF_SF_EENS6_6detail15normal_iteratorINS6_10device_ptrIlEEEESO_PmS8_NS6_8equal_toIlEEEE10hipError_tPvRmT2_T3_mT4_T5_T6_T7_T8_P12ihipStream_tbENKUlT_T0_E_clISt17integral_constantIbLb1EES18_IbLb0EEEEDaS14_S15_EUlS14_E_NS1_11comp_targetILNS1_3genE2ELNS1_11target_archE906ELNS1_3gpuE6ELNS1_3repE0EEENS1_30default_config_static_selectorELNS0_4arch9wavefront6targetE1EEEvT1_,"axG",@progbits,_ZN7rocprim17ROCPRIM_400000_NS6detail17trampoline_kernelINS0_14default_configENS1_29reduce_by_key_config_selectorIllN6thrust23THRUST_200600_302600_NS4plusIlEEEEZZNS1_33reduce_by_key_impl_wrapped_configILNS1_25lookback_scan_determinismE0ES3_S9_NS6_18transform_iteratorI6div_opNS6_17counting_iteratorIlNS6_11use_defaultESF_SF_EESF_SF_EENSC_I6mod_opSG_SF_SF_EENS6_6detail15normal_iteratorINS6_10device_ptrIlEEEESO_PmS8_NS6_8equal_toIlEEEE10hipError_tPvRmT2_T3_mT4_T5_T6_T7_T8_P12ihipStream_tbENKUlT_T0_E_clISt17integral_constantIbLb1EES18_IbLb0EEEEDaS14_S15_EUlS14_E_NS1_11comp_targetILNS1_3genE2ELNS1_11target_archE906ELNS1_3gpuE6ELNS1_3repE0EEENS1_30default_config_static_selectorELNS0_4arch9wavefront6targetE1EEEvT1_,comdat
	.protected	_ZN7rocprim17ROCPRIM_400000_NS6detail17trampoline_kernelINS0_14default_configENS1_29reduce_by_key_config_selectorIllN6thrust23THRUST_200600_302600_NS4plusIlEEEEZZNS1_33reduce_by_key_impl_wrapped_configILNS1_25lookback_scan_determinismE0ES3_S9_NS6_18transform_iteratorI6div_opNS6_17counting_iteratorIlNS6_11use_defaultESF_SF_EESF_SF_EENSC_I6mod_opSG_SF_SF_EENS6_6detail15normal_iteratorINS6_10device_ptrIlEEEESO_PmS8_NS6_8equal_toIlEEEE10hipError_tPvRmT2_T3_mT4_T5_T6_T7_T8_P12ihipStream_tbENKUlT_T0_E_clISt17integral_constantIbLb1EES18_IbLb0EEEEDaS14_S15_EUlS14_E_NS1_11comp_targetILNS1_3genE2ELNS1_11target_archE906ELNS1_3gpuE6ELNS1_3repE0EEENS1_30default_config_static_selectorELNS0_4arch9wavefront6targetE1EEEvT1_ ; -- Begin function _ZN7rocprim17ROCPRIM_400000_NS6detail17trampoline_kernelINS0_14default_configENS1_29reduce_by_key_config_selectorIllN6thrust23THRUST_200600_302600_NS4plusIlEEEEZZNS1_33reduce_by_key_impl_wrapped_configILNS1_25lookback_scan_determinismE0ES3_S9_NS6_18transform_iteratorI6div_opNS6_17counting_iteratorIlNS6_11use_defaultESF_SF_EESF_SF_EENSC_I6mod_opSG_SF_SF_EENS6_6detail15normal_iteratorINS6_10device_ptrIlEEEESO_PmS8_NS6_8equal_toIlEEEE10hipError_tPvRmT2_T3_mT4_T5_T6_T7_T8_P12ihipStream_tbENKUlT_T0_E_clISt17integral_constantIbLb1EES18_IbLb0EEEEDaS14_S15_EUlS14_E_NS1_11comp_targetILNS1_3genE2ELNS1_11target_archE906ELNS1_3gpuE6ELNS1_3repE0EEENS1_30default_config_static_selectorELNS0_4arch9wavefront6targetE1EEEvT1_
	.globl	_ZN7rocprim17ROCPRIM_400000_NS6detail17trampoline_kernelINS0_14default_configENS1_29reduce_by_key_config_selectorIllN6thrust23THRUST_200600_302600_NS4plusIlEEEEZZNS1_33reduce_by_key_impl_wrapped_configILNS1_25lookback_scan_determinismE0ES3_S9_NS6_18transform_iteratorI6div_opNS6_17counting_iteratorIlNS6_11use_defaultESF_SF_EESF_SF_EENSC_I6mod_opSG_SF_SF_EENS6_6detail15normal_iteratorINS6_10device_ptrIlEEEESO_PmS8_NS6_8equal_toIlEEEE10hipError_tPvRmT2_T3_mT4_T5_T6_T7_T8_P12ihipStream_tbENKUlT_T0_E_clISt17integral_constantIbLb1EES18_IbLb0EEEEDaS14_S15_EUlS14_E_NS1_11comp_targetILNS1_3genE2ELNS1_11target_archE906ELNS1_3gpuE6ELNS1_3repE0EEENS1_30default_config_static_selectorELNS0_4arch9wavefront6targetE1EEEvT1_
	.p2align	8
	.type	_ZN7rocprim17ROCPRIM_400000_NS6detail17trampoline_kernelINS0_14default_configENS1_29reduce_by_key_config_selectorIllN6thrust23THRUST_200600_302600_NS4plusIlEEEEZZNS1_33reduce_by_key_impl_wrapped_configILNS1_25lookback_scan_determinismE0ES3_S9_NS6_18transform_iteratorI6div_opNS6_17counting_iteratorIlNS6_11use_defaultESF_SF_EESF_SF_EENSC_I6mod_opSG_SF_SF_EENS6_6detail15normal_iteratorINS6_10device_ptrIlEEEESO_PmS8_NS6_8equal_toIlEEEE10hipError_tPvRmT2_T3_mT4_T5_T6_T7_T8_P12ihipStream_tbENKUlT_T0_E_clISt17integral_constantIbLb1EES18_IbLb0EEEEDaS14_S15_EUlS14_E_NS1_11comp_targetILNS1_3genE2ELNS1_11target_archE906ELNS1_3gpuE6ELNS1_3repE0EEENS1_30default_config_static_selectorELNS0_4arch9wavefront6targetE1EEEvT1_,@function
_ZN7rocprim17ROCPRIM_400000_NS6detail17trampoline_kernelINS0_14default_configENS1_29reduce_by_key_config_selectorIllN6thrust23THRUST_200600_302600_NS4plusIlEEEEZZNS1_33reduce_by_key_impl_wrapped_configILNS1_25lookback_scan_determinismE0ES3_S9_NS6_18transform_iteratorI6div_opNS6_17counting_iteratorIlNS6_11use_defaultESF_SF_EESF_SF_EENSC_I6mod_opSG_SF_SF_EENS6_6detail15normal_iteratorINS6_10device_ptrIlEEEESO_PmS8_NS6_8equal_toIlEEEE10hipError_tPvRmT2_T3_mT4_T5_T6_T7_T8_P12ihipStream_tbENKUlT_T0_E_clISt17integral_constantIbLb1EES18_IbLb0EEEEDaS14_S15_EUlS14_E_NS1_11comp_targetILNS1_3genE2ELNS1_11target_archE906ELNS1_3gpuE6ELNS1_3repE0EEENS1_30default_config_static_selectorELNS0_4arch9wavefront6targetE1EEEvT1_: ; @_ZN7rocprim17ROCPRIM_400000_NS6detail17trampoline_kernelINS0_14default_configENS1_29reduce_by_key_config_selectorIllN6thrust23THRUST_200600_302600_NS4plusIlEEEEZZNS1_33reduce_by_key_impl_wrapped_configILNS1_25lookback_scan_determinismE0ES3_S9_NS6_18transform_iteratorI6div_opNS6_17counting_iteratorIlNS6_11use_defaultESF_SF_EESF_SF_EENSC_I6mod_opSG_SF_SF_EENS6_6detail15normal_iteratorINS6_10device_ptrIlEEEESO_PmS8_NS6_8equal_toIlEEEE10hipError_tPvRmT2_T3_mT4_T5_T6_T7_T8_P12ihipStream_tbENKUlT_T0_E_clISt17integral_constantIbLb1EES18_IbLb0EEEEDaS14_S15_EUlS14_E_NS1_11comp_targetILNS1_3genE2ELNS1_11target_archE906ELNS1_3gpuE6ELNS1_3repE0EEENS1_30default_config_static_selectorELNS0_4arch9wavefront6targetE1EEEvT1_
; %bb.0:
	.section	.rodata,"a",@progbits
	.p2align	6, 0x0
	.amdhsa_kernel _ZN7rocprim17ROCPRIM_400000_NS6detail17trampoline_kernelINS0_14default_configENS1_29reduce_by_key_config_selectorIllN6thrust23THRUST_200600_302600_NS4plusIlEEEEZZNS1_33reduce_by_key_impl_wrapped_configILNS1_25lookback_scan_determinismE0ES3_S9_NS6_18transform_iteratorI6div_opNS6_17counting_iteratorIlNS6_11use_defaultESF_SF_EESF_SF_EENSC_I6mod_opSG_SF_SF_EENS6_6detail15normal_iteratorINS6_10device_ptrIlEEEESO_PmS8_NS6_8equal_toIlEEEE10hipError_tPvRmT2_T3_mT4_T5_T6_T7_T8_P12ihipStream_tbENKUlT_T0_E_clISt17integral_constantIbLb1EES18_IbLb0EEEEDaS14_S15_EUlS14_E_NS1_11comp_targetILNS1_3genE2ELNS1_11target_archE906ELNS1_3gpuE6ELNS1_3repE0EEENS1_30default_config_static_selectorELNS0_4arch9wavefront6targetE1EEEvT1_
		.amdhsa_group_segment_fixed_size 0
		.amdhsa_private_segment_fixed_size 0
		.amdhsa_kernarg_size 152
		.amdhsa_user_sgpr_count 6
		.amdhsa_user_sgpr_private_segment_buffer 1
		.amdhsa_user_sgpr_dispatch_ptr 0
		.amdhsa_user_sgpr_queue_ptr 0
		.amdhsa_user_sgpr_kernarg_segment_ptr 1
		.amdhsa_user_sgpr_dispatch_id 0
		.amdhsa_user_sgpr_flat_scratch_init 0
		.amdhsa_user_sgpr_kernarg_preload_length 0
		.amdhsa_user_sgpr_kernarg_preload_offset 0
		.amdhsa_user_sgpr_private_segment_size 0
		.amdhsa_uses_dynamic_stack 0
		.amdhsa_system_sgpr_private_segment_wavefront_offset 0
		.amdhsa_system_sgpr_workgroup_id_x 1
		.amdhsa_system_sgpr_workgroup_id_y 0
		.amdhsa_system_sgpr_workgroup_id_z 0
		.amdhsa_system_sgpr_workgroup_info 0
		.amdhsa_system_vgpr_workitem_id 0
		.amdhsa_next_free_vgpr 1
		.amdhsa_next_free_sgpr 0
		.amdhsa_accum_offset 4
		.amdhsa_reserve_vcc 0
		.amdhsa_reserve_flat_scratch 0
		.amdhsa_float_round_mode_32 0
		.amdhsa_float_round_mode_16_64 0
		.amdhsa_float_denorm_mode_32 3
		.amdhsa_float_denorm_mode_16_64 3
		.amdhsa_dx10_clamp 1
		.amdhsa_ieee_mode 1
		.amdhsa_fp16_overflow 0
		.amdhsa_tg_split 0
		.amdhsa_exception_fp_ieee_invalid_op 0
		.amdhsa_exception_fp_denorm_src 0
		.amdhsa_exception_fp_ieee_div_zero 0
		.amdhsa_exception_fp_ieee_overflow 0
		.amdhsa_exception_fp_ieee_underflow 0
		.amdhsa_exception_fp_ieee_inexact 0
		.amdhsa_exception_int_div_zero 0
	.end_amdhsa_kernel
	.section	.text._ZN7rocprim17ROCPRIM_400000_NS6detail17trampoline_kernelINS0_14default_configENS1_29reduce_by_key_config_selectorIllN6thrust23THRUST_200600_302600_NS4plusIlEEEEZZNS1_33reduce_by_key_impl_wrapped_configILNS1_25lookback_scan_determinismE0ES3_S9_NS6_18transform_iteratorI6div_opNS6_17counting_iteratorIlNS6_11use_defaultESF_SF_EESF_SF_EENSC_I6mod_opSG_SF_SF_EENS6_6detail15normal_iteratorINS6_10device_ptrIlEEEESO_PmS8_NS6_8equal_toIlEEEE10hipError_tPvRmT2_T3_mT4_T5_T6_T7_T8_P12ihipStream_tbENKUlT_T0_E_clISt17integral_constantIbLb1EES18_IbLb0EEEEDaS14_S15_EUlS14_E_NS1_11comp_targetILNS1_3genE2ELNS1_11target_archE906ELNS1_3gpuE6ELNS1_3repE0EEENS1_30default_config_static_selectorELNS0_4arch9wavefront6targetE1EEEvT1_,"axG",@progbits,_ZN7rocprim17ROCPRIM_400000_NS6detail17trampoline_kernelINS0_14default_configENS1_29reduce_by_key_config_selectorIllN6thrust23THRUST_200600_302600_NS4plusIlEEEEZZNS1_33reduce_by_key_impl_wrapped_configILNS1_25lookback_scan_determinismE0ES3_S9_NS6_18transform_iteratorI6div_opNS6_17counting_iteratorIlNS6_11use_defaultESF_SF_EESF_SF_EENSC_I6mod_opSG_SF_SF_EENS6_6detail15normal_iteratorINS6_10device_ptrIlEEEESO_PmS8_NS6_8equal_toIlEEEE10hipError_tPvRmT2_T3_mT4_T5_T6_T7_T8_P12ihipStream_tbENKUlT_T0_E_clISt17integral_constantIbLb1EES18_IbLb0EEEEDaS14_S15_EUlS14_E_NS1_11comp_targetILNS1_3genE2ELNS1_11target_archE906ELNS1_3gpuE6ELNS1_3repE0EEENS1_30default_config_static_selectorELNS0_4arch9wavefront6targetE1EEEvT1_,comdat
.Lfunc_end1156:
	.size	_ZN7rocprim17ROCPRIM_400000_NS6detail17trampoline_kernelINS0_14default_configENS1_29reduce_by_key_config_selectorIllN6thrust23THRUST_200600_302600_NS4plusIlEEEEZZNS1_33reduce_by_key_impl_wrapped_configILNS1_25lookback_scan_determinismE0ES3_S9_NS6_18transform_iteratorI6div_opNS6_17counting_iteratorIlNS6_11use_defaultESF_SF_EESF_SF_EENSC_I6mod_opSG_SF_SF_EENS6_6detail15normal_iteratorINS6_10device_ptrIlEEEESO_PmS8_NS6_8equal_toIlEEEE10hipError_tPvRmT2_T3_mT4_T5_T6_T7_T8_P12ihipStream_tbENKUlT_T0_E_clISt17integral_constantIbLb1EES18_IbLb0EEEEDaS14_S15_EUlS14_E_NS1_11comp_targetILNS1_3genE2ELNS1_11target_archE906ELNS1_3gpuE6ELNS1_3repE0EEENS1_30default_config_static_selectorELNS0_4arch9wavefront6targetE1EEEvT1_, .Lfunc_end1156-_ZN7rocprim17ROCPRIM_400000_NS6detail17trampoline_kernelINS0_14default_configENS1_29reduce_by_key_config_selectorIllN6thrust23THRUST_200600_302600_NS4plusIlEEEEZZNS1_33reduce_by_key_impl_wrapped_configILNS1_25lookback_scan_determinismE0ES3_S9_NS6_18transform_iteratorI6div_opNS6_17counting_iteratorIlNS6_11use_defaultESF_SF_EESF_SF_EENSC_I6mod_opSG_SF_SF_EENS6_6detail15normal_iteratorINS6_10device_ptrIlEEEESO_PmS8_NS6_8equal_toIlEEEE10hipError_tPvRmT2_T3_mT4_T5_T6_T7_T8_P12ihipStream_tbENKUlT_T0_E_clISt17integral_constantIbLb1EES18_IbLb0EEEEDaS14_S15_EUlS14_E_NS1_11comp_targetILNS1_3genE2ELNS1_11target_archE906ELNS1_3gpuE6ELNS1_3repE0EEENS1_30default_config_static_selectorELNS0_4arch9wavefront6targetE1EEEvT1_
                                        ; -- End function
	.section	.AMDGPU.csdata,"",@progbits
; Kernel info:
; codeLenInByte = 0
; NumSgprs: 4
; NumVgprs: 0
; NumAgprs: 0
; TotalNumVgprs: 0
; ScratchSize: 0
; MemoryBound: 0
; FloatMode: 240
; IeeeMode: 1
; LDSByteSize: 0 bytes/workgroup (compile time only)
; SGPRBlocks: 0
; VGPRBlocks: 0
; NumSGPRsForWavesPerEU: 4
; NumVGPRsForWavesPerEU: 1
; AccumOffset: 4
; Occupancy: 8
; WaveLimiterHint : 0
; COMPUTE_PGM_RSRC2:SCRATCH_EN: 0
; COMPUTE_PGM_RSRC2:USER_SGPR: 6
; COMPUTE_PGM_RSRC2:TRAP_HANDLER: 0
; COMPUTE_PGM_RSRC2:TGID_X_EN: 1
; COMPUTE_PGM_RSRC2:TGID_Y_EN: 0
; COMPUTE_PGM_RSRC2:TGID_Z_EN: 0
; COMPUTE_PGM_RSRC2:TIDIG_COMP_CNT: 0
; COMPUTE_PGM_RSRC3_GFX90A:ACCUM_OFFSET: 0
; COMPUTE_PGM_RSRC3_GFX90A:TG_SPLIT: 0
	.section	.text._ZN7rocprim17ROCPRIM_400000_NS6detail17trampoline_kernelINS0_14default_configENS1_29reduce_by_key_config_selectorIllN6thrust23THRUST_200600_302600_NS4plusIlEEEEZZNS1_33reduce_by_key_impl_wrapped_configILNS1_25lookback_scan_determinismE0ES3_S9_NS6_18transform_iteratorI6div_opNS6_17counting_iteratorIlNS6_11use_defaultESF_SF_EESF_SF_EENSC_I6mod_opSG_SF_SF_EENS6_6detail15normal_iteratorINS6_10device_ptrIlEEEESO_PmS8_NS6_8equal_toIlEEEE10hipError_tPvRmT2_T3_mT4_T5_T6_T7_T8_P12ihipStream_tbENKUlT_T0_E_clISt17integral_constantIbLb1EES18_IbLb0EEEEDaS14_S15_EUlS14_E_NS1_11comp_targetILNS1_3genE10ELNS1_11target_archE1201ELNS1_3gpuE5ELNS1_3repE0EEENS1_30default_config_static_selectorELNS0_4arch9wavefront6targetE1EEEvT1_,"axG",@progbits,_ZN7rocprim17ROCPRIM_400000_NS6detail17trampoline_kernelINS0_14default_configENS1_29reduce_by_key_config_selectorIllN6thrust23THRUST_200600_302600_NS4plusIlEEEEZZNS1_33reduce_by_key_impl_wrapped_configILNS1_25lookback_scan_determinismE0ES3_S9_NS6_18transform_iteratorI6div_opNS6_17counting_iteratorIlNS6_11use_defaultESF_SF_EESF_SF_EENSC_I6mod_opSG_SF_SF_EENS6_6detail15normal_iteratorINS6_10device_ptrIlEEEESO_PmS8_NS6_8equal_toIlEEEE10hipError_tPvRmT2_T3_mT4_T5_T6_T7_T8_P12ihipStream_tbENKUlT_T0_E_clISt17integral_constantIbLb1EES18_IbLb0EEEEDaS14_S15_EUlS14_E_NS1_11comp_targetILNS1_3genE10ELNS1_11target_archE1201ELNS1_3gpuE5ELNS1_3repE0EEENS1_30default_config_static_selectorELNS0_4arch9wavefront6targetE1EEEvT1_,comdat
	.protected	_ZN7rocprim17ROCPRIM_400000_NS6detail17trampoline_kernelINS0_14default_configENS1_29reduce_by_key_config_selectorIllN6thrust23THRUST_200600_302600_NS4plusIlEEEEZZNS1_33reduce_by_key_impl_wrapped_configILNS1_25lookback_scan_determinismE0ES3_S9_NS6_18transform_iteratorI6div_opNS6_17counting_iteratorIlNS6_11use_defaultESF_SF_EESF_SF_EENSC_I6mod_opSG_SF_SF_EENS6_6detail15normal_iteratorINS6_10device_ptrIlEEEESO_PmS8_NS6_8equal_toIlEEEE10hipError_tPvRmT2_T3_mT4_T5_T6_T7_T8_P12ihipStream_tbENKUlT_T0_E_clISt17integral_constantIbLb1EES18_IbLb0EEEEDaS14_S15_EUlS14_E_NS1_11comp_targetILNS1_3genE10ELNS1_11target_archE1201ELNS1_3gpuE5ELNS1_3repE0EEENS1_30default_config_static_selectorELNS0_4arch9wavefront6targetE1EEEvT1_ ; -- Begin function _ZN7rocprim17ROCPRIM_400000_NS6detail17trampoline_kernelINS0_14default_configENS1_29reduce_by_key_config_selectorIllN6thrust23THRUST_200600_302600_NS4plusIlEEEEZZNS1_33reduce_by_key_impl_wrapped_configILNS1_25lookback_scan_determinismE0ES3_S9_NS6_18transform_iteratorI6div_opNS6_17counting_iteratorIlNS6_11use_defaultESF_SF_EESF_SF_EENSC_I6mod_opSG_SF_SF_EENS6_6detail15normal_iteratorINS6_10device_ptrIlEEEESO_PmS8_NS6_8equal_toIlEEEE10hipError_tPvRmT2_T3_mT4_T5_T6_T7_T8_P12ihipStream_tbENKUlT_T0_E_clISt17integral_constantIbLb1EES18_IbLb0EEEEDaS14_S15_EUlS14_E_NS1_11comp_targetILNS1_3genE10ELNS1_11target_archE1201ELNS1_3gpuE5ELNS1_3repE0EEENS1_30default_config_static_selectorELNS0_4arch9wavefront6targetE1EEEvT1_
	.globl	_ZN7rocprim17ROCPRIM_400000_NS6detail17trampoline_kernelINS0_14default_configENS1_29reduce_by_key_config_selectorIllN6thrust23THRUST_200600_302600_NS4plusIlEEEEZZNS1_33reduce_by_key_impl_wrapped_configILNS1_25lookback_scan_determinismE0ES3_S9_NS6_18transform_iteratorI6div_opNS6_17counting_iteratorIlNS6_11use_defaultESF_SF_EESF_SF_EENSC_I6mod_opSG_SF_SF_EENS6_6detail15normal_iteratorINS6_10device_ptrIlEEEESO_PmS8_NS6_8equal_toIlEEEE10hipError_tPvRmT2_T3_mT4_T5_T6_T7_T8_P12ihipStream_tbENKUlT_T0_E_clISt17integral_constantIbLb1EES18_IbLb0EEEEDaS14_S15_EUlS14_E_NS1_11comp_targetILNS1_3genE10ELNS1_11target_archE1201ELNS1_3gpuE5ELNS1_3repE0EEENS1_30default_config_static_selectorELNS0_4arch9wavefront6targetE1EEEvT1_
	.p2align	8
	.type	_ZN7rocprim17ROCPRIM_400000_NS6detail17trampoline_kernelINS0_14default_configENS1_29reduce_by_key_config_selectorIllN6thrust23THRUST_200600_302600_NS4plusIlEEEEZZNS1_33reduce_by_key_impl_wrapped_configILNS1_25lookback_scan_determinismE0ES3_S9_NS6_18transform_iteratorI6div_opNS6_17counting_iteratorIlNS6_11use_defaultESF_SF_EESF_SF_EENSC_I6mod_opSG_SF_SF_EENS6_6detail15normal_iteratorINS6_10device_ptrIlEEEESO_PmS8_NS6_8equal_toIlEEEE10hipError_tPvRmT2_T3_mT4_T5_T6_T7_T8_P12ihipStream_tbENKUlT_T0_E_clISt17integral_constantIbLb1EES18_IbLb0EEEEDaS14_S15_EUlS14_E_NS1_11comp_targetILNS1_3genE10ELNS1_11target_archE1201ELNS1_3gpuE5ELNS1_3repE0EEENS1_30default_config_static_selectorELNS0_4arch9wavefront6targetE1EEEvT1_,@function
_ZN7rocprim17ROCPRIM_400000_NS6detail17trampoline_kernelINS0_14default_configENS1_29reduce_by_key_config_selectorIllN6thrust23THRUST_200600_302600_NS4plusIlEEEEZZNS1_33reduce_by_key_impl_wrapped_configILNS1_25lookback_scan_determinismE0ES3_S9_NS6_18transform_iteratorI6div_opNS6_17counting_iteratorIlNS6_11use_defaultESF_SF_EESF_SF_EENSC_I6mod_opSG_SF_SF_EENS6_6detail15normal_iteratorINS6_10device_ptrIlEEEESO_PmS8_NS6_8equal_toIlEEEE10hipError_tPvRmT2_T3_mT4_T5_T6_T7_T8_P12ihipStream_tbENKUlT_T0_E_clISt17integral_constantIbLb1EES18_IbLb0EEEEDaS14_S15_EUlS14_E_NS1_11comp_targetILNS1_3genE10ELNS1_11target_archE1201ELNS1_3gpuE5ELNS1_3repE0EEENS1_30default_config_static_selectorELNS0_4arch9wavefront6targetE1EEEvT1_: ; @_ZN7rocprim17ROCPRIM_400000_NS6detail17trampoline_kernelINS0_14default_configENS1_29reduce_by_key_config_selectorIllN6thrust23THRUST_200600_302600_NS4plusIlEEEEZZNS1_33reduce_by_key_impl_wrapped_configILNS1_25lookback_scan_determinismE0ES3_S9_NS6_18transform_iteratorI6div_opNS6_17counting_iteratorIlNS6_11use_defaultESF_SF_EESF_SF_EENSC_I6mod_opSG_SF_SF_EENS6_6detail15normal_iteratorINS6_10device_ptrIlEEEESO_PmS8_NS6_8equal_toIlEEEE10hipError_tPvRmT2_T3_mT4_T5_T6_T7_T8_P12ihipStream_tbENKUlT_T0_E_clISt17integral_constantIbLb1EES18_IbLb0EEEEDaS14_S15_EUlS14_E_NS1_11comp_targetILNS1_3genE10ELNS1_11target_archE1201ELNS1_3gpuE5ELNS1_3repE0EEENS1_30default_config_static_selectorELNS0_4arch9wavefront6targetE1EEEvT1_
; %bb.0:
	.section	.rodata,"a",@progbits
	.p2align	6, 0x0
	.amdhsa_kernel _ZN7rocprim17ROCPRIM_400000_NS6detail17trampoline_kernelINS0_14default_configENS1_29reduce_by_key_config_selectorIllN6thrust23THRUST_200600_302600_NS4plusIlEEEEZZNS1_33reduce_by_key_impl_wrapped_configILNS1_25lookback_scan_determinismE0ES3_S9_NS6_18transform_iteratorI6div_opNS6_17counting_iteratorIlNS6_11use_defaultESF_SF_EESF_SF_EENSC_I6mod_opSG_SF_SF_EENS6_6detail15normal_iteratorINS6_10device_ptrIlEEEESO_PmS8_NS6_8equal_toIlEEEE10hipError_tPvRmT2_T3_mT4_T5_T6_T7_T8_P12ihipStream_tbENKUlT_T0_E_clISt17integral_constantIbLb1EES18_IbLb0EEEEDaS14_S15_EUlS14_E_NS1_11comp_targetILNS1_3genE10ELNS1_11target_archE1201ELNS1_3gpuE5ELNS1_3repE0EEENS1_30default_config_static_selectorELNS0_4arch9wavefront6targetE1EEEvT1_
		.amdhsa_group_segment_fixed_size 0
		.amdhsa_private_segment_fixed_size 0
		.amdhsa_kernarg_size 152
		.amdhsa_user_sgpr_count 6
		.amdhsa_user_sgpr_private_segment_buffer 1
		.amdhsa_user_sgpr_dispatch_ptr 0
		.amdhsa_user_sgpr_queue_ptr 0
		.amdhsa_user_sgpr_kernarg_segment_ptr 1
		.amdhsa_user_sgpr_dispatch_id 0
		.amdhsa_user_sgpr_flat_scratch_init 0
		.amdhsa_user_sgpr_kernarg_preload_length 0
		.amdhsa_user_sgpr_kernarg_preload_offset 0
		.amdhsa_user_sgpr_private_segment_size 0
		.amdhsa_uses_dynamic_stack 0
		.amdhsa_system_sgpr_private_segment_wavefront_offset 0
		.amdhsa_system_sgpr_workgroup_id_x 1
		.amdhsa_system_sgpr_workgroup_id_y 0
		.amdhsa_system_sgpr_workgroup_id_z 0
		.amdhsa_system_sgpr_workgroup_info 0
		.amdhsa_system_vgpr_workitem_id 0
		.amdhsa_next_free_vgpr 1
		.amdhsa_next_free_sgpr 0
		.amdhsa_accum_offset 4
		.amdhsa_reserve_vcc 0
		.amdhsa_reserve_flat_scratch 0
		.amdhsa_float_round_mode_32 0
		.amdhsa_float_round_mode_16_64 0
		.amdhsa_float_denorm_mode_32 3
		.amdhsa_float_denorm_mode_16_64 3
		.amdhsa_dx10_clamp 1
		.amdhsa_ieee_mode 1
		.amdhsa_fp16_overflow 0
		.amdhsa_tg_split 0
		.amdhsa_exception_fp_ieee_invalid_op 0
		.amdhsa_exception_fp_denorm_src 0
		.amdhsa_exception_fp_ieee_div_zero 0
		.amdhsa_exception_fp_ieee_overflow 0
		.amdhsa_exception_fp_ieee_underflow 0
		.amdhsa_exception_fp_ieee_inexact 0
		.amdhsa_exception_int_div_zero 0
	.end_amdhsa_kernel
	.section	.text._ZN7rocprim17ROCPRIM_400000_NS6detail17trampoline_kernelINS0_14default_configENS1_29reduce_by_key_config_selectorIllN6thrust23THRUST_200600_302600_NS4plusIlEEEEZZNS1_33reduce_by_key_impl_wrapped_configILNS1_25lookback_scan_determinismE0ES3_S9_NS6_18transform_iteratorI6div_opNS6_17counting_iteratorIlNS6_11use_defaultESF_SF_EESF_SF_EENSC_I6mod_opSG_SF_SF_EENS6_6detail15normal_iteratorINS6_10device_ptrIlEEEESO_PmS8_NS6_8equal_toIlEEEE10hipError_tPvRmT2_T3_mT4_T5_T6_T7_T8_P12ihipStream_tbENKUlT_T0_E_clISt17integral_constantIbLb1EES18_IbLb0EEEEDaS14_S15_EUlS14_E_NS1_11comp_targetILNS1_3genE10ELNS1_11target_archE1201ELNS1_3gpuE5ELNS1_3repE0EEENS1_30default_config_static_selectorELNS0_4arch9wavefront6targetE1EEEvT1_,"axG",@progbits,_ZN7rocprim17ROCPRIM_400000_NS6detail17trampoline_kernelINS0_14default_configENS1_29reduce_by_key_config_selectorIllN6thrust23THRUST_200600_302600_NS4plusIlEEEEZZNS1_33reduce_by_key_impl_wrapped_configILNS1_25lookback_scan_determinismE0ES3_S9_NS6_18transform_iteratorI6div_opNS6_17counting_iteratorIlNS6_11use_defaultESF_SF_EESF_SF_EENSC_I6mod_opSG_SF_SF_EENS6_6detail15normal_iteratorINS6_10device_ptrIlEEEESO_PmS8_NS6_8equal_toIlEEEE10hipError_tPvRmT2_T3_mT4_T5_T6_T7_T8_P12ihipStream_tbENKUlT_T0_E_clISt17integral_constantIbLb1EES18_IbLb0EEEEDaS14_S15_EUlS14_E_NS1_11comp_targetILNS1_3genE10ELNS1_11target_archE1201ELNS1_3gpuE5ELNS1_3repE0EEENS1_30default_config_static_selectorELNS0_4arch9wavefront6targetE1EEEvT1_,comdat
.Lfunc_end1157:
	.size	_ZN7rocprim17ROCPRIM_400000_NS6detail17trampoline_kernelINS0_14default_configENS1_29reduce_by_key_config_selectorIllN6thrust23THRUST_200600_302600_NS4plusIlEEEEZZNS1_33reduce_by_key_impl_wrapped_configILNS1_25lookback_scan_determinismE0ES3_S9_NS6_18transform_iteratorI6div_opNS6_17counting_iteratorIlNS6_11use_defaultESF_SF_EESF_SF_EENSC_I6mod_opSG_SF_SF_EENS6_6detail15normal_iteratorINS6_10device_ptrIlEEEESO_PmS8_NS6_8equal_toIlEEEE10hipError_tPvRmT2_T3_mT4_T5_T6_T7_T8_P12ihipStream_tbENKUlT_T0_E_clISt17integral_constantIbLb1EES18_IbLb0EEEEDaS14_S15_EUlS14_E_NS1_11comp_targetILNS1_3genE10ELNS1_11target_archE1201ELNS1_3gpuE5ELNS1_3repE0EEENS1_30default_config_static_selectorELNS0_4arch9wavefront6targetE1EEEvT1_, .Lfunc_end1157-_ZN7rocprim17ROCPRIM_400000_NS6detail17trampoline_kernelINS0_14default_configENS1_29reduce_by_key_config_selectorIllN6thrust23THRUST_200600_302600_NS4plusIlEEEEZZNS1_33reduce_by_key_impl_wrapped_configILNS1_25lookback_scan_determinismE0ES3_S9_NS6_18transform_iteratorI6div_opNS6_17counting_iteratorIlNS6_11use_defaultESF_SF_EESF_SF_EENSC_I6mod_opSG_SF_SF_EENS6_6detail15normal_iteratorINS6_10device_ptrIlEEEESO_PmS8_NS6_8equal_toIlEEEE10hipError_tPvRmT2_T3_mT4_T5_T6_T7_T8_P12ihipStream_tbENKUlT_T0_E_clISt17integral_constantIbLb1EES18_IbLb0EEEEDaS14_S15_EUlS14_E_NS1_11comp_targetILNS1_3genE10ELNS1_11target_archE1201ELNS1_3gpuE5ELNS1_3repE0EEENS1_30default_config_static_selectorELNS0_4arch9wavefront6targetE1EEEvT1_
                                        ; -- End function
	.section	.AMDGPU.csdata,"",@progbits
; Kernel info:
; codeLenInByte = 0
; NumSgprs: 4
; NumVgprs: 0
; NumAgprs: 0
; TotalNumVgprs: 0
; ScratchSize: 0
; MemoryBound: 0
; FloatMode: 240
; IeeeMode: 1
; LDSByteSize: 0 bytes/workgroup (compile time only)
; SGPRBlocks: 0
; VGPRBlocks: 0
; NumSGPRsForWavesPerEU: 4
; NumVGPRsForWavesPerEU: 1
; AccumOffset: 4
; Occupancy: 8
; WaveLimiterHint : 0
; COMPUTE_PGM_RSRC2:SCRATCH_EN: 0
; COMPUTE_PGM_RSRC2:USER_SGPR: 6
; COMPUTE_PGM_RSRC2:TRAP_HANDLER: 0
; COMPUTE_PGM_RSRC2:TGID_X_EN: 1
; COMPUTE_PGM_RSRC2:TGID_Y_EN: 0
; COMPUTE_PGM_RSRC2:TGID_Z_EN: 0
; COMPUTE_PGM_RSRC2:TIDIG_COMP_CNT: 0
; COMPUTE_PGM_RSRC3_GFX90A:ACCUM_OFFSET: 0
; COMPUTE_PGM_RSRC3_GFX90A:TG_SPLIT: 0
	.section	.text._ZN7rocprim17ROCPRIM_400000_NS6detail17trampoline_kernelINS0_14default_configENS1_29reduce_by_key_config_selectorIllN6thrust23THRUST_200600_302600_NS4plusIlEEEEZZNS1_33reduce_by_key_impl_wrapped_configILNS1_25lookback_scan_determinismE0ES3_S9_NS6_18transform_iteratorI6div_opNS6_17counting_iteratorIlNS6_11use_defaultESF_SF_EESF_SF_EENSC_I6mod_opSG_SF_SF_EENS6_6detail15normal_iteratorINS6_10device_ptrIlEEEESO_PmS8_NS6_8equal_toIlEEEE10hipError_tPvRmT2_T3_mT4_T5_T6_T7_T8_P12ihipStream_tbENKUlT_T0_E_clISt17integral_constantIbLb1EES18_IbLb0EEEEDaS14_S15_EUlS14_E_NS1_11comp_targetILNS1_3genE10ELNS1_11target_archE1200ELNS1_3gpuE4ELNS1_3repE0EEENS1_30default_config_static_selectorELNS0_4arch9wavefront6targetE1EEEvT1_,"axG",@progbits,_ZN7rocprim17ROCPRIM_400000_NS6detail17trampoline_kernelINS0_14default_configENS1_29reduce_by_key_config_selectorIllN6thrust23THRUST_200600_302600_NS4plusIlEEEEZZNS1_33reduce_by_key_impl_wrapped_configILNS1_25lookback_scan_determinismE0ES3_S9_NS6_18transform_iteratorI6div_opNS6_17counting_iteratorIlNS6_11use_defaultESF_SF_EESF_SF_EENSC_I6mod_opSG_SF_SF_EENS6_6detail15normal_iteratorINS6_10device_ptrIlEEEESO_PmS8_NS6_8equal_toIlEEEE10hipError_tPvRmT2_T3_mT4_T5_T6_T7_T8_P12ihipStream_tbENKUlT_T0_E_clISt17integral_constantIbLb1EES18_IbLb0EEEEDaS14_S15_EUlS14_E_NS1_11comp_targetILNS1_3genE10ELNS1_11target_archE1200ELNS1_3gpuE4ELNS1_3repE0EEENS1_30default_config_static_selectorELNS0_4arch9wavefront6targetE1EEEvT1_,comdat
	.protected	_ZN7rocprim17ROCPRIM_400000_NS6detail17trampoline_kernelINS0_14default_configENS1_29reduce_by_key_config_selectorIllN6thrust23THRUST_200600_302600_NS4plusIlEEEEZZNS1_33reduce_by_key_impl_wrapped_configILNS1_25lookback_scan_determinismE0ES3_S9_NS6_18transform_iteratorI6div_opNS6_17counting_iteratorIlNS6_11use_defaultESF_SF_EESF_SF_EENSC_I6mod_opSG_SF_SF_EENS6_6detail15normal_iteratorINS6_10device_ptrIlEEEESO_PmS8_NS6_8equal_toIlEEEE10hipError_tPvRmT2_T3_mT4_T5_T6_T7_T8_P12ihipStream_tbENKUlT_T0_E_clISt17integral_constantIbLb1EES18_IbLb0EEEEDaS14_S15_EUlS14_E_NS1_11comp_targetILNS1_3genE10ELNS1_11target_archE1200ELNS1_3gpuE4ELNS1_3repE0EEENS1_30default_config_static_selectorELNS0_4arch9wavefront6targetE1EEEvT1_ ; -- Begin function _ZN7rocprim17ROCPRIM_400000_NS6detail17trampoline_kernelINS0_14default_configENS1_29reduce_by_key_config_selectorIllN6thrust23THRUST_200600_302600_NS4plusIlEEEEZZNS1_33reduce_by_key_impl_wrapped_configILNS1_25lookback_scan_determinismE0ES3_S9_NS6_18transform_iteratorI6div_opNS6_17counting_iteratorIlNS6_11use_defaultESF_SF_EESF_SF_EENSC_I6mod_opSG_SF_SF_EENS6_6detail15normal_iteratorINS6_10device_ptrIlEEEESO_PmS8_NS6_8equal_toIlEEEE10hipError_tPvRmT2_T3_mT4_T5_T6_T7_T8_P12ihipStream_tbENKUlT_T0_E_clISt17integral_constantIbLb1EES18_IbLb0EEEEDaS14_S15_EUlS14_E_NS1_11comp_targetILNS1_3genE10ELNS1_11target_archE1200ELNS1_3gpuE4ELNS1_3repE0EEENS1_30default_config_static_selectorELNS0_4arch9wavefront6targetE1EEEvT1_
	.globl	_ZN7rocprim17ROCPRIM_400000_NS6detail17trampoline_kernelINS0_14default_configENS1_29reduce_by_key_config_selectorIllN6thrust23THRUST_200600_302600_NS4plusIlEEEEZZNS1_33reduce_by_key_impl_wrapped_configILNS1_25lookback_scan_determinismE0ES3_S9_NS6_18transform_iteratorI6div_opNS6_17counting_iteratorIlNS6_11use_defaultESF_SF_EESF_SF_EENSC_I6mod_opSG_SF_SF_EENS6_6detail15normal_iteratorINS6_10device_ptrIlEEEESO_PmS8_NS6_8equal_toIlEEEE10hipError_tPvRmT2_T3_mT4_T5_T6_T7_T8_P12ihipStream_tbENKUlT_T0_E_clISt17integral_constantIbLb1EES18_IbLb0EEEEDaS14_S15_EUlS14_E_NS1_11comp_targetILNS1_3genE10ELNS1_11target_archE1200ELNS1_3gpuE4ELNS1_3repE0EEENS1_30default_config_static_selectorELNS0_4arch9wavefront6targetE1EEEvT1_
	.p2align	8
	.type	_ZN7rocprim17ROCPRIM_400000_NS6detail17trampoline_kernelINS0_14default_configENS1_29reduce_by_key_config_selectorIllN6thrust23THRUST_200600_302600_NS4plusIlEEEEZZNS1_33reduce_by_key_impl_wrapped_configILNS1_25lookback_scan_determinismE0ES3_S9_NS6_18transform_iteratorI6div_opNS6_17counting_iteratorIlNS6_11use_defaultESF_SF_EESF_SF_EENSC_I6mod_opSG_SF_SF_EENS6_6detail15normal_iteratorINS6_10device_ptrIlEEEESO_PmS8_NS6_8equal_toIlEEEE10hipError_tPvRmT2_T3_mT4_T5_T6_T7_T8_P12ihipStream_tbENKUlT_T0_E_clISt17integral_constantIbLb1EES18_IbLb0EEEEDaS14_S15_EUlS14_E_NS1_11comp_targetILNS1_3genE10ELNS1_11target_archE1200ELNS1_3gpuE4ELNS1_3repE0EEENS1_30default_config_static_selectorELNS0_4arch9wavefront6targetE1EEEvT1_,@function
_ZN7rocprim17ROCPRIM_400000_NS6detail17trampoline_kernelINS0_14default_configENS1_29reduce_by_key_config_selectorIllN6thrust23THRUST_200600_302600_NS4plusIlEEEEZZNS1_33reduce_by_key_impl_wrapped_configILNS1_25lookback_scan_determinismE0ES3_S9_NS6_18transform_iteratorI6div_opNS6_17counting_iteratorIlNS6_11use_defaultESF_SF_EESF_SF_EENSC_I6mod_opSG_SF_SF_EENS6_6detail15normal_iteratorINS6_10device_ptrIlEEEESO_PmS8_NS6_8equal_toIlEEEE10hipError_tPvRmT2_T3_mT4_T5_T6_T7_T8_P12ihipStream_tbENKUlT_T0_E_clISt17integral_constantIbLb1EES18_IbLb0EEEEDaS14_S15_EUlS14_E_NS1_11comp_targetILNS1_3genE10ELNS1_11target_archE1200ELNS1_3gpuE4ELNS1_3repE0EEENS1_30default_config_static_selectorELNS0_4arch9wavefront6targetE1EEEvT1_: ; @_ZN7rocprim17ROCPRIM_400000_NS6detail17trampoline_kernelINS0_14default_configENS1_29reduce_by_key_config_selectorIllN6thrust23THRUST_200600_302600_NS4plusIlEEEEZZNS1_33reduce_by_key_impl_wrapped_configILNS1_25lookback_scan_determinismE0ES3_S9_NS6_18transform_iteratorI6div_opNS6_17counting_iteratorIlNS6_11use_defaultESF_SF_EESF_SF_EENSC_I6mod_opSG_SF_SF_EENS6_6detail15normal_iteratorINS6_10device_ptrIlEEEESO_PmS8_NS6_8equal_toIlEEEE10hipError_tPvRmT2_T3_mT4_T5_T6_T7_T8_P12ihipStream_tbENKUlT_T0_E_clISt17integral_constantIbLb1EES18_IbLb0EEEEDaS14_S15_EUlS14_E_NS1_11comp_targetILNS1_3genE10ELNS1_11target_archE1200ELNS1_3gpuE4ELNS1_3repE0EEENS1_30default_config_static_selectorELNS0_4arch9wavefront6targetE1EEEvT1_
; %bb.0:
	.section	.rodata,"a",@progbits
	.p2align	6, 0x0
	.amdhsa_kernel _ZN7rocprim17ROCPRIM_400000_NS6detail17trampoline_kernelINS0_14default_configENS1_29reduce_by_key_config_selectorIllN6thrust23THRUST_200600_302600_NS4plusIlEEEEZZNS1_33reduce_by_key_impl_wrapped_configILNS1_25lookback_scan_determinismE0ES3_S9_NS6_18transform_iteratorI6div_opNS6_17counting_iteratorIlNS6_11use_defaultESF_SF_EESF_SF_EENSC_I6mod_opSG_SF_SF_EENS6_6detail15normal_iteratorINS6_10device_ptrIlEEEESO_PmS8_NS6_8equal_toIlEEEE10hipError_tPvRmT2_T3_mT4_T5_T6_T7_T8_P12ihipStream_tbENKUlT_T0_E_clISt17integral_constantIbLb1EES18_IbLb0EEEEDaS14_S15_EUlS14_E_NS1_11comp_targetILNS1_3genE10ELNS1_11target_archE1200ELNS1_3gpuE4ELNS1_3repE0EEENS1_30default_config_static_selectorELNS0_4arch9wavefront6targetE1EEEvT1_
		.amdhsa_group_segment_fixed_size 0
		.amdhsa_private_segment_fixed_size 0
		.amdhsa_kernarg_size 152
		.amdhsa_user_sgpr_count 6
		.amdhsa_user_sgpr_private_segment_buffer 1
		.amdhsa_user_sgpr_dispatch_ptr 0
		.amdhsa_user_sgpr_queue_ptr 0
		.amdhsa_user_sgpr_kernarg_segment_ptr 1
		.amdhsa_user_sgpr_dispatch_id 0
		.amdhsa_user_sgpr_flat_scratch_init 0
		.amdhsa_user_sgpr_kernarg_preload_length 0
		.amdhsa_user_sgpr_kernarg_preload_offset 0
		.amdhsa_user_sgpr_private_segment_size 0
		.amdhsa_uses_dynamic_stack 0
		.amdhsa_system_sgpr_private_segment_wavefront_offset 0
		.amdhsa_system_sgpr_workgroup_id_x 1
		.amdhsa_system_sgpr_workgroup_id_y 0
		.amdhsa_system_sgpr_workgroup_id_z 0
		.amdhsa_system_sgpr_workgroup_info 0
		.amdhsa_system_vgpr_workitem_id 0
		.amdhsa_next_free_vgpr 1
		.amdhsa_next_free_sgpr 0
		.amdhsa_accum_offset 4
		.amdhsa_reserve_vcc 0
		.amdhsa_reserve_flat_scratch 0
		.amdhsa_float_round_mode_32 0
		.amdhsa_float_round_mode_16_64 0
		.amdhsa_float_denorm_mode_32 3
		.amdhsa_float_denorm_mode_16_64 3
		.amdhsa_dx10_clamp 1
		.amdhsa_ieee_mode 1
		.amdhsa_fp16_overflow 0
		.amdhsa_tg_split 0
		.amdhsa_exception_fp_ieee_invalid_op 0
		.amdhsa_exception_fp_denorm_src 0
		.amdhsa_exception_fp_ieee_div_zero 0
		.amdhsa_exception_fp_ieee_overflow 0
		.amdhsa_exception_fp_ieee_underflow 0
		.amdhsa_exception_fp_ieee_inexact 0
		.amdhsa_exception_int_div_zero 0
	.end_amdhsa_kernel
	.section	.text._ZN7rocprim17ROCPRIM_400000_NS6detail17trampoline_kernelINS0_14default_configENS1_29reduce_by_key_config_selectorIllN6thrust23THRUST_200600_302600_NS4plusIlEEEEZZNS1_33reduce_by_key_impl_wrapped_configILNS1_25lookback_scan_determinismE0ES3_S9_NS6_18transform_iteratorI6div_opNS6_17counting_iteratorIlNS6_11use_defaultESF_SF_EESF_SF_EENSC_I6mod_opSG_SF_SF_EENS6_6detail15normal_iteratorINS6_10device_ptrIlEEEESO_PmS8_NS6_8equal_toIlEEEE10hipError_tPvRmT2_T3_mT4_T5_T6_T7_T8_P12ihipStream_tbENKUlT_T0_E_clISt17integral_constantIbLb1EES18_IbLb0EEEEDaS14_S15_EUlS14_E_NS1_11comp_targetILNS1_3genE10ELNS1_11target_archE1200ELNS1_3gpuE4ELNS1_3repE0EEENS1_30default_config_static_selectorELNS0_4arch9wavefront6targetE1EEEvT1_,"axG",@progbits,_ZN7rocprim17ROCPRIM_400000_NS6detail17trampoline_kernelINS0_14default_configENS1_29reduce_by_key_config_selectorIllN6thrust23THRUST_200600_302600_NS4plusIlEEEEZZNS1_33reduce_by_key_impl_wrapped_configILNS1_25lookback_scan_determinismE0ES3_S9_NS6_18transform_iteratorI6div_opNS6_17counting_iteratorIlNS6_11use_defaultESF_SF_EESF_SF_EENSC_I6mod_opSG_SF_SF_EENS6_6detail15normal_iteratorINS6_10device_ptrIlEEEESO_PmS8_NS6_8equal_toIlEEEE10hipError_tPvRmT2_T3_mT4_T5_T6_T7_T8_P12ihipStream_tbENKUlT_T0_E_clISt17integral_constantIbLb1EES18_IbLb0EEEEDaS14_S15_EUlS14_E_NS1_11comp_targetILNS1_3genE10ELNS1_11target_archE1200ELNS1_3gpuE4ELNS1_3repE0EEENS1_30default_config_static_selectorELNS0_4arch9wavefront6targetE1EEEvT1_,comdat
.Lfunc_end1158:
	.size	_ZN7rocprim17ROCPRIM_400000_NS6detail17trampoline_kernelINS0_14default_configENS1_29reduce_by_key_config_selectorIllN6thrust23THRUST_200600_302600_NS4plusIlEEEEZZNS1_33reduce_by_key_impl_wrapped_configILNS1_25lookback_scan_determinismE0ES3_S9_NS6_18transform_iteratorI6div_opNS6_17counting_iteratorIlNS6_11use_defaultESF_SF_EESF_SF_EENSC_I6mod_opSG_SF_SF_EENS6_6detail15normal_iteratorINS6_10device_ptrIlEEEESO_PmS8_NS6_8equal_toIlEEEE10hipError_tPvRmT2_T3_mT4_T5_T6_T7_T8_P12ihipStream_tbENKUlT_T0_E_clISt17integral_constantIbLb1EES18_IbLb0EEEEDaS14_S15_EUlS14_E_NS1_11comp_targetILNS1_3genE10ELNS1_11target_archE1200ELNS1_3gpuE4ELNS1_3repE0EEENS1_30default_config_static_selectorELNS0_4arch9wavefront6targetE1EEEvT1_, .Lfunc_end1158-_ZN7rocprim17ROCPRIM_400000_NS6detail17trampoline_kernelINS0_14default_configENS1_29reduce_by_key_config_selectorIllN6thrust23THRUST_200600_302600_NS4plusIlEEEEZZNS1_33reduce_by_key_impl_wrapped_configILNS1_25lookback_scan_determinismE0ES3_S9_NS6_18transform_iteratorI6div_opNS6_17counting_iteratorIlNS6_11use_defaultESF_SF_EESF_SF_EENSC_I6mod_opSG_SF_SF_EENS6_6detail15normal_iteratorINS6_10device_ptrIlEEEESO_PmS8_NS6_8equal_toIlEEEE10hipError_tPvRmT2_T3_mT4_T5_T6_T7_T8_P12ihipStream_tbENKUlT_T0_E_clISt17integral_constantIbLb1EES18_IbLb0EEEEDaS14_S15_EUlS14_E_NS1_11comp_targetILNS1_3genE10ELNS1_11target_archE1200ELNS1_3gpuE4ELNS1_3repE0EEENS1_30default_config_static_selectorELNS0_4arch9wavefront6targetE1EEEvT1_
                                        ; -- End function
	.section	.AMDGPU.csdata,"",@progbits
; Kernel info:
; codeLenInByte = 0
; NumSgprs: 4
; NumVgprs: 0
; NumAgprs: 0
; TotalNumVgprs: 0
; ScratchSize: 0
; MemoryBound: 0
; FloatMode: 240
; IeeeMode: 1
; LDSByteSize: 0 bytes/workgroup (compile time only)
; SGPRBlocks: 0
; VGPRBlocks: 0
; NumSGPRsForWavesPerEU: 4
; NumVGPRsForWavesPerEU: 1
; AccumOffset: 4
; Occupancy: 8
; WaveLimiterHint : 0
; COMPUTE_PGM_RSRC2:SCRATCH_EN: 0
; COMPUTE_PGM_RSRC2:USER_SGPR: 6
; COMPUTE_PGM_RSRC2:TRAP_HANDLER: 0
; COMPUTE_PGM_RSRC2:TGID_X_EN: 1
; COMPUTE_PGM_RSRC2:TGID_Y_EN: 0
; COMPUTE_PGM_RSRC2:TGID_Z_EN: 0
; COMPUTE_PGM_RSRC2:TIDIG_COMP_CNT: 0
; COMPUTE_PGM_RSRC3_GFX90A:ACCUM_OFFSET: 0
; COMPUTE_PGM_RSRC3_GFX90A:TG_SPLIT: 0
	.section	.text._ZN7rocprim17ROCPRIM_400000_NS6detail17trampoline_kernelINS0_14default_configENS1_29reduce_by_key_config_selectorIllN6thrust23THRUST_200600_302600_NS4plusIlEEEEZZNS1_33reduce_by_key_impl_wrapped_configILNS1_25lookback_scan_determinismE0ES3_S9_NS6_18transform_iteratorI6div_opNS6_17counting_iteratorIlNS6_11use_defaultESF_SF_EESF_SF_EENSC_I6mod_opSG_SF_SF_EENS6_6detail15normal_iteratorINS6_10device_ptrIlEEEESO_PmS8_NS6_8equal_toIlEEEE10hipError_tPvRmT2_T3_mT4_T5_T6_T7_T8_P12ihipStream_tbENKUlT_T0_E_clISt17integral_constantIbLb1EES18_IbLb0EEEEDaS14_S15_EUlS14_E_NS1_11comp_targetILNS1_3genE9ELNS1_11target_archE1100ELNS1_3gpuE3ELNS1_3repE0EEENS1_30default_config_static_selectorELNS0_4arch9wavefront6targetE1EEEvT1_,"axG",@progbits,_ZN7rocprim17ROCPRIM_400000_NS6detail17trampoline_kernelINS0_14default_configENS1_29reduce_by_key_config_selectorIllN6thrust23THRUST_200600_302600_NS4plusIlEEEEZZNS1_33reduce_by_key_impl_wrapped_configILNS1_25lookback_scan_determinismE0ES3_S9_NS6_18transform_iteratorI6div_opNS6_17counting_iteratorIlNS6_11use_defaultESF_SF_EESF_SF_EENSC_I6mod_opSG_SF_SF_EENS6_6detail15normal_iteratorINS6_10device_ptrIlEEEESO_PmS8_NS6_8equal_toIlEEEE10hipError_tPvRmT2_T3_mT4_T5_T6_T7_T8_P12ihipStream_tbENKUlT_T0_E_clISt17integral_constantIbLb1EES18_IbLb0EEEEDaS14_S15_EUlS14_E_NS1_11comp_targetILNS1_3genE9ELNS1_11target_archE1100ELNS1_3gpuE3ELNS1_3repE0EEENS1_30default_config_static_selectorELNS0_4arch9wavefront6targetE1EEEvT1_,comdat
	.protected	_ZN7rocprim17ROCPRIM_400000_NS6detail17trampoline_kernelINS0_14default_configENS1_29reduce_by_key_config_selectorIllN6thrust23THRUST_200600_302600_NS4plusIlEEEEZZNS1_33reduce_by_key_impl_wrapped_configILNS1_25lookback_scan_determinismE0ES3_S9_NS6_18transform_iteratorI6div_opNS6_17counting_iteratorIlNS6_11use_defaultESF_SF_EESF_SF_EENSC_I6mod_opSG_SF_SF_EENS6_6detail15normal_iteratorINS6_10device_ptrIlEEEESO_PmS8_NS6_8equal_toIlEEEE10hipError_tPvRmT2_T3_mT4_T5_T6_T7_T8_P12ihipStream_tbENKUlT_T0_E_clISt17integral_constantIbLb1EES18_IbLb0EEEEDaS14_S15_EUlS14_E_NS1_11comp_targetILNS1_3genE9ELNS1_11target_archE1100ELNS1_3gpuE3ELNS1_3repE0EEENS1_30default_config_static_selectorELNS0_4arch9wavefront6targetE1EEEvT1_ ; -- Begin function _ZN7rocprim17ROCPRIM_400000_NS6detail17trampoline_kernelINS0_14default_configENS1_29reduce_by_key_config_selectorIllN6thrust23THRUST_200600_302600_NS4plusIlEEEEZZNS1_33reduce_by_key_impl_wrapped_configILNS1_25lookback_scan_determinismE0ES3_S9_NS6_18transform_iteratorI6div_opNS6_17counting_iteratorIlNS6_11use_defaultESF_SF_EESF_SF_EENSC_I6mod_opSG_SF_SF_EENS6_6detail15normal_iteratorINS6_10device_ptrIlEEEESO_PmS8_NS6_8equal_toIlEEEE10hipError_tPvRmT2_T3_mT4_T5_T6_T7_T8_P12ihipStream_tbENKUlT_T0_E_clISt17integral_constantIbLb1EES18_IbLb0EEEEDaS14_S15_EUlS14_E_NS1_11comp_targetILNS1_3genE9ELNS1_11target_archE1100ELNS1_3gpuE3ELNS1_3repE0EEENS1_30default_config_static_selectorELNS0_4arch9wavefront6targetE1EEEvT1_
	.globl	_ZN7rocprim17ROCPRIM_400000_NS6detail17trampoline_kernelINS0_14default_configENS1_29reduce_by_key_config_selectorIllN6thrust23THRUST_200600_302600_NS4plusIlEEEEZZNS1_33reduce_by_key_impl_wrapped_configILNS1_25lookback_scan_determinismE0ES3_S9_NS6_18transform_iteratorI6div_opNS6_17counting_iteratorIlNS6_11use_defaultESF_SF_EESF_SF_EENSC_I6mod_opSG_SF_SF_EENS6_6detail15normal_iteratorINS6_10device_ptrIlEEEESO_PmS8_NS6_8equal_toIlEEEE10hipError_tPvRmT2_T3_mT4_T5_T6_T7_T8_P12ihipStream_tbENKUlT_T0_E_clISt17integral_constantIbLb1EES18_IbLb0EEEEDaS14_S15_EUlS14_E_NS1_11comp_targetILNS1_3genE9ELNS1_11target_archE1100ELNS1_3gpuE3ELNS1_3repE0EEENS1_30default_config_static_selectorELNS0_4arch9wavefront6targetE1EEEvT1_
	.p2align	8
	.type	_ZN7rocprim17ROCPRIM_400000_NS6detail17trampoline_kernelINS0_14default_configENS1_29reduce_by_key_config_selectorIllN6thrust23THRUST_200600_302600_NS4plusIlEEEEZZNS1_33reduce_by_key_impl_wrapped_configILNS1_25lookback_scan_determinismE0ES3_S9_NS6_18transform_iteratorI6div_opNS6_17counting_iteratorIlNS6_11use_defaultESF_SF_EESF_SF_EENSC_I6mod_opSG_SF_SF_EENS6_6detail15normal_iteratorINS6_10device_ptrIlEEEESO_PmS8_NS6_8equal_toIlEEEE10hipError_tPvRmT2_T3_mT4_T5_T6_T7_T8_P12ihipStream_tbENKUlT_T0_E_clISt17integral_constantIbLb1EES18_IbLb0EEEEDaS14_S15_EUlS14_E_NS1_11comp_targetILNS1_3genE9ELNS1_11target_archE1100ELNS1_3gpuE3ELNS1_3repE0EEENS1_30default_config_static_selectorELNS0_4arch9wavefront6targetE1EEEvT1_,@function
_ZN7rocprim17ROCPRIM_400000_NS6detail17trampoline_kernelINS0_14default_configENS1_29reduce_by_key_config_selectorIllN6thrust23THRUST_200600_302600_NS4plusIlEEEEZZNS1_33reduce_by_key_impl_wrapped_configILNS1_25lookback_scan_determinismE0ES3_S9_NS6_18transform_iteratorI6div_opNS6_17counting_iteratorIlNS6_11use_defaultESF_SF_EESF_SF_EENSC_I6mod_opSG_SF_SF_EENS6_6detail15normal_iteratorINS6_10device_ptrIlEEEESO_PmS8_NS6_8equal_toIlEEEE10hipError_tPvRmT2_T3_mT4_T5_T6_T7_T8_P12ihipStream_tbENKUlT_T0_E_clISt17integral_constantIbLb1EES18_IbLb0EEEEDaS14_S15_EUlS14_E_NS1_11comp_targetILNS1_3genE9ELNS1_11target_archE1100ELNS1_3gpuE3ELNS1_3repE0EEENS1_30default_config_static_selectorELNS0_4arch9wavefront6targetE1EEEvT1_: ; @_ZN7rocprim17ROCPRIM_400000_NS6detail17trampoline_kernelINS0_14default_configENS1_29reduce_by_key_config_selectorIllN6thrust23THRUST_200600_302600_NS4plusIlEEEEZZNS1_33reduce_by_key_impl_wrapped_configILNS1_25lookback_scan_determinismE0ES3_S9_NS6_18transform_iteratorI6div_opNS6_17counting_iteratorIlNS6_11use_defaultESF_SF_EESF_SF_EENSC_I6mod_opSG_SF_SF_EENS6_6detail15normal_iteratorINS6_10device_ptrIlEEEESO_PmS8_NS6_8equal_toIlEEEE10hipError_tPvRmT2_T3_mT4_T5_T6_T7_T8_P12ihipStream_tbENKUlT_T0_E_clISt17integral_constantIbLb1EES18_IbLb0EEEEDaS14_S15_EUlS14_E_NS1_11comp_targetILNS1_3genE9ELNS1_11target_archE1100ELNS1_3gpuE3ELNS1_3repE0EEENS1_30default_config_static_selectorELNS0_4arch9wavefront6targetE1EEEvT1_
; %bb.0:
	.section	.rodata,"a",@progbits
	.p2align	6, 0x0
	.amdhsa_kernel _ZN7rocprim17ROCPRIM_400000_NS6detail17trampoline_kernelINS0_14default_configENS1_29reduce_by_key_config_selectorIllN6thrust23THRUST_200600_302600_NS4plusIlEEEEZZNS1_33reduce_by_key_impl_wrapped_configILNS1_25lookback_scan_determinismE0ES3_S9_NS6_18transform_iteratorI6div_opNS6_17counting_iteratorIlNS6_11use_defaultESF_SF_EESF_SF_EENSC_I6mod_opSG_SF_SF_EENS6_6detail15normal_iteratorINS6_10device_ptrIlEEEESO_PmS8_NS6_8equal_toIlEEEE10hipError_tPvRmT2_T3_mT4_T5_T6_T7_T8_P12ihipStream_tbENKUlT_T0_E_clISt17integral_constantIbLb1EES18_IbLb0EEEEDaS14_S15_EUlS14_E_NS1_11comp_targetILNS1_3genE9ELNS1_11target_archE1100ELNS1_3gpuE3ELNS1_3repE0EEENS1_30default_config_static_selectorELNS0_4arch9wavefront6targetE1EEEvT1_
		.amdhsa_group_segment_fixed_size 0
		.amdhsa_private_segment_fixed_size 0
		.amdhsa_kernarg_size 152
		.amdhsa_user_sgpr_count 6
		.amdhsa_user_sgpr_private_segment_buffer 1
		.amdhsa_user_sgpr_dispatch_ptr 0
		.amdhsa_user_sgpr_queue_ptr 0
		.amdhsa_user_sgpr_kernarg_segment_ptr 1
		.amdhsa_user_sgpr_dispatch_id 0
		.amdhsa_user_sgpr_flat_scratch_init 0
		.amdhsa_user_sgpr_kernarg_preload_length 0
		.amdhsa_user_sgpr_kernarg_preload_offset 0
		.amdhsa_user_sgpr_private_segment_size 0
		.amdhsa_uses_dynamic_stack 0
		.amdhsa_system_sgpr_private_segment_wavefront_offset 0
		.amdhsa_system_sgpr_workgroup_id_x 1
		.amdhsa_system_sgpr_workgroup_id_y 0
		.amdhsa_system_sgpr_workgroup_id_z 0
		.amdhsa_system_sgpr_workgroup_info 0
		.amdhsa_system_vgpr_workitem_id 0
		.amdhsa_next_free_vgpr 1
		.amdhsa_next_free_sgpr 0
		.amdhsa_accum_offset 4
		.amdhsa_reserve_vcc 0
		.amdhsa_reserve_flat_scratch 0
		.amdhsa_float_round_mode_32 0
		.amdhsa_float_round_mode_16_64 0
		.amdhsa_float_denorm_mode_32 3
		.amdhsa_float_denorm_mode_16_64 3
		.amdhsa_dx10_clamp 1
		.amdhsa_ieee_mode 1
		.amdhsa_fp16_overflow 0
		.amdhsa_tg_split 0
		.amdhsa_exception_fp_ieee_invalid_op 0
		.amdhsa_exception_fp_denorm_src 0
		.amdhsa_exception_fp_ieee_div_zero 0
		.amdhsa_exception_fp_ieee_overflow 0
		.amdhsa_exception_fp_ieee_underflow 0
		.amdhsa_exception_fp_ieee_inexact 0
		.amdhsa_exception_int_div_zero 0
	.end_amdhsa_kernel
	.section	.text._ZN7rocprim17ROCPRIM_400000_NS6detail17trampoline_kernelINS0_14default_configENS1_29reduce_by_key_config_selectorIllN6thrust23THRUST_200600_302600_NS4plusIlEEEEZZNS1_33reduce_by_key_impl_wrapped_configILNS1_25lookback_scan_determinismE0ES3_S9_NS6_18transform_iteratorI6div_opNS6_17counting_iteratorIlNS6_11use_defaultESF_SF_EESF_SF_EENSC_I6mod_opSG_SF_SF_EENS6_6detail15normal_iteratorINS6_10device_ptrIlEEEESO_PmS8_NS6_8equal_toIlEEEE10hipError_tPvRmT2_T3_mT4_T5_T6_T7_T8_P12ihipStream_tbENKUlT_T0_E_clISt17integral_constantIbLb1EES18_IbLb0EEEEDaS14_S15_EUlS14_E_NS1_11comp_targetILNS1_3genE9ELNS1_11target_archE1100ELNS1_3gpuE3ELNS1_3repE0EEENS1_30default_config_static_selectorELNS0_4arch9wavefront6targetE1EEEvT1_,"axG",@progbits,_ZN7rocprim17ROCPRIM_400000_NS6detail17trampoline_kernelINS0_14default_configENS1_29reduce_by_key_config_selectorIllN6thrust23THRUST_200600_302600_NS4plusIlEEEEZZNS1_33reduce_by_key_impl_wrapped_configILNS1_25lookback_scan_determinismE0ES3_S9_NS6_18transform_iteratorI6div_opNS6_17counting_iteratorIlNS6_11use_defaultESF_SF_EESF_SF_EENSC_I6mod_opSG_SF_SF_EENS6_6detail15normal_iteratorINS6_10device_ptrIlEEEESO_PmS8_NS6_8equal_toIlEEEE10hipError_tPvRmT2_T3_mT4_T5_T6_T7_T8_P12ihipStream_tbENKUlT_T0_E_clISt17integral_constantIbLb1EES18_IbLb0EEEEDaS14_S15_EUlS14_E_NS1_11comp_targetILNS1_3genE9ELNS1_11target_archE1100ELNS1_3gpuE3ELNS1_3repE0EEENS1_30default_config_static_selectorELNS0_4arch9wavefront6targetE1EEEvT1_,comdat
.Lfunc_end1159:
	.size	_ZN7rocprim17ROCPRIM_400000_NS6detail17trampoline_kernelINS0_14default_configENS1_29reduce_by_key_config_selectorIllN6thrust23THRUST_200600_302600_NS4plusIlEEEEZZNS1_33reduce_by_key_impl_wrapped_configILNS1_25lookback_scan_determinismE0ES3_S9_NS6_18transform_iteratorI6div_opNS6_17counting_iteratorIlNS6_11use_defaultESF_SF_EESF_SF_EENSC_I6mod_opSG_SF_SF_EENS6_6detail15normal_iteratorINS6_10device_ptrIlEEEESO_PmS8_NS6_8equal_toIlEEEE10hipError_tPvRmT2_T3_mT4_T5_T6_T7_T8_P12ihipStream_tbENKUlT_T0_E_clISt17integral_constantIbLb1EES18_IbLb0EEEEDaS14_S15_EUlS14_E_NS1_11comp_targetILNS1_3genE9ELNS1_11target_archE1100ELNS1_3gpuE3ELNS1_3repE0EEENS1_30default_config_static_selectorELNS0_4arch9wavefront6targetE1EEEvT1_, .Lfunc_end1159-_ZN7rocprim17ROCPRIM_400000_NS6detail17trampoline_kernelINS0_14default_configENS1_29reduce_by_key_config_selectorIllN6thrust23THRUST_200600_302600_NS4plusIlEEEEZZNS1_33reduce_by_key_impl_wrapped_configILNS1_25lookback_scan_determinismE0ES3_S9_NS6_18transform_iteratorI6div_opNS6_17counting_iteratorIlNS6_11use_defaultESF_SF_EESF_SF_EENSC_I6mod_opSG_SF_SF_EENS6_6detail15normal_iteratorINS6_10device_ptrIlEEEESO_PmS8_NS6_8equal_toIlEEEE10hipError_tPvRmT2_T3_mT4_T5_T6_T7_T8_P12ihipStream_tbENKUlT_T0_E_clISt17integral_constantIbLb1EES18_IbLb0EEEEDaS14_S15_EUlS14_E_NS1_11comp_targetILNS1_3genE9ELNS1_11target_archE1100ELNS1_3gpuE3ELNS1_3repE0EEENS1_30default_config_static_selectorELNS0_4arch9wavefront6targetE1EEEvT1_
                                        ; -- End function
	.section	.AMDGPU.csdata,"",@progbits
; Kernel info:
; codeLenInByte = 0
; NumSgprs: 4
; NumVgprs: 0
; NumAgprs: 0
; TotalNumVgprs: 0
; ScratchSize: 0
; MemoryBound: 0
; FloatMode: 240
; IeeeMode: 1
; LDSByteSize: 0 bytes/workgroup (compile time only)
; SGPRBlocks: 0
; VGPRBlocks: 0
; NumSGPRsForWavesPerEU: 4
; NumVGPRsForWavesPerEU: 1
; AccumOffset: 4
; Occupancy: 8
; WaveLimiterHint : 0
; COMPUTE_PGM_RSRC2:SCRATCH_EN: 0
; COMPUTE_PGM_RSRC2:USER_SGPR: 6
; COMPUTE_PGM_RSRC2:TRAP_HANDLER: 0
; COMPUTE_PGM_RSRC2:TGID_X_EN: 1
; COMPUTE_PGM_RSRC2:TGID_Y_EN: 0
; COMPUTE_PGM_RSRC2:TGID_Z_EN: 0
; COMPUTE_PGM_RSRC2:TIDIG_COMP_CNT: 0
; COMPUTE_PGM_RSRC3_GFX90A:ACCUM_OFFSET: 0
; COMPUTE_PGM_RSRC3_GFX90A:TG_SPLIT: 0
	.section	.text._ZN7rocprim17ROCPRIM_400000_NS6detail17trampoline_kernelINS0_14default_configENS1_29reduce_by_key_config_selectorIllN6thrust23THRUST_200600_302600_NS4plusIlEEEEZZNS1_33reduce_by_key_impl_wrapped_configILNS1_25lookback_scan_determinismE0ES3_S9_NS6_18transform_iteratorI6div_opNS6_17counting_iteratorIlNS6_11use_defaultESF_SF_EESF_SF_EENSC_I6mod_opSG_SF_SF_EENS6_6detail15normal_iteratorINS6_10device_ptrIlEEEESO_PmS8_NS6_8equal_toIlEEEE10hipError_tPvRmT2_T3_mT4_T5_T6_T7_T8_P12ihipStream_tbENKUlT_T0_E_clISt17integral_constantIbLb1EES18_IbLb0EEEEDaS14_S15_EUlS14_E_NS1_11comp_targetILNS1_3genE8ELNS1_11target_archE1030ELNS1_3gpuE2ELNS1_3repE0EEENS1_30default_config_static_selectorELNS0_4arch9wavefront6targetE1EEEvT1_,"axG",@progbits,_ZN7rocprim17ROCPRIM_400000_NS6detail17trampoline_kernelINS0_14default_configENS1_29reduce_by_key_config_selectorIllN6thrust23THRUST_200600_302600_NS4plusIlEEEEZZNS1_33reduce_by_key_impl_wrapped_configILNS1_25lookback_scan_determinismE0ES3_S9_NS6_18transform_iteratorI6div_opNS6_17counting_iteratorIlNS6_11use_defaultESF_SF_EESF_SF_EENSC_I6mod_opSG_SF_SF_EENS6_6detail15normal_iteratorINS6_10device_ptrIlEEEESO_PmS8_NS6_8equal_toIlEEEE10hipError_tPvRmT2_T3_mT4_T5_T6_T7_T8_P12ihipStream_tbENKUlT_T0_E_clISt17integral_constantIbLb1EES18_IbLb0EEEEDaS14_S15_EUlS14_E_NS1_11comp_targetILNS1_3genE8ELNS1_11target_archE1030ELNS1_3gpuE2ELNS1_3repE0EEENS1_30default_config_static_selectorELNS0_4arch9wavefront6targetE1EEEvT1_,comdat
	.protected	_ZN7rocprim17ROCPRIM_400000_NS6detail17trampoline_kernelINS0_14default_configENS1_29reduce_by_key_config_selectorIllN6thrust23THRUST_200600_302600_NS4plusIlEEEEZZNS1_33reduce_by_key_impl_wrapped_configILNS1_25lookback_scan_determinismE0ES3_S9_NS6_18transform_iteratorI6div_opNS6_17counting_iteratorIlNS6_11use_defaultESF_SF_EESF_SF_EENSC_I6mod_opSG_SF_SF_EENS6_6detail15normal_iteratorINS6_10device_ptrIlEEEESO_PmS8_NS6_8equal_toIlEEEE10hipError_tPvRmT2_T3_mT4_T5_T6_T7_T8_P12ihipStream_tbENKUlT_T0_E_clISt17integral_constantIbLb1EES18_IbLb0EEEEDaS14_S15_EUlS14_E_NS1_11comp_targetILNS1_3genE8ELNS1_11target_archE1030ELNS1_3gpuE2ELNS1_3repE0EEENS1_30default_config_static_selectorELNS0_4arch9wavefront6targetE1EEEvT1_ ; -- Begin function _ZN7rocprim17ROCPRIM_400000_NS6detail17trampoline_kernelINS0_14default_configENS1_29reduce_by_key_config_selectorIllN6thrust23THRUST_200600_302600_NS4plusIlEEEEZZNS1_33reduce_by_key_impl_wrapped_configILNS1_25lookback_scan_determinismE0ES3_S9_NS6_18transform_iteratorI6div_opNS6_17counting_iteratorIlNS6_11use_defaultESF_SF_EESF_SF_EENSC_I6mod_opSG_SF_SF_EENS6_6detail15normal_iteratorINS6_10device_ptrIlEEEESO_PmS8_NS6_8equal_toIlEEEE10hipError_tPvRmT2_T3_mT4_T5_T6_T7_T8_P12ihipStream_tbENKUlT_T0_E_clISt17integral_constantIbLb1EES18_IbLb0EEEEDaS14_S15_EUlS14_E_NS1_11comp_targetILNS1_3genE8ELNS1_11target_archE1030ELNS1_3gpuE2ELNS1_3repE0EEENS1_30default_config_static_selectorELNS0_4arch9wavefront6targetE1EEEvT1_
	.globl	_ZN7rocprim17ROCPRIM_400000_NS6detail17trampoline_kernelINS0_14default_configENS1_29reduce_by_key_config_selectorIllN6thrust23THRUST_200600_302600_NS4plusIlEEEEZZNS1_33reduce_by_key_impl_wrapped_configILNS1_25lookback_scan_determinismE0ES3_S9_NS6_18transform_iteratorI6div_opNS6_17counting_iteratorIlNS6_11use_defaultESF_SF_EESF_SF_EENSC_I6mod_opSG_SF_SF_EENS6_6detail15normal_iteratorINS6_10device_ptrIlEEEESO_PmS8_NS6_8equal_toIlEEEE10hipError_tPvRmT2_T3_mT4_T5_T6_T7_T8_P12ihipStream_tbENKUlT_T0_E_clISt17integral_constantIbLb1EES18_IbLb0EEEEDaS14_S15_EUlS14_E_NS1_11comp_targetILNS1_3genE8ELNS1_11target_archE1030ELNS1_3gpuE2ELNS1_3repE0EEENS1_30default_config_static_selectorELNS0_4arch9wavefront6targetE1EEEvT1_
	.p2align	8
	.type	_ZN7rocprim17ROCPRIM_400000_NS6detail17trampoline_kernelINS0_14default_configENS1_29reduce_by_key_config_selectorIllN6thrust23THRUST_200600_302600_NS4plusIlEEEEZZNS1_33reduce_by_key_impl_wrapped_configILNS1_25lookback_scan_determinismE0ES3_S9_NS6_18transform_iteratorI6div_opNS6_17counting_iteratorIlNS6_11use_defaultESF_SF_EESF_SF_EENSC_I6mod_opSG_SF_SF_EENS6_6detail15normal_iteratorINS6_10device_ptrIlEEEESO_PmS8_NS6_8equal_toIlEEEE10hipError_tPvRmT2_T3_mT4_T5_T6_T7_T8_P12ihipStream_tbENKUlT_T0_E_clISt17integral_constantIbLb1EES18_IbLb0EEEEDaS14_S15_EUlS14_E_NS1_11comp_targetILNS1_3genE8ELNS1_11target_archE1030ELNS1_3gpuE2ELNS1_3repE0EEENS1_30default_config_static_selectorELNS0_4arch9wavefront6targetE1EEEvT1_,@function
_ZN7rocprim17ROCPRIM_400000_NS6detail17trampoline_kernelINS0_14default_configENS1_29reduce_by_key_config_selectorIllN6thrust23THRUST_200600_302600_NS4plusIlEEEEZZNS1_33reduce_by_key_impl_wrapped_configILNS1_25lookback_scan_determinismE0ES3_S9_NS6_18transform_iteratorI6div_opNS6_17counting_iteratorIlNS6_11use_defaultESF_SF_EESF_SF_EENSC_I6mod_opSG_SF_SF_EENS6_6detail15normal_iteratorINS6_10device_ptrIlEEEESO_PmS8_NS6_8equal_toIlEEEE10hipError_tPvRmT2_T3_mT4_T5_T6_T7_T8_P12ihipStream_tbENKUlT_T0_E_clISt17integral_constantIbLb1EES18_IbLb0EEEEDaS14_S15_EUlS14_E_NS1_11comp_targetILNS1_3genE8ELNS1_11target_archE1030ELNS1_3gpuE2ELNS1_3repE0EEENS1_30default_config_static_selectorELNS0_4arch9wavefront6targetE1EEEvT1_: ; @_ZN7rocprim17ROCPRIM_400000_NS6detail17trampoline_kernelINS0_14default_configENS1_29reduce_by_key_config_selectorIllN6thrust23THRUST_200600_302600_NS4plusIlEEEEZZNS1_33reduce_by_key_impl_wrapped_configILNS1_25lookback_scan_determinismE0ES3_S9_NS6_18transform_iteratorI6div_opNS6_17counting_iteratorIlNS6_11use_defaultESF_SF_EESF_SF_EENSC_I6mod_opSG_SF_SF_EENS6_6detail15normal_iteratorINS6_10device_ptrIlEEEESO_PmS8_NS6_8equal_toIlEEEE10hipError_tPvRmT2_T3_mT4_T5_T6_T7_T8_P12ihipStream_tbENKUlT_T0_E_clISt17integral_constantIbLb1EES18_IbLb0EEEEDaS14_S15_EUlS14_E_NS1_11comp_targetILNS1_3genE8ELNS1_11target_archE1030ELNS1_3gpuE2ELNS1_3repE0EEENS1_30default_config_static_selectorELNS0_4arch9wavefront6targetE1EEEvT1_
; %bb.0:
	.section	.rodata,"a",@progbits
	.p2align	6, 0x0
	.amdhsa_kernel _ZN7rocprim17ROCPRIM_400000_NS6detail17trampoline_kernelINS0_14default_configENS1_29reduce_by_key_config_selectorIllN6thrust23THRUST_200600_302600_NS4plusIlEEEEZZNS1_33reduce_by_key_impl_wrapped_configILNS1_25lookback_scan_determinismE0ES3_S9_NS6_18transform_iteratorI6div_opNS6_17counting_iteratorIlNS6_11use_defaultESF_SF_EESF_SF_EENSC_I6mod_opSG_SF_SF_EENS6_6detail15normal_iteratorINS6_10device_ptrIlEEEESO_PmS8_NS6_8equal_toIlEEEE10hipError_tPvRmT2_T3_mT4_T5_T6_T7_T8_P12ihipStream_tbENKUlT_T0_E_clISt17integral_constantIbLb1EES18_IbLb0EEEEDaS14_S15_EUlS14_E_NS1_11comp_targetILNS1_3genE8ELNS1_11target_archE1030ELNS1_3gpuE2ELNS1_3repE0EEENS1_30default_config_static_selectorELNS0_4arch9wavefront6targetE1EEEvT1_
		.amdhsa_group_segment_fixed_size 0
		.amdhsa_private_segment_fixed_size 0
		.amdhsa_kernarg_size 152
		.amdhsa_user_sgpr_count 6
		.amdhsa_user_sgpr_private_segment_buffer 1
		.amdhsa_user_sgpr_dispatch_ptr 0
		.amdhsa_user_sgpr_queue_ptr 0
		.amdhsa_user_sgpr_kernarg_segment_ptr 1
		.amdhsa_user_sgpr_dispatch_id 0
		.amdhsa_user_sgpr_flat_scratch_init 0
		.amdhsa_user_sgpr_kernarg_preload_length 0
		.amdhsa_user_sgpr_kernarg_preload_offset 0
		.amdhsa_user_sgpr_private_segment_size 0
		.amdhsa_uses_dynamic_stack 0
		.amdhsa_system_sgpr_private_segment_wavefront_offset 0
		.amdhsa_system_sgpr_workgroup_id_x 1
		.amdhsa_system_sgpr_workgroup_id_y 0
		.amdhsa_system_sgpr_workgroup_id_z 0
		.amdhsa_system_sgpr_workgroup_info 0
		.amdhsa_system_vgpr_workitem_id 0
		.amdhsa_next_free_vgpr 1
		.amdhsa_next_free_sgpr 0
		.amdhsa_accum_offset 4
		.amdhsa_reserve_vcc 0
		.amdhsa_reserve_flat_scratch 0
		.amdhsa_float_round_mode_32 0
		.amdhsa_float_round_mode_16_64 0
		.amdhsa_float_denorm_mode_32 3
		.amdhsa_float_denorm_mode_16_64 3
		.amdhsa_dx10_clamp 1
		.amdhsa_ieee_mode 1
		.amdhsa_fp16_overflow 0
		.amdhsa_tg_split 0
		.amdhsa_exception_fp_ieee_invalid_op 0
		.amdhsa_exception_fp_denorm_src 0
		.amdhsa_exception_fp_ieee_div_zero 0
		.amdhsa_exception_fp_ieee_overflow 0
		.amdhsa_exception_fp_ieee_underflow 0
		.amdhsa_exception_fp_ieee_inexact 0
		.amdhsa_exception_int_div_zero 0
	.end_amdhsa_kernel
	.section	.text._ZN7rocprim17ROCPRIM_400000_NS6detail17trampoline_kernelINS0_14default_configENS1_29reduce_by_key_config_selectorIllN6thrust23THRUST_200600_302600_NS4plusIlEEEEZZNS1_33reduce_by_key_impl_wrapped_configILNS1_25lookback_scan_determinismE0ES3_S9_NS6_18transform_iteratorI6div_opNS6_17counting_iteratorIlNS6_11use_defaultESF_SF_EESF_SF_EENSC_I6mod_opSG_SF_SF_EENS6_6detail15normal_iteratorINS6_10device_ptrIlEEEESO_PmS8_NS6_8equal_toIlEEEE10hipError_tPvRmT2_T3_mT4_T5_T6_T7_T8_P12ihipStream_tbENKUlT_T0_E_clISt17integral_constantIbLb1EES18_IbLb0EEEEDaS14_S15_EUlS14_E_NS1_11comp_targetILNS1_3genE8ELNS1_11target_archE1030ELNS1_3gpuE2ELNS1_3repE0EEENS1_30default_config_static_selectorELNS0_4arch9wavefront6targetE1EEEvT1_,"axG",@progbits,_ZN7rocprim17ROCPRIM_400000_NS6detail17trampoline_kernelINS0_14default_configENS1_29reduce_by_key_config_selectorIllN6thrust23THRUST_200600_302600_NS4plusIlEEEEZZNS1_33reduce_by_key_impl_wrapped_configILNS1_25lookback_scan_determinismE0ES3_S9_NS6_18transform_iteratorI6div_opNS6_17counting_iteratorIlNS6_11use_defaultESF_SF_EESF_SF_EENSC_I6mod_opSG_SF_SF_EENS6_6detail15normal_iteratorINS6_10device_ptrIlEEEESO_PmS8_NS6_8equal_toIlEEEE10hipError_tPvRmT2_T3_mT4_T5_T6_T7_T8_P12ihipStream_tbENKUlT_T0_E_clISt17integral_constantIbLb1EES18_IbLb0EEEEDaS14_S15_EUlS14_E_NS1_11comp_targetILNS1_3genE8ELNS1_11target_archE1030ELNS1_3gpuE2ELNS1_3repE0EEENS1_30default_config_static_selectorELNS0_4arch9wavefront6targetE1EEEvT1_,comdat
.Lfunc_end1160:
	.size	_ZN7rocprim17ROCPRIM_400000_NS6detail17trampoline_kernelINS0_14default_configENS1_29reduce_by_key_config_selectorIllN6thrust23THRUST_200600_302600_NS4plusIlEEEEZZNS1_33reduce_by_key_impl_wrapped_configILNS1_25lookback_scan_determinismE0ES3_S9_NS6_18transform_iteratorI6div_opNS6_17counting_iteratorIlNS6_11use_defaultESF_SF_EESF_SF_EENSC_I6mod_opSG_SF_SF_EENS6_6detail15normal_iteratorINS6_10device_ptrIlEEEESO_PmS8_NS6_8equal_toIlEEEE10hipError_tPvRmT2_T3_mT4_T5_T6_T7_T8_P12ihipStream_tbENKUlT_T0_E_clISt17integral_constantIbLb1EES18_IbLb0EEEEDaS14_S15_EUlS14_E_NS1_11comp_targetILNS1_3genE8ELNS1_11target_archE1030ELNS1_3gpuE2ELNS1_3repE0EEENS1_30default_config_static_selectorELNS0_4arch9wavefront6targetE1EEEvT1_, .Lfunc_end1160-_ZN7rocprim17ROCPRIM_400000_NS6detail17trampoline_kernelINS0_14default_configENS1_29reduce_by_key_config_selectorIllN6thrust23THRUST_200600_302600_NS4plusIlEEEEZZNS1_33reduce_by_key_impl_wrapped_configILNS1_25lookback_scan_determinismE0ES3_S9_NS6_18transform_iteratorI6div_opNS6_17counting_iteratorIlNS6_11use_defaultESF_SF_EESF_SF_EENSC_I6mod_opSG_SF_SF_EENS6_6detail15normal_iteratorINS6_10device_ptrIlEEEESO_PmS8_NS6_8equal_toIlEEEE10hipError_tPvRmT2_T3_mT4_T5_T6_T7_T8_P12ihipStream_tbENKUlT_T0_E_clISt17integral_constantIbLb1EES18_IbLb0EEEEDaS14_S15_EUlS14_E_NS1_11comp_targetILNS1_3genE8ELNS1_11target_archE1030ELNS1_3gpuE2ELNS1_3repE0EEENS1_30default_config_static_selectorELNS0_4arch9wavefront6targetE1EEEvT1_
                                        ; -- End function
	.section	.AMDGPU.csdata,"",@progbits
; Kernel info:
; codeLenInByte = 0
; NumSgprs: 4
; NumVgprs: 0
; NumAgprs: 0
; TotalNumVgprs: 0
; ScratchSize: 0
; MemoryBound: 0
; FloatMode: 240
; IeeeMode: 1
; LDSByteSize: 0 bytes/workgroup (compile time only)
; SGPRBlocks: 0
; VGPRBlocks: 0
; NumSGPRsForWavesPerEU: 4
; NumVGPRsForWavesPerEU: 1
; AccumOffset: 4
; Occupancy: 8
; WaveLimiterHint : 0
; COMPUTE_PGM_RSRC2:SCRATCH_EN: 0
; COMPUTE_PGM_RSRC2:USER_SGPR: 6
; COMPUTE_PGM_RSRC2:TRAP_HANDLER: 0
; COMPUTE_PGM_RSRC2:TGID_X_EN: 1
; COMPUTE_PGM_RSRC2:TGID_Y_EN: 0
; COMPUTE_PGM_RSRC2:TGID_Z_EN: 0
; COMPUTE_PGM_RSRC2:TIDIG_COMP_CNT: 0
; COMPUTE_PGM_RSRC3_GFX90A:ACCUM_OFFSET: 0
; COMPUTE_PGM_RSRC3_GFX90A:TG_SPLIT: 0
	.section	.text._ZN7rocprim17ROCPRIM_400000_NS6detail25reduce_by_key_init_kernelINS1_19lookback_scan_stateINS0_5tupleIJjlEEELb0ELb0EEElNS1_16block_id_wrapperIjLb1EEEEEvT_jbjPmPT0_T1_,"axG",@progbits,_ZN7rocprim17ROCPRIM_400000_NS6detail25reduce_by_key_init_kernelINS1_19lookback_scan_stateINS0_5tupleIJjlEEELb0ELb0EEElNS1_16block_id_wrapperIjLb1EEEEEvT_jbjPmPT0_T1_,comdat
	.protected	_ZN7rocprim17ROCPRIM_400000_NS6detail25reduce_by_key_init_kernelINS1_19lookback_scan_stateINS0_5tupleIJjlEEELb0ELb0EEElNS1_16block_id_wrapperIjLb1EEEEEvT_jbjPmPT0_T1_ ; -- Begin function _ZN7rocprim17ROCPRIM_400000_NS6detail25reduce_by_key_init_kernelINS1_19lookback_scan_stateINS0_5tupleIJjlEEELb0ELb0EEElNS1_16block_id_wrapperIjLb1EEEEEvT_jbjPmPT0_T1_
	.globl	_ZN7rocprim17ROCPRIM_400000_NS6detail25reduce_by_key_init_kernelINS1_19lookback_scan_stateINS0_5tupleIJjlEEELb0ELb0EEElNS1_16block_id_wrapperIjLb1EEEEEvT_jbjPmPT0_T1_
	.p2align	8
	.type	_ZN7rocprim17ROCPRIM_400000_NS6detail25reduce_by_key_init_kernelINS1_19lookback_scan_stateINS0_5tupleIJjlEEELb0ELb0EEElNS1_16block_id_wrapperIjLb1EEEEEvT_jbjPmPT0_T1_,@function
_ZN7rocprim17ROCPRIM_400000_NS6detail25reduce_by_key_init_kernelINS1_19lookback_scan_stateINS0_5tupleIJjlEEELb0ELb0EEElNS1_16block_id_wrapperIjLb1EEEEEvT_jbjPmPT0_T1_: ; @_ZN7rocprim17ROCPRIM_400000_NS6detail25reduce_by_key_init_kernelINS1_19lookback_scan_stateINS0_5tupleIJjlEEELb0ELb0EEElNS1_16block_id_wrapperIjLb1EEEEEvT_jbjPmPT0_T1_
; %bb.0:
	s_load_dwordx8 s[8:15], s[4:5], 0x18
	s_load_dword s0, s[4:5], 0x4c
	s_load_dwordx2 s[18:19], s[4:5], 0x38
	s_load_dwordx2 s[16:17], s[4:5], 0x10
	s_waitcnt lgkmcnt(0)
	s_and_b32 s1, s9, 1
	s_and_b32 s0, s0, 0xffff
	s_mul_i32 s6, s6, s0
	s_cmp_eq_u32 s1, 0
	v_add_u32_e32 v0, s6, v0
	s_mov_b64 s[0:1], -1
	s_cbranch_scc1 .LBB1161_6
; %bb.1:
	s_andn2_b64 vcc, exec, s[0:1]
	v_cmp_eq_u32_e64 s[0:1], 0, v0
	s_cbranch_vccz .LBB1161_12
.LBB1161_2:
	v_cmp_eq_u32_e32 vcc, 0, v0
	s_and_saveexec_b64 s[0:1], vcc
	s_cbranch_execnz .LBB1161_15
.LBB1161_3:
	s_or_b64 exec, exec, s[0:1]
	v_cmp_gt_u32_e32 vcc, s8, v0
	s_and_saveexec_b64 s[0:1], vcc
	s_cbranch_execnz .LBB1161_16
.LBB1161_4:
	s_or_b64 exec, exec, s[0:1]
	v_cmp_gt_u32_e32 vcc, 64, v0
	s_and_saveexec_b64 s[0:1], vcc
	s_cbranch_execnz .LBB1161_17
.LBB1161_5:
	s_endpgm
.LBB1161_6:
	s_cmp_lt_u32 s10, s8
	s_cselect_b32 s0, s10, 0
	v_cmp_eq_u32_e32 vcc, s0, v0
	s_and_saveexec_b64 s[6:7], vcc
	s_cbranch_execz .LBB1161_11
; %bb.7:
	s_add_i32 s10, s10, 64
	v_mov_b32_e32 v1, s10
	global_load_ubyte v1, v1, s[16:17] glc
	s_load_dwordx4 s[0:3], s[4:5], 0x0
	s_add_u32 s4, s16, s10
	s_mov_b32 s11, 0
	s_addc_u32 s5, s17, 0
	s_waitcnt vmcnt(0)
	v_cmp_ne_u16_e32 vcc, 0, v1
	v_readfirstlane_b32 s9, v1
	s_cbranch_vccnz .LBB1161_10
; %bb.8:
	v_mov_b32_e32 v1, 0
.LBB1161_9:                             ; =>This Inner Loop Header: Depth=1
	global_load_ubyte v2, v1, s[4:5] glc
	s_waitcnt vmcnt(0)
	v_cmp_eq_u16_e32 vcc, 0, v2
	v_readfirstlane_b32 s9, v2
	s_cbranch_vccnz .LBB1161_9
.LBB1161_10:
	s_and_b32 s4, 0xffff, s9
	s_cmp_eq_u32 s4, 1
	s_waitcnt lgkmcnt(0)
	s_cselect_b32 s3, s1, s3
	s_cselect_b32 s2, s0, s2
	s_lshl_b64 s[0:1], s[10:11], 4
	v_mov_b32_e32 v1, 0
	s_add_u32 s0, s2, s0
	buffer_wbinvl1_vol
	s_addc_u32 s1, s3, s1
	global_load_dwordx2 v[2:3], v1, s[12:13]
	global_load_dword v6, v1, s[0:1]
	global_load_dwordx2 v[4:5], v1, s[0:1] offset:8
	s_waitcnt vmcnt(1)
	v_add_co_u32_e32 v2, vcc, v2, v6
	v_addc_co_u32_e32 v3, vcc, 0, v3, vcc
	global_store_dwordx2 v1, v[2:3], s[12:13]
	s_waitcnt vmcnt(1)
	global_store_dwordx2 v1, v[4:5], s[14:15]
.LBB1161_11:
	s_or_b64 exec, exec, s[6:7]
	v_cmp_eq_u32_e64 s[0:1], 0, v0
	s_cbranch_execnz .LBB1161_2
.LBB1161_12:
	s_cmp_lg_u64 s[12:13], 0
	s_cselect_b64 s[2:3], -1, 0
	s_and_b64 s[2:3], s[2:3], s[0:1]
	s_and_saveexec_b64 s[0:1], s[2:3]
	s_cbranch_execz .LBB1161_14
; %bb.13:
	v_mov_b32_e32 v2, 0
	v_mov_b32_e32 v3, v2
	global_store_dwordx2 v2, v[2:3], s[12:13]
.LBB1161_14:
	s_or_b64 exec, exec, s[0:1]
	v_cmp_eq_u32_e32 vcc, 0, v0
	s_and_saveexec_b64 s[0:1], vcc
	s_cbranch_execz .LBB1161_3
.LBB1161_15:
	v_mov_b32_e32 v1, 0
	global_store_dword v1, v1, s[18:19]
	s_or_b64 exec, exec, s[0:1]
	v_cmp_gt_u32_e32 vcc, s8, v0
	s_and_saveexec_b64 s[0:1], vcc
	s_cbranch_execz .LBB1161_4
.LBB1161_16:
	v_add_u32_e32 v1, 64, v0
	v_mov_b32_e32 v2, 0
	global_store_byte v1, v2, s[16:17]
	s_or_b64 exec, exec, s[0:1]
	v_cmp_gt_u32_e32 vcc, 64, v0
	s_and_saveexec_b64 s[0:1], vcc
	s_cbranch_execz .LBB1161_5
.LBB1161_17:
	v_mov_b32_e32 v1, 0xff
	global_store_byte v0, v1, s[16:17]
	s_endpgm
	.section	.rodata,"a",@progbits
	.p2align	6, 0x0
	.amdhsa_kernel _ZN7rocprim17ROCPRIM_400000_NS6detail25reduce_by_key_init_kernelINS1_19lookback_scan_stateINS0_5tupleIJjlEEELb0ELb0EEElNS1_16block_id_wrapperIjLb1EEEEEvT_jbjPmPT0_T1_
		.amdhsa_group_segment_fixed_size 0
		.amdhsa_private_segment_fixed_size 0
		.amdhsa_kernarg_size 320
		.amdhsa_user_sgpr_count 6
		.amdhsa_user_sgpr_private_segment_buffer 1
		.amdhsa_user_sgpr_dispatch_ptr 0
		.amdhsa_user_sgpr_queue_ptr 0
		.amdhsa_user_sgpr_kernarg_segment_ptr 1
		.amdhsa_user_sgpr_dispatch_id 0
		.amdhsa_user_sgpr_flat_scratch_init 0
		.amdhsa_user_sgpr_kernarg_preload_length 0
		.amdhsa_user_sgpr_kernarg_preload_offset 0
		.amdhsa_user_sgpr_private_segment_size 0
		.amdhsa_uses_dynamic_stack 0
		.amdhsa_system_sgpr_private_segment_wavefront_offset 0
		.amdhsa_system_sgpr_workgroup_id_x 1
		.amdhsa_system_sgpr_workgroup_id_y 0
		.amdhsa_system_sgpr_workgroup_id_z 0
		.amdhsa_system_sgpr_workgroup_info 0
		.amdhsa_system_vgpr_workitem_id 0
		.amdhsa_next_free_vgpr 7
		.amdhsa_next_free_sgpr 20
		.amdhsa_accum_offset 8
		.amdhsa_reserve_vcc 1
		.amdhsa_reserve_flat_scratch 0
		.amdhsa_float_round_mode_32 0
		.amdhsa_float_round_mode_16_64 0
		.amdhsa_float_denorm_mode_32 3
		.amdhsa_float_denorm_mode_16_64 3
		.amdhsa_dx10_clamp 1
		.amdhsa_ieee_mode 1
		.amdhsa_fp16_overflow 0
		.amdhsa_tg_split 0
		.amdhsa_exception_fp_ieee_invalid_op 0
		.amdhsa_exception_fp_denorm_src 0
		.amdhsa_exception_fp_ieee_div_zero 0
		.amdhsa_exception_fp_ieee_overflow 0
		.amdhsa_exception_fp_ieee_underflow 0
		.amdhsa_exception_fp_ieee_inexact 0
		.amdhsa_exception_int_div_zero 0
	.end_amdhsa_kernel
	.section	.text._ZN7rocprim17ROCPRIM_400000_NS6detail25reduce_by_key_init_kernelINS1_19lookback_scan_stateINS0_5tupleIJjlEEELb0ELb0EEElNS1_16block_id_wrapperIjLb1EEEEEvT_jbjPmPT0_T1_,"axG",@progbits,_ZN7rocprim17ROCPRIM_400000_NS6detail25reduce_by_key_init_kernelINS1_19lookback_scan_stateINS0_5tupleIJjlEEELb0ELb0EEElNS1_16block_id_wrapperIjLb1EEEEEvT_jbjPmPT0_T1_,comdat
.Lfunc_end1161:
	.size	_ZN7rocprim17ROCPRIM_400000_NS6detail25reduce_by_key_init_kernelINS1_19lookback_scan_stateINS0_5tupleIJjlEEELb0ELb0EEElNS1_16block_id_wrapperIjLb1EEEEEvT_jbjPmPT0_T1_, .Lfunc_end1161-_ZN7rocprim17ROCPRIM_400000_NS6detail25reduce_by_key_init_kernelINS1_19lookback_scan_stateINS0_5tupleIJjlEEELb0ELb0EEElNS1_16block_id_wrapperIjLb1EEEEEvT_jbjPmPT0_T1_
                                        ; -- End function
	.section	.AMDGPU.csdata,"",@progbits
; Kernel info:
; codeLenInByte = 484
; NumSgprs: 24
; NumVgprs: 7
; NumAgprs: 0
; TotalNumVgprs: 7
; ScratchSize: 0
; MemoryBound: 0
; FloatMode: 240
; IeeeMode: 1
; LDSByteSize: 0 bytes/workgroup (compile time only)
; SGPRBlocks: 2
; VGPRBlocks: 0
; NumSGPRsForWavesPerEU: 24
; NumVGPRsForWavesPerEU: 7
; AccumOffset: 8
; Occupancy: 8
; WaveLimiterHint : 0
; COMPUTE_PGM_RSRC2:SCRATCH_EN: 0
; COMPUTE_PGM_RSRC2:USER_SGPR: 6
; COMPUTE_PGM_RSRC2:TRAP_HANDLER: 0
; COMPUTE_PGM_RSRC2:TGID_X_EN: 1
; COMPUTE_PGM_RSRC2:TGID_Y_EN: 0
; COMPUTE_PGM_RSRC2:TGID_Z_EN: 0
; COMPUTE_PGM_RSRC2:TIDIG_COMP_CNT: 0
; COMPUTE_PGM_RSRC3_GFX90A:ACCUM_OFFSET: 1
; COMPUTE_PGM_RSRC3_GFX90A:TG_SPLIT: 0
	.section	.text._ZN7rocprim17ROCPRIM_400000_NS6detail17trampoline_kernelINS0_14default_configENS1_29reduce_by_key_config_selectorIllN6thrust23THRUST_200600_302600_NS4plusIlEEEEZZNS1_33reduce_by_key_impl_wrapped_configILNS1_25lookback_scan_determinismE0ES3_S9_NS6_18transform_iteratorI6div_opNS6_17counting_iteratorIlNS6_11use_defaultESF_SF_EESF_SF_EENSC_I6mod_opSG_SF_SF_EENS6_6detail15normal_iteratorINS6_10device_ptrIlEEEESO_PmS8_NS6_8equal_toIlEEEE10hipError_tPvRmT2_T3_mT4_T5_T6_T7_T8_P12ihipStream_tbENKUlT_T0_E_clISt17integral_constantIbLb0EES18_IbLb1EEEEDaS14_S15_EUlS14_E_NS1_11comp_targetILNS1_3genE0ELNS1_11target_archE4294967295ELNS1_3gpuE0ELNS1_3repE0EEENS1_30default_config_static_selectorELNS0_4arch9wavefront6targetE1EEEvT1_,"axG",@progbits,_ZN7rocprim17ROCPRIM_400000_NS6detail17trampoline_kernelINS0_14default_configENS1_29reduce_by_key_config_selectorIllN6thrust23THRUST_200600_302600_NS4plusIlEEEEZZNS1_33reduce_by_key_impl_wrapped_configILNS1_25lookback_scan_determinismE0ES3_S9_NS6_18transform_iteratorI6div_opNS6_17counting_iteratorIlNS6_11use_defaultESF_SF_EESF_SF_EENSC_I6mod_opSG_SF_SF_EENS6_6detail15normal_iteratorINS6_10device_ptrIlEEEESO_PmS8_NS6_8equal_toIlEEEE10hipError_tPvRmT2_T3_mT4_T5_T6_T7_T8_P12ihipStream_tbENKUlT_T0_E_clISt17integral_constantIbLb0EES18_IbLb1EEEEDaS14_S15_EUlS14_E_NS1_11comp_targetILNS1_3genE0ELNS1_11target_archE4294967295ELNS1_3gpuE0ELNS1_3repE0EEENS1_30default_config_static_selectorELNS0_4arch9wavefront6targetE1EEEvT1_,comdat
	.protected	_ZN7rocprim17ROCPRIM_400000_NS6detail17trampoline_kernelINS0_14default_configENS1_29reduce_by_key_config_selectorIllN6thrust23THRUST_200600_302600_NS4plusIlEEEEZZNS1_33reduce_by_key_impl_wrapped_configILNS1_25lookback_scan_determinismE0ES3_S9_NS6_18transform_iteratorI6div_opNS6_17counting_iteratorIlNS6_11use_defaultESF_SF_EESF_SF_EENSC_I6mod_opSG_SF_SF_EENS6_6detail15normal_iteratorINS6_10device_ptrIlEEEESO_PmS8_NS6_8equal_toIlEEEE10hipError_tPvRmT2_T3_mT4_T5_T6_T7_T8_P12ihipStream_tbENKUlT_T0_E_clISt17integral_constantIbLb0EES18_IbLb1EEEEDaS14_S15_EUlS14_E_NS1_11comp_targetILNS1_3genE0ELNS1_11target_archE4294967295ELNS1_3gpuE0ELNS1_3repE0EEENS1_30default_config_static_selectorELNS0_4arch9wavefront6targetE1EEEvT1_ ; -- Begin function _ZN7rocprim17ROCPRIM_400000_NS6detail17trampoline_kernelINS0_14default_configENS1_29reduce_by_key_config_selectorIllN6thrust23THRUST_200600_302600_NS4plusIlEEEEZZNS1_33reduce_by_key_impl_wrapped_configILNS1_25lookback_scan_determinismE0ES3_S9_NS6_18transform_iteratorI6div_opNS6_17counting_iteratorIlNS6_11use_defaultESF_SF_EESF_SF_EENSC_I6mod_opSG_SF_SF_EENS6_6detail15normal_iteratorINS6_10device_ptrIlEEEESO_PmS8_NS6_8equal_toIlEEEE10hipError_tPvRmT2_T3_mT4_T5_T6_T7_T8_P12ihipStream_tbENKUlT_T0_E_clISt17integral_constantIbLb0EES18_IbLb1EEEEDaS14_S15_EUlS14_E_NS1_11comp_targetILNS1_3genE0ELNS1_11target_archE4294967295ELNS1_3gpuE0ELNS1_3repE0EEENS1_30default_config_static_selectorELNS0_4arch9wavefront6targetE1EEEvT1_
	.globl	_ZN7rocprim17ROCPRIM_400000_NS6detail17trampoline_kernelINS0_14default_configENS1_29reduce_by_key_config_selectorIllN6thrust23THRUST_200600_302600_NS4plusIlEEEEZZNS1_33reduce_by_key_impl_wrapped_configILNS1_25lookback_scan_determinismE0ES3_S9_NS6_18transform_iteratorI6div_opNS6_17counting_iteratorIlNS6_11use_defaultESF_SF_EESF_SF_EENSC_I6mod_opSG_SF_SF_EENS6_6detail15normal_iteratorINS6_10device_ptrIlEEEESO_PmS8_NS6_8equal_toIlEEEE10hipError_tPvRmT2_T3_mT4_T5_T6_T7_T8_P12ihipStream_tbENKUlT_T0_E_clISt17integral_constantIbLb0EES18_IbLb1EEEEDaS14_S15_EUlS14_E_NS1_11comp_targetILNS1_3genE0ELNS1_11target_archE4294967295ELNS1_3gpuE0ELNS1_3repE0EEENS1_30default_config_static_selectorELNS0_4arch9wavefront6targetE1EEEvT1_
	.p2align	8
	.type	_ZN7rocprim17ROCPRIM_400000_NS6detail17trampoline_kernelINS0_14default_configENS1_29reduce_by_key_config_selectorIllN6thrust23THRUST_200600_302600_NS4plusIlEEEEZZNS1_33reduce_by_key_impl_wrapped_configILNS1_25lookback_scan_determinismE0ES3_S9_NS6_18transform_iteratorI6div_opNS6_17counting_iteratorIlNS6_11use_defaultESF_SF_EESF_SF_EENSC_I6mod_opSG_SF_SF_EENS6_6detail15normal_iteratorINS6_10device_ptrIlEEEESO_PmS8_NS6_8equal_toIlEEEE10hipError_tPvRmT2_T3_mT4_T5_T6_T7_T8_P12ihipStream_tbENKUlT_T0_E_clISt17integral_constantIbLb0EES18_IbLb1EEEEDaS14_S15_EUlS14_E_NS1_11comp_targetILNS1_3genE0ELNS1_11target_archE4294967295ELNS1_3gpuE0ELNS1_3repE0EEENS1_30default_config_static_selectorELNS0_4arch9wavefront6targetE1EEEvT1_,@function
_ZN7rocprim17ROCPRIM_400000_NS6detail17trampoline_kernelINS0_14default_configENS1_29reduce_by_key_config_selectorIllN6thrust23THRUST_200600_302600_NS4plusIlEEEEZZNS1_33reduce_by_key_impl_wrapped_configILNS1_25lookback_scan_determinismE0ES3_S9_NS6_18transform_iteratorI6div_opNS6_17counting_iteratorIlNS6_11use_defaultESF_SF_EESF_SF_EENSC_I6mod_opSG_SF_SF_EENS6_6detail15normal_iteratorINS6_10device_ptrIlEEEESO_PmS8_NS6_8equal_toIlEEEE10hipError_tPvRmT2_T3_mT4_T5_T6_T7_T8_P12ihipStream_tbENKUlT_T0_E_clISt17integral_constantIbLb0EES18_IbLb1EEEEDaS14_S15_EUlS14_E_NS1_11comp_targetILNS1_3genE0ELNS1_11target_archE4294967295ELNS1_3gpuE0ELNS1_3repE0EEENS1_30default_config_static_selectorELNS0_4arch9wavefront6targetE1EEEvT1_: ; @_ZN7rocprim17ROCPRIM_400000_NS6detail17trampoline_kernelINS0_14default_configENS1_29reduce_by_key_config_selectorIllN6thrust23THRUST_200600_302600_NS4plusIlEEEEZZNS1_33reduce_by_key_impl_wrapped_configILNS1_25lookback_scan_determinismE0ES3_S9_NS6_18transform_iteratorI6div_opNS6_17counting_iteratorIlNS6_11use_defaultESF_SF_EESF_SF_EENSC_I6mod_opSG_SF_SF_EENS6_6detail15normal_iteratorINS6_10device_ptrIlEEEESO_PmS8_NS6_8equal_toIlEEEE10hipError_tPvRmT2_T3_mT4_T5_T6_T7_T8_P12ihipStream_tbENKUlT_T0_E_clISt17integral_constantIbLb0EES18_IbLb1EEEEDaS14_S15_EUlS14_E_NS1_11comp_targetILNS1_3genE0ELNS1_11target_archE4294967295ELNS1_3gpuE0ELNS1_3repE0EEENS1_30default_config_static_selectorELNS0_4arch9wavefront6targetE1EEEvT1_
; %bb.0:
	.section	.rodata,"a",@progbits
	.p2align	6, 0x0
	.amdhsa_kernel _ZN7rocprim17ROCPRIM_400000_NS6detail17trampoline_kernelINS0_14default_configENS1_29reduce_by_key_config_selectorIllN6thrust23THRUST_200600_302600_NS4plusIlEEEEZZNS1_33reduce_by_key_impl_wrapped_configILNS1_25lookback_scan_determinismE0ES3_S9_NS6_18transform_iteratorI6div_opNS6_17counting_iteratorIlNS6_11use_defaultESF_SF_EESF_SF_EENSC_I6mod_opSG_SF_SF_EENS6_6detail15normal_iteratorINS6_10device_ptrIlEEEESO_PmS8_NS6_8equal_toIlEEEE10hipError_tPvRmT2_T3_mT4_T5_T6_T7_T8_P12ihipStream_tbENKUlT_T0_E_clISt17integral_constantIbLb0EES18_IbLb1EEEEDaS14_S15_EUlS14_E_NS1_11comp_targetILNS1_3genE0ELNS1_11target_archE4294967295ELNS1_3gpuE0ELNS1_3repE0EEENS1_30default_config_static_selectorELNS0_4arch9wavefront6targetE1EEEvT1_
		.amdhsa_group_segment_fixed_size 0
		.amdhsa_private_segment_fixed_size 0
		.amdhsa_kernarg_size 152
		.amdhsa_user_sgpr_count 6
		.amdhsa_user_sgpr_private_segment_buffer 1
		.amdhsa_user_sgpr_dispatch_ptr 0
		.amdhsa_user_sgpr_queue_ptr 0
		.amdhsa_user_sgpr_kernarg_segment_ptr 1
		.amdhsa_user_sgpr_dispatch_id 0
		.amdhsa_user_sgpr_flat_scratch_init 0
		.amdhsa_user_sgpr_kernarg_preload_length 0
		.amdhsa_user_sgpr_kernarg_preload_offset 0
		.amdhsa_user_sgpr_private_segment_size 0
		.amdhsa_uses_dynamic_stack 0
		.amdhsa_system_sgpr_private_segment_wavefront_offset 0
		.amdhsa_system_sgpr_workgroup_id_x 1
		.amdhsa_system_sgpr_workgroup_id_y 0
		.amdhsa_system_sgpr_workgroup_id_z 0
		.amdhsa_system_sgpr_workgroup_info 0
		.amdhsa_system_vgpr_workitem_id 0
		.amdhsa_next_free_vgpr 1
		.amdhsa_next_free_sgpr 0
		.amdhsa_accum_offset 4
		.amdhsa_reserve_vcc 0
		.amdhsa_reserve_flat_scratch 0
		.amdhsa_float_round_mode_32 0
		.amdhsa_float_round_mode_16_64 0
		.amdhsa_float_denorm_mode_32 3
		.amdhsa_float_denorm_mode_16_64 3
		.amdhsa_dx10_clamp 1
		.amdhsa_ieee_mode 1
		.amdhsa_fp16_overflow 0
		.amdhsa_tg_split 0
		.amdhsa_exception_fp_ieee_invalid_op 0
		.amdhsa_exception_fp_denorm_src 0
		.amdhsa_exception_fp_ieee_div_zero 0
		.amdhsa_exception_fp_ieee_overflow 0
		.amdhsa_exception_fp_ieee_underflow 0
		.amdhsa_exception_fp_ieee_inexact 0
		.amdhsa_exception_int_div_zero 0
	.end_amdhsa_kernel
	.section	.text._ZN7rocprim17ROCPRIM_400000_NS6detail17trampoline_kernelINS0_14default_configENS1_29reduce_by_key_config_selectorIllN6thrust23THRUST_200600_302600_NS4plusIlEEEEZZNS1_33reduce_by_key_impl_wrapped_configILNS1_25lookback_scan_determinismE0ES3_S9_NS6_18transform_iteratorI6div_opNS6_17counting_iteratorIlNS6_11use_defaultESF_SF_EESF_SF_EENSC_I6mod_opSG_SF_SF_EENS6_6detail15normal_iteratorINS6_10device_ptrIlEEEESO_PmS8_NS6_8equal_toIlEEEE10hipError_tPvRmT2_T3_mT4_T5_T6_T7_T8_P12ihipStream_tbENKUlT_T0_E_clISt17integral_constantIbLb0EES18_IbLb1EEEEDaS14_S15_EUlS14_E_NS1_11comp_targetILNS1_3genE0ELNS1_11target_archE4294967295ELNS1_3gpuE0ELNS1_3repE0EEENS1_30default_config_static_selectorELNS0_4arch9wavefront6targetE1EEEvT1_,"axG",@progbits,_ZN7rocprim17ROCPRIM_400000_NS6detail17trampoline_kernelINS0_14default_configENS1_29reduce_by_key_config_selectorIllN6thrust23THRUST_200600_302600_NS4plusIlEEEEZZNS1_33reduce_by_key_impl_wrapped_configILNS1_25lookback_scan_determinismE0ES3_S9_NS6_18transform_iteratorI6div_opNS6_17counting_iteratorIlNS6_11use_defaultESF_SF_EESF_SF_EENSC_I6mod_opSG_SF_SF_EENS6_6detail15normal_iteratorINS6_10device_ptrIlEEEESO_PmS8_NS6_8equal_toIlEEEE10hipError_tPvRmT2_T3_mT4_T5_T6_T7_T8_P12ihipStream_tbENKUlT_T0_E_clISt17integral_constantIbLb0EES18_IbLb1EEEEDaS14_S15_EUlS14_E_NS1_11comp_targetILNS1_3genE0ELNS1_11target_archE4294967295ELNS1_3gpuE0ELNS1_3repE0EEENS1_30default_config_static_selectorELNS0_4arch9wavefront6targetE1EEEvT1_,comdat
.Lfunc_end1162:
	.size	_ZN7rocprim17ROCPRIM_400000_NS6detail17trampoline_kernelINS0_14default_configENS1_29reduce_by_key_config_selectorIllN6thrust23THRUST_200600_302600_NS4plusIlEEEEZZNS1_33reduce_by_key_impl_wrapped_configILNS1_25lookback_scan_determinismE0ES3_S9_NS6_18transform_iteratorI6div_opNS6_17counting_iteratorIlNS6_11use_defaultESF_SF_EESF_SF_EENSC_I6mod_opSG_SF_SF_EENS6_6detail15normal_iteratorINS6_10device_ptrIlEEEESO_PmS8_NS6_8equal_toIlEEEE10hipError_tPvRmT2_T3_mT4_T5_T6_T7_T8_P12ihipStream_tbENKUlT_T0_E_clISt17integral_constantIbLb0EES18_IbLb1EEEEDaS14_S15_EUlS14_E_NS1_11comp_targetILNS1_3genE0ELNS1_11target_archE4294967295ELNS1_3gpuE0ELNS1_3repE0EEENS1_30default_config_static_selectorELNS0_4arch9wavefront6targetE1EEEvT1_, .Lfunc_end1162-_ZN7rocprim17ROCPRIM_400000_NS6detail17trampoline_kernelINS0_14default_configENS1_29reduce_by_key_config_selectorIllN6thrust23THRUST_200600_302600_NS4plusIlEEEEZZNS1_33reduce_by_key_impl_wrapped_configILNS1_25lookback_scan_determinismE0ES3_S9_NS6_18transform_iteratorI6div_opNS6_17counting_iteratorIlNS6_11use_defaultESF_SF_EESF_SF_EENSC_I6mod_opSG_SF_SF_EENS6_6detail15normal_iteratorINS6_10device_ptrIlEEEESO_PmS8_NS6_8equal_toIlEEEE10hipError_tPvRmT2_T3_mT4_T5_T6_T7_T8_P12ihipStream_tbENKUlT_T0_E_clISt17integral_constantIbLb0EES18_IbLb1EEEEDaS14_S15_EUlS14_E_NS1_11comp_targetILNS1_3genE0ELNS1_11target_archE4294967295ELNS1_3gpuE0ELNS1_3repE0EEENS1_30default_config_static_selectorELNS0_4arch9wavefront6targetE1EEEvT1_
                                        ; -- End function
	.section	.AMDGPU.csdata,"",@progbits
; Kernel info:
; codeLenInByte = 0
; NumSgprs: 4
; NumVgprs: 0
; NumAgprs: 0
; TotalNumVgprs: 0
; ScratchSize: 0
; MemoryBound: 0
; FloatMode: 240
; IeeeMode: 1
; LDSByteSize: 0 bytes/workgroup (compile time only)
; SGPRBlocks: 0
; VGPRBlocks: 0
; NumSGPRsForWavesPerEU: 4
; NumVGPRsForWavesPerEU: 1
; AccumOffset: 4
; Occupancy: 8
; WaveLimiterHint : 0
; COMPUTE_PGM_RSRC2:SCRATCH_EN: 0
; COMPUTE_PGM_RSRC2:USER_SGPR: 6
; COMPUTE_PGM_RSRC2:TRAP_HANDLER: 0
; COMPUTE_PGM_RSRC2:TGID_X_EN: 1
; COMPUTE_PGM_RSRC2:TGID_Y_EN: 0
; COMPUTE_PGM_RSRC2:TGID_Z_EN: 0
; COMPUTE_PGM_RSRC2:TIDIG_COMP_CNT: 0
; COMPUTE_PGM_RSRC3_GFX90A:ACCUM_OFFSET: 0
; COMPUTE_PGM_RSRC3_GFX90A:TG_SPLIT: 0
	.section	.text._ZN7rocprim17ROCPRIM_400000_NS6detail17trampoline_kernelINS0_14default_configENS1_29reduce_by_key_config_selectorIllN6thrust23THRUST_200600_302600_NS4plusIlEEEEZZNS1_33reduce_by_key_impl_wrapped_configILNS1_25lookback_scan_determinismE0ES3_S9_NS6_18transform_iteratorI6div_opNS6_17counting_iteratorIlNS6_11use_defaultESF_SF_EESF_SF_EENSC_I6mod_opSG_SF_SF_EENS6_6detail15normal_iteratorINS6_10device_ptrIlEEEESO_PmS8_NS6_8equal_toIlEEEE10hipError_tPvRmT2_T3_mT4_T5_T6_T7_T8_P12ihipStream_tbENKUlT_T0_E_clISt17integral_constantIbLb0EES18_IbLb1EEEEDaS14_S15_EUlS14_E_NS1_11comp_targetILNS1_3genE5ELNS1_11target_archE942ELNS1_3gpuE9ELNS1_3repE0EEENS1_30default_config_static_selectorELNS0_4arch9wavefront6targetE1EEEvT1_,"axG",@progbits,_ZN7rocprim17ROCPRIM_400000_NS6detail17trampoline_kernelINS0_14default_configENS1_29reduce_by_key_config_selectorIllN6thrust23THRUST_200600_302600_NS4plusIlEEEEZZNS1_33reduce_by_key_impl_wrapped_configILNS1_25lookback_scan_determinismE0ES3_S9_NS6_18transform_iteratorI6div_opNS6_17counting_iteratorIlNS6_11use_defaultESF_SF_EESF_SF_EENSC_I6mod_opSG_SF_SF_EENS6_6detail15normal_iteratorINS6_10device_ptrIlEEEESO_PmS8_NS6_8equal_toIlEEEE10hipError_tPvRmT2_T3_mT4_T5_T6_T7_T8_P12ihipStream_tbENKUlT_T0_E_clISt17integral_constantIbLb0EES18_IbLb1EEEEDaS14_S15_EUlS14_E_NS1_11comp_targetILNS1_3genE5ELNS1_11target_archE942ELNS1_3gpuE9ELNS1_3repE0EEENS1_30default_config_static_selectorELNS0_4arch9wavefront6targetE1EEEvT1_,comdat
	.protected	_ZN7rocprim17ROCPRIM_400000_NS6detail17trampoline_kernelINS0_14default_configENS1_29reduce_by_key_config_selectorIllN6thrust23THRUST_200600_302600_NS4plusIlEEEEZZNS1_33reduce_by_key_impl_wrapped_configILNS1_25lookback_scan_determinismE0ES3_S9_NS6_18transform_iteratorI6div_opNS6_17counting_iteratorIlNS6_11use_defaultESF_SF_EESF_SF_EENSC_I6mod_opSG_SF_SF_EENS6_6detail15normal_iteratorINS6_10device_ptrIlEEEESO_PmS8_NS6_8equal_toIlEEEE10hipError_tPvRmT2_T3_mT4_T5_T6_T7_T8_P12ihipStream_tbENKUlT_T0_E_clISt17integral_constantIbLb0EES18_IbLb1EEEEDaS14_S15_EUlS14_E_NS1_11comp_targetILNS1_3genE5ELNS1_11target_archE942ELNS1_3gpuE9ELNS1_3repE0EEENS1_30default_config_static_selectorELNS0_4arch9wavefront6targetE1EEEvT1_ ; -- Begin function _ZN7rocprim17ROCPRIM_400000_NS6detail17trampoline_kernelINS0_14default_configENS1_29reduce_by_key_config_selectorIllN6thrust23THRUST_200600_302600_NS4plusIlEEEEZZNS1_33reduce_by_key_impl_wrapped_configILNS1_25lookback_scan_determinismE0ES3_S9_NS6_18transform_iteratorI6div_opNS6_17counting_iteratorIlNS6_11use_defaultESF_SF_EESF_SF_EENSC_I6mod_opSG_SF_SF_EENS6_6detail15normal_iteratorINS6_10device_ptrIlEEEESO_PmS8_NS6_8equal_toIlEEEE10hipError_tPvRmT2_T3_mT4_T5_T6_T7_T8_P12ihipStream_tbENKUlT_T0_E_clISt17integral_constantIbLb0EES18_IbLb1EEEEDaS14_S15_EUlS14_E_NS1_11comp_targetILNS1_3genE5ELNS1_11target_archE942ELNS1_3gpuE9ELNS1_3repE0EEENS1_30default_config_static_selectorELNS0_4arch9wavefront6targetE1EEEvT1_
	.globl	_ZN7rocprim17ROCPRIM_400000_NS6detail17trampoline_kernelINS0_14default_configENS1_29reduce_by_key_config_selectorIllN6thrust23THRUST_200600_302600_NS4plusIlEEEEZZNS1_33reduce_by_key_impl_wrapped_configILNS1_25lookback_scan_determinismE0ES3_S9_NS6_18transform_iteratorI6div_opNS6_17counting_iteratorIlNS6_11use_defaultESF_SF_EESF_SF_EENSC_I6mod_opSG_SF_SF_EENS6_6detail15normal_iteratorINS6_10device_ptrIlEEEESO_PmS8_NS6_8equal_toIlEEEE10hipError_tPvRmT2_T3_mT4_T5_T6_T7_T8_P12ihipStream_tbENKUlT_T0_E_clISt17integral_constantIbLb0EES18_IbLb1EEEEDaS14_S15_EUlS14_E_NS1_11comp_targetILNS1_3genE5ELNS1_11target_archE942ELNS1_3gpuE9ELNS1_3repE0EEENS1_30default_config_static_selectorELNS0_4arch9wavefront6targetE1EEEvT1_
	.p2align	8
	.type	_ZN7rocprim17ROCPRIM_400000_NS6detail17trampoline_kernelINS0_14default_configENS1_29reduce_by_key_config_selectorIllN6thrust23THRUST_200600_302600_NS4plusIlEEEEZZNS1_33reduce_by_key_impl_wrapped_configILNS1_25lookback_scan_determinismE0ES3_S9_NS6_18transform_iteratorI6div_opNS6_17counting_iteratorIlNS6_11use_defaultESF_SF_EESF_SF_EENSC_I6mod_opSG_SF_SF_EENS6_6detail15normal_iteratorINS6_10device_ptrIlEEEESO_PmS8_NS6_8equal_toIlEEEE10hipError_tPvRmT2_T3_mT4_T5_T6_T7_T8_P12ihipStream_tbENKUlT_T0_E_clISt17integral_constantIbLb0EES18_IbLb1EEEEDaS14_S15_EUlS14_E_NS1_11comp_targetILNS1_3genE5ELNS1_11target_archE942ELNS1_3gpuE9ELNS1_3repE0EEENS1_30default_config_static_selectorELNS0_4arch9wavefront6targetE1EEEvT1_,@function
_ZN7rocprim17ROCPRIM_400000_NS6detail17trampoline_kernelINS0_14default_configENS1_29reduce_by_key_config_selectorIllN6thrust23THRUST_200600_302600_NS4plusIlEEEEZZNS1_33reduce_by_key_impl_wrapped_configILNS1_25lookback_scan_determinismE0ES3_S9_NS6_18transform_iteratorI6div_opNS6_17counting_iteratorIlNS6_11use_defaultESF_SF_EESF_SF_EENSC_I6mod_opSG_SF_SF_EENS6_6detail15normal_iteratorINS6_10device_ptrIlEEEESO_PmS8_NS6_8equal_toIlEEEE10hipError_tPvRmT2_T3_mT4_T5_T6_T7_T8_P12ihipStream_tbENKUlT_T0_E_clISt17integral_constantIbLb0EES18_IbLb1EEEEDaS14_S15_EUlS14_E_NS1_11comp_targetILNS1_3genE5ELNS1_11target_archE942ELNS1_3gpuE9ELNS1_3repE0EEENS1_30default_config_static_selectorELNS0_4arch9wavefront6targetE1EEEvT1_: ; @_ZN7rocprim17ROCPRIM_400000_NS6detail17trampoline_kernelINS0_14default_configENS1_29reduce_by_key_config_selectorIllN6thrust23THRUST_200600_302600_NS4plusIlEEEEZZNS1_33reduce_by_key_impl_wrapped_configILNS1_25lookback_scan_determinismE0ES3_S9_NS6_18transform_iteratorI6div_opNS6_17counting_iteratorIlNS6_11use_defaultESF_SF_EESF_SF_EENSC_I6mod_opSG_SF_SF_EENS6_6detail15normal_iteratorINS6_10device_ptrIlEEEESO_PmS8_NS6_8equal_toIlEEEE10hipError_tPvRmT2_T3_mT4_T5_T6_T7_T8_P12ihipStream_tbENKUlT_T0_E_clISt17integral_constantIbLb0EES18_IbLb1EEEEDaS14_S15_EUlS14_E_NS1_11comp_targetILNS1_3genE5ELNS1_11target_archE942ELNS1_3gpuE9ELNS1_3repE0EEENS1_30default_config_static_selectorELNS0_4arch9wavefront6targetE1EEEvT1_
; %bb.0:
	.section	.rodata,"a",@progbits
	.p2align	6, 0x0
	.amdhsa_kernel _ZN7rocprim17ROCPRIM_400000_NS6detail17trampoline_kernelINS0_14default_configENS1_29reduce_by_key_config_selectorIllN6thrust23THRUST_200600_302600_NS4plusIlEEEEZZNS1_33reduce_by_key_impl_wrapped_configILNS1_25lookback_scan_determinismE0ES3_S9_NS6_18transform_iteratorI6div_opNS6_17counting_iteratorIlNS6_11use_defaultESF_SF_EESF_SF_EENSC_I6mod_opSG_SF_SF_EENS6_6detail15normal_iteratorINS6_10device_ptrIlEEEESO_PmS8_NS6_8equal_toIlEEEE10hipError_tPvRmT2_T3_mT4_T5_T6_T7_T8_P12ihipStream_tbENKUlT_T0_E_clISt17integral_constantIbLb0EES18_IbLb1EEEEDaS14_S15_EUlS14_E_NS1_11comp_targetILNS1_3genE5ELNS1_11target_archE942ELNS1_3gpuE9ELNS1_3repE0EEENS1_30default_config_static_selectorELNS0_4arch9wavefront6targetE1EEEvT1_
		.amdhsa_group_segment_fixed_size 0
		.amdhsa_private_segment_fixed_size 0
		.amdhsa_kernarg_size 152
		.amdhsa_user_sgpr_count 6
		.amdhsa_user_sgpr_private_segment_buffer 1
		.amdhsa_user_sgpr_dispatch_ptr 0
		.amdhsa_user_sgpr_queue_ptr 0
		.amdhsa_user_sgpr_kernarg_segment_ptr 1
		.amdhsa_user_sgpr_dispatch_id 0
		.amdhsa_user_sgpr_flat_scratch_init 0
		.amdhsa_user_sgpr_kernarg_preload_length 0
		.amdhsa_user_sgpr_kernarg_preload_offset 0
		.amdhsa_user_sgpr_private_segment_size 0
		.amdhsa_uses_dynamic_stack 0
		.amdhsa_system_sgpr_private_segment_wavefront_offset 0
		.amdhsa_system_sgpr_workgroup_id_x 1
		.amdhsa_system_sgpr_workgroup_id_y 0
		.amdhsa_system_sgpr_workgroup_id_z 0
		.amdhsa_system_sgpr_workgroup_info 0
		.amdhsa_system_vgpr_workitem_id 0
		.amdhsa_next_free_vgpr 1
		.amdhsa_next_free_sgpr 0
		.amdhsa_accum_offset 4
		.amdhsa_reserve_vcc 0
		.amdhsa_reserve_flat_scratch 0
		.amdhsa_float_round_mode_32 0
		.amdhsa_float_round_mode_16_64 0
		.amdhsa_float_denorm_mode_32 3
		.amdhsa_float_denorm_mode_16_64 3
		.amdhsa_dx10_clamp 1
		.amdhsa_ieee_mode 1
		.amdhsa_fp16_overflow 0
		.amdhsa_tg_split 0
		.amdhsa_exception_fp_ieee_invalid_op 0
		.amdhsa_exception_fp_denorm_src 0
		.amdhsa_exception_fp_ieee_div_zero 0
		.amdhsa_exception_fp_ieee_overflow 0
		.amdhsa_exception_fp_ieee_underflow 0
		.amdhsa_exception_fp_ieee_inexact 0
		.amdhsa_exception_int_div_zero 0
	.end_amdhsa_kernel
	.section	.text._ZN7rocprim17ROCPRIM_400000_NS6detail17trampoline_kernelINS0_14default_configENS1_29reduce_by_key_config_selectorIllN6thrust23THRUST_200600_302600_NS4plusIlEEEEZZNS1_33reduce_by_key_impl_wrapped_configILNS1_25lookback_scan_determinismE0ES3_S9_NS6_18transform_iteratorI6div_opNS6_17counting_iteratorIlNS6_11use_defaultESF_SF_EESF_SF_EENSC_I6mod_opSG_SF_SF_EENS6_6detail15normal_iteratorINS6_10device_ptrIlEEEESO_PmS8_NS6_8equal_toIlEEEE10hipError_tPvRmT2_T3_mT4_T5_T6_T7_T8_P12ihipStream_tbENKUlT_T0_E_clISt17integral_constantIbLb0EES18_IbLb1EEEEDaS14_S15_EUlS14_E_NS1_11comp_targetILNS1_3genE5ELNS1_11target_archE942ELNS1_3gpuE9ELNS1_3repE0EEENS1_30default_config_static_selectorELNS0_4arch9wavefront6targetE1EEEvT1_,"axG",@progbits,_ZN7rocprim17ROCPRIM_400000_NS6detail17trampoline_kernelINS0_14default_configENS1_29reduce_by_key_config_selectorIllN6thrust23THRUST_200600_302600_NS4plusIlEEEEZZNS1_33reduce_by_key_impl_wrapped_configILNS1_25lookback_scan_determinismE0ES3_S9_NS6_18transform_iteratorI6div_opNS6_17counting_iteratorIlNS6_11use_defaultESF_SF_EESF_SF_EENSC_I6mod_opSG_SF_SF_EENS6_6detail15normal_iteratorINS6_10device_ptrIlEEEESO_PmS8_NS6_8equal_toIlEEEE10hipError_tPvRmT2_T3_mT4_T5_T6_T7_T8_P12ihipStream_tbENKUlT_T0_E_clISt17integral_constantIbLb0EES18_IbLb1EEEEDaS14_S15_EUlS14_E_NS1_11comp_targetILNS1_3genE5ELNS1_11target_archE942ELNS1_3gpuE9ELNS1_3repE0EEENS1_30default_config_static_selectorELNS0_4arch9wavefront6targetE1EEEvT1_,comdat
.Lfunc_end1163:
	.size	_ZN7rocprim17ROCPRIM_400000_NS6detail17trampoline_kernelINS0_14default_configENS1_29reduce_by_key_config_selectorIllN6thrust23THRUST_200600_302600_NS4plusIlEEEEZZNS1_33reduce_by_key_impl_wrapped_configILNS1_25lookback_scan_determinismE0ES3_S9_NS6_18transform_iteratorI6div_opNS6_17counting_iteratorIlNS6_11use_defaultESF_SF_EESF_SF_EENSC_I6mod_opSG_SF_SF_EENS6_6detail15normal_iteratorINS6_10device_ptrIlEEEESO_PmS8_NS6_8equal_toIlEEEE10hipError_tPvRmT2_T3_mT4_T5_T6_T7_T8_P12ihipStream_tbENKUlT_T0_E_clISt17integral_constantIbLb0EES18_IbLb1EEEEDaS14_S15_EUlS14_E_NS1_11comp_targetILNS1_3genE5ELNS1_11target_archE942ELNS1_3gpuE9ELNS1_3repE0EEENS1_30default_config_static_selectorELNS0_4arch9wavefront6targetE1EEEvT1_, .Lfunc_end1163-_ZN7rocprim17ROCPRIM_400000_NS6detail17trampoline_kernelINS0_14default_configENS1_29reduce_by_key_config_selectorIllN6thrust23THRUST_200600_302600_NS4plusIlEEEEZZNS1_33reduce_by_key_impl_wrapped_configILNS1_25lookback_scan_determinismE0ES3_S9_NS6_18transform_iteratorI6div_opNS6_17counting_iteratorIlNS6_11use_defaultESF_SF_EESF_SF_EENSC_I6mod_opSG_SF_SF_EENS6_6detail15normal_iteratorINS6_10device_ptrIlEEEESO_PmS8_NS6_8equal_toIlEEEE10hipError_tPvRmT2_T3_mT4_T5_T6_T7_T8_P12ihipStream_tbENKUlT_T0_E_clISt17integral_constantIbLb0EES18_IbLb1EEEEDaS14_S15_EUlS14_E_NS1_11comp_targetILNS1_3genE5ELNS1_11target_archE942ELNS1_3gpuE9ELNS1_3repE0EEENS1_30default_config_static_selectorELNS0_4arch9wavefront6targetE1EEEvT1_
                                        ; -- End function
	.section	.AMDGPU.csdata,"",@progbits
; Kernel info:
; codeLenInByte = 0
; NumSgprs: 4
; NumVgprs: 0
; NumAgprs: 0
; TotalNumVgprs: 0
; ScratchSize: 0
; MemoryBound: 0
; FloatMode: 240
; IeeeMode: 1
; LDSByteSize: 0 bytes/workgroup (compile time only)
; SGPRBlocks: 0
; VGPRBlocks: 0
; NumSGPRsForWavesPerEU: 4
; NumVGPRsForWavesPerEU: 1
; AccumOffset: 4
; Occupancy: 8
; WaveLimiterHint : 0
; COMPUTE_PGM_RSRC2:SCRATCH_EN: 0
; COMPUTE_PGM_RSRC2:USER_SGPR: 6
; COMPUTE_PGM_RSRC2:TRAP_HANDLER: 0
; COMPUTE_PGM_RSRC2:TGID_X_EN: 1
; COMPUTE_PGM_RSRC2:TGID_Y_EN: 0
; COMPUTE_PGM_RSRC2:TGID_Z_EN: 0
; COMPUTE_PGM_RSRC2:TIDIG_COMP_CNT: 0
; COMPUTE_PGM_RSRC3_GFX90A:ACCUM_OFFSET: 0
; COMPUTE_PGM_RSRC3_GFX90A:TG_SPLIT: 0
	.section	.text._ZN7rocprim17ROCPRIM_400000_NS6detail17trampoline_kernelINS0_14default_configENS1_29reduce_by_key_config_selectorIllN6thrust23THRUST_200600_302600_NS4plusIlEEEEZZNS1_33reduce_by_key_impl_wrapped_configILNS1_25lookback_scan_determinismE0ES3_S9_NS6_18transform_iteratorI6div_opNS6_17counting_iteratorIlNS6_11use_defaultESF_SF_EESF_SF_EENSC_I6mod_opSG_SF_SF_EENS6_6detail15normal_iteratorINS6_10device_ptrIlEEEESO_PmS8_NS6_8equal_toIlEEEE10hipError_tPvRmT2_T3_mT4_T5_T6_T7_T8_P12ihipStream_tbENKUlT_T0_E_clISt17integral_constantIbLb0EES18_IbLb1EEEEDaS14_S15_EUlS14_E_NS1_11comp_targetILNS1_3genE4ELNS1_11target_archE910ELNS1_3gpuE8ELNS1_3repE0EEENS1_30default_config_static_selectorELNS0_4arch9wavefront6targetE1EEEvT1_,"axG",@progbits,_ZN7rocprim17ROCPRIM_400000_NS6detail17trampoline_kernelINS0_14default_configENS1_29reduce_by_key_config_selectorIllN6thrust23THRUST_200600_302600_NS4plusIlEEEEZZNS1_33reduce_by_key_impl_wrapped_configILNS1_25lookback_scan_determinismE0ES3_S9_NS6_18transform_iteratorI6div_opNS6_17counting_iteratorIlNS6_11use_defaultESF_SF_EESF_SF_EENSC_I6mod_opSG_SF_SF_EENS6_6detail15normal_iteratorINS6_10device_ptrIlEEEESO_PmS8_NS6_8equal_toIlEEEE10hipError_tPvRmT2_T3_mT4_T5_T6_T7_T8_P12ihipStream_tbENKUlT_T0_E_clISt17integral_constantIbLb0EES18_IbLb1EEEEDaS14_S15_EUlS14_E_NS1_11comp_targetILNS1_3genE4ELNS1_11target_archE910ELNS1_3gpuE8ELNS1_3repE0EEENS1_30default_config_static_selectorELNS0_4arch9wavefront6targetE1EEEvT1_,comdat
	.protected	_ZN7rocprim17ROCPRIM_400000_NS6detail17trampoline_kernelINS0_14default_configENS1_29reduce_by_key_config_selectorIllN6thrust23THRUST_200600_302600_NS4plusIlEEEEZZNS1_33reduce_by_key_impl_wrapped_configILNS1_25lookback_scan_determinismE0ES3_S9_NS6_18transform_iteratorI6div_opNS6_17counting_iteratorIlNS6_11use_defaultESF_SF_EESF_SF_EENSC_I6mod_opSG_SF_SF_EENS6_6detail15normal_iteratorINS6_10device_ptrIlEEEESO_PmS8_NS6_8equal_toIlEEEE10hipError_tPvRmT2_T3_mT4_T5_T6_T7_T8_P12ihipStream_tbENKUlT_T0_E_clISt17integral_constantIbLb0EES18_IbLb1EEEEDaS14_S15_EUlS14_E_NS1_11comp_targetILNS1_3genE4ELNS1_11target_archE910ELNS1_3gpuE8ELNS1_3repE0EEENS1_30default_config_static_selectorELNS0_4arch9wavefront6targetE1EEEvT1_ ; -- Begin function _ZN7rocprim17ROCPRIM_400000_NS6detail17trampoline_kernelINS0_14default_configENS1_29reduce_by_key_config_selectorIllN6thrust23THRUST_200600_302600_NS4plusIlEEEEZZNS1_33reduce_by_key_impl_wrapped_configILNS1_25lookback_scan_determinismE0ES3_S9_NS6_18transform_iteratorI6div_opNS6_17counting_iteratorIlNS6_11use_defaultESF_SF_EESF_SF_EENSC_I6mod_opSG_SF_SF_EENS6_6detail15normal_iteratorINS6_10device_ptrIlEEEESO_PmS8_NS6_8equal_toIlEEEE10hipError_tPvRmT2_T3_mT4_T5_T6_T7_T8_P12ihipStream_tbENKUlT_T0_E_clISt17integral_constantIbLb0EES18_IbLb1EEEEDaS14_S15_EUlS14_E_NS1_11comp_targetILNS1_3genE4ELNS1_11target_archE910ELNS1_3gpuE8ELNS1_3repE0EEENS1_30default_config_static_selectorELNS0_4arch9wavefront6targetE1EEEvT1_
	.globl	_ZN7rocprim17ROCPRIM_400000_NS6detail17trampoline_kernelINS0_14default_configENS1_29reduce_by_key_config_selectorIllN6thrust23THRUST_200600_302600_NS4plusIlEEEEZZNS1_33reduce_by_key_impl_wrapped_configILNS1_25lookback_scan_determinismE0ES3_S9_NS6_18transform_iteratorI6div_opNS6_17counting_iteratorIlNS6_11use_defaultESF_SF_EESF_SF_EENSC_I6mod_opSG_SF_SF_EENS6_6detail15normal_iteratorINS6_10device_ptrIlEEEESO_PmS8_NS6_8equal_toIlEEEE10hipError_tPvRmT2_T3_mT4_T5_T6_T7_T8_P12ihipStream_tbENKUlT_T0_E_clISt17integral_constantIbLb0EES18_IbLb1EEEEDaS14_S15_EUlS14_E_NS1_11comp_targetILNS1_3genE4ELNS1_11target_archE910ELNS1_3gpuE8ELNS1_3repE0EEENS1_30default_config_static_selectorELNS0_4arch9wavefront6targetE1EEEvT1_
	.p2align	8
	.type	_ZN7rocprim17ROCPRIM_400000_NS6detail17trampoline_kernelINS0_14default_configENS1_29reduce_by_key_config_selectorIllN6thrust23THRUST_200600_302600_NS4plusIlEEEEZZNS1_33reduce_by_key_impl_wrapped_configILNS1_25lookback_scan_determinismE0ES3_S9_NS6_18transform_iteratorI6div_opNS6_17counting_iteratorIlNS6_11use_defaultESF_SF_EESF_SF_EENSC_I6mod_opSG_SF_SF_EENS6_6detail15normal_iteratorINS6_10device_ptrIlEEEESO_PmS8_NS6_8equal_toIlEEEE10hipError_tPvRmT2_T3_mT4_T5_T6_T7_T8_P12ihipStream_tbENKUlT_T0_E_clISt17integral_constantIbLb0EES18_IbLb1EEEEDaS14_S15_EUlS14_E_NS1_11comp_targetILNS1_3genE4ELNS1_11target_archE910ELNS1_3gpuE8ELNS1_3repE0EEENS1_30default_config_static_selectorELNS0_4arch9wavefront6targetE1EEEvT1_,@function
_ZN7rocprim17ROCPRIM_400000_NS6detail17trampoline_kernelINS0_14default_configENS1_29reduce_by_key_config_selectorIllN6thrust23THRUST_200600_302600_NS4plusIlEEEEZZNS1_33reduce_by_key_impl_wrapped_configILNS1_25lookback_scan_determinismE0ES3_S9_NS6_18transform_iteratorI6div_opNS6_17counting_iteratorIlNS6_11use_defaultESF_SF_EESF_SF_EENSC_I6mod_opSG_SF_SF_EENS6_6detail15normal_iteratorINS6_10device_ptrIlEEEESO_PmS8_NS6_8equal_toIlEEEE10hipError_tPvRmT2_T3_mT4_T5_T6_T7_T8_P12ihipStream_tbENKUlT_T0_E_clISt17integral_constantIbLb0EES18_IbLb1EEEEDaS14_S15_EUlS14_E_NS1_11comp_targetILNS1_3genE4ELNS1_11target_archE910ELNS1_3gpuE8ELNS1_3repE0EEENS1_30default_config_static_selectorELNS0_4arch9wavefront6targetE1EEEvT1_: ; @_ZN7rocprim17ROCPRIM_400000_NS6detail17trampoline_kernelINS0_14default_configENS1_29reduce_by_key_config_selectorIllN6thrust23THRUST_200600_302600_NS4plusIlEEEEZZNS1_33reduce_by_key_impl_wrapped_configILNS1_25lookback_scan_determinismE0ES3_S9_NS6_18transform_iteratorI6div_opNS6_17counting_iteratorIlNS6_11use_defaultESF_SF_EESF_SF_EENSC_I6mod_opSG_SF_SF_EENS6_6detail15normal_iteratorINS6_10device_ptrIlEEEESO_PmS8_NS6_8equal_toIlEEEE10hipError_tPvRmT2_T3_mT4_T5_T6_T7_T8_P12ihipStream_tbENKUlT_T0_E_clISt17integral_constantIbLb0EES18_IbLb1EEEEDaS14_S15_EUlS14_E_NS1_11comp_targetILNS1_3genE4ELNS1_11target_archE910ELNS1_3gpuE8ELNS1_3repE0EEENS1_30default_config_static_selectorELNS0_4arch9wavefront6targetE1EEEvT1_
; %bb.0:
	s_load_dwordx2 s[68:69], s[4:5], 0x88
	v_cmp_ne_u32_e64 s[2:3], 0, v0
	v_cmp_eq_u32_e64 s[0:1], 0, v0
	s_and_saveexec_b64 s[6:7], s[0:1]
	s_cbranch_execz .LBB1164_4
; %bb.1:
	s_mov_b64 s[10:11], exec
	v_mbcnt_lo_u32_b32 v1, s10, 0
	v_mbcnt_hi_u32_b32 v1, s11, v1
	v_cmp_eq_u32_e32 vcc, 0, v1
                                        ; implicit-def: $vgpr2
	s_and_saveexec_b64 s[8:9], vcc
	s_cbranch_execz .LBB1164_3
; %bb.2:
	s_load_dwordx2 s[12:13], s[4:5], 0x90
	s_bcnt1_i32_b64 s10, s[10:11]
	v_mov_b32_e32 v2, 0
	v_mov_b32_e32 v3, s10
	s_waitcnt lgkmcnt(0)
	global_atomic_add v2, v2, v3, s[12:13] glc
.LBB1164_3:
	s_or_b64 exec, exec, s[8:9]
	s_waitcnt vmcnt(0)
	v_readfirstlane_b32 s8, v2
	v_add_u32_e32 v1, s8, v1
	v_mov_b32_e32 v2, 0
	ds_write_b32 v2, v1
.LBB1164_4:
	s_or_b64 exec, exec, s[6:7]
	s_load_dwordx16 s[36:51], s[4:5], 0x0
	s_load_dwordx16 s[52:67], s[4:5], 0x48
	v_mov_b32_e32 v2, 0
	s_waitcnt lgkmcnt(0)
	s_barrier
	ds_read_b32 v1, v2
	s_add_u32 s4, s40, s36
	s_addc_u32 s5, s41, s37
	s_add_u32 s6, s42, s40
	s_mul_i32 s8, s60, s59
	s_mul_hi_u32 s9, s60, s58
	s_addc_u32 s7, s43, s41
	s_add_i32 s8, s9, s8
	s_mul_i32 s9, s61, s58
	s_waitcnt lgkmcnt(0)
	v_readfirstlane_b32 s33, v1
	s_add_i32 s8, s8, s9
	s_mul_i32 s10, s33, 0xf00
	s_add_u32 s76, s4, s10
	s_addc_u32 s77, s5, 0
	s_add_u32 s78, s6, s10
	s_mul_i32 s9, s60, s58
	s_addc_u32 s79, s7, 0
	s_add_u32 s42, s9, s33
	s_addc_u32 s43, s8, 0
	s_add_u32 s6, s62, -1
	s_addc_u32 s7, s63, -1
	s_cmp_eq_u64 s[42:43], s[6:7]
	s_cselect_b64 s[40:41], -1, 0
	s_cmp_lg_u64 s[42:43], s[6:7]
	s_mov_b64 s[4:5], -1
	s_cselect_b64 s[60:61], -1, 0
	s_mul_i32 s80, s6, 0xfffff100
	s_and_b64 vcc, exec, s[40:41]
	s_barrier
	s_cbranch_vccnz .LBB1164_126
; %bb.5:
	v_mov_b32_e32 v1, s77
	v_add_co_u32_e32 v30, vcc, s76, v0
	v_addc_co_u32_e32 v1, vcc, 0, v1, vcc
	v_or_b32_e32 v3, s39, v1
	v_cmp_ne_u64_e32 vcc, 0, v[2:3]
                                        ; implicit-def: $vgpr2_vgpr3
	s_and_saveexec_b64 s[4:5], vcc
	s_xor_b64 s[6:7], exec, s[4:5]
	s_cbranch_execz .LBB1164_7
; %bb.6:
	s_ashr_i32 s8, s39, 31
	s_add_u32 s4, s38, s8
	s_mov_b32 s9, s8
	s_addc_u32 s5, s39, s8
	s_xor_b64 s[10:11], s[4:5], s[8:9]
	v_cvt_f32_u32_e32 v2, s10
	v_cvt_f32_u32_e32 v3, s11
	s_sub_u32 s4, 0, s10
	s_subb_u32 s5, 0, s11
	v_madmk_f32 v2, v3, 0x4f800000, v2
	v_rcp_f32_e32 v2, v2
	v_mul_f32_e32 v2, 0x5f7ffffc, v2
	v_mul_f32_e32 v3, 0x2f800000, v2
	v_trunc_f32_e32 v3, v3
	v_madmk_f32 v2, v3, 0xcf800000, v2
	v_cvt_u32_f32_e32 v3, v3
	v_cvt_u32_f32_e32 v2, v2
	v_mul_lo_u32 v4, s4, v3
	v_mul_hi_u32 v6, s4, v2
	v_mul_lo_u32 v5, s5, v2
	v_add_u32_e32 v4, v6, v4
	v_mul_lo_u32 v7, s4, v2
	v_add_u32_e32 v4, v4, v5
	v_mul_lo_u32 v6, v2, v4
	v_mul_hi_u32 v8, v2, v7
	v_mul_hi_u32 v5, v2, v4
	v_add_co_u32_e32 v6, vcc, v8, v6
	v_addc_co_u32_e32 v5, vcc, 0, v5, vcc
	v_mul_hi_u32 v9, v3, v7
	v_mul_lo_u32 v7, v3, v7
	v_add_co_u32_e32 v6, vcc, v6, v7
	v_mul_hi_u32 v8, v3, v4
	v_addc_co_u32_e32 v5, vcc, v5, v9, vcc
	v_addc_co_u32_e32 v6, vcc, 0, v8, vcc
	v_mul_lo_u32 v4, v3, v4
	v_add_co_u32_e32 v4, vcc, v5, v4
	v_addc_co_u32_e32 v5, vcc, 0, v6, vcc
	v_add_co_u32_e32 v2, vcc, v2, v4
	v_addc_co_u32_e32 v3, vcc, v3, v5, vcc
	v_mul_lo_u32 v4, s4, v3
	v_mul_hi_u32 v5, s4, v2
	v_add_u32_e32 v4, v5, v4
	v_mul_lo_u32 v5, s5, v2
	v_add_u32_e32 v4, v4, v5
	v_mul_lo_u32 v6, s4, v2
	v_mul_hi_u32 v7, v3, v6
	v_mul_lo_u32 v8, v3, v6
	v_mul_lo_u32 v10, v2, v4
	v_mul_hi_u32 v6, v2, v6
	v_mul_hi_u32 v9, v2, v4
	v_add_co_u32_e32 v6, vcc, v6, v10
	v_addc_co_u32_e32 v9, vcc, 0, v9, vcc
	v_add_co_u32_e32 v6, vcc, v6, v8
	v_mul_hi_u32 v5, v3, v4
	v_addc_co_u32_e32 v6, vcc, v9, v7, vcc
	v_addc_co_u32_e32 v5, vcc, 0, v5, vcc
	v_mul_lo_u32 v4, v3, v4
	v_add_co_u32_e32 v4, vcc, v6, v4
	v_addc_co_u32_e32 v5, vcc, 0, v5, vcc
	v_add_co_u32_e32 v4, vcc, v2, v4
	v_addc_co_u32_e32 v5, vcc, v3, v5, vcc
	v_ashrrev_i32_e32 v6, 31, v1
	v_add_co_u32_e32 v2, vcc, v30, v6
	v_addc_co_u32_e32 v3, vcc, v1, v6, vcc
	v_xor_b32_e32 v8, v2, v6
	v_xor_b32_e32 v7, v3, v6
	v_mad_u64_u32 v[2:3], s[4:5], v8, v5, 0
	v_mul_hi_u32 v9, v8, v4
	v_add_co_u32_e32 v9, vcc, v9, v2
	v_addc_co_u32_e32 v10, vcc, 0, v3, vcc
	v_mad_u64_u32 v[2:3], s[4:5], v7, v5, 0
	v_mad_u64_u32 v[4:5], s[4:5], v7, v4, 0
	v_add_co_u32_e32 v4, vcc, v9, v4
	v_addc_co_u32_e32 v4, vcc, v10, v5, vcc
	v_addc_co_u32_e32 v3, vcc, 0, v3, vcc
	v_add_co_u32_e32 v4, vcc, v4, v2
	v_addc_co_u32_e32 v5, vcc, 0, v3, vcc
	v_mul_lo_u32 v9, s11, v4
	v_mul_lo_u32 v10, s10, v5
	v_mad_u64_u32 v[2:3], s[4:5], s10, v4, 0
	v_add3_u32 v3, v3, v10, v9
	v_sub_u32_e32 v9, v7, v3
	v_mov_b32_e32 v10, s11
	v_sub_co_u32_e32 v2, vcc, v8, v2
	v_subb_co_u32_e64 v8, s[4:5], v9, v10, vcc
	v_subrev_co_u32_e64 v9, s[4:5], s10, v2
	v_subbrev_co_u32_e64 v8, s[4:5], 0, v8, s[4:5]
	v_cmp_le_u32_e64 s[4:5], s11, v8
	v_cndmask_b32_e64 v10, 0, -1, s[4:5]
	v_cmp_le_u32_e64 s[4:5], s10, v9
	v_cndmask_b32_e64 v9, 0, -1, s[4:5]
	v_cmp_eq_u32_e64 s[4:5], s11, v8
	v_cndmask_b32_e64 v8, v10, v9, s[4:5]
	v_add_co_u32_e64 v9, s[4:5], 2, v4
	v_subb_co_u32_e32 v3, vcc, v7, v3, vcc
	v_addc_co_u32_e64 v10, s[4:5], 0, v5, s[4:5]
	v_cmp_le_u32_e32 vcc, s11, v3
	v_add_co_u32_e64 v11, s[4:5], 1, v4
	v_cndmask_b32_e64 v7, 0, -1, vcc
	v_cmp_le_u32_e32 vcc, s10, v2
	v_addc_co_u32_e64 v12, s[4:5], 0, v5, s[4:5]
	v_cndmask_b32_e64 v2, 0, -1, vcc
	v_cmp_eq_u32_e32 vcc, s11, v3
	v_cmp_ne_u32_e64 s[4:5], 0, v8
	v_cndmask_b32_e32 v2, v7, v2, vcc
	v_cndmask_b32_e64 v8, v12, v10, s[4:5]
	v_cmp_ne_u32_e32 vcc, 0, v2
	v_cndmask_b32_e64 v3, v11, v9, s[4:5]
	v_cndmask_b32_e32 v2, v5, v8, vcc
	v_cndmask_b32_e32 v3, v4, v3, vcc
	v_xor_b32_e32 v4, s8, v6
	v_xor_b32_e32 v5, v2, v4
	;; [unrolled: 1-line block ×3, first 2 shown]
	v_sub_co_u32_e32 v2, vcc, v2, v4
	v_subb_co_u32_e32 v3, vcc, v5, v4, vcc
.LBB1164_7:
	s_andn2_saveexec_b64 s[4:5], s[6:7]
	s_cbranch_execz .LBB1164_9
; %bb.8:
	v_cvt_f32_u32_e32 v2, s38
	s_sub_i32 s6, 0, s38
	v_rcp_iflag_f32_e32 v2, v2
	v_mul_f32_e32 v2, 0x4f7ffffe, v2
	v_cvt_u32_f32_e32 v2, v2
	v_mul_lo_u32 v3, s6, v2
	v_mul_hi_u32 v3, v2, v3
	v_add_u32_e32 v2, v2, v3
	v_mul_hi_u32 v2, v30, v2
	v_mul_lo_u32 v3, v2, s38
	v_sub_u32_e32 v3, v30, v3
	v_add_u32_e32 v4, 1, v2
	v_subrev_u32_e32 v5, s38, v3
	v_cmp_le_u32_e32 vcc, s38, v3
	v_cndmask_b32_e32 v3, v3, v5, vcc
	v_cndmask_b32_e32 v2, v2, v4, vcc
	v_add_u32_e32 v4, 1, v2
	v_cmp_le_u32_e32 vcc, s38, v3
	v_cndmask_b32_e32 v2, v2, v4, vcc
	v_mov_b32_e32 v3, 0
.LBB1164_9:
	s_or_b64 exec, exec, s[4:5]
	v_add_co_u32_e32 v6, vcc, 0x100, v30
	v_addc_co_u32_e32 v7, vcc, 0, v1, vcc
	v_or_b32_e32 v5, s39, v7
	v_mov_b32_e32 v4, 0
	v_cmp_ne_u64_e32 vcc, 0, v[4:5]
                                        ; implicit-def: $vgpr4_vgpr5
	s_and_saveexec_b64 s[4:5], vcc
	s_xor_b64 s[6:7], exec, s[4:5]
	s_cbranch_execz .LBB1164_11
; %bb.10:
	s_ashr_i32 s8, s39, 31
	s_add_u32 s4, s38, s8
	s_mov_b32 s9, s8
	s_addc_u32 s5, s39, s8
	s_xor_b64 s[10:11], s[4:5], s[8:9]
	v_cvt_f32_u32_e32 v4, s10
	v_cvt_f32_u32_e32 v5, s11
	s_sub_u32 s4, 0, s10
	s_subb_u32 s5, 0, s11
	v_madmk_f32 v4, v5, 0x4f800000, v4
	v_rcp_f32_e32 v4, v4
	v_mul_f32_e32 v4, 0x5f7ffffc, v4
	v_mul_f32_e32 v5, 0x2f800000, v4
	v_trunc_f32_e32 v5, v5
	v_madmk_f32 v4, v5, 0xcf800000, v4
	v_cvt_u32_f32_e32 v5, v5
	v_cvt_u32_f32_e32 v4, v4
	v_mul_lo_u32 v8, s4, v5
	v_mul_hi_u32 v10, s4, v4
	v_mul_lo_u32 v9, s5, v4
	v_add_u32_e32 v8, v10, v8
	v_mul_lo_u32 v11, s4, v4
	v_add_u32_e32 v8, v8, v9
	v_mul_lo_u32 v10, v4, v8
	v_mul_hi_u32 v12, v4, v11
	v_mul_hi_u32 v9, v4, v8
	v_add_co_u32_e32 v10, vcc, v12, v10
	v_addc_co_u32_e32 v9, vcc, 0, v9, vcc
	v_mul_hi_u32 v13, v5, v11
	v_mul_lo_u32 v11, v5, v11
	v_add_co_u32_e32 v10, vcc, v10, v11
	v_mul_hi_u32 v12, v5, v8
	v_addc_co_u32_e32 v9, vcc, v9, v13, vcc
	v_addc_co_u32_e32 v10, vcc, 0, v12, vcc
	v_mul_lo_u32 v8, v5, v8
	v_add_co_u32_e32 v8, vcc, v9, v8
	v_addc_co_u32_e32 v9, vcc, 0, v10, vcc
	v_add_co_u32_e32 v4, vcc, v4, v8
	v_addc_co_u32_e32 v5, vcc, v5, v9, vcc
	v_mul_lo_u32 v8, s4, v5
	v_mul_hi_u32 v9, s4, v4
	v_add_u32_e32 v8, v9, v8
	v_mul_lo_u32 v9, s5, v4
	v_add_u32_e32 v8, v8, v9
	v_mul_lo_u32 v10, s4, v4
	v_mul_hi_u32 v11, v5, v10
	v_mul_lo_u32 v12, v5, v10
	v_mul_lo_u32 v14, v4, v8
	v_mul_hi_u32 v10, v4, v10
	v_mul_hi_u32 v13, v4, v8
	v_add_co_u32_e32 v10, vcc, v10, v14
	v_addc_co_u32_e32 v13, vcc, 0, v13, vcc
	v_add_co_u32_e32 v10, vcc, v10, v12
	v_mul_hi_u32 v9, v5, v8
	v_addc_co_u32_e32 v10, vcc, v13, v11, vcc
	v_addc_co_u32_e32 v9, vcc, 0, v9, vcc
	v_mul_lo_u32 v8, v5, v8
	v_add_co_u32_e32 v8, vcc, v10, v8
	v_addc_co_u32_e32 v9, vcc, 0, v9, vcc
	v_add_co_u32_e32 v8, vcc, v4, v8
	v_addc_co_u32_e32 v9, vcc, v5, v9, vcc
	v_ashrrev_i32_e32 v10, 31, v7
	v_add_co_u32_e32 v4, vcc, v6, v10
	v_addc_co_u32_e32 v5, vcc, v7, v10, vcc
	v_xor_b32_e32 v12, v4, v10
	v_xor_b32_e32 v11, v5, v10
	v_mad_u64_u32 v[4:5], s[4:5], v12, v9, 0
	v_mul_hi_u32 v6, v12, v8
	v_add_co_u32_e32 v13, vcc, v6, v4
	v_addc_co_u32_e32 v14, vcc, 0, v5, vcc
	v_mad_u64_u32 v[6:7], s[4:5], v11, v8, 0
	v_add_co_u32_e32 v6, vcc, v13, v6
	v_mad_u64_u32 v[4:5], s[4:5], v11, v9, 0
	v_addc_co_u32_e32 v6, vcc, v14, v7, vcc
	v_addc_co_u32_e32 v5, vcc, 0, v5, vcc
	v_add_co_u32_e32 v6, vcc, v6, v4
	v_addc_co_u32_e32 v7, vcc, 0, v5, vcc
	v_mul_lo_u32 v8, s11, v6
	v_mul_lo_u32 v9, s10, v7
	v_mad_u64_u32 v[4:5], s[4:5], s10, v6, 0
	v_add3_u32 v5, v5, v9, v8
	v_sub_u32_e32 v8, v11, v5
	v_mov_b32_e32 v9, s11
	v_sub_co_u32_e32 v4, vcc, v12, v4
	v_subb_co_u32_e64 v8, s[4:5], v8, v9, vcc
	v_subrev_co_u32_e64 v9, s[4:5], s10, v4
	v_subbrev_co_u32_e64 v8, s[4:5], 0, v8, s[4:5]
	v_cmp_le_u32_e64 s[4:5], s11, v8
	v_cndmask_b32_e64 v12, 0, -1, s[4:5]
	v_cmp_le_u32_e64 s[4:5], s10, v9
	v_cndmask_b32_e64 v9, 0, -1, s[4:5]
	v_cmp_eq_u32_e64 s[4:5], s11, v8
	v_cndmask_b32_e64 v8, v12, v9, s[4:5]
	v_add_co_u32_e64 v9, s[4:5], 2, v6
	v_subb_co_u32_e32 v5, vcc, v11, v5, vcc
	v_addc_co_u32_e64 v12, s[4:5], 0, v7, s[4:5]
	v_cmp_le_u32_e32 vcc, s11, v5
	v_add_co_u32_e64 v13, s[4:5], 1, v6
	v_cndmask_b32_e64 v11, 0, -1, vcc
	v_cmp_le_u32_e32 vcc, s10, v4
	v_addc_co_u32_e64 v14, s[4:5], 0, v7, s[4:5]
	v_cndmask_b32_e64 v4, 0, -1, vcc
	v_cmp_eq_u32_e32 vcc, s11, v5
	v_cmp_ne_u32_e64 s[4:5], 0, v8
	v_cndmask_b32_e32 v4, v11, v4, vcc
	v_cndmask_b32_e64 v8, v14, v12, s[4:5]
	v_cmp_ne_u32_e32 vcc, 0, v4
	v_cndmask_b32_e64 v5, v13, v9, s[4:5]
	v_cndmask_b32_e32 v4, v7, v8, vcc
	v_cndmask_b32_e32 v5, v6, v5, vcc
	v_xor_b32_e32 v6, s8, v10
	v_xor_b32_e32 v7, v4, v6
	;; [unrolled: 1-line block ×3, first 2 shown]
	v_sub_co_u32_e32 v4, vcc, v4, v6
	v_subb_co_u32_e32 v5, vcc, v7, v6, vcc
                                        ; implicit-def: $vgpr6
.LBB1164_11:
	s_andn2_saveexec_b64 s[4:5], s[6:7]
	s_cbranch_execz .LBB1164_13
; %bb.12:
	v_cvt_f32_u32_e32 v4, s38
	s_sub_i32 s6, 0, s38
	v_rcp_iflag_f32_e32 v4, v4
	v_mul_f32_e32 v4, 0x4f7ffffe, v4
	v_cvt_u32_f32_e32 v4, v4
	v_mul_lo_u32 v5, s6, v4
	v_mul_hi_u32 v5, v4, v5
	v_add_u32_e32 v4, v4, v5
	v_mul_hi_u32 v4, v6, v4
	v_mul_lo_u32 v5, v4, s38
	v_sub_u32_e32 v5, v6, v5
	v_add_u32_e32 v7, 1, v4
	v_subrev_u32_e32 v6, s38, v5
	v_cmp_le_u32_e32 vcc, s38, v5
	v_cndmask_b32_e32 v5, v5, v6, vcc
	v_cndmask_b32_e32 v4, v4, v7, vcc
	v_add_u32_e32 v6, 1, v4
	v_cmp_le_u32_e32 vcc, s38, v5
	v_cndmask_b32_e32 v4, v4, v6, vcc
	v_mov_b32_e32 v5, 0
.LBB1164_13:
	s_or_b64 exec, exec, s[4:5]
	v_add_co_u32_e32 v8, vcc, 0x200, v30
	v_addc_co_u32_e32 v9, vcc, 0, v1, vcc
	v_or_b32_e32 v7, s39, v9
	v_mov_b32_e32 v6, 0
	v_cmp_ne_u64_e32 vcc, 0, v[6:7]
                                        ; implicit-def: $vgpr6_vgpr7
	s_and_saveexec_b64 s[4:5], vcc
	s_xor_b64 s[6:7], exec, s[4:5]
	s_cbranch_execz .LBB1164_15
; %bb.14:
	s_ashr_i32 s8, s39, 31
	s_add_u32 s4, s38, s8
	s_mov_b32 s9, s8
	s_addc_u32 s5, s39, s8
	s_xor_b64 s[10:11], s[4:5], s[8:9]
	v_cvt_f32_u32_e32 v6, s10
	v_cvt_f32_u32_e32 v7, s11
	s_sub_u32 s4, 0, s10
	s_subb_u32 s5, 0, s11
	v_madmk_f32 v6, v7, 0x4f800000, v6
	v_rcp_f32_e32 v6, v6
	v_mul_f32_e32 v6, 0x5f7ffffc, v6
	v_mul_f32_e32 v7, 0x2f800000, v6
	v_trunc_f32_e32 v7, v7
	v_madmk_f32 v6, v7, 0xcf800000, v6
	v_cvt_u32_f32_e32 v7, v7
	v_cvt_u32_f32_e32 v6, v6
	v_mul_lo_u32 v10, s4, v7
	v_mul_hi_u32 v12, s4, v6
	v_mul_lo_u32 v11, s5, v6
	v_add_u32_e32 v10, v12, v10
	v_mul_lo_u32 v13, s4, v6
	v_add_u32_e32 v10, v10, v11
	v_mul_lo_u32 v12, v6, v10
	v_mul_hi_u32 v14, v6, v13
	v_mul_hi_u32 v11, v6, v10
	v_add_co_u32_e32 v12, vcc, v14, v12
	v_addc_co_u32_e32 v11, vcc, 0, v11, vcc
	v_mul_hi_u32 v15, v7, v13
	v_mul_lo_u32 v13, v7, v13
	v_add_co_u32_e32 v12, vcc, v12, v13
	v_mul_hi_u32 v14, v7, v10
	v_addc_co_u32_e32 v11, vcc, v11, v15, vcc
	v_addc_co_u32_e32 v12, vcc, 0, v14, vcc
	v_mul_lo_u32 v10, v7, v10
	v_add_co_u32_e32 v10, vcc, v11, v10
	v_addc_co_u32_e32 v11, vcc, 0, v12, vcc
	v_add_co_u32_e32 v6, vcc, v6, v10
	v_addc_co_u32_e32 v7, vcc, v7, v11, vcc
	v_mul_lo_u32 v10, s4, v7
	v_mul_hi_u32 v11, s4, v6
	v_add_u32_e32 v10, v11, v10
	v_mul_lo_u32 v11, s5, v6
	v_add_u32_e32 v10, v10, v11
	v_mul_lo_u32 v12, s4, v6
	v_mul_hi_u32 v13, v7, v12
	v_mul_lo_u32 v14, v7, v12
	v_mul_lo_u32 v16, v6, v10
	v_mul_hi_u32 v12, v6, v12
	v_mul_hi_u32 v15, v6, v10
	v_add_co_u32_e32 v12, vcc, v12, v16
	v_addc_co_u32_e32 v15, vcc, 0, v15, vcc
	v_add_co_u32_e32 v12, vcc, v12, v14
	v_mul_hi_u32 v11, v7, v10
	v_addc_co_u32_e32 v12, vcc, v15, v13, vcc
	v_addc_co_u32_e32 v11, vcc, 0, v11, vcc
	v_mul_lo_u32 v10, v7, v10
	v_add_co_u32_e32 v10, vcc, v12, v10
	v_addc_co_u32_e32 v11, vcc, 0, v11, vcc
	v_add_co_u32_e32 v10, vcc, v6, v10
	v_addc_co_u32_e32 v11, vcc, v7, v11, vcc
	v_ashrrev_i32_e32 v12, 31, v9
	v_add_co_u32_e32 v6, vcc, v8, v12
	v_addc_co_u32_e32 v7, vcc, v9, v12, vcc
	v_xor_b32_e32 v14, v6, v12
	v_xor_b32_e32 v13, v7, v12
	v_mad_u64_u32 v[6:7], s[4:5], v14, v11, 0
	v_mul_hi_u32 v8, v14, v10
	v_add_co_u32_e32 v15, vcc, v8, v6
	v_addc_co_u32_e32 v16, vcc, 0, v7, vcc
	v_mad_u64_u32 v[8:9], s[4:5], v13, v10, 0
	v_add_co_u32_e32 v8, vcc, v15, v8
	v_mad_u64_u32 v[6:7], s[4:5], v13, v11, 0
	v_addc_co_u32_e32 v8, vcc, v16, v9, vcc
	v_addc_co_u32_e32 v7, vcc, 0, v7, vcc
	v_add_co_u32_e32 v8, vcc, v8, v6
	v_addc_co_u32_e32 v9, vcc, 0, v7, vcc
	v_mul_lo_u32 v10, s11, v8
	v_mul_lo_u32 v11, s10, v9
	v_mad_u64_u32 v[6:7], s[4:5], s10, v8, 0
	v_add3_u32 v7, v7, v11, v10
	v_sub_u32_e32 v10, v13, v7
	v_mov_b32_e32 v11, s11
	v_sub_co_u32_e32 v6, vcc, v14, v6
	v_subb_co_u32_e64 v10, s[4:5], v10, v11, vcc
	v_subrev_co_u32_e64 v11, s[4:5], s10, v6
	v_subbrev_co_u32_e64 v10, s[4:5], 0, v10, s[4:5]
	v_cmp_le_u32_e64 s[4:5], s11, v10
	v_cndmask_b32_e64 v14, 0, -1, s[4:5]
	v_cmp_le_u32_e64 s[4:5], s10, v11
	v_cndmask_b32_e64 v11, 0, -1, s[4:5]
	v_cmp_eq_u32_e64 s[4:5], s11, v10
	v_cndmask_b32_e64 v10, v14, v11, s[4:5]
	v_add_co_u32_e64 v11, s[4:5], 2, v8
	v_subb_co_u32_e32 v7, vcc, v13, v7, vcc
	v_addc_co_u32_e64 v14, s[4:5], 0, v9, s[4:5]
	v_cmp_le_u32_e32 vcc, s11, v7
	v_add_co_u32_e64 v15, s[4:5], 1, v8
	v_cndmask_b32_e64 v13, 0, -1, vcc
	v_cmp_le_u32_e32 vcc, s10, v6
	v_addc_co_u32_e64 v16, s[4:5], 0, v9, s[4:5]
	v_cndmask_b32_e64 v6, 0, -1, vcc
	v_cmp_eq_u32_e32 vcc, s11, v7
	v_cmp_ne_u32_e64 s[4:5], 0, v10
	v_cndmask_b32_e32 v6, v13, v6, vcc
	v_cndmask_b32_e64 v10, v16, v14, s[4:5]
	v_cmp_ne_u32_e32 vcc, 0, v6
	v_cndmask_b32_e64 v7, v15, v11, s[4:5]
	v_cndmask_b32_e32 v6, v9, v10, vcc
	v_cndmask_b32_e32 v7, v8, v7, vcc
	v_xor_b32_e32 v8, s8, v12
	v_xor_b32_e32 v9, v6, v8
	;; [unrolled: 1-line block ×3, first 2 shown]
	v_sub_co_u32_e32 v6, vcc, v6, v8
	v_subb_co_u32_e32 v7, vcc, v9, v8, vcc
                                        ; implicit-def: $vgpr8
.LBB1164_15:
	s_andn2_saveexec_b64 s[4:5], s[6:7]
	s_cbranch_execz .LBB1164_17
; %bb.16:
	v_cvt_f32_u32_e32 v6, s38
	s_sub_i32 s6, 0, s38
	v_rcp_iflag_f32_e32 v6, v6
	v_mul_f32_e32 v6, 0x4f7ffffe, v6
	v_cvt_u32_f32_e32 v6, v6
	v_mul_lo_u32 v7, s6, v6
	v_mul_hi_u32 v7, v6, v7
	v_add_u32_e32 v6, v6, v7
	v_mul_hi_u32 v6, v8, v6
	v_mul_lo_u32 v7, v6, s38
	v_sub_u32_e32 v7, v8, v7
	v_add_u32_e32 v9, 1, v6
	v_subrev_u32_e32 v8, s38, v7
	v_cmp_le_u32_e32 vcc, s38, v7
	v_cndmask_b32_e32 v7, v7, v8, vcc
	v_cndmask_b32_e32 v6, v6, v9, vcc
	v_add_u32_e32 v8, 1, v6
	v_cmp_le_u32_e32 vcc, s38, v7
	v_cndmask_b32_e32 v6, v6, v8, vcc
	v_mov_b32_e32 v7, 0
.LBB1164_17:
	s_or_b64 exec, exec, s[4:5]
	v_add_co_u32_e32 v10, vcc, 0x300, v30
	v_addc_co_u32_e32 v11, vcc, 0, v1, vcc
	v_or_b32_e32 v9, s39, v11
	v_mov_b32_e32 v8, 0
	v_cmp_ne_u64_e32 vcc, 0, v[8:9]
                                        ; implicit-def: $vgpr8_vgpr9
	s_and_saveexec_b64 s[4:5], vcc
	s_xor_b64 s[6:7], exec, s[4:5]
	s_cbranch_execz .LBB1164_19
; %bb.18:
	s_ashr_i32 s8, s39, 31
	s_add_u32 s4, s38, s8
	s_mov_b32 s9, s8
	s_addc_u32 s5, s39, s8
	s_xor_b64 s[10:11], s[4:5], s[8:9]
	v_cvt_f32_u32_e32 v8, s10
	v_cvt_f32_u32_e32 v9, s11
	s_sub_u32 s4, 0, s10
	s_subb_u32 s5, 0, s11
	v_madmk_f32 v8, v9, 0x4f800000, v8
	v_rcp_f32_e32 v8, v8
	v_mul_f32_e32 v8, 0x5f7ffffc, v8
	v_mul_f32_e32 v9, 0x2f800000, v8
	v_trunc_f32_e32 v9, v9
	v_madmk_f32 v8, v9, 0xcf800000, v8
	v_cvt_u32_f32_e32 v9, v9
	v_cvt_u32_f32_e32 v8, v8
	v_mul_lo_u32 v12, s4, v9
	v_mul_hi_u32 v14, s4, v8
	v_mul_lo_u32 v13, s5, v8
	v_add_u32_e32 v12, v14, v12
	v_mul_lo_u32 v15, s4, v8
	v_add_u32_e32 v12, v12, v13
	v_mul_lo_u32 v14, v8, v12
	v_mul_hi_u32 v16, v8, v15
	v_mul_hi_u32 v13, v8, v12
	v_add_co_u32_e32 v14, vcc, v16, v14
	v_addc_co_u32_e32 v13, vcc, 0, v13, vcc
	v_mul_hi_u32 v17, v9, v15
	v_mul_lo_u32 v15, v9, v15
	v_add_co_u32_e32 v14, vcc, v14, v15
	v_mul_hi_u32 v16, v9, v12
	v_addc_co_u32_e32 v13, vcc, v13, v17, vcc
	v_addc_co_u32_e32 v14, vcc, 0, v16, vcc
	v_mul_lo_u32 v12, v9, v12
	v_add_co_u32_e32 v12, vcc, v13, v12
	v_addc_co_u32_e32 v13, vcc, 0, v14, vcc
	v_add_co_u32_e32 v8, vcc, v8, v12
	v_addc_co_u32_e32 v9, vcc, v9, v13, vcc
	v_mul_lo_u32 v12, s4, v9
	v_mul_hi_u32 v13, s4, v8
	v_add_u32_e32 v12, v13, v12
	v_mul_lo_u32 v13, s5, v8
	v_add_u32_e32 v12, v12, v13
	v_mul_lo_u32 v14, s4, v8
	v_mul_hi_u32 v15, v9, v14
	v_mul_lo_u32 v16, v9, v14
	v_mul_lo_u32 v18, v8, v12
	v_mul_hi_u32 v14, v8, v14
	v_mul_hi_u32 v17, v8, v12
	v_add_co_u32_e32 v14, vcc, v14, v18
	v_addc_co_u32_e32 v17, vcc, 0, v17, vcc
	v_add_co_u32_e32 v14, vcc, v14, v16
	v_mul_hi_u32 v13, v9, v12
	v_addc_co_u32_e32 v14, vcc, v17, v15, vcc
	v_addc_co_u32_e32 v13, vcc, 0, v13, vcc
	v_mul_lo_u32 v12, v9, v12
	v_add_co_u32_e32 v12, vcc, v14, v12
	v_addc_co_u32_e32 v13, vcc, 0, v13, vcc
	v_add_co_u32_e32 v12, vcc, v8, v12
	v_addc_co_u32_e32 v13, vcc, v9, v13, vcc
	v_ashrrev_i32_e32 v14, 31, v11
	v_add_co_u32_e32 v8, vcc, v10, v14
	v_addc_co_u32_e32 v9, vcc, v11, v14, vcc
	v_xor_b32_e32 v16, v8, v14
	v_xor_b32_e32 v15, v9, v14
	v_mad_u64_u32 v[8:9], s[4:5], v16, v13, 0
	v_mul_hi_u32 v10, v16, v12
	v_add_co_u32_e32 v17, vcc, v10, v8
	v_addc_co_u32_e32 v18, vcc, 0, v9, vcc
	v_mad_u64_u32 v[10:11], s[4:5], v15, v12, 0
	v_add_co_u32_e32 v10, vcc, v17, v10
	v_mad_u64_u32 v[8:9], s[4:5], v15, v13, 0
	v_addc_co_u32_e32 v10, vcc, v18, v11, vcc
	v_addc_co_u32_e32 v9, vcc, 0, v9, vcc
	v_add_co_u32_e32 v10, vcc, v10, v8
	v_addc_co_u32_e32 v11, vcc, 0, v9, vcc
	v_mul_lo_u32 v12, s11, v10
	v_mul_lo_u32 v13, s10, v11
	v_mad_u64_u32 v[8:9], s[4:5], s10, v10, 0
	v_add3_u32 v9, v9, v13, v12
	v_sub_u32_e32 v12, v15, v9
	v_mov_b32_e32 v13, s11
	v_sub_co_u32_e32 v8, vcc, v16, v8
	v_subb_co_u32_e64 v12, s[4:5], v12, v13, vcc
	v_subrev_co_u32_e64 v13, s[4:5], s10, v8
	v_subbrev_co_u32_e64 v12, s[4:5], 0, v12, s[4:5]
	v_cmp_le_u32_e64 s[4:5], s11, v12
	v_cndmask_b32_e64 v16, 0, -1, s[4:5]
	v_cmp_le_u32_e64 s[4:5], s10, v13
	v_cndmask_b32_e64 v13, 0, -1, s[4:5]
	v_cmp_eq_u32_e64 s[4:5], s11, v12
	v_cndmask_b32_e64 v12, v16, v13, s[4:5]
	v_add_co_u32_e64 v13, s[4:5], 2, v10
	v_subb_co_u32_e32 v9, vcc, v15, v9, vcc
	v_addc_co_u32_e64 v16, s[4:5], 0, v11, s[4:5]
	v_cmp_le_u32_e32 vcc, s11, v9
	v_add_co_u32_e64 v17, s[4:5], 1, v10
	v_cndmask_b32_e64 v15, 0, -1, vcc
	v_cmp_le_u32_e32 vcc, s10, v8
	v_addc_co_u32_e64 v18, s[4:5], 0, v11, s[4:5]
	v_cndmask_b32_e64 v8, 0, -1, vcc
	v_cmp_eq_u32_e32 vcc, s11, v9
	v_cmp_ne_u32_e64 s[4:5], 0, v12
	v_cndmask_b32_e32 v8, v15, v8, vcc
	v_cndmask_b32_e64 v12, v18, v16, s[4:5]
	v_cmp_ne_u32_e32 vcc, 0, v8
	v_cndmask_b32_e64 v9, v17, v13, s[4:5]
	v_cndmask_b32_e32 v8, v11, v12, vcc
	v_cndmask_b32_e32 v9, v10, v9, vcc
	v_xor_b32_e32 v10, s8, v14
	v_xor_b32_e32 v11, v8, v10
	;; [unrolled: 1-line block ×3, first 2 shown]
	v_sub_co_u32_e32 v8, vcc, v8, v10
	v_subb_co_u32_e32 v9, vcc, v11, v10, vcc
                                        ; implicit-def: $vgpr10
.LBB1164_19:
	s_andn2_saveexec_b64 s[4:5], s[6:7]
	s_cbranch_execz .LBB1164_21
; %bb.20:
	v_cvt_f32_u32_e32 v8, s38
	s_sub_i32 s6, 0, s38
	v_rcp_iflag_f32_e32 v8, v8
	v_mul_f32_e32 v8, 0x4f7ffffe, v8
	v_cvt_u32_f32_e32 v8, v8
	v_mul_lo_u32 v9, s6, v8
	v_mul_hi_u32 v9, v8, v9
	v_add_u32_e32 v8, v8, v9
	v_mul_hi_u32 v8, v10, v8
	v_mul_lo_u32 v9, v8, s38
	v_sub_u32_e32 v9, v10, v9
	v_add_u32_e32 v11, 1, v8
	v_subrev_u32_e32 v10, s38, v9
	v_cmp_le_u32_e32 vcc, s38, v9
	v_cndmask_b32_e32 v9, v9, v10, vcc
	v_cndmask_b32_e32 v8, v8, v11, vcc
	v_add_u32_e32 v10, 1, v8
	v_cmp_le_u32_e32 vcc, s38, v9
	v_cndmask_b32_e32 v8, v8, v10, vcc
	v_mov_b32_e32 v9, 0
.LBB1164_21:
	s_or_b64 exec, exec, s[4:5]
	v_add_co_u32_e32 v12, vcc, 0x400, v30
	v_addc_co_u32_e32 v13, vcc, 0, v1, vcc
	v_or_b32_e32 v11, s39, v13
	v_mov_b32_e32 v10, 0
	v_cmp_ne_u64_e32 vcc, 0, v[10:11]
                                        ; implicit-def: $vgpr10_vgpr11
	s_and_saveexec_b64 s[4:5], vcc
	s_xor_b64 s[6:7], exec, s[4:5]
	s_cbranch_execz .LBB1164_23
; %bb.22:
	s_ashr_i32 s8, s39, 31
	s_add_u32 s4, s38, s8
	s_mov_b32 s9, s8
	s_addc_u32 s5, s39, s8
	s_xor_b64 s[10:11], s[4:5], s[8:9]
	v_cvt_f32_u32_e32 v10, s10
	v_cvt_f32_u32_e32 v11, s11
	s_sub_u32 s4, 0, s10
	s_subb_u32 s5, 0, s11
	v_madmk_f32 v10, v11, 0x4f800000, v10
	v_rcp_f32_e32 v10, v10
	v_mul_f32_e32 v10, 0x5f7ffffc, v10
	v_mul_f32_e32 v11, 0x2f800000, v10
	v_trunc_f32_e32 v11, v11
	v_madmk_f32 v10, v11, 0xcf800000, v10
	v_cvt_u32_f32_e32 v11, v11
	v_cvt_u32_f32_e32 v10, v10
	v_mul_lo_u32 v14, s4, v11
	v_mul_hi_u32 v16, s4, v10
	v_mul_lo_u32 v15, s5, v10
	v_add_u32_e32 v14, v16, v14
	v_mul_lo_u32 v17, s4, v10
	v_add_u32_e32 v14, v14, v15
	v_mul_lo_u32 v16, v10, v14
	v_mul_hi_u32 v18, v10, v17
	v_mul_hi_u32 v15, v10, v14
	v_add_co_u32_e32 v16, vcc, v18, v16
	v_addc_co_u32_e32 v15, vcc, 0, v15, vcc
	v_mul_hi_u32 v19, v11, v17
	v_mul_lo_u32 v17, v11, v17
	v_add_co_u32_e32 v16, vcc, v16, v17
	v_mul_hi_u32 v18, v11, v14
	v_addc_co_u32_e32 v15, vcc, v15, v19, vcc
	v_addc_co_u32_e32 v16, vcc, 0, v18, vcc
	v_mul_lo_u32 v14, v11, v14
	v_add_co_u32_e32 v14, vcc, v15, v14
	v_addc_co_u32_e32 v15, vcc, 0, v16, vcc
	v_add_co_u32_e32 v10, vcc, v10, v14
	v_addc_co_u32_e32 v11, vcc, v11, v15, vcc
	v_mul_lo_u32 v14, s4, v11
	v_mul_hi_u32 v15, s4, v10
	v_add_u32_e32 v14, v15, v14
	v_mul_lo_u32 v15, s5, v10
	v_add_u32_e32 v14, v14, v15
	v_mul_lo_u32 v16, s4, v10
	v_mul_hi_u32 v17, v11, v16
	v_mul_lo_u32 v18, v11, v16
	v_mul_lo_u32 v20, v10, v14
	v_mul_hi_u32 v16, v10, v16
	v_mul_hi_u32 v19, v10, v14
	v_add_co_u32_e32 v16, vcc, v16, v20
	v_addc_co_u32_e32 v19, vcc, 0, v19, vcc
	v_add_co_u32_e32 v16, vcc, v16, v18
	v_mul_hi_u32 v15, v11, v14
	v_addc_co_u32_e32 v16, vcc, v19, v17, vcc
	v_addc_co_u32_e32 v15, vcc, 0, v15, vcc
	v_mul_lo_u32 v14, v11, v14
	v_add_co_u32_e32 v14, vcc, v16, v14
	v_addc_co_u32_e32 v15, vcc, 0, v15, vcc
	v_add_co_u32_e32 v14, vcc, v10, v14
	v_addc_co_u32_e32 v15, vcc, v11, v15, vcc
	v_ashrrev_i32_e32 v16, 31, v13
	v_add_co_u32_e32 v10, vcc, v12, v16
	v_addc_co_u32_e32 v11, vcc, v13, v16, vcc
	v_xor_b32_e32 v18, v10, v16
	v_xor_b32_e32 v17, v11, v16
	v_mad_u64_u32 v[10:11], s[4:5], v18, v15, 0
	v_mul_hi_u32 v12, v18, v14
	v_add_co_u32_e32 v19, vcc, v12, v10
	v_addc_co_u32_e32 v20, vcc, 0, v11, vcc
	v_mad_u64_u32 v[12:13], s[4:5], v17, v14, 0
	v_add_co_u32_e32 v12, vcc, v19, v12
	v_mad_u64_u32 v[10:11], s[4:5], v17, v15, 0
	v_addc_co_u32_e32 v12, vcc, v20, v13, vcc
	v_addc_co_u32_e32 v11, vcc, 0, v11, vcc
	v_add_co_u32_e32 v12, vcc, v12, v10
	v_addc_co_u32_e32 v13, vcc, 0, v11, vcc
	v_mul_lo_u32 v14, s11, v12
	v_mul_lo_u32 v15, s10, v13
	v_mad_u64_u32 v[10:11], s[4:5], s10, v12, 0
	v_add3_u32 v11, v11, v15, v14
	v_sub_u32_e32 v14, v17, v11
	v_mov_b32_e32 v15, s11
	v_sub_co_u32_e32 v10, vcc, v18, v10
	v_subb_co_u32_e64 v14, s[4:5], v14, v15, vcc
	v_subrev_co_u32_e64 v15, s[4:5], s10, v10
	v_subbrev_co_u32_e64 v14, s[4:5], 0, v14, s[4:5]
	v_cmp_le_u32_e64 s[4:5], s11, v14
	v_cndmask_b32_e64 v18, 0, -1, s[4:5]
	v_cmp_le_u32_e64 s[4:5], s10, v15
	v_cndmask_b32_e64 v15, 0, -1, s[4:5]
	v_cmp_eq_u32_e64 s[4:5], s11, v14
	v_cndmask_b32_e64 v14, v18, v15, s[4:5]
	v_add_co_u32_e64 v15, s[4:5], 2, v12
	v_subb_co_u32_e32 v11, vcc, v17, v11, vcc
	v_addc_co_u32_e64 v18, s[4:5], 0, v13, s[4:5]
	v_cmp_le_u32_e32 vcc, s11, v11
	v_add_co_u32_e64 v19, s[4:5], 1, v12
	v_cndmask_b32_e64 v17, 0, -1, vcc
	v_cmp_le_u32_e32 vcc, s10, v10
	v_addc_co_u32_e64 v20, s[4:5], 0, v13, s[4:5]
	v_cndmask_b32_e64 v10, 0, -1, vcc
	v_cmp_eq_u32_e32 vcc, s11, v11
	v_cmp_ne_u32_e64 s[4:5], 0, v14
	v_cndmask_b32_e32 v10, v17, v10, vcc
	v_cndmask_b32_e64 v14, v20, v18, s[4:5]
	v_cmp_ne_u32_e32 vcc, 0, v10
	v_cndmask_b32_e64 v11, v19, v15, s[4:5]
	v_cndmask_b32_e32 v10, v13, v14, vcc
	v_cndmask_b32_e32 v11, v12, v11, vcc
	v_xor_b32_e32 v12, s8, v16
	v_xor_b32_e32 v13, v10, v12
	;; [unrolled: 1-line block ×3, first 2 shown]
	v_sub_co_u32_e32 v10, vcc, v10, v12
	v_subb_co_u32_e32 v11, vcc, v13, v12, vcc
                                        ; implicit-def: $vgpr12
.LBB1164_23:
	s_andn2_saveexec_b64 s[4:5], s[6:7]
	s_cbranch_execz .LBB1164_25
; %bb.24:
	v_cvt_f32_u32_e32 v10, s38
	s_sub_i32 s6, 0, s38
	v_rcp_iflag_f32_e32 v10, v10
	v_mul_f32_e32 v10, 0x4f7ffffe, v10
	v_cvt_u32_f32_e32 v10, v10
	v_mul_lo_u32 v11, s6, v10
	v_mul_hi_u32 v11, v10, v11
	v_add_u32_e32 v10, v10, v11
	v_mul_hi_u32 v10, v12, v10
	v_mul_lo_u32 v11, v10, s38
	v_sub_u32_e32 v11, v12, v11
	v_add_u32_e32 v13, 1, v10
	v_subrev_u32_e32 v12, s38, v11
	v_cmp_le_u32_e32 vcc, s38, v11
	v_cndmask_b32_e32 v11, v11, v12, vcc
	v_cndmask_b32_e32 v10, v10, v13, vcc
	v_add_u32_e32 v12, 1, v10
	v_cmp_le_u32_e32 vcc, s38, v11
	v_cndmask_b32_e32 v10, v10, v12, vcc
	v_mov_b32_e32 v11, 0
.LBB1164_25:
	s_or_b64 exec, exec, s[4:5]
	v_add_co_u32_e32 v14, vcc, 0x500, v30
	v_addc_co_u32_e32 v15, vcc, 0, v1, vcc
	v_or_b32_e32 v13, s39, v15
	v_mov_b32_e32 v12, 0
	v_cmp_ne_u64_e32 vcc, 0, v[12:13]
                                        ; implicit-def: $vgpr12_vgpr13
	s_and_saveexec_b64 s[4:5], vcc
	s_xor_b64 s[6:7], exec, s[4:5]
	s_cbranch_execz .LBB1164_27
; %bb.26:
	s_ashr_i32 s8, s39, 31
	s_add_u32 s4, s38, s8
	s_mov_b32 s9, s8
	s_addc_u32 s5, s39, s8
	s_xor_b64 s[10:11], s[4:5], s[8:9]
	v_cvt_f32_u32_e32 v12, s10
	v_cvt_f32_u32_e32 v13, s11
	s_sub_u32 s4, 0, s10
	s_subb_u32 s5, 0, s11
	v_madmk_f32 v12, v13, 0x4f800000, v12
	v_rcp_f32_e32 v12, v12
	v_mul_f32_e32 v12, 0x5f7ffffc, v12
	v_mul_f32_e32 v13, 0x2f800000, v12
	v_trunc_f32_e32 v13, v13
	v_madmk_f32 v12, v13, 0xcf800000, v12
	v_cvt_u32_f32_e32 v13, v13
	v_cvt_u32_f32_e32 v12, v12
	v_mul_lo_u32 v16, s4, v13
	v_mul_hi_u32 v18, s4, v12
	v_mul_lo_u32 v17, s5, v12
	v_add_u32_e32 v16, v18, v16
	v_mul_lo_u32 v19, s4, v12
	v_add_u32_e32 v16, v16, v17
	v_mul_lo_u32 v18, v12, v16
	v_mul_hi_u32 v20, v12, v19
	v_mul_hi_u32 v17, v12, v16
	v_add_co_u32_e32 v18, vcc, v20, v18
	v_addc_co_u32_e32 v17, vcc, 0, v17, vcc
	v_mul_hi_u32 v21, v13, v19
	v_mul_lo_u32 v19, v13, v19
	v_add_co_u32_e32 v18, vcc, v18, v19
	v_mul_hi_u32 v20, v13, v16
	v_addc_co_u32_e32 v17, vcc, v17, v21, vcc
	v_addc_co_u32_e32 v18, vcc, 0, v20, vcc
	v_mul_lo_u32 v16, v13, v16
	v_add_co_u32_e32 v16, vcc, v17, v16
	v_addc_co_u32_e32 v17, vcc, 0, v18, vcc
	v_add_co_u32_e32 v12, vcc, v12, v16
	v_addc_co_u32_e32 v13, vcc, v13, v17, vcc
	v_mul_lo_u32 v16, s4, v13
	v_mul_hi_u32 v17, s4, v12
	v_add_u32_e32 v16, v17, v16
	v_mul_lo_u32 v17, s5, v12
	v_add_u32_e32 v16, v16, v17
	v_mul_lo_u32 v18, s4, v12
	v_mul_hi_u32 v19, v13, v18
	v_mul_lo_u32 v20, v13, v18
	v_mul_lo_u32 v22, v12, v16
	v_mul_hi_u32 v18, v12, v18
	v_mul_hi_u32 v21, v12, v16
	v_add_co_u32_e32 v18, vcc, v18, v22
	v_addc_co_u32_e32 v21, vcc, 0, v21, vcc
	v_add_co_u32_e32 v18, vcc, v18, v20
	v_mul_hi_u32 v17, v13, v16
	v_addc_co_u32_e32 v18, vcc, v21, v19, vcc
	v_addc_co_u32_e32 v17, vcc, 0, v17, vcc
	v_mul_lo_u32 v16, v13, v16
	v_add_co_u32_e32 v16, vcc, v18, v16
	v_addc_co_u32_e32 v17, vcc, 0, v17, vcc
	v_add_co_u32_e32 v16, vcc, v12, v16
	v_addc_co_u32_e32 v17, vcc, v13, v17, vcc
	v_ashrrev_i32_e32 v18, 31, v15
	v_add_co_u32_e32 v12, vcc, v14, v18
	v_addc_co_u32_e32 v13, vcc, v15, v18, vcc
	v_xor_b32_e32 v20, v12, v18
	v_xor_b32_e32 v19, v13, v18
	v_mad_u64_u32 v[12:13], s[4:5], v20, v17, 0
	v_mul_hi_u32 v14, v20, v16
	v_add_co_u32_e32 v21, vcc, v14, v12
	v_addc_co_u32_e32 v22, vcc, 0, v13, vcc
	v_mad_u64_u32 v[14:15], s[4:5], v19, v16, 0
	v_add_co_u32_e32 v14, vcc, v21, v14
	v_mad_u64_u32 v[12:13], s[4:5], v19, v17, 0
	v_addc_co_u32_e32 v14, vcc, v22, v15, vcc
	v_addc_co_u32_e32 v13, vcc, 0, v13, vcc
	v_add_co_u32_e32 v14, vcc, v14, v12
	v_addc_co_u32_e32 v15, vcc, 0, v13, vcc
	v_mul_lo_u32 v16, s11, v14
	v_mul_lo_u32 v17, s10, v15
	v_mad_u64_u32 v[12:13], s[4:5], s10, v14, 0
	v_add3_u32 v13, v13, v17, v16
	v_sub_u32_e32 v16, v19, v13
	v_mov_b32_e32 v17, s11
	v_sub_co_u32_e32 v12, vcc, v20, v12
	v_subb_co_u32_e64 v16, s[4:5], v16, v17, vcc
	v_subrev_co_u32_e64 v17, s[4:5], s10, v12
	v_subbrev_co_u32_e64 v16, s[4:5], 0, v16, s[4:5]
	v_cmp_le_u32_e64 s[4:5], s11, v16
	v_cndmask_b32_e64 v20, 0, -1, s[4:5]
	v_cmp_le_u32_e64 s[4:5], s10, v17
	v_cndmask_b32_e64 v17, 0, -1, s[4:5]
	v_cmp_eq_u32_e64 s[4:5], s11, v16
	v_cndmask_b32_e64 v16, v20, v17, s[4:5]
	v_add_co_u32_e64 v17, s[4:5], 2, v14
	v_subb_co_u32_e32 v13, vcc, v19, v13, vcc
	v_addc_co_u32_e64 v20, s[4:5], 0, v15, s[4:5]
	v_cmp_le_u32_e32 vcc, s11, v13
	v_add_co_u32_e64 v21, s[4:5], 1, v14
	v_cndmask_b32_e64 v19, 0, -1, vcc
	v_cmp_le_u32_e32 vcc, s10, v12
	v_addc_co_u32_e64 v22, s[4:5], 0, v15, s[4:5]
	v_cndmask_b32_e64 v12, 0, -1, vcc
	v_cmp_eq_u32_e32 vcc, s11, v13
	v_cmp_ne_u32_e64 s[4:5], 0, v16
	v_cndmask_b32_e32 v12, v19, v12, vcc
	v_cndmask_b32_e64 v16, v22, v20, s[4:5]
	v_cmp_ne_u32_e32 vcc, 0, v12
	v_cndmask_b32_e64 v13, v21, v17, s[4:5]
	v_cndmask_b32_e32 v12, v15, v16, vcc
	v_cndmask_b32_e32 v13, v14, v13, vcc
	v_xor_b32_e32 v14, s8, v18
	v_xor_b32_e32 v15, v12, v14
	;; [unrolled: 1-line block ×3, first 2 shown]
	v_sub_co_u32_e32 v12, vcc, v12, v14
	v_subb_co_u32_e32 v13, vcc, v15, v14, vcc
                                        ; implicit-def: $vgpr14
.LBB1164_27:
	s_andn2_saveexec_b64 s[4:5], s[6:7]
	s_cbranch_execz .LBB1164_29
; %bb.28:
	v_cvt_f32_u32_e32 v12, s38
	s_sub_i32 s6, 0, s38
	v_rcp_iflag_f32_e32 v12, v12
	v_mul_f32_e32 v12, 0x4f7ffffe, v12
	v_cvt_u32_f32_e32 v12, v12
	v_mul_lo_u32 v13, s6, v12
	v_mul_hi_u32 v13, v12, v13
	v_add_u32_e32 v12, v12, v13
	v_mul_hi_u32 v12, v14, v12
	v_mul_lo_u32 v13, v12, s38
	v_sub_u32_e32 v13, v14, v13
	v_add_u32_e32 v15, 1, v12
	v_subrev_u32_e32 v14, s38, v13
	v_cmp_le_u32_e32 vcc, s38, v13
	v_cndmask_b32_e32 v13, v13, v14, vcc
	v_cndmask_b32_e32 v12, v12, v15, vcc
	v_add_u32_e32 v14, 1, v12
	v_cmp_le_u32_e32 vcc, s38, v13
	v_cndmask_b32_e32 v12, v12, v14, vcc
	v_mov_b32_e32 v13, 0
.LBB1164_29:
	s_or_b64 exec, exec, s[4:5]
	v_add_co_u32_e32 v16, vcc, 0x600, v30
	v_addc_co_u32_e32 v17, vcc, 0, v1, vcc
	v_or_b32_e32 v15, s39, v17
	v_mov_b32_e32 v14, 0
	v_cmp_ne_u64_e32 vcc, 0, v[14:15]
                                        ; implicit-def: $vgpr14_vgpr15
	s_and_saveexec_b64 s[4:5], vcc
	s_xor_b64 s[6:7], exec, s[4:5]
	s_cbranch_execz .LBB1164_31
; %bb.30:
	s_ashr_i32 s8, s39, 31
	s_add_u32 s4, s38, s8
	s_mov_b32 s9, s8
	s_addc_u32 s5, s39, s8
	s_xor_b64 s[10:11], s[4:5], s[8:9]
	v_cvt_f32_u32_e32 v14, s10
	v_cvt_f32_u32_e32 v15, s11
	s_sub_u32 s4, 0, s10
	s_subb_u32 s5, 0, s11
	v_madmk_f32 v14, v15, 0x4f800000, v14
	v_rcp_f32_e32 v14, v14
	v_mul_f32_e32 v14, 0x5f7ffffc, v14
	v_mul_f32_e32 v15, 0x2f800000, v14
	v_trunc_f32_e32 v15, v15
	v_madmk_f32 v14, v15, 0xcf800000, v14
	v_cvt_u32_f32_e32 v15, v15
	v_cvt_u32_f32_e32 v14, v14
	v_mul_lo_u32 v18, s4, v15
	v_mul_hi_u32 v20, s4, v14
	v_mul_lo_u32 v19, s5, v14
	v_add_u32_e32 v18, v20, v18
	v_mul_lo_u32 v21, s4, v14
	v_add_u32_e32 v18, v18, v19
	v_mul_lo_u32 v20, v14, v18
	v_mul_hi_u32 v22, v14, v21
	v_mul_hi_u32 v19, v14, v18
	v_add_co_u32_e32 v20, vcc, v22, v20
	v_addc_co_u32_e32 v19, vcc, 0, v19, vcc
	v_mul_hi_u32 v23, v15, v21
	v_mul_lo_u32 v21, v15, v21
	v_add_co_u32_e32 v20, vcc, v20, v21
	v_mul_hi_u32 v22, v15, v18
	v_addc_co_u32_e32 v19, vcc, v19, v23, vcc
	v_addc_co_u32_e32 v20, vcc, 0, v22, vcc
	v_mul_lo_u32 v18, v15, v18
	v_add_co_u32_e32 v18, vcc, v19, v18
	v_addc_co_u32_e32 v19, vcc, 0, v20, vcc
	v_add_co_u32_e32 v14, vcc, v14, v18
	v_addc_co_u32_e32 v15, vcc, v15, v19, vcc
	v_mul_lo_u32 v18, s4, v15
	v_mul_hi_u32 v19, s4, v14
	v_add_u32_e32 v18, v19, v18
	v_mul_lo_u32 v19, s5, v14
	v_add_u32_e32 v18, v18, v19
	v_mul_lo_u32 v20, s4, v14
	v_mul_hi_u32 v21, v15, v20
	v_mul_lo_u32 v22, v15, v20
	v_mul_lo_u32 v24, v14, v18
	v_mul_hi_u32 v20, v14, v20
	v_mul_hi_u32 v23, v14, v18
	v_add_co_u32_e32 v20, vcc, v20, v24
	v_addc_co_u32_e32 v23, vcc, 0, v23, vcc
	v_add_co_u32_e32 v20, vcc, v20, v22
	v_mul_hi_u32 v19, v15, v18
	v_addc_co_u32_e32 v20, vcc, v23, v21, vcc
	v_addc_co_u32_e32 v19, vcc, 0, v19, vcc
	v_mul_lo_u32 v18, v15, v18
	v_add_co_u32_e32 v18, vcc, v20, v18
	v_addc_co_u32_e32 v19, vcc, 0, v19, vcc
	v_add_co_u32_e32 v18, vcc, v14, v18
	v_addc_co_u32_e32 v19, vcc, v15, v19, vcc
	v_ashrrev_i32_e32 v20, 31, v17
	v_add_co_u32_e32 v14, vcc, v16, v20
	v_addc_co_u32_e32 v15, vcc, v17, v20, vcc
	v_xor_b32_e32 v22, v14, v20
	v_xor_b32_e32 v21, v15, v20
	v_mad_u64_u32 v[14:15], s[4:5], v22, v19, 0
	v_mul_hi_u32 v16, v22, v18
	v_add_co_u32_e32 v23, vcc, v16, v14
	v_addc_co_u32_e32 v24, vcc, 0, v15, vcc
	v_mad_u64_u32 v[16:17], s[4:5], v21, v18, 0
	v_add_co_u32_e32 v16, vcc, v23, v16
	v_mad_u64_u32 v[14:15], s[4:5], v21, v19, 0
	v_addc_co_u32_e32 v16, vcc, v24, v17, vcc
	v_addc_co_u32_e32 v15, vcc, 0, v15, vcc
	v_add_co_u32_e32 v16, vcc, v16, v14
	v_addc_co_u32_e32 v17, vcc, 0, v15, vcc
	v_mul_lo_u32 v18, s11, v16
	v_mul_lo_u32 v19, s10, v17
	v_mad_u64_u32 v[14:15], s[4:5], s10, v16, 0
	v_add3_u32 v15, v15, v19, v18
	v_sub_u32_e32 v18, v21, v15
	v_mov_b32_e32 v19, s11
	v_sub_co_u32_e32 v14, vcc, v22, v14
	v_subb_co_u32_e64 v18, s[4:5], v18, v19, vcc
	v_subrev_co_u32_e64 v19, s[4:5], s10, v14
	v_subbrev_co_u32_e64 v18, s[4:5], 0, v18, s[4:5]
	v_cmp_le_u32_e64 s[4:5], s11, v18
	v_cndmask_b32_e64 v22, 0, -1, s[4:5]
	v_cmp_le_u32_e64 s[4:5], s10, v19
	v_cndmask_b32_e64 v19, 0, -1, s[4:5]
	v_cmp_eq_u32_e64 s[4:5], s11, v18
	v_cndmask_b32_e64 v18, v22, v19, s[4:5]
	v_add_co_u32_e64 v19, s[4:5], 2, v16
	v_subb_co_u32_e32 v15, vcc, v21, v15, vcc
	v_addc_co_u32_e64 v22, s[4:5], 0, v17, s[4:5]
	v_cmp_le_u32_e32 vcc, s11, v15
	v_add_co_u32_e64 v23, s[4:5], 1, v16
	v_cndmask_b32_e64 v21, 0, -1, vcc
	v_cmp_le_u32_e32 vcc, s10, v14
	v_addc_co_u32_e64 v24, s[4:5], 0, v17, s[4:5]
	v_cndmask_b32_e64 v14, 0, -1, vcc
	v_cmp_eq_u32_e32 vcc, s11, v15
	v_cmp_ne_u32_e64 s[4:5], 0, v18
	v_cndmask_b32_e32 v14, v21, v14, vcc
	v_cndmask_b32_e64 v18, v24, v22, s[4:5]
	v_cmp_ne_u32_e32 vcc, 0, v14
	v_cndmask_b32_e64 v15, v23, v19, s[4:5]
	v_cndmask_b32_e32 v14, v17, v18, vcc
	v_cndmask_b32_e32 v15, v16, v15, vcc
	v_xor_b32_e32 v16, s8, v20
	v_xor_b32_e32 v17, v14, v16
	;; [unrolled: 1-line block ×3, first 2 shown]
	v_sub_co_u32_e32 v14, vcc, v14, v16
	v_subb_co_u32_e32 v15, vcc, v17, v16, vcc
                                        ; implicit-def: $vgpr16
.LBB1164_31:
	s_andn2_saveexec_b64 s[4:5], s[6:7]
	s_cbranch_execz .LBB1164_33
; %bb.32:
	v_cvt_f32_u32_e32 v14, s38
	s_sub_i32 s6, 0, s38
	v_rcp_iflag_f32_e32 v14, v14
	v_mul_f32_e32 v14, 0x4f7ffffe, v14
	v_cvt_u32_f32_e32 v14, v14
	v_mul_lo_u32 v15, s6, v14
	v_mul_hi_u32 v15, v14, v15
	v_add_u32_e32 v14, v14, v15
	v_mul_hi_u32 v14, v16, v14
	v_mul_lo_u32 v15, v14, s38
	v_sub_u32_e32 v15, v16, v15
	v_add_u32_e32 v17, 1, v14
	v_subrev_u32_e32 v16, s38, v15
	v_cmp_le_u32_e32 vcc, s38, v15
	v_cndmask_b32_e32 v15, v15, v16, vcc
	v_cndmask_b32_e32 v14, v14, v17, vcc
	v_add_u32_e32 v16, 1, v14
	v_cmp_le_u32_e32 vcc, s38, v15
	v_cndmask_b32_e32 v14, v14, v16, vcc
	v_mov_b32_e32 v15, 0
.LBB1164_33:
	s_or_b64 exec, exec, s[4:5]
	v_add_co_u32_e32 v18, vcc, 0x700, v30
	v_addc_co_u32_e32 v19, vcc, 0, v1, vcc
	v_or_b32_e32 v17, s39, v19
	v_mov_b32_e32 v16, 0
	v_cmp_ne_u64_e32 vcc, 0, v[16:17]
                                        ; implicit-def: $vgpr16_vgpr17
	s_and_saveexec_b64 s[4:5], vcc
	s_xor_b64 s[6:7], exec, s[4:5]
	s_cbranch_execz .LBB1164_35
; %bb.34:
	s_ashr_i32 s8, s39, 31
	s_add_u32 s4, s38, s8
	s_mov_b32 s9, s8
	s_addc_u32 s5, s39, s8
	s_xor_b64 s[10:11], s[4:5], s[8:9]
	v_cvt_f32_u32_e32 v16, s10
	v_cvt_f32_u32_e32 v17, s11
	s_sub_u32 s4, 0, s10
	s_subb_u32 s5, 0, s11
	v_madmk_f32 v16, v17, 0x4f800000, v16
	v_rcp_f32_e32 v16, v16
	v_mul_f32_e32 v16, 0x5f7ffffc, v16
	v_mul_f32_e32 v17, 0x2f800000, v16
	v_trunc_f32_e32 v17, v17
	v_madmk_f32 v16, v17, 0xcf800000, v16
	v_cvt_u32_f32_e32 v17, v17
	v_cvt_u32_f32_e32 v16, v16
	v_mul_lo_u32 v20, s4, v17
	v_mul_hi_u32 v22, s4, v16
	v_mul_lo_u32 v21, s5, v16
	v_add_u32_e32 v20, v22, v20
	v_mul_lo_u32 v23, s4, v16
	v_add_u32_e32 v20, v20, v21
	v_mul_lo_u32 v22, v16, v20
	v_mul_hi_u32 v24, v16, v23
	v_mul_hi_u32 v21, v16, v20
	v_add_co_u32_e32 v22, vcc, v24, v22
	v_addc_co_u32_e32 v21, vcc, 0, v21, vcc
	v_mul_hi_u32 v25, v17, v23
	v_mul_lo_u32 v23, v17, v23
	v_add_co_u32_e32 v22, vcc, v22, v23
	v_mul_hi_u32 v24, v17, v20
	v_addc_co_u32_e32 v21, vcc, v21, v25, vcc
	v_addc_co_u32_e32 v22, vcc, 0, v24, vcc
	v_mul_lo_u32 v20, v17, v20
	v_add_co_u32_e32 v20, vcc, v21, v20
	v_addc_co_u32_e32 v21, vcc, 0, v22, vcc
	v_add_co_u32_e32 v16, vcc, v16, v20
	v_addc_co_u32_e32 v17, vcc, v17, v21, vcc
	v_mul_lo_u32 v20, s4, v17
	v_mul_hi_u32 v21, s4, v16
	v_add_u32_e32 v20, v21, v20
	v_mul_lo_u32 v21, s5, v16
	v_add_u32_e32 v20, v20, v21
	v_mul_lo_u32 v22, s4, v16
	v_mul_hi_u32 v23, v17, v22
	v_mul_lo_u32 v24, v17, v22
	v_mul_lo_u32 v26, v16, v20
	v_mul_hi_u32 v22, v16, v22
	v_mul_hi_u32 v25, v16, v20
	v_add_co_u32_e32 v22, vcc, v22, v26
	v_addc_co_u32_e32 v25, vcc, 0, v25, vcc
	v_add_co_u32_e32 v22, vcc, v22, v24
	v_mul_hi_u32 v21, v17, v20
	v_addc_co_u32_e32 v22, vcc, v25, v23, vcc
	v_addc_co_u32_e32 v21, vcc, 0, v21, vcc
	v_mul_lo_u32 v20, v17, v20
	v_add_co_u32_e32 v20, vcc, v22, v20
	v_addc_co_u32_e32 v21, vcc, 0, v21, vcc
	v_add_co_u32_e32 v20, vcc, v16, v20
	v_addc_co_u32_e32 v21, vcc, v17, v21, vcc
	v_ashrrev_i32_e32 v22, 31, v19
	v_add_co_u32_e32 v16, vcc, v18, v22
	v_addc_co_u32_e32 v17, vcc, v19, v22, vcc
	v_xor_b32_e32 v24, v16, v22
	v_xor_b32_e32 v23, v17, v22
	v_mad_u64_u32 v[16:17], s[4:5], v24, v21, 0
	v_mul_hi_u32 v18, v24, v20
	v_add_co_u32_e32 v25, vcc, v18, v16
	v_addc_co_u32_e32 v26, vcc, 0, v17, vcc
	v_mad_u64_u32 v[18:19], s[4:5], v23, v20, 0
	v_add_co_u32_e32 v18, vcc, v25, v18
	v_mad_u64_u32 v[16:17], s[4:5], v23, v21, 0
	v_addc_co_u32_e32 v18, vcc, v26, v19, vcc
	v_addc_co_u32_e32 v17, vcc, 0, v17, vcc
	v_add_co_u32_e32 v18, vcc, v18, v16
	v_addc_co_u32_e32 v19, vcc, 0, v17, vcc
	v_mul_lo_u32 v20, s11, v18
	v_mul_lo_u32 v21, s10, v19
	v_mad_u64_u32 v[16:17], s[4:5], s10, v18, 0
	v_add3_u32 v17, v17, v21, v20
	v_sub_u32_e32 v20, v23, v17
	v_mov_b32_e32 v21, s11
	v_sub_co_u32_e32 v16, vcc, v24, v16
	v_subb_co_u32_e64 v20, s[4:5], v20, v21, vcc
	v_subrev_co_u32_e64 v21, s[4:5], s10, v16
	v_subbrev_co_u32_e64 v20, s[4:5], 0, v20, s[4:5]
	v_cmp_le_u32_e64 s[4:5], s11, v20
	v_cndmask_b32_e64 v24, 0, -1, s[4:5]
	v_cmp_le_u32_e64 s[4:5], s10, v21
	v_cndmask_b32_e64 v21, 0, -1, s[4:5]
	v_cmp_eq_u32_e64 s[4:5], s11, v20
	v_cndmask_b32_e64 v20, v24, v21, s[4:5]
	v_add_co_u32_e64 v21, s[4:5], 2, v18
	v_subb_co_u32_e32 v17, vcc, v23, v17, vcc
	v_addc_co_u32_e64 v24, s[4:5], 0, v19, s[4:5]
	v_cmp_le_u32_e32 vcc, s11, v17
	v_add_co_u32_e64 v25, s[4:5], 1, v18
	v_cndmask_b32_e64 v23, 0, -1, vcc
	v_cmp_le_u32_e32 vcc, s10, v16
	v_addc_co_u32_e64 v26, s[4:5], 0, v19, s[4:5]
	v_cndmask_b32_e64 v16, 0, -1, vcc
	v_cmp_eq_u32_e32 vcc, s11, v17
	v_cmp_ne_u32_e64 s[4:5], 0, v20
	v_cndmask_b32_e32 v16, v23, v16, vcc
	v_cndmask_b32_e64 v20, v26, v24, s[4:5]
	v_cmp_ne_u32_e32 vcc, 0, v16
	v_cndmask_b32_e64 v17, v25, v21, s[4:5]
	v_cndmask_b32_e32 v16, v19, v20, vcc
	v_cndmask_b32_e32 v17, v18, v17, vcc
	v_xor_b32_e32 v18, s8, v22
	v_xor_b32_e32 v19, v16, v18
	;; [unrolled: 1-line block ×3, first 2 shown]
	v_sub_co_u32_e32 v16, vcc, v16, v18
	v_subb_co_u32_e32 v17, vcc, v19, v18, vcc
                                        ; implicit-def: $vgpr18
.LBB1164_35:
	s_andn2_saveexec_b64 s[4:5], s[6:7]
	s_cbranch_execz .LBB1164_37
; %bb.36:
	v_cvt_f32_u32_e32 v16, s38
	s_sub_i32 s6, 0, s38
	v_rcp_iflag_f32_e32 v16, v16
	v_mul_f32_e32 v16, 0x4f7ffffe, v16
	v_cvt_u32_f32_e32 v16, v16
	v_mul_lo_u32 v17, s6, v16
	v_mul_hi_u32 v17, v16, v17
	v_add_u32_e32 v16, v16, v17
	v_mul_hi_u32 v16, v18, v16
	v_mul_lo_u32 v17, v16, s38
	v_sub_u32_e32 v17, v18, v17
	v_add_u32_e32 v19, 1, v16
	v_subrev_u32_e32 v18, s38, v17
	v_cmp_le_u32_e32 vcc, s38, v17
	v_cndmask_b32_e32 v17, v17, v18, vcc
	v_cndmask_b32_e32 v16, v16, v19, vcc
	v_add_u32_e32 v18, 1, v16
	v_cmp_le_u32_e32 vcc, s38, v17
	v_cndmask_b32_e32 v16, v16, v18, vcc
	v_mov_b32_e32 v17, 0
.LBB1164_37:
	s_or_b64 exec, exec, s[4:5]
	v_add_co_u32_e32 v20, vcc, 0x800, v30
	v_addc_co_u32_e32 v21, vcc, 0, v1, vcc
	v_or_b32_e32 v19, s39, v21
	v_mov_b32_e32 v18, 0
	v_cmp_ne_u64_e32 vcc, 0, v[18:19]
                                        ; implicit-def: $vgpr18_vgpr19
	s_and_saveexec_b64 s[4:5], vcc
	s_xor_b64 s[6:7], exec, s[4:5]
	s_cbranch_execz .LBB1164_39
; %bb.38:
	s_ashr_i32 s8, s39, 31
	s_add_u32 s4, s38, s8
	s_mov_b32 s9, s8
	s_addc_u32 s5, s39, s8
	s_xor_b64 s[10:11], s[4:5], s[8:9]
	v_cvt_f32_u32_e32 v18, s10
	v_cvt_f32_u32_e32 v19, s11
	s_sub_u32 s4, 0, s10
	s_subb_u32 s5, 0, s11
	v_madmk_f32 v18, v19, 0x4f800000, v18
	v_rcp_f32_e32 v18, v18
	v_mul_f32_e32 v18, 0x5f7ffffc, v18
	v_mul_f32_e32 v19, 0x2f800000, v18
	v_trunc_f32_e32 v19, v19
	v_madmk_f32 v18, v19, 0xcf800000, v18
	v_cvt_u32_f32_e32 v19, v19
	v_cvt_u32_f32_e32 v18, v18
	v_mul_lo_u32 v22, s4, v19
	v_mul_hi_u32 v24, s4, v18
	v_mul_lo_u32 v23, s5, v18
	v_add_u32_e32 v22, v24, v22
	v_mul_lo_u32 v25, s4, v18
	v_add_u32_e32 v22, v22, v23
	v_mul_lo_u32 v24, v18, v22
	v_mul_hi_u32 v26, v18, v25
	v_mul_hi_u32 v23, v18, v22
	v_add_co_u32_e32 v24, vcc, v26, v24
	v_addc_co_u32_e32 v23, vcc, 0, v23, vcc
	v_mul_hi_u32 v27, v19, v25
	v_mul_lo_u32 v25, v19, v25
	v_add_co_u32_e32 v24, vcc, v24, v25
	v_mul_hi_u32 v26, v19, v22
	v_addc_co_u32_e32 v23, vcc, v23, v27, vcc
	v_addc_co_u32_e32 v24, vcc, 0, v26, vcc
	v_mul_lo_u32 v22, v19, v22
	v_add_co_u32_e32 v22, vcc, v23, v22
	v_addc_co_u32_e32 v23, vcc, 0, v24, vcc
	v_add_co_u32_e32 v18, vcc, v18, v22
	v_addc_co_u32_e32 v19, vcc, v19, v23, vcc
	v_mul_lo_u32 v22, s4, v19
	v_mul_hi_u32 v23, s4, v18
	v_add_u32_e32 v22, v23, v22
	v_mul_lo_u32 v23, s5, v18
	v_add_u32_e32 v22, v22, v23
	v_mul_lo_u32 v24, s4, v18
	v_mul_hi_u32 v25, v19, v24
	v_mul_lo_u32 v26, v19, v24
	v_mul_lo_u32 v28, v18, v22
	v_mul_hi_u32 v24, v18, v24
	v_mul_hi_u32 v27, v18, v22
	v_add_co_u32_e32 v24, vcc, v24, v28
	v_addc_co_u32_e32 v27, vcc, 0, v27, vcc
	v_add_co_u32_e32 v24, vcc, v24, v26
	v_mul_hi_u32 v23, v19, v22
	v_addc_co_u32_e32 v24, vcc, v27, v25, vcc
	v_addc_co_u32_e32 v23, vcc, 0, v23, vcc
	v_mul_lo_u32 v22, v19, v22
	v_add_co_u32_e32 v22, vcc, v24, v22
	v_addc_co_u32_e32 v23, vcc, 0, v23, vcc
	v_add_co_u32_e32 v22, vcc, v18, v22
	v_addc_co_u32_e32 v23, vcc, v19, v23, vcc
	v_ashrrev_i32_e32 v24, 31, v21
	v_add_co_u32_e32 v18, vcc, v20, v24
	v_addc_co_u32_e32 v19, vcc, v21, v24, vcc
	v_xor_b32_e32 v26, v18, v24
	v_xor_b32_e32 v25, v19, v24
	v_mad_u64_u32 v[18:19], s[4:5], v26, v23, 0
	v_mul_hi_u32 v20, v26, v22
	v_add_co_u32_e32 v27, vcc, v20, v18
	v_addc_co_u32_e32 v28, vcc, 0, v19, vcc
	v_mad_u64_u32 v[20:21], s[4:5], v25, v22, 0
	v_add_co_u32_e32 v20, vcc, v27, v20
	v_mad_u64_u32 v[18:19], s[4:5], v25, v23, 0
	v_addc_co_u32_e32 v20, vcc, v28, v21, vcc
	v_addc_co_u32_e32 v19, vcc, 0, v19, vcc
	v_add_co_u32_e32 v20, vcc, v20, v18
	v_addc_co_u32_e32 v21, vcc, 0, v19, vcc
	v_mul_lo_u32 v22, s11, v20
	v_mul_lo_u32 v23, s10, v21
	v_mad_u64_u32 v[18:19], s[4:5], s10, v20, 0
	v_add3_u32 v19, v19, v23, v22
	v_sub_u32_e32 v22, v25, v19
	v_mov_b32_e32 v23, s11
	v_sub_co_u32_e32 v18, vcc, v26, v18
	v_subb_co_u32_e64 v22, s[4:5], v22, v23, vcc
	v_subrev_co_u32_e64 v23, s[4:5], s10, v18
	v_subbrev_co_u32_e64 v22, s[4:5], 0, v22, s[4:5]
	v_cmp_le_u32_e64 s[4:5], s11, v22
	v_cndmask_b32_e64 v26, 0, -1, s[4:5]
	v_cmp_le_u32_e64 s[4:5], s10, v23
	v_cndmask_b32_e64 v23, 0, -1, s[4:5]
	v_cmp_eq_u32_e64 s[4:5], s11, v22
	v_cndmask_b32_e64 v22, v26, v23, s[4:5]
	v_add_co_u32_e64 v23, s[4:5], 2, v20
	v_subb_co_u32_e32 v19, vcc, v25, v19, vcc
	v_addc_co_u32_e64 v26, s[4:5], 0, v21, s[4:5]
	v_cmp_le_u32_e32 vcc, s11, v19
	v_add_co_u32_e64 v27, s[4:5], 1, v20
	v_cndmask_b32_e64 v25, 0, -1, vcc
	v_cmp_le_u32_e32 vcc, s10, v18
	v_addc_co_u32_e64 v28, s[4:5], 0, v21, s[4:5]
	v_cndmask_b32_e64 v18, 0, -1, vcc
	v_cmp_eq_u32_e32 vcc, s11, v19
	v_cmp_ne_u32_e64 s[4:5], 0, v22
	v_cndmask_b32_e32 v18, v25, v18, vcc
	v_cndmask_b32_e64 v22, v28, v26, s[4:5]
	v_cmp_ne_u32_e32 vcc, 0, v18
	v_cndmask_b32_e64 v19, v27, v23, s[4:5]
	v_cndmask_b32_e32 v18, v21, v22, vcc
	v_cndmask_b32_e32 v19, v20, v19, vcc
	v_xor_b32_e32 v20, s8, v24
	v_xor_b32_e32 v21, v18, v20
	;; [unrolled: 1-line block ×3, first 2 shown]
	v_sub_co_u32_e32 v18, vcc, v18, v20
	v_subb_co_u32_e32 v19, vcc, v21, v20, vcc
                                        ; implicit-def: $vgpr20
.LBB1164_39:
	s_andn2_saveexec_b64 s[4:5], s[6:7]
	s_cbranch_execz .LBB1164_41
; %bb.40:
	v_cvt_f32_u32_e32 v18, s38
	s_sub_i32 s6, 0, s38
	v_rcp_iflag_f32_e32 v18, v18
	v_mul_f32_e32 v18, 0x4f7ffffe, v18
	v_cvt_u32_f32_e32 v18, v18
	v_mul_lo_u32 v19, s6, v18
	v_mul_hi_u32 v19, v18, v19
	v_add_u32_e32 v18, v18, v19
	v_mul_hi_u32 v18, v20, v18
	v_mul_lo_u32 v19, v18, s38
	v_sub_u32_e32 v19, v20, v19
	v_add_u32_e32 v21, 1, v18
	v_subrev_u32_e32 v20, s38, v19
	v_cmp_le_u32_e32 vcc, s38, v19
	v_cndmask_b32_e32 v19, v19, v20, vcc
	v_cndmask_b32_e32 v18, v18, v21, vcc
	v_add_u32_e32 v20, 1, v18
	v_cmp_le_u32_e32 vcc, s38, v19
	v_cndmask_b32_e32 v18, v18, v20, vcc
	v_mov_b32_e32 v19, 0
.LBB1164_41:
	s_or_b64 exec, exec, s[4:5]
	v_add_co_u32_e32 v22, vcc, 0x900, v30
	v_addc_co_u32_e32 v23, vcc, 0, v1, vcc
	v_or_b32_e32 v21, s39, v23
	v_mov_b32_e32 v20, 0
	v_cmp_ne_u64_e32 vcc, 0, v[20:21]
                                        ; implicit-def: $vgpr20_vgpr21
	s_and_saveexec_b64 s[4:5], vcc
	s_xor_b64 s[6:7], exec, s[4:5]
	s_cbranch_execz .LBB1164_43
; %bb.42:
	s_ashr_i32 s8, s39, 31
	s_add_u32 s4, s38, s8
	s_mov_b32 s9, s8
	s_addc_u32 s5, s39, s8
	s_xor_b64 s[10:11], s[4:5], s[8:9]
	v_cvt_f32_u32_e32 v20, s10
	v_cvt_f32_u32_e32 v21, s11
	s_sub_u32 s4, 0, s10
	s_subb_u32 s5, 0, s11
	v_madmk_f32 v20, v21, 0x4f800000, v20
	v_rcp_f32_e32 v20, v20
	v_mul_f32_e32 v20, 0x5f7ffffc, v20
	v_mul_f32_e32 v21, 0x2f800000, v20
	v_trunc_f32_e32 v21, v21
	v_madmk_f32 v20, v21, 0xcf800000, v20
	v_cvt_u32_f32_e32 v21, v21
	v_cvt_u32_f32_e32 v20, v20
	v_mul_lo_u32 v24, s4, v21
	v_mul_hi_u32 v26, s4, v20
	v_mul_lo_u32 v25, s5, v20
	v_add_u32_e32 v24, v26, v24
	v_mul_lo_u32 v27, s4, v20
	v_add_u32_e32 v24, v24, v25
	v_mul_lo_u32 v26, v20, v24
	v_mul_hi_u32 v28, v20, v27
	v_mul_hi_u32 v25, v20, v24
	v_add_co_u32_e32 v26, vcc, v28, v26
	v_addc_co_u32_e32 v25, vcc, 0, v25, vcc
	v_mul_hi_u32 v29, v21, v27
	v_mul_lo_u32 v27, v21, v27
	v_add_co_u32_e32 v26, vcc, v26, v27
	v_mul_hi_u32 v28, v21, v24
	v_addc_co_u32_e32 v25, vcc, v25, v29, vcc
	v_addc_co_u32_e32 v26, vcc, 0, v28, vcc
	v_mul_lo_u32 v24, v21, v24
	v_add_co_u32_e32 v24, vcc, v25, v24
	v_addc_co_u32_e32 v25, vcc, 0, v26, vcc
	v_add_co_u32_e32 v20, vcc, v20, v24
	v_addc_co_u32_e32 v21, vcc, v21, v25, vcc
	v_mul_lo_u32 v24, s4, v21
	v_mul_hi_u32 v25, s4, v20
	v_add_u32_e32 v24, v25, v24
	v_mul_lo_u32 v25, s5, v20
	v_add_u32_e32 v24, v24, v25
	v_mul_lo_u32 v26, s4, v20
	v_mul_hi_u32 v27, v21, v26
	v_mul_lo_u32 v28, v21, v26
	v_mul_lo_u32 v31, v20, v24
	v_mul_hi_u32 v26, v20, v26
	v_mul_hi_u32 v29, v20, v24
	v_add_co_u32_e32 v26, vcc, v26, v31
	v_addc_co_u32_e32 v29, vcc, 0, v29, vcc
	v_add_co_u32_e32 v26, vcc, v26, v28
	v_mul_hi_u32 v25, v21, v24
	v_addc_co_u32_e32 v26, vcc, v29, v27, vcc
	v_addc_co_u32_e32 v25, vcc, 0, v25, vcc
	v_mul_lo_u32 v24, v21, v24
	v_add_co_u32_e32 v24, vcc, v26, v24
	v_addc_co_u32_e32 v25, vcc, 0, v25, vcc
	v_add_co_u32_e32 v24, vcc, v20, v24
	v_addc_co_u32_e32 v25, vcc, v21, v25, vcc
	v_ashrrev_i32_e32 v26, 31, v23
	v_add_co_u32_e32 v20, vcc, v22, v26
	v_addc_co_u32_e32 v21, vcc, v23, v26, vcc
	v_xor_b32_e32 v28, v20, v26
	v_xor_b32_e32 v27, v21, v26
	v_mad_u64_u32 v[20:21], s[4:5], v28, v25, 0
	v_mul_hi_u32 v22, v28, v24
	v_add_co_u32_e32 v29, vcc, v22, v20
	v_addc_co_u32_e32 v31, vcc, 0, v21, vcc
	v_mad_u64_u32 v[22:23], s[4:5], v27, v24, 0
	v_add_co_u32_e32 v22, vcc, v29, v22
	v_mad_u64_u32 v[20:21], s[4:5], v27, v25, 0
	v_addc_co_u32_e32 v22, vcc, v31, v23, vcc
	v_addc_co_u32_e32 v21, vcc, 0, v21, vcc
	v_add_co_u32_e32 v22, vcc, v22, v20
	v_addc_co_u32_e32 v23, vcc, 0, v21, vcc
	v_mul_lo_u32 v24, s11, v22
	v_mul_lo_u32 v25, s10, v23
	v_mad_u64_u32 v[20:21], s[4:5], s10, v22, 0
	v_add3_u32 v21, v21, v25, v24
	v_sub_u32_e32 v24, v27, v21
	v_mov_b32_e32 v25, s11
	v_sub_co_u32_e32 v20, vcc, v28, v20
	v_subb_co_u32_e64 v24, s[4:5], v24, v25, vcc
	v_subrev_co_u32_e64 v25, s[4:5], s10, v20
	v_subbrev_co_u32_e64 v24, s[4:5], 0, v24, s[4:5]
	v_cmp_le_u32_e64 s[4:5], s11, v24
	v_cndmask_b32_e64 v28, 0, -1, s[4:5]
	v_cmp_le_u32_e64 s[4:5], s10, v25
	v_cndmask_b32_e64 v25, 0, -1, s[4:5]
	v_cmp_eq_u32_e64 s[4:5], s11, v24
	v_cndmask_b32_e64 v24, v28, v25, s[4:5]
	v_add_co_u32_e64 v25, s[4:5], 2, v22
	v_subb_co_u32_e32 v21, vcc, v27, v21, vcc
	v_addc_co_u32_e64 v28, s[4:5], 0, v23, s[4:5]
	v_cmp_le_u32_e32 vcc, s11, v21
	v_add_co_u32_e64 v29, s[4:5], 1, v22
	v_cndmask_b32_e64 v27, 0, -1, vcc
	v_cmp_le_u32_e32 vcc, s10, v20
	v_addc_co_u32_e64 v31, s[4:5], 0, v23, s[4:5]
	v_cndmask_b32_e64 v20, 0, -1, vcc
	v_cmp_eq_u32_e32 vcc, s11, v21
	v_cmp_ne_u32_e64 s[4:5], 0, v24
	v_cndmask_b32_e32 v20, v27, v20, vcc
	v_cndmask_b32_e64 v24, v31, v28, s[4:5]
	v_cmp_ne_u32_e32 vcc, 0, v20
	v_cndmask_b32_e64 v21, v29, v25, s[4:5]
	v_cndmask_b32_e32 v20, v23, v24, vcc
	v_cndmask_b32_e32 v21, v22, v21, vcc
	v_xor_b32_e32 v22, s8, v26
	v_xor_b32_e32 v23, v20, v22
	;; [unrolled: 1-line block ×3, first 2 shown]
	v_sub_co_u32_e32 v20, vcc, v20, v22
	v_subb_co_u32_e32 v21, vcc, v23, v22, vcc
                                        ; implicit-def: $vgpr22
.LBB1164_43:
	s_andn2_saveexec_b64 s[4:5], s[6:7]
	s_cbranch_execz .LBB1164_45
; %bb.44:
	v_cvt_f32_u32_e32 v20, s38
	s_sub_i32 s6, 0, s38
	v_rcp_iflag_f32_e32 v20, v20
	v_mul_f32_e32 v20, 0x4f7ffffe, v20
	v_cvt_u32_f32_e32 v20, v20
	v_mul_lo_u32 v21, s6, v20
	v_mul_hi_u32 v21, v20, v21
	v_add_u32_e32 v20, v20, v21
	v_mul_hi_u32 v20, v22, v20
	v_mul_lo_u32 v21, v20, s38
	v_sub_u32_e32 v21, v22, v21
	v_add_u32_e32 v23, 1, v20
	v_subrev_u32_e32 v22, s38, v21
	v_cmp_le_u32_e32 vcc, s38, v21
	v_cndmask_b32_e32 v21, v21, v22, vcc
	v_cndmask_b32_e32 v20, v20, v23, vcc
	v_add_u32_e32 v22, 1, v20
	v_cmp_le_u32_e32 vcc, s38, v21
	v_cndmask_b32_e32 v20, v20, v22, vcc
	v_mov_b32_e32 v21, 0
.LBB1164_45:
	s_or_b64 exec, exec, s[4:5]
	v_add_co_u32_e32 v24, vcc, 0xa00, v30
	v_addc_co_u32_e32 v25, vcc, 0, v1, vcc
	v_or_b32_e32 v23, s39, v25
	v_mov_b32_e32 v22, 0
	v_cmp_ne_u64_e32 vcc, 0, v[22:23]
                                        ; implicit-def: $vgpr22_vgpr23
	s_and_saveexec_b64 s[4:5], vcc
	s_xor_b64 s[6:7], exec, s[4:5]
	s_cbranch_execz .LBB1164_47
; %bb.46:
	s_ashr_i32 s8, s39, 31
	s_add_u32 s4, s38, s8
	s_mov_b32 s9, s8
	s_addc_u32 s5, s39, s8
	s_xor_b64 s[10:11], s[4:5], s[8:9]
	v_cvt_f32_u32_e32 v22, s10
	v_cvt_f32_u32_e32 v23, s11
	s_sub_u32 s4, 0, s10
	s_subb_u32 s5, 0, s11
	v_madmk_f32 v22, v23, 0x4f800000, v22
	v_rcp_f32_e32 v22, v22
	v_mul_f32_e32 v22, 0x5f7ffffc, v22
	v_mul_f32_e32 v23, 0x2f800000, v22
	v_trunc_f32_e32 v23, v23
	v_madmk_f32 v22, v23, 0xcf800000, v22
	v_cvt_u32_f32_e32 v23, v23
	v_cvt_u32_f32_e32 v22, v22
	v_mul_lo_u32 v26, s4, v23
	v_mul_hi_u32 v28, s4, v22
	v_mul_lo_u32 v27, s5, v22
	v_add_u32_e32 v26, v28, v26
	v_mul_lo_u32 v29, s4, v22
	v_add_u32_e32 v26, v26, v27
	v_mul_lo_u32 v28, v22, v26
	v_mul_hi_u32 v31, v22, v29
	v_mul_hi_u32 v27, v22, v26
	v_add_co_u32_e32 v28, vcc, v31, v28
	v_addc_co_u32_e32 v27, vcc, 0, v27, vcc
	v_mul_hi_u32 v32, v23, v29
	v_mul_lo_u32 v29, v23, v29
	v_add_co_u32_e32 v28, vcc, v28, v29
	v_mul_hi_u32 v31, v23, v26
	v_addc_co_u32_e32 v27, vcc, v27, v32, vcc
	v_addc_co_u32_e32 v28, vcc, 0, v31, vcc
	v_mul_lo_u32 v26, v23, v26
	v_add_co_u32_e32 v26, vcc, v27, v26
	v_addc_co_u32_e32 v27, vcc, 0, v28, vcc
	v_add_co_u32_e32 v22, vcc, v22, v26
	v_addc_co_u32_e32 v23, vcc, v23, v27, vcc
	v_mul_lo_u32 v26, s4, v23
	v_mul_hi_u32 v27, s4, v22
	v_add_u32_e32 v26, v27, v26
	v_mul_lo_u32 v27, s5, v22
	v_add_u32_e32 v26, v26, v27
	v_mul_lo_u32 v28, s4, v22
	v_mul_hi_u32 v29, v23, v28
	v_mul_lo_u32 v31, v23, v28
	v_mul_lo_u32 v33, v22, v26
	v_mul_hi_u32 v28, v22, v28
	v_mul_hi_u32 v32, v22, v26
	v_add_co_u32_e32 v28, vcc, v28, v33
	v_addc_co_u32_e32 v32, vcc, 0, v32, vcc
	v_add_co_u32_e32 v28, vcc, v28, v31
	v_mul_hi_u32 v27, v23, v26
	v_addc_co_u32_e32 v28, vcc, v32, v29, vcc
	v_addc_co_u32_e32 v27, vcc, 0, v27, vcc
	v_mul_lo_u32 v26, v23, v26
	v_add_co_u32_e32 v26, vcc, v28, v26
	v_addc_co_u32_e32 v27, vcc, 0, v27, vcc
	v_add_co_u32_e32 v26, vcc, v22, v26
	v_addc_co_u32_e32 v27, vcc, v23, v27, vcc
	v_ashrrev_i32_e32 v28, 31, v25
	v_add_co_u32_e32 v22, vcc, v24, v28
	v_addc_co_u32_e32 v23, vcc, v25, v28, vcc
	v_xor_b32_e32 v31, v22, v28
	v_xor_b32_e32 v29, v23, v28
	v_mad_u64_u32 v[22:23], s[4:5], v31, v27, 0
	v_mul_hi_u32 v24, v31, v26
	v_add_co_u32_e32 v32, vcc, v24, v22
	v_addc_co_u32_e32 v33, vcc, 0, v23, vcc
	v_mad_u64_u32 v[24:25], s[4:5], v29, v26, 0
	v_add_co_u32_e32 v24, vcc, v32, v24
	v_mad_u64_u32 v[22:23], s[4:5], v29, v27, 0
	v_addc_co_u32_e32 v24, vcc, v33, v25, vcc
	v_addc_co_u32_e32 v23, vcc, 0, v23, vcc
	v_add_co_u32_e32 v24, vcc, v24, v22
	v_addc_co_u32_e32 v25, vcc, 0, v23, vcc
	v_mul_lo_u32 v26, s11, v24
	v_mul_lo_u32 v27, s10, v25
	v_mad_u64_u32 v[22:23], s[4:5], s10, v24, 0
	v_add3_u32 v23, v23, v27, v26
	v_sub_u32_e32 v26, v29, v23
	v_mov_b32_e32 v27, s11
	v_sub_co_u32_e32 v22, vcc, v31, v22
	v_subb_co_u32_e64 v26, s[4:5], v26, v27, vcc
	v_subrev_co_u32_e64 v27, s[4:5], s10, v22
	v_subbrev_co_u32_e64 v26, s[4:5], 0, v26, s[4:5]
	v_cmp_le_u32_e64 s[4:5], s11, v26
	v_cndmask_b32_e64 v31, 0, -1, s[4:5]
	v_cmp_le_u32_e64 s[4:5], s10, v27
	v_cndmask_b32_e64 v27, 0, -1, s[4:5]
	v_cmp_eq_u32_e64 s[4:5], s11, v26
	v_cndmask_b32_e64 v26, v31, v27, s[4:5]
	v_add_co_u32_e64 v27, s[4:5], 2, v24
	v_subb_co_u32_e32 v23, vcc, v29, v23, vcc
	v_addc_co_u32_e64 v31, s[4:5], 0, v25, s[4:5]
	v_cmp_le_u32_e32 vcc, s11, v23
	v_add_co_u32_e64 v32, s[4:5], 1, v24
	v_cndmask_b32_e64 v29, 0, -1, vcc
	v_cmp_le_u32_e32 vcc, s10, v22
	v_addc_co_u32_e64 v33, s[4:5], 0, v25, s[4:5]
	v_cndmask_b32_e64 v22, 0, -1, vcc
	v_cmp_eq_u32_e32 vcc, s11, v23
	v_cmp_ne_u32_e64 s[4:5], 0, v26
	v_cndmask_b32_e32 v22, v29, v22, vcc
	v_cndmask_b32_e64 v26, v33, v31, s[4:5]
	v_cmp_ne_u32_e32 vcc, 0, v22
	v_cndmask_b32_e64 v23, v32, v27, s[4:5]
	v_cndmask_b32_e32 v22, v25, v26, vcc
	v_cndmask_b32_e32 v23, v24, v23, vcc
	v_xor_b32_e32 v24, s8, v28
	v_xor_b32_e32 v25, v22, v24
	;; [unrolled: 1-line block ×3, first 2 shown]
	v_sub_co_u32_e32 v22, vcc, v22, v24
	v_subb_co_u32_e32 v23, vcc, v25, v24, vcc
                                        ; implicit-def: $vgpr24
.LBB1164_47:
	s_andn2_saveexec_b64 s[4:5], s[6:7]
	s_cbranch_execz .LBB1164_49
; %bb.48:
	v_cvt_f32_u32_e32 v22, s38
	s_sub_i32 s6, 0, s38
	v_rcp_iflag_f32_e32 v22, v22
	v_mul_f32_e32 v22, 0x4f7ffffe, v22
	v_cvt_u32_f32_e32 v22, v22
	v_mul_lo_u32 v23, s6, v22
	v_mul_hi_u32 v23, v22, v23
	v_add_u32_e32 v22, v22, v23
	v_mul_hi_u32 v22, v24, v22
	v_mul_lo_u32 v23, v22, s38
	v_sub_u32_e32 v23, v24, v23
	v_add_u32_e32 v25, 1, v22
	v_subrev_u32_e32 v24, s38, v23
	v_cmp_le_u32_e32 vcc, s38, v23
	v_cndmask_b32_e32 v23, v23, v24, vcc
	v_cndmask_b32_e32 v22, v22, v25, vcc
	v_add_u32_e32 v24, 1, v22
	v_cmp_le_u32_e32 vcc, s38, v23
	v_cndmask_b32_e32 v22, v22, v24, vcc
	v_mov_b32_e32 v23, 0
.LBB1164_49:
	s_or_b64 exec, exec, s[4:5]
	v_add_co_u32_e32 v26, vcc, 0xb00, v30
	v_addc_co_u32_e32 v27, vcc, 0, v1, vcc
	v_or_b32_e32 v25, s39, v27
	v_mov_b32_e32 v24, 0
	v_cmp_ne_u64_e32 vcc, 0, v[24:25]
                                        ; implicit-def: $vgpr24_vgpr25
	s_and_saveexec_b64 s[4:5], vcc
	s_xor_b64 s[6:7], exec, s[4:5]
	s_cbranch_execz .LBB1164_51
; %bb.50:
	s_ashr_i32 s8, s39, 31
	s_add_u32 s4, s38, s8
	s_mov_b32 s9, s8
	s_addc_u32 s5, s39, s8
	s_xor_b64 s[10:11], s[4:5], s[8:9]
	v_cvt_f32_u32_e32 v24, s10
	v_cvt_f32_u32_e32 v25, s11
	s_sub_u32 s4, 0, s10
	s_subb_u32 s5, 0, s11
	v_madmk_f32 v24, v25, 0x4f800000, v24
	v_rcp_f32_e32 v24, v24
	v_mul_f32_e32 v24, 0x5f7ffffc, v24
	v_mul_f32_e32 v25, 0x2f800000, v24
	v_trunc_f32_e32 v25, v25
	v_madmk_f32 v24, v25, 0xcf800000, v24
	v_cvt_u32_f32_e32 v25, v25
	v_cvt_u32_f32_e32 v24, v24
	v_mul_lo_u32 v28, s4, v25
	v_mul_hi_u32 v31, s4, v24
	v_mul_lo_u32 v29, s5, v24
	v_add_u32_e32 v28, v31, v28
	v_mul_lo_u32 v32, s4, v24
	v_add_u32_e32 v28, v28, v29
	v_mul_lo_u32 v31, v24, v28
	v_mul_hi_u32 v33, v24, v32
	v_mul_hi_u32 v29, v24, v28
	v_add_co_u32_e32 v31, vcc, v33, v31
	v_addc_co_u32_e32 v29, vcc, 0, v29, vcc
	v_mul_hi_u32 v34, v25, v32
	v_mul_lo_u32 v32, v25, v32
	v_add_co_u32_e32 v31, vcc, v31, v32
	v_mul_hi_u32 v33, v25, v28
	v_addc_co_u32_e32 v29, vcc, v29, v34, vcc
	v_addc_co_u32_e32 v31, vcc, 0, v33, vcc
	v_mul_lo_u32 v28, v25, v28
	v_add_co_u32_e32 v28, vcc, v29, v28
	v_addc_co_u32_e32 v29, vcc, 0, v31, vcc
	v_add_co_u32_e32 v24, vcc, v24, v28
	v_addc_co_u32_e32 v25, vcc, v25, v29, vcc
	v_mul_lo_u32 v28, s4, v25
	v_mul_hi_u32 v29, s4, v24
	v_add_u32_e32 v28, v29, v28
	v_mul_lo_u32 v29, s5, v24
	v_add_u32_e32 v28, v28, v29
	v_mul_lo_u32 v31, s4, v24
	v_mul_hi_u32 v32, v25, v31
	v_mul_lo_u32 v33, v25, v31
	v_mul_lo_u32 v35, v24, v28
	v_mul_hi_u32 v31, v24, v31
	v_mul_hi_u32 v34, v24, v28
	v_add_co_u32_e32 v31, vcc, v31, v35
	v_addc_co_u32_e32 v34, vcc, 0, v34, vcc
	v_add_co_u32_e32 v31, vcc, v31, v33
	v_mul_hi_u32 v29, v25, v28
	v_addc_co_u32_e32 v31, vcc, v34, v32, vcc
	v_addc_co_u32_e32 v29, vcc, 0, v29, vcc
	v_mul_lo_u32 v28, v25, v28
	v_add_co_u32_e32 v28, vcc, v31, v28
	v_addc_co_u32_e32 v29, vcc, 0, v29, vcc
	v_add_co_u32_e32 v28, vcc, v24, v28
	v_addc_co_u32_e32 v29, vcc, v25, v29, vcc
	v_ashrrev_i32_e32 v31, 31, v27
	v_add_co_u32_e32 v24, vcc, v26, v31
	v_addc_co_u32_e32 v25, vcc, v27, v31, vcc
	v_xor_b32_e32 v33, v24, v31
	v_xor_b32_e32 v32, v25, v31
	v_mad_u64_u32 v[24:25], s[4:5], v33, v29, 0
	v_mul_hi_u32 v26, v33, v28
	v_add_co_u32_e32 v34, vcc, v26, v24
	v_addc_co_u32_e32 v35, vcc, 0, v25, vcc
	v_mad_u64_u32 v[26:27], s[4:5], v32, v28, 0
	v_add_co_u32_e32 v26, vcc, v34, v26
	v_mad_u64_u32 v[24:25], s[4:5], v32, v29, 0
	v_addc_co_u32_e32 v26, vcc, v35, v27, vcc
	v_addc_co_u32_e32 v25, vcc, 0, v25, vcc
	v_add_co_u32_e32 v26, vcc, v26, v24
	v_addc_co_u32_e32 v27, vcc, 0, v25, vcc
	v_mul_lo_u32 v28, s11, v26
	v_mul_lo_u32 v29, s10, v27
	v_mad_u64_u32 v[24:25], s[4:5], s10, v26, 0
	v_add3_u32 v25, v25, v29, v28
	v_sub_u32_e32 v28, v32, v25
	v_mov_b32_e32 v29, s11
	v_sub_co_u32_e32 v24, vcc, v33, v24
	v_subb_co_u32_e64 v28, s[4:5], v28, v29, vcc
	v_subrev_co_u32_e64 v29, s[4:5], s10, v24
	v_subbrev_co_u32_e64 v28, s[4:5], 0, v28, s[4:5]
	v_cmp_le_u32_e64 s[4:5], s11, v28
	v_cndmask_b32_e64 v33, 0, -1, s[4:5]
	v_cmp_le_u32_e64 s[4:5], s10, v29
	v_cndmask_b32_e64 v29, 0, -1, s[4:5]
	v_cmp_eq_u32_e64 s[4:5], s11, v28
	v_cndmask_b32_e64 v28, v33, v29, s[4:5]
	v_add_co_u32_e64 v29, s[4:5], 2, v26
	v_subb_co_u32_e32 v25, vcc, v32, v25, vcc
	v_addc_co_u32_e64 v33, s[4:5], 0, v27, s[4:5]
	v_cmp_le_u32_e32 vcc, s11, v25
	v_add_co_u32_e64 v34, s[4:5], 1, v26
	v_cndmask_b32_e64 v32, 0, -1, vcc
	v_cmp_le_u32_e32 vcc, s10, v24
	v_addc_co_u32_e64 v35, s[4:5], 0, v27, s[4:5]
	v_cndmask_b32_e64 v24, 0, -1, vcc
	v_cmp_eq_u32_e32 vcc, s11, v25
	v_cmp_ne_u32_e64 s[4:5], 0, v28
	v_cndmask_b32_e32 v24, v32, v24, vcc
	v_cndmask_b32_e64 v28, v35, v33, s[4:5]
	v_cmp_ne_u32_e32 vcc, 0, v24
	v_cndmask_b32_e64 v25, v34, v29, s[4:5]
	v_cndmask_b32_e32 v24, v27, v28, vcc
	v_cndmask_b32_e32 v25, v26, v25, vcc
	v_xor_b32_e32 v26, s8, v31
	v_xor_b32_e32 v27, v24, v26
	;; [unrolled: 1-line block ×3, first 2 shown]
	v_sub_co_u32_e32 v24, vcc, v24, v26
	v_subb_co_u32_e32 v25, vcc, v27, v26, vcc
                                        ; implicit-def: $vgpr26
.LBB1164_51:
	s_andn2_saveexec_b64 s[4:5], s[6:7]
	s_cbranch_execz .LBB1164_53
; %bb.52:
	v_cvt_f32_u32_e32 v24, s38
	s_sub_i32 s6, 0, s38
	v_rcp_iflag_f32_e32 v24, v24
	v_mul_f32_e32 v24, 0x4f7ffffe, v24
	v_cvt_u32_f32_e32 v24, v24
	v_mul_lo_u32 v25, s6, v24
	v_mul_hi_u32 v25, v24, v25
	v_add_u32_e32 v24, v24, v25
	v_mul_hi_u32 v24, v26, v24
	v_mul_lo_u32 v25, v24, s38
	v_sub_u32_e32 v25, v26, v25
	v_add_u32_e32 v27, 1, v24
	v_subrev_u32_e32 v26, s38, v25
	v_cmp_le_u32_e32 vcc, s38, v25
	v_cndmask_b32_e32 v25, v25, v26, vcc
	v_cndmask_b32_e32 v24, v24, v27, vcc
	v_add_u32_e32 v26, 1, v24
	v_cmp_le_u32_e32 vcc, s38, v25
	v_cndmask_b32_e32 v24, v24, v26, vcc
	v_mov_b32_e32 v25, 0
.LBB1164_53:
	s_or_b64 exec, exec, s[4:5]
	v_add_co_u32_e32 v28, vcc, 0xc00, v30
	v_addc_co_u32_e32 v29, vcc, 0, v1, vcc
	v_or_b32_e32 v27, s39, v29
	v_mov_b32_e32 v26, 0
	v_cmp_ne_u64_e32 vcc, 0, v[26:27]
                                        ; implicit-def: $vgpr26_vgpr27
	s_and_saveexec_b64 s[4:5], vcc
	s_xor_b64 s[6:7], exec, s[4:5]
	s_cbranch_execz .LBB1164_55
; %bb.54:
	s_ashr_i32 s8, s39, 31
	s_add_u32 s4, s38, s8
	s_mov_b32 s9, s8
	s_addc_u32 s5, s39, s8
	s_xor_b64 s[10:11], s[4:5], s[8:9]
	v_cvt_f32_u32_e32 v26, s10
	v_cvt_f32_u32_e32 v27, s11
	s_sub_u32 s4, 0, s10
	s_subb_u32 s5, 0, s11
	v_madmk_f32 v26, v27, 0x4f800000, v26
	v_rcp_f32_e32 v26, v26
	v_mul_f32_e32 v26, 0x5f7ffffc, v26
	v_mul_f32_e32 v27, 0x2f800000, v26
	v_trunc_f32_e32 v27, v27
	v_madmk_f32 v26, v27, 0xcf800000, v26
	v_cvt_u32_f32_e32 v27, v27
	v_cvt_u32_f32_e32 v26, v26
	v_mul_lo_u32 v31, s4, v27
	v_mul_hi_u32 v33, s4, v26
	v_mul_lo_u32 v32, s5, v26
	v_add_u32_e32 v31, v33, v31
	v_mul_lo_u32 v34, s4, v26
	v_add_u32_e32 v31, v31, v32
	v_mul_lo_u32 v33, v26, v31
	v_mul_hi_u32 v35, v26, v34
	v_mul_hi_u32 v32, v26, v31
	v_add_co_u32_e32 v33, vcc, v35, v33
	v_addc_co_u32_e32 v32, vcc, 0, v32, vcc
	v_mul_hi_u32 v36, v27, v34
	v_mul_lo_u32 v34, v27, v34
	v_add_co_u32_e32 v33, vcc, v33, v34
	v_mul_hi_u32 v35, v27, v31
	v_addc_co_u32_e32 v32, vcc, v32, v36, vcc
	v_addc_co_u32_e32 v33, vcc, 0, v35, vcc
	v_mul_lo_u32 v31, v27, v31
	v_add_co_u32_e32 v31, vcc, v32, v31
	v_addc_co_u32_e32 v32, vcc, 0, v33, vcc
	v_add_co_u32_e32 v26, vcc, v26, v31
	v_addc_co_u32_e32 v27, vcc, v27, v32, vcc
	v_mul_lo_u32 v31, s4, v27
	v_mul_hi_u32 v32, s4, v26
	v_add_u32_e32 v31, v32, v31
	v_mul_lo_u32 v32, s5, v26
	v_add_u32_e32 v31, v31, v32
	v_mul_lo_u32 v33, s4, v26
	v_mul_hi_u32 v34, v27, v33
	v_mul_lo_u32 v35, v27, v33
	v_mul_lo_u32 v37, v26, v31
	v_mul_hi_u32 v33, v26, v33
	v_mul_hi_u32 v36, v26, v31
	v_add_co_u32_e32 v33, vcc, v33, v37
	v_addc_co_u32_e32 v36, vcc, 0, v36, vcc
	v_add_co_u32_e32 v33, vcc, v33, v35
	v_mul_hi_u32 v32, v27, v31
	v_addc_co_u32_e32 v33, vcc, v36, v34, vcc
	v_addc_co_u32_e32 v32, vcc, 0, v32, vcc
	v_mul_lo_u32 v31, v27, v31
	v_add_co_u32_e32 v31, vcc, v33, v31
	v_addc_co_u32_e32 v32, vcc, 0, v32, vcc
	v_add_co_u32_e32 v31, vcc, v26, v31
	v_addc_co_u32_e32 v32, vcc, v27, v32, vcc
	v_ashrrev_i32_e32 v33, 31, v29
	v_add_co_u32_e32 v26, vcc, v28, v33
	v_addc_co_u32_e32 v27, vcc, v29, v33, vcc
	v_xor_b32_e32 v35, v26, v33
	v_xor_b32_e32 v34, v27, v33
	v_mad_u64_u32 v[26:27], s[4:5], v35, v32, 0
	v_mul_hi_u32 v28, v35, v31
	v_add_co_u32_e32 v36, vcc, v28, v26
	v_addc_co_u32_e32 v37, vcc, 0, v27, vcc
	v_mad_u64_u32 v[28:29], s[4:5], v34, v31, 0
	v_add_co_u32_e32 v28, vcc, v36, v28
	v_mad_u64_u32 v[26:27], s[4:5], v34, v32, 0
	v_addc_co_u32_e32 v28, vcc, v37, v29, vcc
	v_addc_co_u32_e32 v27, vcc, 0, v27, vcc
	v_add_co_u32_e32 v28, vcc, v28, v26
	v_addc_co_u32_e32 v29, vcc, 0, v27, vcc
	v_mul_lo_u32 v31, s11, v28
	v_mul_lo_u32 v32, s10, v29
	v_mad_u64_u32 v[26:27], s[4:5], s10, v28, 0
	v_add3_u32 v27, v27, v32, v31
	v_sub_u32_e32 v31, v34, v27
	v_mov_b32_e32 v32, s11
	v_sub_co_u32_e32 v26, vcc, v35, v26
	v_subb_co_u32_e64 v31, s[4:5], v31, v32, vcc
	v_subrev_co_u32_e64 v32, s[4:5], s10, v26
	v_subbrev_co_u32_e64 v31, s[4:5], 0, v31, s[4:5]
	v_cmp_le_u32_e64 s[4:5], s11, v31
	v_cndmask_b32_e64 v35, 0, -1, s[4:5]
	v_cmp_le_u32_e64 s[4:5], s10, v32
	v_cndmask_b32_e64 v32, 0, -1, s[4:5]
	v_cmp_eq_u32_e64 s[4:5], s11, v31
	v_cndmask_b32_e64 v31, v35, v32, s[4:5]
	v_add_co_u32_e64 v32, s[4:5], 2, v28
	v_subb_co_u32_e32 v27, vcc, v34, v27, vcc
	v_addc_co_u32_e64 v35, s[4:5], 0, v29, s[4:5]
	v_cmp_le_u32_e32 vcc, s11, v27
	v_add_co_u32_e64 v36, s[4:5], 1, v28
	v_cndmask_b32_e64 v34, 0, -1, vcc
	v_cmp_le_u32_e32 vcc, s10, v26
	v_addc_co_u32_e64 v37, s[4:5], 0, v29, s[4:5]
	v_cndmask_b32_e64 v26, 0, -1, vcc
	v_cmp_eq_u32_e32 vcc, s11, v27
	v_cmp_ne_u32_e64 s[4:5], 0, v31
	v_cndmask_b32_e32 v26, v34, v26, vcc
	v_cndmask_b32_e64 v31, v37, v35, s[4:5]
	v_cmp_ne_u32_e32 vcc, 0, v26
	v_cndmask_b32_e64 v27, v36, v32, s[4:5]
	v_cndmask_b32_e32 v26, v29, v31, vcc
	v_cndmask_b32_e32 v27, v28, v27, vcc
	v_xor_b32_e32 v28, s8, v33
	v_xor_b32_e32 v29, v26, v28
	;; [unrolled: 1-line block ×3, first 2 shown]
	v_sub_co_u32_e32 v26, vcc, v26, v28
	v_subb_co_u32_e32 v27, vcc, v29, v28, vcc
                                        ; implicit-def: $vgpr28
.LBB1164_55:
	s_andn2_saveexec_b64 s[4:5], s[6:7]
	s_cbranch_execz .LBB1164_57
; %bb.56:
	v_cvt_f32_u32_e32 v26, s38
	s_sub_i32 s6, 0, s38
	v_rcp_iflag_f32_e32 v26, v26
	v_mul_f32_e32 v26, 0x4f7ffffe, v26
	v_cvt_u32_f32_e32 v26, v26
	v_mul_lo_u32 v27, s6, v26
	v_mul_hi_u32 v27, v26, v27
	v_add_u32_e32 v26, v26, v27
	v_mul_hi_u32 v26, v28, v26
	v_mul_lo_u32 v27, v26, s38
	v_sub_u32_e32 v27, v28, v27
	v_add_u32_e32 v29, 1, v26
	v_subrev_u32_e32 v28, s38, v27
	v_cmp_le_u32_e32 vcc, s38, v27
	v_cndmask_b32_e32 v27, v27, v28, vcc
	v_cndmask_b32_e32 v26, v26, v29, vcc
	v_add_u32_e32 v28, 1, v26
	v_cmp_le_u32_e32 vcc, s38, v27
	v_cndmask_b32_e32 v26, v26, v28, vcc
	v_mov_b32_e32 v27, 0
.LBB1164_57:
	s_or_b64 exec, exec, s[4:5]
	v_add_co_u32_e32 v31, vcc, 0xd00, v30
	v_addc_co_u32_e32 v32, vcc, 0, v1, vcc
	v_or_b32_e32 v29, s39, v32
	v_mov_b32_e32 v28, 0
	v_cmp_ne_u64_e32 vcc, 0, v[28:29]
                                        ; implicit-def: $vgpr28_vgpr29
	s_and_saveexec_b64 s[4:5], vcc
	s_xor_b64 s[6:7], exec, s[4:5]
	s_cbranch_execz .LBB1164_59
; %bb.58:
	s_ashr_i32 s8, s39, 31
	s_add_u32 s4, s38, s8
	s_mov_b32 s9, s8
	s_addc_u32 s5, s39, s8
	s_xor_b64 s[10:11], s[4:5], s[8:9]
	v_cvt_f32_u32_e32 v28, s10
	v_cvt_f32_u32_e32 v29, s11
	s_sub_u32 s4, 0, s10
	s_subb_u32 s5, 0, s11
	v_madmk_f32 v28, v29, 0x4f800000, v28
	v_rcp_f32_e32 v28, v28
	v_mul_f32_e32 v28, 0x5f7ffffc, v28
	v_mul_f32_e32 v29, 0x2f800000, v28
	v_trunc_f32_e32 v29, v29
	v_madmk_f32 v28, v29, 0xcf800000, v28
	v_cvt_u32_f32_e32 v29, v29
	v_cvt_u32_f32_e32 v28, v28
	v_mul_lo_u32 v33, s4, v29
	v_mul_hi_u32 v35, s4, v28
	v_mul_lo_u32 v34, s5, v28
	v_add_u32_e32 v33, v35, v33
	v_mul_lo_u32 v36, s4, v28
	v_add_u32_e32 v33, v33, v34
	v_mul_lo_u32 v35, v28, v33
	v_mul_hi_u32 v37, v28, v36
	v_mul_hi_u32 v34, v28, v33
	v_add_co_u32_e32 v35, vcc, v37, v35
	v_addc_co_u32_e32 v34, vcc, 0, v34, vcc
	v_mul_hi_u32 v38, v29, v36
	v_mul_lo_u32 v36, v29, v36
	v_add_co_u32_e32 v35, vcc, v35, v36
	v_mul_hi_u32 v37, v29, v33
	v_addc_co_u32_e32 v34, vcc, v34, v38, vcc
	v_addc_co_u32_e32 v35, vcc, 0, v37, vcc
	v_mul_lo_u32 v33, v29, v33
	v_add_co_u32_e32 v33, vcc, v34, v33
	v_addc_co_u32_e32 v34, vcc, 0, v35, vcc
	v_add_co_u32_e32 v28, vcc, v28, v33
	v_addc_co_u32_e32 v29, vcc, v29, v34, vcc
	v_mul_lo_u32 v33, s4, v29
	v_mul_hi_u32 v34, s4, v28
	v_add_u32_e32 v33, v34, v33
	v_mul_lo_u32 v34, s5, v28
	v_add_u32_e32 v33, v33, v34
	v_mul_lo_u32 v35, s4, v28
	v_mul_hi_u32 v36, v29, v35
	v_mul_lo_u32 v37, v29, v35
	v_mul_lo_u32 v39, v28, v33
	v_mul_hi_u32 v35, v28, v35
	v_mul_hi_u32 v38, v28, v33
	v_add_co_u32_e32 v35, vcc, v35, v39
	v_addc_co_u32_e32 v38, vcc, 0, v38, vcc
	v_add_co_u32_e32 v35, vcc, v35, v37
	v_mul_hi_u32 v34, v29, v33
	v_addc_co_u32_e32 v35, vcc, v38, v36, vcc
	v_addc_co_u32_e32 v34, vcc, 0, v34, vcc
	v_mul_lo_u32 v33, v29, v33
	v_add_co_u32_e32 v33, vcc, v35, v33
	v_addc_co_u32_e32 v34, vcc, 0, v34, vcc
	v_add_co_u32_e32 v33, vcc, v28, v33
	v_addc_co_u32_e32 v34, vcc, v29, v34, vcc
	v_ashrrev_i32_e32 v35, 31, v32
	v_add_co_u32_e32 v28, vcc, v31, v35
	v_addc_co_u32_e32 v29, vcc, v32, v35, vcc
	v_xor_b32_e32 v36, v28, v35
	v_xor_b32_e32 v31, v29, v35
	v_mad_u64_u32 v[28:29], s[4:5], v36, v34, 0
	v_mul_hi_u32 v32, v36, v33
	v_add_co_u32_e32 v37, vcc, v32, v28
	v_addc_co_u32_e32 v38, vcc, 0, v29, vcc
	v_mad_u64_u32 v[32:33], s[4:5], v31, v33, 0
	v_add_co_u32_e32 v32, vcc, v37, v32
	v_mad_u64_u32 v[28:29], s[4:5], v31, v34, 0
	v_addc_co_u32_e32 v32, vcc, v38, v33, vcc
	v_addc_co_u32_e32 v29, vcc, 0, v29, vcc
	v_add_co_u32_e32 v32, vcc, v32, v28
	v_addc_co_u32_e32 v33, vcc, 0, v29, vcc
	v_mul_lo_u32 v34, s11, v32
	v_mul_lo_u32 v37, s10, v33
	v_mad_u64_u32 v[28:29], s[4:5], s10, v32, 0
	v_add3_u32 v29, v29, v37, v34
	v_sub_u32_e32 v34, v31, v29
	v_mov_b32_e32 v37, s11
	v_sub_co_u32_e32 v28, vcc, v36, v28
	v_subb_co_u32_e64 v34, s[4:5], v34, v37, vcc
	v_subrev_co_u32_e64 v36, s[4:5], s10, v28
	v_subbrev_co_u32_e64 v34, s[4:5], 0, v34, s[4:5]
	v_cmp_le_u32_e64 s[4:5], s11, v34
	v_cndmask_b32_e64 v37, 0, -1, s[4:5]
	v_cmp_le_u32_e64 s[4:5], s10, v36
	v_cndmask_b32_e64 v36, 0, -1, s[4:5]
	v_cmp_eq_u32_e64 s[4:5], s11, v34
	v_cndmask_b32_e64 v34, v37, v36, s[4:5]
	v_add_co_u32_e64 v36, s[4:5], 2, v32
	v_subb_co_u32_e32 v29, vcc, v31, v29, vcc
	v_addc_co_u32_e64 v37, s[4:5], 0, v33, s[4:5]
	v_cmp_le_u32_e32 vcc, s11, v29
	v_add_co_u32_e64 v38, s[4:5], 1, v32
	v_cndmask_b32_e64 v31, 0, -1, vcc
	v_cmp_le_u32_e32 vcc, s10, v28
	v_addc_co_u32_e64 v39, s[4:5], 0, v33, s[4:5]
	v_cndmask_b32_e64 v28, 0, -1, vcc
	v_cmp_eq_u32_e32 vcc, s11, v29
	v_cmp_ne_u32_e64 s[4:5], 0, v34
	v_cndmask_b32_e32 v28, v31, v28, vcc
	v_cndmask_b32_e64 v34, v39, v37, s[4:5]
	v_cmp_ne_u32_e32 vcc, 0, v28
	v_cndmask_b32_e64 v29, v38, v36, s[4:5]
	v_cndmask_b32_e32 v28, v33, v34, vcc
	v_cndmask_b32_e32 v29, v32, v29, vcc
	v_xor_b32_e32 v31, s8, v35
	v_xor_b32_e32 v32, v28, v31
	;; [unrolled: 1-line block ×3, first 2 shown]
	v_sub_co_u32_e32 v28, vcc, v28, v31
	v_subb_co_u32_e32 v29, vcc, v32, v31, vcc
                                        ; implicit-def: $vgpr31
.LBB1164_59:
	s_andn2_saveexec_b64 s[4:5], s[6:7]
	s_cbranch_execz .LBB1164_61
; %bb.60:
	v_cvt_f32_u32_e32 v28, s38
	s_sub_i32 s6, 0, s38
	v_rcp_iflag_f32_e32 v28, v28
	v_mul_f32_e32 v28, 0x4f7ffffe, v28
	v_cvt_u32_f32_e32 v28, v28
	v_mul_lo_u32 v29, s6, v28
	v_mul_hi_u32 v29, v28, v29
	v_add_u32_e32 v28, v28, v29
	v_mul_hi_u32 v28, v31, v28
	v_mul_lo_u32 v29, v28, s38
	v_sub_u32_e32 v29, v31, v29
	v_add_u32_e32 v32, 1, v28
	v_subrev_u32_e32 v31, s38, v29
	v_cmp_le_u32_e32 vcc, s38, v29
	v_cndmask_b32_e32 v29, v29, v31, vcc
	v_cndmask_b32_e32 v28, v28, v32, vcc
	v_add_u32_e32 v31, 1, v28
	v_cmp_le_u32_e32 vcc, s38, v29
	v_cndmask_b32_e32 v28, v28, v31, vcc
	v_mov_b32_e32 v29, 0
.LBB1164_61:
	s_or_b64 exec, exec, s[4:5]
	v_add_co_u32_e32 v32, vcc, 0xe00, v30
	v_addc_co_u32_e32 v1, vcc, 0, v1, vcc
	v_or_b32_e32 v31, s39, v1
	v_mov_b32_e32 v30, 0
	v_cmp_ne_u64_e32 vcc, 0, v[30:31]
                                        ; implicit-def: $vgpr30_vgpr31
	s_and_saveexec_b64 s[4:5], vcc
	s_xor_b64 s[6:7], exec, s[4:5]
	s_cbranch_execz .LBB1164_63
; %bb.62:
	s_ashr_i32 s8, s39, 31
	s_add_u32 s4, s38, s8
	s_mov_b32 s9, s8
	s_addc_u32 s5, s39, s8
	s_xor_b64 s[10:11], s[4:5], s[8:9]
	v_cvt_f32_u32_e32 v30, s10
	v_cvt_f32_u32_e32 v31, s11
	s_sub_u32 s4, 0, s10
	s_subb_u32 s5, 0, s11
	v_madmk_f32 v30, v31, 0x4f800000, v30
	v_rcp_f32_e32 v30, v30
	v_mul_f32_e32 v30, 0x5f7ffffc, v30
	v_mul_f32_e32 v31, 0x2f800000, v30
	v_trunc_f32_e32 v31, v31
	v_madmk_f32 v30, v31, 0xcf800000, v30
	v_cvt_u32_f32_e32 v31, v31
	v_cvt_u32_f32_e32 v30, v30
	v_mul_lo_u32 v33, s4, v31
	v_mul_hi_u32 v35, s4, v30
	v_mul_lo_u32 v34, s5, v30
	v_add_u32_e32 v33, v35, v33
	v_mul_lo_u32 v36, s4, v30
	v_add_u32_e32 v33, v33, v34
	v_mul_lo_u32 v35, v30, v33
	v_mul_hi_u32 v37, v30, v36
	v_mul_hi_u32 v34, v30, v33
	v_add_co_u32_e32 v35, vcc, v37, v35
	v_addc_co_u32_e32 v34, vcc, 0, v34, vcc
	v_mul_hi_u32 v38, v31, v36
	v_mul_lo_u32 v36, v31, v36
	v_add_co_u32_e32 v35, vcc, v35, v36
	v_mul_hi_u32 v37, v31, v33
	v_addc_co_u32_e32 v34, vcc, v34, v38, vcc
	v_addc_co_u32_e32 v35, vcc, 0, v37, vcc
	v_mul_lo_u32 v33, v31, v33
	v_add_co_u32_e32 v33, vcc, v34, v33
	v_addc_co_u32_e32 v34, vcc, 0, v35, vcc
	v_add_co_u32_e32 v30, vcc, v30, v33
	v_addc_co_u32_e32 v31, vcc, v31, v34, vcc
	v_mul_lo_u32 v33, s4, v31
	v_mul_hi_u32 v34, s4, v30
	v_add_u32_e32 v33, v34, v33
	v_mul_lo_u32 v34, s5, v30
	v_add_u32_e32 v33, v33, v34
	v_mul_lo_u32 v35, s4, v30
	v_mul_hi_u32 v36, v31, v35
	v_mul_lo_u32 v37, v31, v35
	v_mul_lo_u32 v39, v30, v33
	v_mul_hi_u32 v35, v30, v35
	v_mul_hi_u32 v38, v30, v33
	v_add_co_u32_e32 v35, vcc, v35, v39
	v_addc_co_u32_e32 v38, vcc, 0, v38, vcc
	v_add_co_u32_e32 v35, vcc, v35, v37
	v_mul_hi_u32 v34, v31, v33
	v_addc_co_u32_e32 v35, vcc, v38, v36, vcc
	v_addc_co_u32_e32 v34, vcc, 0, v34, vcc
	v_mul_lo_u32 v33, v31, v33
	v_add_co_u32_e32 v33, vcc, v35, v33
	v_addc_co_u32_e32 v34, vcc, 0, v34, vcc
	v_add_co_u32_e32 v33, vcc, v30, v33
	v_addc_co_u32_e32 v34, vcc, v31, v34, vcc
	v_ashrrev_i32_e32 v35, 31, v1
	v_add_co_u32_e32 v30, vcc, v32, v35
	v_xor_b32_e32 v36, v30, v35
	v_addc_co_u32_e32 v1, vcc, v1, v35, vcc
	v_mad_u64_u32 v[30:31], s[4:5], v36, v34, 0
	v_mul_hi_u32 v32, v36, v33
	v_xor_b32_e32 v1, v1, v35
	v_add_co_u32_e32 v37, vcc, v32, v30
	v_addc_co_u32_e32 v38, vcc, 0, v31, vcc
	v_mad_u64_u32 v[32:33], s[4:5], v1, v33, 0
	v_add_co_u32_e32 v32, vcc, v37, v32
	v_mad_u64_u32 v[30:31], s[4:5], v1, v34, 0
	v_addc_co_u32_e32 v32, vcc, v38, v33, vcc
	v_addc_co_u32_e32 v31, vcc, 0, v31, vcc
	v_add_co_u32_e32 v32, vcc, v32, v30
	v_addc_co_u32_e32 v33, vcc, 0, v31, vcc
	v_mul_lo_u32 v34, s11, v32
	v_mul_lo_u32 v37, s10, v33
	v_mad_u64_u32 v[30:31], s[4:5], s10, v32, 0
	v_add3_u32 v31, v31, v37, v34
	v_sub_u32_e32 v34, v1, v31
	v_mov_b32_e32 v37, s11
	v_sub_co_u32_e32 v30, vcc, v36, v30
	v_subb_co_u32_e64 v34, s[4:5], v34, v37, vcc
	v_subrev_co_u32_e64 v36, s[4:5], s10, v30
	v_subbrev_co_u32_e64 v34, s[4:5], 0, v34, s[4:5]
	v_cmp_le_u32_e64 s[4:5], s11, v34
	v_cndmask_b32_e64 v37, 0, -1, s[4:5]
	v_cmp_le_u32_e64 s[4:5], s10, v36
	v_cndmask_b32_e64 v36, 0, -1, s[4:5]
	v_cmp_eq_u32_e64 s[4:5], s11, v34
	v_cndmask_b32_e64 v34, v37, v36, s[4:5]
	v_add_co_u32_e64 v36, s[4:5], 2, v32
	v_subb_co_u32_e32 v1, vcc, v1, v31, vcc
	v_addc_co_u32_e64 v37, s[4:5], 0, v33, s[4:5]
	v_cmp_le_u32_e32 vcc, s11, v1
	v_add_co_u32_e64 v38, s[4:5], 1, v32
	v_cndmask_b32_e64 v31, 0, -1, vcc
	v_cmp_le_u32_e32 vcc, s10, v30
	v_addc_co_u32_e64 v39, s[4:5], 0, v33, s[4:5]
	v_cndmask_b32_e64 v30, 0, -1, vcc
	v_cmp_eq_u32_e32 vcc, s11, v1
	v_cmp_ne_u32_e64 s[4:5], 0, v34
	v_cndmask_b32_e32 v1, v31, v30, vcc
	v_cmp_ne_u32_e32 vcc, 0, v1
	v_cndmask_b32_e64 v30, v38, v36, s[4:5]
	v_cndmask_b32_e64 v34, v39, v37, s[4:5]
	v_cndmask_b32_e32 v30, v32, v30, vcc
	v_xor_b32_e32 v31, s8, v35
	v_cndmask_b32_e32 v1, v33, v34, vcc
	v_xor_b32_e32 v30, v30, v31
	v_xor_b32_e32 v1, v1, v31
	v_sub_co_u32_e32 v30, vcc, v30, v31
	v_subb_co_u32_e32 v31, vcc, v1, v31, vcc
                                        ; implicit-def: $vgpr32
.LBB1164_63:
	s_andn2_saveexec_b64 s[4:5], s[6:7]
	s_cbranch_execz .LBB1164_65
; %bb.64:
	v_cvt_f32_u32_e32 v1, s38
	s_sub_i32 s6, 0, s38
	v_rcp_iflag_f32_e32 v1, v1
	v_mul_f32_e32 v1, 0x4f7ffffe, v1
	v_cvt_u32_f32_e32 v1, v1
	v_mul_lo_u32 v30, s6, v1
	v_mul_hi_u32 v30, v1, v30
	v_add_u32_e32 v1, v1, v30
	v_mul_hi_u32 v1, v32, v1
	v_mul_lo_u32 v30, v1, s38
	v_sub_u32_e32 v30, v32, v30
	v_add_u32_e32 v31, 1, v1
	v_subrev_u32_e32 v32, s38, v30
	v_cmp_le_u32_e32 vcc, s38, v30
	v_cndmask_b32_e32 v30, v30, v32, vcc
	v_cndmask_b32_e32 v1, v1, v31, vcc
	v_add_u32_e32 v31, 1, v1
	v_cmp_le_u32_e32 vcc, s38, v30
	v_cndmask_b32_e32 v30, v1, v31, vcc
	v_mov_b32_e32 v31, 0
.LBB1164_65:
	s_or_b64 exec, exec, s[4:5]
	v_lshlrev_b32_e32 v62, 3, v0
	s_movk_i32 s4, 0x70
	v_mad_u32_u24 v76, v0, s4, v62
	ds_write2st64_b64 v62, v[2:3], v[4:5] offset1:4
	ds_write2st64_b64 v62, v[6:7], v[8:9] offset0:8 offset1:12
	ds_write2st64_b64 v62, v[10:11], v[12:13] offset0:16 offset1:20
	ds_write2st64_b64 v62, v[14:15], v[16:17] offset0:24 offset1:28
	ds_write2st64_b64 v62, v[18:19], v[20:21] offset0:32 offset1:36
	ds_write2st64_b64 v62, v[22:23], v[24:25] offset0:40 offset1:44
	ds_write2st64_b64 v62, v[26:27], v[28:29] offset0:48 offset1:52
	ds_write_b64 v62, v[30:31] offset:28672
	s_waitcnt lgkmcnt(0)
	s_barrier
	ds_read2_b64 v[26:29], v76 offset1:1
	ds_read2_b64 v[22:25], v76 offset0:2 offset1:3
	ds_read2_b64 v[18:21], v76 offset0:4 offset1:5
	;; [unrolled: 1-line block ×6, first 2 shown]
	ds_read_b64 v[74:75], v76 offset:112
	v_mov_b32_e32 v1, s79
	v_add_co_u32_e32 v30, vcc, s78, v0
	v_addc_co_u32_e32 v1, vcc, 0, v1, vcc
	v_or_b32_e32 v33, s45, v1
	v_mov_b32_e32 v32, 0
	v_cmp_ne_u64_e32 vcc, 0, v[32:33]
	s_waitcnt lgkmcnt(0)
	s_barrier
	s_waitcnt lgkmcnt(0)
                                        ; implicit-def: $vgpr32_vgpr33
	s_and_saveexec_b64 s[4:5], vcc
	s_xor_b64 s[6:7], exec, s[4:5]
	s_cbranch_execz .LBB1164_67
; %bb.66:
	s_ashr_i32 s8, s45, 31
	s_add_u32 s4, s44, s8
	s_mov_b32 s9, s8
	s_addc_u32 s5, s45, s8
	s_xor_b64 s[10:11], s[4:5], s[8:9]
	v_cvt_f32_u32_e32 v31, s10
	v_cvt_f32_u32_e32 v32, s11
	s_sub_u32 s4, 0, s10
	s_subb_u32 s5, 0, s11
	v_madmk_f32 v31, v32, 0x4f800000, v31
	v_rcp_f32_e32 v31, v31
	v_mul_f32_e32 v31, 0x5f7ffffc, v31
	v_mul_f32_e32 v32, 0x2f800000, v31
	v_trunc_f32_e32 v32, v32
	v_madmk_f32 v31, v32, 0xcf800000, v31
	v_cvt_u32_f32_e32 v32, v32
	v_cvt_u32_f32_e32 v31, v31
	v_mul_lo_u32 v33, s4, v32
	v_mul_hi_u32 v35, s4, v31
	v_mul_lo_u32 v34, s5, v31
	v_add_u32_e32 v33, v35, v33
	v_mul_lo_u32 v36, s4, v31
	v_add_u32_e32 v33, v33, v34
	v_mul_lo_u32 v35, v31, v33
	v_mul_hi_u32 v37, v31, v36
	v_mul_hi_u32 v34, v31, v33
	v_add_co_u32_e32 v35, vcc, v37, v35
	v_addc_co_u32_e32 v34, vcc, 0, v34, vcc
	v_mul_hi_u32 v38, v32, v36
	v_mul_lo_u32 v36, v32, v36
	v_add_co_u32_e32 v35, vcc, v35, v36
	v_mul_hi_u32 v37, v32, v33
	v_addc_co_u32_e32 v34, vcc, v34, v38, vcc
	v_addc_co_u32_e32 v35, vcc, 0, v37, vcc
	v_mul_lo_u32 v33, v32, v33
	v_add_co_u32_e32 v33, vcc, v34, v33
	v_addc_co_u32_e32 v34, vcc, 0, v35, vcc
	v_add_co_u32_e32 v31, vcc, v31, v33
	v_addc_co_u32_e32 v32, vcc, v32, v34, vcc
	v_mul_lo_u32 v33, s4, v32
	v_mul_hi_u32 v34, s4, v31
	v_add_u32_e32 v33, v34, v33
	v_mul_lo_u32 v34, s5, v31
	v_add_u32_e32 v33, v33, v34
	v_mul_lo_u32 v35, s4, v31
	v_mul_hi_u32 v36, v32, v35
	v_mul_lo_u32 v37, v32, v35
	v_mul_lo_u32 v39, v31, v33
	v_mul_hi_u32 v35, v31, v35
	v_mul_hi_u32 v38, v31, v33
	v_add_co_u32_e32 v35, vcc, v35, v39
	v_addc_co_u32_e32 v38, vcc, 0, v38, vcc
	v_add_co_u32_e32 v35, vcc, v35, v37
	v_mul_hi_u32 v34, v32, v33
	v_addc_co_u32_e32 v35, vcc, v38, v36, vcc
	v_addc_co_u32_e32 v34, vcc, 0, v34, vcc
	v_mul_lo_u32 v33, v32, v33
	v_add_co_u32_e32 v33, vcc, v35, v33
	v_addc_co_u32_e32 v34, vcc, 0, v34, vcc
	v_add_co_u32_e32 v31, vcc, v31, v33
	v_addc_co_u32_e32 v34, vcc, v32, v34, vcc
	v_ashrrev_i32_e32 v36, 31, v1
	v_add_co_u32_e32 v32, vcc, v30, v36
	v_addc_co_u32_e32 v33, vcc, v1, v36, vcc
	v_xor_b32_e32 v38, v32, v36
	v_xor_b32_e32 v37, v33, v36
	v_mad_u64_u32 v[32:33], s[4:5], v38, v34, 0
	v_mul_hi_u32 v35, v38, v31
	v_add_co_u32_e32 v39, vcc, v35, v32
	v_addc_co_u32_e32 v40, vcc, 0, v33, vcc
	v_mad_u64_u32 v[32:33], s[4:5], v37, v34, 0
	v_mad_u64_u32 v[34:35], s[4:5], v37, v31, 0
	v_add_co_u32_e32 v31, vcc, v39, v34
	v_addc_co_u32_e32 v31, vcc, v40, v35, vcc
	v_addc_co_u32_e32 v33, vcc, 0, v33, vcc
	v_add_co_u32_e32 v31, vcc, v31, v32
	v_addc_co_u32_e32 v34, vcc, 0, v33, vcc
	v_mul_lo_u32 v35, s11, v31
	v_mul_lo_u32 v39, s10, v34
	v_mad_u64_u32 v[32:33], s[4:5], s10, v31, 0
	v_add3_u32 v33, v33, v39, v35
	v_sub_u32_e32 v35, v37, v33
	v_mov_b32_e32 v39, s11
	v_sub_co_u32_e32 v32, vcc, v38, v32
	v_subb_co_u32_e64 v35, s[4:5], v35, v39, vcc
	v_subrev_co_u32_e64 v38, s[4:5], s10, v32
	v_subbrev_co_u32_e64 v35, s[4:5], 0, v35, s[4:5]
	v_cmp_le_u32_e64 s[4:5], s11, v35
	v_cndmask_b32_e64 v39, 0, -1, s[4:5]
	v_cmp_le_u32_e64 s[4:5], s10, v38
	v_cndmask_b32_e64 v38, 0, -1, s[4:5]
	v_cmp_eq_u32_e64 s[4:5], s11, v35
	v_cndmask_b32_e64 v35, v39, v38, s[4:5]
	v_add_co_u32_e64 v38, s[4:5], 2, v31
	v_subb_co_u32_e32 v33, vcc, v37, v33, vcc
	v_addc_co_u32_e64 v39, s[4:5], 0, v34, s[4:5]
	v_cmp_le_u32_e32 vcc, s11, v33
	v_add_co_u32_e64 v40, s[4:5], 1, v31
	v_cndmask_b32_e64 v37, 0, -1, vcc
	v_cmp_le_u32_e32 vcc, s10, v32
	v_addc_co_u32_e64 v41, s[4:5], 0, v34, s[4:5]
	v_cndmask_b32_e64 v32, 0, -1, vcc
	v_cmp_eq_u32_e32 vcc, s11, v33
	v_cmp_ne_u32_e64 s[4:5], 0, v35
	v_cndmask_b32_e32 v32, v37, v32, vcc
	v_cmp_ne_u32_e32 vcc, 0, v32
	v_cndmask_b32_e64 v33, v40, v38, s[4:5]
	v_cndmask_b32_e64 v35, v41, v39, s[4:5]
	v_cndmask_b32_e32 v31, v31, v33, vcc
	v_xor_b32_e32 v33, s8, v36
	v_cndmask_b32_e32 v32, v34, v35, vcc
	v_xor_b32_e32 v31, v31, v33
	v_xor_b32_e32 v34, v32, v33
	v_sub_co_u32_e32 v32, vcc, v31, v33
	v_subb_co_u32_e32 v33, vcc, v34, v33, vcc
.LBB1164_67:
	s_or_saveexec_b64 s[4:5], s[6:7]
	v_cvt_f32_u32_e32 v66, s44
	s_xor_b64 exec, exec, s[4:5]
	s_cbranch_execz .LBB1164_69
; %bb.68:
	v_rcp_iflag_f32_e32 v31, v66
	s_sub_i32 s6, 0, s44
	v_mul_f32_e32 v31, 0x4f7ffffe, v31
	v_cvt_u32_f32_e32 v31, v31
	v_mul_lo_u32 v32, s6, v31
	v_mul_hi_u32 v32, v31, v32
	v_add_u32_e32 v31, v31, v32
	v_mul_hi_u32 v31, v30, v31
	v_mul_lo_u32 v32, v31, s44
	v_sub_u32_e32 v32, v30, v32
	v_add_u32_e32 v33, 1, v31
	v_subrev_u32_e32 v34, s44, v32
	v_cmp_le_u32_e32 vcc, s44, v32
	v_cndmask_b32_e32 v32, v32, v34, vcc
	v_cndmask_b32_e32 v31, v31, v33, vcc
	v_add_u32_e32 v33, 1, v31
	v_cmp_le_u32_e32 vcc, s44, v32
	v_cndmask_b32_e32 v32, v31, v33, vcc
	v_mov_b32_e32 v33, 0
.LBB1164_69:
	s_or_b64 exec, exec, s[4:5]
	v_add_co_u32_e32 v31, vcc, 0x100, v30
	v_addc_co_u32_e32 v63, vcc, 0, v1, vcc
	v_or_b32_e32 v35, s45, v63
	v_mov_b32_e32 v34, 0
	v_cmp_ne_u64_e32 vcc, 0, v[34:35]
                                        ; implicit-def: $vgpr34_vgpr35
	s_and_saveexec_b64 s[4:5], vcc
	s_xor_b64 s[6:7], exec, s[4:5]
	s_cbranch_execz .LBB1164_71
; %bb.70:
	s_ashr_i32 s8, s45, 31
	s_add_u32 s4, s44, s8
	s_mov_b32 s9, s8
	s_addc_u32 s5, s45, s8
	s_xor_b64 s[10:11], s[4:5], s[8:9]
	v_cvt_f32_u32_e32 v34, s10
	v_cvt_f32_u32_e32 v35, s11
	s_sub_u32 s4, 0, s10
	s_subb_u32 s5, 0, s11
	v_madmk_f32 v34, v35, 0x4f800000, v34
	v_rcp_f32_e32 v34, v34
	v_mul_f32_e32 v34, 0x5f7ffffc, v34
	v_mul_f32_e32 v35, 0x2f800000, v34
	v_trunc_f32_e32 v35, v35
	v_madmk_f32 v34, v35, 0xcf800000, v34
	v_cvt_u32_f32_e32 v35, v35
	v_cvt_u32_f32_e32 v34, v34
	v_mul_lo_u32 v36, s4, v35
	v_mul_hi_u32 v38, s4, v34
	v_mul_lo_u32 v37, s5, v34
	v_add_u32_e32 v36, v38, v36
	v_mul_lo_u32 v39, s4, v34
	v_add_u32_e32 v36, v36, v37
	v_mul_lo_u32 v38, v34, v36
	v_mul_hi_u32 v40, v34, v39
	v_mul_hi_u32 v37, v34, v36
	v_add_co_u32_e32 v38, vcc, v40, v38
	v_addc_co_u32_e32 v37, vcc, 0, v37, vcc
	v_mul_hi_u32 v41, v35, v39
	v_mul_lo_u32 v39, v35, v39
	v_add_co_u32_e32 v38, vcc, v38, v39
	v_mul_hi_u32 v40, v35, v36
	v_addc_co_u32_e32 v37, vcc, v37, v41, vcc
	v_addc_co_u32_e32 v38, vcc, 0, v40, vcc
	v_mul_lo_u32 v36, v35, v36
	v_add_co_u32_e32 v36, vcc, v37, v36
	v_addc_co_u32_e32 v37, vcc, 0, v38, vcc
	v_add_co_u32_e32 v34, vcc, v34, v36
	v_addc_co_u32_e32 v35, vcc, v35, v37, vcc
	v_mul_lo_u32 v36, s4, v35
	v_mul_hi_u32 v37, s4, v34
	v_add_u32_e32 v36, v37, v36
	v_mul_lo_u32 v37, s5, v34
	v_add_u32_e32 v36, v36, v37
	v_mul_lo_u32 v38, s4, v34
	v_mul_hi_u32 v39, v35, v38
	v_mul_lo_u32 v40, v35, v38
	v_mul_lo_u32 v42, v34, v36
	v_mul_hi_u32 v38, v34, v38
	v_mul_hi_u32 v41, v34, v36
	v_add_co_u32_e32 v38, vcc, v38, v42
	v_addc_co_u32_e32 v41, vcc, 0, v41, vcc
	v_add_co_u32_e32 v38, vcc, v38, v40
	v_mul_hi_u32 v37, v35, v36
	v_addc_co_u32_e32 v38, vcc, v41, v39, vcc
	v_addc_co_u32_e32 v37, vcc, 0, v37, vcc
	v_mul_lo_u32 v36, v35, v36
	v_add_co_u32_e32 v36, vcc, v38, v36
	v_addc_co_u32_e32 v37, vcc, 0, v37, vcc
	v_add_co_u32_e32 v36, vcc, v34, v36
	v_addc_co_u32_e32 v37, vcc, v35, v37, vcc
	v_ashrrev_i32_e32 v38, 31, v63
	v_add_co_u32_e32 v34, vcc, v31, v38
	v_addc_co_u32_e32 v35, vcc, v63, v38, vcc
	v_xor_b32_e32 v40, v34, v38
	v_xor_b32_e32 v39, v35, v38
	v_mad_u64_u32 v[34:35], s[4:5], v40, v37, 0
	v_mul_hi_u32 v41, v40, v36
	v_add_co_u32_e32 v41, vcc, v41, v34
	v_addc_co_u32_e32 v42, vcc, 0, v35, vcc
	v_mad_u64_u32 v[34:35], s[4:5], v39, v37, 0
	v_mad_u64_u32 v[36:37], s[4:5], v39, v36, 0
	v_add_co_u32_e32 v36, vcc, v41, v36
	v_addc_co_u32_e32 v36, vcc, v42, v37, vcc
	v_addc_co_u32_e32 v35, vcc, 0, v35, vcc
	v_add_co_u32_e32 v36, vcc, v36, v34
	v_addc_co_u32_e32 v37, vcc, 0, v35, vcc
	v_mul_lo_u32 v41, s11, v36
	v_mul_lo_u32 v42, s10, v37
	v_mad_u64_u32 v[34:35], s[4:5], s10, v36, 0
	v_add3_u32 v35, v35, v42, v41
	v_sub_u32_e32 v41, v39, v35
	v_mov_b32_e32 v42, s11
	v_sub_co_u32_e32 v34, vcc, v40, v34
	v_subb_co_u32_e64 v40, s[4:5], v41, v42, vcc
	v_subrev_co_u32_e64 v41, s[4:5], s10, v34
	v_subbrev_co_u32_e64 v40, s[4:5], 0, v40, s[4:5]
	v_cmp_le_u32_e64 s[4:5], s11, v40
	v_cndmask_b32_e64 v42, 0, -1, s[4:5]
	v_cmp_le_u32_e64 s[4:5], s10, v41
	v_cndmask_b32_e64 v41, 0, -1, s[4:5]
	v_cmp_eq_u32_e64 s[4:5], s11, v40
	v_cndmask_b32_e64 v40, v42, v41, s[4:5]
	v_add_co_u32_e64 v41, s[4:5], 2, v36
	v_subb_co_u32_e32 v35, vcc, v39, v35, vcc
	v_addc_co_u32_e64 v42, s[4:5], 0, v37, s[4:5]
	v_cmp_le_u32_e32 vcc, s11, v35
	v_add_co_u32_e64 v43, s[4:5], 1, v36
	v_cndmask_b32_e64 v39, 0, -1, vcc
	v_cmp_le_u32_e32 vcc, s10, v34
	v_addc_co_u32_e64 v44, s[4:5], 0, v37, s[4:5]
	v_cndmask_b32_e64 v34, 0, -1, vcc
	v_cmp_eq_u32_e32 vcc, s11, v35
	v_cmp_ne_u32_e64 s[4:5], 0, v40
	v_cndmask_b32_e32 v34, v39, v34, vcc
	v_cndmask_b32_e64 v40, v44, v42, s[4:5]
	v_cmp_ne_u32_e32 vcc, 0, v34
	v_cndmask_b32_e64 v35, v43, v41, s[4:5]
	v_cndmask_b32_e32 v34, v37, v40, vcc
	v_cndmask_b32_e32 v35, v36, v35, vcc
	v_xor_b32_e32 v36, s8, v38
	v_xor_b32_e32 v37, v34, v36
	;; [unrolled: 1-line block ×3, first 2 shown]
	v_sub_co_u32_e32 v34, vcc, v34, v36
	v_subb_co_u32_e32 v35, vcc, v37, v36, vcc
.LBB1164_71:
	s_andn2_saveexec_b64 s[4:5], s[6:7]
	s_cbranch_execz .LBB1164_73
; %bb.72:
	v_rcp_iflag_f32_e32 v34, v66
	s_sub_i32 s6, 0, s44
	v_mul_f32_e32 v34, 0x4f7ffffe, v34
	v_cvt_u32_f32_e32 v34, v34
	v_mul_lo_u32 v35, s6, v34
	v_mul_hi_u32 v35, v34, v35
	v_add_u32_e32 v34, v34, v35
	v_mul_hi_u32 v34, v31, v34
	v_mul_lo_u32 v35, v34, s44
	v_sub_u32_e32 v35, v31, v35
	v_add_u32_e32 v36, 1, v34
	v_subrev_u32_e32 v37, s44, v35
	v_cmp_le_u32_e32 vcc, s44, v35
	v_cndmask_b32_e32 v35, v35, v37, vcc
	v_cndmask_b32_e32 v34, v34, v36, vcc
	v_add_u32_e32 v36, 1, v34
	v_cmp_le_u32_e32 vcc, s44, v35
	v_cndmask_b32_e32 v34, v34, v36, vcc
	v_mov_b32_e32 v35, 0
.LBB1164_73:
	s_or_b64 exec, exec, s[4:5]
	v_add_co_u32_e32 v64, vcc, 0x200, v30
	v_addc_co_u32_e32 v65, vcc, 0, v1, vcc
	v_or_b32_e32 v37, s45, v65
	v_mov_b32_e32 v36, 0
	v_cmp_ne_u64_e32 vcc, 0, v[36:37]
                                        ; implicit-def: $vgpr36_vgpr37
	s_and_saveexec_b64 s[4:5], vcc
	s_xor_b64 s[6:7], exec, s[4:5]
	s_cbranch_execz .LBB1164_75
; %bb.74:
	s_ashr_i32 s8, s45, 31
	s_add_u32 s4, s44, s8
	s_mov_b32 s9, s8
	s_addc_u32 s5, s45, s8
	s_xor_b64 s[10:11], s[4:5], s[8:9]
	v_cvt_f32_u32_e32 v36, s10
	v_cvt_f32_u32_e32 v37, s11
	s_sub_u32 s4, 0, s10
	s_subb_u32 s5, 0, s11
	v_madmk_f32 v36, v37, 0x4f800000, v36
	v_rcp_f32_e32 v36, v36
	v_mul_f32_e32 v36, 0x5f7ffffc, v36
	v_mul_f32_e32 v37, 0x2f800000, v36
	v_trunc_f32_e32 v37, v37
	v_madmk_f32 v36, v37, 0xcf800000, v36
	v_cvt_u32_f32_e32 v37, v37
	v_cvt_u32_f32_e32 v36, v36
	v_mul_lo_u32 v38, s4, v37
	v_mul_hi_u32 v40, s4, v36
	v_mul_lo_u32 v39, s5, v36
	v_add_u32_e32 v38, v40, v38
	v_mul_lo_u32 v41, s4, v36
	v_add_u32_e32 v38, v38, v39
	v_mul_lo_u32 v40, v36, v38
	v_mul_hi_u32 v42, v36, v41
	v_mul_hi_u32 v39, v36, v38
	v_add_co_u32_e32 v40, vcc, v42, v40
	v_addc_co_u32_e32 v39, vcc, 0, v39, vcc
	v_mul_hi_u32 v43, v37, v41
	v_mul_lo_u32 v41, v37, v41
	v_add_co_u32_e32 v40, vcc, v40, v41
	v_mul_hi_u32 v42, v37, v38
	v_addc_co_u32_e32 v39, vcc, v39, v43, vcc
	v_addc_co_u32_e32 v40, vcc, 0, v42, vcc
	v_mul_lo_u32 v38, v37, v38
	v_add_co_u32_e32 v38, vcc, v39, v38
	v_addc_co_u32_e32 v39, vcc, 0, v40, vcc
	v_add_co_u32_e32 v36, vcc, v36, v38
	v_addc_co_u32_e32 v37, vcc, v37, v39, vcc
	v_mul_lo_u32 v38, s4, v37
	v_mul_hi_u32 v39, s4, v36
	v_add_u32_e32 v38, v39, v38
	v_mul_lo_u32 v39, s5, v36
	v_add_u32_e32 v38, v38, v39
	v_mul_lo_u32 v40, s4, v36
	v_mul_hi_u32 v41, v37, v40
	v_mul_lo_u32 v42, v37, v40
	v_mul_lo_u32 v44, v36, v38
	v_mul_hi_u32 v40, v36, v40
	v_mul_hi_u32 v43, v36, v38
	v_add_co_u32_e32 v40, vcc, v40, v44
	v_addc_co_u32_e32 v43, vcc, 0, v43, vcc
	v_add_co_u32_e32 v40, vcc, v40, v42
	v_mul_hi_u32 v39, v37, v38
	v_addc_co_u32_e32 v40, vcc, v43, v41, vcc
	v_addc_co_u32_e32 v39, vcc, 0, v39, vcc
	v_mul_lo_u32 v38, v37, v38
	v_add_co_u32_e32 v38, vcc, v40, v38
	v_addc_co_u32_e32 v39, vcc, 0, v39, vcc
	v_add_co_u32_e32 v38, vcc, v36, v38
	v_addc_co_u32_e32 v39, vcc, v37, v39, vcc
	v_ashrrev_i32_e32 v40, 31, v65
	v_add_co_u32_e32 v36, vcc, v64, v40
	v_addc_co_u32_e32 v37, vcc, v65, v40, vcc
	v_xor_b32_e32 v42, v36, v40
	v_xor_b32_e32 v41, v37, v40
	v_mad_u64_u32 v[36:37], s[4:5], v42, v39, 0
	v_mul_hi_u32 v43, v42, v38
	v_add_co_u32_e32 v43, vcc, v43, v36
	v_addc_co_u32_e32 v44, vcc, 0, v37, vcc
	v_mad_u64_u32 v[36:37], s[4:5], v41, v39, 0
	v_mad_u64_u32 v[38:39], s[4:5], v41, v38, 0
	v_add_co_u32_e32 v38, vcc, v43, v38
	v_addc_co_u32_e32 v38, vcc, v44, v39, vcc
	v_addc_co_u32_e32 v37, vcc, 0, v37, vcc
	v_add_co_u32_e32 v38, vcc, v38, v36
	v_addc_co_u32_e32 v39, vcc, 0, v37, vcc
	v_mul_lo_u32 v43, s11, v38
	v_mul_lo_u32 v44, s10, v39
	v_mad_u64_u32 v[36:37], s[4:5], s10, v38, 0
	v_add3_u32 v37, v37, v44, v43
	v_sub_u32_e32 v43, v41, v37
	v_mov_b32_e32 v44, s11
	v_sub_co_u32_e32 v36, vcc, v42, v36
	v_subb_co_u32_e64 v42, s[4:5], v43, v44, vcc
	v_subrev_co_u32_e64 v43, s[4:5], s10, v36
	v_subbrev_co_u32_e64 v42, s[4:5], 0, v42, s[4:5]
	v_cmp_le_u32_e64 s[4:5], s11, v42
	v_cndmask_b32_e64 v44, 0, -1, s[4:5]
	v_cmp_le_u32_e64 s[4:5], s10, v43
	v_cndmask_b32_e64 v43, 0, -1, s[4:5]
	v_cmp_eq_u32_e64 s[4:5], s11, v42
	v_cndmask_b32_e64 v42, v44, v43, s[4:5]
	v_add_co_u32_e64 v43, s[4:5], 2, v38
	v_subb_co_u32_e32 v37, vcc, v41, v37, vcc
	v_addc_co_u32_e64 v44, s[4:5], 0, v39, s[4:5]
	v_cmp_le_u32_e32 vcc, s11, v37
	v_add_co_u32_e64 v45, s[4:5], 1, v38
	v_cndmask_b32_e64 v41, 0, -1, vcc
	v_cmp_le_u32_e32 vcc, s10, v36
	v_addc_co_u32_e64 v46, s[4:5], 0, v39, s[4:5]
	v_cndmask_b32_e64 v36, 0, -1, vcc
	v_cmp_eq_u32_e32 vcc, s11, v37
	v_cmp_ne_u32_e64 s[4:5], 0, v42
	v_cndmask_b32_e32 v36, v41, v36, vcc
	v_cndmask_b32_e64 v42, v46, v44, s[4:5]
	v_cmp_ne_u32_e32 vcc, 0, v36
	v_cndmask_b32_e64 v37, v45, v43, s[4:5]
	v_cndmask_b32_e32 v36, v39, v42, vcc
	v_cndmask_b32_e32 v37, v38, v37, vcc
	v_xor_b32_e32 v38, s8, v40
	v_xor_b32_e32 v39, v36, v38
	;; [unrolled: 1-line block ×3, first 2 shown]
	v_sub_co_u32_e32 v36, vcc, v36, v38
	v_subb_co_u32_e32 v37, vcc, v39, v38, vcc
.LBB1164_75:
	s_andn2_saveexec_b64 s[4:5], s[6:7]
	s_cbranch_execz .LBB1164_77
; %bb.76:
	v_rcp_iflag_f32_e32 v36, v66
	s_sub_i32 s6, 0, s44
	v_mul_f32_e32 v36, 0x4f7ffffe, v36
	v_cvt_u32_f32_e32 v36, v36
	v_mul_lo_u32 v37, s6, v36
	v_mul_hi_u32 v37, v36, v37
	v_add_u32_e32 v36, v36, v37
	v_mul_hi_u32 v36, v64, v36
	v_mul_lo_u32 v37, v36, s44
	v_sub_u32_e32 v37, v64, v37
	v_add_u32_e32 v38, 1, v36
	v_subrev_u32_e32 v39, s44, v37
	v_cmp_le_u32_e32 vcc, s44, v37
	v_cndmask_b32_e32 v37, v37, v39, vcc
	v_cndmask_b32_e32 v36, v36, v38, vcc
	v_add_u32_e32 v38, 1, v36
	v_cmp_le_u32_e32 vcc, s44, v37
	v_cndmask_b32_e32 v36, v36, v38, vcc
	v_mov_b32_e32 v37, 0
.LBB1164_77:
	s_or_b64 exec, exec, s[4:5]
	v_add_co_u32_e32 v67, vcc, 0x300, v30
	v_addc_co_u32_e32 v68, vcc, 0, v1, vcc
	v_or_b32_e32 v39, s45, v68
	v_mov_b32_e32 v38, 0
	v_cmp_ne_u64_e32 vcc, 0, v[38:39]
                                        ; implicit-def: $vgpr38_vgpr39
	s_and_saveexec_b64 s[4:5], vcc
	s_xor_b64 s[6:7], exec, s[4:5]
	s_cbranch_execz .LBB1164_79
; %bb.78:
	s_ashr_i32 s8, s45, 31
	s_add_u32 s4, s44, s8
	s_mov_b32 s9, s8
	s_addc_u32 s5, s45, s8
	s_xor_b64 s[10:11], s[4:5], s[8:9]
	v_cvt_f32_u32_e32 v38, s10
	v_cvt_f32_u32_e32 v39, s11
	s_sub_u32 s4, 0, s10
	s_subb_u32 s5, 0, s11
	v_madmk_f32 v38, v39, 0x4f800000, v38
	v_rcp_f32_e32 v38, v38
	v_mul_f32_e32 v38, 0x5f7ffffc, v38
	v_mul_f32_e32 v39, 0x2f800000, v38
	v_trunc_f32_e32 v39, v39
	v_madmk_f32 v38, v39, 0xcf800000, v38
	v_cvt_u32_f32_e32 v39, v39
	v_cvt_u32_f32_e32 v38, v38
	v_mul_lo_u32 v40, s4, v39
	v_mul_hi_u32 v42, s4, v38
	v_mul_lo_u32 v41, s5, v38
	v_add_u32_e32 v40, v42, v40
	v_mul_lo_u32 v43, s4, v38
	v_add_u32_e32 v40, v40, v41
	v_mul_lo_u32 v42, v38, v40
	v_mul_hi_u32 v44, v38, v43
	v_mul_hi_u32 v41, v38, v40
	v_add_co_u32_e32 v42, vcc, v44, v42
	v_addc_co_u32_e32 v41, vcc, 0, v41, vcc
	v_mul_hi_u32 v45, v39, v43
	v_mul_lo_u32 v43, v39, v43
	v_add_co_u32_e32 v42, vcc, v42, v43
	v_mul_hi_u32 v44, v39, v40
	v_addc_co_u32_e32 v41, vcc, v41, v45, vcc
	v_addc_co_u32_e32 v42, vcc, 0, v44, vcc
	v_mul_lo_u32 v40, v39, v40
	v_add_co_u32_e32 v40, vcc, v41, v40
	v_addc_co_u32_e32 v41, vcc, 0, v42, vcc
	v_add_co_u32_e32 v38, vcc, v38, v40
	v_addc_co_u32_e32 v39, vcc, v39, v41, vcc
	v_mul_lo_u32 v40, s4, v39
	v_mul_hi_u32 v41, s4, v38
	v_add_u32_e32 v40, v41, v40
	v_mul_lo_u32 v41, s5, v38
	v_add_u32_e32 v40, v40, v41
	v_mul_lo_u32 v42, s4, v38
	v_mul_hi_u32 v43, v39, v42
	v_mul_lo_u32 v44, v39, v42
	v_mul_lo_u32 v46, v38, v40
	v_mul_hi_u32 v42, v38, v42
	v_mul_hi_u32 v45, v38, v40
	v_add_co_u32_e32 v42, vcc, v42, v46
	v_addc_co_u32_e32 v45, vcc, 0, v45, vcc
	v_add_co_u32_e32 v42, vcc, v42, v44
	v_mul_hi_u32 v41, v39, v40
	v_addc_co_u32_e32 v42, vcc, v45, v43, vcc
	v_addc_co_u32_e32 v41, vcc, 0, v41, vcc
	v_mul_lo_u32 v40, v39, v40
	v_add_co_u32_e32 v40, vcc, v42, v40
	v_addc_co_u32_e32 v41, vcc, 0, v41, vcc
	v_add_co_u32_e32 v40, vcc, v38, v40
	v_addc_co_u32_e32 v41, vcc, v39, v41, vcc
	v_ashrrev_i32_e32 v42, 31, v68
	v_add_co_u32_e32 v38, vcc, v67, v42
	v_addc_co_u32_e32 v39, vcc, v68, v42, vcc
	v_xor_b32_e32 v44, v38, v42
	v_xor_b32_e32 v43, v39, v42
	v_mad_u64_u32 v[38:39], s[4:5], v44, v41, 0
	v_mul_hi_u32 v45, v44, v40
	v_add_co_u32_e32 v45, vcc, v45, v38
	v_addc_co_u32_e32 v46, vcc, 0, v39, vcc
	v_mad_u64_u32 v[38:39], s[4:5], v43, v41, 0
	v_mad_u64_u32 v[40:41], s[4:5], v43, v40, 0
	v_add_co_u32_e32 v40, vcc, v45, v40
	v_addc_co_u32_e32 v40, vcc, v46, v41, vcc
	v_addc_co_u32_e32 v39, vcc, 0, v39, vcc
	v_add_co_u32_e32 v40, vcc, v40, v38
	v_addc_co_u32_e32 v41, vcc, 0, v39, vcc
	v_mul_lo_u32 v45, s11, v40
	v_mul_lo_u32 v46, s10, v41
	v_mad_u64_u32 v[38:39], s[4:5], s10, v40, 0
	v_add3_u32 v39, v39, v46, v45
	v_sub_u32_e32 v45, v43, v39
	v_mov_b32_e32 v46, s11
	v_sub_co_u32_e32 v38, vcc, v44, v38
	v_subb_co_u32_e64 v44, s[4:5], v45, v46, vcc
	v_subrev_co_u32_e64 v45, s[4:5], s10, v38
	v_subbrev_co_u32_e64 v44, s[4:5], 0, v44, s[4:5]
	v_cmp_le_u32_e64 s[4:5], s11, v44
	v_cndmask_b32_e64 v46, 0, -1, s[4:5]
	v_cmp_le_u32_e64 s[4:5], s10, v45
	v_cndmask_b32_e64 v45, 0, -1, s[4:5]
	v_cmp_eq_u32_e64 s[4:5], s11, v44
	v_cndmask_b32_e64 v44, v46, v45, s[4:5]
	v_add_co_u32_e64 v45, s[4:5], 2, v40
	v_subb_co_u32_e32 v39, vcc, v43, v39, vcc
	v_addc_co_u32_e64 v46, s[4:5], 0, v41, s[4:5]
	v_cmp_le_u32_e32 vcc, s11, v39
	v_add_co_u32_e64 v47, s[4:5], 1, v40
	v_cndmask_b32_e64 v43, 0, -1, vcc
	v_cmp_le_u32_e32 vcc, s10, v38
	v_addc_co_u32_e64 v48, s[4:5], 0, v41, s[4:5]
	v_cndmask_b32_e64 v38, 0, -1, vcc
	v_cmp_eq_u32_e32 vcc, s11, v39
	v_cmp_ne_u32_e64 s[4:5], 0, v44
	v_cndmask_b32_e32 v38, v43, v38, vcc
	v_cndmask_b32_e64 v44, v48, v46, s[4:5]
	v_cmp_ne_u32_e32 vcc, 0, v38
	v_cndmask_b32_e64 v39, v47, v45, s[4:5]
	v_cndmask_b32_e32 v38, v41, v44, vcc
	v_cndmask_b32_e32 v39, v40, v39, vcc
	v_xor_b32_e32 v40, s8, v42
	v_xor_b32_e32 v41, v38, v40
	;; [unrolled: 1-line block ×3, first 2 shown]
	v_sub_co_u32_e32 v38, vcc, v38, v40
	v_subb_co_u32_e32 v39, vcc, v41, v40, vcc
.LBB1164_79:
	s_andn2_saveexec_b64 s[4:5], s[6:7]
	s_cbranch_execz .LBB1164_81
; %bb.80:
	v_rcp_iflag_f32_e32 v38, v66
	s_sub_i32 s6, 0, s44
	v_mul_f32_e32 v38, 0x4f7ffffe, v38
	v_cvt_u32_f32_e32 v38, v38
	v_mul_lo_u32 v39, s6, v38
	v_mul_hi_u32 v39, v38, v39
	v_add_u32_e32 v38, v38, v39
	v_mul_hi_u32 v38, v67, v38
	v_mul_lo_u32 v39, v38, s44
	v_sub_u32_e32 v39, v67, v39
	v_add_u32_e32 v40, 1, v38
	v_subrev_u32_e32 v41, s44, v39
	v_cmp_le_u32_e32 vcc, s44, v39
	v_cndmask_b32_e32 v39, v39, v41, vcc
	v_cndmask_b32_e32 v38, v38, v40, vcc
	v_add_u32_e32 v40, 1, v38
	v_cmp_le_u32_e32 vcc, s44, v39
	v_cndmask_b32_e32 v38, v38, v40, vcc
	v_mov_b32_e32 v39, 0
.LBB1164_81:
	s_or_b64 exec, exec, s[4:5]
	v_add_co_u32_e32 v69, vcc, 0x400, v30
	v_addc_co_u32_e32 v70, vcc, 0, v1, vcc
	v_or_b32_e32 v41, s45, v70
	v_mov_b32_e32 v40, 0
	v_cmp_ne_u64_e32 vcc, 0, v[40:41]
                                        ; implicit-def: $vgpr40_vgpr41
	s_and_saveexec_b64 s[4:5], vcc
	s_xor_b64 s[6:7], exec, s[4:5]
	s_cbranch_execz .LBB1164_83
; %bb.82:
	s_ashr_i32 s8, s45, 31
	s_add_u32 s4, s44, s8
	s_mov_b32 s9, s8
	s_addc_u32 s5, s45, s8
	s_xor_b64 s[10:11], s[4:5], s[8:9]
	v_cvt_f32_u32_e32 v40, s10
	v_cvt_f32_u32_e32 v41, s11
	s_sub_u32 s4, 0, s10
	s_subb_u32 s5, 0, s11
	v_madmk_f32 v40, v41, 0x4f800000, v40
	v_rcp_f32_e32 v40, v40
	v_mul_f32_e32 v40, 0x5f7ffffc, v40
	v_mul_f32_e32 v41, 0x2f800000, v40
	v_trunc_f32_e32 v41, v41
	v_madmk_f32 v40, v41, 0xcf800000, v40
	v_cvt_u32_f32_e32 v41, v41
	v_cvt_u32_f32_e32 v40, v40
	v_mul_lo_u32 v42, s4, v41
	v_mul_hi_u32 v44, s4, v40
	v_mul_lo_u32 v43, s5, v40
	v_add_u32_e32 v42, v44, v42
	v_mul_lo_u32 v45, s4, v40
	v_add_u32_e32 v42, v42, v43
	v_mul_lo_u32 v44, v40, v42
	v_mul_hi_u32 v46, v40, v45
	v_mul_hi_u32 v43, v40, v42
	v_add_co_u32_e32 v44, vcc, v46, v44
	v_addc_co_u32_e32 v43, vcc, 0, v43, vcc
	v_mul_hi_u32 v47, v41, v45
	v_mul_lo_u32 v45, v41, v45
	v_add_co_u32_e32 v44, vcc, v44, v45
	v_mul_hi_u32 v46, v41, v42
	v_addc_co_u32_e32 v43, vcc, v43, v47, vcc
	v_addc_co_u32_e32 v44, vcc, 0, v46, vcc
	v_mul_lo_u32 v42, v41, v42
	v_add_co_u32_e32 v42, vcc, v43, v42
	v_addc_co_u32_e32 v43, vcc, 0, v44, vcc
	v_add_co_u32_e32 v40, vcc, v40, v42
	v_addc_co_u32_e32 v41, vcc, v41, v43, vcc
	v_mul_lo_u32 v42, s4, v41
	v_mul_hi_u32 v43, s4, v40
	v_add_u32_e32 v42, v43, v42
	v_mul_lo_u32 v43, s5, v40
	v_add_u32_e32 v42, v42, v43
	v_mul_lo_u32 v44, s4, v40
	v_mul_hi_u32 v45, v41, v44
	v_mul_lo_u32 v46, v41, v44
	v_mul_lo_u32 v48, v40, v42
	v_mul_hi_u32 v44, v40, v44
	v_mul_hi_u32 v47, v40, v42
	v_add_co_u32_e32 v44, vcc, v44, v48
	v_addc_co_u32_e32 v47, vcc, 0, v47, vcc
	v_add_co_u32_e32 v44, vcc, v44, v46
	v_mul_hi_u32 v43, v41, v42
	v_addc_co_u32_e32 v44, vcc, v47, v45, vcc
	v_addc_co_u32_e32 v43, vcc, 0, v43, vcc
	v_mul_lo_u32 v42, v41, v42
	v_add_co_u32_e32 v42, vcc, v44, v42
	v_addc_co_u32_e32 v43, vcc, 0, v43, vcc
	v_add_co_u32_e32 v42, vcc, v40, v42
	v_addc_co_u32_e32 v43, vcc, v41, v43, vcc
	v_ashrrev_i32_e32 v44, 31, v70
	v_add_co_u32_e32 v40, vcc, v69, v44
	v_addc_co_u32_e32 v41, vcc, v70, v44, vcc
	v_xor_b32_e32 v46, v40, v44
	v_xor_b32_e32 v45, v41, v44
	v_mad_u64_u32 v[40:41], s[4:5], v46, v43, 0
	v_mul_hi_u32 v47, v46, v42
	v_add_co_u32_e32 v47, vcc, v47, v40
	v_addc_co_u32_e32 v48, vcc, 0, v41, vcc
	v_mad_u64_u32 v[40:41], s[4:5], v45, v43, 0
	v_mad_u64_u32 v[42:43], s[4:5], v45, v42, 0
	v_add_co_u32_e32 v42, vcc, v47, v42
	v_addc_co_u32_e32 v42, vcc, v48, v43, vcc
	v_addc_co_u32_e32 v41, vcc, 0, v41, vcc
	v_add_co_u32_e32 v42, vcc, v42, v40
	v_addc_co_u32_e32 v43, vcc, 0, v41, vcc
	v_mul_lo_u32 v47, s11, v42
	v_mul_lo_u32 v48, s10, v43
	v_mad_u64_u32 v[40:41], s[4:5], s10, v42, 0
	v_add3_u32 v41, v41, v48, v47
	v_sub_u32_e32 v47, v45, v41
	v_mov_b32_e32 v48, s11
	v_sub_co_u32_e32 v40, vcc, v46, v40
	v_subb_co_u32_e64 v46, s[4:5], v47, v48, vcc
	v_subrev_co_u32_e64 v47, s[4:5], s10, v40
	v_subbrev_co_u32_e64 v46, s[4:5], 0, v46, s[4:5]
	v_cmp_le_u32_e64 s[4:5], s11, v46
	v_cndmask_b32_e64 v48, 0, -1, s[4:5]
	v_cmp_le_u32_e64 s[4:5], s10, v47
	v_cndmask_b32_e64 v47, 0, -1, s[4:5]
	v_cmp_eq_u32_e64 s[4:5], s11, v46
	v_cndmask_b32_e64 v46, v48, v47, s[4:5]
	v_add_co_u32_e64 v47, s[4:5], 2, v42
	v_subb_co_u32_e32 v41, vcc, v45, v41, vcc
	v_addc_co_u32_e64 v48, s[4:5], 0, v43, s[4:5]
	v_cmp_le_u32_e32 vcc, s11, v41
	v_add_co_u32_e64 v49, s[4:5], 1, v42
	v_cndmask_b32_e64 v45, 0, -1, vcc
	v_cmp_le_u32_e32 vcc, s10, v40
	v_addc_co_u32_e64 v50, s[4:5], 0, v43, s[4:5]
	v_cndmask_b32_e64 v40, 0, -1, vcc
	v_cmp_eq_u32_e32 vcc, s11, v41
	v_cmp_ne_u32_e64 s[4:5], 0, v46
	v_cndmask_b32_e32 v40, v45, v40, vcc
	v_cndmask_b32_e64 v46, v50, v48, s[4:5]
	v_cmp_ne_u32_e32 vcc, 0, v40
	v_cndmask_b32_e64 v41, v49, v47, s[4:5]
	v_cndmask_b32_e32 v40, v43, v46, vcc
	v_cndmask_b32_e32 v41, v42, v41, vcc
	v_xor_b32_e32 v42, s8, v44
	v_xor_b32_e32 v43, v40, v42
	;; [unrolled: 1-line block ×3, first 2 shown]
	v_sub_co_u32_e32 v40, vcc, v40, v42
	v_subb_co_u32_e32 v41, vcc, v43, v42, vcc
.LBB1164_83:
	s_andn2_saveexec_b64 s[4:5], s[6:7]
	s_cbranch_execz .LBB1164_85
; %bb.84:
	v_rcp_iflag_f32_e32 v40, v66
	s_sub_i32 s6, 0, s44
	v_mul_f32_e32 v40, 0x4f7ffffe, v40
	v_cvt_u32_f32_e32 v40, v40
	v_mul_lo_u32 v41, s6, v40
	v_mul_hi_u32 v41, v40, v41
	v_add_u32_e32 v40, v40, v41
	v_mul_hi_u32 v40, v69, v40
	v_mul_lo_u32 v41, v40, s44
	v_sub_u32_e32 v41, v69, v41
	v_add_u32_e32 v42, 1, v40
	v_subrev_u32_e32 v43, s44, v41
	v_cmp_le_u32_e32 vcc, s44, v41
	v_cndmask_b32_e32 v41, v41, v43, vcc
	v_cndmask_b32_e32 v40, v40, v42, vcc
	v_add_u32_e32 v42, 1, v40
	v_cmp_le_u32_e32 vcc, s44, v41
	v_cndmask_b32_e32 v40, v40, v42, vcc
	v_mov_b32_e32 v41, 0
.LBB1164_85:
	s_or_b64 exec, exec, s[4:5]
	v_add_co_u32_e32 v71, vcc, 0x500, v30
	v_addc_co_u32_e32 v72, vcc, 0, v1, vcc
	v_or_b32_e32 v43, s45, v72
	v_mov_b32_e32 v42, 0
	v_cmp_ne_u64_e32 vcc, 0, v[42:43]
                                        ; implicit-def: $vgpr42_vgpr43
	s_and_saveexec_b64 s[4:5], vcc
	s_xor_b64 s[6:7], exec, s[4:5]
	s_cbranch_execz .LBB1164_87
; %bb.86:
	s_ashr_i32 s8, s45, 31
	s_add_u32 s4, s44, s8
	s_mov_b32 s9, s8
	s_addc_u32 s5, s45, s8
	s_xor_b64 s[10:11], s[4:5], s[8:9]
	v_cvt_f32_u32_e32 v42, s10
	v_cvt_f32_u32_e32 v43, s11
	s_sub_u32 s4, 0, s10
	s_subb_u32 s5, 0, s11
	v_madmk_f32 v42, v43, 0x4f800000, v42
	v_rcp_f32_e32 v42, v42
	v_mul_f32_e32 v42, 0x5f7ffffc, v42
	v_mul_f32_e32 v43, 0x2f800000, v42
	v_trunc_f32_e32 v43, v43
	v_madmk_f32 v42, v43, 0xcf800000, v42
	v_cvt_u32_f32_e32 v43, v43
	v_cvt_u32_f32_e32 v42, v42
	v_mul_lo_u32 v44, s4, v43
	v_mul_hi_u32 v46, s4, v42
	v_mul_lo_u32 v45, s5, v42
	v_add_u32_e32 v44, v46, v44
	v_mul_lo_u32 v47, s4, v42
	v_add_u32_e32 v44, v44, v45
	v_mul_lo_u32 v46, v42, v44
	v_mul_hi_u32 v48, v42, v47
	v_mul_hi_u32 v45, v42, v44
	v_add_co_u32_e32 v46, vcc, v48, v46
	v_addc_co_u32_e32 v45, vcc, 0, v45, vcc
	v_mul_hi_u32 v49, v43, v47
	v_mul_lo_u32 v47, v43, v47
	v_add_co_u32_e32 v46, vcc, v46, v47
	v_mul_hi_u32 v48, v43, v44
	v_addc_co_u32_e32 v45, vcc, v45, v49, vcc
	v_addc_co_u32_e32 v46, vcc, 0, v48, vcc
	v_mul_lo_u32 v44, v43, v44
	v_add_co_u32_e32 v44, vcc, v45, v44
	v_addc_co_u32_e32 v45, vcc, 0, v46, vcc
	v_add_co_u32_e32 v42, vcc, v42, v44
	v_addc_co_u32_e32 v43, vcc, v43, v45, vcc
	v_mul_lo_u32 v44, s4, v43
	v_mul_hi_u32 v45, s4, v42
	v_add_u32_e32 v44, v45, v44
	v_mul_lo_u32 v45, s5, v42
	v_add_u32_e32 v44, v44, v45
	v_mul_lo_u32 v46, s4, v42
	v_mul_hi_u32 v47, v43, v46
	v_mul_lo_u32 v48, v43, v46
	v_mul_lo_u32 v50, v42, v44
	v_mul_hi_u32 v46, v42, v46
	v_mul_hi_u32 v49, v42, v44
	v_add_co_u32_e32 v46, vcc, v46, v50
	v_addc_co_u32_e32 v49, vcc, 0, v49, vcc
	v_add_co_u32_e32 v46, vcc, v46, v48
	v_mul_hi_u32 v45, v43, v44
	v_addc_co_u32_e32 v46, vcc, v49, v47, vcc
	v_addc_co_u32_e32 v45, vcc, 0, v45, vcc
	v_mul_lo_u32 v44, v43, v44
	v_add_co_u32_e32 v44, vcc, v46, v44
	v_addc_co_u32_e32 v45, vcc, 0, v45, vcc
	v_add_co_u32_e32 v44, vcc, v42, v44
	v_addc_co_u32_e32 v45, vcc, v43, v45, vcc
	v_ashrrev_i32_e32 v46, 31, v72
	v_add_co_u32_e32 v42, vcc, v71, v46
	v_addc_co_u32_e32 v43, vcc, v72, v46, vcc
	v_xor_b32_e32 v48, v42, v46
	v_xor_b32_e32 v47, v43, v46
	v_mad_u64_u32 v[42:43], s[4:5], v48, v45, 0
	v_mul_hi_u32 v49, v48, v44
	v_add_co_u32_e32 v49, vcc, v49, v42
	v_addc_co_u32_e32 v50, vcc, 0, v43, vcc
	v_mad_u64_u32 v[42:43], s[4:5], v47, v45, 0
	v_mad_u64_u32 v[44:45], s[4:5], v47, v44, 0
	v_add_co_u32_e32 v44, vcc, v49, v44
	v_addc_co_u32_e32 v44, vcc, v50, v45, vcc
	v_addc_co_u32_e32 v43, vcc, 0, v43, vcc
	v_add_co_u32_e32 v44, vcc, v44, v42
	v_addc_co_u32_e32 v45, vcc, 0, v43, vcc
	v_mul_lo_u32 v49, s11, v44
	v_mul_lo_u32 v50, s10, v45
	v_mad_u64_u32 v[42:43], s[4:5], s10, v44, 0
	v_add3_u32 v43, v43, v50, v49
	v_sub_u32_e32 v49, v47, v43
	v_mov_b32_e32 v50, s11
	v_sub_co_u32_e32 v42, vcc, v48, v42
	v_subb_co_u32_e64 v48, s[4:5], v49, v50, vcc
	v_subrev_co_u32_e64 v49, s[4:5], s10, v42
	v_subbrev_co_u32_e64 v48, s[4:5], 0, v48, s[4:5]
	v_cmp_le_u32_e64 s[4:5], s11, v48
	v_cndmask_b32_e64 v50, 0, -1, s[4:5]
	v_cmp_le_u32_e64 s[4:5], s10, v49
	v_cndmask_b32_e64 v49, 0, -1, s[4:5]
	v_cmp_eq_u32_e64 s[4:5], s11, v48
	v_cndmask_b32_e64 v48, v50, v49, s[4:5]
	v_add_co_u32_e64 v49, s[4:5], 2, v44
	v_subb_co_u32_e32 v43, vcc, v47, v43, vcc
	v_addc_co_u32_e64 v50, s[4:5], 0, v45, s[4:5]
	v_cmp_le_u32_e32 vcc, s11, v43
	v_add_co_u32_e64 v51, s[4:5], 1, v44
	v_cndmask_b32_e64 v47, 0, -1, vcc
	v_cmp_le_u32_e32 vcc, s10, v42
	v_addc_co_u32_e64 v52, s[4:5], 0, v45, s[4:5]
	v_cndmask_b32_e64 v42, 0, -1, vcc
	v_cmp_eq_u32_e32 vcc, s11, v43
	v_cmp_ne_u32_e64 s[4:5], 0, v48
	v_cndmask_b32_e32 v42, v47, v42, vcc
	v_cndmask_b32_e64 v48, v52, v50, s[4:5]
	v_cmp_ne_u32_e32 vcc, 0, v42
	v_cndmask_b32_e64 v43, v51, v49, s[4:5]
	v_cndmask_b32_e32 v42, v45, v48, vcc
	v_cndmask_b32_e32 v43, v44, v43, vcc
	v_xor_b32_e32 v44, s8, v46
	v_xor_b32_e32 v45, v42, v44
	;; [unrolled: 1-line block ×3, first 2 shown]
	v_sub_co_u32_e32 v42, vcc, v42, v44
	v_subb_co_u32_e32 v43, vcc, v45, v44, vcc
.LBB1164_87:
	s_andn2_saveexec_b64 s[4:5], s[6:7]
	s_cbranch_execz .LBB1164_89
; %bb.88:
	v_rcp_iflag_f32_e32 v42, v66
	s_sub_i32 s6, 0, s44
	v_mul_f32_e32 v42, 0x4f7ffffe, v42
	v_cvt_u32_f32_e32 v42, v42
	v_mul_lo_u32 v43, s6, v42
	v_mul_hi_u32 v43, v42, v43
	v_add_u32_e32 v42, v42, v43
	v_mul_hi_u32 v42, v71, v42
	v_mul_lo_u32 v43, v42, s44
	v_sub_u32_e32 v43, v71, v43
	v_add_u32_e32 v44, 1, v42
	v_subrev_u32_e32 v45, s44, v43
	v_cmp_le_u32_e32 vcc, s44, v43
	v_cndmask_b32_e32 v43, v43, v45, vcc
	v_cndmask_b32_e32 v42, v42, v44, vcc
	v_add_u32_e32 v44, 1, v42
	v_cmp_le_u32_e32 vcc, s44, v43
	v_cndmask_b32_e32 v42, v42, v44, vcc
	v_mov_b32_e32 v43, 0
.LBB1164_89:
	s_or_b64 exec, exec, s[4:5]
	v_add_co_u32_e32 v73, vcc, 0x600, v30
	v_addc_co_u32_e32 v77, vcc, 0, v1, vcc
	v_or_b32_e32 v45, s45, v77
	v_mov_b32_e32 v44, 0
	v_cmp_ne_u64_e32 vcc, 0, v[44:45]
                                        ; implicit-def: $vgpr44_vgpr45
	s_and_saveexec_b64 s[4:5], vcc
	s_xor_b64 s[6:7], exec, s[4:5]
	s_cbranch_execz .LBB1164_91
; %bb.90:
	s_ashr_i32 s8, s45, 31
	s_add_u32 s4, s44, s8
	s_mov_b32 s9, s8
	s_addc_u32 s5, s45, s8
	s_xor_b64 s[10:11], s[4:5], s[8:9]
	v_cvt_f32_u32_e32 v44, s10
	v_cvt_f32_u32_e32 v45, s11
	s_sub_u32 s4, 0, s10
	s_subb_u32 s5, 0, s11
	v_madmk_f32 v44, v45, 0x4f800000, v44
	v_rcp_f32_e32 v44, v44
	v_mul_f32_e32 v44, 0x5f7ffffc, v44
	v_mul_f32_e32 v45, 0x2f800000, v44
	v_trunc_f32_e32 v45, v45
	v_madmk_f32 v44, v45, 0xcf800000, v44
	v_cvt_u32_f32_e32 v45, v45
	v_cvt_u32_f32_e32 v44, v44
	v_mul_lo_u32 v46, s4, v45
	v_mul_hi_u32 v48, s4, v44
	v_mul_lo_u32 v47, s5, v44
	v_add_u32_e32 v46, v48, v46
	v_mul_lo_u32 v49, s4, v44
	v_add_u32_e32 v46, v46, v47
	v_mul_lo_u32 v48, v44, v46
	v_mul_hi_u32 v50, v44, v49
	v_mul_hi_u32 v47, v44, v46
	v_add_co_u32_e32 v48, vcc, v50, v48
	v_addc_co_u32_e32 v47, vcc, 0, v47, vcc
	v_mul_hi_u32 v51, v45, v49
	v_mul_lo_u32 v49, v45, v49
	v_add_co_u32_e32 v48, vcc, v48, v49
	v_mul_hi_u32 v50, v45, v46
	v_addc_co_u32_e32 v47, vcc, v47, v51, vcc
	v_addc_co_u32_e32 v48, vcc, 0, v50, vcc
	v_mul_lo_u32 v46, v45, v46
	v_add_co_u32_e32 v46, vcc, v47, v46
	v_addc_co_u32_e32 v47, vcc, 0, v48, vcc
	v_add_co_u32_e32 v44, vcc, v44, v46
	v_addc_co_u32_e32 v45, vcc, v45, v47, vcc
	v_mul_lo_u32 v46, s4, v45
	v_mul_hi_u32 v47, s4, v44
	v_add_u32_e32 v46, v47, v46
	v_mul_lo_u32 v47, s5, v44
	v_add_u32_e32 v46, v46, v47
	v_mul_lo_u32 v48, s4, v44
	v_mul_hi_u32 v49, v45, v48
	v_mul_lo_u32 v50, v45, v48
	v_mul_lo_u32 v52, v44, v46
	v_mul_hi_u32 v48, v44, v48
	v_mul_hi_u32 v51, v44, v46
	v_add_co_u32_e32 v48, vcc, v48, v52
	v_addc_co_u32_e32 v51, vcc, 0, v51, vcc
	v_add_co_u32_e32 v48, vcc, v48, v50
	v_mul_hi_u32 v47, v45, v46
	v_addc_co_u32_e32 v48, vcc, v51, v49, vcc
	v_addc_co_u32_e32 v47, vcc, 0, v47, vcc
	v_mul_lo_u32 v46, v45, v46
	v_add_co_u32_e32 v46, vcc, v48, v46
	v_addc_co_u32_e32 v47, vcc, 0, v47, vcc
	v_add_co_u32_e32 v46, vcc, v44, v46
	v_addc_co_u32_e32 v47, vcc, v45, v47, vcc
	v_ashrrev_i32_e32 v48, 31, v77
	v_add_co_u32_e32 v44, vcc, v73, v48
	v_addc_co_u32_e32 v45, vcc, v77, v48, vcc
	v_xor_b32_e32 v50, v44, v48
	v_xor_b32_e32 v49, v45, v48
	v_mad_u64_u32 v[44:45], s[4:5], v50, v47, 0
	v_mul_hi_u32 v51, v50, v46
	v_add_co_u32_e32 v51, vcc, v51, v44
	v_addc_co_u32_e32 v52, vcc, 0, v45, vcc
	v_mad_u64_u32 v[44:45], s[4:5], v49, v47, 0
	v_mad_u64_u32 v[46:47], s[4:5], v49, v46, 0
	v_add_co_u32_e32 v46, vcc, v51, v46
	v_addc_co_u32_e32 v46, vcc, v52, v47, vcc
	v_addc_co_u32_e32 v45, vcc, 0, v45, vcc
	v_add_co_u32_e32 v46, vcc, v46, v44
	v_addc_co_u32_e32 v47, vcc, 0, v45, vcc
	v_mul_lo_u32 v51, s11, v46
	v_mul_lo_u32 v52, s10, v47
	v_mad_u64_u32 v[44:45], s[4:5], s10, v46, 0
	v_add3_u32 v45, v45, v52, v51
	v_sub_u32_e32 v51, v49, v45
	v_mov_b32_e32 v52, s11
	v_sub_co_u32_e32 v44, vcc, v50, v44
	v_subb_co_u32_e64 v50, s[4:5], v51, v52, vcc
	v_subrev_co_u32_e64 v51, s[4:5], s10, v44
	v_subbrev_co_u32_e64 v50, s[4:5], 0, v50, s[4:5]
	v_cmp_le_u32_e64 s[4:5], s11, v50
	v_cndmask_b32_e64 v52, 0, -1, s[4:5]
	v_cmp_le_u32_e64 s[4:5], s10, v51
	v_cndmask_b32_e64 v51, 0, -1, s[4:5]
	v_cmp_eq_u32_e64 s[4:5], s11, v50
	v_cndmask_b32_e64 v50, v52, v51, s[4:5]
	v_add_co_u32_e64 v51, s[4:5], 2, v46
	v_subb_co_u32_e32 v45, vcc, v49, v45, vcc
	v_addc_co_u32_e64 v52, s[4:5], 0, v47, s[4:5]
	v_cmp_le_u32_e32 vcc, s11, v45
	v_add_co_u32_e64 v53, s[4:5], 1, v46
	v_cndmask_b32_e64 v49, 0, -1, vcc
	v_cmp_le_u32_e32 vcc, s10, v44
	v_addc_co_u32_e64 v54, s[4:5], 0, v47, s[4:5]
	v_cndmask_b32_e64 v44, 0, -1, vcc
	v_cmp_eq_u32_e32 vcc, s11, v45
	v_cmp_ne_u32_e64 s[4:5], 0, v50
	v_cndmask_b32_e32 v44, v49, v44, vcc
	v_cndmask_b32_e64 v50, v54, v52, s[4:5]
	v_cmp_ne_u32_e32 vcc, 0, v44
	v_cndmask_b32_e64 v45, v53, v51, s[4:5]
	v_cndmask_b32_e32 v44, v47, v50, vcc
	v_cndmask_b32_e32 v45, v46, v45, vcc
	v_xor_b32_e32 v46, s8, v48
	v_xor_b32_e32 v47, v44, v46
	;; [unrolled: 1-line block ×3, first 2 shown]
	v_sub_co_u32_e32 v44, vcc, v44, v46
	v_subb_co_u32_e32 v45, vcc, v47, v46, vcc
.LBB1164_91:
	s_andn2_saveexec_b64 s[4:5], s[6:7]
	s_cbranch_execz .LBB1164_93
; %bb.92:
	v_rcp_iflag_f32_e32 v44, v66
	s_sub_i32 s6, 0, s44
	v_mul_f32_e32 v44, 0x4f7ffffe, v44
	v_cvt_u32_f32_e32 v44, v44
	v_mul_lo_u32 v45, s6, v44
	v_mul_hi_u32 v45, v44, v45
	v_add_u32_e32 v44, v44, v45
	v_mul_hi_u32 v44, v73, v44
	v_mul_lo_u32 v45, v44, s44
	v_sub_u32_e32 v45, v73, v45
	v_add_u32_e32 v46, 1, v44
	v_subrev_u32_e32 v47, s44, v45
	v_cmp_le_u32_e32 vcc, s44, v45
	v_cndmask_b32_e32 v45, v45, v47, vcc
	v_cndmask_b32_e32 v44, v44, v46, vcc
	v_add_u32_e32 v46, 1, v44
	v_cmp_le_u32_e32 vcc, s44, v45
	v_cndmask_b32_e32 v44, v44, v46, vcc
	v_mov_b32_e32 v45, 0
.LBB1164_93:
	s_or_b64 exec, exec, s[4:5]
	v_add_co_u32_e32 v78, vcc, 0x700, v30
	v_addc_co_u32_e32 v79, vcc, 0, v1, vcc
	v_or_b32_e32 v47, s45, v79
	v_mov_b32_e32 v46, 0
	v_cmp_ne_u64_e32 vcc, 0, v[46:47]
                                        ; implicit-def: $vgpr46_vgpr47
	s_and_saveexec_b64 s[4:5], vcc
	s_xor_b64 s[6:7], exec, s[4:5]
	s_cbranch_execz .LBB1164_95
; %bb.94:
	s_ashr_i32 s8, s45, 31
	s_add_u32 s4, s44, s8
	s_mov_b32 s9, s8
	s_addc_u32 s5, s45, s8
	s_xor_b64 s[10:11], s[4:5], s[8:9]
	v_cvt_f32_u32_e32 v46, s10
	v_cvt_f32_u32_e32 v47, s11
	s_sub_u32 s4, 0, s10
	s_subb_u32 s5, 0, s11
	v_madmk_f32 v46, v47, 0x4f800000, v46
	v_rcp_f32_e32 v46, v46
	v_mul_f32_e32 v46, 0x5f7ffffc, v46
	v_mul_f32_e32 v47, 0x2f800000, v46
	v_trunc_f32_e32 v47, v47
	v_madmk_f32 v46, v47, 0xcf800000, v46
	v_cvt_u32_f32_e32 v47, v47
	v_cvt_u32_f32_e32 v46, v46
	v_mul_lo_u32 v48, s4, v47
	v_mul_hi_u32 v50, s4, v46
	v_mul_lo_u32 v49, s5, v46
	v_add_u32_e32 v48, v50, v48
	v_mul_lo_u32 v51, s4, v46
	v_add_u32_e32 v48, v48, v49
	v_mul_lo_u32 v50, v46, v48
	v_mul_hi_u32 v52, v46, v51
	v_mul_hi_u32 v49, v46, v48
	v_add_co_u32_e32 v50, vcc, v52, v50
	v_addc_co_u32_e32 v49, vcc, 0, v49, vcc
	v_mul_hi_u32 v53, v47, v51
	v_mul_lo_u32 v51, v47, v51
	v_add_co_u32_e32 v50, vcc, v50, v51
	v_mul_hi_u32 v52, v47, v48
	v_addc_co_u32_e32 v49, vcc, v49, v53, vcc
	v_addc_co_u32_e32 v50, vcc, 0, v52, vcc
	v_mul_lo_u32 v48, v47, v48
	v_add_co_u32_e32 v48, vcc, v49, v48
	v_addc_co_u32_e32 v49, vcc, 0, v50, vcc
	v_add_co_u32_e32 v46, vcc, v46, v48
	v_addc_co_u32_e32 v47, vcc, v47, v49, vcc
	v_mul_lo_u32 v48, s4, v47
	v_mul_hi_u32 v49, s4, v46
	v_add_u32_e32 v48, v49, v48
	v_mul_lo_u32 v49, s5, v46
	v_add_u32_e32 v48, v48, v49
	v_mul_lo_u32 v50, s4, v46
	v_mul_hi_u32 v51, v47, v50
	v_mul_lo_u32 v52, v47, v50
	v_mul_lo_u32 v54, v46, v48
	v_mul_hi_u32 v50, v46, v50
	v_mul_hi_u32 v53, v46, v48
	v_add_co_u32_e32 v50, vcc, v50, v54
	v_addc_co_u32_e32 v53, vcc, 0, v53, vcc
	v_add_co_u32_e32 v50, vcc, v50, v52
	v_mul_hi_u32 v49, v47, v48
	v_addc_co_u32_e32 v50, vcc, v53, v51, vcc
	v_addc_co_u32_e32 v49, vcc, 0, v49, vcc
	v_mul_lo_u32 v48, v47, v48
	v_add_co_u32_e32 v48, vcc, v50, v48
	v_addc_co_u32_e32 v49, vcc, 0, v49, vcc
	v_add_co_u32_e32 v48, vcc, v46, v48
	v_addc_co_u32_e32 v49, vcc, v47, v49, vcc
	v_ashrrev_i32_e32 v50, 31, v79
	v_add_co_u32_e32 v46, vcc, v78, v50
	v_addc_co_u32_e32 v47, vcc, v79, v50, vcc
	v_xor_b32_e32 v52, v46, v50
	v_xor_b32_e32 v51, v47, v50
	v_mad_u64_u32 v[46:47], s[4:5], v52, v49, 0
	v_mul_hi_u32 v53, v52, v48
	v_add_co_u32_e32 v53, vcc, v53, v46
	v_addc_co_u32_e32 v54, vcc, 0, v47, vcc
	v_mad_u64_u32 v[46:47], s[4:5], v51, v49, 0
	v_mad_u64_u32 v[48:49], s[4:5], v51, v48, 0
	v_add_co_u32_e32 v48, vcc, v53, v48
	v_addc_co_u32_e32 v48, vcc, v54, v49, vcc
	v_addc_co_u32_e32 v47, vcc, 0, v47, vcc
	v_add_co_u32_e32 v48, vcc, v48, v46
	v_addc_co_u32_e32 v49, vcc, 0, v47, vcc
	v_mul_lo_u32 v53, s11, v48
	v_mul_lo_u32 v54, s10, v49
	v_mad_u64_u32 v[46:47], s[4:5], s10, v48, 0
	v_add3_u32 v47, v47, v54, v53
	v_sub_u32_e32 v53, v51, v47
	v_mov_b32_e32 v54, s11
	v_sub_co_u32_e32 v46, vcc, v52, v46
	v_subb_co_u32_e64 v52, s[4:5], v53, v54, vcc
	v_subrev_co_u32_e64 v53, s[4:5], s10, v46
	v_subbrev_co_u32_e64 v52, s[4:5], 0, v52, s[4:5]
	v_cmp_le_u32_e64 s[4:5], s11, v52
	v_cndmask_b32_e64 v54, 0, -1, s[4:5]
	v_cmp_le_u32_e64 s[4:5], s10, v53
	v_cndmask_b32_e64 v53, 0, -1, s[4:5]
	v_cmp_eq_u32_e64 s[4:5], s11, v52
	v_cndmask_b32_e64 v52, v54, v53, s[4:5]
	v_add_co_u32_e64 v53, s[4:5], 2, v48
	v_subb_co_u32_e32 v47, vcc, v51, v47, vcc
	v_addc_co_u32_e64 v54, s[4:5], 0, v49, s[4:5]
	v_cmp_le_u32_e32 vcc, s11, v47
	v_add_co_u32_e64 v55, s[4:5], 1, v48
	v_cndmask_b32_e64 v51, 0, -1, vcc
	v_cmp_le_u32_e32 vcc, s10, v46
	v_addc_co_u32_e64 v56, s[4:5], 0, v49, s[4:5]
	v_cndmask_b32_e64 v46, 0, -1, vcc
	v_cmp_eq_u32_e32 vcc, s11, v47
	v_cmp_ne_u32_e64 s[4:5], 0, v52
	v_cndmask_b32_e32 v46, v51, v46, vcc
	v_cndmask_b32_e64 v52, v56, v54, s[4:5]
	v_cmp_ne_u32_e32 vcc, 0, v46
	v_cndmask_b32_e64 v47, v55, v53, s[4:5]
	v_cndmask_b32_e32 v46, v49, v52, vcc
	v_cndmask_b32_e32 v47, v48, v47, vcc
	v_xor_b32_e32 v48, s8, v50
	v_xor_b32_e32 v49, v46, v48
	;; [unrolled: 1-line block ×3, first 2 shown]
	v_sub_co_u32_e32 v46, vcc, v46, v48
	v_subb_co_u32_e32 v47, vcc, v49, v48, vcc
.LBB1164_95:
	s_andn2_saveexec_b64 s[4:5], s[6:7]
	s_cbranch_execz .LBB1164_97
; %bb.96:
	v_rcp_iflag_f32_e32 v46, v66
	s_sub_i32 s6, 0, s44
	v_mul_f32_e32 v46, 0x4f7ffffe, v46
	v_cvt_u32_f32_e32 v46, v46
	v_mul_lo_u32 v47, s6, v46
	v_mul_hi_u32 v47, v46, v47
	v_add_u32_e32 v46, v46, v47
	v_mul_hi_u32 v46, v78, v46
	v_mul_lo_u32 v47, v46, s44
	v_sub_u32_e32 v47, v78, v47
	v_add_u32_e32 v48, 1, v46
	v_subrev_u32_e32 v49, s44, v47
	v_cmp_le_u32_e32 vcc, s44, v47
	v_cndmask_b32_e32 v47, v47, v49, vcc
	v_cndmask_b32_e32 v46, v46, v48, vcc
	v_add_u32_e32 v48, 1, v46
	v_cmp_le_u32_e32 vcc, s44, v47
	v_cndmask_b32_e32 v46, v46, v48, vcc
	v_mov_b32_e32 v47, 0
.LBB1164_97:
	s_or_b64 exec, exec, s[4:5]
	v_add_co_u32_e32 v80, vcc, 0x800, v30
	v_addc_co_u32_e32 v81, vcc, 0, v1, vcc
	v_or_b32_e32 v49, s45, v81
	v_mov_b32_e32 v48, 0
	v_cmp_ne_u64_e32 vcc, 0, v[48:49]
                                        ; implicit-def: $vgpr48_vgpr49
	s_and_saveexec_b64 s[4:5], vcc
	s_xor_b64 s[6:7], exec, s[4:5]
	s_cbranch_execz .LBB1164_99
; %bb.98:
	s_ashr_i32 s8, s45, 31
	s_add_u32 s4, s44, s8
	s_mov_b32 s9, s8
	s_addc_u32 s5, s45, s8
	s_xor_b64 s[10:11], s[4:5], s[8:9]
	v_cvt_f32_u32_e32 v48, s10
	v_cvt_f32_u32_e32 v49, s11
	s_sub_u32 s4, 0, s10
	s_subb_u32 s5, 0, s11
	v_madmk_f32 v48, v49, 0x4f800000, v48
	v_rcp_f32_e32 v48, v48
	v_mul_f32_e32 v48, 0x5f7ffffc, v48
	v_mul_f32_e32 v49, 0x2f800000, v48
	v_trunc_f32_e32 v49, v49
	v_madmk_f32 v48, v49, 0xcf800000, v48
	v_cvt_u32_f32_e32 v49, v49
	v_cvt_u32_f32_e32 v48, v48
	v_mul_lo_u32 v50, s4, v49
	v_mul_hi_u32 v52, s4, v48
	v_mul_lo_u32 v51, s5, v48
	v_add_u32_e32 v50, v52, v50
	v_mul_lo_u32 v53, s4, v48
	v_add_u32_e32 v50, v50, v51
	v_mul_lo_u32 v52, v48, v50
	v_mul_hi_u32 v54, v48, v53
	v_mul_hi_u32 v51, v48, v50
	v_add_co_u32_e32 v52, vcc, v54, v52
	v_addc_co_u32_e32 v51, vcc, 0, v51, vcc
	v_mul_hi_u32 v55, v49, v53
	v_mul_lo_u32 v53, v49, v53
	v_add_co_u32_e32 v52, vcc, v52, v53
	v_mul_hi_u32 v54, v49, v50
	v_addc_co_u32_e32 v51, vcc, v51, v55, vcc
	v_addc_co_u32_e32 v52, vcc, 0, v54, vcc
	v_mul_lo_u32 v50, v49, v50
	v_add_co_u32_e32 v50, vcc, v51, v50
	v_addc_co_u32_e32 v51, vcc, 0, v52, vcc
	v_add_co_u32_e32 v48, vcc, v48, v50
	v_addc_co_u32_e32 v49, vcc, v49, v51, vcc
	v_mul_lo_u32 v50, s4, v49
	v_mul_hi_u32 v51, s4, v48
	v_add_u32_e32 v50, v51, v50
	v_mul_lo_u32 v51, s5, v48
	v_add_u32_e32 v50, v50, v51
	v_mul_lo_u32 v52, s4, v48
	v_mul_hi_u32 v53, v49, v52
	v_mul_lo_u32 v54, v49, v52
	v_mul_lo_u32 v56, v48, v50
	v_mul_hi_u32 v52, v48, v52
	v_mul_hi_u32 v55, v48, v50
	v_add_co_u32_e32 v52, vcc, v52, v56
	v_addc_co_u32_e32 v55, vcc, 0, v55, vcc
	v_add_co_u32_e32 v52, vcc, v52, v54
	v_mul_hi_u32 v51, v49, v50
	v_addc_co_u32_e32 v52, vcc, v55, v53, vcc
	v_addc_co_u32_e32 v51, vcc, 0, v51, vcc
	v_mul_lo_u32 v50, v49, v50
	v_add_co_u32_e32 v50, vcc, v52, v50
	v_addc_co_u32_e32 v51, vcc, 0, v51, vcc
	v_add_co_u32_e32 v50, vcc, v48, v50
	v_addc_co_u32_e32 v51, vcc, v49, v51, vcc
	v_ashrrev_i32_e32 v52, 31, v81
	v_add_co_u32_e32 v48, vcc, v80, v52
	v_addc_co_u32_e32 v49, vcc, v81, v52, vcc
	v_xor_b32_e32 v54, v48, v52
	v_xor_b32_e32 v53, v49, v52
	v_mad_u64_u32 v[48:49], s[4:5], v54, v51, 0
	v_mul_hi_u32 v55, v54, v50
	v_add_co_u32_e32 v55, vcc, v55, v48
	v_addc_co_u32_e32 v56, vcc, 0, v49, vcc
	v_mad_u64_u32 v[48:49], s[4:5], v53, v51, 0
	v_mad_u64_u32 v[50:51], s[4:5], v53, v50, 0
	v_add_co_u32_e32 v50, vcc, v55, v50
	v_addc_co_u32_e32 v50, vcc, v56, v51, vcc
	v_addc_co_u32_e32 v49, vcc, 0, v49, vcc
	v_add_co_u32_e32 v50, vcc, v50, v48
	v_addc_co_u32_e32 v51, vcc, 0, v49, vcc
	v_mul_lo_u32 v55, s11, v50
	v_mul_lo_u32 v56, s10, v51
	v_mad_u64_u32 v[48:49], s[4:5], s10, v50, 0
	v_add3_u32 v49, v49, v56, v55
	v_sub_u32_e32 v55, v53, v49
	v_mov_b32_e32 v56, s11
	v_sub_co_u32_e32 v48, vcc, v54, v48
	v_subb_co_u32_e64 v54, s[4:5], v55, v56, vcc
	v_subrev_co_u32_e64 v55, s[4:5], s10, v48
	v_subbrev_co_u32_e64 v54, s[4:5], 0, v54, s[4:5]
	v_cmp_le_u32_e64 s[4:5], s11, v54
	v_cndmask_b32_e64 v56, 0, -1, s[4:5]
	v_cmp_le_u32_e64 s[4:5], s10, v55
	v_cndmask_b32_e64 v55, 0, -1, s[4:5]
	v_cmp_eq_u32_e64 s[4:5], s11, v54
	v_cndmask_b32_e64 v54, v56, v55, s[4:5]
	v_add_co_u32_e64 v55, s[4:5], 2, v50
	v_subb_co_u32_e32 v49, vcc, v53, v49, vcc
	v_addc_co_u32_e64 v56, s[4:5], 0, v51, s[4:5]
	v_cmp_le_u32_e32 vcc, s11, v49
	v_add_co_u32_e64 v57, s[4:5], 1, v50
	v_cndmask_b32_e64 v53, 0, -1, vcc
	v_cmp_le_u32_e32 vcc, s10, v48
	v_addc_co_u32_e64 v58, s[4:5], 0, v51, s[4:5]
	v_cndmask_b32_e64 v48, 0, -1, vcc
	v_cmp_eq_u32_e32 vcc, s11, v49
	v_cmp_ne_u32_e64 s[4:5], 0, v54
	v_cndmask_b32_e32 v48, v53, v48, vcc
	v_cndmask_b32_e64 v54, v58, v56, s[4:5]
	v_cmp_ne_u32_e32 vcc, 0, v48
	v_cndmask_b32_e64 v49, v57, v55, s[4:5]
	v_cndmask_b32_e32 v48, v51, v54, vcc
	v_cndmask_b32_e32 v49, v50, v49, vcc
	v_xor_b32_e32 v50, s8, v52
	v_xor_b32_e32 v51, v48, v50
	;; [unrolled: 1-line block ×3, first 2 shown]
	v_sub_co_u32_e32 v48, vcc, v48, v50
	v_subb_co_u32_e32 v49, vcc, v51, v50, vcc
.LBB1164_99:
	s_andn2_saveexec_b64 s[4:5], s[6:7]
	s_cbranch_execz .LBB1164_101
; %bb.100:
	v_rcp_iflag_f32_e32 v48, v66
	s_sub_i32 s6, 0, s44
	v_mul_f32_e32 v48, 0x4f7ffffe, v48
	v_cvt_u32_f32_e32 v48, v48
	v_mul_lo_u32 v49, s6, v48
	v_mul_hi_u32 v49, v48, v49
	v_add_u32_e32 v48, v48, v49
	v_mul_hi_u32 v48, v80, v48
	v_mul_lo_u32 v49, v48, s44
	v_sub_u32_e32 v49, v80, v49
	v_add_u32_e32 v50, 1, v48
	v_subrev_u32_e32 v51, s44, v49
	v_cmp_le_u32_e32 vcc, s44, v49
	v_cndmask_b32_e32 v49, v49, v51, vcc
	v_cndmask_b32_e32 v48, v48, v50, vcc
	v_add_u32_e32 v50, 1, v48
	v_cmp_le_u32_e32 vcc, s44, v49
	v_cndmask_b32_e32 v48, v48, v50, vcc
	v_mov_b32_e32 v49, 0
.LBB1164_101:
	s_or_b64 exec, exec, s[4:5]
	v_add_co_u32_e32 v82, vcc, 0x900, v30
	v_addc_co_u32_e32 v83, vcc, 0, v1, vcc
	v_or_b32_e32 v51, s45, v83
	v_mov_b32_e32 v50, 0
	v_cmp_ne_u64_e32 vcc, 0, v[50:51]
                                        ; implicit-def: $vgpr50_vgpr51
	s_and_saveexec_b64 s[4:5], vcc
	s_xor_b64 s[6:7], exec, s[4:5]
	s_cbranch_execz .LBB1164_103
; %bb.102:
	s_ashr_i32 s8, s45, 31
	s_add_u32 s4, s44, s8
	s_mov_b32 s9, s8
	s_addc_u32 s5, s45, s8
	s_xor_b64 s[10:11], s[4:5], s[8:9]
	v_cvt_f32_u32_e32 v50, s10
	v_cvt_f32_u32_e32 v51, s11
	s_sub_u32 s4, 0, s10
	s_subb_u32 s5, 0, s11
	v_madmk_f32 v50, v51, 0x4f800000, v50
	v_rcp_f32_e32 v50, v50
	v_mul_f32_e32 v50, 0x5f7ffffc, v50
	v_mul_f32_e32 v51, 0x2f800000, v50
	v_trunc_f32_e32 v51, v51
	v_madmk_f32 v50, v51, 0xcf800000, v50
	v_cvt_u32_f32_e32 v51, v51
	v_cvt_u32_f32_e32 v50, v50
	v_mul_lo_u32 v52, s4, v51
	v_mul_hi_u32 v54, s4, v50
	v_mul_lo_u32 v53, s5, v50
	v_add_u32_e32 v52, v54, v52
	v_mul_lo_u32 v55, s4, v50
	v_add_u32_e32 v52, v52, v53
	v_mul_lo_u32 v54, v50, v52
	v_mul_hi_u32 v56, v50, v55
	v_mul_hi_u32 v53, v50, v52
	v_add_co_u32_e32 v54, vcc, v56, v54
	v_addc_co_u32_e32 v53, vcc, 0, v53, vcc
	v_mul_hi_u32 v57, v51, v55
	v_mul_lo_u32 v55, v51, v55
	v_add_co_u32_e32 v54, vcc, v54, v55
	v_mul_hi_u32 v56, v51, v52
	v_addc_co_u32_e32 v53, vcc, v53, v57, vcc
	v_addc_co_u32_e32 v54, vcc, 0, v56, vcc
	v_mul_lo_u32 v52, v51, v52
	v_add_co_u32_e32 v52, vcc, v53, v52
	v_addc_co_u32_e32 v53, vcc, 0, v54, vcc
	v_add_co_u32_e32 v50, vcc, v50, v52
	v_addc_co_u32_e32 v51, vcc, v51, v53, vcc
	v_mul_lo_u32 v52, s4, v51
	v_mul_hi_u32 v53, s4, v50
	v_add_u32_e32 v52, v53, v52
	v_mul_lo_u32 v53, s5, v50
	v_add_u32_e32 v52, v52, v53
	v_mul_lo_u32 v54, s4, v50
	v_mul_hi_u32 v55, v51, v54
	v_mul_lo_u32 v56, v51, v54
	v_mul_lo_u32 v58, v50, v52
	v_mul_hi_u32 v54, v50, v54
	v_mul_hi_u32 v57, v50, v52
	v_add_co_u32_e32 v54, vcc, v54, v58
	v_addc_co_u32_e32 v57, vcc, 0, v57, vcc
	v_add_co_u32_e32 v54, vcc, v54, v56
	v_mul_hi_u32 v53, v51, v52
	v_addc_co_u32_e32 v54, vcc, v57, v55, vcc
	v_addc_co_u32_e32 v53, vcc, 0, v53, vcc
	v_mul_lo_u32 v52, v51, v52
	v_add_co_u32_e32 v52, vcc, v54, v52
	v_addc_co_u32_e32 v53, vcc, 0, v53, vcc
	v_add_co_u32_e32 v52, vcc, v50, v52
	v_addc_co_u32_e32 v53, vcc, v51, v53, vcc
	v_ashrrev_i32_e32 v54, 31, v83
	v_add_co_u32_e32 v50, vcc, v82, v54
	v_addc_co_u32_e32 v51, vcc, v83, v54, vcc
	v_xor_b32_e32 v56, v50, v54
	v_xor_b32_e32 v55, v51, v54
	v_mad_u64_u32 v[50:51], s[4:5], v56, v53, 0
	v_mul_hi_u32 v57, v56, v52
	v_add_co_u32_e32 v57, vcc, v57, v50
	v_addc_co_u32_e32 v58, vcc, 0, v51, vcc
	v_mad_u64_u32 v[50:51], s[4:5], v55, v53, 0
	v_mad_u64_u32 v[52:53], s[4:5], v55, v52, 0
	v_add_co_u32_e32 v52, vcc, v57, v52
	v_addc_co_u32_e32 v52, vcc, v58, v53, vcc
	v_addc_co_u32_e32 v51, vcc, 0, v51, vcc
	v_add_co_u32_e32 v52, vcc, v52, v50
	v_addc_co_u32_e32 v53, vcc, 0, v51, vcc
	v_mul_lo_u32 v57, s11, v52
	v_mul_lo_u32 v58, s10, v53
	v_mad_u64_u32 v[50:51], s[4:5], s10, v52, 0
	v_add3_u32 v51, v51, v58, v57
	v_sub_u32_e32 v57, v55, v51
	v_mov_b32_e32 v58, s11
	v_sub_co_u32_e32 v50, vcc, v56, v50
	v_subb_co_u32_e64 v56, s[4:5], v57, v58, vcc
	v_subrev_co_u32_e64 v57, s[4:5], s10, v50
	v_subbrev_co_u32_e64 v56, s[4:5], 0, v56, s[4:5]
	v_cmp_le_u32_e64 s[4:5], s11, v56
	v_cndmask_b32_e64 v58, 0, -1, s[4:5]
	v_cmp_le_u32_e64 s[4:5], s10, v57
	v_cndmask_b32_e64 v57, 0, -1, s[4:5]
	v_cmp_eq_u32_e64 s[4:5], s11, v56
	v_cndmask_b32_e64 v56, v58, v57, s[4:5]
	v_add_co_u32_e64 v57, s[4:5], 2, v52
	v_subb_co_u32_e32 v51, vcc, v55, v51, vcc
	v_addc_co_u32_e64 v58, s[4:5], 0, v53, s[4:5]
	v_cmp_le_u32_e32 vcc, s11, v51
	v_add_co_u32_e64 v59, s[4:5], 1, v52
	v_cndmask_b32_e64 v55, 0, -1, vcc
	v_cmp_le_u32_e32 vcc, s10, v50
	v_addc_co_u32_e64 v60, s[4:5], 0, v53, s[4:5]
	v_cndmask_b32_e64 v50, 0, -1, vcc
	v_cmp_eq_u32_e32 vcc, s11, v51
	v_cmp_ne_u32_e64 s[4:5], 0, v56
	v_cndmask_b32_e32 v50, v55, v50, vcc
	v_cndmask_b32_e64 v56, v60, v58, s[4:5]
	v_cmp_ne_u32_e32 vcc, 0, v50
	v_cndmask_b32_e64 v51, v59, v57, s[4:5]
	v_cndmask_b32_e32 v50, v53, v56, vcc
	v_cndmask_b32_e32 v51, v52, v51, vcc
	v_xor_b32_e32 v52, s8, v54
	v_xor_b32_e32 v53, v50, v52
	;; [unrolled: 1-line block ×3, first 2 shown]
	v_sub_co_u32_e32 v50, vcc, v50, v52
	v_subb_co_u32_e32 v51, vcc, v53, v52, vcc
.LBB1164_103:
	s_andn2_saveexec_b64 s[4:5], s[6:7]
	s_cbranch_execz .LBB1164_105
; %bb.104:
	v_rcp_iflag_f32_e32 v50, v66
	s_sub_i32 s6, 0, s44
	v_mul_f32_e32 v50, 0x4f7ffffe, v50
	v_cvt_u32_f32_e32 v50, v50
	v_mul_lo_u32 v51, s6, v50
	v_mul_hi_u32 v51, v50, v51
	v_add_u32_e32 v50, v50, v51
	v_mul_hi_u32 v50, v82, v50
	v_mul_lo_u32 v51, v50, s44
	v_sub_u32_e32 v51, v82, v51
	v_add_u32_e32 v52, 1, v50
	v_subrev_u32_e32 v53, s44, v51
	v_cmp_le_u32_e32 vcc, s44, v51
	v_cndmask_b32_e32 v51, v51, v53, vcc
	v_cndmask_b32_e32 v50, v50, v52, vcc
	v_add_u32_e32 v52, 1, v50
	v_cmp_le_u32_e32 vcc, s44, v51
	v_cndmask_b32_e32 v50, v50, v52, vcc
	v_mov_b32_e32 v51, 0
.LBB1164_105:
	s_or_b64 exec, exec, s[4:5]
	v_add_co_u32_e32 v84, vcc, 0xa00, v30
	v_addc_co_u32_e32 v85, vcc, 0, v1, vcc
	v_or_b32_e32 v53, s45, v85
	v_mov_b32_e32 v52, 0
	v_cmp_ne_u64_e32 vcc, 0, v[52:53]
                                        ; implicit-def: $vgpr52_vgpr53
	s_and_saveexec_b64 s[4:5], vcc
	s_xor_b64 s[6:7], exec, s[4:5]
	s_cbranch_execz .LBB1164_107
; %bb.106:
	s_ashr_i32 s8, s45, 31
	s_add_u32 s4, s44, s8
	s_mov_b32 s9, s8
	s_addc_u32 s5, s45, s8
	s_xor_b64 s[10:11], s[4:5], s[8:9]
	v_cvt_f32_u32_e32 v52, s10
	v_cvt_f32_u32_e32 v53, s11
	s_sub_u32 s4, 0, s10
	s_subb_u32 s5, 0, s11
	v_madmk_f32 v52, v53, 0x4f800000, v52
	v_rcp_f32_e32 v52, v52
	v_mul_f32_e32 v52, 0x5f7ffffc, v52
	v_mul_f32_e32 v53, 0x2f800000, v52
	v_trunc_f32_e32 v53, v53
	v_madmk_f32 v52, v53, 0xcf800000, v52
	v_cvt_u32_f32_e32 v53, v53
	v_cvt_u32_f32_e32 v52, v52
	v_mul_lo_u32 v54, s4, v53
	v_mul_hi_u32 v56, s4, v52
	v_mul_lo_u32 v55, s5, v52
	v_add_u32_e32 v54, v56, v54
	v_mul_lo_u32 v57, s4, v52
	v_add_u32_e32 v54, v54, v55
	v_mul_lo_u32 v56, v52, v54
	v_mul_hi_u32 v58, v52, v57
	v_mul_hi_u32 v55, v52, v54
	v_add_co_u32_e32 v56, vcc, v58, v56
	v_addc_co_u32_e32 v55, vcc, 0, v55, vcc
	v_mul_hi_u32 v59, v53, v57
	v_mul_lo_u32 v57, v53, v57
	v_add_co_u32_e32 v56, vcc, v56, v57
	v_mul_hi_u32 v58, v53, v54
	v_addc_co_u32_e32 v55, vcc, v55, v59, vcc
	v_addc_co_u32_e32 v56, vcc, 0, v58, vcc
	v_mul_lo_u32 v54, v53, v54
	v_add_co_u32_e32 v54, vcc, v55, v54
	v_addc_co_u32_e32 v55, vcc, 0, v56, vcc
	v_add_co_u32_e32 v52, vcc, v52, v54
	v_addc_co_u32_e32 v53, vcc, v53, v55, vcc
	v_mul_lo_u32 v54, s4, v53
	v_mul_hi_u32 v55, s4, v52
	v_add_u32_e32 v54, v55, v54
	v_mul_lo_u32 v55, s5, v52
	v_add_u32_e32 v54, v54, v55
	v_mul_lo_u32 v56, s4, v52
	v_mul_hi_u32 v57, v53, v56
	v_mul_lo_u32 v58, v53, v56
	v_mul_lo_u32 v60, v52, v54
	v_mul_hi_u32 v56, v52, v56
	v_mul_hi_u32 v59, v52, v54
	v_add_co_u32_e32 v56, vcc, v56, v60
	v_addc_co_u32_e32 v59, vcc, 0, v59, vcc
	v_add_co_u32_e32 v56, vcc, v56, v58
	v_mul_hi_u32 v55, v53, v54
	v_addc_co_u32_e32 v56, vcc, v59, v57, vcc
	v_addc_co_u32_e32 v55, vcc, 0, v55, vcc
	v_mul_lo_u32 v54, v53, v54
	v_add_co_u32_e32 v54, vcc, v56, v54
	v_addc_co_u32_e32 v55, vcc, 0, v55, vcc
	v_add_co_u32_e32 v54, vcc, v52, v54
	v_addc_co_u32_e32 v55, vcc, v53, v55, vcc
	v_ashrrev_i32_e32 v56, 31, v85
	v_add_co_u32_e32 v52, vcc, v84, v56
	v_addc_co_u32_e32 v53, vcc, v85, v56, vcc
	v_xor_b32_e32 v58, v52, v56
	v_xor_b32_e32 v57, v53, v56
	v_mad_u64_u32 v[52:53], s[4:5], v58, v55, 0
	v_mul_hi_u32 v59, v58, v54
	v_add_co_u32_e32 v59, vcc, v59, v52
	v_addc_co_u32_e32 v60, vcc, 0, v53, vcc
	v_mad_u64_u32 v[52:53], s[4:5], v57, v55, 0
	v_mad_u64_u32 v[54:55], s[4:5], v57, v54, 0
	v_add_co_u32_e32 v54, vcc, v59, v54
	v_addc_co_u32_e32 v54, vcc, v60, v55, vcc
	v_addc_co_u32_e32 v53, vcc, 0, v53, vcc
	v_add_co_u32_e32 v54, vcc, v54, v52
	v_addc_co_u32_e32 v55, vcc, 0, v53, vcc
	v_mul_lo_u32 v59, s11, v54
	v_mul_lo_u32 v60, s10, v55
	v_mad_u64_u32 v[52:53], s[4:5], s10, v54, 0
	v_add3_u32 v53, v53, v60, v59
	v_sub_u32_e32 v59, v57, v53
	v_mov_b32_e32 v60, s11
	v_sub_co_u32_e32 v52, vcc, v58, v52
	v_subb_co_u32_e64 v58, s[4:5], v59, v60, vcc
	v_subrev_co_u32_e64 v59, s[4:5], s10, v52
	v_subbrev_co_u32_e64 v58, s[4:5], 0, v58, s[4:5]
	v_cmp_le_u32_e64 s[4:5], s11, v58
	v_cndmask_b32_e64 v60, 0, -1, s[4:5]
	v_cmp_le_u32_e64 s[4:5], s10, v59
	v_cndmask_b32_e64 v59, 0, -1, s[4:5]
	v_cmp_eq_u32_e64 s[4:5], s11, v58
	v_cndmask_b32_e64 v58, v60, v59, s[4:5]
	v_add_co_u32_e64 v59, s[4:5], 2, v54
	v_subb_co_u32_e32 v53, vcc, v57, v53, vcc
	v_addc_co_u32_e64 v60, s[4:5], 0, v55, s[4:5]
	v_cmp_le_u32_e32 vcc, s11, v53
	v_add_co_u32_e64 v61, s[4:5], 1, v54
	v_cndmask_b32_e64 v57, 0, -1, vcc
	v_cmp_le_u32_e32 vcc, s10, v52
	v_addc_co_u32_e64 v86, s[4:5], 0, v55, s[4:5]
	v_cndmask_b32_e64 v52, 0, -1, vcc
	v_cmp_eq_u32_e32 vcc, s11, v53
	v_cmp_ne_u32_e64 s[4:5], 0, v58
	v_cndmask_b32_e32 v52, v57, v52, vcc
	v_cndmask_b32_e64 v58, v86, v60, s[4:5]
	v_cmp_ne_u32_e32 vcc, 0, v52
	v_cndmask_b32_e64 v53, v61, v59, s[4:5]
	v_cndmask_b32_e32 v52, v55, v58, vcc
	v_cndmask_b32_e32 v53, v54, v53, vcc
	v_xor_b32_e32 v54, s8, v56
	v_xor_b32_e32 v55, v52, v54
	;; [unrolled: 1-line block ×3, first 2 shown]
	v_sub_co_u32_e32 v52, vcc, v52, v54
	v_subb_co_u32_e32 v53, vcc, v55, v54, vcc
.LBB1164_107:
	s_andn2_saveexec_b64 s[4:5], s[6:7]
	s_cbranch_execz .LBB1164_109
; %bb.108:
	v_rcp_iflag_f32_e32 v52, v66
	s_sub_i32 s6, 0, s44
	v_mul_f32_e32 v52, 0x4f7ffffe, v52
	v_cvt_u32_f32_e32 v52, v52
	v_mul_lo_u32 v53, s6, v52
	v_mul_hi_u32 v53, v52, v53
	v_add_u32_e32 v52, v52, v53
	v_mul_hi_u32 v52, v84, v52
	v_mul_lo_u32 v53, v52, s44
	v_sub_u32_e32 v53, v84, v53
	v_add_u32_e32 v54, 1, v52
	v_subrev_u32_e32 v55, s44, v53
	v_cmp_le_u32_e32 vcc, s44, v53
	v_cndmask_b32_e32 v53, v53, v55, vcc
	v_cndmask_b32_e32 v52, v52, v54, vcc
	v_add_u32_e32 v54, 1, v52
	v_cmp_le_u32_e32 vcc, s44, v53
	v_cndmask_b32_e32 v52, v52, v54, vcc
	v_mov_b32_e32 v53, 0
.LBB1164_109:
	s_or_b64 exec, exec, s[4:5]
	v_add_co_u32_e32 v86, vcc, 0xb00, v30
	v_addc_co_u32_e32 v87, vcc, 0, v1, vcc
	v_or_b32_e32 v55, s45, v87
	v_mov_b32_e32 v54, 0
	v_cmp_ne_u64_e32 vcc, 0, v[54:55]
                                        ; implicit-def: $vgpr54_vgpr55
	s_and_saveexec_b64 s[4:5], vcc
	s_xor_b64 s[6:7], exec, s[4:5]
	s_cbranch_execz .LBB1164_111
; %bb.110:
	s_ashr_i32 s8, s45, 31
	s_add_u32 s4, s44, s8
	s_mov_b32 s9, s8
	s_addc_u32 s5, s45, s8
	s_xor_b64 s[10:11], s[4:5], s[8:9]
	v_cvt_f32_u32_e32 v54, s10
	v_cvt_f32_u32_e32 v55, s11
	s_sub_u32 s4, 0, s10
	s_subb_u32 s5, 0, s11
	v_madmk_f32 v54, v55, 0x4f800000, v54
	v_rcp_f32_e32 v54, v54
	v_mul_f32_e32 v54, 0x5f7ffffc, v54
	v_mul_f32_e32 v55, 0x2f800000, v54
	v_trunc_f32_e32 v55, v55
	v_madmk_f32 v54, v55, 0xcf800000, v54
	v_cvt_u32_f32_e32 v55, v55
	v_cvt_u32_f32_e32 v54, v54
	v_mul_lo_u32 v56, s4, v55
	v_mul_hi_u32 v58, s4, v54
	v_mul_lo_u32 v57, s5, v54
	v_add_u32_e32 v56, v58, v56
	v_mul_lo_u32 v59, s4, v54
	v_add_u32_e32 v56, v56, v57
	v_mul_lo_u32 v58, v54, v56
	v_mul_hi_u32 v60, v54, v59
	v_mul_hi_u32 v57, v54, v56
	v_add_co_u32_e32 v58, vcc, v60, v58
	v_addc_co_u32_e32 v57, vcc, 0, v57, vcc
	v_mul_hi_u32 v61, v55, v59
	v_mul_lo_u32 v59, v55, v59
	v_add_co_u32_e32 v58, vcc, v58, v59
	v_mul_hi_u32 v60, v55, v56
	v_addc_co_u32_e32 v57, vcc, v57, v61, vcc
	v_addc_co_u32_e32 v58, vcc, 0, v60, vcc
	v_mul_lo_u32 v56, v55, v56
	v_add_co_u32_e32 v56, vcc, v57, v56
	v_addc_co_u32_e32 v57, vcc, 0, v58, vcc
	v_add_co_u32_e32 v54, vcc, v54, v56
	v_addc_co_u32_e32 v55, vcc, v55, v57, vcc
	v_mul_lo_u32 v56, s4, v55
	v_mul_hi_u32 v57, s4, v54
	v_add_u32_e32 v56, v57, v56
	v_mul_lo_u32 v57, s5, v54
	v_add_u32_e32 v56, v56, v57
	v_mul_lo_u32 v58, s4, v54
	v_mul_hi_u32 v59, v55, v58
	v_mul_lo_u32 v60, v55, v58
	v_mul_lo_u32 v88, v54, v56
	v_mul_hi_u32 v58, v54, v58
	v_mul_hi_u32 v61, v54, v56
	v_add_co_u32_e32 v58, vcc, v58, v88
	v_addc_co_u32_e32 v61, vcc, 0, v61, vcc
	v_add_co_u32_e32 v58, vcc, v58, v60
	v_mul_hi_u32 v57, v55, v56
	v_addc_co_u32_e32 v58, vcc, v61, v59, vcc
	v_addc_co_u32_e32 v57, vcc, 0, v57, vcc
	v_mul_lo_u32 v56, v55, v56
	v_add_co_u32_e32 v56, vcc, v58, v56
	v_addc_co_u32_e32 v57, vcc, 0, v57, vcc
	v_add_co_u32_e32 v56, vcc, v54, v56
	v_addc_co_u32_e32 v57, vcc, v55, v57, vcc
	v_ashrrev_i32_e32 v58, 31, v87
	v_add_co_u32_e32 v54, vcc, v86, v58
	v_addc_co_u32_e32 v55, vcc, v87, v58, vcc
	v_xor_b32_e32 v60, v54, v58
	v_xor_b32_e32 v59, v55, v58
	v_mad_u64_u32 v[54:55], s[4:5], v60, v57, 0
	v_mul_hi_u32 v61, v60, v56
	v_add_co_u32_e32 v61, vcc, v61, v54
	v_addc_co_u32_e32 v88, vcc, 0, v55, vcc
	v_mad_u64_u32 v[54:55], s[4:5], v59, v57, 0
	v_mad_u64_u32 v[56:57], s[4:5], v59, v56, 0
	v_add_co_u32_e32 v56, vcc, v61, v56
	v_addc_co_u32_e32 v56, vcc, v88, v57, vcc
	v_addc_co_u32_e32 v55, vcc, 0, v55, vcc
	v_add_co_u32_e32 v56, vcc, v56, v54
	v_addc_co_u32_e32 v57, vcc, 0, v55, vcc
	v_mul_lo_u32 v61, s11, v56
	v_mul_lo_u32 v88, s10, v57
	v_mad_u64_u32 v[54:55], s[4:5], s10, v56, 0
	v_add3_u32 v55, v55, v88, v61
	v_sub_u32_e32 v61, v59, v55
	v_mov_b32_e32 v88, s11
	v_sub_co_u32_e32 v54, vcc, v60, v54
	v_subb_co_u32_e64 v60, s[4:5], v61, v88, vcc
	v_subrev_co_u32_e64 v61, s[4:5], s10, v54
	v_subbrev_co_u32_e64 v60, s[4:5], 0, v60, s[4:5]
	v_cmp_le_u32_e64 s[4:5], s11, v60
	v_cndmask_b32_e64 v88, 0, -1, s[4:5]
	v_cmp_le_u32_e64 s[4:5], s10, v61
	v_cndmask_b32_e64 v61, 0, -1, s[4:5]
	v_cmp_eq_u32_e64 s[4:5], s11, v60
	v_cndmask_b32_e64 v60, v88, v61, s[4:5]
	v_add_co_u32_e64 v61, s[4:5], 2, v56
	v_subb_co_u32_e32 v55, vcc, v59, v55, vcc
	v_addc_co_u32_e64 v88, s[4:5], 0, v57, s[4:5]
	v_cmp_le_u32_e32 vcc, s11, v55
	v_add_co_u32_e64 v89, s[4:5], 1, v56
	v_cndmask_b32_e64 v59, 0, -1, vcc
	v_cmp_le_u32_e32 vcc, s10, v54
	v_addc_co_u32_e64 v90, s[4:5], 0, v57, s[4:5]
	v_cndmask_b32_e64 v54, 0, -1, vcc
	v_cmp_eq_u32_e32 vcc, s11, v55
	v_cmp_ne_u32_e64 s[4:5], 0, v60
	v_cndmask_b32_e32 v54, v59, v54, vcc
	v_cndmask_b32_e64 v60, v90, v88, s[4:5]
	v_cmp_ne_u32_e32 vcc, 0, v54
	v_cndmask_b32_e64 v55, v89, v61, s[4:5]
	v_cndmask_b32_e32 v54, v57, v60, vcc
	v_cndmask_b32_e32 v55, v56, v55, vcc
	v_xor_b32_e32 v56, s8, v58
	v_xor_b32_e32 v57, v54, v56
	;; [unrolled: 1-line block ×3, first 2 shown]
	v_sub_co_u32_e32 v54, vcc, v54, v56
	v_subb_co_u32_e32 v55, vcc, v57, v56, vcc
.LBB1164_111:
	s_andn2_saveexec_b64 s[4:5], s[6:7]
	s_cbranch_execz .LBB1164_113
; %bb.112:
	v_rcp_iflag_f32_e32 v54, v66
	s_sub_i32 s6, 0, s44
	v_mul_f32_e32 v54, 0x4f7ffffe, v54
	v_cvt_u32_f32_e32 v54, v54
	v_mul_lo_u32 v55, s6, v54
	v_mul_hi_u32 v55, v54, v55
	v_add_u32_e32 v54, v54, v55
	v_mul_hi_u32 v54, v86, v54
	v_mul_lo_u32 v55, v54, s44
	v_sub_u32_e32 v55, v86, v55
	v_add_u32_e32 v56, 1, v54
	v_subrev_u32_e32 v57, s44, v55
	v_cmp_le_u32_e32 vcc, s44, v55
	v_cndmask_b32_e32 v55, v55, v57, vcc
	v_cndmask_b32_e32 v54, v54, v56, vcc
	v_add_u32_e32 v56, 1, v54
	v_cmp_le_u32_e32 vcc, s44, v55
	v_cndmask_b32_e32 v54, v54, v56, vcc
	v_mov_b32_e32 v55, 0
.LBB1164_113:
	s_or_b64 exec, exec, s[4:5]
	v_add_co_u32_e32 v88, vcc, 0xc00, v30
	v_addc_co_u32_e32 v89, vcc, 0, v1, vcc
	v_or_b32_e32 v57, s45, v89
	v_mov_b32_e32 v56, 0
	v_cmp_ne_u64_e32 vcc, 0, v[56:57]
                                        ; implicit-def: $vgpr56_vgpr57
	s_and_saveexec_b64 s[4:5], vcc
	s_xor_b64 s[6:7], exec, s[4:5]
	s_cbranch_execz .LBB1164_115
; %bb.114:
	s_ashr_i32 s8, s45, 31
	s_add_u32 s4, s44, s8
	s_mov_b32 s9, s8
	s_addc_u32 s5, s45, s8
	s_xor_b64 s[10:11], s[4:5], s[8:9]
	v_cvt_f32_u32_e32 v56, s10
	v_cvt_f32_u32_e32 v57, s11
	s_sub_u32 s4, 0, s10
	s_subb_u32 s5, 0, s11
	v_madmk_f32 v56, v57, 0x4f800000, v56
	v_rcp_f32_e32 v56, v56
	v_mul_f32_e32 v56, 0x5f7ffffc, v56
	v_mul_f32_e32 v57, 0x2f800000, v56
	v_trunc_f32_e32 v57, v57
	v_madmk_f32 v56, v57, 0xcf800000, v56
	v_cvt_u32_f32_e32 v57, v57
	v_cvt_u32_f32_e32 v56, v56
	v_mul_lo_u32 v58, s4, v57
	v_mul_hi_u32 v60, s4, v56
	v_mul_lo_u32 v59, s5, v56
	v_add_u32_e32 v58, v60, v58
	v_mul_lo_u32 v61, s4, v56
	v_add_u32_e32 v58, v58, v59
	v_mul_lo_u32 v60, v56, v58
	v_mul_hi_u32 v90, v56, v61
	v_mul_hi_u32 v59, v56, v58
	v_add_co_u32_e32 v60, vcc, v90, v60
	v_addc_co_u32_e32 v59, vcc, 0, v59, vcc
	v_mul_hi_u32 v91, v57, v61
	v_mul_lo_u32 v61, v57, v61
	v_add_co_u32_e32 v60, vcc, v60, v61
	v_mul_hi_u32 v90, v57, v58
	v_addc_co_u32_e32 v59, vcc, v59, v91, vcc
	v_addc_co_u32_e32 v60, vcc, 0, v90, vcc
	v_mul_lo_u32 v58, v57, v58
	v_add_co_u32_e32 v58, vcc, v59, v58
	v_addc_co_u32_e32 v59, vcc, 0, v60, vcc
	v_add_co_u32_e32 v56, vcc, v56, v58
	v_addc_co_u32_e32 v57, vcc, v57, v59, vcc
	v_mul_lo_u32 v58, s4, v57
	v_mul_hi_u32 v59, s4, v56
	v_add_u32_e32 v58, v59, v58
	v_mul_lo_u32 v59, s5, v56
	v_add_u32_e32 v58, v58, v59
	v_mul_lo_u32 v60, s4, v56
	v_mul_hi_u32 v61, v57, v60
	v_mul_lo_u32 v90, v57, v60
	v_mul_lo_u32 v92, v56, v58
	v_mul_hi_u32 v60, v56, v60
	v_mul_hi_u32 v91, v56, v58
	v_add_co_u32_e32 v60, vcc, v60, v92
	v_addc_co_u32_e32 v91, vcc, 0, v91, vcc
	v_add_co_u32_e32 v60, vcc, v60, v90
	v_mul_hi_u32 v59, v57, v58
	v_addc_co_u32_e32 v60, vcc, v91, v61, vcc
	v_addc_co_u32_e32 v59, vcc, 0, v59, vcc
	v_mul_lo_u32 v58, v57, v58
	v_add_co_u32_e32 v58, vcc, v60, v58
	v_addc_co_u32_e32 v59, vcc, 0, v59, vcc
	v_add_co_u32_e32 v58, vcc, v56, v58
	v_addc_co_u32_e32 v59, vcc, v57, v59, vcc
	v_ashrrev_i32_e32 v60, 31, v89
	v_add_co_u32_e32 v56, vcc, v88, v60
	v_addc_co_u32_e32 v57, vcc, v89, v60, vcc
	v_xor_b32_e32 v90, v56, v60
	v_xor_b32_e32 v61, v57, v60
	v_mad_u64_u32 v[56:57], s[4:5], v90, v59, 0
	v_mul_hi_u32 v91, v90, v58
	v_add_co_u32_e32 v91, vcc, v91, v56
	v_addc_co_u32_e32 v92, vcc, 0, v57, vcc
	v_mad_u64_u32 v[56:57], s[4:5], v61, v59, 0
	v_mad_u64_u32 v[58:59], s[4:5], v61, v58, 0
	v_add_co_u32_e32 v58, vcc, v91, v58
	v_addc_co_u32_e32 v58, vcc, v92, v59, vcc
	v_addc_co_u32_e32 v57, vcc, 0, v57, vcc
	v_add_co_u32_e32 v58, vcc, v58, v56
	v_addc_co_u32_e32 v59, vcc, 0, v57, vcc
	v_mul_lo_u32 v91, s11, v58
	v_mul_lo_u32 v92, s10, v59
	v_mad_u64_u32 v[56:57], s[4:5], s10, v58, 0
	v_add3_u32 v57, v57, v92, v91
	v_sub_u32_e32 v91, v61, v57
	v_mov_b32_e32 v92, s11
	v_sub_co_u32_e32 v56, vcc, v90, v56
	v_subb_co_u32_e64 v90, s[4:5], v91, v92, vcc
	v_subrev_co_u32_e64 v91, s[4:5], s10, v56
	v_subbrev_co_u32_e64 v90, s[4:5], 0, v90, s[4:5]
	v_cmp_le_u32_e64 s[4:5], s11, v90
	v_cndmask_b32_e64 v92, 0, -1, s[4:5]
	v_cmp_le_u32_e64 s[4:5], s10, v91
	v_cndmask_b32_e64 v91, 0, -1, s[4:5]
	v_cmp_eq_u32_e64 s[4:5], s11, v90
	v_cndmask_b32_e64 v90, v92, v91, s[4:5]
	v_add_co_u32_e64 v91, s[4:5], 2, v58
	v_subb_co_u32_e32 v57, vcc, v61, v57, vcc
	v_addc_co_u32_e64 v92, s[4:5], 0, v59, s[4:5]
	v_cmp_le_u32_e32 vcc, s11, v57
	v_add_co_u32_e64 v93, s[4:5], 1, v58
	v_cndmask_b32_e64 v61, 0, -1, vcc
	v_cmp_le_u32_e32 vcc, s10, v56
	v_addc_co_u32_e64 v94, s[4:5], 0, v59, s[4:5]
	v_cndmask_b32_e64 v56, 0, -1, vcc
	v_cmp_eq_u32_e32 vcc, s11, v57
	v_cmp_ne_u32_e64 s[4:5], 0, v90
	v_cndmask_b32_e32 v56, v61, v56, vcc
	v_cndmask_b32_e64 v90, v94, v92, s[4:5]
	v_cmp_ne_u32_e32 vcc, 0, v56
	v_cndmask_b32_e64 v57, v93, v91, s[4:5]
	v_cndmask_b32_e32 v56, v59, v90, vcc
	v_cndmask_b32_e32 v57, v58, v57, vcc
	v_xor_b32_e32 v58, s8, v60
	v_xor_b32_e32 v59, v56, v58
	;; [unrolled: 1-line block ×3, first 2 shown]
	v_sub_co_u32_e32 v56, vcc, v56, v58
	v_subb_co_u32_e32 v57, vcc, v59, v58, vcc
.LBB1164_115:
	s_andn2_saveexec_b64 s[4:5], s[6:7]
	s_cbranch_execz .LBB1164_117
; %bb.116:
	v_rcp_iflag_f32_e32 v56, v66
	s_sub_i32 s6, 0, s44
	v_mul_f32_e32 v56, 0x4f7ffffe, v56
	v_cvt_u32_f32_e32 v56, v56
	v_mul_lo_u32 v57, s6, v56
	v_mul_hi_u32 v57, v56, v57
	v_add_u32_e32 v56, v56, v57
	v_mul_hi_u32 v56, v88, v56
	v_mul_lo_u32 v57, v56, s44
	v_sub_u32_e32 v57, v88, v57
	v_add_u32_e32 v58, 1, v56
	v_subrev_u32_e32 v59, s44, v57
	v_cmp_le_u32_e32 vcc, s44, v57
	v_cndmask_b32_e32 v57, v57, v59, vcc
	v_cndmask_b32_e32 v56, v56, v58, vcc
	v_add_u32_e32 v58, 1, v56
	v_cmp_le_u32_e32 vcc, s44, v57
	v_cndmask_b32_e32 v56, v56, v58, vcc
	v_mov_b32_e32 v57, 0
.LBB1164_117:
	s_or_b64 exec, exec, s[4:5]
	v_add_co_u32_e32 v92, vcc, 0xd00, v30
	v_addc_co_u32_e32 v93, vcc, 0, v1, vcc
	v_or_b32_e32 v59, s45, v93
	v_mov_b32_e32 v58, 0
	v_cmp_ne_u64_e32 vcc, 0, v[58:59]
                                        ; implicit-def: $vgpr60_vgpr61
	s_and_saveexec_b64 s[4:5], vcc
	s_xor_b64 s[6:7], exec, s[4:5]
	s_cbranch_execz .LBB1164_119
; %bb.118:
	s_ashr_i32 s8, s45, 31
	s_add_u32 s4, s44, s8
	s_mov_b32 s9, s8
	s_addc_u32 s5, s45, s8
	s_xor_b64 s[10:11], s[4:5], s[8:9]
	v_cvt_f32_u32_e32 v58, s10
	v_cvt_f32_u32_e32 v59, s11
	s_sub_u32 s4, 0, s10
	s_subb_u32 s5, 0, s11
	v_madmk_f32 v58, v59, 0x4f800000, v58
	v_rcp_f32_e32 v58, v58
	v_mul_f32_e32 v58, 0x5f7ffffc, v58
	v_mul_f32_e32 v59, 0x2f800000, v58
	v_trunc_f32_e32 v59, v59
	v_madmk_f32 v58, v59, 0xcf800000, v58
	v_cvt_u32_f32_e32 v59, v59
	v_cvt_u32_f32_e32 v58, v58
	v_mul_lo_u32 v60, s4, v59
	v_mul_hi_u32 v90, s4, v58
	v_mul_lo_u32 v61, s5, v58
	v_add_u32_e32 v60, v90, v60
	v_mul_lo_u32 v91, s4, v58
	v_add_u32_e32 v60, v60, v61
	v_mul_lo_u32 v90, v58, v60
	v_mul_hi_u32 v94, v58, v91
	v_mul_hi_u32 v61, v58, v60
	v_add_co_u32_e32 v90, vcc, v94, v90
	v_addc_co_u32_e32 v61, vcc, 0, v61, vcc
	v_mul_hi_u32 v95, v59, v91
	v_mul_lo_u32 v91, v59, v91
	v_add_co_u32_e32 v90, vcc, v90, v91
	v_mul_hi_u32 v94, v59, v60
	v_addc_co_u32_e32 v61, vcc, v61, v95, vcc
	v_addc_co_u32_e32 v90, vcc, 0, v94, vcc
	v_mul_lo_u32 v60, v59, v60
	v_add_co_u32_e32 v60, vcc, v61, v60
	v_addc_co_u32_e32 v61, vcc, 0, v90, vcc
	v_add_co_u32_e32 v58, vcc, v58, v60
	v_addc_co_u32_e32 v59, vcc, v59, v61, vcc
	v_mul_lo_u32 v60, s4, v59
	v_mul_hi_u32 v61, s4, v58
	v_add_u32_e32 v60, v61, v60
	v_mul_lo_u32 v61, s5, v58
	v_add_u32_e32 v60, v60, v61
	v_mul_lo_u32 v90, s4, v58
	v_mul_hi_u32 v91, v59, v90
	v_mul_lo_u32 v94, v59, v90
	v_mul_lo_u32 v96, v58, v60
	v_mul_hi_u32 v90, v58, v90
	v_mul_hi_u32 v95, v58, v60
	v_add_co_u32_e32 v90, vcc, v90, v96
	v_addc_co_u32_e32 v95, vcc, 0, v95, vcc
	v_add_co_u32_e32 v90, vcc, v90, v94
	v_mul_hi_u32 v61, v59, v60
	v_addc_co_u32_e32 v90, vcc, v95, v91, vcc
	v_addc_co_u32_e32 v61, vcc, 0, v61, vcc
	v_mul_lo_u32 v60, v59, v60
	v_add_co_u32_e32 v60, vcc, v90, v60
	v_addc_co_u32_e32 v61, vcc, 0, v61, vcc
	v_add_co_u32_e32 v60, vcc, v58, v60
	v_addc_co_u32_e32 v61, vcc, v59, v61, vcc
	v_ashrrev_i32_e32 v90, 31, v93
	v_add_co_u32_e32 v58, vcc, v92, v90
	v_addc_co_u32_e32 v59, vcc, v93, v90, vcc
	v_xor_b32_e32 v94, v58, v90
	v_xor_b32_e32 v91, v59, v90
	v_mad_u64_u32 v[58:59], s[4:5], v94, v61, 0
	v_mul_hi_u32 v95, v94, v60
	v_add_co_u32_e32 v95, vcc, v95, v58
	v_addc_co_u32_e32 v96, vcc, 0, v59, vcc
	v_mad_u64_u32 v[58:59], s[4:5], v91, v61, 0
	v_mad_u64_u32 v[60:61], s[4:5], v91, v60, 0
	v_add_co_u32_e32 v60, vcc, v95, v60
	v_addc_co_u32_e32 v60, vcc, v96, v61, vcc
	v_addc_co_u32_e32 v59, vcc, 0, v59, vcc
	v_add_co_u32_e32 v60, vcc, v60, v58
	v_addc_co_u32_e32 v61, vcc, 0, v59, vcc
	v_mul_lo_u32 v95, s11, v60
	v_mul_lo_u32 v96, s10, v61
	v_mad_u64_u32 v[58:59], s[4:5], s10, v60, 0
	v_add3_u32 v59, v59, v96, v95
	v_sub_u32_e32 v95, v91, v59
	v_mov_b32_e32 v96, s11
	v_sub_co_u32_e32 v58, vcc, v94, v58
	v_subb_co_u32_e64 v94, s[4:5], v95, v96, vcc
	v_subrev_co_u32_e64 v95, s[4:5], s10, v58
	v_subbrev_co_u32_e64 v94, s[4:5], 0, v94, s[4:5]
	v_cmp_le_u32_e64 s[4:5], s11, v94
	v_cndmask_b32_e64 v96, 0, -1, s[4:5]
	v_cmp_le_u32_e64 s[4:5], s10, v95
	v_cndmask_b32_e64 v95, 0, -1, s[4:5]
	v_cmp_eq_u32_e64 s[4:5], s11, v94
	v_cndmask_b32_e64 v94, v96, v95, s[4:5]
	v_add_co_u32_e64 v95, s[4:5], 2, v60
	v_subb_co_u32_e32 v59, vcc, v91, v59, vcc
	v_addc_co_u32_e64 v96, s[4:5], 0, v61, s[4:5]
	v_cmp_le_u32_e32 vcc, s11, v59
	v_add_co_u32_e64 v97, s[4:5], 1, v60
	v_cndmask_b32_e64 v91, 0, -1, vcc
	v_cmp_le_u32_e32 vcc, s10, v58
	v_addc_co_u32_e64 v98, s[4:5], 0, v61, s[4:5]
	v_cndmask_b32_e64 v58, 0, -1, vcc
	v_cmp_eq_u32_e32 vcc, s11, v59
	v_cmp_ne_u32_e64 s[4:5], 0, v94
	v_cndmask_b32_e32 v58, v91, v58, vcc
	v_cndmask_b32_e64 v94, v98, v96, s[4:5]
	v_cmp_ne_u32_e32 vcc, 0, v58
	v_cndmask_b32_e64 v59, v97, v95, s[4:5]
	v_cndmask_b32_e32 v58, v61, v94, vcc
	v_cndmask_b32_e32 v59, v60, v59, vcc
	v_xor_b32_e32 v61, s8, v90
	v_xor_b32_e32 v59, v59, v61
	v_xor_b32_e32 v58, v58, v61
	v_sub_co_u32_e32 v60, vcc, v59, v61
	v_subb_co_u32_e32 v61, vcc, v58, v61, vcc
.LBB1164_119:
	s_andn2_saveexec_b64 s[4:5], s[6:7]
	s_cbranch_execz .LBB1164_121
; %bb.120:
	v_rcp_iflag_f32_e32 v58, v66
	s_sub_i32 s6, 0, s44
	v_mul_f32_e32 v58, 0x4f7ffffe, v58
	v_cvt_u32_f32_e32 v58, v58
	v_mul_lo_u32 v59, s6, v58
	v_mul_hi_u32 v59, v58, v59
	v_add_u32_e32 v58, v58, v59
	v_mul_hi_u32 v58, v92, v58
	v_mul_lo_u32 v59, v58, s44
	v_sub_u32_e32 v59, v92, v59
	v_add_u32_e32 v60, 1, v58
	v_subrev_u32_e32 v61, s44, v59
	v_cmp_le_u32_e32 vcc, s44, v59
	v_cndmask_b32_e32 v59, v59, v61, vcc
	v_cndmask_b32_e32 v58, v58, v60, vcc
	v_add_u32_e32 v60, 1, v58
	v_cmp_le_u32_e32 vcc, s44, v59
	v_cndmask_b32_e32 v60, v58, v60, vcc
	v_mov_b32_e32 v61, 0
.LBB1164_121:
	s_or_b64 exec, exec, s[4:5]
	v_add_co_u32_e32 v90, vcc, 0xe00, v30
	v_addc_co_u32_e32 v91, vcc, 0, v1, vcc
	v_or_b32_e32 v59, s45, v91
	v_mov_b32_e32 v58, 0
	v_cmp_ne_u64_e32 vcc, 0, v[58:59]
                                        ; implicit-def: $vgpr58_vgpr59
	s_and_saveexec_b64 s[4:5], vcc
	s_xor_b64 s[6:7], exec, s[4:5]
	s_cbranch_execz .LBB1164_123
; %bb.122:
	s_ashr_i32 s8, s45, 31
	s_add_u32 s4, s44, s8
	s_mov_b32 s9, s8
	s_addc_u32 s5, s45, s8
	s_xor_b64 s[10:11], s[4:5], s[8:9]
	v_cvt_f32_u32_e32 v58, s10
	v_cvt_f32_u32_e32 v59, s11
	s_sub_u32 s4, 0, s10
	s_subb_u32 s5, 0, s11
	v_madmk_f32 v58, v59, 0x4f800000, v58
	v_rcp_f32_e32 v58, v58
	v_mul_f32_e32 v58, 0x5f7ffffc, v58
	v_mul_f32_e32 v59, 0x2f800000, v58
	v_trunc_f32_e32 v59, v59
	v_madmk_f32 v58, v59, 0xcf800000, v58
	v_cvt_u32_f32_e32 v59, v59
	v_cvt_u32_f32_e32 v58, v58
	v_mul_lo_u32 v66, s4, v59
	v_mul_hi_u32 v95, s4, v58
	v_mul_lo_u32 v94, s5, v58
	v_add_u32_e32 v66, v95, v66
	v_mul_lo_u32 v96, s4, v58
	v_add_u32_e32 v66, v66, v94
	v_mul_lo_u32 v95, v58, v66
	v_mul_hi_u32 v97, v58, v96
	v_mul_hi_u32 v94, v58, v66
	v_add_co_u32_e32 v95, vcc, v97, v95
	v_addc_co_u32_e32 v94, vcc, 0, v94, vcc
	v_mul_hi_u32 v98, v59, v96
	v_mul_lo_u32 v96, v59, v96
	v_add_co_u32_e32 v95, vcc, v95, v96
	v_mul_hi_u32 v97, v59, v66
	v_addc_co_u32_e32 v94, vcc, v94, v98, vcc
	v_addc_co_u32_e32 v95, vcc, 0, v97, vcc
	v_mul_lo_u32 v66, v59, v66
	v_add_co_u32_e32 v66, vcc, v94, v66
	v_addc_co_u32_e32 v94, vcc, 0, v95, vcc
	v_add_co_u32_e32 v58, vcc, v58, v66
	v_addc_co_u32_e32 v59, vcc, v59, v94, vcc
	v_mul_lo_u32 v66, s4, v59
	v_mul_hi_u32 v94, s4, v58
	v_add_u32_e32 v66, v94, v66
	v_mul_lo_u32 v94, s5, v58
	v_add_u32_e32 v66, v66, v94
	v_mul_lo_u32 v95, s4, v58
	v_mul_hi_u32 v96, v59, v95
	v_mul_lo_u32 v97, v59, v95
	v_mul_lo_u32 v99, v58, v66
	v_mul_hi_u32 v95, v58, v95
	v_mul_hi_u32 v98, v58, v66
	v_add_co_u32_e32 v95, vcc, v95, v99
	v_addc_co_u32_e32 v98, vcc, 0, v98, vcc
	v_add_co_u32_e32 v95, vcc, v95, v97
	v_mul_hi_u32 v94, v59, v66
	v_addc_co_u32_e32 v95, vcc, v98, v96, vcc
	v_addc_co_u32_e32 v94, vcc, 0, v94, vcc
	v_mul_lo_u32 v66, v59, v66
	v_add_co_u32_e32 v66, vcc, v95, v66
	v_addc_co_u32_e32 v94, vcc, 0, v94, vcc
	v_add_co_u32_e32 v66, vcc, v58, v66
	v_addc_co_u32_e32 v94, vcc, v59, v94, vcc
	v_ashrrev_i32_e32 v96, 31, v91
	v_add_co_u32_e32 v58, vcc, v90, v96
	v_addc_co_u32_e32 v59, vcc, v91, v96, vcc
	v_xor_b32_e32 v98, v58, v96
	v_xor_b32_e32 v97, v59, v96
	v_mad_u64_u32 v[58:59], s[4:5], v98, v94, 0
	v_mul_hi_u32 v95, v98, v66
	v_add_co_u32_e32 v99, vcc, v95, v58
	v_addc_co_u32_e32 v100, vcc, 0, v59, vcc
	v_mad_u64_u32 v[58:59], s[4:5], v97, v94, 0
	v_mad_u64_u32 v[94:95], s[4:5], v97, v66, 0
	v_add_co_u32_e32 v66, vcc, v99, v94
	v_addc_co_u32_e32 v66, vcc, v100, v95, vcc
	v_addc_co_u32_e32 v59, vcc, 0, v59, vcc
	v_add_co_u32_e32 v66, vcc, v66, v58
	v_addc_co_u32_e32 v94, vcc, 0, v59, vcc
	v_mul_lo_u32 v95, s11, v66
	v_mul_lo_u32 v99, s10, v94
	v_mad_u64_u32 v[58:59], s[4:5], s10, v66, 0
	v_add3_u32 v59, v59, v99, v95
	v_sub_u32_e32 v95, v97, v59
	v_mov_b32_e32 v99, s11
	v_sub_co_u32_e32 v58, vcc, v98, v58
	v_subb_co_u32_e64 v95, s[4:5], v95, v99, vcc
	v_subrev_co_u32_e64 v98, s[4:5], s10, v58
	v_subbrev_co_u32_e64 v95, s[4:5], 0, v95, s[4:5]
	v_cmp_le_u32_e64 s[4:5], s11, v95
	v_cndmask_b32_e64 v99, 0, -1, s[4:5]
	v_cmp_le_u32_e64 s[4:5], s10, v98
	v_cndmask_b32_e64 v98, 0, -1, s[4:5]
	v_cmp_eq_u32_e64 s[4:5], s11, v95
	v_cndmask_b32_e64 v95, v99, v98, s[4:5]
	v_add_co_u32_e64 v98, s[4:5], 2, v66
	v_subb_co_u32_e32 v59, vcc, v97, v59, vcc
	v_addc_co_u32_e64 v99, s[4:5], 0, v94, s[4:5]
	v_cmp_le_u32_e32 vcc, s11, v59
	v_add_co_u32_e64 v100, s[4:5], 1, v66
	v_cndmask_b32_e64 v97, 0, -1, vcc
	v_cmp_le_u32_e32 vcc, s10, v58
	v_addc_co_u32_e64 v101, s[4:5], 0, v94, s[4:5]
	v_cndmask_b32_e64 v58, 0, -1, vcc
	v_cmp_eq_u32_e32 vcc, s11, v59
	v_cmp_ne_u32_e64 s[4:5], 0, v95
	v_cndmask_b32_e32 v58, v97, v58, vcc
	v_cndmask_b32_e64 v95, v101, v99, s[4:5]
	v_cmp_ne_u32_e32 vcc, 0, v58
	v_cndmask_b32_e64 v59, v100, v98, s[4:5]
	v_cndmask_b32_e32 v58, v94, v95, vcc
	v_cndmask_b32_e32 v59, v66, v59, vcc
	v_xor_b32_e32 v66, s8, v96
	v_xor_b32_e32 v94, v58, v66
	;; [unrolled: 1-line block ×3, first 2 shown]
	v_sub_co_u32_e32 v58, vcc, v58, v66
	v_subb_co_u32_e32 v59, vcc, v94, v66, vcc
                                        ; implicit-def: $vgpr66
.LBB1164_123:
	s_andn2_saveexec_b64 s[4:5], s[6:7]
	s_cbranch_execz .LBB1164_125
; %bb.124:
	v_rcp_iflag_f32_e32 v58, v66
	s_sub_i32 s6, 0, s44
	v_mul_f32_e32 v58, 0x4f7ffffe, v58
	v_cvt_u32_f32_e32 v58, v58
	v_mul_lo_u32 v59, s6, v58
	v_mul_hi_u32 v59, v58, v59
	v_add_u32_e32 v58, v58, v59
	v_mul_hi_u32 v58, v90, v58
	v_mul_lo_u32 v59, v58, s44
	v_sub_u32_e32 v59, v90, v59
	v_add_u32_e32 v66, 1, v58
	v_subrev_u32_e32 v94, s44, v59
	v_cmp_le_u32_e32 vcc, s44, v59
	v_cndmask_b32_e32 v59, v59, v94, vcc
	v_cndmask_b32_e32 v58, v58, v66, vcc
	v_add_u32_e32 v66, 1, v58
	v_cmp_le_u32_e32 vcc, s44, v59
	v_cndmask_b32_e32 v58, v58, v66, vcc
	v_mov_b32_e32 v59, 0
.LBB1164_125:
	s_or_b64 exec, exec, s[4:5]
	v_mul_lo_u32 v66, v61, s44
	v_mul_lo_u32 v96, v60, s45
	v_mad_u64_u32 v[94:95], s[4:5], v60, s44, 0
	v_add3_u32 v66, v95, v96, v66
	v_sub_co_u32_e32 v92, vcc, v92, v94
	v_subb_co_u32_e32 v66, vcc, v93, v66, vcc
	v_add_co_u32_e32 v60, vcc, v60, v92
	v_addc_co_u32_e32 v61, vcc, v61, v66, vcc
	v_mul_lo_u32 v66, v57, s44
	v_mul_lo_u32 v94, v56, s45
	v_mad_u64_u32 v[92:93], s[4:5], v56, s44, 0
	v_add3_u32 v66, v93, v94, v66
	v_sub_co_u32_e32 v88, vcc, v88, v92
	v_subb_co_u32_e32 v66, vcc, v89, v66, vcc
	v_add_co_u32_e32 v56, vcc, v56, v88
	v_addc_co_u32_e32 v57, vcc, v57, v66, vcc
	;; [unrolled: 8-line block ×15, first 2 shown]
	ds_write2st64_b64 v62, v[30:31], v[34:35] offset1:4
	ds_write2st64_b64 v62, v[36:37], v[38:39] offset0:8 offset1:12
	ds_write2st64_b64 v62, v[40:41], v[42:43] offset0:16 offset1:20
	;; [unrolled: 1-line block ×6, first 2 shown]
	ds_write_b64 v62, v[32:33] offset:28672
	v_mov_b32_e32 v58, v26
	v_mov_b32_e32 v59, v27
	;; [unrolled: 1-line block ×14, first 2 shown]
	s_waitcnt lgkmcnt(0)
	s_barrier
	s_add_i32 s80, s80, s64
	s_branch .LBB1164_308
.LBB1164_126:
                                        ; implicit-def: $vgpr74_vgpr75
                                        ; implicit-def: $vgpr2_vgpr3
                                        ; implicit-def: $vgpr6_vgpr7
                                        ; implicit-def: $vgpr10_vgpr11
                                        ; implicit-def: $vgpr14_vgpr15
                                        ; implicit-def: $vgpr18_vgpr19
                                        ; implicit-def: $vgpr22_vgpr23
                                        ; implicit-def: $vgpr26_vgpr27
                                        ; implicit-def: $vgpr76
                                        ; implicit-def: $vgpr66_vgpr67_vgpr68_vgpr69
                                        ; implicit-def: $vgpr62_vgpr63_vgpr64_vgpr65
                                        ; implicit-def: $vgpr58_vgpr59_vgpr60_vgpr61
                                        ; implicit-def: $vgpr70_vgpr71_vgpr72_vgpr73
	s_add_i32 s80, s80, s64
	s_and_b64 vcc, exec, s[4:5]
	s_cbranch_vccz .LBB1164_308
; %bb.127:
	v_cmp_gt_u32_e64 s[34:35], s80, v0
                                        ; implicit-def: $vgpr2_vgpr3
	s_and_saveexec_b64 s[6:7], s[34:35]
	s_cbranch_execz .LBB1164_133
; %bb.128:
	v_mov_b32_e32 v3, s77
	v_add_co_u32_e32 v1, vcc, s76, v0
	v_addc_co_u32_e32 v4, vcc, 0, v3, vcc
	v_mov_b32_e32 v2, 0
	v_or_b32_e32 v3, s39, v4
	v_cmp_ne_u64_e32 vcc, 0, v[2:3]
                                        ; implicit-def: $vgpr2_vgpr3
	s_and_saveexec_b64 s[4:5], vcc
	s_xor_b64 s[8:9], exec, s[4:5]
	s_cbranch_execz .LBB1164_130
; %bb.129:
	s_ashr_i32 s10, s39, 31
	s_add_u32 s4, s38, s10
	s_mov_b32 s11, s10
	s_addc_u32 s5, s39, s10
	s_xor_b64 s[12:13], s[4:5], s[10:11]
	v_cvt_f32_u32_e32 v2, s12
	v_cvt_f32_u32_e32 v3, s13
	s_sub_u32 s4, 0, s12
	s_subb_u32 s5, 0, s13
	v_madmk_f32 v2, v3, 0x4f800000, v2
	v_rcp_f32_e32 v2, v2
	v_mul_f32_e32 v2, 0x5f7ffffc, v2
	v_mul_f32_e32 v3, 0x2f800000, v2
	v_trunc_f32_e32 v3, v3
	v_madmk_f32 v2, v3, 0xcf800000, v2
	v_cvt_u32_f32_e32 v3, v3
	v_cvt_u32_f32_e32 v2, v2
	v_mul_lo_u32 v5, s4, v3
	v_mul_hi_u32 v7, s4, v2
	v_mul_lo_u32 v6, s5, v2
	v_add_u32_e32 v5, v7, v5
	v_mul_lo_u32 v8, s4, v2
	v_add_u32_e32 v5, v5, v6
	v_mul_lo_u32 v7, v2, v5
	v_mul_hi_u32 v9, v2, v8
	v_mul_hi_u32 v6, v2, v5
	v_add_co_u32_e32 v7, vcc, v9, v7
	v_addc_co_u32_e32 v6, vcc, 0, v6, vcc
	v_mul_hi_u32 v10, v3, v8
	v_mul_lo_u32 v8, v3, v8
	v_add_co_u32_e32 v7, vcc, v7, v8
	v_mul_hi_u32 v9, v3, v5
	v_addc_co_u32_e32 v6, vcc, v6, v10, vcc
	v_addc_co_u32_e32 v7, vcc, 0, v9, vcc
	v_mul_lo_u32 v5, v3, v5
	v_add_co_u32_e32 v5, vcc, v6, v5
	v_addc_co_u32_e32 v6, vcc, 0, v7, vcc
	v_add_co_u32_e32 v2, vcc, v2, v5
	v_addc_co_u32_e32 v3, vcc, v3, v6, vcc
	v_mul_lo_u32 v5, s4, v3
	v_mul_hi_u32 v6, s4, v2
	v_add_u32_e32 v5, v6, v5
	v_mul_lo_u32 v6, s5, v2
	v_add_u32_e32 v5, v5, v6
	v_mul_lo_u32 v7, s4, v2
	v_mul_hi_u32 v8, v3, v7
	v_mul_lo_u32 v9, v3, v7
	v_mul_lo_u32 v11, v2, v5
	v_mul_hi_u32 v7, v2, v7
	v_mul_hi_u32 v10, v2, v5
	v_add_co_u32_e32 v7, vcc, v7, v11
	v_addc_co_u32_e32 v10, vcc, 0, v10, vcc
	v_add_co_u32_e32 v7, vcc, v7, v9
	v_mul_hi_u32 v6, v3, v5
	v_addc_co_u32_e32 v7, vcc, v10, v8, vcc
	v_addc_co_u32_e32 v6, vcc, 0, v6, vcc
	v_mul_lo_u32 v5, v3, v5
	v_add_co_u32_e32 v5, vcc, v7, v5
	v_addc_co_u32_e32 v6, vcc, 0, v6, vcc
	v_add_co_u32_e32 v5, vcc, v2, v5
	v_addc_co_u32_e32 v6, vcc, v3, v6, vcc
	v_ashrrev_i32_e32 v7, 31, v4
	v_add_co_u32_e32 v1, vcc, v1, v7
	v_addc_co_u32_e32 v2, vcc, v4, v7, vcc
	v_xor_b32_e32 v1, v1, v7
	v_xor_b32_e32 v8, v2, v7
	v_mad_u64_u32 v[2:3], s[4:5], v1, v6, 0
	v_mul_hi_u32 v4, v1, v5
	v_add_co_u32_e32 v9, vcc, v4, v2
	v_addc_co_u32_e32 v10, vcc, 0, v3, vcc
	v_mad_u64_u32 v[4:5], s[4:5], v8, v5, 0
	v_add_co_u32_e32 v4, vcc, v9, v4
	v_mad_u64_u32 v[2:3], s[4:5], v8, v6, 0
	v_addc_co_u32_e32 v4, vcc, v10, v5, vcc
	v_addc_co_u32_e32 v3, vcc, 0, v3, vcc
	v_add_co_u32_e32 v4, vcc, v4, v2
	v_addc_co_u32_e32 v5, vcc, 0, v3, vcc
	v_mul_lo_u32 v6, s13, v4
	v_mul_lo_u32 v9, s12, v5
	v_mad_u64_u32 v[2:3], s[4:5], s12, v4, 0
	v_add3_u32 v3, v3, v9, v6
	v_sub_u32_e32 v6, v8, v3
	v_mov_b32_e32 v9, s13
	v_sub_co_u32_e32 v1, vcc, v1, v2
	v_subb_co_u32_e64 v2, s[4:5], v6, v9, vcc
	v_subrev_co_u32_e64 v6, s[4:5], s12, v1
	v_subbrev_co_u32_e64 v2, s[4:5], 0, v2, s[4:5]
	v_cmp_le_u32_e64 s[4:5], s13, v2
	v_cndmask_b32_e64 v9, 0, -1, s[4:5]
	v_cmp_le_u32_e64 s[4:5], s12, v6
	v_cndmask_b32_e64 v6, 0, -1, s[4:5]
	v_cmp_eq_u32_e64 s[4:5], s13, v2
	v_cndmask_b32_e64 v2, v9, v6, s[4:5]
	v_add_co_u32_e64 v6, s[4:5], 2, v4
	v_subb_co_u32_e32 v3, vcc, v8, v3, vcc
	v_addc_co_u32_e64 v9, s[4:5], 0, v5, s[4:5]
	v_cmp_le_u32_e32 vcc, s13, v3
	v_add_co_u32_e64 v10, s[4:5], 1, v4
	v_cndmask_b32_e64 v8, 0, -1, vcc
	v_cmp_le_u32_e32 vcc, s12, v1
	v_addc_co_u32_e64 v11, s[4:5], 0, v5, s[4:5]
	v_cndmask_b32_e64 v1, 0, -1, vcc
	v_cmp_eq_u32_e32 vcc, s13, v3
	v_cmp_ne_u32_e64 s[4:5], 0, v2
	v_cndmask_b32_e32 v1, v8, v1, vcc
	v_cndmask_b32_e64 v2, v11, v9, s[4:5]
	v_cmp_ne_u32_e32 vcc, 0, v1
	v_cndmask_b32_e32 v1, v5, v2, vcc
	v_cndmask_b32_e64 v2, v10, v6, s[4:5]
	v_cndmask_b32_e32 v2, v4, v2, vcc
	v_xor_b32_e32 v3, s10, v7
	v_xor_b32_e32 v2, v2, v3
	;; [unrolled: 1-line block ×3, first 2 shown]
	v_sub_co_u32_e32 v2, vcc, v2, v3
	v_subb_co_u32_e32 v3, vcc, v1, v3, vcc
                                        ; implicit-def: $vgpr1
.LBB1164_130:
	s_andn2_saveexec_b64 s[4:5], s[8:9]
	s_cbranch_execz .LBB1164_132
; %bb.131:
	v_cvt_f32_u32_e32 v2, s38
	s_sub_i32 s8, 0, s38
	v_rcp_iflag_f32_e32 v2, v2
	v_mul_f32_e32 v2, 0x4f7ffffe, v2
	v_cvt_u32_f32_e32 v2, v2
	v_mul_lo_u32 v3, s8, v2
	v_mul_hi_u32 v3, v2, v3
	v_add_u32_e32 v2, v2, v3
	v_mul_hi_u32 v2, v1, v2
	v_mul_lo_u32 v3, v2, s38
	v_sub_u32_e32 v1, v1, v3
	v_add_u32_e32 v4, 1, v2
	v_subrev_u32_e32 v3, s38, v1
	v_cmp_le_u32_e32 vcc, s38, v1
	v_cndmask_b32_e32 v1, v1, v3, vcc
	v_cndmask_b32_e32 v2, v2, v4, vcc
	v_add_u32_e32 v3, 1, v2
	v_cmp_le_u32_e32 vcc, s38, v1
	v_cndmask_b32_e32 v2, v2, v3, vcc
	v_mov_b32_e32 v3, 0
.LBB1164_132:
	s_or_b64 exec, exec, s[4:5]
.LBB1164_133:
	s_or_b64 exec, exec, s[6:7]
	v_or_b32_e32 v34, 0x100, v0
	v_cmp_gt_u32_e64 s[30:31], s80, v34
                                        ; implicit-def: $vgpr4_vgpr5
	s_and_saveexec_b64 s[6:7], s[30:31]
	s_cbranch_execz .LBB1164_139
; %bb.134:
	v_mov_b32_e32 v5, s77
	v_add_co_u32_e32 v1, vcc, s76, v34
	v_addc_co_u32_e32 v6, vcc, 0, v5, vcc
	v_mov_b32_e32 v4, 0
	v_or_b32_e32 v5, s39, v6
	v_cmp_ne_u64_e32 vcc, 0, v[4:5]
                                        ; implicit-def: $vgpr4_vgpr5
	s_and_saveexec_b64 s[4:5], vcc
	s_xor_b64 s[8:9], exec, s[4:5]
	s_cbranch_execz .LBB1164_136
; %bb.135:
	s_ashr_i32 s10, s39, 31
	s_add_u32 s4, s38, s10
	s_mov_b32 s11, s10
	s_addc_u32 s5, s39, s10
	s_xor_b64 s[12:13], s[4:5], s[10:11]
	v_cvt_f32_u32_e32 v4, s12
	v_cvt_f32_u32_e32 v5, s13
	s_sub_u32 s4, 0, s12
	s_subb_u32 s5, 0, s13
	v_madmk_f32 v4, v5, 0x4f800000, v4
	v_rcp_f32_e32 v4, v4
	v_mul_f32_e32 v4, 0x5f7ffffc, v4
	v_mul_f32_e32 v5, 0x2f800000, v4
	v_trunc_f32_e32 v5, v5
	v_madmk_f32 v4, v5, 0xcf800000, v4
	v_cvt_u32_f32_e32 v5, v5
	v_cvt_u32_f32_e32 v4, v4
	v_mul_lo_u32 v7, s4, v5
	v_mul_hi_u32 v9, s4, v4
	v_mul_lo_u32 v8, s5, v4
	v_add_u32_e32 v7, v9, v7
	v_mul_lo_u32 v10, s4, v4
	v_add_u32_e32 v7, v7, v8
	v_mul_lo_u32 v9, v4, v7
	v_mul_hi_u32 v11, v4, v10
	v_mul_hi_u32 v8, v4, v7
	v_add_co_u32_e32 v9, vcc, v11, v9
	v_addc_co_u32_e32 v8, vcc, 0, v8, vcc
	v_mul_hi_u32 v12, v5, v10
	v_mul_lo_u32 v10, v5, v10
	v_add_co_u32_e32 v9, vcc, v9, v10
	v_mul_hi_u32 v11, v5, v7
	v_addc_co_u32_e32 v8, vcc, v8, v12, vcc
	v_addc_co_u32_e32 v9, vcc, 0, v11, vcc
	v_mul_lo_u32 v7, v5, v7
	v_add_co_u32_e32 v7, vcc, v8, v7
	v_addc_co_u32_e32 v8, vcc, 0, v9, vcc
	v_add_co_u32_e32 v4, vcc, v4, v7
	v_addc_co_u32_e32 v5, vcc, v5, v8, vcc
	v_mul_lo_u32 v7, s4, v5
	v_mul_hi_u32 v8, s4, v4
	v_add_u32_e32 v7, v8, v7
	v_mul_lo_u32 v8, s5, v4
	v_add_u32_e32 v7, v7, v8
	v_mul_lo_u32 v9, s4, v4
	v_mul_hi_u32 v10, v5, v9
	v_mul_lo_u32 v11, v5, v9
	v_mul_lo_u32 v13, v4, v7
	v_mul_hi_u32 v9, v4, v9
	v_mul_hi_u32 v12, v4, v7
	v_add_co_u32_e32 v9, vcc, v9, v13
	v_addc_co_u32_e32 v12, vcc, 0, v12, vcc
	v_add_co_u32_e32 v9, vcc, v9, v11
	v_mul_hi_u32 v8, v5, v7
	v_addc_co_u32_e32 v9, vcc, v12, v10, vcc
	v_addc_co_u32_e32 v8, vcc, 0, v8, vcc
	v_mul_lo_u32 v7, v5, v7
	v_add_co_u32_e32 v7, vcc, v9, v7
	v_addc_co_u32_e32 v8, vcc, 0, v8, vcc
	v_add_co_u32_e32 v7, vcc, v4, v7
	v_addc_co_u32_e32 v8, vcc, v5, v8, vcc
	v_ashrrev_i32_e32 v9, 31, v6
	v_add_co_u32_e32 v1, vcc, v1, v9
	v_addc_co_u32_e32 v4, vcc, v6, v9, vcc
	v_xor_b32_e32 v1, v1, v9
	v_xor_b32_e32 v10, v4, v9
	v_mad_u64_u32 v[4:5], s[4:5], v1, v8, 0
	v_mul_hi_u32 v6, v1, v7
	v_add_co_u32_e32 v11, vcc, v6, v4
	v_addc_co_u32_e32 v12, vcc, 0, v5, vcc
	v_mad_u64_u32 v[6:7], s[4:5], v10, v7, 0
	v_add_co_u32_e32 v6, vcc, v11, v6
	v_mad_u64_u32 v[4:5], s[4:5], v10, v8, 0
	v_addc_co_u32_e32 v6, vcc, v12, v7, vcc
	v_addc_co_u32_e32 v5, vcc, 0, v5, vcc
	v_add_co_u32_e32 v6, vcc, v6, v4
	v_addc_co_u32_e32 v7, vcc, 0, v5, vcc
	v_mul_lo_u32 v8, s13, v6
	v_mul_lo_u32 v11, s12, v7
	v_mad_u64_u32 v[4:5], s[4:5], s12, v6, 0
	v_add3_u32 v5, v5, v11, v8
	v_sub_u32_e32 v8, v10, v5
	v_mov_b32_e32 v11, s13
	v_sub_co_u32_e32 v1, vcc, v1, v4
	v_subb_co_u32_e64 v4, s[4:5], v8, v11, vcc
	v_subrev_co_u32_e64 v8, s[4:5], s12, v1
	v_subbrev_co_u32_e64 v4, s[4:5], 0, v4, s[4:5]
	v_cmp_le_u32_e64 s[4:5], s13, v4
	v_cndmask_b32_e64 v11, 0, -1, s[4:5]
	v_cmp_le_u32_e64 s[4:5], s12, v8
	v_cndmask_b32_e64 v8, 0, -1, s[4:5]
	v_cmp_eq_u32_e64 s[4:5], s13, v4
	v_cndmask_b32_e64 v4, v11, v8, s[4:5]
	v_add_co_u32_e64 v8, s[4:5], 2, v6
	v_subb_co_u32_e32 v5, vcc, v10, v5, vcc
	v_addc_co_u32_e64 v11, s[4:5], 0, v7, s[4:5]
	v_cmp_le_u32_e32 vcc, s13, v5
	v_add_co_u32_e64 v12, s[4:5], 1, v6
	v_cndmask_b32_e64 v10, 0, -1, vcc
	v_cmp_le_u32_e32 vcc, s12, v1
	v_addc_co_u32_e64 v13, s[4:5], 0, v7, s[4:5]
	v_cndmask_b32_e64 v1, 0, -1, vcc
	v_cmp_eq_u32_e32 vcc, s13, v5
	v_cmp_ne_u32_e64 s[4:5], 0, v4
	v_cndmask_b32_e32 v1, v10, v1, vcc
	v_cndmask_b32_e64 v4, v13, v11, s[4:5]
	v_cmp_ne_u32_e32 vcc, 0, v1
	v_cndmask_b32_e32 v1, v7, v4, vcc
	v_cndmask_b32_e64 v4, v12, v8, s[4:5]
	v_cndmask_b32_e32 v4, v6, v4, vcc
	v_xor_b32_e32 v5, s10, v9
	v_xor_b32_e32 v4, v4, v5
	;; [unrolled: 1-line block ×3, first 2 shown]
	v_sub_co_u32_e32 v4, vcc, v4, v5
	v_subb_co_u32_e32 v5, vcc, v1, v5, vcc
                                        ; implicit-def: $vgpr1
.LBB1164_136:
	s_andn2_saveexec_b64 s[4:5], s[8:9]
	s_cbranch_execz .LBB1164_138
; %bb.137:
	v_cvt_f32_u32_e32 v4, s38
	s_sub_i32 s8, 0, s38
	v_rcp_iflag_f32_e32 v4, v4
	v_mul_f32_e32 v4, 0x4f7ffffe, v4
	v_cvt_u32_f32_e32 v4, v4
	v_mul_lo_u32 v5, s8, v4
	v_mul_hi_u32 v5, v4, v5
	v_add_u32_e32 v4, v4, v5
	v_mul_hi_u32 v4, v1, v4
	v_mul_lo_u32 v5, v4, s38
	v_sub_u32_e32 v1, v1, v5
	v_add_u32_e32 v6, 1, v4
	v_subrev_u32_e32 v5, s38, v1
	v_cmp_le_u32_e32 vcc, s38, v1
	v_cndmask_b32_e32 v1, v1, v5, vcc
	v_cndmask_b32_e32 v4, v4, v6, vcc
	v_add_u32_e32 v5, 1, v4
	v_cmp_le_u32_e32 vcc, s38, v1
	v_cndmask_b32_e32 v4, v4, v5, vcc
	v_mov_b32_e32 v5, 0
.LBB1164_138:
	s_or_b64 exec, exec, s[4:5]
.LBB1164_139:
	s_or_b64 exec, exec, s[6:7]
	v_or_b32_e32 v36, 0x200, v0
	v_cmp_gt_u32_e64 s[28:29], s80, v36
                                        ; implicit-def: $vgpr6_vgpr7
	s_and_saveexec_b64 s[6:7], s[28:29]
	s_cbranch_execz .LBB1164_145
; %bb.140:
	v_mov_b32_e32 v7, s77
	v_add_co_u32_e32 v1, vcc, s76, v36
	v_addc_co_u32_e32 v8, vcc, 0, v7, vcc
	v_mov_b32_e32 v6, 0
	v_or_b32_e32 v7, s39, v8
	v_cmp_ne_u64_e32 vcc, 0, v[6:7]
                                        ; implicit-def: $vgpr6_vgpr7
	s_and_saveexec_b64 s[4:5], vcc
	s_xor_b64 s[8:9], exec, s[4:5]
	s_cbranch_execz .LBB1164_142
; %bb.141:
	s_ashr_i32 s10, s39, 31
	s_add_u32 s4, s38, s10
	s_mov_b32 s11, s10
	s_addc_u32 s5, s39, s10
	s_xor_b64 s[12:13], s[4:5], s[10:11]
	v_cvt_f32_u32_e32 v6, s12
	v_cvt_f32_u32_e32 v7, s13
	s_sub_u32 s4, 0, s12
	s_subb_u32 s5, 0, s13
	v_madmk_f32 v6, v7, 0x4f800000, v6
	v_rcp_f32_e32 v6, v6
	v_mul_f32_e32 v6, 0x5f7ffffc, v6
	v_mul_f32_e32 v7, 0x2f800000, v6
	v_trunc_f32_e32 v7, v7
	v_madmk_f32 v6, v7, 0xcf800000, v6
	v_cvt_u32_f32_e32 v7, v7
	v_cvt_u32_f32_e32 v6, v6
	v_mul_lo_u32 v9, s4, v7
	v_mul_hi_u32 v11, s4, v6
	v_mul_lo_u32 v10, s5, v6
	v_add_u32_e32 v9, v11, v9
	v_mul_lo_u32 v12, s4, v6
	v_add_u32_e32 v9, v9, v10
	v_mul_lo_u32 v11, v6, v9
	v_mul_hi_u32 v13, v6, v12
	v_mul_hi_u32 v10, v6, v9
	v_add_co_u32_e32 v11, vcc, v13, v11
	v_addc_co_u32_e32 v10, vcc, 0, v10, vcc
	v_mul_hi_u32 v14, v7, v12
	v_mul_lo_u32 v12, v7, v12
	v_add_co_u32_e32 v11, vcc, v11, v12
	v_mul_hi_u32 v13, v7, v9
	v_addc_co_u32_e32 v10, vcc, v10, v14, vcc
	v_addc_co_u32_e32 v11, vcc, 0, v13, vcc
	v_mul_lo_u32 v9, v7, v9
	v_add_co_u32_e32 v9, vcc, v10, v9
	v_addc_co_u32_e32 v10, vcc, 0, v11, vcc
	v_add_co_u32_e32 v6, vcc, v6, v9
	v_addc_co_u32_e32 v7, vcc, v7, v10, vcc
	v_mul_lo_u32 v9, s4, v7
	v_mul_hi_u32 v10, s4, v6
	v_add_u32_e32 v9, v10, v9
	v_mul_lo_u32 v10, s5, v6
	v_add_u32_e32 v9, v9, v10
	v_mul_lo_u32 v11, s4, v6
	v_mul_hi_u32 v12, v7, v11
	v_mul_lo_u32 v13, v7, v11
	v_mul_lo_u32 v15, v6, v9
	v_mul_hi_u32 v11, v6, v11
	v_mul_hi_u32 v14, v6, v9
	v_add_co_u32_e32 v11, vcc, v11, v15
	v_addc_co_u32_e32 v14, vcc, 0, v14, vcc
	v_add_co_u32_e32 v11, vcc, v11, v13
	v_mul_hi_u32 v10, v7, v9
	v_addc_co_u32_e32 v11, vcc, v14, v12, vcc
	v_addc_co_u32_e32 v10, vcc, 0, v10, vcc
	v_mul_lo_u32 v9, v7, v9
	v_add_co_u32_e32 v9, vcc, v11, v9
	v_addc_co_u32_e32 v10, vcc, 0, v10, vcc
	v_add_co_u32_e32 v9, vcc, v6, v9
	v_addc_co_u32_e32 v10, vcc, v7, v10, vcc
	v_ashrrev_i32_e32 v11, 31, v8
	v_add_co_u32_e32 v1, vcc, v1, v11
	v_addc_co_u32_e32 v6, vcc, v8, v11, vcc
	v_xor_b32_e32 v1, v1, v11
	v_xor_b32_e32 v12, v6, v11
	v_mad_u64_u32 v[6:7], s[4:5], v1, v10, 0
	v_mul_hi_u32 v8, v1, v9
	v_add_co_u32_e32 v13, vcc, v8, v6
	v_addc_co_u32_e32 v14, vcc, 0, v7, vcc
	v_mad_u64_u32 v[8:9], s[4:5], v12, v9, 0
	v_add_co_u32_e32 v8, vcc, v13, v8
	v_mad_u64_u32 v[6:7], s[4:5], v12, v10, 0
	v_addc_co_u32_e32 v8, vcc, v14, v9, vcc
	v_addc_co_u32_e32 v7, vcc, 0, v7, vcc
	v_add_co_u32_e32 v8, vcc, v8, v6
	v_addc_co_u32_e32 v9, vcc, 0, v7, vcc
	v_mul_lo_u32 v10, s13, v8
	v_mul_lo_u32 v13, s12, v9
	v_mad_u64_u32 v[6:7], s[4:5], s12, v8, 0
	v_add3_u32 v7, v7, v13, v10
	v_sub_u32_e32 v10, v12, v7
	v_mov_b32_e32 v13, s13
	v_sub_co_u32_e32 v1, vcc, v1, v6
	v_subb_co_u32_e64 v6, s[4:5], v10, v13, vcc
	v_subrev_co_u32_e64 v10, s[4:5], s12, v1
	v_subbrev_co_u32_e64 v6, s[4:5], 0, v6, s[4:5]
	v_cmp_le_u32_e64 s[4:5], s13, v6
	v_cndmask_b32_e64 v13, 0, -1, s[4:5]
	v_cmp_le_u32_e64 s[4:5], s12, v10
	v_cndmask_b32_e64 v10, 0, -1, s[4:5]
	v_cmp_eq_u32_e64 s[4:5], s13, v6
	v_cndmask_b32_e64 v6, v13, v10, s[4:5]
	v_add_co_u32_e64 v10, s[4:5], 2, v8
	v_subb_co_u32_e32 v7, vcc, v12, v7, vcc
	v_addc_co_u32_e64 v13, s[4:5], 0, v9, s[4:5]
	v_cmp_le_u32_e32 vcc, s13, v7
	v_add_co_u32_e64 v14, s[4:5], 1, v8
	v_cndmask_b32_e64 v12, 0, -1, vcc
	v_cmp_le_u32_e32 vcc, s12, v1
	v_addc_co_u32_e64 v15, s[4:5], 0, v9, s[4:5]
	v_cndmask_b32_e64 v1, 0, -1, vcc
	v_cmp_eq_u32_e32 vcc, s13, v7
	v_cmp_ne_u32_e64 s[4:5], 0, v6
	v_cndmask_b32_e32 v1, v12, v1, vcc
	v_cndmask_b32_e64 v6, v15, v13, s[4:5]
	v_cmp_ne_u32_e32 vcc, 0, v1
	v_cndmask_b32_e32 v1, v9, v6, vcc
	v_cndmask_b32_e64 v6, v14, v10, s[4:5]
	v_cndmask_b32_e32 v6, v8, v6, vcc
	v_xor_b32_e32 v7, s10, v11
	v_xor_b32_e32 v6, v6, v7
	;; [unrolled: 1-line block ×3, first 2 shown]
	v_sub_co_u32_e32 v6, vcc, v6, v7
	v_subb_co_u32_e32 v7, vcc, v1, v7, vcc
                                        ; implicit-def: $vgpr1
.LBB1164_142:
	s_andn2_saveexec_b64 s[4:5], s[8:9]
	s_cbranch_execz .LBB1164_144
; %bb.143:
	v_cvt_f32_u32_e32 v6, s38
	s_sub_i32 s8, 0, s38
	v_rcp_iflag_f32_e32 v6, v6
	v_mul_f32_e32 v6, 0x4f7ffffe, v6
	v_cvt_u32_f32_e32 v6, v6
	v_mul_lo_u32 v7, s8, v6
	v_mul_hi_u32 v7, v6, v7
	v_add_u32_e32 v6, v6, v7
	v_mul_hi_u32 v6, v1, v6
	v_mul_lo_u32 v7, v6, s38
	v_sub_u32_e32 v1, v1, v7
	v_add_u32_e32 v8, 1, v6
	v_subrev_u32_e32 v7, s38, v1
	v_cmp_le_u32_e32 vcc, s38, v1
	v_cndmask_b32_e32 v1, v1, v7, vcc
	v_cndmask_b32_e32 v6, v6, v8, vcc
	v_add_u32_e32 v7, 1, v6
	v_cmp_le_u32_e32 vcc, s38, v1
	v_cndmask_b32_e32 v6, v6, v7, vcc
	v_mov_b32_e32 v7, 0
.LBB1164_144:
	s_or_b64 exec, exec, s[4:5]
.LBB1164_145:
	s_or_b64 exec, exec, s[6:7]
	v_or_b32_e32 v38, 0x300, v0
	v_cmp_gt_u32_e64 s[26:27], s80, v38
                                        ; implicit-def: $vgpr8_vgpr9
	s_and_saveexec_b64 s[6:7], s[26:27]
	s_cbranch_execz .LBB1164_151
; %bb.146:
	v_mov_b32_e32 v9, s77
	v_add_co_u32_e32 v1, vcc, s76, v38
	v_addc_co_u32_e32 v10, vcc, 0, v9, vcc
	v_mov_b32_e32 v8, 0
	v_or_b32_e32 v9, s39, v10
	v_cmp_ne_u64_e32 vcc, 0, v[8:9]
                                        ; implicit-def: $vgpr8_vgpr9
	s_and_saveexec_b64 s[4:5], vcc
	s_xor_b64 s[8:9], exec, s[4:5]
	s_cbranch_execz .LBB1164_148
; %bb.147:
	s_ashr_i32 s10, s39, 31
	s_add_u32 s4, s38, s10
	s_mov_b32 s11, s10
	s_addc_u32 s5, s39, s10
	s_xor_b64 s[12:13], s[4:5], s[10:11]
	v_cvt_f32_u32_e32 v8, s12
	v_cvt_f32_u32_e32 v9, s13
	s_sub_u32 s4, 0, s12
	s_subb_u32 s5, 0, s13
	v_madmk_f32 v8, v9, 0x4f800000, v8
	v_rcp_f32_e32 v8, v8
	v_mul_f32_e32 v8, 0x5f7ffffc, v8
	v_mul_f32_e32 v9, 0x2f800000, v8
	v_trunc_f32_e32 v9, v9
	v_madmk_f32 v8, v9, 0xcf800000, v8
	v_cvt_u32_f32_e32 v9, v9
	v_cvt_u32_f32_e32 v8, v8
	v_mul_lo_u32 v11, s4, v9
	v_mul_hi_u32 v13, s4, v8
	v_mul_lo_u32 v12, s5, v8
	v_add_u32_e32 v11, v13, v11
	v_mul_lo_u32 v14, s4, v8
	v_add_u32_e32 v11, v11, v12
	v_mul_lo_u32 v13, v8, v11
	v_mul_hi_u32 v15, v8, v14
	v_mul_hi_u32 v12, v8, v11
	v_add_co_u32_e32 v13, vcc, v15, v13
	v_addc_co_u32_e32 v12, vcc, 0, v12, vcc
	v_mul_hi_u32 v16, v9, v14
	v_mul_lo_u32 v14, v9, v14
	v_add_co_u32_e32 v13, vcc, v13, v14
	v_mul_hi_u32 v15, v9, v11
	v_addc_co_u32_e32 v12, vcc, v12, v16, vcc
	v_addc_co_u32_e32 v13, vcc, 0, v15, vcc
	v_mul_lo_u32 v11, v9, v11
	v_add_co_u32_e32 v11, vcc, v12, v11
	v_addc_co_u32_e32 v12, vcc, 0, v13, vcc
	v_add_co_u32_e32 v8, vcc, v8, v11
	v_addc_co_u32_e32 v9, vcc, v9, v12, vcc
	v_mul_lo_u32 v11, s4, v9
	v_mul_hi_u32 v12, s4, v8
	v_add_u32_e32 v11, v12, v11
	v_mul_lo_u32 v12, s5, v8
	v_add_u32_e32 v11, v11, v12
	v_mul_lo_u32 v13, s4, v8
	v_mul_hi_u32 v14, v9, v13
	v_mul_lo_u32 v15, v9, v13
	v_mul_lo_u32 v17, v8, v11
	v_mul_hi_u32 v13, v8, v13
	v_mul_hi_u32 v16, v8, v11
	v_add_co_u32_e32 v13, vcc, v13, v17
	v_addc_co_u32_e32 v16, vcc, 0, v16, vcc
	v_add_co_u32_e32 v13, vcc, v13, v15
	v_mul_hi_u32 v12, v9, v11
	v_addc_co_u32_e32 v13, vcc, v16, v14, vcc
	v_addc_co_u32_e32 v12, vcc, 0, v12, vcc
	v_mul_lo_u32 v11, v9, v11
	v_add_co_u32_e32 v11, vcc, v13, v11
	v_addc_co_u32_e32 v12, vcc, 0, v12, vcc
	v_add_co_u32_e32 v11, vcc, v8, v11
	v_addc_co_u32_e32 v12, vcc, v9, v12, vcc
	v_ashrrev_i32_e32 v13, 31, v10
	v_add_co_u32_e32 v1, vcc, v1, v13
	v_addc_co_u32_e32 v8, vcc, v10, v13, vcc
	v_xor_b32_e32 v1, v1, v13
	v_xor_b32_e32 v14, v8, v13
	v_mad_u64_u32 v[8:9], s[4:5], v1, v12, 0
	v_mul_hi_u32 v10, v1, v11
	v_add_co_u32_e32 v15, vcc, v10, v8
	v_addc_co_u32_e32 v16, vcc, 0, v9, vcc
	v_mad_u64_u32 v[10:11], s[4:5], v14, v11, 0
	v_add_co_u32_e32 v10, vcc, v15, v10
	v_mad_u64_u32 v[8:9], s[4:5], v14, v12, 0
	v_addc_co_u32_e32 v10, vcc, v16, v11, vcc
	v_addc_co_u32_e32 v9, vcc, 0, v9, vcc
	v_add_co_u32_e32 v10, vcc, v10, v8
	v_addc_co_u32_e32 v11, vcc, 0, v9, vcc
	v_mul_lo_u32 v12, s13, v10
	v_mul_lo_u32 v15, s12, v11
	v_mad_u64_u32 v[8:9], s[4:5], s12, v10, 0
	v_add3_u32 v9, v9, v15, v12
	v_sub_u32_e32 v12, v14, v9
	v_mov_b32_e32 v15, s13
	v_sub_co_u32_e32 v1, vcc, v1, v8
	v_subb_co_u32_e64 v8, s[4:5], v12, v15, vcc
	v_subrev_co_u32_e64 v12, s[4:5], s12, v1
	v_subbrev_co_u32_e64 v8, s[4:5], 0, v8, s[4:5]
	v_cmp_le_u32_e64 s[4:5], s13, v8
	v_cndmask_b32_e64 v15, 0, -1, s[4:5]
	v_cmp_le_u32_e64 s[4:5], s12, v12
	v_cndmask_b32_e64 v12, 0, -1, s[4:5]
	v_cmp_eq_u32_e64 s[4:5], s13, v8
	v_cndmask_b32_e64 v8, v15, v12, s[4:5]
	v_add_co_u32_e64 v12, s[4:5], 2, v10
	v_subb_co_u32_e32 v9, vcc, v14, v9, vcc
	v_addc_co_u32_e64 v15, s[4:5], 0, v11, s[4:5]
	v_cmp_le_u32_e32 vcc, s13, v9
	v_add_co_u32_e64 v16, s[4:5], 1, v10
	v_cndmask_b32_e64 v14, 0, -1, vcc
	v_cmp_le_u32_e32 vcc, s12, v1
	v_addc_co_u32_e64 v17, s[4:5], 0, v11, s[4:5]
	v_cndmask_b32_e64 v1, 0, -1, vcc
	v_cmp_eq_u32_e32 vcc, s13, v9
	v_cmp_ne_u32_e64 s[4:5], 0, v8
	v_cndmask_b32_e32 v1, v14, v1, vcc
	v_cndmask_b32_e64 v8, v17, v15, s[4:5]
	v_cmp_ne_u32_e32 vcc, 0, v1
	v_cndmask_b32_e32 v1, v11, v8, vcc
	v_cndmask_b32_e64 v8, v16, v12, s[4:5]
	v_cndmask_b32_e32 v8, v10, v8, vcc
	v_xor_b32_e32 v9, s10, v13
	v_xor_b32_e32 v8, v8, v9
	;; [unrolled: 1-line block ×3, first 2 shown]
	v_sub_co_u32_e32 v8, vcc, v8, v9
	v_subb_co_u32_e32 v9, vcc, v1, v9, vcc
                                        ; implicit-def: $vgpr1
.LBB1164_148:
	s_andn2_saveexec_b64 s[4:5], s[8:9]
	s_cbranch_execz .LBB1164_150
; %bb.149:
	v_cvt_f32_u32_e32 v8, s38
	s_sub_i32 s8, 0, s38
	v_rcp_iflag_f32_e32 v8, v8
	v_mul_f32_e32 v8, 0x4f7ffffe, v8
	v_cvt_u32_f32_e32 v8, v8
	v_mul_lo_u32 v9, s8, v8
	v_mul_hi_u32 v9, v8, v9
	v_add_u32_e32 v8, v8, v9
	v_mul_hi_u32 v8, v1, v8
	v_mul_lo_u32 v9, v8, s38
	v_sub_u32_e32 v1, v1, v9
	v_add_u32_e32 v10, 1, v8
	v_subrev_u32_e32 v9, s38, v1
	v_cmp_le_u32_e32 vcc, s38, v1
	v_cndmask_b32_e32 v1, v1, v9, vcc
	v_cndmask_b32_e32 v8, v8, v10, vcc
	v_add_u32_e32 v9, 1, v8
	v_cmp_le_u32_e32 vcc, s38, v1
	v_cndmask_b32_e32 v8, v8, v9, vcc
	v_mov_b32_e32 v9, 0
.LBB1164_150:
	s_or_b64 exec, exec, s[4:5]
.LBB1164_151:
	s_or_b64 exec, exec, s[6:7]
	v_or_b32_e32 v40, 0x400, v0
	v_cmp_gt_u32_e64 s[24:25], s80, v40
                                        ; implicit-def: $vgpr10_vgpr11
	s_and_saveexec_b64 s[6:7], s[24:25]
	s_cbranch_execz .LBB1164_157
; %bb.152:
	v_mov_b32_e32 v11, s77
	v_add_co_u32_e32 v1, vcc, s76, v40
	v_addc_co_u32_e32 v12, vcc, 0, v11, vcc
	v_mov_b32_e32 v10, 0
	v_or_b32_e32 v11, s39, v12
	v_cmp_ne_u64_e32 vcc, 0, v[10:11]
                                        ; implicit-def: $vgpr10_vgpr11
	s_and_saveexec_b64 s[4:5], vcc
	s_xor_b64 s[8:9], exec, s[4:5]
	s_cbranch_execz .LBB1164_154
; %bb.153:
	s_ashr_i32 s10, s39, 31
	s_add_u32 s4, s38, s10
	s_mov_b32 s11, s10
	s_addc_u32 s5, s39, s10
	s_xor_b64 s[12:13], s[4:5], s[10:11]
	v_cvt_f32_u32_e32 v10, s12
	v_cvt_f32_u32_e32 v11, s13
	s_sub_u32 s4, 0, s12
	s_subb_u32 s5, 0, s13
	v_madmk_f32 v10, v11, 0x4f800000, v10
	v_rcp_f32_e32 v10, v10
	v_mul_f32_e32 v10, 0x5f7ffffc, v10
	v_mul_f32_e32 v11, 0x2f800000, v10
	v_trunc_f32_e32 v11, v11
	v_madmk_f32 v10, v11, 0xcf800000, v10
	v_cvt_u32_f32_e32 v11, v11
	v_cvt_u32_f32_e32 v10, v10
	v_mul_lo_u32 v13, s4, v11
	v_mul_hi_u32 v15, s4, v10
	v_mul_lo_u32 v14, s5, v10
	v_add_u32_e32 v13, v15, v13
	v_mul_lo_u32 v16, s4, v10
	v_add_u32_e32 v13, v13, v14
	v_mul_lo_u32 v15, v10, v13
	v_mul_hi_u32 v17, v10, v16
	v_mul_hi_u32 v14, v10, v13
	v_add_co_u32_e32 v15, vcc, v17, v15
	v_addc_co_u32_e32 v14, vcc, 0, v14, vcc
	v_mul_hi_u32 v18, v11, v16
	v_mul_lo_u32 v16, v11, v16
	v_add_co_u32_e32 v15, vcc, v15, v16
	v_mul_hi_u32 v17, v11, v13
	v_addc_co_u32_e32 v14, vcc, v14, v18, vcc
	v_addc_co_u32_e32 v15, vcc, 0, v17, vcc
	v_mul_lo_u32 v13, v11, v13
	v_add_co_u32_e32 v13, vcc, v14, v13
	v_addc_co_u32_e32 v14, vcc, 0, v15, vcc
	v_add_co_u32_e32 v10, vcc, v10, v13
	v_addc_co_u32_e32 v11, vcc, v11, v14, vcc
	v_mul_lo_u32 v13, s4, v11
	v_mul_hi_u32 v14, s4, v10
	v_add_u32_e32 v13, v14, v13
	v_mul_lo_u32 v14, s5, v10
	v_add_u32_e32 v13, v13, v14
	v_mul_lo_u32 v15, s4, v10
	v_mul_hi_u32 v16, v11, v15
	v_mul_lo_u32 v17, v11, v15
	v_mul_lo_u32 v19, v10, v13
	v_mul_hi_u32 v15, v10, v15
	v_mul_hi_u32 v18, v10, v13
	v_add_co_u32_e32 v15, vcc, v15, v19
	v_addc_co_u32_e32 v18, vcc, 0, v18, vcc
	v_add_co_u32_e32 v15, vcc, v15, v17
	v_mul_hi_u32 v14, v11, v13
	v_addc_co_u32_e32 v15, vcc, v18, v16, vcc
	v_addc_co_u32_e32 v14, vcc, 0, v14, vcc
	v_mul_lo_u32 v13, v11, v13
	v_add_co_u32_e32 v13, vcc, v15, v13
	v_addc_co_u32_e32 v14, vcc, 0, v14, vcc
	v_add_co_u32_e32 v13, vcc, v10, v13
	v_addc_co_u32_e32 v14, vcc, v11, v14, vcc
	v_ashrrev_i32_e32 v15, 31, v12
	v_add_co_u32_e32 v1, vcc, v1, v15
	v_addc_co_u32_e32 v10, vcc, v12, v15, vcc
	v_xor_b32_e32 v1, v1, v15
	v_xor_b32_e32 v16, v10, v15
	v_mad_u64_u32 v[10:11], s[4:5], v1, v14, 0
	v_mul_hi_u32 v12, v1, v13
	v_add_co_u32_e32 v17, vcc, v12, v10
	v_addc_co_u32_e32 v18, vcc, 0, v11, vcc
	v_mad_u64_u32 v[12:13], s[4:5], v16, v13, 0
	v_add_co_u32_e32 v12, vcc, v17, v12
	v_mad_u64_u32 v[10:11], s[4:5], v16, v14, 0
	v_addc_co_u32_e32 v12, vcc, v18, v13, vcc
	v_addc_co_u32_e32 v11, vcc, 0, v11, vcc
	v_add_co_u32_e32 v12, vcc, v12, v10
	v_addc_co_u32_e32 v13, vcc, 0, v11, vcc
	v_mul_lo_u32 v14, s13, v12
	v_mul_lo_u32 v17, s12, v13
	v_mad_u64_u32 v[10:11], s[4:5], s12, v12, 0
	v_add3_u32 v11, v11, v17, v14
	v_sub_u32_e32 v14, v16, v11
	v_mov_b32_e32 v17, s13
	v_sub_co_u32_e32 v1, vcc, v1, v10
	v_subb_co_u32_e64 v10, s[4:5], v14, v17, vcc
	v_subrev_co_u32_e64 v14, s[4:5], s12, v1
	v_subbrev_co_u32_e64 v10, s[4:5], 0, v10, s[4:5]
	v_cmp_le_u32_e64 s[4:5], s13, v10
	v_cndmask_b32_e64 v17, 0, -1, s[4:5]
	v_cmp_le_u32_e64 s[4:5], s12, v14
	v_cndmask_b32_e64 v14, 0, -1, s[4:5]
	v_cmp_eq_u32_e64 s[4:5], s13, v10
	v_cndmask_b32_e64 v10, v17, v14, s[4:5]
	v_add_co_u32_e64 v14, s[4:5], 2, v12
	v_subb_co_u32_e32 v11, vcc, v16, v11, vcc
	v_addc_co_u32_e64 v17, s[4:5], 0, v13, s[4:5]
	v_cmp_le_u32_e32 vcc, s13, v11
	v_add_co_u32_e64 v18, s[4:5], 1, v12
	v_cndmask_b32_e64 v16, 0, -1, vcc
	v_cmp_le_u32_e32 vcc, s12, v1
	v_addc_co_u32_e64 v19, s[4:5], 0, v13, s[4:5]
	v_cndmask_b32_e64 v1, 0, -1, vcc
	v_cmp_eq_u32_e32 vcc, s13, v11
	v_cmp_ne_u32_e64 s[4:5], 0, v10
	v_cndmask_b32_e32 v1, v16, v1, vcc
	v_cndmask_b32_e64 v10, v19, v17, s[4:5]
	v_cmp_ne_u32_e32 vcc, 0, v1
	v_cndmask_b32_e32 v1, v13, v10, vcc
	v_cndmask_b32_e64 v10, v18, v14, s[4:5]
	v_cndmask_b32_e32 v10, v12, v10, vcc
	v_xor_b32_e32 v11, s10, v15
	v_xor_b32_e32 v10, v10, v11
	;; [unrolled: 1-line block ×3, first 2 shown]
	v_sub_co_u32_e32 v10, vcc, v10, v11
	v_subb_co_u32_e32 v11, vcc, v1, v11, vcc
                                        ; implicit-def: $vgpr1
.LBB1164_154:
	s_andn2_saveexec_b64 s[4:5], s[8:9]
	s_cbranch_execz .LBB1164_156
; %bb.155:
	v_cvt_f32_u32_e32 v10, s38
	s_sub_i32 s8, 0, s38
	v_rcp_iflag_f32_e32 v10, v10
	v_mul_f32_e32 v10, 0x4f7ffffe, v10
	v_cvt_u32_f32_e32 v10, v10
	v_mul_lo_u32 v11, s8, v10
	v_mul_hi_u32 v11, v10, v11
	v_add_u32_e32 v10, v10, v11
	v_mul_hi_u32 v10, v1, v10
	v_mul_lo_u32 v11, v10, s38
	v_sub_u32_e32 v1, v1, v11
	v_add_u32_e32 v12, 1, v10
	v_subrev_u32_e32 v11, s38, v1
	v_cmp_le_u32_e32 vcc, s38, v1
	v_cndmask_b32_e32 v1, v1, v11, vcc
	v_cndmask_b32_e32 v10, v10, v12, vcc
	v_add_u32_e32 v11, 1, v10
	v_cmp_le_u32_e32 vcc, s38, v1
	v_cndmask_b32_e32 v10, v10, v11, vcc
	v_mov_b32_e32 v11, 0
.LBB1164_156:
	s_or_b64 exec, exec, s[4:5]
.LBB1164_157:
	s_or_b64 exec, exec, s[6:7]
	v_or_b32_e32 v42, 0x500, v0
	v_cmp_gt_u32_e64 s[22:23], s80, v42
                                        ; implicit-def: $vgpr12_vgpr13
	s_and_saveexec_b64 s[6:7], s[22:23]
	s_cbranch_execz .LBB1164_163
; %bb.158:
	v_mov_b32_e32 v13, s77
	v_add_co_u32_e32 v1, vcc, s76, v42
	v_addc_co_u32_e32 v14, vcc, 0, v13, vcc
	v_mov_b32_e32 v12, 0
	v_or_b32_e32 v13, s39, v14
	v_cmp_ne_u64_e32 vcc, 0, v[12:13]
                                        ; implicit-def: $vgpr12_vgpr13
	s_and_saveexec_b64 s[4:5], vcc
	s_xor_b64 s[8:9], exec, s[4:5]
	s_cbranch_execz .LBB1164_160
; %bb.159:
	s_ashr_i32 s10, s39, 31
	s_add_u32 s4, s38, s10
	s_mov_b32 s11, s10
	s_addc_u32 s5, s39, s10
	s_xor_b64 s[12:13], s[4:5], s[10:11]
	v_cvt_f32_u32_e32 v12, s12
	v_cvt_f32_u32_e32 v13, s13
	s_sub_u32 s4, 0, s12
	s_subb_u32 s5, 0, s13
	v_madmk_f32 v12, v13, 0x4f800000, v12
	v_rcp_f32_e32 v12, v12
	v_mul_f32_e32 v12, 0x5f7ffffc, v12
	v_mul_f32_e32 v13, 0x2f800000, v12
	v_trunc_f32_e32 v13, v13
	v_madmk_f32 v12, v13, 0xcf800000, v12
	v_cvt_u32_f32_e32 v13, v13
	v_cvt_u32_f32_e32 v12, v12
	v_mul_lo_u32 v15, s4, v13
	v_mul_hi_u32 v17, s4, v12
	v_mul_lo_u32 v16, s5, v12
	v_add_u32_e32 v15, v17, v15
	v_mul_lo_u32 v18, s4, v12
	v_add_u32_e32 v15, v15, v16
	v_mul_lo_u32 v17, v12, v15
	v_mul_hi_u32 v19, v12, v18
	v_mul_hi_u32 v16, v12, v15
	v_add_co_u32_e32 v17, vcc, v19, v17
	v_addc_co_u32_e32 v16, vcc, 0, v16, vcc
	v_mul_hi_u32 v20, v13, v18
	v_mul_lo_u32 v18, v13, v18
	v_add_co_u32_e32 v17, vcc, v17, v18
	v_mul_hi_u32 v19, v13, v15
	v_addc_co_u32_e32 v16, vcc, v16, v20, vcc
	v_addc_co_u32_e32 v17, vcc, 0, v19, vcc
	v_mul_lo_u32 v15, v13, v15
	v_add_co_u32_e32 v15, vcc, v16, v15
	v_addc_co_u32_e32 v16, vcc, 0, v17, vcc
	v_add_co_u32_e32 v12, vcc, v12, v15
	v_addc_co_u32_e32 v13, vcc, v13, v16, vcc
	v_mul_lo_u32 v15, s4, v13
	v_mul_hi_u32 v16, s4, v12
	v_add_u32_e32 v15, v16, v15
	v_mul_lo_u32 v16, s5, v12
	v_add_u32_e32 v15, v15, v16
	v_mul_lo_u32 v17, s4, v12
	v_mul_hi_u32 v18, v13, v17
	v_mul_lo_u32 v19, v13, v17
	v_mul_lo_u32 v21, v12, v15
	v_mul_hi_u32 v17, v12, v17
	v_mul_hi_u32 v20, v12, v15
	v_add_co_u32_e32 v17, vcc, v17, v21
	v_addc_co_u32_e32 v20, vcc, 0, v20, vcc
	v_add_co_u32_e32 v17, vcc, v17, v19
	v_mul_hi_u32 v16, v13, v15
	v_addc_co_u32_e32 v17, vcc, v20, v18, vcc
	v_addc_co_u32_e32 v16, vcc, 0, v16, vcc
	v_mul_lo_u32 v15, v13, v15
	v_add_co_u32_e32 v15, vcc, v17, v15
	v_addc_co_u32_e32 v16, vcc, 0, v16, vcc
	v_add_co_u32_e32 v15, vcc, v12, v15
	v_addc_co_u32_e32 v16, vcc, v13, v16, vcc
	v_ashrrev_i32_e32 v17, 31, v14
	v_add_co_u32_e32 v1, vcc, v1, v17
	v_addc_co_u32_e32 v12, vcc, v14, v17, vcc
	v_xor_b32_e32 v1, v1, v17
	v_xor_b32_e32 v18, v12, v17
	v_mad_u64_u32 v[12:13], s[4:5], v1, v16, 0
	v_mul_hi_u32 v14, v1, v15
	v_add_co_u32_e32 v19, vcc, v14, v12
	v_addc_co_u32_e32 v20, vcc, 0, v13, vcc
	v_mad_u64_u32 v[14:15], s[4:5], v18, v15, 0
	v_add_co_u32_e32 v14, vcc, v19, v14
	v_mad_u64_u32 v[12:13], s[4:5], v18, v16, 0
	v_addc_co_u32_e32 v14, vcc, v20, v15, vcc
	v_addc_co_u32_e32 v13, vcc, 0, v13, vcc
	v_add_co_u32_e32 v14, vcc, v14, v12
	v_addc_co_u32_e32 v15, vcc, 0, v13, vcc
	v_mul_lo_u32 v16, s13, v14
	v_mul_lo_u32 v19, s12, v15
	v_mad_u64_u32 v[12:13], s[4:5], s12, v14, 0
	v_add3_u32 v13, v13, v19, v16
	v_sub_u32_e32 v16, v18, v13
	v_mov_b32_e32 v19, s13
	v_sub_co_u32_e32 v1, vcc, v1, v12
	v_subb_co_u32_e64 v12, s[4:5], v16, v19, vcc
	v_subrev_co_u32_e64 v16, s[4:5], s12, v1
	v_subbrev_co_u32_e64 v12, s[4:5], 0, v12, s[4:5]
	v_cmp_le_u32_e64 s[4:5], s13, v12
	v_cndmask_b32_e64 v19, 0, -1, s[4:5]
	v_cmp_le_u32_e64 s[4:5], s12, v16
	v_cndmask_b32_e64 v16, 0, -1, s[4:5]
	v_cmp_eq_u32_e64 s[4:5], s13, v12
	v_cndmask_b32_e64 v12, v19, v16, s[4:5]
	v_add_co_u32_e64 v16, s[4:5], 2, v14
	v_subb_co_u32_e32 v13, vcc, v18, v13, vcc
	v_addc_co_u32_e64 v19, s[4:5], 0, v15, s[4:5]
	v_cmp_le_u32_e32 vcc, s13, v13
	v_add_co_u32_e64 v20, s[4:5], 1, v14
	v_cndmask_b32_e64 v18, 0, -1, vcc
	v_cmp_le_u32_e32 vcc, s12, v1
	v_addc_co_u32_e64 v21, s[4:5], 0, v15, s[4:5]
	v_cndmask_b32_e64 v1, 0, -1, vcc
	v_cmp_eq_u32_e32 vcc, s13, v13
	v_cmp_ne_u32_e64 s[4:5], 0, v12
	v_cndmask_b32_e32 v1, v18, v1, vcc
	v_cndmask_b32_e64 v12, v21, v19, s[4:5]
	v_cmp_ne_u32_e32 vcc, 0, v1
	v_cndmask_b32_e32 v1, v15, v12, vcc
	v_cndmask_b32_e64 v12, v20, v16, s[4:5]
	v_cndmask_b32_e32 v12, v14, v12, vcc
	v_xor_b32_e32 v13, s10, v17
	v_xor_b32_e32 v12, v12, v13
	;; [unrolled: 1-line block ×3, first 2 shown]
	v_sub_co_u32_e32 v12, vcc, v12, v13
	v_subb_co_u32_e32 v13, vcc, v1, v13, vcc
                                        ; implicit-def: $vgpr1
.LBB1164_160:
	s_andn2_saveexec_b64 s[4:5], s[8:9]
	s_cbranch_execz .LBB1164_162
; %bb.161:
	v_cvt_f32_u32_e32 v12, s38
	s_sub_i32 s8, 0, s38
	v_rcp_iflag_f32_e32 v12, v12
	v_mul_f32_e32 v12, 0x4f7ffffe, v12
	v_cvt_u32_f32_e32 v12, v12
	v_mul_lo_u32 v13, s8, v12
	v_mul_hi_u32 v13, v12, v13
	v_add_u32_e32 v12, v12, v13
	v_mul_hi_u32 v12, v1, v12
	v_mul_lo_u32 v13, v12, s38
	v_sub_u32_e32 v1, v1, v13
	v_add_u32_e32 v14, 1, v12
	v_subrev_u32_e32 v13, s38, v1
	v_cmp_le_u32_e32 vcc, s38, v1
	v_cndmask_b32_e32 v1, v1, v13, vcc
	v_cndmask_b32_e32 v12, v12, v14, vcc
	v_add_u32_e32 v13, 1, v12
	v_cmp_le_u32_e32 vcc, s38, v1
	v_cndmask_b32_e32 v12, v12, v13, vcc
	v_mov_b32_e32 v13, 0
.LBB1164_162:
	s_or_b64 exec, exec, s[4:5]
.LBB1164_163:
	s_or_b64 exec, exec, s[6:7]
	v_or_b32_e32 v44, 0x600, v0
	v_cmp_gt_u32_e64 s[20:21], s80, v44
                                        ; implicit-def: $vgpr14_vgpr15
	s_and_saveexec_b64 s[6:7], s[20:21]
	s_cbranch_execz .LBB1164_169
; %bb.164:
	v_mov_b32_e32 v15, s77
	v_add_co_u32_e32 v1, vcc, s76, v44
	v_addc_co_u32_e32 v16, vcc, 0, v15, vcc
	v_mov_b32_e32 v14, 0
	v_or_b32_e32 v15, s39, v16
	v_cmp_ne_u64_e32 vcc, 0, v[14:15]
                                        ; implicit-def: $vgpr14_vgpr15
	s_and_saveexec_b64 s[4:5], vcc
	s_xor_b64 s[8:9], exec, s[4:5]
	s_cbranch_execz .LBB1164_166
; %bb.165:
	s_ashr_i32 s10, s39, 31
	s_add_u32 s4, s38, s10
	s_mov_b32 s11, s10
	s_addc_u32 s5, s39, s10
	s_xor_b64 s[12:13], s[4:5], s[10:11]
	v_cvt_f32_u32_e32 v14, s12
	v_cvt_f32_u32_e32 v15, s13
	s_sub_u32 s4, 0, s12
	s_subb_u32 s5, 0, s13
	v_madmk_f32 v14, v15, 0x4f800000, v14
	v_rcp_f32_e32 v14, v14
	v_mul_f32_e32 v14, 0x5f7ffffc, v14
	v_mul_f32_e32 v15, 0x2f800000, v14
	v_trunc_f32_e32 v15, v15
	v_madmk_f32 v14, v15, 0xcf800000, v14
	v_cvt_u32_f32_e32 v15, v15
	v_cvt_u32_f32_e32 v14, v14
	v_mul_lo_u32 v17, s4, v15
	v_mul_hi_u32 v19, s4, v14
	v_mul_lo_u32 v18, s5, v14
	v_add_u32_e32 v17, v19, v17
	v_mul_lo_u32 v20, s4, v14
	v_add_u32_e32 v17, v17, v18
	v_mul_lo_u32 v19, v14, v17
	v_mul_hi_u32 v21, v14, v20
	v_mul_hi_u32 v18, v14, v17
	v_add_co_u32_e32 v19, vcc, v21, v19
	v_addc_co_u32_e32 v18, vcc, 0, v18, vcc
	v_mul_hi_u32 v22, v15, v20
	v_mul_lo_u32 v20, v15, v20
	v_add_co_u32_e32 v19, vcc, v19, v20
	v_mul_hi_u32 v21, v15, v17
	v_addc_co_u32_e32 v18, vcc, v18, v22, vcc
	v_addc_co_u32_e32 v19, vcc, 0, v21, vcc
	v_mul_lo_u32 v17, v15, v17
	v_add_co_u32_e32 v17, vcc, v18, v17
	v_addc_co_u32_e32 v18, vcc, 0, v19, vcc
	v_add_co_u32_e32 v14, vcc, v14, v17
	v_addc_co_u32_e32 v15, vcc, v15, v18, vcc
	v_mul_lo_u32 v17, s4, v15
	v_mul_hi_u32 v18, s4, v14
	v_add_u32_e32 v17, v18, v17
	v_mul_lo_u32 v18, s5, v14
	v_add_u32_e32 v17, v17, v18
	v_mul_lo_u32 v19, s4, v14
	v_mul_hi_u32 v20, v15, v19
	v_mul_lo_u32 v21, v15, v19
	v_mul_lo_u32 v23, v14, v17
	v_mul_hi_u32 v19, v14, v19
	v_mul_hi_u32 v22, v14, v17
	v_add_co_u32_e32 v19, vcc, v19, v23
	v_addc_co_u32_e32 v22, vcc, 0, v22, vcc
	v_add_co_u32_e32 v19, vcc, v19, v21
	v_mul_hi_u32 v18, v15, v17
	v_addc_co_u32_e32 v19, vcc, v22, v20, vcc
	v_addc_co_u32_e32 v18, vcc, 0, v18, vcc
	v_mul_lo_u32 v17, v15, v17
	v_add_co_u32_e32 v17, vcc, v19, v17
	v_addc_co_u32_e32 v18, vcc, 0, v18, vcc
	v_add_co_u32_e32 v17, vcc, v14, v17
	v_addc_co_u32_e32 v18, vcc, v15, v18, vcc
	v_ashrrev_i32_e32 v19, 31, v16
	v_add_co_u32_e32 v1, vcc, v1, v19
	v_addc_co_u32_e32 v14, vcc, v16, v19, vcc
	v_xor_b32_e32 v1, v1, v19
	v_xor_b32_e32 v20, v14, v19
	v_mad_u64_u32 v[14:15], s[4:5], v1, v18, 0
	v_mul_hi_u32 v16, v1, v17
	v_add_co_u32_e32 v21, vcc, v16, v14
	v_addc_co_u32_e32 v22, vcc, 0, v15, vcc
	v_mad_u64_u32 v[16:17], s[4:5], v20, v17, 0
	v_add_co_u32_e32 v16, vcc, v21, v16
	v_mad_u64_u32 v[14:15], s[4:5], v20, v18, 0
	v_addc_co_u32_e32 v16, vcc, v22, v17, vcc
	v_addc_co_u32_e32 v15, vcc, 0, v15, vcc
	v_add_co_u32_e32 v16, vcc, v16, v14
	v_addc_co_u32_e32 v17, vcc, 0, v15, vcc
	v_mul_lo_u32 v18, s13, v16
	v_mul_lo_u32 v21, s12, v17
	v_mad_u64_u32 v[14:15], s[4:5], s12, v16, 0
	v_add3_u32 v15, v15, v21, v18
	v_sub_u32_e32 v18, v20, v15
	v_mov_b32_e32 v21, s13
	v_sub_co_u32_e32 v1, vcc, v1, v14
	v_subb_co_u32_e64 v14, s[4:5], v18, v21, vcc
	v_subrev_co_u32_e64 v18, s[4:5], s12, v1
	v_subbrev_co_u32_e64 v14, s[4:5], 0, v14, s[4:5]
	v_cmp_le_u32_e64 s[4:5], s13, v14
	v_cndmask_b32_e64 v21, 0, -1, s[4:5]
	v_cmp_le_u32_e64 s[4:5], s12, v18
	v_cndmask_b32_e64 v18, 0, -1, s[4:5]
	v_cmp_eq_u32_e64 s[4:5], s13, v14
	v_cndmask_b32_e64 v14, v21, v18, s[4:5]
	v_add_co_u32_e64 v18, s[4:5], 2, v16
	v_subb_co_u32_e32 v15, vcc, v20, v15, vcc
	v_addc_co_u32_e64 v21, s[4:5], 0, v17, s[4:5]
	v_cmp_le_u32_e32 vcc, s13, v15
	v_add_co_u32_e64 v22, s[4:5], 1, v16
	v_cndmask_b32_e64 v20, 0, -1, vcc
	v_cmp_le_u32_e32 vcc, s12, v1
	v_addc_co_u32_e64 v23, s[4:5], 0, v17, s[4:5]
	v_cndmask_b32_e64 v1, 0, -1, vcc
	v_cmp_eq_u32_e32 vcc, s13, v15
	v_cmp_ne_u32_e64 s[4:5], 0, v14
	v_cndmask_b32_e32 v1, v20, v1, vcc
	v_cndmask_b32_e64 v14, v23, v21, s[4:5]
	v_cmp_ne_u32_e32 vcc, 0, v1
	v_cndmask_b32_e32 v1, v17, v14, vcc
	v_cndmask_b32_e64 v14, v22, v18, s[4:5]
	v_cndmask_b32_e32 v14, v16, v14, vcc
	v_xor_b32_e32 v15, s10, v19
	v_xor_b32_e32 v14, v14, v15
	;; [unrolled: 1-line block ×3, first 2 shown]
	v_sub_co_u32_e32 v14, vcc, v14, v15
	v_subb_co_u32_e32 v15, vcc, v1, v15, vcc
                                        ; implicit-def: $vgpr1
.LBB1164_166:
	s_andn2_saveexec_b64 s[4:5], s[8:9]
	s_cbranch_execz .LBB1164_168
; %bb.167:
	v_cvt_f32_u32_e32 v14, s38
	s_sub_i32 s8, 0, s38
	v_rcp_iflag_f32_e32 v14, v14
	v_mul_f32_e32 v14, 0x4f7ffffe, v14
	v_cvt_u32_f32_e32 v14, v14
	v_mul_lo_u32 v15, s8, v14
	v_mul_hi_u32 v15, v14, v15
	v_add_u32_e32 v14, v14, v15
	v_mul_hi_u32 v14, v1, v14
	v_mul_lo_u32 v15, v14, s38
	v_sub_u32_e32 v1, v1, v15
	v_add_u32_e32 v16, 1, v14
	v_subrev_u32_e32 v15, s38, v1
	v_cmp_le_u32_e32 vcc, s38, v1
	v_cndmask_b32_e32 v1, v1, v15, vcc
	v_cndmask_b32_e32 v14, v14, v16, vcc
	v_add_u32_e32 v15, 1, v14
	v_cmp_le_u32_e32 vcc, s38, v1
	v_cndmask_b32_e32 v14, v14, v15, vcc
	v_mov_b32_e32 v15, 0
.LBB1164_168:
	s_or_b64 exec, exec, s[4:5]
.LBB1164_169:
	s_or_b64 exec, exec, s[6:7]
	v_or_b32_e32 v46, 0x700, v0
	v_cmp_gt_u32_e64 s[18:19], s80, v46
                                        ; implicit-def: $vgpr16_vgpr17
	s_and_saveexec_b64 s[6:7], s[18:19]
	s_cbranch_execz .LBB1164_175
; %bb.170:
	v_mov_b32_e32 v17, s77
	v_add_co_u32_e32 v1, vcc, s76, v46
	v_addc_co_u32_e32 v18, vcc, 0, v17, vcc
	v_mov_b32_e32 v16, 0
	v_or_b32_e32 v17, s39, v18
	v_cmp_ne_u64_e32 vcc, 0, v[16:17]
                                        ; implicit-def: $vgpr16_vgpr17
	s_and_saveexec_b64 s[4:5], vcc
	s_xor_b64 s[8:9], exec, s[4:5]
	s_cbranch_execz .LBB1164_172
; %bb.171:
	s_ashr_i32 s10, s39, 31
	s_add_u32 s4, s38, s10
	s_mov_b32 s11, s10
	s_addc_u32 s5, s39, s10
	s_xor_b64 s[12:13], s[4:5], s[10:11]
	v_cvt_f32_u32_e32 v16, s12
	v_cvt_f32_u32_e32 v17, s13
	s_sub_u32 s4, 0, s12
	s_subb_u32 s5, 0, s13
	v_madmk_f32 v16, v17, 0x4f800000, v16
	v_rcp_f32_e32 v16, v16
	v_mul_f32_e32 v16, 0x5f7ffffc, v16
	v_mul_f32_e32 v17, 0x2f800000, v16
	v_trunc_f32_e32 v17, v17
	v_madmk_f32 v16, v17, 0xcf800000, v16
	v_cvt_u32_f32_e32 v17, v17
	v_cvt_u32_f32_e32 v16, v16
	v_mul_lo_u32 v19, s4, v17
	v_mul_hi_u32 v21, s4, v16
	v_mul_lo_u32 v20, s5, v16
	v_add_u32_e32 v19, v21, v19
	v_mul_lo_u32 v22, s4, v16
	v_add_u32_e32 v19, v19, v20
	v_mul_lo_u32 v21, v16, v19
	v_mul_hi_u32 v23, v16, v22
	v_mul_hi_u32 v20, v16, v19
	v_add_co_u32_e32 v21, vcc, v23, v21
	v_addc_co_u32_e32 v20, vcc, 0, v20, vcc
	v_mul_hi_u32 v24, v17, v22
	v_mul_lo_u32 v22, v17, v22
	v_add_co_u32_e32 v21, vcc, v21, v22
	v_mul_hi_u32 v23, v17, v19
	v_addc_co_u32_e32 v20, vcc, v20, v24, vcc
	v_addc_co_u32_e32 v21, vcc, 0, v23, vcc
	v_mul_lo_u32 v19, v17, v19
	v_add_co_u32_e32 v19, vcc, v20, v19
	v_addc_co_u32_e32 v20, vcc, 0, v21, vcc
	v_add_co_u32_e32 v16, vcc, v16, v19
	v_addc_co_u32_e32 v17, vcc, v17, v20, vcc
	v_mul_lo_u32 v19, s4, v17
	v_mul_hi_u32 v20, s4, v16
	v_add_u32_e32 v19, v20, v19
	v_mul_lo_u32 v20, s5, v16
	v_add_u32_e32 v19, v19, v20
	v_mul_lo_u32 v21, s4, v16
	v_mul_hi_u32 v22, v17, v21
	v_mul_lo_u32 v23, v17, v21
	v_mul_lo_u32 v25, v16, v19
	v_mul_hi_u32 v21, v16, v21
	v_mul_hi_u32 v24, v16, v19
	v_add_co_u32_e32 v21, vcc, v21, v25
	v_addc_co_u32_e32 v24, vcc, 0, v24, vcc
	v_add_co_u32_e32 v21, vcc, v21, v23
	v_mul_hi_u32 v20, v17, v19
	v_addc_co_u32_e32 v21, vcc, v24, v22, vcc
	v_addc_co_u32_e32 v20, vcc, 0, v20, vcc
	v_mul_lo_u32 v19, v17, v19
	v_add_co_u32_e32 v19, vcc, v21, v19
	v_addc_co_u32_e32 v20, vcc, 0, v20, vcc
	v_add_co_u32_e32 v19, vcc, v16, v19
	v_addc_co_u32_e32 v20, vcc, v17, v20, vcc
	v_ashrrev_i32_e32 v21, 31, v18
	v_add_co_u32_e32 v1, vcc, v1, v21
	v_addc_co_u32_e32 v16, vcc, v18, v21, vcc
	v_xor_b32_e32 v1, v1, v21
	v_xor_b32_e32 v22, v16, v21
	v_mad_u64_u32 v[16:17], s[4:5], v1, v20, 0
	v_mul_hi_u32 v18, v1, v19
	v_add_co_u32_e32 v23, vcc, v18, v16
	v_addc_co_u32_e32 v24, vcc, 0, v17, vcc
	v_mad_u64_u32 v[18:19], s[4:5], v22, v19, 0
	v_add_co_u32_e32 v18, vcc, v23, v18
	v_mad_u64_u32 v[16:17], s[4:5], v22, v20, 0
	v_addc_co_u32_e32 v18, vcc, v24, v19, vcc
	v_addc_co_u32_e32 v17, vcc, 0, v17, vcc
	v_add_co_u32_e32 v18, vcc, v18, v16
	v_addc_co_u32_e32 v19, vcc, 0, v17, vcc
	v_mul_lo_u32 v20, s13, v18
	v_mul_lo_u32 v23, s12, v19
	v_mad_u64_u32 v[16:17], s[4:5], s12, v18, 0
	v_add3_u32 v17, v17, v23, v20
	v_sub_u32_e32 v20, v22, v17
	v_mov_b32_e32 v23, s13
	v_sub_co_u32_e32 v1, vcc, v1, v16
	v_subb_co_u32_e64 v16, s[4:5], v20, v23, vcc
	v_subrev_co_u32_e64 v20, s[4:5], s12, v1
	v_subbrev_co_u32_e64 v16, s[4:5], 0, v16, s[4:5]
	v_cmp_le_u32_e64 s[4:5], s13, v16
	v_cndmask_b32_e64 v23, 0, -1, s[4:5]
	v_cmp_le_u32_e64 s[4:5], s12, v20
	v_cndmask_b32_e64 v20, 0, -1, s[4:5]
	v_cmp_eq_u32_e64 s[4:5], s13, v16
	v_cndmask_b32_e64 v16, v23, v20, s[4:5]
	v_add_co_u32_e64 v20, s[4:5], 2, v18
	v_subb_co_u32_e32 v17, vcc, v22, v17, vcc
	v_addc_co_u32_e64 v23, s[4:5], 0, v19, s[4:5]
	v_cmp_le_u32_e32 vcc, s13, v17
	v_add_co_u32_e64 v24, s[4:5], 1, v18
	v_cndmask_b32_e64 v22, 0, -1, vcc
	v_cmp_le_u32_e32 vcc, s12, v1
	v_addc_co_u32_e64 v25, s[4:5], 0, v19, s[4:5]
	v_cndmask_b32_e64 v1, 0, -1, vcc
	v_cmp_eq_u32_e32 vcc, s13, v17
	v_cmp_ne_u32_e64 s[4:5], 0, v16
	v_cndmask_b32_e32 v1, v22, v1, vcc
	v_cndmask_b32_e64 v16, v25, v23, s[4:5]
	v_cmp_ne_u32_e32 vcc, 0, v1
	v_cndmask_b32_e32 v1, v19, v16, vcc
	v_cndmask_b32_e64 v16, v24, v20, s[4:5]
	v_cndmask_b32_e32 v16, v18, v16, vcc
	v_xor_b32_e32 v17, s10, v21
	v_xor_b32_e32 v16, v16, v17
	;; [unrolled: 1-line block ×3, first 2 shown]
	v_sub_co_u32_e32 v16, vcc, v16, v17
	v_subb_co_u32_e32 v17, vcc, v1, v17, vcc
                                        ; implicit-def: $vgpr1
.LBB1164_172:
	s_andn2_saveexec_b64 s[4:5], s[8:9]
	s_cbranch_execz .LBB1164_174
; %bb.173:
	v_cvt_f32_u32_e32 v16, s38
	s_sub_i32 s8, 0, s38
	v_rcp_iflag_f32_e32 v16, v16
	v_mul_f32_e32 v16, 0x4f7ffffe, v16
	v_cvt_u32_f32_e32 v16, v16
	v_mul_lo_u32 v17, s8, v16
	v_mul_hi_u32 v17, v16, v17
	v_add_u32_e32 v16, v16, v17
	v_mul_hi_u32 v16, v1, v16
	v_mul_lo_u32 v17, v16, s38
	v_sub_u32_e32 v1, v1, v17
	v_add_u32_e32 v18, 1, v16
	v_subrev_u32_e32 v17, s38, v1
	v_cmp_le_u32_e32 vcc, s38, v1
	v_cndmask_b32_e32 v1, v1, v17, vcc
	v_cndmask_b32_e32 v16, v16, v18, vcc
	v_add_u32_e32 v17, 1, v16
	v_cmp_le_u32_e32 vcc, s38, v1
	v_cndmask_b32_e32 v16, v16, v17, vcc
	v_mov_b32_e32 v17, 0
.LBB1164_174:
	s_or_b64 exec, exec, s[4:5]
.LBB1164_175:
	s_or_b64 exec, exec, s[6:7]
	v_or_b32_e32 v48, 0x800, v0
	v_cmp_gt_u32_e64 s[16:17], s80, v48
                                        ; implicit-def: $vgpr18_vgpr19
	s_and_saveexec_b64 s[6:7], s[16:17]
	s_cbranch_execz .LBB1164_181
; %bb.176:
	v_mov_b32_e32 v19, s77
	v_add_co_u32_e32 v1, vcc, s76, v48
	v_addc_co_u32_e32 v20, vcc, 0, v19, vcc
	v_mov_b32_e32 v18, 0
	v_or_b32_e32 v19, s39, v20
	v_cmp_ne_u64_e32 vcc, 0, v[18:19]
                                        ; implicit-def: $vgpr18_vgpr19
	s_and_saveexec_b64 s[4:5], vcc
	s_xor_b64 s[8:9], exec, s[4:5]
	s_cbranch_execz .LBB1164_178
; %bb.177:
	s_ashr_i32 s10, s39, 31
	s_add_u32 s4, s38, s10
	s_mov_b32 s11, s10
	s_addc_u32 s5, s39, s10
	s_xor_b64 s[12:13], s[4:5], s[10:11]
	v_cvt_f32_u32_e32 v18, s12
	v_cvt_f32_u32_e32 v19, s13
	s_sub_u32 s4, 0, s12
	s_subb_u32 s5, 0, s13
	v_madmk_f32 v18, v19, 0x4f800000, v18
	v_rcp_f32_e32 v18, v18
	v_mul_f32_e32 v18, 0x5f7ffffc, v18
	v_mul_f32_e32 v19, 0x2f800000, v18
	v_trunc_f32_e32 v19, v19
	v_madmk_f32 v18, v19, 0xcf800000, v18
	v_cvt_u32_f32_e32 v19, v19
	v_cvt_u32_f32_e32 v18, v18
	v_mul_lo_u32 v21, s4, v19
	v_mul_hi_u32 v23, s4, v18
	v_mul_lo_u32 v22, s5, v18
	v_add_u32_e32 v21, v23, v21
	v_mul_lo_u32 v24, s4, v18
	v_add_u32_e32 v21, v21, v22
	v_mul_lo_u32 v23, v18, v21
	v_mul_hi_u32 v25, v18, v24
	v_mul_hi_u32 v22, v18, v21
	v_add_co_u32_e32 v23, vcc, v25, v23
	v_addc_co_u32_e32 v22, vcc, 0, v22, vcc
	v_mul_hi_u32 v26, v19, v24
	v_mul_lo_u32 v24, v19, v24
	v_add_co_u32_e32 v23, vcc, v23, v24
	v_mul_hi_u32 v25, v19, v21
	v_addc_co_u32_e32 v22, vcc, v22, v26, vcc
	v_addc_co_u32_e32 v23, vcc, 0, v25, vcc
	v_mul_lo_u32 v21, v19, v21
	v_add_co_u32_e32 v21, vcc, v22, v21
	v_addc_co_u32_e32 v22, vcc, 0, v23, vcc
	v_add_co_u32_e32 v18, vcc, v18, v21
	v_addc_co_u32_e32 v19, vcc, v19, v22, vcc
	v_mul_lo_u32 v21, s4, v19
	v_mul_hi_u32 v22, s4, v18
	v_add_u32_e32 v21, v22, v21
	v_mul_lo_u32 v22, s5, v18
	v_add_u32_e32 v21, v21, v22
	v_mul_lo_u32 v23, s4, v18
	v_mul_hi_u32 v24, v19, v23
	v_mul_lo_u32 v25, v19, v23
	v_mul_lo_u32 v27, v18, v21
	v_mul_hi_u32 v23, v18, v23
	v_mul_hi_u32 v26, v18, v21
	v_add_co_u32_e32 v23, vcc, v23, v27
	v_addc_co_u32_e32 v26, vcc, 0, v26, vcc
	v_add_co_u32_e32 v23, vcc, v23, v25
	v_mul_hi_u32 v22, v19, v21
	v_addc_co_u32_e32 v23, vcc, v26, v24, vcc
	v_addc_co_u32_e32 v22, vcc, 0, v22, vcc
	v_mul_lo_u32 v21, v19, v21
	v_add_co_u32_e32 v21, vcc, v23, v21
	v_addc_co_u32_e32 v22, vcc, 0, v22, vcc
	v_add_co_u32_e32 v21, vcc, v18, v21
	v_addc_co_u32_e32 v22, vcc, v19, v22, vcc
	v_ashrrev_i32_e32 v23, 31, v20
	v_add_co_u32_e32 v1, vcc, v1, v23
	v_addc_co_u32_e32 v18, vcc, v20, v23, vcc
	v_xor_b32_e32 v1, v1, v23
	v_xor_b32_e32 v24, v18, v23
	v_mad_u64_u32 v[18:19], s[4:5], v1, v22, 0
	v_mul_hi_u32 v20, v1, v21
	v_add_co_u32_e32 v25, vcc, v20, v18
	v_addc_co_u32_e32 v26, vcc, 0, v19, vcc
	v_mad_u64_u32 v[20:21], s[4:5], v24, v21, 0
	v_add_co_u32_e32 v20, vcc, v25, v20
	v_mad_u64_u32 v[18:19], s[4:5], v24, v22, 0
	v_addc_co_u32_e32 v20, vcc, v26, v21, vcc
	v_addc_co_u32_e32 v19, vcc, 0, v19, vcc
	v_add_co_u32_e32 v20, vcc, v20, v18
	v_addc_co_u32_e32 v21, vcc, 0, v19, vcc
	v_mul_lo_u32 v22, s13, v20
	v_mul_lo_u32 v25, s12, v21
	v_mad_u64_u32 v[18:19], s[4:5], s12, v20, 0
	v_add3_u32 v19, v19, v25, v22
	v_sub_u32_e32 v22, v24, v19
	v_mov_b32_e32 v25, s13
	v_sub_co_u32_e32 v1, vcc, v1, v18
	v_subb_co_u32_e64 v18, s[4:5], v22, v25, vcc
	v_subrev_co_u32_e64 v22, s[4:5], s12, v1
	v_subbrev_co_u32_e64 v18, s[4:5], 0, v18, s[4:5]
	v_cmp_le_u32_e64 s[4:5], s13, v18
	v_cndmask_b32_e64 v25, 0, -1, s[4:5]
	v_cmp_le_u32_e64 s[4:5], s12, v22
	v_cndmask_b32_e64 v22, 0, -1, s[4:5]
	v_cmp_eq_u32_e64 s[4:5], s13, v18
	v_cndmask_b32_e64 v18, v25, v22, s[4:5]
	v_add_co_u32_e64 v22, s[4:5], 2, v20
	v_subb_co_u32_e32 v19, vcc, v24, v19, vcc
	v_addc_co_u32_e64 v25, s[4:5], 0, v21, s[4:5]
	v_cmp_le_u32_e32 vcc, s13, v19
	v_add_co_u32_e64 v26, s[4:5], 1, v20
	v_cndmask_b32_e64 v24, 0, -1, vcc
	v_cmp_le_u32_e32 vcc, s12, v1
	v_addc_co_u32_e64 v27, s[4:5], 0, v21, s[4:5]
	v_cndmask_b32_e64 v1, 0, -1, vcc
	v_cmp_eq_u32_e32 vcc, s13, v19
	v_cmp_ne_u32_e64 s[4:5], 0, v18
	v_cndmask_b32_e32 v1, v24, v1, vcc
	v_cndmask_b32_e64 v18, v27, v25, s[4:5]
	v_cmp_ne_u32_e32 vcc, 0, v1
	v_cndmask_b32_e32 v1, v21, v18, vcc
	v_cndmask_b32_e64 v18, v26, v22, s[4:5]
	v_cndmask_b32_e32 v18, v20, v18, vcc
	v_xor_b32_e32 v19, s10, v23
	v_xor_b32_e32 v18, v18, v19
	;; [unrolled: 1-line block ×3, first 2 shown]
	v_sub_co_u32_e32 v18, vcc, v18, v19
	v_subb_co_u32_e32 v19, vcc, v1, v19, vcc
                                        ; implicit-def: $vgpr1
.LBB1164_178:
	s_andn2_saveexec_b64 s[4:5], s[8:9]
	s_cbranch_execz .LBB1164_180
; %bb.179:
	v_cvt_f32_u32_e32 v18, s38
	s_sub_i32 s8, 0, s38
	v_rcp_iflag_f32_e32 v18, v18
	v_mul_f32_e32 v18, 0x4f7ffffe, v18
	v_cvt_u32_f32_e32 v18, v18
	v_mul_lo_u32 v19, s8, v18
	v_mul_hi_u32 v19, v18, v19
	v_add_u32_e32 v18, v18, v19
	v_mul_hi_u32 v18, v1, v18
	v_mul_lo_u32 v19, v18, s38
	v_sub_u32_e32 v1, v1, v19
	v_add_u32_e32 v20, 1, v18
	v_subrev_u32_e32 v19, s38, v1
	v_cmp_le_u32_e32 vcc, s38, v1
	v_cndmask_b32_e32 v1, v1, v19, vcc
	v_cndmask_b32_e32 v18, v18, v20, vcc
	v_add_u32_e32 v19, 1, v18
	v_cmp_le_u32_e32 vcc, s38, v1
	v_cndmask_b32_e32 v18, v18, v19, vcc
	v_mov_b32_e32 v19, 0
.LBB1164_180:
	s_or_b64 exec, exec, s[4:5]
.LBB1164_181:
	s_or_b64 exec, exec, s[6:7]
	v_or_b32_e32 v50, 0x900, v0
	v_cmp_gt_u32_e64 s[14:15], s80, v50
                                        ; implicit-def: $vgpr20_vgpr21
	s_and_saveexec_b64 s[6:7], s[14:15]
	s_cbranch_execz .LBB1164_187
; %bb.182:
	v_mov_b32_e32 v21, s77
	v_add_co_u32_e32 v1, vcc, s76, v50
	v_addc_co_u32_e32 v22, vcc, 0, v21, vcc
	v_mov_b32_e32 v20, 0
	v_or_b32_e32 v21, s39, v22
	v_cmp_ne_u64_e32 vcc, 0, v[20:21]
                                        ; implicit-def: $vgpr20_vgpr21
	s_and_saveexec_b64 s[4:5], vcc
	s_xor_b64 s[8:9], exec, s[4:5]
	s_cbranch_execz .LBB1164_184
; %bb.183:
	s_ashr_i32 s10, s39, 31
	s_add_u32 s4, s38, s10
	s_mov_b32 s11, s10
	s_addc_u32 s5, s39, s10
	s_xor_b64 s[12:13], s[4:5], s[10:11]
	v_cvt_f32_u32_e32 v20, s12
	v_cvt_f32_u32_e32 v21, s13
	s_sub_u32 s4, 0, s12
	s_subb_u32 s5, 0, s13
	v_madmk_f32 v20, v21, 0x4f800000, v20
	v_rcp_f32_e32 v20, v20
	v_mul_f32_e32 v20, 0x5f7ffffc, v20
	v_mul_f32_e32 v21, 0x2f800000, v20
	v_trunc_f32_e32 v21, v21
	v_madmk_f32 v20, v21, 0xcf800000, v20
	v_cvt_u32_f32_e32 v21, v21
	v_cvt_u32_f32_e32 v20, v20
	v_mul_lo_u32 v23, s4, v21
	v_mul_hi_u32 v25, s4, v20
	v_mul_lo_u32 v24, s5, v20
	v_add_u32_e32 v23, v25, v23
	v_mul_lo_u32 v26, s4, v20
	v_add_u32_e32 v23, v23, v24
	v_mul_lo_u32 v25, v20, v23
	v_mul_hi_u32 v27, v20, v26
	v_mul_hi_u32 v24, v20, v23
	v_add_co_u32_e32 v25, vcc, v27, v25
	v_addc_co_u32_e32 v24, vcc, 0, v24, vcc
	v_mul_hi_u32 v28, v21, v26
	v_mul_lo_u32 v26, v21, v26
	v_add_co_u32_e32 v25, vcc, v25, v26
	v_mul_hi_u32 v27, v21, v23
	v_addc_co_u32_e32 v24, vcc, v24, v28, vcc
	v_addc_co_u32_e32 v25, vcc, 0, v27, vcc
	v_mul_lo_u32 v23, v21, v23
	v_add_co_u32_e32 v23, vcc, v24, v23
	v_addc_co_u32_e32 v24, vcc, 0, v25, vcc
	v_add_co_u32_e32 v20, vcc, v20, v23
	v_addc_co_u32_e32 v21, vcc, v21, v24, vcc
	v_mul_lo_u32 v23, s4, v21
	v_mul_hi_u32 v24, s4, v20
	v_add_u32_e32 v23, v24, v23
	v_mul_lo_u32 v24, s5, v20
	v_add_u32_e32 v23, v23, v24
	v_mul_lo_u32 v25, s4, v20
	v_mul_hi_u32 v26, v21, v25
	v_mul_lo_u32 v27, v21, v25
	v_mul_lo_u32 v29, v20, v23
	v_mul_hi_u32 v25, v20, v25
	v_mul_hi_u32 v28, v20, v23
	v_add_co_u32_e32 v25, vcc, v25, v29
	v_addc_co_u32_e32 v28, vcc, 0, v28, vcc
	v_add_co_u32_e32 v25, vcc, v25, v27
	v_mul_hi_u32 v24, v21, v23
	v_addc_co_u32_e32 v25, vcc, v28, v26, vcc
	v_addc_co_u32_e32 v24, vcc, 0, v24, vcc
	v_mul_lo_u32 v23, v21, v23
	v_add_co_u32_e32 v23, vcc, v25, v23
	v_addc_co_u32_e32 v24, vcc, 0, v24, vcc
	v_add_co_u32_e32 v23, vcc, v20, v23
	v_addc_co_u32_e32 v24, vcc, v21, v24, vcc
	v_ashrrev_i32_e32 v25, 31, v22
	v_add_co_u32_e32 v1, vcc, v1, v25
	v_addc_co_u32_e32 v20, vcc, v22, v25, vcc
	v_xor_b32_e32 v1, v1, v25
	v_xor_b32_e32 v26, v20, v25
	v_mad_u64_u32 v[20:21], s[4:5], v1, v24, 0
	v_mul_hi_u32 v22, v1, v23
	v_add_co_u32_e32 v27, vcc, v22, v20
	v_addc_co_u32_e32 v28, vcc, 0, v21, vcc
	v_mad_u64_u32 v[22:23], s[4:5], v26, v23, 0
	v_add_co_u32_e32 v22, vcc, v27, v22
	v_mad_u64_u32 v[20:21], s[4:5], v26, v24, 0
	v_addc_co_u32_e32 v22, vcc, v28, v23, vcc
	v_addc_co_u32_e32 v21, vcc, 0, v21, vcc
	v_add_co_u32_e32 v22, vcc, v22, v20
	v_addc_co_u32_e32 v23, vcc, 0, v21, vcc
	v_mul_lo_u32 v24, s13, v22
	v_mul_lo_u32 v27, s12, v23
	v_mad_u64_u32 v[20:21], s[4:5], s12, v22, 0
	v_add3_u32 v21, v21, v27, v24
	v_sub_u32_e32 v24, v26, v21
	v_mov_b32_e32 v27, s13
	v_sub_co_u32_e32 v1, vcc, v1, v20
	v_subb_co_u32_e64 v20, s[4:5], v24, v27, vcc
	v_subrev_co_u32_e64 v24, s[4:5], s12, v1
	v_subbrev_co_u32_e64 v20, s[4:5], 0, v20, s[4:5]
	v_cmp_le_u32_e64 s[4:5], s13, v20
	v_cndmask_b32_e64 v27, 0, -1, s[4:5]
	v_cmp_le_u32_e64 s[4:5], s12, v24
	v_cndmask_b32_e64 v24, 0, -1, s[4:5]
	v_cmp_eq_u32_e64 s[4:5], s13, v20
	v_cndmask_b32_e64 v20, v27, v24, s[4:5]
	v_add_co_u32_e64 v24, s[4:5], 2, v22
	v_subb_co_u32_e32 v21, vcc, v26, v21, vcc
	v_addc_co_u32_e64 v27, s[4:5], 0, v23, s[4:5]
	v_cmp_le_u32_e32 vcc, s13, v21
	v_add_co_u32_e64 v28, s[4:5], 1, v22
	v_cndmask_b32_e64 v26, 0, -1, vcc
	v_cmp_le_u32_e32 vcc, s12, v1
	v_addc_co_u32_e64 v29, s[4:5], 0, v23, s[4:5]
	v_cndmask_b32_e64 v1, 0, -1, vcc
	v_cmp_eq_u32_e32 vcc, s13, v21
	v_cmp_ne_u32_e64 s[4:5], 0, v20
	v_cndmask_b32_e32 v1, v26, v1, vcc
	v_cndmask_b32_e64 v20, v29, v27, s[4:5]
	v_cmp_ne_u32_e32 vcc, 0, v1
	v_cndmask_b32_e32 v1, v23, v20, vcc
	v_cndmask_b32_e64 v20, v28, v24, s[4:5]
	v_cndmask_b32_e32 v20, v22, v20, vcc
	v_xor_b32_e32 v21, s10, v25
	v_xor_b32_e32 v20, v20, v21
	;; [unrolled: 1-line block ×3, first 2 shown]
	v_sub_co_u32_e32 v20, vcc, v20, v21
	v_subb_co_u32_e32 v21, vcc, v1, v21, vcc
                                        ; implicit-def: $vgpr1
.LBB1164_184:
	s_andn2_saveexec_b64 s[4:5], s[8:9]
	s_cbranch_execz .LBB1164_186
; %bb.185:
	v_cvt_f32_u32_e32 v20, s38
	s_sub_i32 s8, 0, s38
	v_rcp_iflag_f32_e32 v20, v20
	v_mul_f32_e32 v20, 0x4f7ffffe, v20
	v_cvt_u32_f32_e32 v20, v20
	v_mul_lo_u32 v21, s8, v20
	v_mul_hi_u32 v21, v20, v21
	v_add_u32_e32 v20, v20, v21
	v_mul_hi_u32 v20, v1, v20
	v_mul_lo_u32 v21, v20, s38
	v_sub_u32_e32 v1, v1, v21
	v_add_u32_e32 v22, 1, v20
	v_subrev_u32_e32 v21, s38, v1
	v_cmp_le_u32_e32 vcc, s38, v1
	v_cndmask_b32_e32 v1, v1, v21, vcc
	v_cndmask_b32_e32 v20, v20, v22, vcc
	v_add_u32_e32 v21, 1, v20
	v_cmp_le_u32_e32 vcc, s38, v1
	v_cndmask_b32_e32 v20, v20, v21, vcc
	v_mov_b32_e32 v21, 0
.LBB1164_186:
	s_or_b64 exec, exec, s[4:5]
.LBB1164_187:
	s_or_b64 exec, exec, s[6:7]
	v_or_b32_e32 v52, 0xa00, v0
	v_cmp_gt_u32_e64 s[12:13], s80, v52
                                        ; implicit-def: $vgpr22_vgpr23
	s_and_saveexec_b64 s[6:7], s[12:13]
	s_cbranch_execz .LBB1164_193
; %bb.188:
	v_mov_b32_e32 v23, s77
	v_add_co_u32_e32 v1, vcc, s76, v52
	v_addc_co_u32_e32 v24, vcc, 0, v23, vcc
	v_mov_b32_e32 v22, 0
	v_or_b32_e32 v23, s39, v24
	v_cmp_ne_u64_e32 vcc, 0, v[22:23]
                                        ; implicit-def: $vgpr22_vgpr23
	s_and_saveexec_b64 s[4:5], vcc
	s_xor_b64 s[8:9], exec, s[4:5]
	s_cbranch_execz .LBB1164_190
; %bb.189:
	s_ashr_i32 s10, s39, 31
	s_add_u32 s4, s38, s10
	s_mov_b32 s11, s10
	s_addc_u32 s5, s39, s10
	s_xor_b64 s[36:37], s[4:5], s[10:11]
	v_cvt_f32_u32_e32 v22, s36
	v_cvt_f32_u32_e32 v23, s37
	s_sub_u32 s4, 0, s36
	s_subb_u32 s5, 0, s37
	v_madmk_f32 v22, v23, 0x4f800000, v22
	v_rcp_f32_e32 v22, v22
	v_mul_f32_e32 v22, 0x5f7ffffc, v22
	v_mul_f32_e32 v23, 0x2f800000, v22
	v_trunc_f32_e32 v23, v23
	v_madmk_f32 v22, v23, 0xcf800000, v22
	v_cvt_u32_f32_e32 v23, v23
	v_cvt_u32_f32_e32 v22, v22
	v_mul_lo_u32 v25, s4, v23
	v_mul_hi_u32 v27, s4, v22
	v_mul_lo_u32 v26, s5, v22
	v_add_u32_e32 v25, v27, v25
	v_mul_lo_u32 v28, s4, v22
	v_add_u32_e32 v25, v25, v26
	v_mul_lo_u32 v27, v22, v25
	v_mul_hi_u32 v29, v22, v28
	v_mul_hi_u32 v26, v22, v25
	v_add_co_u32_e32 v27, vcc, v29, v27
	v_addc_co_u32_e32 v26, vcc, 0, v26, vcc
	v_mul_hi_u32 v30, v23, v28
	v_mul_lo_u32 v28, v23, v28
	v_add_co_u32_e32 v27, vcc, v27, v28
	v_mul_hi_u32 v29, v23, v25
	v_addc_co_u32_e32 v26, vcc, v26, v30, vcc
	v_addc_co_u32_e32 v27, vcc, 0, v29, vcc
	v_mul_lo_u32 v25, v23, v25
	v_add_co_u32_e32 v25, vcc, v26, v25
	v_addc_co_u32_e32 v26, vcc, 0, v27, vcc
	v_add_co_u32_e32 v22, vcc, v22, v25
	v_addc_co_u32_e32 v23, vcc, v23, v26, vcc
	v_mul_lo_u32 v25, s4, v23
	v_mul_hi_u32 v26, s4, v22
	v_add_u32_e32 v25, v26, v25
	v_mul_lo_u32 v26, s5, v22
	v_add_u32_e32 v25, v25, v26
	v_mul_lo_u32 v27, s4, v22
	v_mul_hi_u32 v28, v23, v27
	v_mul_lo_u32 v29, v23, v27
	v_mul_lo_u32 v31, v22, v25
	v_mul_hi_u32 v27, v22, v27
	v_mul_hi_u32 v30, v22, v25
	v_add_co_u32_e32 v27, vcc, v27, v31
	v_addc_co_u32_e32 v30, vcc, 0, v30, vcc
	v_add_co_u32_e32 v27, vcc, v27, v29
	v_mul_hi_u32 v26, v23, v25
	v_addc_co_u32_e32 v27, vcc, v30, v28, vcc
	v_addc_co_u32_e32 v26, vcc, 0, v26, vcc
	v_mul_lo_u32 v25, v23, v25
	v_add_co_u32_e32 v25, vcc, v27, v25
	v_addc_co_u32_e32 v26, vcc, 0, v26, vcc
	v_add_co_u32_e32 v25, vcc, v22, v25
	v_addc_co_u32_e32 v26, vcc, v23, v26, vcc
	v_ashrrev_i32_e32 v27, 31, v24
	v_add_co_u32_e32 v1, vcc, v1, v27
	v_addc_co_u32_e32 v22, vcc, v24, v27, vcc
	v_xor_b32_e32 v1, v1, v27
	v_xor_b32_e32 v28, v22, v27
	v_mad_u64_u32 v[22:23], s[4:5], v1, v26, 0
	v_mul_hi_u32 v24, v1, v25
	v_add_co_u32_e32 v29, vcc, v24, v22
	v_addc_co_u32_e32 v30, vcc, 0, v23, vcc
	v_mad_u64_u32 v[24:25], s[4:5], v28, v25, 0
	v_add_co_u32_e32 v24, vcc, v29, v24
	v_mad_u64_u32 v[22:23], s[4:5], v28, v26, 0
	v_addc_co_u32_e32 v24, vcc, v30, v25, vcc
	v_addc_co_u32_e32 v23, vcc, 0, v23, vcc
	v_add_co_u32_e32 v24, vcc, v24, v22
	v_addc_co_u32_e32 v25, vcc, 0, v23, vcc
	v_mul_lo_u32 v26, s37, v24
	v_mul_lo_u32 v29, s36, v25
	v_mad_u64_u32 v[22:23], s[4:5], s36, v24, 0
	v_add3_u32 v23, v23, v29, v26
	v_sub_u32_e32 v26, v28, v23
	v_mov_b32_e32 v29, s37
	v_sub_co_u32_e32 v1, vcc, v1, v22
	v_subb_co_u32_e64 v22, s[4:5], v26, v29, vcc
	v_subrev_co_u32_e64 v26, s[4:5], s36, v1
	v_subbrev_co_u32_e64 v22, s[4:5], 0, v22, s[4:5]
	v_cmp_le_u32_e64 s[4:5], s37, v22
	v_cndmask_b32_e64 v29, 0, -1, s[4:5]
	v_cmp_le_u32_e64 s[4:5], s36, v26
	v_cndmask_b32_e64 v26, 0, -1, s[4:5]
	v_cmp_eq_u32_e64 s[4:5], s37, v22
	v_cndmask_b32_e64 v22, v29, v26, s[4:5]
	v_add_co_u32_e64 v26, s[4:5], 2, v24
	v_subb_co_u32_e32 v23, vcc, v28, v23, vcc
	v_addc_co_u32_e64 v29, s[4:5], 0, v25, s[4:5]
	v_cmp_le_u32_e32 vcc, s37, v23
	v_add_co_u32_e64 v30, s[4:5], 1, v24
	v_cndmask_b32_e64 v28, 0, -1, vcc
	v_cmp_le_u32_e32 vcc, s36, v1
	v_addc_co_u32_e64 v31, s[4:5], 0, v25, s[4:5]
	v_cndmask_b32_e64 v1, 0, -1, vcc
	v_cmp_eq_u32_e32 vcc, s37, v23
	v_cmp_ne_u32_e64 s[4:5], 0, v22
	v_cndmask_b32_e32 v1, v28, v1, vcc
	v_cndmask_b32_e64 v22, v31, v29, s[4:5]
	v_cmp_ne_u32_e32 vcc, 0, v1
	v_cndmask_b32_e32 v1, v25, v22, vcc
	v_cndmask_b32_e64 v22, v30, v26, s[4:5]
	v_cndmask_b32_e32 v22, v24, v22, vcc
	v_xor_b32_e32 v23, s10, v27
	v_xor_b32_e32 v22, v22, v23
	;; [unrolled: 1-line block ×3, first 2 shown]
	v_sub_co_u32_e32 v22, vcc, v22, v23
	v_subb_co_u32_e32 v23, vcc, v1, v23, vcc
                                        ; implicit-def: $vgpr1
.LBB1164_190:
	s_andn2_saveexec_b64 s[4:5], s[8:9]
	s_cbranch_execz .LBB1164_192
; %bb.191:
	v_cvt_f32_u32_e32 v22, s38
	s_sub_i32 s8, 0, s38
	v_rcp_iflag_f32_e32 v22, v22
	v_mul_f32_e32 v22, 0x4f7ffffe, v22
	v_cvt_u32_f32_e32 v22, v22
	v_mul_lo_u32 v23, s8, v22
	v_mul_hi_u32 v23, v22, v23
	v_add_u32_e32 v22, v22, v23
	v_mul_hi_u32 v22, v1, v22
	v_mul_lo_u32 v23, v22, s38
	v_sub_u32_e32 v1, v1, v23
	v_add_u32_e32 v24, 1, v22
	v_subrev_u32_e32 v23, s38, v1
	v_cmp_le_u32_e32 vcc, s38, v1
	v_cndmask_b32_e32 v1, v1, v23, vcc
	v_cndmask_b32_e32 v22, v22, v24, vcc
	v_add_u32_e32 v23, 1, v22
	v_cmp_le_u32_e32 vcc, s38, v1
	v_cndmask_b32_e32 v22, v22, v23, vcc
	v_mov_b32_e32 v23, 0
.LBB1164_192:
	s_or_b64 exec, exec, s[4:5]
.LBB1164_193:
	s_or_b64 exec, exec, s[6:7]
	v_or_b32_e32 v54, 0xb00, v0
	v_cmp_gt_u32_e64 s[10:11], s80, v54
                                        ; implicit-def: $vgpr24_vgpr25
	s_and_saveexec_b64 s[6:7], s[10:11]
	s_cbranch_execz .LBB1164_199
; %bb.194:
	v_mov_b32_e32 v25, s77
	v_add_co_u32_e32 v1, vcc, s76, v54
	v_addc_co_u32_e32 v26, vcc, 0, v25, vcc
	v_mov_b32_e32 v24, 0
	v_or_b32_e32 v25, s39, v26
	v_cmp_ne_u64_e32 vcc, 0, v[24:25]
                                        ; implicit-def: $vgpr24_vgpr25
	s_and_saveexec_b64 s[4:5], vcc
	s_xor_b64 s[8:9], exec, s[4:5]
	s_cbranch_execz .LBB1164_196
; %bb.195:
	s_ashr_i32 s36, s39, 31
	s_add_u32 s4, s38, s36
	s_mov_b32 s37, s36
	s_addc_u32 s5, s39, s36
	s_xor_b64 s[62:63], s[4:5], s[36:37]
	v_cvt_f32_u32_e32 v24, s62
	v_cvt_f32_u32_e32 v25, s63
	s_sub_u32 s4, 0, s62
	s_subb_u32 s5, 0, s63
	v_madmk_f32 v24, v25, 0x4f800000, v24
	v_rcp_f32_e32 v24, v24
	v_mul_f32_e32 v24, 0x5f7ffffc, v24
	v_mul_f32_e32 v25, 0x2f800000, v24
	v_trunc_f32_e32 v25, v25
	v_madmk_f32 v24, v25, 0xcf800000, v24
	v_cvt_u32_f32_e32 v25, v25
	v_cvt_u32_f32_e32 v24, v24
	v_mul_lo_u32 v27, s4, v25
	v_mul_hi_u32 v29, s4, v24
	v_mul_lo_u32 v28, s5, v24
	v_add_u32_e32 v27, v29, v27
	v_mul_lo_u32 v30, s4, v24
	v_add_u32_e32 v27, v27, v28
	v_mul_lo_u32 v29, v24, v27
	v_mul_hi_u32 v31, v24, v30
	v_mul_hi_u32 v28, v24, v27
	v_add_co_u32_e32 v29, vcc, v31, v29
	v_addc_co_u32_e32 v28, vcc, 0, v28, vcc
	v_mul_hi_u32 v32, v25, v30
	v_mul_lo_u32 v30, v25, v30
	v_add_co_u32_e32 v29, vcc, v29, v30
	v_mul_hi_u32 v31, v25, v27
	v_addc_co_u32_e32 v28, vcc, v28, v32, vcc
	v_addc_co_u32_e32 v29, vcc, 0, v31, vcc
	v_mul_lo_u32 v27, v25, v27
	v_add_co_u32_e32 v27, vcc, v28, v27
	v_addc_co_u32_e32 v28, vcc, 0, v29, vcc
	v_add_co_u32_e32 v24, vcc, v24, v27
	v_addc_co_u32_e32 v25, vcc, v25, v28, vcc
	v_mul_lo_u32 v27, s4, v25
	v_mul_hi_u32 v28, s4, v24
	v_add_u32_e32 v27, v28, v27
	v_mul_lo_u32 v28, s5, v24
	v_add_u32_e32 v27, v27, v28
	v_mul_lo_u32 v29, s4, v24
	v_mul_hi_u32 v30, v25, v29
	v_mul_lo_u32 v31, v25, v29
	v_mul_lo_u32 v33, v24, v27
	v_mul_hi_u32 v29, v24, v29
	v_mul_hi_u32 v32, v24, v27
	v_add_co_u32_e32 v29, vcc, v29, v33
	v_addc_co_u32_e32 v32, vcc, 0, v32, vcc
	v_add_co_u32_e32 v29, vcc, v29, v31
	v_mul_hi_u32 v28, v25, v27
	v_addc_co_u32_e32 v29, vcc, v32, v30, vcc
	v_addc_co_u32_e32 v28, vcc, 0, v28, vcc
	v_mul_lo_u32 v27, v25, v27
	v_add_co_u32_e32 v27, vcc, v29, v27
	v_addc_co_u32_e32 v28, vcc, 0, v28, vcc
	v_add_co_u32_e32 v27, vcc, v24, v27
	v_addc_co_u32_e32 v28, vcc, v25, v28, vcc
	v_ashrrev_i32_e32 v29, 31, v26
	v_add_co_u32_e32 v1, vcc, v1, v29
	v_addc_co_u32_e32 v24, vcc, v26, v29, vcc
	v_xor_b32_e32 v1, v1, v29
	v_xor_b32_e32 v30, v24, v29
	v_mad_u64_u32 v[24:25], s[4:5], v1, v28, 0
	v_mul_hi_u32 v26, v1, v27
	v_add_co_u32_e32 v31, vcc, v26, v24
	v_addc_co_u32_e32 v32, vcc, 0, v25, vcc
	v_mad_u64_u32 v[26:27], s[4:5], v30, v27, 0
	v_add_co_u32_e32 v26, vcc, v31, v26
	v_mad_u64_u32 v[24:25], s[4:5], v30, v28, 0
	v_addc_co_u32_e32 v26, vcc, v32, v27, vcc
	v_addc_co_u32_e32 v25, vcc, 0, v25, vcc
	v_add_co_u32_e32 v26, vcc, v26, v24
	v_addc_co_u32_e32 v27, vcc, 0, v25, vcc
	v_mul_lo_u32 v28, s63, v26
	v_mul_lo_u32 v31, s62, v27
	v_mad_u64_u32 v[24:25], s[4:5], s62, v26, 0
	v_add3_u32 v25, v25, v31, v28
	v_sub_u32_e32 v28, v30, v25
	v_mov_b32_e32 v31, s63
	v_sub_co_u32_e32 v1, vcc, v1, v24
	v_subb_co_u32_e64 v24, s[4:5], v28, v31, vcc
	v_subrev_co_u32_e64 v28, s[4:5], s62, v1
	v_subbrev_co_u32_e64 v24, s[4:5], 0, v24, s[4:5]
	v_cmp_le_u32_e64 s[4:5], s63, v24
	v_cndmask_b32_e64 v31, 0, -1, s[4:5]
	v_cmp_le_u32_e64 s[4:5], s62, v28
	v_cndmask_b32_e64 v28, 0, -1, s[4:5]
	v_cmp_eq_u32_e64 s[4:5], s63, v24
	v_cndmask_b32_e64 v24, v31, v28, s[4:5]
	v_add_co_u32_e64 v28, s[4:5], 2, v26
	v_subb_co_u32_e32 v25, vcc, v30, v25, vcc
	v_addc_co_u32_e64 v31, s[4:5], 0, v27, s[4:5]
	v_cmp_le_u32_e32 vcc, s63, v25
	v_add_co_u32_e64 v32, s[4:5], 1, v26
	v_cndmask_b32_e64 v30, 0, -1, vcc
	v_cmp_le_u32_e32 vcc, s62, v1
	v_addc_co_u32_e64 v33, s[4:5], 0, v27, s[4:5]
	v_cndmask_b32_e64 v1, 0, -1, vcc
	v_cmp_eq_u32_e32 vcc, s63, v25
	v_cmp_ne_u32_e64 s[4:5], 0, v24
	v_cndmask_b32_e32 v1, v30, v1, vcc
	v_cndmask_b32_e64 v24, v33, v31, s[4:5]
	v_cmp_ne_u32_e32 vcc, 0, v1
	v_cndmask_b32_e32 v1, v27, v24, vcc
	v_cndmask_b32_e64 v24, v32, v28, s[4:5]
	v_cndmask_b32_e32 v24, v26, v24, vcc
	v_xor_b32_e32 v25, s36, v29
	v_xor_b32_e32 v24, v24, v25
	;; [unrolled: 1-line block ×3, first 2 shown]
	v_sub_co_u32_e32 v24, vcc, v24, v25
	v_subb_co_u32_e32 v25, vcc, v1, v25, vcc
                                        ; implicit-def: $vgpr1
.LBB1164_196:
	s_andn2_saveexec_b64 s[4:5], s[8:9]
	s_cbranch_execz .LBB1164_198
; %bb.197:
	v_cvt_f32_u32_e32 v24, s38
	s_sub_i32 s8, 0, s38
	v_rcp_iflag_f32_e32 v24, v24
	v_mul_f32_e32 v24, 0x4f7ffffe, v24
	v_cvt_u32_f32_e32 v24, v24
	v_mul_lo_u32 v25, s8, v24
	v_mul_hi_u32 v25, v24, v25
	v_add_u32_e32 v24, v24, v25
	v_mul_hi_u32 v24, v1, v24
	v_mul_lo_u32 v25, v24, s38
	v_sub_u32_e32 v1, v1, v25
	v_add_u32_e32 v26, 1, v24
	v_subrev_u32_e32 v25, s38, v1
	v_cmp_le_u32_e32 vcc, s38, v1
	v_cndmask_b32_e32 v1, v1, v25, vcc
	v_cndmask_b32_e32 v24, v24, v26, vcc
	v_add_u32_e32 v25, 1, v24
	v_cmp_le_u32_e32 vcc, s38, v1
	v_cndmask_b32_e32 v24, v24, v25, vcc
	v_mov_b32_e32 v25, 0
.LBB1164_198:
	s_or_b64 exec, exec, s[4:5]
.LBB1164_199:
	s_or_b64 exec, exec, s[6:7]
	v_or_b32_e32 v56, 0xc00, v0
	v_cmp_gt_u32_e64 s[8:9], s80, v56
                                        ; implicit-def: $vgpr26_vgpr27
	s_and_saveexec_b64 s[6:7], s[8:9]
	s_cbranch_execz .LBB1164_205
; %bb.200:
	v_mov_b32_e32 v27, s77
	v_add_co_u32_e32 v1, vcc, s76, v56
	v_addc_co_u32_e32 v28, vcc, 0, v27, vcc
	v_mov_b32_e32 v26, 0
	v_or_b32_e32 v27, s39, v28
	v_cmp_ne_u64_e32 vcc, 0, v[26:27]
                                        ; implicit-def: $vgpr26_vgpr27
	s_and_saveexec_b64 s[4:5], vcc
	s_xor_b64 s[36:37], exec, s[4:5]
	s_cbranch_execz .LBB1164_202
; %bb.201:
	s_ashr_i32 s62, s39, 31
	s_add_u32 s4, s38, s62
	s_mov_b32 s63, s62
	s_addc_u32 s5, s39, s62
	s_xor_b64 s[70:71], s[4:5], s[62:63]
	v_cvt_f32_u32_e32 v26, s70
	v_cvt_f32_u32_e32 v27, s71
	s_sub_u32 s4, 0, s70
	s_subb_u32 s5, 0, s71
	v_madmk_f32 v26, v27, 0x4f800000, v26
	v_rcp_f32_e32 v26, v26
	v_mul_f32_e32 v26, 0x5f7ffffc, v26
	v_mul_f32_e32 v27, 0x2f800000, v26
	v_trunc_f32_e32 v27, v27
	v_madmk_f32 v26, v27, 0xcf800000, v26
	v_cvt_u32_f32_e32 v27, v27
	v_cvt_u32_f32_e32 v26, v26
	v_mul_lo_u32 v29, s4, v27
	v_mul_hi_u32 v31, s4, v26
	v_mul_lo_u32 v30, s5, v26
	v_add_u32_e32 v29, v31, v29
	v_mul_lo_u32 v32, s4, v26
	v_add_u32_e32 v29, v29, v30
	v_mul_lo_u32 v31, v26, v29
	v_mul_hi_u32 v33, v26, v32
	v_mul_hi_u32 v30, v26, v29
	v_add_co_u32_e32 v31, vcc, v33, v31
	v_addc_co_u32_e32 v30, vcc, 0, v30, vcc
	v_mul_hi_u32 v35, v27, v32
	v_mul_lo_u32 v32, v27, v32
	v_add_co_u32_e32 v31, vcc, v31, v32
	v_mul_hi_u32 v33, v27, v29
	v_addc_co_u32_e32 v30, vcc, v30, v35, vcc
	v_addc_co_u32_e32 v31, vcc, 0, v33, vcc
	v_mul_lo_u32 v29, v27, v29
	v_add_co_u32_e32 v29, vcc, v30, v29
	v_addc_co_u32_e32 v30, vcc, 0, v31, vcc
	v_add_co_u32_e32 v26, vcc, v26, v29
	v_addc_co_u32_e32 v27, vcc, v27, v30, vcc
	v_mul_lo_u32 v29, s4, v27
	v_mul_hi_u32 v30, s4, v26
	v_add_u32_e32 v29, v30, v29
	v_mul_lo_u32 v30, s5, v26
	v_add_u32_e32 v29, v29, v30
	v_mul_lo_u32 v31, s4, v26
	v_mul_hi_u32 v32, v27, v31
	v_mul_lo_u32 v33, v27, v31
	v_mul_lo_u32 v37, v26, v29
	v_mul_hi_u32 v31, v26, v31
	v_mul_hi_u32 v35, v26, v29
	v_add_co_u32_e32 v31, vcc, v31, v37
	v_addc_co_u32_e32 v35, vcc, 0, v35, vcc
	v_add_co_u32_e32 v31, vcc, v31, v33
	v_mul_hi_u32 v30, v27, v29
	v_addc_co_u32_e32 v31, vcc, v35, v32, vcc
	v_addc_co_u32_e32 v30, vcc, 0, v30, vcc
	v_mul_lo_u32 v29, v27, v29
	v_add_co_u32_e32 v29, vcc, v31, v29
	v_addc_co_u32_e32 v30, vcc, 0, v30, vcc
	v_add_co_u32_e32 v29, vcc, v26, v29
	v_addc_co_u32_e32 v30, vcc, v27, v30, vcc
	v_ashrrev_i32_e32 v31, 31, v28
	v_add_co_u32_e32 v1, vcc, v1, v31
	v_addc_co_u32_e32 v26, vcc, v28, v31, vcc
	v_xor_b32_e32 v1, v1, v31
	v_xor_b32_e32 v32, v26, v31
	v_mad_u64_u32 v[26:27], s[4:5], v1, v30, 0
	v_mul_hi_u32 v28, v1, v29
	v_add_co_u32_e32 v33, vcc, v28, v26
	v_addc_co_u32_e32 v35, vcc, 0, v27, vcc
	v_mad_u64_u32 v[28:29], s[4:5], v32, v29, 0
	v_add_co_u32_e32 v28, vcc, v33, v28
	v_mad_u64_u32 v[26:27], s[4:5], v32, v30, 0
	v_addc_co_u32_e32 v28, vcc, v35, v29, vcc
	v_addc_co_u32_e32 v27, vcc, 0, v27, vcc
	v_add_co_u32_e32 v28, vcc, v28, v26
	v_addc_co_u32_e32 v29, vcc, 0, v27, vcc
	v_mul_lo_u32 v30, s71, v28
	v_mul_lo_u32 v33, s70, v29
	v_mad_u64_u32 v[26:27], s[4:5], s70, v28, 0
	v_add3_u32 v27, v27, v33, v30
	v_sub_u32_e32 v30, v32, v27
	v_mov_b32_e32 v33, s71
	v_sub_co_u32_e32 v1, vcc, v1, v26
	v_subb_co_u32_e64 v26, s[4:5], v30, v33, vcc
	v_subrev_co_u32_e64 v30, s[4:5], s70, v1
	v_subbrev_co_u32_e64 v26, s[4:5], 0, v26, s[4:5]
	v_cmp_le_u32_e64 s[4:5], s71, v26
	v_cndmask_b32_e64 v33, 0, -1, s[4:5]
	v_cmp_le_u32_e64 s[4:5], s70, v30
	v_cndmask_b32_e64 v30, 0, -1, s[4:5]
	v_cmp_eq_u32_e64 s[4:5], s71, v26
	v_cndmask_b32_e64 v26, v33, v30, s[4:5]
	v_add_co_u32_e64 v30, s[4:5], 2, v28
	v_subb_co_u32_e32 v27, vcc, v32, v27, vcc
	v_addc_co_u32_e64 v33, s[4:5], 0, v29, s[4:5]
	v_cmp_le_u32_e32 vcc, s71, v27
	v_add_co_u32_e64 v35, s[4:5], 1, v28
	v_cndmask_b32_e64 v32, 0, -1, vcc
	v_cmp_le_u32_e32 vcc, s70, v1
	v_addc_co_u32_e64 v37, s[4:5], 0, v29, s[4:5]
	v_cndmask_b32_e64 v1, 0, -1, vcc
	v_cmp_eq_u32_e32 vcc, s71, v27
	v_cmp_ne_u32_e64 s[4:5], 0, v26
	v_cndmask_b32_e32 v1, v32, v1, vcc
	v_cndmask_b32_e64 v26, v37, v33, s[4:5]
	v_cmp_ne_u32_e32 vcc, 0, v1
	v_cndmask_b32_e32 v1, v29, v26, vcc
	v_cndmask_b32_e64 v26, v35, v30, s[4:5]
	v_cndmask_b32_e32 v26, v28, v26, vcc
	v_xor_b32_e32 v27, s62, v31
	v_xor_b32_e32 v26, v26, v27
	;; [unrolled: 1-line block ×3, first 2 shown]
	v_sub_co_u32_e32 v26, vcc, v26, v27
	v_subb_co_u32_e32 v27, vcc, v1, v27, vcc
                                        ; implicit-def: $vgpr1
.LBB1164_202:
	s_andn2_saveexec_b64 s[4:5], s[36:37]
	s_cbranch_execz .LBB1164_204
; %bb.203:
	v_cvt_f32_u32_e32 v26, s38
	s_sub_i32 s36, 0, s38
	v_rcp_iflag_f32_e32 v26, v26
	v_mul_f32_e32 v26, 0x4f7ffffe, v26
	v_cvt_u32_f32_e32 v26, v26
	v_mul_lo_u32 v27, s36, v26
	v_mul_hi_u32 v27, v26, v27
	v_add_u32_e32 v26, v26, v27
	v_mul_hi_u32 v26, v1, v26
	v_mul_lo_u32 v27, v26, s38
	v_sub_u32_e32 v1, v1, v27
	v_add_u32_e32 v28, 1, v26
	v_subrev_u32_e32 v27, s38, v1
	v_cmp_le_u32_e32 vcc, s38, v1
	v_cndmask_b32_e32 v1, v1, v27, vcc
	v_cndmask_b32_e32 v26, v26, v28, vcc
	v_add_u32_e32 v27, 1, v26
	v_cmp_le_u32_e32 vcc, s38, v1
	v_cndmask_b32_e32 v26, v26, v27, vcc
	v_mov_b32_e32 v27, 0
.LBB1164_204:
	s_or_b64 exec, exec, s[4:5]
.LBB1164_205:
	s_or_b64 exec, exec, s[6:7]
	v_or_b32_e32 v58, 0xd00, v0
	v_cmp_gt_u32_e64 s[6:7], s80, v58
                                        ; implicit-def: $vgpr28_vgpr29
	s_and_saveexec_b64 s[36:37], s[6:7]
	s_cbranch_execz .LBB1164_211
; %bb.206:
	v_mov_b32_e32 v29, s77
	v_add_co_u32_e32 v1, vcc, s76, v58
	v_addc_co_u32_e32 v30, vcc, 0, v29, vcc
	v_mov_b32_e32 v28, 0
	v_or_b32_e32 v29, s39, v30
	v_cmp_ne_u64_e32 vcc, 0, v[28:29]
                                        ; implicit-def: $vgpr28_vgpr29
	s_and_saveexec_b64 s[4:5], vcc
	s_xor_b64 s[62:63], exec, s[4:5]
	s_cbranch_execz .LBB1164_208
; %bb.207:
	s_ashr_i32 s70, s39, 31
	s_add_u32 s4, s38, s70
	s_mov_b32 s71, s70
	s_addc_u32 s5, s39, s70
	s_xor_b64 s[72:73], s[4:5], s[70:71]
	v_cvt_f32_u32_e32 v28, s72
	v_cvt_f32_u32_e32 v29, s73
	s_sub_u32 s4, 0, s72
	s_subb_u32 s5, 0, s73
	v_madmk_f32 v28, v29, 0x4f800000, v28
	v_rcp_f32_e32 v28, v28
	v_mul_f32_e32 v28, 0x5f7ffffc, v28
	v_mul_f32_e32 v29, 0x2f800000, v28
	v_trunc_f32_e32 v29, v29
	v_madmk_f32 v28, v29, 0xcf800000, v28
	v_cvt_u32_f32_e32 v29, v29
	v_cvt_u32_f32_e32 v28, v28
	v_mul_lo_u32 v31, s4, v29
	v_mul_hi_u32 v33, s4, v28
	v_mul_lo_u32 v32, s5, v28
	v_add_u32_e32 v31, v33, v31
	v_mul_lo_u32 v35, s4, v28
	v_add_u32_e32 v31, v31, v32
	v_mul_lo_u32 v33, v28, v31
	v_mul_hi_u32 v37, v28, v35
	v_mul_hi_u32 v32, v28, v31
	v_add_co_u32_e32 v33, vcc, v37, v33
	v_addc_co_u32_e32 v32, vcc, 0, v32, vcc
	v_mul_hi_u32 v39, v29, v35
	v_mul_lo_u32 v35, v29, v35
	v_add_co_u32_e32 v33, vcc, v33, v35
	v_mul_hi_u32 v37, v29, v31
	v_addc_co_u32_e32 v32, vcc, v32, v39, vcc
	v_addc_co_u32_e32 v33, vcc, 0, v37, vcc
	v_mul_lo_u32 v31, v29, v31
	v_add_co_u32_e32 v31, vcc, v32, v31
	v_addc_co_u32_e32 v32, vcc, 0, v33, vcc
	v_add_co_u32_e32 v28, vcc, v28, v31
	v_addc_co_u32_e32 v29, vcc, v29, v32, vcc
	v_mul_lo_u32 v31, s4, v29
	v_mul_hi_u32 v32, s4, v28
	v_add_u32_e32 v31, v32, v31
	v_mul_lo_u32 v32, s5, v28
	v_add_u32_e32 v31, v31, v32
	v_mul_lo_u32 v33, s4, v28
	v_mul_hi_u32 v35, v29, v33
	v_mul_lo_u32 v37, v29, v33
	v_mul_lo_u32 v41, v28, v31
	v_mul_hi_u32 v33, v28, v33
	v_mul_hi_u32 v39, v28, v31
	v_add_co_u32_e32 v33, vcc, v33, v41
	v_addc_co_u32_e32 v39, vcc, 0, v39, vcc
	v_add_co_u32_e32 v33, vcc, v33, v37
	v_mul_hi_u32 v32, v29, v31
	v_addc_co_u32_e32 v33, vcc, v39, v35, vcc
	v_addc_co_u32_e32 v32, vcc, 0, v32, vcc
	v_mul_lo_u32 v31, v29, v31
	v_add_co_u32_e32 v31, vcc, v33, v31
	v_addc_co_u32_e32 v32, vcc, 0, v32, vcc
	v_add_co_u32_e32 v31, vcc, v28, v31
	v_addc_co_u32_e32 v32, vcc, v29, v32, vcc
	v_ashrrev_i32_e32 v33, 31, v30
	v_add_co_u32_e32 v1, vcc, v1, v33
	v_addc_co_u32_e32 v28, vcc, v30, v33, vcc
	v_xor_b32_e32 v1, v1, v33
	v_xor_b32_e32 v35, v28, v33
	v_mad_u64_u32 v[28:29], s[4:5], v1, v32, 0
	v_mul_hi_u32 v30, v1, v31
	v_add_co_u32_e32 v37, vcc, v30, v28
	v_addc_co_u32_e32 v39, vcc, 0, v29, vcc
	v_mad_u64_u32 v[30:31], s[4:5], v35, v31, 0
	v_add_co_u32_e32 v30, vcc, v37, v30
	v_mad_u64_u32 v[28:29], s[4:5], v35, v32, 0
	v_addc_co_u32_e32 v30, vcc, v39, v31, vcc
	v_addc_co_u32_e32 v29, vcc, 0, v29, vcc
	v_add_co_u32_e32 v30, vcc, v30, v28
	v_addc_co_u32_e32 v31, vcc, 0, v29, vcc
	v_mul_lo_u32 v32, s73, v30
	v_mul_lo_u32 v37, s72, v31
	v_mad_u64_u32 v[28:29], s[4:5], s72, v30, 0
	v_add3_u32 v29, v29, v37, v32
	v_sub_u32_e32 v32, v35, v29
	v_mov_b32_e32 v37, s73
	v_sub_co_u32_e32 v1, vcc, v1, v28
	v_subb_co_u32_e64 v28, s[4:5], v32, v37, vcc
	v_subrev_co_u32_e64 v32, s[4:5], s72, v1
	v_subbrev_co_u32_e64 v28, s[4:5], 0, v28, s[4:5]
	v_cmp_le_u32_e64 s[4:5], s73, v28
	v_cndmask_b32_e64 v37, 0, -1, s[4:5]
	v_cmp_le_u32_e64 s[4:5], s72, v32
	v_cndmask_b32_e64 v32, 0, -1, s[4:5]
	v_cmp_eq_u32_e64 s[4:5], s73, v28
	v_cndmask_b32_e64 v28, v37, v32, s[4:5]
	v_add_co_u32_e64 v32, s[4:5], 2, v30
	v_subb_co_u32_e32 v29, vcc, v35, v29, vcc
	v_addc_co_u32_e64 v37, s[4:5], 0, v31, s[4:5]
	v_cmp_le_u32_e32 vcc, s73, v29
	v_add_co_u32_e64 v39, s[4:5], 1, v30
	v_cndmask_b32_e64 v35, 0, -1, vcc
	v_cmp_le_u32_e32 vcc, s72, v1
	v_addc_co_u32_e64 v41, s[4:5], 0, v31, s[4:5]
	v_cndmask_b32_e64 v1, 0, -1, vcc
	v_cmp_eq_u32_e32 vcc, s73, v29
	v_cmp_ne_u32_e64 s[4:5], 0, v28
	v_cndmask_b32_e32 v1, v35, v1, vcc
	v_cndmask_b32_e64 v28, v41, v37, s[4:5]
	v_cmp_ne_u32_e32 vcc, 0, v1
	v_cndmask_b32_e32 v1, v31, v28, vcc
	v_cndmask_b32_e64 v28, v39, v32, s[4:5]
	v_cndmask_b32_e32 v28, v30, v28, vcc
	v_xor_b32_e32 v29, s70, v33
	v_xor_b32_e32 v28, v28, v29
	;; [unrolled: 1-line block ×3, first 2 shown]
	v_sub_co_u32_e32 v28, vcc, v28, v29
	v_subb_co_u32_e32 v29, vcc, v1, v29, vcc
                                        ; implicit-def: $vgpr1
.LBB1164_208:
	s_andn2_saveexec_b64 s[4:5], s[62:63]
	s_cbranch_execz .LBB1164_210
; %bb.209:
	v_cvt_f32_u32_e32 v28, s38
	s_sub_i32 s62, 0, s38
	v_rcp_iflag_f32_e32 v28, v28
	v_mul_f32_e32 v28, 0x4f7ffffe, v28
	v_cvt_u32_f32_e32 v28, v28
	v_mul_lo_u32 v29, s62, v28
	v_mul_hi_u32 v29, v28, v29
	v_add_u32_e32 v28, v28, v29
	v_mul_hi_u32 v28, v1, v28
	v_mul_lo_u32 v29, v28, s38
	v_sub_u32_e32 v1, v1, v29
	v_add_u32_e32 v30, 1, v28
	v_subrev_u32_e32 v29, s38, v1
	v_cmp_le_u32_e32 vcc, s38, v1
	v_cndmask_b32_e32 v1, v1, v29, vcc
	v_cndmask_b32_e32 v28, v28, v30, vcc
	v_add_u32_e32 v29, 1, v28
	v_cmp_le_u32_e32 vcc, s38, v1
	v_cndmask_b32_e32 v28, v28, v29, vcc
	v_mov_b32_e32 v29, 0
.LBB1164_210:
	s_or_b64 exec, exec, s[4:5]
.LBB1164_211:
	s_or_b64 exec, exec, s[36:37]
	v_or_b32_e32 v60, 0xe00, v0
	v_cmp_gt_u32_e64 s[4:5], s80, v60
                                        ; implicit-def: $vgpr30_vgpr31
	s_and_saveexec_b64 s[62:63], s[4:5]
	s_cbranch_execz .LBB1164_217
; %bb.212:
	v_mov_b32_e32 v31, s77
	v_add_co_u32_e32 v1, vcc, s76, v60
	v_addc_co_u32_e32 v32, vcc, 0, v31, vcc
	v_mov_b32_e32 v30, 0
	v_or_b32_e32 v31, s39, v32
	v_cmp_ne_u64_e32 vcc, 0, v[30:31]
                                        ; implicit-def: $vgpr30_vgpr31
	s_and_saveexec_b64 s[36:37], vcc
	s_xor_b64 s[70:71], exec, s[36:37]
	s_cbranch_execz .LBB1164_214
; %bb.213:
	s_ashr_i32 s72, s39, 31
	s_add_u32 s36, s38, s72
	s_mov_b32 s73, s72
	s_addc_u32 s37, s39, s72
	s_xor_b64 s[74:75], s[36:37], s[72:73]
	v_cvt_f32_u32_e32 v30, s74
	v_cvt_f32_u32_e32 v31, s75
	s_sub_u32 s36, 0, s74
	s_subb_u32 s37, 0, s75
	v_madmk_f32 v30, v31, 0x4f800000, v30
	v_rcp_f32_e32 v30, v30
	v_mul_f32_e32 v30, 0x5f7ffffc, v30
	v_mul_f32_e32 v31, 0x2f800000, v30
	v_trunc_f32_e32 v31, v31
	v_madmk_f32 v30, v31, 0xcf800000, v30
	v_cvt_u32_f32_e32 v31, v31
	v_cvt_u32_f32_e32 v30, v30
	v_mul_lo_u32 v33, s36, v31
	v_mul_hi_u32 v37, s36, v30
	v_mul_lo_u32 v35, s37, v30
	v_add_u32_e32 v33, v37, v33
	v_mul_lo_u32 v39, s36, v30
	v_add_u32_e32 v33, v33, v35
	v_mul_lo_u32 v37, v30, v33
	v_mul_hi_u32 v41, v30, v39
	v_mul_hi_u32 v35, v30, v33
	v_add_co_u32_e32 v37, vcc, v41, v37
	v_addc_co_u32_e32 v35, vcc, 0, v35, vcc
	v_mul_hi_u32 v43, v31, v39
	v_mul_lo_u32 v39, v31, v39
	v_add_co_u32_e32 v37, vcc, v37, v39
	v_mul_hi_u32 v41, v31, v33
	v_addc_co_u32_e32 v35, vcc, v35, v43, vcc
	v_addc_co_u32_e32 v37, vcc, 0, v41, vcc
	v_mul_lo_u32 v33, v31, v33
	v_add_co_u32_e32 v33, vcc, v35, v33
	v_addc_co_u32_e32 v35, vcc, 0, v37, vcc
	v_add_co_u32_e32 v30, vcc, v30, v33
	v_addc_co_u32_e32 v31, vcc, v31, v35, vcc
	v_mul_lo_u32 v33, s36, v31
	v_mul_hi_u32 v35, s36, v30
	v_add_u32_e32 v33, v35, v33
	v_mul_lo_u32 v35, s37, v30
	v_add_u32_e32 v33, v33, v35
	v_mul_lo_u32 v37, s36, v30
	v_mul_hi_u32 v39, v31, v37
	v_mul_lo_u32 v41, v31, v37
	v_mul_lo_u32 v45, v30, v33
	v_mul_hi_u32 v37, v30, v37
	v_mul_hi_u32 v43, v30, v33
	v_add_co_u32_e32 v37, vcc, v37, v45
	v_addc_co_u32_e32 v43, vcc, 0, v43, vcc
	v_add_co_u32_e32 v37, vcc, v37, v41
	v_mul_hi_u32 v35, v31, v33
	v_addc_co_u32_e32 v37, vcc, v43, v39, vcc
	v_addc_co_u32_e32 v35, vcc, 0, v35, vcc
	v_mul_lo_u32 v33, v31, v33
	v_add_co_u32_e32 v33, vcc, v37, v33
	v_addc_co_u32_e32 v35, vcc, 0, v35, vcc
	v_add_co_u32_e32 v33, vcc, v30, v33
	v_addc_co_u32_e32 v35, vcc, v31, v35, vcc
	v_ashrrev_i32_e32 v37, 31, v32
	v_add_co_u32_e32 v1, vcc, v1, v37
	v_addc_co_u32_e32 v30, vcc, v32, v37, vcc
	v_xor_b32_e32 v1, v1, v37
	v_xor_b32_e32 v39, v30, v37
	v_mad_u64_u32 v[30:31], s[36:37], v1, v35, 0
	v_mul_hi_u32 v32, v1, v33
	v_add_co_u32_e32 v41, vcc, v32, v30
	v_addc_co_u32_e32 v43, vcc, 0, v31, vcc
	v_mad_u64_u32 v[32:33], s[36:37], v39, v33, 0
	v_add_co_u32_e32 v32, vcc, v41, v32
	v_mad_u64_u32 v[30:31], s[36:37], v39, v35, 0
	v_addc_co_u32_e32 v32, vcc, v43, v33, vcc
	v_addc_co_u32_e32 v31, vcc, 0, v31, vcc
	v_add_co_u32_e32 v32, vcc, v32, v30
	v_addc_co_u32_e32 v33, vcc, 0, v31, vcc
	v_mul_lo_u32 v35, s75, v32
	v_mul_lo_u32 v41, s74, v33
	v_mad_u64_u32 v[30:31], s[36:37], s74, v32, 0
	v_add3_u32 v31, v31, v41, v35
	v_sub_u32_e32 v35, v39, v31
	v_mov_b32_e32 v41, s75
	v_sub_co_u32_e32 v1, vcc, v1, v30
	v_subb_co_u32_e64 v30, s[36:37], v35, v41, vcc
	v_subrev_co_u32_e64 v35, s[36:37], s74, v1
	v_subbrev_co_u32_e64 v30, s[36:37], 0, v30, s[36:37]
	v_cmp_le_u32_e64 s[36:37], s75, v30
	v_cndmask_b32_e64 v41, 0, -1, s[36:37]
	v_cmp_le_u32_e64 s[36:37], s74, v35
	v_cndmask_b32_e64 v35, 0, -1, s[36:37]
	v_cmp_eq_u32_e64 s[36:37], s75, v30
	v_cndmask_b32_e64 v30, v41, v35, s[36:37]
	v_add_co_u32_e64 v35, s[36:37], 2, v32
	v_subb_co_u32_e32 v31, vcc, v39, v31, vcc
	v_addc_co_u32_e64 v41, s[36:37], 0, v33, s[36:37]
	v_cmp_le_u32_e32 vcc, s75, v31
	v_add_co_u32_e64 v43, s[36:37], 1, v32
	v_cndmask_b32_e64 v39, 0, -1, vcc
	v_cmp_le_u32_e32 vcc, s74, v1
	v_addc_co_u32_e64 v45, s[36:37], 0, v33, s[36:37]
	v_cndmask_b32_e64 v1, 0, -1, vcc
	v_cmp_eq_u32_e32 vcc, s75, v31
	v_cmp_ne_u32_e64 s[36:37], 0, v30
	v_cndmask_b32_e32 v1, v39, v1, vcc
	v_cndmask_b32_e64 v30, v45, v41, s[36:37]
	v_cmp_ne_u32_e32 vcc, 0, v1
	v_cndmask_b32_e32 v1, v33, v30, vcc
	v_cndmask_b32_e64 v30, v43, v35, s[36:37]
	v_cndmask_b32_e32 v30, v32, v30, vcc
	v_xor_b32_e32 v31, s72, v37
	v_xor_b32_e32 v30, v30, v31
	;; [unrolled: 1-line block ×3, first 2 shown]
	v_sub_co_u32_e32 v30, vcc, v30, v31
	v_subb_co_u32_e32 v31, vcc, v1, v31, vcc
                                        ; implicit-def: $vgpr1
.LBB1164_214:
	s_andn2_saveexec_b64 s[36:37], s[70:71]
	s_cbranch_execz .LBB1164_216
; %bb.215:
	v_cvt_f32_u32_e32 v30, s38
	s_sub_i32 s70, 0, s38
	v_rcp_iflag_f32_e32 v30, v30
	v_mul_f32_e32 v30, 0x4f7ffffe, v30
	v_cvt_u32_f32_e32 v30, v30
	v_mul_lo_u32 v31, s70, v30
	v_mul_hi_u32 v31, v30, v31
	v_add_u32_e32 v30, v30, v31
	v_mul_hi_u32 v30, v1, v30
	v_mul_lo_u32 v31, v30, s38
	v_sub_u32_e32 v1, v1, v31
	v_add_u32_e32 v32, 1, v30
	v_subrev_u32_e32 v31, s38, v1
	v_cmp_le_u32_e32 vcc, s38, v1
	v_cndmask_b32_e32 v1, v1, v31, vcc
	v_cndmask_b32_e32 v30, v30, v32, vcc
	v_add_u32_e32 v31, 1, v30
	v_cmp_le_u32_e32 vcc, s38, v1
	v_cndmask_b32_e32 v30, v30, v31, vcc
	v_mov_b32_e32 v31, 0
.LBB1164_216:
	s_or_b64 exec, exec, s[36:37]
.LBB1164_217:
	s_or_b64 exec, exec, s[62:63]
	v_lshlrev_b32_e32 v1, 3, v0
	s_movk_i32 s36, 0x70
	v_mad_u32_u24 v76, v0, s36, v1
	ds_write2st64_b64 v1, v[2:3], v[4:5] offset1:4
	ds_write2st64_b64 v1, v[6:7], v[8:9] offset0:8 offset1:12
	ds_write2st64_b64 v1, v[10:11], v[12:13] offset0:16 offset1:20
	ds_write2st64_b64 v1, v[14:15], v[16:17] offset0:24 offset1:28
	ds_write2st64_b64 v1, v[18:19], v[20:21] offset0:32 offset1:36
	ds_write2st64_b64 v1, v[22:23], v[24:25] offset0:40 offset1:44
	ds_write2st64_b64 v1, v[26:27], v[28:29] offset0:48 offset1:52
	ds_write_b64 v1, v[30:31] offset:28672
	s_waitcnt lgkmcnt(0)
	s_barrier
	ds_read2_b64 v[26:29], v76 offset1:1
	ds_read2_b64 v[22:25], v76 offset0:2 offset1:3
	ds_read2_b64 v[18:21], v76 offset0:4 offset1:5
	;; [unrolled: 1-line block ×6, first 2 shown]
	ds_read_b64 v[74:75], v76 offset:112
	s_waitcnt lgkmcnt(0)
	s_barrier
	s_waitcnt lgkmcnt(0)
                                        ; implicit-def: $vgpr30_vgpr31
	s_and_saveexec_b64 s[36:37], s[34:35]
	s_cbranch_execnz .LBB1164_232
; %bb.218:
	s_or_b64 exec, exec, s[36:37]
                                        ; implicit-def: $vgpr32_vgpr33
	s_and_saveexec_b64 s[34:35], s[30:31]
	s_cbranch_execnz .LBB1164_237
.LBB1164_219:
	s_or_b64 exec, exec, s[34:35]
                                        ; implicit-def: $vgpr34_vgpr35
	s_and_saveexec_b64 s[30:31], s[28:29]
	s_cbranch_execnz .LBB1164_242
.LBB1164_220:
	s_or_b64 exec, exec, s[30:31]
                                        ; implicit-def: $vgpr36_vgpr37
	s_and_saveexec_b64 s[28:29], s[26:27]
	s_cbranch_execnz .LBB1164_247
.LBB1164_221:
	s_or_b64 exec, exec, s[28:29]
                                        ; implicit-def: $vgpr38_vgpr39
	s_and_saveexec_b64 s[26:27], s[24:25]
	s_cbranch_execnz .LBB1164_252
.LBB1164_222:
	s_or_b64 exec, exec, s[26:27]
                                        ; implicit-def: $vgpr40_vgpr41
	s_and_saveexec_b64 s[24:25], s[22:23]
	s_cbranch_execnz .LBB1164_257
.LBB1164_223:
	s_or_b64 exec, exec, s[24:25]
                                        ; implicit-def: $vgpr42_vgpr43
	s_and_saveexec_b64 s[22:23], s[20:21]
	s_cbranch_execnz .LBB1164_262
.LBB1164_224:
	s_or_b64 exec, exec, s[22:23]
                                        ; implicit-def: $vgpr44_vgpr45
	s_and_saveexec_b64 s[20:21], s[18:19]
	s_cbranch_execnz .LBB1164_267
.LBB1164_225:
	s_or_b64 exec, exec, s[20:21]
                                        ; implicit-def: $vgpr46_vgpr47
	s_and_saveexec_b64 s[18:19], s[16:17]
	s_cbranch_execnz .LBB1164_272
.LBB1164_226:
	s_or_b64 exec, exec, s[18:19]
                                        ; implicit-def: $vgpr48_vgpr49
	s_and_saveexec_b64 s[16:17], s[14:15]
	s_cbranch_execnz .LBB1164_277
.LBB1164_227:
	s_or_b64 exec, exec, s[16:17]
                                        ; implicit-def: $vgpr50_vgpr51
	s_and_saveexec_b64 s[14:15], s[12:13]
	s_cbranch_execnz .LBB1164_282
.LBB1164_228:
	s_or_b64 exec, exec, s[14:15]
                                        ; implicit-def: $vgpr52_vgpr53
	s_and_saveexec_b64 s[12:13], s[10:11]
	s_cbranch_execnz .LBB1164_287
.LBB1164_229:
	s_or_b64 exec, exec, s[12:13]
                                        ; implicit-def: $vgpr54_vgpr55
	s_and_saveexec_b64 s[10:11], s[8:9]
	s_cbranch_execnz .LBB1164_292
.LBB1164_230:
	s_or_b64 exec, exec, s[10:11]
                                        ; implicit-def: $vgpr56_vgpr57
	s_and_saveexec_b64 s[8:9], s[6:7]
	s_cbranch_execnz .LBB1164_297
.LBB1164_231:
	s_or_b64 exec, exec, s[8:9]
                                        ; implicit-def: $vgpr58_vgpr59
	s_and_saveexec_b64 s[6:7], s[4:5]
	s_cbranch_execnz .LBB1164_302
	s_branch .LBB1164_307
.LBB1164_232:
	v_mov_b32_e32 v31, s79
	v_add_co_u32_e32 v32, vcc, s78, v0
	v_addc_co_u32_e32 v33, vcc, 0, v31, vcc
	v_mov_b32_e32 v30, 0
	v_or_b32_e32 v31, s45, v33
	v_cmp_ne_u64_e32 vcc, 0, v[30:31]
                                        ; implicit-def: $vgpr30_vgpr31
	s_and_saveexec_b64 s[34:35], vcc
	s_xor_b64 s[62:63], exec, s[34:35]
	s_cbranch_execz .LBB1164_234
; %bb.233:
	s_ashr_i32 s70, s45, 31
	s_add_u32 s34, s44, s70
	s_mov_b32 s71, s70
	s_addc_u32 s35, s45, s70
	s_xor_b64 s[72:73], s[34:35], s[70:71]
	v_cvt_f32_u32_e32 v30, s72
	v_cvt_f32_u32_e32 v31, s73
	s_sub_u32 s34, 0, s72
	s_subb_u32 s35, 0, s73
	v_madmk_f32 v30, v31, 0x4f800000, v30
	v_rcp_f32_e32 v30, v30
	v_mul_f32_e32 v30, 0x5f7ffffc, v30
	v_mul_f32_e32 v31, 0x2f800000, v30
	v_trunc_f32_e32 v31, v31
	v_madmk_f32 v30, v31, 0xcf800000, v30
	v_cvt_u32_f32_e32 v31, v31
	v_cvt_u32_f32_e32 v30, v30
	v_mul_lo_u32 v35, s34, v31
	v_mul_hi_u32 v39, s34, v30
	v_mul_lo_u32 v37, s35, v30
	v_add_u32_e32 v35, v39, v35
	v_mul_lo_u32 v41, s34, v30
	v_add_u32_e32 v35, v35, v37
	v_mul_lo_u32 v39, v30, v35
	v_mul_hi_u32 v43, v30, v41
	v_mul_hi_u32 v37, v30, v35
	v_add_co_u32_e32 v39, vcc, v43, v39
	v_addc_co_u32_e32 v37, vcc, 0, v37, vcc
	v_mul_hi_u32 v45, v31, v41
	v_mul_lo_u32 v41, v31, v41
	v_add_co_u32_e32 v39, vcc, v39, v41
	v_mul_hi_u32 v43, v31, v35
	v_addc_co_u32_e32 v37, vcc, v37, v45, vcc
	v_addc_co_u32_e32 v39, vcc, 0, v43, vcc
	v_mul_lo_u32 v35, v31, v35
	v_add_co_u32_e32 v35, vcc, v37, v35
	v_addc_co_u32_e32 v37, vcc, 0, v39, vcc
	v_add_co_u32_e32 v30, vcc, v30, v35
	v_addc_co_u32_e32 v31, vcc, v31, v37, vcc
	v_mul_lo_u32 v35, s34, v31
	v_mul_hi_u32 v37, s34, v30
	v_add_u32_e32 v35, v37, v35
	v_mul_lo_u32 v37, s35, v30
	v_add_u32_e32 v35, v35, v37
	v_mul_lo_u32 v39, s34, v30
	v_mul_hi_u32 v41, v31, v39
	v_mul_lo_u32 v43, v31, v39
	v_mul_lo_u32 v47, v30, v35
	v_mul_hi_u32 v39, v30, v39
	v_mul_hi_u32 v45, v30, v35
	v_add_co_u32_e32 v39, vcc, v39, v47
	v_addc_co_u32_e32 v45, vcc, 0, v45, vcc
	v_add_co_u32_e32 v39, vcc, v39, v43
	v_mul_hi_u32 v37, v31, v35
	v_addc_co_u32_e32 v39, vcc, v45, v41, vcc
	v_addc_co_u32_e32 v37, vcc, 0, v37, vcc
	v_mul_lo_u32 v35, v31, v35
	v_add_co_u32_e32 v35, vcc, v39, v35
	v_addc_co_u32_e32 v37, vcc, 0, v37, vcc
	v_add_co_u32_e32 v35, vcc, v30, v35
	v_addc_co_u32_e32 v37, vcc, v31, v37, vcc
	v_ashrrev_i32_e32 v39, 31, v33
	v_add_co_u32_e32 v30, vcc, v32, v39
	v_addc_co_u32_e32 v31, vcc, v33, v39, vcc
	v_xor_b32_e32 v43, v30, v39
	v_xor_b32_e32 v41, v31, v39
	v_mad_u64_u32 v[30:31], s[34:35], v43, v37, 0
	v_mul_hi_u32 v45, v43, v35
	v_add_co_u32_e32 v45, vcc, v45, v30
	v_addc_co_u32_e32 v47, vcc, 0, v31, vcc
	v_mad_u64_u32 v[62:63], s[34:35], v41, v35, 0
	v_add_co_u32_e32 v35, vcc, v45, v62
	v_mad_u64_u32 v[30:31], s[34:35], v41, v37, 0
	v_addc_co_u32_e32 v35, vcc, v47, v63, vcc
	v_addc_co_u32_e32 v31, vcc, 0, v31, vcc
	v_add_co_u32_e32 v35, vcc, v35, v30
	v_addc_co_u32_e32 v37, vcc, 0, v31, vcc
	v_mul_lo_u32 v45, s73, v35
	v_mul_lo_u32 v47, s72, v37
	v_mad_u64_u32 v[30:31], s[34:35], s72, v35, 0
	v_add3_u32 v31, v31, v47, v45
	v_sub_u32_e32 v45, v41, v31
	v_mov_b32_e32 v47, s73
	v_sub_co_u32_e32 v30, vcc, v43, v30
	v_subb_co_u32_e64 v43, s[34:35], v45, v47, vcc
	v_subrev_co_u32_e64 v45, s[34:35], s72, v30
	v_subbrev_co_u32_e64 v43, s[34:35], 0, v43, s[34:35]
	v_cmp_le_u32_e64 s[34:35], s73, v43
	v_cndmask_b32_e64 v47, 0, -1, s[34:35]
	v_cmp_le_u32_e64 s[34:35], s72, v45
	v_cndmask_b32_e64 v45, 0, -1, s[34:35]
	v_cmp_eq_u32_e64 s[34:35], s73, v43
	v_cndmask_b32_e64 v43, v47, v45, s[34:35]
	v_add_co_u32_e64 v45, s[34:35], 2, v35
	v_subb_co_u32_e32 v31, vcc, v41, v31, vcc
	v_addc_co_u32_e64 v47, s[34:35], 0, v37, s[34:35]
	v_cmp_le_u32_e32 vcc, s73, v31
	v_add_co_u32_e64 v49, s[34:35], 1, v35
	v_cndmask_b32_e64 v41, 0, -1, vcc
	v_cmp_le_u32_e32 vcc, s72, v30
	v_addc_co_u32_e64 v51, s[34:35], 0, v37, s[34:35]
	v_cndmask_b32_e64 v30, 0, -1, vcc
	v_cmp_eq_u32_e32 vcc, s73, v31
	v_cmp_ne_u32_e64 s[34:35], 0, v43
	v_cndmask_b32_e32 v30, v41, v30, vcc
	v_cndmask_b32_e64 v43, v51, v47, s[34:35]
	v_cmp_ne_u32_e32 vcc, 0, v30
	v_cndmask_b32_e64 v31, v49, v45, s[34:35]
	v_cndmask_b32_e32 v30, v37, v43, vcc
	v_cndmask_b32_e32 v31, v35, v31, vcc
	v_xor_b32_e32 v35, s70, v39
	v_xor_b32_e32 v37, v30, v35
	v_xor_b32_e32 v30, v31, v35
	v_sub_co_u32_e32 v30, vcc, v30, v35
	v_subb_co_u32_e32 v31, vcc, v37, v35, vcc
.LBB1164_234:
	s_andn2_saveexec_b64 s[34:35], s[62:63]
	s_cbranch_execz .LBB1164_236
; %bb.235:
	v_cvt_f32_u32_e32 v30, s44
	s_sub_i32 s62, 0, s44
	v_rcp_iflag_f32_e32 v30, v30
	v_mul_f32_e32 v30, 0x4f7ffffe, v30
	v_cvt_u32_f32_e32 v30, v30
	v_mul_lo_u32 v31, s62, v30
	v_mul_hi_u32 v31, v30, v31
	v_add_u32_e32 v30, v30, v31
	v_mul_hi_u32 v30, v32, v30
	v_mul_lo_u32 v31, v30, s44
	v_sub_u32_e32 v31, v32, v31
	v_add_u32_e32 v35, 1, v30
	v_subrev_u32_e32 v37, s44, v31
	v_cmp_le_u32_e32 vcc, s44, v31
	v_cndmask_b32_e32 v31, v31, v37, vcc
	v_cndmask_b32_e32 v30, v30, v35, vcc
	v_add_u32_e32 v35, 1, v30
	v_cmp_le_u32_e32 vcc, s44, v31
	v_cndmask_b32_e32 v30, v30, v35, vcc
	v_mov_b32_e32 v31, 0
.LBB1164_236:
	s_or_b64 exec, exec, s[34:35]
	v_mul_lo_u32 v35, v31, s44
	v_mul_lo_u32 v37, v30, s45
	v_mad_u64_u32 v[62:63], s[34:35], v30, s44, 0
	v_add3_u32 v35, v63, v37, v35
	v_sub_co_u32_e32 v32, vcc, v32, v62
	v_subb_co_u32_e32 v33, vcc, v33, v35, vcc
	v_add_co_u32_e32 v30, vcc, v30, v32
	v_addc_co_u32_e32 v31, vcc, v31, v33, vcc
	s_or_b64 exec, exec, s[36:37]
                                        ; implicit-def: $vgpr32_vgpr33
	s_and_saveexec_b64 s[34:35], s[30:31]
	s_cbranch_execz .LBB1164_219
.LBB1164_237:
	v_mov_b32_e32 v33, s79
	v_add_co_u32_e32 v34, vcc, s78, v34
	v_addc_co_u32_e32 v35, vcc, 0, v33, vcc
	v_mov_b32_e32 v32, 0
	v_or_b32_e32 v33, s45, v35
	v_cmp_ne_u64_e32 vcc, 0, v[32:33]
                                        ; implicit-def: $vgpr32_vgpr33
	s_and_saveexec_b64 s[30:31], vcc
	s_xor_b64 s[36:37], exec, s[30:31]
	s_cbranch_execz .LBB1164_239
; %bb.238:
	s_ashr_i32 s62, s45, 31
	s_add_u32 s30, s44, s62
	s_mov_b32 s63, s62
	s_addc_u32 s31, s45, s62
	s_xor_b64 s[70:71], s[30:31], s[62:63]
	v_cvt_f32_u32_e32 v32, s70
	v_cvt_f32_u32_e32 v33, s71
	s_sub_u32 s30, 0, s70
	s_subb_u32 s31, 0, s71
	v_madmk_f32 v32, v33, 0x4f800000, v32
	v_rcp_f32_e32 v32, v32
	v_mul_f32_e32 v32, 0x5f7ffffc, v32
	v_mul_f32_e32 v33, 0x2f800000, v32
	v_trunc_f32_e32 v33, v33
	v_madmk_f32 v32, v33, 0xcf800000, v32
	v_cvt_u32_f32_e32 v33, v33
	v_cvt_u32_f32_e32 v32, v32
	v_mul_lo_u32 v37, s30, v33
	v_mul_hi_u32 v41, s30, v32
	v_mul_lo_u32 v39, s31, v32
	v_add_u32_e32 v37, v41, v37
	v_mul_lo_u32 v43, s30, v32
	v_add_u32_e32 v37, v37, v39
	v_mul_lo_u32 v41, v32, v37
	v_mul_hi_u32 v45, v32, v43
	v_mul_hi_u32 v39, v32, v37
	v_add_co_u32_e32 v41, vcc, v45, v41
	v_addc_co_u32_e32 v39, vcc, 0, v39, vcc
	v_mul_hi_u32 v47, v33, v43
	v_mul_lo_u32 v43, v33, v43
	v_add_co_u32_e32 v41, vcc, v41, v43
	v_mul_hi_u32 v45, v33, v37
	v_addc_co_u32_e32 v39, vcc, v39, v47, vcc
	v_addc_co_u32_e32 v41, vcc, 0, v45, vcc
	v_mul_lo_u32 v37, v33, v37
	v_add_co_u32_e32 v37, vcc, v39, v37
	v_addc_co_u32_e32 v39, vcc, 0, v41, vcc
	v_add_co_u32_e32 v32, vcc, v32, v37
	v_addc_co_u32_e32 v33, vcc, v33, v39, vcc
	v_mul_lo_u32 v37, s30, v33
	v_mul_hi_u32 v39, s30, v32
	v_add_u32_e32 v37, v39, v37
	v_mul_lo_u32 v39, s31, v32
	v_add_u32_e32 v37, v37, v39
	v_mul_lo_u32 v41, s30, v32
	v_mul_hi_u32 v43, v33, v41
	v_mul_lo_u32 v45, v33, v41
	v_mul_lo_u32 v49, v32, v37
	v_mul_hi_u32 v41, v32, v41
	v_mul_hi_u32 v47, v32, v37
	v_add_co_u32_e32 v41, vcc, v41, v49
	v_addc_co_u32_e32 v47, vcc, 0, v47, vcc
	v_add_co_u32_e32 v41, vcc, v41, v45
	v_mul_hi_u32 v39, v33, v37
	v_addc_co_u32_e32 v41, vcc, v47, v43, vcc
	v_addc_co_u32_e32 v39, vcc, 0, v39, vcc
	v_mul_lo_u32 v37, v33, v37
	v_add_co_u32_e32 v37, vcc, v41, v37
	v_addc_co_u32_e32 v39, vcc, 0, v39, vcc
	v_add_co_u32_e32 v37, vcc, v32, v37
	v_addc_co_u32_e32 v39, vcc, v33, v39, vcc
	v_ashrrev_i32_e32 v41, 31, v35
	v_add_co_u32_e32 v32, vcc, v34, v41
	v_addc_co_u32_e32 v33, vcc, v35, v41, vcc
	v_xor_b32_e32 v45, v32, v41
	v_xor_b32_e32 v43, v33, v41
	v_mad_u64_u32 v[32:33], s[30:31], v45, v39, 0
	v_mul_hi_u32 v47, v45, v37
	v_add_co_u32_e32 v47, vcc, v47, v32
	v_addc_co_u32_e32 v49, vcc, 0, v33, vcc
	v_mad_u64_u32 v[62:63], s[30:31], v43, v37, 0
	v_add_co_u32_e32 v37, vcc, v47, v62
	v_mad_u64_u32 v[32:33], s[30:31], v43, v39, 0
	v_addc_co_u32_e32 v37, vcc, v49, v63, vcc
	v_addc_co_u32_e32 v33, vcc, 0, v33, vcc
	v_add_co_u32_e32 v37, vcc, v37, v32
	v_addc_co_u32_e32 v39, vcc, 0, v33, vcc
	v_mul_lo_u32 v47, s71, v37
	v_mul_lo_u32 v49, s70, v39
	v_mad_u64_u32 v[32:33], s[30:31], s70, v37, 0
	v_add3_u32 v33, v33, v49, v47
	v_sub_u32_e32 v47, v43, v33
	v_mov_b32_e32 v49, s71
	v_sub_co_u32_e32 v32, vcc, v45, v32
	v_subb_co_u32_e64 v45, s[30:31], v47, v49, vcc
	v_subrev_co_u32_e64 v47, s[30:31], s70, v32
	v_subbrev_co_u32_e64 v45, s[30:31], 0, v45, s[30:31]
	v_cmp_le_u32_e64 s[30:31], s71, v45
	v_cndmask_b32_e64 v49, 0, -1, s[30:31]
	v_cmp_le_u32_e64 s[30:31], s70, v47
	v_cndmask_b32_e64 v47, 0, -1, s[30:31]
	v_cmp_eq_u32_e64 s[30:31], s71, v45
	v_cndmask_b32_e64 v45, v49, v47, s[30:31]
	v_add_co_u32_e64 v47, s[30:31], 2, v37
	v_subb_co_u32_e32 v33, vcc, v43, v33, vcc
	v_addc_co_u32_e64 v49, s[30:31], 0, v39, s[30:31]
	v_cmp_le_u32_e32 vcc, s71, v33
	v_add_co_u32_e64 v51, s[30:31], 1, v37
	v_cndmask_b32_e64 v43, 0, -1, vcc
	v_cmp_le_u32_e32 vcc, s70, v32
	v_addc_co_u32_e64 v53, s[30:31], 0, v39, s[30:31]
	v_cndmask_b32_e64 v32, 0, -1, vcc
	v_cmp_eq_u32_e32 vcc, s71, v33
	v_cmp_ne_u32_e64 s[30:31], 0, v45
	v_cndmask_b32_e32 v32, v43, v32, vcc
	v_cndmask_b32_e64 v45, v53, v49, s[30:31]
	v_cmp_ne_u32_e32 vcc, 0, v32
	v_cndmask_b32_e64 v33, v51, v47, s[30:31]
	v_cndmask_b32_e32 v32, v39, v45, vcc
	v_cndmask_b32_e32 v33, v37, v33, vcc
	v_xor_b32_e32 v37, s62, v41
	v_xor_b32_e32 v39, v32, v37
	;; [unrolled: 1-line block ×3, first 2 shown]
	v_sub_co_u32_e32 v32, vcc, v32, v37
	v_subb_co_u32_e32 v33, vcc, v39, v37, vcc
.LBB1164_239:
	s_andn2_saveexec_b64 s[30:31], s[36:37]
	s_cbranch_execz .LBB1164_241
; %bb.240:
	v_cvt_f32_u32_e32 v32, s44
	s_sub_i32 s36, 0, s44
	v_rcp_iflag_f32_e32 v32, v32
	v_mul_f32_e32 v32, 0x4f7ffffe, v32
	v_cvt_u32_f32_e32 v32, v32
	v_mul_lo_u32 v33, s36, v32
	v_mul_hi_u32 v33, v32, v33
	v_add_u32_e32 v32, v32, v33
	v_mul_hi_u32 v32, v34, v32
	v_mul_lo_u32 v33, v32, s44
	v_sub_u32_e32 v33, v34, v33
	v_add_u32_e32 v37, 1, v32
	v_subrev_u32_e32 v39, s44, v33
	v_cmp_le_u32_e32 vcc, s44, v33
	v_cndmask_b32_e32 v33, v33, v39, vcc
	v_cndmask_b32_e32 v32, v32, v37, vcc
	v_add_u32_e32 v37, 1, v32
	v_cmp_le_u32_e32 vcc, s44, v33
	v_cndmask_b32_e32 v32, v32, v37, vcc
	v_mov_b32_e32 v33, 0
.LBB1164_241:
	s_or_b64 exec, exec, s[30:31]
	v_mul_lo_u32 v37, v33, s44
	v_mul_lo_u32 v39, v32, s45
	v_mad_u64_u32 v[62:63], s[30:31], v32, s44, 0
	v_add3_u32 v37, v63, v39, v37
	v_sub_co_u32_e32 v34, vcc, v34, v62
	v_subb_co_u32_e32 v35, vcc, v35, v37, vcc
	v_add_co_u32_e32 v32, vcc, v32, v34
	v_addc_co_u32_e32 v33, vcc, v33, v35, vcc
	s_or_b64 exec, exec, s[34:35]
                                        ; implicit-def: $vgpr34_vgpr35
	s_and_saveexec_b64 s[30:31], s[28:29]
	s_cbranch_execz .LBB1164_220
.LBB1164_242:
	v_mov_b32_e32 v35, s79
	v_add_co_u32_e32 v36, vcc, s78, v36
	v_addc_co_u32_e32 v37, vcc, 0, v35, vcc
	v_mov_b32_e32 v34, 0
	v_or_b32_e32 v35, s45, v37
	v_cmp_ne_u64_e32 vcc, 0, v[34:35]
                                        ; implicit-def: $vgpr34_vgpr35
	s_and_saveexec_b64 s[28:29], vcc
	s_xor_b64 s[34:35], exec, s[28:29]
	s_cbranch_execz .LBB1164_244
; %bb.243:
	s_ashr_i32 s36, s45, 31
	s_add_u32 s28, s44, s36
	s_mov_b32 s37, s36
	s_addc_u32 s29, s45, s36
	s_xor_b64 s[62:63], s[28:29], s[36:37]
	v_cvt_f32_u32_e32 v34, s62
	v_cvt_f32_u32_e32 v35, s63
	s_sub_u32 s28, 0, s62
	s_subb_u32 s29, 0, s63
	v_madmk_f32 v34, v35, 0x4f800000, v34
	v_rcp_f32_e32 v34, v34
	v_mul_f32_e32 v34, 0x5f7ffffc, v34
	v_mul_f32_e32 v35, 0x2f800000, v34
	v_trunc_f32_e32 v35, v35
	v_madmk_f32 v34, v35, 0xcf800000, v34
	v_cvt_u32_f32_e32 v35, v35
	v_cvt_u32_f32_e32 v34, v34
	v_mul_lo_u32 v39, s28, v35
	v_mul_hi_u32 v43, s28, v34
	v_mul_lo_u32 v41, s29, v34
	v_add_u32_e32 v39, v43, v39
	v_mul_lo_u32 v45, s28, v34
	v_add_u32_e32 v39, v39, v41
	v_mul_lo_u32 v43, v34, v39
	v_mul_hi_u32 v47, v34, v45
	v_mul_hi_u32 v41, v34, v39
	v_add_co_u32_e32 v43, vcc, v47, v43
	v_addc_co_u32_e32 v41, vcc, 0, v41, vcc
	v_mul_hi_u32 v49, v35, v45
	v_mul_lo_u32 v45, v35, v45
	v_add_co_u32_e32 v43, vcc, v43, v45
	v_mul_hi_u32 v47, v35, v39
	v_addc_co_u32_e32 v41, vcc, v41, v49, vcc
	v_addc_co_u32_e32 v43, vcc, 0, v47, vcc
	v_mul_lo_u32 v39, v35, v39
	v_add_co_u32_e32 v39, vcc, v41, v39
	v_addc_co_u32_e32 v41, vcc, 0, v43, vcc
	v_add_co_u32_e32 v34, vcc, v34, v39
	v_addc_co_u32_e32 v35, vcc, v35, v41, vcc
	v_mul_lo_u32 v39, s28, v35
	v_mul_hi_u32 v41, s28, v34
	v_add_u32_e32 v39, v41, v39
	v_mul_lo_u32 v41, s29, v34
	v_add_u32_e32 v39, v39, v41
	v_mul_lo_u32 v43, s28, v34
	v_mul_hi_u32 v45, v35, v43
	v_mul_lo_u32 v47, v35, v43
	v_mul_lo_u32 v51, v34, v39
	v_mul_hi_u32 v43, v34, v43
	v_mul_hi_u32 v49, v34, v39
	v_add_co_u32_e32 v43, vcc, v43, v51
	v_addc_co_u32_e32 v49, vcc, 0, v49, vcc
	v_add_co_u32_e32 v43, vcc, v43, v47
	v_mul_hi_u32 v41, v35, v39
	v_addc_co_u32_e32 v43, vcc, v49, v45, vcc
	v_addc_co_u32_e32 v41, vcc, 0, v41, vcc
	v_mul_lo_u32 v39, v35, v39
	v_add_co_u32_e32 v39, vcc, v43, v39
	v_addc_co_u32_e32 v41, vcc, 0, v41, vcc
	v_add_co_u32_e32 v39, vcc, v34, v39
	v_addc_co_u32_e32 v41, vcc, v35, v41, vcc
	v_ashrrev_i32_e32 v43, 31, v37
	v_add_co_u32_e32 v34, vcc, v36, v43
	v_addc_co_u32_e32 v35, vcc, v37, v43, vcc
	v_xor_b32_e32 v47, v34, v43
	v_xor_b32_e32 v45, v35, v43
	v_mad_u64_u32 v[34:35], s[28:29], v47, v41, 0
	v_mul_hi_u32 v49, v47, v39
	v_add_co_u32_e32 v49, vcc, v49, v34
	v_addc_co_u32_e32 v51, vcc, 0, v35, vcc
	v_mad_u64_u32 v[62:63], s[28:29], v45, v39, 0
	v_add_co_u32_e32 v39, vcc, v49, v62
	v_mad_u64_u32 v[34:35], s[28:29], v45, v41, 0
	v_addc_co_u32_e32 v39, vcc, v51, v63, vcc
	v_addc_co_u32_e32 v35, vcc, 0, v35, vcc
	v_add_co_u32_e32 v39, vcc, v39, v34
	v_addc_co_u32_e32 v41, vcc, 0, v35, vcc
	v_mul_lo_u32 v49, s63, v39
	v_mul_lo_u32 v51, s62, v41
	v_mad_u64_u32 v[34:35], s[28:29], s62, v39, 0
	v_add3_u32 v35, v35, v51, v49
	v_sub_u32_e32 v49, v45, v35
	v_mov_b32_e32 v51, s63
	v_sub_co_u32_e32 v34, vcc, v47, v34
	v_subb_co_u32_e64 v47, s[28:29], v49, v51, vcc
	v_subrev_co_u32_e64 v49, s[28:29], s62, v34
	v_subbrev_co_u32_e64 v47, s[28:29], 0, v47, s[28:29]
	v_cmp_le_u32_e64 s[28:29], s63, v47
	v_cndmask_b32_e64 v51, 0, -1, s[28:29]
	v_cmp_le_u32_e64 s[28:29], s62, v49
	v_cndmask_b32_e64 v49, 0, -1, s[28:29]
	v_cmp_eq_u32_e64 s[28:29], s63, v47
	v_cndmask_b32_e64 v47, v51, v49, s[28:29]
	v_add_co_u32_e64 v49, s[28:29], 2, v39
	v_subb_co_u32_e32 v35, vcc, v45, v35, vcc
	v_addc_co_u32_e64 v51, s[28:29], 0, v41, s[28:29]
	v_cmp_le_u32_e32 vcc, s63, v35
	v_add_co_u32_e64 v53, s[28:29], 1, v39
	v_cndmask_b32_e64 v45, 0, -1, vcc
	v_cmp_le_u32_e32 vcc, s62, v34
	v_addc_co_u32_e64 v55, s[28:29], 0, v41, s[28:29]
	v_cndmask_b32_e64 v34, 0, -1, vcc
	v_cmp_eq_u32_e32 vcc, s63, v35
	v_cmp_ne_u32_e64 s[28:29], 0, v47
	v_cndmask_b32_e32 v34, v45, v34, vcc
	v_cndmask_b32_e64 v47, v55, v51, s[28:29]
	v_cmp_ne_u32_e32 vcc, 0, v34
	v_cndmask_b32_e64 v35, v53, v49, s[28:29]
	v_cndmask_b32_e32 v34, v41, v47, vcc
	v_cndmask_b32_e32 v35, v39, v35, vcc
	v_xor_b32_e32 v39, s36, v43
	v_xor_b32_e32 v41, v34, v39
	v_xor_b32_e32 v34, v35, v39
	v_sub_co_u32_e32 v34, vcc, v34, v39
	v_subb_co_u32_e32 v35, vcc, v41, v39, vcc
.LBB1164_244:
	s_andn2_saveexec_b64 s[28:29], s[34:35]
	s_cbranch_execz .LBB1164_246
; %bb.245:
	v_cvt_f32_u32_e32 v34, s44
	s_sub_i32 s34, 0, s44
	v_rcp_iflag_f32_e32 v34, v34
	v_mul_f32_e32 v34, 0x4f7ffffe, v34
	v_cvt_u32_f32_e32 v34, v34
	v_mul_lo_u32 v35, s34, v34
	v_mul_hi_u32 v35, v34, v35
	v_add_u32_e32 v34, v34, v35
	v_mul_hi_u32 v34, v36, v34
	v_mul_lo_u32 v35, v34, s44
	v_sub_u32_e32 v35, v36, v35
	v_add_u32_e32 v39, 1, v34
	v_subrev_u32_e32 v41, s44, v35
	v_cmp_le_u32_e32 vcc, s44, v35
	v_cndmask_b32_e32 v35, v35, v41, vcc
	v_cndmask_b32_e32 v34, v34, v39, vcc
	v_add_u32_e32 v39, 1, v34
	v_cmp_le_u32_e32 vcc, s44, v35
	v_cndmask_b32_e32 v34, v34, v39, vcc
	v_mov_b32_e32 v35, 0
.LBB1164_246:
	s_or_b64 exec, exec, s[28:29]
	v_mul_lo_u32 v39, v35, s44
	v_mul_lo_u32 v41, v34, s45
	v_mad_u64_u32 v[62:63], s[28:29], v34, s44, 0
	v_add3_u32 v39, v63, v41, v39
	v_sub_co_u32_e32 v36, vcc, v36, v62
	v_subb_co_u32_e32 v37, vcc, v37, v39, vcc
	v_add_co_u32_e32 v34, vcc, v34, v36
	v_addc_co_u32_e32 v35, vcc, v35, v37, vcc
	s_or_b64 exec, exec, s[30:31]
                                        ; implicit-def: $vgpr36_vgpr37
	s_and_saveexec_b64 s[28:29], s[26:27]
	s_cbranch_execz .LBB1164_221
.LBB1164_247:
	v_mov_b32_e32 v37, s79
	v_add_co_u32_e32 v38, vcc, s78, v38
	v_addc_co_u32_e32 v39, vcc, 0, v37, vcc
	v_mov_b32_e32 v36, 0
	v_or_b32_e32 v37, s45, v39
	v_cmp_ne_u64_e32 vcc, 0, v[36:37]
                                        ; implicit-def: $vgpr36_vgpr37
	s_and_saveexec_b64 s[26:27], vcc
	s_xor_b64 s[30:31], exec, s[26:27]
	s_cbranch_execz .LBB1164_249
; %bb.248:
	s_ashr_i32 s34, s45, 31
	s_add_u32 s26, s44, s34
	s_mov_b32 s35, s34
	s_addc_u32 s27, s45, s34
	s_xor_b64 s[36:37], s[26:27], s[34:35]
	v_cvt_f32_u32_e32 v36, s36
	v_cvt_f32_u32_e32 v37, s37
	s_sub_u32 s26, 0, s36
	s_subb_u32 s27, 0, s37
	v_madmk_f32 v36, v37, 0x4f800000, v36
	v_rcp_f32_e32 v36, v36
	v_mul_f32_e32 v36, 0x5f7ffffc, v36
	v_mul_f32_e32 v37, 0x2f800000, v36
	v_trunc_f32_e32 v37, v37
	v_madmk_f32 v36, v37, 0xcf800000, v36
	v_cvt_u32_f32_e32 v37, v37
	v_cvt_u32_f32_e32 v36, v36
	v_mul_lo_u32 v41, s26, v37
	v_mul_hi_u32 v45, s26, v36
	v_mul_lo_u32 v43, s27, v36
	v_add_u32_e32 v41, v45, v41
	v_mul_lo_u32 v47, s26, v36
	v_add_u32_e32 v41, v41, v43
	v_mul_lo_u32 v45, v36, v41
	v_mul_hi_u32 v49, v36, v47
	v_mul_hi_u32 v43, v36, v41
	v_add_co_u32_e32 v45, vcc, v49, v45
	v_addc_co_u32_e32 v43, vcc, 0, v43, vcc
	v_mul_hi_u32 v51, v37, v47
	v_mul_lo_u32 v47, v37, v47
	v_add_co_u32_e32 v45, vcc, v45, v47
	v_mul_hi_u32 v49, v37, v41
	v_addc_co_u32_e32 v43, vcc, v43, v51, vcc
	v_addc_co_u32_e32 v45, vcc, 0, v49, vcc
	v_mul_lo_u32 v41, v37, v41
	v_add_co_u32_e32 v41, vcc, v43, v41
	v_addc_co_u32_e32 v43, vcc, 0, v45, vcc
	v_add_co_u32_e32 v36, vcc, v36, v41
	v_addc_co_u32_e32 v37, vcc, v37, v43, vcc
	v_mul_lo_u32 v41, s26, v37
	v_mul_hi_u32 v43, s26, v36
	v_add_u32_e32 v41, v43, v41
	v_mul_lo_u32 v43, s27, v36
	v_add_u32_e32 v41, v41, v43
	v_mul_lo_u32 v45, s26, v36
	v_mul_hi_u32 v47, v37, v45
	v_mul_lo_u32 v49, v37, v45
	v_mul_lo_u32 v53, v36, v41
	v_mul_hi_u32 v45, v36, v45
	v_mul_hi_u32 v51, v36, v41
	v_add_co_u32_e32 v45, vcc, v45, v53
	v_addc_co_u32_e32 v51, vcc, 0, v51, vcc
	v_add_co_u32_e32 v45, vcc, v45, v49
	v_mul_hi_u32 v43, v37, v41
	v_addc_co_u32_e32 v45, vcc, v51, v47, vcc
	v_addc_co_u32_e32 v43, vcc, 0, v43, vcc
	v_mul_lo_u32 v41, v37, v41
	v_add_co_u32_e32 v41, vcc, v45, v41
	v_addc_co_u32_e32 v43, vcc, 0, v43, vcc
	v_add_co_u32_e32 v41, vcc, v36, v41
	v_addc_co_u32_e32 v43, vcc, v37, v43, vcc
	v_ashrrev_i32_e32 v45, 31, v39
	v_add_co_u32_e32 v36, vcc, v38, v45
	v_addc_co_u32_e32 v37, vcc, v39, v45, vcc
	v_xor_b32_e32 v49, v36, v45
	v_xor_b32_e32 v47, v37, v45
	v_mad_u64_u32 v[36:37], s[26:27], v49, v43, 0
	v_mul_hi_u32 v51, v49, v41
	v_add_co_u32_e32 v51, vcc, v51, v36
	v_addc_co_u32_e32 v53, vcc, 0, v37, vcc
	v_mad_u64_u32 v[62:63], s[26:27], v47, v41, 0
	v_add_co_u32_e32 v41, vcc, v51, v62
	v_mad_u64_u32 v[36:37], s[26:27], v47, v43, 0
	v_addc_co_u32_e32 v41, vcc, v53, v63, vcc
	v_addc_co_u32_e32 v37, vcc, 0, v37, vcc
	v_add_co_u32_e32 v41, vcc, v41, v36
	v_addc_co_u32_e32 v43, vcc, 0, v37, vcc
	v_mul_lo_u32 v51, s37, v41
	v_mul_lo_u32 v53, s36, v43
	v_mad_u64_u32 v[36:37], s[26:27], s36, v41, 0
	v_add3_u32 v37, v37, v53, v51
	v_sub_u32_e32 v51, v47, v37
	v_mov_b32_e32 v53, s37
	v_sub_co_u32_e32 v36, vcc, v49, v36
	v_subb_co_u32_e64 v49, s[26:27], v51, v53, vcc
	v_subrev_co_u32_e64 v51, s[26:27], s36, v36
	v_subbrev_co_u32_e64 v49, s[26:27], 0, v49, s[26:27]
	v_cmp_le_u32_e64 s[26:27], s37, v49
	v_cndmask_b32_e64 v53, 0, -1, s[26:27]
	v_cmp_le_u32_e64 s[26:27], s36, v51
	v_cndmask_b32_e64 v51, 0, -1, s[26:27]
	v_cmp_eq_u32_e64 s[26:27], s37, v49
	v_cndmask_b32_e64 v49, v53, v51, s[26:27]
	v_add_co_u32_e64 v51, s[26:27], 2, v41
	v_subb_co_u32_e32 v37, vcc, v47, v37, vcc
	v_addc_co_u32_e64 v53, s[26:27], 0, v43, s[26:27]
	v_cmp_le_u32_e32 vcc, s37, v37
	v_add_co_u32_e64 v55, s[26:27], 1, v41
	v_cndmask_b32_e64 v47, 0, -1, vcc
	v_cmp_le_u32_e32 vcc, s36, v36
	v_addc_co_u32_e64 v57, s[26:27], 0, v43, s[26:27]
	v_cndmask_b32_e64 v36, 0, -1, vcc
	v_cmp_eq_u32_e32 vcc, s37, v37
	v_cmp_ne_u32_e64 s[26:27], 0, v49
	v_cndmask_b32_e32 v36, v47, v36, vcc
	v_cndmask_b32_e64 v49, v57, v53, s[26:27]
	v_cmp_ne_u32_e32 vcc, 0, v36
	v_cndmask_b32_e64 v37, v55, v51, s[26:27]
	v_cndmask_b32_e32 v36, v43, v49, vcc
	v_cndmask_b32_e32 v37, v41, v37, vcc
	v_xor_b32_e32 v41, s34, v45
	v_xor_b32_e32 v43, v36, v41
	;; [unrolled: 1-line block ×3, first 2 shown]
	v_sub_co_u32_e32 v36, vcc, v36, v41
	v_subb_co_u32_e32 v37, vcc, v43, v41, vcc
.LBB1164_249:
	s_andn2_saveexec_b64 s[26:27], s[30:31]
	s_cbranch_execz .LBB1164_251
; %bb.250:
	v_cvt_f32_u32_e32 v36, s44
	s_sub_i32 s30, 0, s44
	v_rcp_iflag_f32_e32 v36, v36
	v_mul_f32_e32 v36, 0x4f7ffffe, v36
	v_cvt_u32_f32_e32 v36, v36
	v_mul_lo_u32 v37, s30, v36
	v_mul_hi_u32 v37, v36, v37
	v_add_u32_e32 v36, v36, v37
	v_mul_hi_u32 v36, v38, v36
	v_mul_lo_u32 v37, v36, s44
	v_sub_u32_e32 v37, v38, v37
	v_add_u32_e32 v41, 1, v36
	v_subrev_u32_e32 v43, s44, v37
	v_cmp_le_u32_e32 vcc, s44, v37
	v_cndmask_b32_e32 v37, v37, v43, vcc
	v_cndmask_b32_e32 v36, v36, v41, vcc
	v_add_u32_e32 v41, 1, v36
	v_cmp_le_u32_e32 vcc, s44, v37
	v_cndmask_b32_e32 v36, v36, v41, vcc
	v_mov_b32_e32 v37, 0
.LBB1164_251:
	s_or_b64 exec, exec, s[26:27]
	v_mul_lo_u32 v41, v37, s44
	v_mul_lo_u32 v43, v36, s45
	v_mad_u64_u32 v[62:63], s[26:27], v36, s44, 0
	v_add3_u32 v41, v63, v43, v41
	v_sub_co_u32_e32 v38, vcc, v38, v62
	v_subb_co_u32_e32 v39, vcc, v39, v41, vcc
	v_add_co_u32_e32 v36, vcc, v36, v38
	v_addc_co_u32_e32 v37, vcc, v37, v39, vcc
	s_or_b64 exec, exec, s[28:29]
                                        ; implicit-def: $vgpr38_vgpr39
	s_and_saveexec_b64 s[26:27], s[24:25]
	s_cbranch_execz .LBB1164_222
.LBB1164_252:
	v_mov_b32_e32 v39, s79
	v_add_co_u32_e32 v40, vcc, s78, v40
	v_addc_co_u32_e32 v41, vcc, 0, v39, vcc
	v_mov_b32_e32 v38, 0
	v_or_b32_e32 v39, s45, v41
	v_cmp_ne_u64_e32 vcc, 0, v[38:39]
                                        ; implicit-def: $vgpr38_vgpr39
	s_and_saveexec_b64 s[24:25], vcc
	s_xor_b64 s[28:29], exec, s[24:25]
	s_cbranch_execz .LBB1164_254
; %bb.253:
	s_ashr_i32 s30, s45, 31
	s_add_u32 s24, s44, s30
	s_mov_b32 s31, s30
	s_addc_u32 s25, s45, s30
	s_xor_b64 s[34:35], s[24:25], s[30:31]
	v_cvt_f32_u32_e32 v38, s34
	v_cvt_f32_u32_e32 v39, s35
	s_sub_u32 s24, 0, s34
	s_subb_u32 s25, 0, s35
	v_madmk_f32 v38, v39, 0x4f800000, v38
	v_rcp_f32_e32 v38, v38
	v_mul_f32_e32 v38, 0x5f7ffffc, v38
	v_mul_f32_e32 v39, 0x2f800000, v38
	v_trunc_f32_e32 v39, v39
	v_madmk_f32 v38, v39, 0xcf800000, v38
	v_cvt_u32_f32_e32 v39, v39
	v_cvt_u32_f32_e32 v38, v38
	v_mul_lo_u32 v43, s24, v39
	v_mul_hi_u32 v47, s24, v38
	v_mul_lo_u32 v45, s25, v38
	v_add_u32_e32 v43, v47, v43
	v_mul_lo_u32 v49, s24, v38
	v_add_u32_e32 v43, v43, v45
	v_mul_lo_u32 v47, v38, v43
	v_mul_hi_u32 v51, v38, v49
	v_mul_hi_u32 v45, v38, v43
	v_add_co_u32_e32 v47, vcc, v51, v47
	v_addc_co_u32_e32 v45, vcc, 0, v45, vcc
	v_mul_hi_u32 v53, v39, v49
	v_mul_lo_u32 v49, v39, v49
	v_add_co_u32_e32 v47, vcc, v47, v49
	v_mul_hi_u32 v51, v39, v43
	v_addc_co_u32_e32 v45, vcc, v45, v53, vcc
	v_addc_co_u32_e32 v47, vcc, 0, v51, vcc
	v_mul_lo_u32 v43, v39, v43
	v_add_co_u32_e32 v43, vcc, v45, v43
	v_addc_co_u32_e32 v45, vcc, 0, v47, vcc
	v_add_co_u32_e32 v38, vcc, v38, v43
	v_addc_co_u32_e32 v39, vcc, v39, v45, vcc
	v_mul_lo_u32 v43, s24, v39
	v_mul_hi_u32 v45, s24, v38
	v_add_u32_e32 v43, v45, v43
	v_mul_lo_u32 v45, s25, v38
	v_add_u32_e32 v43, v43, v45
	v_mul_lo_u32 v47, s24, v38
	v_mul_hi_u32 v49, v39, v47
	v_mul_lo_u32 v51, v39, v47
	v_mul_lo_u32 v55, v38, v43
	v_mul_hi_u32 v47, v38, v47
	v_mul_hi_u32 v53, v38, v43
	v_add_co_u32_e32 v47, vcc, v47, v55
	v_addc_co_u32_e32 v53, vcc, 0, v53, vcc
	v_add_co_u32_e32 v47, vcc, v47, v51
	v_mul_hi_u32 v45, v39, v43
	v_addc_co_u32_e32 v47, vcc, v53, v49, vcc
	v_addc_co_u32_e32 v45, vcc, 0, v45, vcc
	v_mul_lo_u32 v43, v39, v43
	v_add_co_u32_e32 v43, vcc, v47, v43
	v_addc_co_u32_e32 v45, vcc, 0, v45, vcc
	v_add_co_u32_e32 v43, vcc, v38, v43
	v_addc_co_u32_e32 v45, vcc, v39, v45, vcc
	v_ashrrev_i32_e32 v47, 31, v41
	v_add_co_u32_e32 v38, vcc, v40, v47
	v_addc_co_u32_e32 v39, vcc, v41, v47, vcc
	v_xor_b32_e32 v51, v38, v47
	v_xor_b32_e32 v49, v39, v47
	v_mad_u64_u32 v[38:39], s[24:25], v51, v45, 0
	v_mul_hi_u32 v53, v51, v43
	v_add_co_u32_e32 v53, vcc, v53, v38
	v_addc_co_u32_e32 v55, vcc, 0, v39, vcc
	v_mad_u64_u32 v[62:63], s[24:25], v49, v43, 0
	v_add_co_u32_e32 v43, vcc, v53, v62
	v_mad_u64_u32 v[38:39], s[24:25], v49, v45, 0
	v_addc_co_u32_e32 v43, vcc, v55, v63, vcc
	v_addc_co_u32_e32 v39, vcc, 0, v39, vcc
	v_add_co_u32_e32 v43, vcc, v43, v38
	v_addc_co_u32_e32 v45, vcc, 0, v39, vcc
	v_mul_lo_u32 v53, s35, v43
	v_mul_lo_u32 v55, s34, v45
	v_mad_u64_u32 v[38:39], s[24:25], s34, v43, 0
	v_add3_u32 v39, v39, v55, v53
	v_sub_u32_e32 v53, v49, v39
	v_mov_b32_e32 v55, s35
	v_sub_co_u32_e32 v38, vcc, v51, v38
	v_subb_co_u32_e64 v51, s[24:25], v53, v55, vcc
	v_subrev_co_u32_e64 v53, s[24:25], s34, v38
	v_subbrev_co_u32_e64 v51, s[24:25], 0, v51, s[24:25]
	v_cmp_le_u32_e64 s[24:25], s35, v51
	v_cndmask_b32_e64 v55, 0, -1, s[24:25]
	v_cmp_le_u32_e64 s[24:25], s34, v53
	v_cndmask_b32_e64 v53, 0, -1, s[24:25]
	v_cmp_eq_u32_e64 s[24:25], s35, v51
	v_cndmask_b32_e64 v51, v55, v53, s[24:25]
	v_add_co_u32_e64 v53, s[24:25], 2, v43
	v_subb_co_u32_e32 v39, vcc, v49, v39, vcc
	v_addc_co_u32_e64 v55, s[24:25], 0, v45, s[24:25]
	v_cmp_le_u32_e32 vcc, s35, v39
	v_add_co_u32_e64 v57, s[24:25], 1, v43
	v_cndmask_b32_e64 v49, 0, -1, vcc
	v_cmp_le_u32_e32 vcc, s34, v38
	v_addc_co_u32_e64 v59, s[24:25], 0, v45, s[24:25]
	v_cndmask_b32_e64 v38, 0, -1, vcc
	v_cmp_eq_u32_e32 vcc, s35, v39
	v_cmp_ne_u32_e64 s[24:25], 0, v51
	v_cndmask_b32_e32 v38, v49, v38, vcc
	v_cndmask_b32_e64 v51, v59, v55, s[24:25]
	v_cmp_ne_u32_e32 vcc, 0, v38
	v_cndmask_b32_e64 v39, v57, v53, s[24:25]
	v_cndmask_b32_e32 v38, v45, v51, vcc
	v_cndmask_b32_e32 v39, v43, v39, vcc
	v_xor_b32_e32 v43, s30, v47
	v_xor_b32_e32 v45, v38, v43
	;; [unrolled: 1-line block ×3, first 2 shown]
	v_sub_co_u32_e32 v38, vcc, v38, v43
	v_subb_co_u32_e32 v39, vcc, v45, v43, vcc
.LBB1164_254:
	s_andn2_saveexec_b64 s[24:25], s[28:29]
	s_cbranch_execz .LBB1164_256
; %bb.255:
	v_cvt_f32_u32_e32 v38, s44
	s_sub_i32 s28, 0, s44
	v_rcp_iflag_f32_e32 v38, v38
	v_mul_f32_e32 v38, 0x4f7ffffe, v38
	v_cvt_u32_f32_e32 v38, v38
	v_mul_lo_u32 v39, s28, v38
	v_mul_hi_u32 v39, v38, v39
	v_add_u32_e32 v38, v38, v39
	v_mul_hi_u32 v38, v40, v38
	v_mul_lo_u32 v39, v38, s44
	v_sub_u32_e32 v39, v40, v39
	v_add_u32_e32 v43, 1, v38
	v_subrev_u32_e32 v45, s44, v39
	v_cmp_le_u32_e32 vcc, s44, v39
	v_cndmask_b32_e32 v39, v39, v45, vcc
	v_cndmask_b32_e32 v38, v38, v43, vcc
	v_add_u32_e32 v43, 1, v38
	v_cmp_le_u32_e32 vcc, s44, v39
	v_cndmask_b32_e32 v38, v38, v43, vcc
	v_mov_b32_e32 v39, 0
.LBB1164_256:
	s_or_b64 exec, exec, s[24:25]
	v_mul_lo_u32 v43, v39, s44
	v_mul_lo_u32 v45, v38, s45
	v_mad_u64_u32 v[62:63], s[24:25], v38, s44, 0
	v_add3_u32 v43, v63, v45, v43
	v_sub_co_u32_e32 v40, vcc, v40, v62
	v_subb_co_u32_e32 v41, vcc, v41, v43, vcc
	v_add_co_u32_e32 v38, vcc, v38, v40
	v_addc_co_u32_e32 v39, vcc, v39, v41, vcc
	s_or_b64 exec, exec, s[26:27]
                                        ; implicit-def: $vgpr40_vgpr41
	s_and_saveexec_b64 s[24:25], s[22:23]
	s_cbranch_execz .LBB1164_223
.LBB1164_257:
	v_mov_b32_e32 v41, s79
	v_add_co_u32_e32 v42, vcc, s78, v42
	v_addc_co_u32_e32 v43, vcc, 0, v41, vcc
	v_mov_b32_e32 v40, 0
	v_or_b32_e32 v41, s45, v43
	v_cmp_ne_u64_e32 vcc, 0, v[40:41]
                                        ; implicit-def: $vgpr40_vgpr41
	s_and_saveexec_b64 s[22:23], vcc
	s_xor_b64 s[26:27], exec, s[22:23]
	s_cbranch_execz .LBB1164_259
; %bb.258:
	s_ashr_i32 s28, s45, 31
	s_add_u32 s22, s44, s28
	s_mov_b32 s29, s28
	s_addc_u32 s23, s45, s28
	s_xor_b64 s[30:31], s[22:23], s[28:29]
	v_cvt_f32_u32_e32 v40, s30
	v_cvt_f32_u32_e32 v41, s31
	s_sub_u32 s22, 0, s30
	s_subb_u32 s23, 0, s31
	v_madmk_f32 v40, v41, 0x4f800000, v40
	v_rcp_f32_e32 v40, v40
	v_mul_f32_e32 v40, 0x5f7ffffc, v40
	v_mul_f32_e32 v41, 0x2f800000, v40
	v_trunc_f32_e32 v41, v41
	v_madmk_f32 v40, v41, 0xcf800000, v40
	v_cvt_u32_f32_e32 v41, v41
	v_cvt_u32_f32_e32 v40, v40
	v_mul_lo_u32 v45, s22, v41
	v_mul_hi_u32 v49, s22, v40
	v_mul_lo_u32 v47, s23, v40
	v_add_u32_e32 v45, v49, v45
	v_mul_lo_u32 v51, s22, v40
	v_add_u32_e32 v45, v45, v47
	v_mul_lo_u32 v49, v40, v45
	v_mul_hi_u32 v53, v40, v51
	v_mul_hi_u32 v47, v40, v45
	v_add_co_u32_e32 v49, vcc, v53, v49
	v_addc_co_u32_e32 v47, vcc, 0, v47, vcc
	v_mul_hi_u32 v55, v41, v51
	v_mul_lo_u32 v51, v41, v51
	v_add_co_u32_e32 v49, vcc, v49, v51
	v_mul_hi_u32 v53, v41, v45
	v_addc_co_u32_e32 v47, vcc, v47, v55, vcc
	v_addc_co_u32_e32 v49, vcc, 0, v53, vcc
	v_mul_lo_u32 v45, v41, v45
	v_add_co_u32_e32 v45, vcc, v47, v45
	v_addc_co_u32_e32 v47, vcc, 0, v49, vcc
	v_add_co_u32_e32 v40, vcc, v40, v45
	v_addc_co_u32_e32 v41, vcc, v41, v47, vcc
	v_mul_lo_u32 v45, s22, v41
	v_mul_hi_u32 v47, s22, v40
	v_add_u32_e32 v45, v47, v45
	v_mul_lo_u32 v47, s23, v40
	v_add_u32_e32 v45, v45, v47
	v_mul_lo_u32 v49, s22, v40
	v_mul_hi_u32 v51, v41, v49
	v_mul_lo_u32 v53, v41, v49
	v_mul_lo_u32 v57, v40, v45
	v_mul_hi_u32 v49, v40, v49
	v_mul_hi_u32 v55, v40, v45
	v_add_co_u32_e32 v49, vcc, v49, v57
	v_addc_co_u32_e32 v55, vcc, 0, v55, vcc
	v_add_co_u32_e32 v49, vcc, v49, v53
	v_mul_hi_u32 v47, v41, v45
	v_addc_co_u32_e32 v49, vcc, v55, v51, vcc
	v_addc_co_u32_e32 v47, vcc, 0, v47, vcc
	v_mul_lo_u32 v45, v41, v45
	v_add_co_u32_e32 v45, vcc, v49, v45
	v_addc_co_u32_e32 v47, vcc, 0, v47, vcc
	v_add_co_u32_e32 v45, vcc, v40, v45
	v_addc_co_u32_e32 v47, vcc, v41, v47, vcc
	v_ashrrev_i32_e32 v49, 31, v43
	v_add_co_u32_e32 v40, vcc, v42, v49
	v_addc_co_u32_e32 v41, vcc, v43, v49, vcc
	v_xor_b32_e32 v53, v40, v49
	v_xor_b32_e32 v51, v41, v49
	v_mad_u64_u32 v[40:41], s[22:23], v53, v47, 0
	v_mul_hi_u32 v55, v53, v45
	v_add_co_u32_e32 v55, vcc, v55, v40
	v_addc_co_u32_e32 v57, vcc, 0, v41, vcc
	v_mad_u64_u32 v[62:63], s[22:23], v51, v45, 0
	v_add_co_u32_e32 v45, vcc, v55, v62
	v_mad_u64_u32 v[40:41], s[22:23], v51, v47, 0
	v_addc_co_u32_e32 v45, vcc, v57, v63, vcc
	v_addc_co_u32_e32 v41, vcc, 0, v41, vcc
	v_add_co_u32_e32 v45, vcc, v45, v40
	v_addc_co_u32_e32 v47, vcc, 0, v41, vcc
	v_mul_lo_u32 v55, s31, v45
	v_mul_lo_u32 v57, s30, v47
	v_mad_u64_u32 v[40:41], s[22:23], s30, v45, 0
	v_add3_u32 v41, v41, v57, v55
	v_sub_u32_e32 v55, v51, v41
	v_mov_b32_e32 v57, s31
	v_sub_co_u32_e32 v40, vcc, v53, v40
	v_subb_co_u32_e64 v53, s[22:23], v55, v57, vcc
	v_subrev_co_u32_e64 v55, s[22:23], s30, v40
	v_subbrev_co_u32_e64 v53, s[22:23], 0, v53, s[22:23]
	v_cmp_le_u32_e64 s[22:23], s31, v53
	v_cndmask_b32_e64 v57, 0, -1, s[22:23]
	v_cmp_le_u32_e64 s[22:23], s30, v55
	v_cndmask_b32_e64 v55, 0, -1, s[22:23]
	v_cmp_eq_u32_e64 s[22:23], s31, v53
	v_cndmask_b32_e64 v53, v57, v55, s[22:23]
	v_add_co_u32_e64 v55, s[22:23], 2, v45
	v_subb_co_u32_e32 v41, vcc, v51, v41, vcc
	v_addc_co_u32_e64 v57, s[22:23], 0, v47, s[22:23]
	v_cmp_le_u32_e32 vcc, s31, v41
	v_add_co_u32_e64 v59, s[22:23], 1, v45
	v_cndmask_b32_e64 v51, 0, -1, vcc
	v_cmp_le_u32_e32 vcc, s30, v40
	v_addc_co_u32_e64 v61, s[22:23], 0, v47, s[22:23]
	v_cndmask_b32_e64 v40, 0, -1, vcc
	v_cmp_eq_u32_e32 vcc, s31, v41
	v_cmp_ne_u32_e64 s[22:23], 0, v53
	v_cndmask_b32_e32 v40, v51, v40, vcc
	v_cndmask_b32_e64 v53, v61, v57, s[22:23]
	v_cmp_ne_u32_e32 vcc, 0, v40
	v_cndmask_b32_e64 v41, v59, v55, s[22:23]
	v_cndmask_b32_e32 v40, v47, v53, vcc
	v_cndmask_b32_e32 v41, v45, v41, vcc
	v_xor_b32_e32 v45, s28, v49
	v_xor_b32_e32 v47, v40, v45
	v_xor_b32_e32 v40, v41, v45
	v_sub_co_u32_e32 v40, vcc, v40, v45
	v_subb_co_u32_e32 v41, vcc, v47, v45, vcc
.LBB1164_259:
	s_andn2_saveexec_b64 s[22:23], s[26:27]
	s_cbranch_execz .LBB1164_261
; %bb.260:
	v_cvt_f32_u32_e32 v40, s44
	s_sub_i32 s26, 0, s44
	v_rcp_iflag_f32_e32 v40, v40
	v_mul_f32_e32 v40, 0x4f7ffffe, v40
	v_cvt_u32_f32_e32 v40, v40
	v_mul_lo_u32 v41, s26, v40
	v_mul_hi_u32 v41, v40, v41
	v_add_u32_e32 v40, v40, v41
	v_mul_hi_u32 v40, v42, v40
	v_mul_lo_u32 v41, v40, s44
	v_sub_u32_e32 v41, v42, v41
	v_add_u32_e32 v45, 1, v40
	v_subrev_u32_e32 v47, s44, v41
	v_cmp_le_u32_e32 vcc, s44, v41
	v_cndmask_b32_e32 v41, v41, v47, vcc
	v_cndmask_b32_e32 v40, v40, v45, vcc
	v_add_u32_e32 v45, 1, v40
	v_cmp_le_u32_e32 vcc, s44, v41
	v_cndmask_b32_e32 v40, v40, v45, vcc
	v_mov_b32_e32 v41, 0
.LBB1164_261:
	s_or_b64 exec, exec, s[22:23]
	v_mul_lo_u32 v45, v41, s44
	v_mul_lo_u32 v47, v40, s45
	v_mad_u64_u32 v[62:63], s[22:23], v40, s44, 0
	v_add3_u32 v45, v63, v47, v45
	v_sub_co_u32_e32 v42, vcc, v42, v62
	v_subb_co_u32_e32 v43, vcc, v43, v45, vcc
	v_add_co_u32_e32 v40, vcc, v40, v42
	v_addc_co_u32_e32 v41, vcc, v41, v43, vcc
	s_or_b64 exec, exec, s[24:25]
                                        ; implicit-def: $vgpr42_vgpr43
	s_and_saveexec_b64 s[22:23], s[20:21]
	s_cbranch_execz .LBB1164_224
.LBB1164_262:
	v_mov_b32_e32 v43, s79
	v_add_co_u32_e32 v44, vcc, s78, v44
	v_addc_co_u32_e32 v45, vcc, 0, v43, vcc
	v_mov_b32_e32 v42, 0
	v_or_b32_e32 v43, s45, v45
	v_cmp_ne_u64_e32 vcc, 0, v[42:43]
                                        ; implicit-def: $vgpr42_vgpr43
	s_and_saveexec_b64 s[20:21], vcc
	s_xor_b64 s[24:25], exec, s[20:21]
	s_cbranch_execz .LBB1164_264
; %bb.263:
	s_ashr_i32 s26, s45, 31
	s_add_u32 s20, s44, s26
	s_mov_b32 s27, s26
	s_addc_u32 s21, s45, s26
	s_xor_b64 s[28:29], s[20:21], s[26:27]
	v_cvt_f32_u32_e32 v42, s28
	v_cvt_f32_u32_e32 v43, s29
	s_sub_u32 s20, 0, s28
	s_subb_u32 s21, 0, s29
	v_madmk_f32 v42, v43, 0x4f800000, v42
	v_rcp_f32_e32 v42, v42
	v_mul_f32_e32 v42, 0x5f7ffffc, v42
	v_mul_f32_e32 v43, 0x2f800000, v42
	v_trunc_f32_e32 v43, v43
	v_madmk_f32 v42, v43, 0xcf800000, v42
	v_cvt_u32_f32_e32 v43, v43
	v_cvt_u32_f32_e32 v42, v42
	v_mul_lo_u32 v47, s20, v43
	v_mul_hi_u32 v51, s20, v42
	v_mul_lo_u32 v49, s21, v42
	v_add_u32_e32 v47, v51, v47
	v_mul_lo_u32 v53, s20, v42
	v_add_u32_e32 v47, v47, v49
	v_mul_lo_u32 v51, v42, v47
	v_mul_hi_u32 v55, v42, v53
	v_mul_hi_u32 v49, v42, v47
	v_add_co_u32_e32 v51, vcc, v55, v51
	v_addc_co_u32_e32 v49, vcc, 0, v49, vcc
	v_mul_hi_u32 v57, v43, v53
	v_mul_lo_u32 v53, v43, v53
	v_add_co_u32_e32 v51, vcc, v51, v53
	v_mul_hi_u32 v55, v43, v47
	v_addc_co_u32_e32 v49, vcc, v49, v57, vcc
	v_addc_co_u32_e32 v51, vcc, 0, v55, vcc
	v_mul_lo_u32 v47, v43, v47
	v_add_co_u32_e32 v47, vcc, v49, v47
	v_addc_co_u32_e32 v49, vcc, 0, v51, vcc
	v_add_co_u32_e32 v42, vcc, v42, v47
	v_addc_co_u32_e32 v43, vcc, v43, v49, vcc
	v_mul_lo_u32 v47, s20, v43
	v_mul_hi_u32 v49, s20, v42
	v_add_u32_e32 v47, v49, v47
	v_mul_lo_u32 v49, s21, v42
	v_add_u32_e32 v47, v47, v49
	v_mul_lo_u32 v51, s20, v42
	v_mul_hi_u32 v53, v43, v51
	v_mul_lo_u32 v55, v43, v51
	v_mul_lo_u32 v59, v42, v47
	v_mul_hi_u32 v51, v42, v51
	v_mul_hi_u32 v57, v42, v47
	v_add_co_u32_e32 v51, vcc, v51, v59
	v_addc_co_u32_e32 v57, vcc, 0, v57, vcc
	v_add_co_u32_e32 v51, vcc, v51, v55
	v_mul_hi_u32 v49, v43, v47
	v_addc_co_u32_e32 v51, vcc, v57, v53, vcc
	v_addc_co_u32_e32 v49, vcc, 0, v49, vcc
	v_mul_lo_u32 v47, v43, v47
	v_add_co_u32_e32 v47, vcc, v51, v47
	v_addc_co_u32_e32 v49, vcc, 0, v49, vcc
	v_add_co_u32_e32 v47, vcc, v42, v47
	v_addc_co_u32_e32 v49, vcc, v43, v49, vcc
	v_ashrrev_i32_e32 v51, 31, v45
	v_add_co_u32_e32 v42, vcc, v44, v51
	v_addc_co_u32_e32 v43, vcc, v45, v51, vcc
	v_xor_b32_e32 v55, v42, v51
	v_xor_b32_e32 v53, v43, v51
	v_mad_u64_u32 v[42:43], s[20:21], v55, v49, 0
	v_mul_hi_u32 v57, v55, v47
	v_add_co_u32_e32 v57, vcc, v57, v42
	v_addc_co_u32_e32 v59, vcc, 0, v43, vcc
	v_mad_u64_u32 v[62:63], s[20:21], v53, v47, 0
	v_add_co_u32_e32 v47, vcc, v57, v62
	v_mad_u64_u32 v[42:43], s[20:21], v53, v49, 0
	v_addc_co_u32_e32 v47, vcc, v59, v63, vcc
	v_addc_co_u32_e32 v43, vcc, 0, v43, vcc
	v_add_co_u32_e32 v47, vcc, v47, v42
	v_addc_co_u32_e32 v49, vcc, 0, v43, vcc
	v_mul_lo_u32 v57, s29, v47
	v_mul_lo_u32 v59, s28, v49
	v_mad_u64_u32 v[42:43], s[20:21], s28, v47, 0
	v_add3_u32 v43, v43, v59, v57
	v_sub_u32_e32 v57, v53, v43
	v_mov_b32_e32 v59, s29
	v_sub_co_u32_e32 v42, vcc, v55, v42
	v_subb_co_u32_e64 v55, s[20:21], v57, v59, vcc
	v_subrev_co_u32_e64 v57, s[20:21], s28, v42
	v_subbrev_co_u32_e64 v55, s[20:21], 0, v55, s[20:21]
	v_cmp_le_u32_e64 s[20:21], s29, v55
	v_cndmask_b32_e64 v59, 0, -1, s[20:21]
	v_cmp_le_u32_e64 s[20:21], s28, v57
	v_cndmask_b32_e64 v57, 0, -1, s[20:21]
	v_cmp_eq_u32_e64 s[20:21], s29, v55
	v_cndmask_b32_e64 v55, v59, v57, s[20:21]
	v_add_co_u32_e64 v57, s[20:21], 2, v47
	v_subb_co_u32_e32 v43, vcc, v53, v43, vcc
	v_addc_co_u32_e64 v59, s[20:21], 0, v49, s[20:21]
	v_cmp_le_u32_e32 vcc, s29, v43
	v_add_co_u32_e64 v61, s[20:21], 1, v47
	v_cndmask_b32_e64 v53, 0, -1, vcc
	v_cmp_le_u32_e32 vcc, s28, v42
	v_addc_co_u32_e64 v62, s[20:21], 0, v49, s[20:21]
	v_cndmask_b32_e64 v42, 0, -1, vcc
	v_cmp_eq_u32_e32 vcc, s29, v43
	v_cmp_ne_u32_e64 s[20:21], 0, v55
	v_cndmask_b32_e32 v42, v53, v42, vcc
	v_cndmask_b32_e64 v55, v62, v59, s[20:21]
	v_cmp_ne_u32_e32 vcc, 0, v42
	v_cndmask_b32_e64 v43, v61, v57, s[20:21]
	v_cndmask_b32_e32 v42, v49, v55, vcc
	v_cndmask_b32_e32 v43, v47, v43, vcc
	v_xor_b32_e32 v47, s26, v51
	v_xor_b32_e32 v49, v42, v47
	;; [unrolled: 1-line block ×3, first 2 shown]
	v_sub_co_u32_e32 v42, vcc, v42, v47
	v_subb_co_u32_e32 v43, vcc, v49, v47, vcc
.LBB1164_264:
	s_andn2_saveexec_b64 s[20:21], s[24:25]
	s_cbranch_execz .LBB1164_266
; %bb.265:
	v_cvt_f32_u32_e32 v42, s44
	s_sub_i32 s24, 0, s44
	v_rcp_iflag_f32_e32 v42, v42
	v_mul_f32_e32 v42, 0x4f7ffffe, v42
	v_cvt_u32_f32_e32 v42, v42
	v_mul_lo_u32 v43, s24, v42
	v_mul_hi_u32 v43, v42, v43
	v_add_u32_e32 v42, v42, v43
	v_mul_hi_u32 v42, v44, v42
	v_mul_lo_u32 v43, v42, s44
	v_sub_u32_e32 v43, v44, v43
	v_add_u32_e32 v47, 1, v42
	v_subrev_u32_e32 v49, s44, v43
	v_cmp_le_u32_e32 vcc, s44, v43
	v_cndmask_b32_e32 v43, v43, v49, vcc
	v_cndmask_b32_e32 v42, v42, v47, vcc
	v_add_u32_e32 v47, 1, v42
	v_cmp_le_u32_e32 vcc, s44, v43
	v_cndmask_b32_e32 v42, v42, v47, vcc
	v_mov_b32_e32 v43, 0
.LBB1164_266:
	s_or_b64 exec, exec, s[20:21]
	v_mul_lo_u32 v47, v43, s44
	v_mul_lo_u32 v49, v42, s45
	v_mad_u64_u32 v[62:63], s[20:21], v42, s44, 0
	v_add3_u32 v47, v63, v49, v47
	v_sub_co_u32_e32 v44, vcc, v44, v62
	v_subb_co_u32_e32 v45, vcc, v45, v47, vcc
	v_add_co_u32_e32 v42, vcc, v42, v44
	v_addc_co_u32_e32 v43, vcc, v43, v45, vcc
	s_or_b64 exec, exec, s[22:23]
                                        ; implicit-def: $vgpr44_vgpr45
	s_and_saveexec_b64 s[20:21], s[18:19]
	s_cbranch_execz .LBB1164_225
.LBB1164_267:
	v_mov_b32_e32 v45, s79
	v_add_co_u32_e32 v46, vcc, s78, v46
	v_addc_co_u32_e32 v47, vcc, 0, v45, vcc
	v_mov_b32_e32 v44, 0
	v_or_b32_e32 v45, s45, v47
	v_cmp_ne_u64_e32 vcc, 0, v[44:45]
                                        ; implicit-def: $vgpr44_vgpr45
	s_and_saveexec_b64 s[18:19], vcc
	s_xor_b64 s[22:23], exec, s[18:19]
	s_cbranch_execz .LBB1164_269
; %bb.268:
	s_ashr_i32 s24, s45, 31
	s_add_u32 s18, s44, s24
	s_mov_b32 s25, s24
	s_addc_u32 s19, s45, s24
	s_xor_b64 s[26:27], s[18:19], s[24:25]
	v_cvt_f32_u32_e32 v44, s26
	v_cvt_f32_u32_e32 v45, s27
	s_sub_u32 s18, 0, s26
	s_subb_u32 s19, 0, s27
	v_madmk_f32 v44, v45, 0x4f800000, v44
	v_rcp_f32_e32 v44, v44
	v_mul_f32_e32 v44, 0x5f7ffffc, v44
	v_mul_f32_e32 v45, 0x2f800000, v44
	v_trunc_f32_e32 v45, v45
	v_madmk_f32 v44, v45, 0xcf800000, v44
	v_cvt_u32_f32_e32 v45, v45
	v_cvt_u32_f32_e32 v44, v44
	v_mul_lo_u32 v49, s18, v45
	v_mul_hi_u32 v53, s18, v44
	v_mul_lo_u32 v51, s19, v44
	v_add_u32_e32 v49, v53, v49
	v_mul_lo_u32 v55, s18, v44
	v_add_u32_e32 v49, v49, v51
	v_mul_lo_u32 v53, v44, v49
	v_mul_hi_u32 v57, v44, v55
	v_mul_hi_u32 v51, v44, v49
	v_add_co_u32_e32 v53, vcc, v57, v53
	v_addc_co_u32_e32 v51, vcc, 0, v51, vcc
	v_mul_hi_u32 v59, v45, v55
	v_mul_lo_u32 v55, v45, v55
	v_add_co_u32_e32 v53, vcc, v53, v55
	v_mul_hi_u32 v57, v45, v49
	v_addc_co_u32_e32 v51, vcc, v51, v59, vcc
	v_addc_co_u32_e32 v53, vcc, 0, v57, vcc
	v_mul_lo_u32 v49, v45, v49
	v_add_co_u32_e32 v49, vcc, v51, v49
	v_addc_co_u32_e32 v51, vcc, 0, v53, vcc
	v_add_co_u32_e32 v44, vcc, v44, v49
	v_addc_co_u32_e32 v45, vcc, v45, v51, vcc
	v_mul_lo_u32 v49, s18, v45
	v_mul_hi_u32 v51, s18, v44
	v_add_u32_e32 v49, v51, v49
	v_mul_lo_u32 v51, s19, v44
	v_add_u32_e32 v49, v49, v51
	v_mul_lo_u32 v53, s18, v44
	v_mul_hi_u32 v55, v45, v53
	v_mul_lo_u32 v57, v45, v53
	v_mul_lo_u32 v61, v44, v49
	v_mul_hi_u32 v53, v44, v53
	v_mul_hi_u32 v59, v44, v49
	v_add_co_u32_e32 v53, vcc, v53, v61
	v_addc_co_u32_e32 v59, vcc, 0, v59, vcc
	v_add_co_u32_e32 v53, vcc, v53, v57
	v_mul_hi_u32 v51, v45, v49
	v_addc_co_u32_e32 v53, vcc, v59, v55, vcc
	v_addc_co_u32_e32 v51, vcc, 0, v51, vcc
	v_mul_lo_u32 v49, v45, v49
	v_add_co_u32_e32 v49, vcc, v53, v49
	v_addc_co_u32_e32 v51, vcc, 0, v51, vcc
	v_add_co_u32_e32 v49, vcc, v44, v49
	v_addc_co_u32_e32 v51, vcc, v45, v51, vcc
	v_ashrrev_i32_e32 v53, 31, v47
	v_add_co_u32_e32 v44, vcc, v46, v53
	v_addc_co_u32_e32 v45, vcc, v47, v53, vcc
	v_xor_b32_e32 v57, v44, v53
	v_xor_b32_e32 v55, v45, v53
	v_mad_u64_u32 v[44:45], s[18:19], v57, v51, 0
	v_mul_hi_u32 v59, v57, v49
	v_add_co_u32_e32 v59, vcc, v59, v44
	v_addc_co_u32_e32 v61, vcc, 0, v45, vcc
	v_mad_u64_u32 v[62:63], s[18:19], v55, v49, 0
	v_add_co_u32_e32 v49, vcc, v59, v62
	v_mad_u64_u32 v[44:45], s[18:19], v55, v51, 0
	v_addc_co_u32_e32 v49, vcc, v61, v63, vcc
	v_addc_co_u32_e32 v45, vcc, 0, v45, vcc
	v_add_co_u32_e32 v49, vcc, v49, v44
	v_addc_co_u32_e32 v51, vcc, 0, v45, vcc
	v_mul_lo_u32 v59, s27, v49
	v_mul_lo_u32 v61, s26, v51
	v_mad_u64_u32 v[44:45], s[18:19], s26, v49, 0
	v_add3_u32 v45, v45, v61, v59
	v_sub_u32_e32 v59, v55, v45
	v_mov_b32_e32 v61, s27
	v_sub_co_u32_e32 v44, vcc, v57, v44
	v_subb_co_u32_e64 v57, s[18:19], v59, v61, vcc
	v_subrev_co_u32_e64 v59, s[18:19], s26, v44
	v_subbrev_co_u32_e64 v57, s[18:19], 0, v57, s[18:19]
	v_cmp_le_u32_e64 s[18:19], s27, v57
	v_cndmask_b32_e64 v61, 0, -1, s[18:19]
	v_cmp_le_u32_e64 s[18:19], s26, v59
	v_cndmask_b32_e64 v59, 0, -1, s[18:19]
	v_cmp_eq_u32_e64 s[18:19], s27, v57
	v_cndmask_b32_e64 v57, v61, v59, s[18:19]
	v_add_co_u32_e64 v59, s[18:19], 2, v49
	v_subb_co_u32_e32 v45, vcc, v55, v45, vcc
	v_addc_co_u32_e64 v61, s[18:19], 0, v51, s[18:19]
	v_cmp_le_u32_e32 vcc, s27, v45
	v_add_co_u32_e64 v62, s[18:19], 1, v49
	v_cndmask_b32_e64 v55, 0, -1, vcc
	v_cmp_le_u32_e32 vcc, s26, v44
	v_addc_co_u32_e64 v63, s[18:19], 0, v51, s[18:19]
	v_cndmask_b32_e64 v44, 0, -1, vcc
	v_cmp_eq_u32_e32 vcc, s27, v45
	v_cmp_ne_u32_e64 s[18:19], 0, v57
	v_cndmask_b32_e32 v44, v55, v44, vcc
	v_cndmask_b32_e64 v57, v63, v61, s[18:19]
	v_cmp_ne_u32_e32 vcc, 0, v44
	v_cndmask_b32_e64 v45, v62, v59, s[18:19]
	v_cndmask_b32_e32 v44, v51, v57, vcc
	v_cndmask_b32_e32 v45, v49, v45, vcc
	v_xor_b32_e32 v49, s24, v53
	v_xor_b32_e32 v51, v44, v49
	;; [unrolled: 1-line block ×3, first 2 shown]
	v_sub_co_u32_e32 v44, vcc, v44, v49
	v_subb_co_u32_e32 v45, vcc, v51, v49, vcc
.LBB1164_269:
	s_andn2_saveexec_b64 s[18:19], s[22:23]
	s_cbranch_execz .LBB1164_271
; %bb.270:
	v_cvt_f32_u32_e32 v44, s44
	s_sub_i32 s22, 0, s44
	v_rcp_iflag_f32_e32 v44, v44
	v_mul_f32_e32 v44, 0x4f7ffffe, v44
	v_cvt_u32_f32_e32 v44, v44
	v_mul_lo_u32 v45, s22, v44
	v_mul_hi_u32 v45, v44, v45
	v_add_u32_e32 v44, v44, v45
	v_mul_hi_u32 v44, v46, v44
	v_mul_lo_u32 v45, v44, s44
	v_sub_u32_e32 v45, v46, v45
	v_add_u32_e32 v49, 1, v44
	v_subrev_u32_e32 v51, s44, v45
	v_cmp_le_u32_e32 vcc, s44, v45
	v_cndmask_b32_e32 v45, v45, v51, vcc
	v_cndmask_b32_e32 v44, v44, v49, vcc
	v_add_u32_e32 v49, 1, v44
	v_cmp_le_u32_e32 vcc, s44, v45
	v_cndmask_b32_e32 v44, v44, v49, vcc
	v_mov_b32_e32 v45, 0
.LBB1164_271:
	s_or_b64 exec, exec, s[18:19]
	v_mul_lo_u32 v49, v45, s44
	v_mul_lo_u32 v51, v44, s45
	v_mad_u64_u32 v[62:63], s[18:19], v44, s44, 0
	v_add3_u32 v49, v63, v51, v49
	v_sub_co_u32_e32 v46, vcc, v46, v62
	v_subb_co_u32_e32 v47, vcc, v47, v49, vcc
	v_add_co_u32_e32 v44, vcc, v44, v46
	v_addc_co_u32_e32 v45, vcc, v45, v47, vcc
	s_or_b64 exec, exec, s[20:21]
                                        ; implicit-def: $vgpr46_vgpr47
	s_and_saveexec_b64 s[18:19], s[16:17]
	s_cbranch_execz .LBB1164_226
.LBB1164_272:
	v_mov_b32_e32 v47, s79
	v_add_co_u32_e32 v48, vcc, s78, v48
	v_addc_co_u32_e32 v49, vcc, 0, v47, vcc
	v_mov_b32_e32 v46, 0
	v_or_b32_e32 v47, s45, v49
	v_cmp_ne_u64_e32 vcc, 0, v[46:47]
                                        ; implicit-def: $vgpr46_vgpr47
	s_and_saveexec_b64 s[16:17], vcc
	s_xor_b64 s[20:21], exec, s[16:17]
	s_cbranch_execz .LBB1164_274
; %bb.273:
	s_ashr_i32 s22, s45, 31
	s_add_u32 s16, s44, s22
	s_mov_b32 s23, s22
	s_addc_u32 s17, s45, s22
	s_xor_b64 s[24:25], s[16:17], s[22:23]
	v_cvt_f32_u32_e32 v46, s24
	v_cvt_f32_u32_e32 v47, s25
	s_sub_u32 s16, 0, s24
	s_subb_u32 s17, 0, s25
	v_madmk_f32 v46, v47, 0x4f800000, v46
	v_rcp_f32_e32 v46, v46
	v_mul_f32_e32 v46, 0x5f7ffffc, v46
	v_mul_f32_e32 v47, 0x2f800000, v46
	v_trunc_f32_e32 v47, v47
	v_madmk_f32 v46, v47, 0xcf800000, v46
	v_cvt_u32_f32_e32 v47, v47
	v_cvt_u32_f32_e32 v46, v46
	v_mul_lo_u32 v51, s16, v47
	v_mul_hi_u32 v55, s16, v46
	v_mul_lo_u32 v53, s17, v46
	v_add_u32_e32 v51, v55, v51
	v_mul_lo_u32 v57, s16, v46
	v_add_u32_e32 v51, v51, v53
	v_mul_lo_u32 v55, v46, v51
	v_mul_hi_u32 v59, v46, v57
	v_mul_hi_u32 v53, v46, v51
	v_add_co_u32_e32 v55, vcc, v59, v55
	v_addc_co_u32_e32 v53, vcc, 0, v53, vcc
	v_mul_hi_u32 v61, v47, v57
	v_mul_lo_u32 v57, v47, v57
	v_add_co_u32_e32 v55, vcc, v55, v57
	v_mul_hi_u32 v59, v47, v51
	v_addc_co_u32_e32 v53, vcc, v53, v61, vcc
	v_addc_co_u32_e32 v55, vcc, 0, v59, vcc
	v_mul_lo_u32 v51, v47, v51
	v_add_co_u32_e32 v51, vcc, v53, v51
	v_addc_co_u32_e32 v53, vcc, 0, v55, vcc
	v_add_co_u32_e32 v46, vcc, v46, v51
	v_addc_co_u32_e32 v47, vcc, v47, v53, vcc
	v_mul_lo_u32 v51, s16, v47
	v_mul_hi_u32 v53, s16, v46
	v_add_u32_e32 v51, v53, v51
	v_mul_lo_u32 v53, s17, v46
	v_add_u32_e32 v51, v51, v53
	v_mul_lo_u32 v55, s16, v46
	v_mul_hi_u32 v57, v47, v55
	v_mul_lo_u32 v59, v47, v55
	v_mul_lo_u32 v62, v46, v51
	v_mul_hi_u32 v55, v46, v55
	v_mul_hi_u32 v61, v46, v51
	v_add_co_u32_e32 v55, vcc, v55, v62
	v_addc_co_u32_e32 v61, vcc, 0, v61, vcc
	v_add_co_u32_e32 v55, vcc, v55, v59
	v_mul_hi_u32 v53, v47, v51
	v_addc_co_u32_e32 v55, vcc, v61, v57, vcc
	v_addc_co_u32_e32 v53, vcc, 0, v53, vcc
	v_mul_lo_u32 v51, v47, v51
	v_add_co_u32_e32 v51, vcc, v55, v51
	v_addc_co_u32_e32 v53, vcc, 0, v53, vcc
	v_add_co_u32_e32 v51, vcc, v46, v51
	v_addc_co_u32_e32 v53, vcc, v47, v53, vcc
	v_ashrrev_i32_e32 v55, 31, v49
	v_add_co_u32_e32 v46, vcc, v48, v55
	v_addc_co_u32_e32 v47, vcc, v49, v55, vcc
	v_xor_b32_e32 v59, v46, v55
	v_xor_b32_e32 v57, v47, v55
	v_mad_u64_u32 v[46:47], s[16:17], v59, v53, 0
	v_mul_hi_u32 v61, v59, v51
	v_add_co_u32_e32 v61, vcc, v61, v46
	v_addc_co_u32_e32 v64, vcc, 0, v47, vcc
	v_mad_u64_u32 v[62:63], s[16:17], v57, v51, 0
	v_add_co_u32_e32 v51, vcc, v61, v62
	v_mad_u64_u32 v[46:47], s[16:17], v57, v53, 0
	v_addc_co_u32_e32 v51, vcc, v64, v63, vcc
	v_addc_co_u32_e32 v47, vcc, 0, v47, vcc
	v_add_co_u32_e32 v51, vcc, v51, v46
	v_addc_co_u32_e32 v53, vcc, 0, v47, vcc
	v_mul_lo_u32 v61, s25, v51
	v_mul_lo_u32 v62, s24, v53
	v_mad_u64_u32 v[46:47], s[16:17], s24, v51, 0
	v_add3_u32 v47, v47, v62, v61
	v_sub_u32_e32 v61, v57, v47
	v_mov_b32_e32 v62, s25
	v_sub_co_u32_e32 v46, vcc, v59, v46
	v_subb_co_u32_e64 v59, s[16:17], v61, v62, vcc
	v_subrev_co_u32_e64 v61, s[16:17], s24, v46
	v_subbrev_co_u32_e64 v59, s[16:17], 0, v59, s[16:17]
	v_cmp_le_u32_e64 s[16:17], s25, v59
	v_cndmask_b32_e64 v62, 0, -1, s[16:17]
	v_cmp_le_u32_e64 s[16:17], s24, v61
	v_cndmask_b32_e64 v61, 0, -1, s[16:17]
	v_cmp_eq_u32_e64 s[16:17], s25, v59
	v_cndmask_b32_e64 v59, v62, v61, s[16:17]
	v_add_co_u32_e64 v61, s[16:17], 2, v51
	v_subb_co_u32_e32 v47, vcc, v57, v47, vcc
	v_addc_co_u32_e64 v62, s[16:17], 0, v53, s[16:17]
	v_cmp_le_u32_e32 vcc, s25, v47
	v_add_co_u32_e64 v63, s[16:17], 1, v51
	v_cndmask_b32_e64 v57, 0, -1, vcc
	v_cmp_le_u32_e32 vcc, s24, v46
	v_addc_co_u32_e64 v64, s[16:17], 0, v53, s[16:17]
	v_cndmask_b32_e64 v46, 0, -1, vcc
	v_cmp_eq_u32_e32 vcc, s25, v47
	v_cmp_ne_u32_e64 s[16:17], 0, v59
	v_cndmask_b32_e32 v46, v57, v46, vcc
	v_cndmask_b32_e64 v59, v64, v62, s[16:17]
	v_cmp_ne_u32_e32 vcc, 0, v46
	v_cndmask_b32_e64 v47, v63, v61, s[16:17]
	v_cndmask_b32_e32 v46, v53, v59, vcc
	v_cndmask_b32_e32 v47, v51, v47, vcc
	v_xor_b32_e32 v51, s22, v55
	v_xor_b32_e32 v53, v46, v51
	;; [unrolled: 1-line block ×3, first 2 shown]
	v_sub_co_u32_e32 v46, vcc, v46, v51
	v_subb_co_u32_e32 v47, vcc, v53, v51, vcc
.LBB1164_274:
	s_andn2_saveexec_b64 s[16:17], s[20:21]
	s_cbranch_execz .LBB1164_276
; %bb.275:
	v_cvt_f32_u32_e32 v46, s44
	s_sub_i32 s20, 0, s44
	v_rcp_iflag_f32_e32 v46, v46
	v_mul_f32_e32 v46, 0x4f7ffffe, v46
	v_cvt_u32_f32_e32 v46, v46
	v_mul_lo_u32 v47, s20, v46
	v_mul_hi_u32 v47, v46, v47
	v_add_u32_e32 v46, v46, v47
	v_mul_hi_u32 v46, v48, v46
	v_mul_lo_u32 v47, v46, s44
	v_sub_u32_e32 v47, v48, v47
	v_add_u32_e32 v51, 1, v46
	v_subrev_u32_e32 v53, s44, v47
	v_cmp_le_u32_e32 vcc, s44, v47
	v_cndmask_b32_e32 v47, v47, v53, vcc
	v_cndmask_b32_e32 v46, v46, v51, vcc
	v_add_u32_e32 v51, 1, v46
	v_cmp_le_u32_e32 vcc, s44, v47
	v_cndmask_b32_e32 v46, v46, v51, vcc
	v_mov_b32_e32 v47, 0
.LBB1164_276:
	s_or_b64 exec, exec, s[16:17]
	v_mul_lo_u32 v51, v47, s44
	v_mul_lo_u32 v53, v46, s45
	v_mad_u64_u32 v[62:63], s[16:17], v46, s44, 0
	v_add3_u32 v51, v63, v53, v51
	v_sub_co_u32_e32 v48, vcc, v48, v62
	v_subb_co_u32_e32 v49, vcc, v49, v51, vcc
	v_add_co_u32_e32 v46, vcc, v46, v48
	v_addc_co_u32_e32 v47, vcc, v47, v49, vcc
	s_or_b64 exec, exec, s[18:19]
                                        ; implicit-def: $vgpr48_vgpr49
	s_and_saveexec_b64 s[16:17], s[14:15]
	s_cbranch_execz .LBB1164_227
.LBB1164_277:
	v_mov_b32_e32 v49, s79
	v_add_co_u32_e32 v50, vcc, s78, v50
	v_addc_co_u32_e32 v51, vcc, 0, v49, vcc
	v_mov_b32_e32 v48, 0
	v_or_b32_e32 v49, s45, v51
	v_cmp_ne_u64_e32 vcc, 0, v[48:49]
                                        ; implicit-def: $vgpr48_vgpr49
	s_and_saveexec_b64 s[14:15], vcc
	s_xor_b64 s[18:19], exec, s[14:15]
	s_cbranch_execz .LBB1164_279
; %bb.278:
	s_ashr_i32 s20, s45, 31
	s_add_u32 s14, s44, s20
	s_mov_b32 s21, s20
	s_addc_u32 s15, s45, s20
	s_xor_b64 s[22:23], s[14:15], s[20:21]
	v_cvt_f32_u32_e32 v48, s22
	v_cvt_f32_u32_e32 v49, s23
	s_sub_u32 s14, 0, s22
	s_subb_u32 s15, 0, s23
	v_madmk_f32 v48, v49, 0x4f800000, v48
	v_rcp_f32_e32 v48, v48
	v_mul_f32_e32 v48, 0x5f7ffffc, v48
	v_mul_f32_e32 v49, 0x2f800000, v48
	v_trunc_f32_e32 v49, v49
	v_madmk_f32 v48, v49, 0xcf800000, v48
	v_cvt_u32_f32_e32 v49, v49
	v_cvt_u32_f32_e32 v48, v48
	v_mul_lo_u32 v53, s14, v49
	v_mul_hi_u32 v57, s14, v48
	v_mul_lo_u32 v55, s15, v48
	v_add_u32_e32 v53, v57, v53
	v_mul_lo_u32 v59, s14, v48
	v_add_u32_e32 v53, v53, v55
	v_mul_lo_u32 v57, v48, v53
	v_mul_hi_u32 v61, v48, v59
	v_mul_hi_u32 v55, v48, v53
	v_add_co_u32_e32 v57, vcc, v61, v57
	v_addc_co_u32_e32 v55, vcc, 0, v55, vcc
	v_mul_hi_u32 v62, v49, v59
	v_mul_lo_u32 v59, v49, v59
	v_add_co_u32_e32 v57, vcc, v57, v59
	v_mul_hi_u32 v61, v49, v53
	v_addc_co_u32_e32 v55, vcc, v55, v62, vcc
	v_addc_co_u32_e32 v57, vcc, 0, v61, vcc
	v_mul_lo_u32 v53, v49, v53
	v_add_co_u32_e32 v53, vcc, v55, v53
	v_addc_co_u32_e32 v55, vcc, 0, v57, vcc
	v_add_co_u32_e32 v48, vcc, v48, v53
	v_addc_co_u32_e32 v49, vcc, v49, v55, vcc
	v_mul_lo_u32 v53, s14, v49
	v_mul_hi_u32 v55, s14, v48
	v_add_u32_e32 v53, v55, v53
	v_mul_lo_u32 v55, s15, v48
	v_add_u32_e32 v53, v53, v55
	v_mul_lo_u32 v57, s14, v48
	v_mul_hi_u32 v59, v49, v57
	v_mul_lo_u32 v61, v49, v57
	v_mul_lo_u32 v63, v48, v53
	v_mul_hi_u32 v57, v48, v57
	v_mul_hi_u32 v62, v48, v53
	v_add_co_u32_e32 v57, vcc, v57, v63
	v_addc_co_u32_e32 v62, vcc, 0, v62, vcc
	v_add_co_u32_e32 v57, vcc, v57, v61
	v_mul_hi_u32 v55, v49, v53
	v_addc_co_u32_e32 v57, vcc, v62, v59, vcc
	v_addc_co_u32_e32 v55, vcc, 0, v55, vcc
	v_mul_lo_u32 v53, v49, v53
	v_add_co_u32_e32 v53, vcc, v57, v53
	v_addc_co_u32_e32 v55, vcc, 0, v55, vcc
	v_add_co_u32_e32 v53, vcc, v48, v53
	v_addc_co_u32_e32 v55, vcc, v49, v55, vcc
	v_ashrrev_i32_e32 v57, 31, v51
	v_add_co_u32_e32 v48, vcc, v50, v57
	v_addc_co_u32_e32 v49, vcc, v51, v57, vcc
	v_xor_b32_e32 v61, v48, v57
	v_xor_b32_e32 v59, v49, v57
	v_mad_u64_u32 v[48:49], s[14:15], v61, v55, 0
	v_mul_hi_u32 v62, v61, v53
	v_add_co_u32_e32 v64, vcc, v62, v48
	v_addc_co_u32_e32 v65, vcc, 0, v49, vcc
	v_mad_u64_u32 v[62:63], s[14:15], v59, v53, 0
	v_add_co_u32_e32 v53, vcc, v64, v62
	v_mad_u64_u32 v[48:49], s[14:15], v59, v55, 0
	v_addc_co_u32_e32 v53, vcc, v65, v63, vcc
	v_addc_co_u32_e32 v49, vcc, 0, v49, vcc
	v_add_co_u32_e32 v53, vcc, v53, v48
	v_addc_co_u32_e32 v55, vcc, 0, v49, vcc
	v_mul_lo_u32 v62, s23, v53
	v_mul_lo_u32 v63, s22, v55
	v_mad_u64_u32 v[48:49], s[14:15], s22, v53, 0
	v_add3_u32 v49, v49, v63, v62
	v_sub_u32_e32 v62, v59, v49
	v_mov_b32_e32 v63, s23
	v_sub_co_u32_e32 v48, vcc, v61, v48
	v_subb_co_u32_e64 v61, s[14:15], v62, v63, vcc
	v_subrev_co_u32_e64 v62, s[14:15], s22, v48
	v_subbrev_co_u32_e64 v61, s[14:15], 0, v61, s[14:15]
	v_cmp_le_u32_e64 s[14:15], s23, v61
	v_cndmask_b32_e64 v63, 0, -1, s[14:15]
	v_cmp_le_u32_e64 s[14:15], s22, v62
	v_cndmask_b32_e64 v62, 0, -1, s[14:15]
	v_cmp_eq_u32_e64 s[14:15], s23, v61
	v_cndmask_b32_e64 v61, v63, v62, s[14:15]
	v_add_co_u32_e64 v62, s[14:15], 2, v53
	v_subb_co_u32_e32 v49, vcc, v59, v49, vcc
	v_addc_co_u32_e64 v63, s[14:15], 0, v55, s[14:15]
	v_cmp_le_u32_e32 vcc, s23, v49
	v_add_co_u32_e64 v64, s[14:15], 1, v53
	v_cndmask_b32_e64 v59, 0, -1, vcc
	v_cmp_le_u32_e32 vcc, s22, v48
	v_addc_co_u32_e64 v65, s[14:15], 0, v55, s[14:15]
	v_cndmask_b32_e64 v48, 0, -1, vcc
	v_cmp_eq_u32_e32 vcc, s23, v49
	v_cmp_ne_u32_e64 s[14:15], 0, v61
	v_cndmask_b32_e32 v48, v59, v48, vcc
	v_cndmask_b32_e64 v61, v65, v63, s[14:15]
	v_cmp_ne_u32_e32 vcc, 0, v48
	v_cndmask_b32_e64 v49, v64, v62, s[14:15]
	v_cndmask_b32_e32 v48, v55, v61, vcc
	v_cndmask_b32_e32 v49, v53, v49, vcc
	v_xor_b32_e32 v53, s20, v57
	v_xor_b32_e32 v55, v48, v53
	;; [unrolled: 1-line block ×3, first 2 shown]
	v_sub_co_u32_e32 v48, vcc, v48, v53
	v_subb_co_u32_e32 v49, vcc, v55, v53, vcc
.LBB1164_279:
	s_andn2_saveexec_b64 s[14:15], s[18:19]
	s_cbranch_execz .LBB1164_281
; %bb.280:
	v_cvt_f32_u32_e32 v48, s44
	s_sub_i32 s18, 0, s44
	v_rcp_iflag_f32_e32 v48, v48
	v_mul_f32_e32 v48, 0x4f7ffffe, v48
	v_cvt_u32_f32_e32 v48, v48
	v_mul_lo_u32 v49, s18, v48
	v_mul_hi_u32 v49, v48, v49
	v_add_u32_e32 v48, v48, v49
	v_mul_hi_u32 v48, v50, v48
	v_mul_lo_u32 v49, v48, s44
	v_sub_u32_e32 v49, v50, v49
	v_add_u32_e32 v53, 1, v48
	v_subrev_u32_e32 v55, s44, v49
	v_cmp_le_u32_e32 vcc, s44, v49
	v_cndmask_b32_e32 v49, v49, v55, vcc
	v_cndmask_b32_e32 v48, v48, v53, vcc
	v_add_u32_e32 v53, 1, v48
	v_cmp_le_u32_e32 vcc, s44, v49
	v_cndmask_b32_e32 v48, v48, v53, vcc
	v_mov_b32_e32 v49, 0
.LBB1164_281:
	s_or_b64 exec, exec, s[14:15]
	v_mul_lo_u32 v53, v49, s44
	v_mul_lo_u32 v55, v48, s45
	v_mad_u64_u32 v[62:63], s[14:15], v48, s44, 0
	v_add3_u32 v53, v63, v55, v53
	v_sub_co_u32_e32 v50, vcc, v50, v62
	v_subb_co_u32_e32 v51, vcc, v51, v53, vcc
	v_add_co_u32_e32 v48, vcc, v48, v50
	v_addc_co_u32_e32 v49, vcc, v49, v51, vcc
	s_or_b64 exec, exec, s[16:17]
                                        ; implicit-def: $vgpr50_vgpr51
	s_and_saveexec_b64 s[14:15], s[12:13]
	s_cbranch_execz .LBB1164_228
.LBB1164_282:
	v_mov_b32_e32 v51, s79
	v_add_co_u32_e32 v52, vcc, s78, v52
	v_addc_co_u32_e32 v53, vcc, 0, v51, vcc
	v_mov_b32_e32 v50, 0
	v_or_b32_e32 v51, s45, v53
	v_cmp_ne_u64_e32 vcc, 0, v[50:51]
                                        ; implicit-def: $vgpr50_vgpr51
	s_and_saveexec_b64 s[12:13], vcc
	s_xor_b64 s[16:17], exec, s[12:13]
	s_cbranch_execz .LBB1164_284
; %bb.283:
	s_ashr_i32 s18, s45, 31
	s_add_u32 s12, s44, s18
	s_mov_b32 s19, s18
	s_addc_u32 s13, s45, s18
	s_xor_b64 s[20:21], s[12:13], s[18:19]
	v_cvt_f32_u32_e32 v50, s20
	v_cvt_f32_u32_e32 v51, s21
	s_sub_u32 s12, 0, s20
	s_subb_u32 s13, 0, s21
	v_madmk_f32 v50, v51, 0x4f800000, v50
	v_rcp_f32_e32 v50, v50
	v_mul_f32_e32 v50, 0x5f7ffffc, v50
	v_mul_f32_e32 v51, 0x2f800000, v50
	v_trunc_f32_e32 v51, v51
	v_madmk_f32 v50, v51, 0xcf800000, v50
	v_cvt_u32_f32_e32 v51, v51
	v_cvt_u32_f32_e32 v50, v50
	v_mul_lo_u32 v55, s12, v51
	v_mul_hi_u32 v59, s12, v50
	v_mul_lo_u32 v57, s13, v50
	v_add_u32_e32 v55, v59, v55
	v_mul_lo_u32 v61, s12, v50
	v_add_u32_e32 v55, v55, v57
	v_mul_lo_u32 v59, v50, v55
	v_mul_hi_u32 v62, v50, v61
	v_mul_hi_u32 v57, v50, v55
	v_add_co_u32_e32 v59, vcc, v62, v59
	v_addc_co_u32_e32 v57, vcc, 0, v57, vcc
	v_mul_hi_u32 v63, v51, v61
	v_mul_lo_u32 v61, v51, v61
	v_add_co_u32_e32 v59, vcc, v59, v61
	v_mul_hi_u32 v62, v51, v55
	v_addc_co_u32_e32 v57, vcc, v57, v63, vcc
	v_addc_co_u32_e32 v59, vcc, 0, v62, vcc
	v_mul_lo_u32 v55, v51, v55
	v_add_co_u32_e32 v55, vcc, v57, v55
	v_addc_co_u32_e32 v57, vcc, 0, v59, vcc
	v_add_co_u32_e32 v50, vcc, v50, v55
	v_addc_co_u32_e32 v51, vcc, v51, v57, vcc
	v_mul_lo_u32 v55, s12, v51
	v_mul_hi_u32 v57, s12, v50
	v_add_u32_e32 v55, v57, v55
	v_mul_lo_u32 v57, s13, v50
	v_add_u32_e32 v55, v55, v57
	v_mul_lo_u32 v59, s12, v50
	v_mul_hi_u32 v61, v51, v59
	v_mul_lo_u32 v62, v51, v59
	v_mul_lo_u32 v64, v50, v55
	v_mul_hi_u32 v59, v50, v59
	v_mul_hi_u32 v63, v50, v55
	v_add_co_u32_e32 v59, vcc, v59, v64
	v_addc_co_u32_e32 v63, vcc, 0, v63, vcc
	v_add_co_u32_e32 v59, vcc, v59, v62
	v_mul_hi_u32 v57, v51, v55
	v_addc_co_u32_e32 v59, vcc, v63, v61, vcc
	v_addc_co_u32_e32 v57, vcc, 0, v57, vcc
	v_mul_lo_u32 v55, v51, v55
	v_add_co_u32_e32 v55, vcc, v59, v55
	v_addc_co_u32_e32 v57, vcc, 0, v57, vcc
	v_add_co_u32_e32 v55, vcc, v50, v55
	v_addc_co_u32_e32 v57, vcc, v51, v57, vcc
	v_ashrrev_i32_e32 v59, 31, v53
	v_add_co_u32_e32 v50, vcc, v52, v59
	v_addc_co_u32_e32 v51, vcc, v53, v59, vcc
	v_xor_b32_e32 v64, v50, v59
	v_xor_b32_e32 v61, v51, v59
	v_mad_u64_u32 v[50:51], s[12:13], v64, v57, 0
	v_mul_hi_u32 v62, v64, v55
	v_add_co_u32_e32 v65, vcc, v62, v50
	v_addc_co_u32_e32 v66, vcc, 0, v51, vcc
	v_mad_u64_u32 v[62:63], s[12:13], v61, v55, 0
	v_add_co_u32_e32 v55, vcc, v65, v62
	v_mad_u64_u32 v[50:51], s[12:13], v61, v57, 0
	v_addc_co_u32_e32 v55, vcc, v66, v63, vcc
	v_addc_co_u32_e32 v51, vcc, 0, v51, vcc
	v_add_co_u32_e32 v55, vcc, v55, v50
	v_addc_co_u32_e32 v57, vcc, 0, v51, vcc
	v_mul_lo_u32 v62, s21, v55
	v_mul_lo_u32 v63, s20, v57
	v_mad_u64_u32 v[50:51], s[12:13], s20, v55, 0
	v_add3_u32 v51, v51, v63, v62
	v_sub_u32_e32 v62, v61, v51
	v_mov_b32_e32 v63, s21
	v_sub_co_u32_e32 v50, vcc, v64, v50
	v_subb_co_u32_e64 v62, s[12:13], v62, v63, vcc
	v_subrev_co_u32_e64 v63, s[12:13], s20, v50
	v_subbrev_co_u32_e64 v62, s[12:13], 0, v62, s[12:13]
	v_cmp_le_u32_e64 s[12:13], s21, v62
	v_cndmask_b32_e64 v64, 0, -1, s[12:13]
	v_cmp_le_u32_e64 s[12:13], s20, v63
	v_cndmask_b32_e64 v63, 0, -1, s[12:13]
	v_cmp_eq_u32_e64 s[12:13], s21, v62
	v_cndmask_b32_e64 v62, v64, v63, s[12:13]
	v_add_co_u32_e64 v63, s[12:13], 2, v55
	v_subb_co_u32_e32 v51, vcc, v61, v51, vcc
	v_addc_co_u32_e64 v64, s[12:13], 0, v57, s[12:13]
	v_cmp_le_u32_e32 vcc, s21, v51
	v_add_co_u32_e64 v65, s[12:13], 1, v55
	v_cndmask_b32_e64 v61, 0, -1, vcc
	v_cmp_le_u32_e32 vcc, s20, v50
	v_addc_co_u32_e64 v66, s[12:13], 0, v57, s[12:13]
	v_cndmask_b32_e64 v50, 0, -1, vcc
	v_cmp_eq_u32_e32 vcc, s21, v51
	v_cmp_ne_u32_e64 s[12:13], 0, v62
	v_cndmask_b32_e32 v50, v61, v50, vcc
	v_cndmask_b32_e64 v62, v66, v64, s[12:13]
	v_cmp_ne_u32_e32 vcc, 0, v50
	v_cndmask_b32_e64 v51, v65, v63, s[12:13]
	v_cndmask_b32_e32 v50, v57, v62, vcc
	v_cndmask_b32_e32 v51, v55, v51, vcc
	v_xor_b32_e32 v55, s18, v59
	v_xor_b32_e32 v57, v50, v55
	;; [unrolled: 1-line block ×3, first 2 shown]
	v_sub_co_u32_e32 v50, vcc, v50, v55
	v_subb_co_u32_e32 v51, vcc, v57, v55, vcc
.LBB1164_284:
	s_andn2_saveexec_b64 s[12:13], s[16:17]
	s_cbranch_execz .LBB1164_286
; %bb.285:
	v_cvt_f32_u32_e32 v50, s44
	s_sub_i32 s16, 0, s44
	v_rcp_iflag_f32_e32 v50, v50
	v_mul_f32_e32 v50, 0x4f7ffffe, v50
	v_cvt_u32_f32_e32 v50, v50
	v_mul_lo_u32 v51, s16, v50
	v_mul_hi_u32 v51, v50, v51
	v_add_u32_e32 v50, v50, v51
	v_mul_hi_u32 v50, v52, v50
	v_mul_lo_u32 v51, v50, s44
	v_sub_u32_e32 v51, v52, v51
	v_add_u32_e32 v55, 1, v50
	v_subrev_u32_e32 v57, s44, v51
	v_cmp_le_u32_e32 vcc, s44, v51
	v_cndmask_b32_e32 v51, v51, v57, vcc
	v_cndmask_b32_e32 v50, v50, v55, vcc
	v_add_u32_e32 v55, 1, v50
	v_cmp_le_u32_e32 vcc, s44, v51
	v_cndmask_b32_e32 v50, v50, v55, vcc
	v_mov_b32_e32 v51, 0
.LBB1164_286:
	s_or_b64 exec, exec, s[12:13]
	v_mul_lo_u32 v55, v51, s44
	v_mul_lo_u32 v57, v50, s45
	v_mad_u64_u32 v[62:63], s[12:13], v50, s44, 0
	v_add3_u32 v55, v63, v57, v55
	v_sub_co_u32_e32 v52, vcc, v52, v62
	v_subb_co_u32_e32 v53, vcc, v53, v55, vcc
	v_add_co_u32_e32 v50, vcc, v50, v52
	v_addc_co_u32_e32 v51, vcc, v51, v53, vcc
	s_or_b64 exec, exec, s[14:15]
                                        ; implicit-def: $vgpr52_vgpr53
	s_and_saveexec_b64 s[12:13], s[10:11]
	s_cbranch_execz .LBB1164_229
.LBB1164_287:
	v_mov_b32_e32 v53, s79
	v_add_co_u32_e32 v54, vcc, s78, v54
	v_addc_co_u32_e32 v55, vcc, 0, v53, vcc
	v_mov_b32_e32 v52, 0
	v_or_b32_e32 v53, s45, v55
	v_cmp_ne_u64_e32 vcc, 0, v[52:53]
                                        ; implicit-def: $vgpr52_vgpr53
	s_and_saveexec_b64 s[10:11], vcc
	s_xor_b64 s[14:15], exec, s[10:11]
	s_cbranch_execz .LBB1164_289
; %bb.288:
	s_ashr_i32 s16, s45, 31
	s_add_u32 s10, s44, s16
	s_mov_b32 s17, s16
	s_addc_u32 s11, s45, s16
	s_xor_b64 s[18:19], s[10:11], s[16:17]
	v_cvt_f32_u32_e32 v52, s18
	v_cvt_f32_u32_e32 v53, s19
	s_sub_u32 s10, 0, s18
	s_subb_u32 s11, 0, s19
	v_madmk_f32 v52, v53, 0x4f800000, v52
	v_rcp_f32_e32 v52, v52
	v_mul_f32_e32 v52, 0x5f7ffffc, v52
	v_mul_f32_e32 v53, 0x2f800000, v52
	v_trunc_f32_e32 v53, v53
	v_madmk_f32 v52, v53, 0xcf800000, v52
	v_cvt_u32_f32_e32 v53, v53
	v_cvt_u32_f32_e32 v52, v52
	v_mul_lo_u32 v57, s10, v53
	v_mul_hi_u32 v61, s10, v52
	v_mul_lo_u32 v59, s11, v52
	v_add_u32_e32 v57, v61, v57
	v_mul_lo_u32 v62, s10, v52
	v_add_u32_e32 v57, v57, v59
	v_mul_lo_u32 v61, v52, v57
	v_mul_hi_u32 v63, v52, v62
	v_mul_hi_u32 v59, v52, v57
	v_add_co_u32_e32 v61, vcc, v63, v61
	v_addc_co_u32_e32 v59, vcc, 0, v59, vcc
	v_mul_hi_u32 v64, v53, v62
	v_mul_lo_u32 v62, v53, v62
	v_add_co_u32_e32 v61, vcc, v61, v62
	v_mul_hi_u32 v63, v53, v57
	v_addc_co_u32_e32 v59, vcc, v59, v64, vcc
	v_addc_co_u32_e32 v61, vcc, 0, v63, vcc
	v_mul_lo_u32 v57, v53, v57
	v_add_co_u32_e32 v57, vcc, v59, v57
	v_addc_co_u32_e32 v59, vcc, 0, v61, vcc
	v_add_co_u32_e32 v52, vcc, v52, v57
	v_addc_co_u32_e32 v53, vcc, v53, v59, vcc
	v_mul_lo_u32 v57, s10, v53
	v_mul_hi_u32 v59, s10, v52
	v_add_u32_e32 v57, v59, v57
	v_mul_lo_u32 v59, s11, v52
	v_add_u32_e32 v57, v57, v59
	v_mul_lo_u32 v61, s10, v52
	v_mul_hi_u32 v62, v53, v61
	v_mul_lo_u32 v63, v53, v61
	v_mul_lo_u32 v65, v52, v57
	v_mul_hi_u32 v61, v52, v61
	v_mul_hi_u32 v64, v52, v57
	v_add_co_u32_e32 v61, vcc, v61, v65
	v_addc_co_u32_e32 v64, vcc, 0, v64, vcc
	v_add_co_u32_e32 v61, vcc, v61, v63
	v_mul_hi_u32 v59, v53, v57
	v_addc_co_u32_e32 v61, vcc, v64, v62, vcc
	v_addc_co_u32_e32 v59, vcc, 0, v59, vcc
	v_mul_lo_u32 v57, v53, v57
	v_add_co_u32_e32 v57, vcc, v61, v57
	v_addc_co_u32_e32 v59, vcc, 0, v59, vcc
	v_add_co_u32_e32 v57, vcc, v52, v57
	v_addc_co_u32_e32 v59, vcc, v53, v59, vcc
	v_ashrrev_i32_e32 v61, 31, v55
	v_add_co_u32_e32 v52, vcc, v54, v61
	v_addc_co_u32_e32 v53, vcc, v55, v61, vcc
	v_xor_b32_e32 v65, v52, v61
	v_xor_b32_e32 v64, v53, v61
	v_mad_u64_u32 v[52:53], s[10:11], v65, v59, 0
	v_mul_hi_u32 v62, v65, v57
	v_add_co_u32_e32 v66, vcc, v62, v52
	v_addc_co_u32_e32 v67, vcc, 0, v53, vcc
	v_mad_u64_u32 v[62:63], s[10:11], v64, v57, 0
	v_add_co_u32_e32 v57, vcc, v66, v62
	v_mad_u64_u32 v[52:53], s[10:11], v64, v59, 0
	v_addc_co_u32_e32 v57, vcc, v67, v63, vcc
	v_addc_co_u32_e32 v53, vcc, 0, v53, vcc
	v_add_co_u32_e32 v57, vcc, v57, v52
	v_addc_co_u32_e32 v59, vcc, 0, v53, vcc
	v_mul_lo_u32 v62, s19, v57
	v_mul_lo_u32 v63, s18, v59
	v_mad_u64_u32 v[52:53], s[10:11], s18, v57, 0
	v_add3_u32 v53, v53, v63, v62
	v_sub_u32_e32 v62, v64, v53
	v_mov_b32_e32 v63, s19
	v_sub_co_u32_e32 v52, vcc, v65, v52
	v_subb_co_u32_e64 v62, s[10:11], v62, v63, vcc
	v_subrev_co_u32_e64 v63, s[10:11], s18, v52
	v_subbrev_co_u32_e64 v62, s[10:11], 0, v62, s[10:11]
	v_cmp_le_u32_e64 s[10:11], s19, v62
	v_cndmask_b32_e64 v65, 0, -1, s[10:11]
	v_cmp_le_u32_e64 s[10:11], s18, v63
	v_cndmask_b32_e64 v63, 0, -1, s[10:11]
	v_cmp_eq_u32_e64 s[10:11], s19, v62
	v_cndmask_b32_e64 v62, v65, v63, s[10:11]
	v_add_co_u32_e64 v63, s[10:11], 2, v57
	v_subb_co_u32_e32 v53, vcc, v64, v53, vcc
	v_addc_co_u32_e64 v65, s[10:11], 0, v59, s[10:11]
	v_cmp_le_u32_e32 vcc, s19, v53
	v_add_co_u32_e64 v66, s[10:11], 1, v57
	v_cndmask_b32_e64 v64, 0, -1, vcc
	v_cmp_le_u32_e32 vcc, s18, v52
	v_addc_co_u32_e64 v67, s[10:11], 0, v59, s[10:11]
	v_cndmask_b32_e64 v52, 0, -1, vcc
	v_cmp_eq_u32_e32 vcc, s19, v53
	v_cmp_ne_u32_e64 s[10:11], 0, v62
	v_cndmask_b32_e32 v52, v64, v52, vcc
	v_cndmask_b32_e64 v62, v67, v65, s[10:11]
	v_cmp_ne_u32_e32 vcc, 0, v52
	v_cndmask_b32_e64 v53, v66, v63, s[10:11]
	v_cndmask_b32_e32 v52, v59, v62, vcc
	v_cndmask_b32_e32 v53, v57, v53, vcc
	v_xor_b32_e32 v57, s16, v61
	v_xor_b32_e32 v59, v52, v57
	;; [unrolled: 1-line block ×3, first 2 shown]
	v_sub_co_u32_e32 v52, vcc, v52, v57
	v_subb_co_u32_e32 v53, vcc, v59, v57, vcc
.LBB1164_289:
	s_andn2_saveexec_b64 s[10:11], s[14:15]
	s_cbranch_execz .LBB1164_291
; %bb.290:
	v_cvt_f32_u32_e32 v52, s44
	s_sub_i32 s14, 0, s44
	v_rcp_iflag_f32_e32 v52, v52
	v_mul_f32_e32 v52, 0x4f7ffffe, v52
	v_cvt_u32_f32_e32 v52, v52
	v_mul_lo_u32 v53, s14, v52
	v_mul_hi_u32 v53, v52, v53
	v_add_u32_e32 v52, v52, v53
	v_mul_hi_u32 v52, v54, v52
	v_mul_lo_u32 v53, v52, s44
	v_sub_u32_e32 v53, v54, v53
	v_add_u32_e32 v57, 1, v52
	v_subrev_u32_e32 v59, s44, v53
	v_cmp_le_u32_e32 vcc, s44, v53
	v_cndmask_b32_e32 v53, v53, v59, vcc
	v_cndmask_b32_e32 v52, v52, v57, vcc
	v_add_u32_e32 v57, 1, v52
	v_cmp_le_u32_e32 vcc, s44, v53
	v_cndmask_b32_e32 v52, v52, v57, vcc
	v_mov_b32_e32 v53, 0
.LBB1164_291:
	s_or_b64 exec, exec, s[10:11]
	v_mul_lo_u32 v57, v53, s44
	v_mul_lo_u32 v59, v52, s45
	v_mad_u64_u32 v[62:63], s[10:11], v52, s44, 0
	v_add3_u32 v57, v63, v59, v57
	v_sub_co_u32_e32 v54, vcc, v54, v62
	v_subb_co_u32_e32 v55, vcc, v55, v57, vcc
	v_add_co_u32_e32 v52, vcc, v52, v54
	v_addc_co_u32_e32 v53, vcc, v53, v55, vcc
	s_or_b64 exec, exec, s[12:13]
                                        ; implicit-def: $vgpr54_vgpr55
	s_and_saveexec_b64 s[10:11], s[8:9]
	s_cbranch_execz .LBB1164_230
.LBB1164_292:
	v_mov_b32_e32 v55, s79
	v_add_co_u32_e32 v56, vcc, s78, v56
	v_addc_co_u32_e32 v57, vcc, 0, v55, vcc
	v_mov_b32_e32 v54, 0
	v_or_b32_e32 v55, s45, v57
	v_cmp_ne_u64_e32 vcc, 0, v[54:55]
                                        ; implicit-def: $vgpr54_vgpr55
	s_and_saveexec_b64 s[8:9], vcc
	s_xor_b64 s[12:13], exec, s[8:9]
	s_cbranch_execz .LBB1164_294
; %bb.293:
	s_ashr_i32 s14, s45, 31
	s_add_u32 s8, s44, s14
	s_mov_b32 s15, s14
	s_addc_u32 s9, s45, s14
	s_xor_b64 s[16:17], s[8:9], s[14:15]
	v_cvt_f32_u32_e32 v54, s16
	v_cvt_f32_u32_e32 v55, s17
	s_sub_u32 s8, 0, s16
	s_subb_u32 s9, 0, s17
	v_madmk_f32 v54, v55, 0x4f800000, v54
	v_rcp_f32_e32 v54, v54
	v_mul_f32_e32 v54, 0x5f7ffffc, v54
	v_mul_f32_e32 v55, 0x2f800000, v54
	v_trunc_f32_e32 v55, v55
	v_madmk_f32 v54, v55, 0xcf800000, v54
	v_cvt_u32_f32_e32 v55, v55
	v_cvt_u32_f32_e32 v54, v54
	v_mul_lo_u32 v59, s8, v55
	v_mul_hi_u32 v62, s8, v54
	v_mul_lo_u32 v61, s9, v54
	v_add_u32_e32 v59, v62, v59
	v_mul_lo_u32 v63, s8, v54
	v_add_u32_e32 v59, v59, v61
	v_mul_lo_u32 v62, v54, v59
	v_mul_hi_u32 v64, v54, v63
	v_mul_hi_u32 v61, v54, v59
	v_add_co_u32_e32 v62, vcc, v64, v62
	v_addc_co_u32_e32 v61, vcc, 0, v61, vcc
	v_mul_hi_u32 v65, v55, v63
	v_mul_lo_u32 v63, v55, v63
	v_add_co_u32_e32 v62, vcc, v62, v63
	v_mul_hi_u32 v64, v55, v59
	v_addc_co_u32_e32 v61, vcc, v61, v65, vcc
	v_addc_co_u32_e32 v62, vcc, 0, v64, vcc
	v_mul_lo_u32 v59, v55, v59
	v_add_co_u32_e32 v59, vcc, v61, v59
	v_addc_co_u32_e32 v61, vcc, 0, v62, vcc
	v_add_co_u32_e32 v54, vcc, v54, v59
	v_addc_co_u32_e32 v55, vcc, v55, v61, vcc
	v_mul_lo_u32 v59, s8, v55
	v_mul_hi_u32 v61, s8, v54
	v_add_u32_e32 v59, v61, v59
	v_mul_lo_u32 v61, s9, v54
	v_add_u32_e32 v59, v59, v61
	v_mul_lo_u32 v62, s8, v54
	v_mul_hi_u32 v63, v55, v62
	v_mul_lo_u32 v64, v55, v62
	v_mul_lo_u32 v66, v54, v59
	v_mul_hi_u32 v62, v54, v62
	v_mul_hi_u32 v65, v54, v59
	v_add_co_u32_e32 v62, vcc, v62, v66
	v_addc_co_u32_e32 v65, vcc, 0, v65, vcc
	v_add_co_u32_e32 v62, vcc, v62, v64
	v_mul_hi_u32 v61, v55, v59
	v_addc_co_u32_e32 v62, vcc, v65, v63, vcc
	v_addc_co_u32_e32 v61, vcc, 0, v61, vcc
	v_mul_lo_u32 v59, v55, v59
	v_add_co_u32_e32 v59, vcc, v62, v59
	v_addc_co_u32_e32 v61, vcc, 0, v61, vcc
	v_add_co_u32_e32 v59, vcc, v54, v59
	v_addc_co_u32_e32 v61, vcc, v55, v61, vcc
	v_ashrrev_i32_e32 v64, 31, v57
	v_add_co_u32_e32 v54, vcc, v56, v64
	v_addc_co_u32_e32 v55, vcc, v57, v64, vcc
	v_xor_b32_e32 v66, v54, v64
	v_xor_b32_e32 v65, v55, v64
	v_mad_u64_u32 v[54:55], s[8:9], v66, v61, 0
	v_mul_hi_u32 v62, v66, v59
	v_add_co_u32_e32 v67, vcc, v62, v54
	v_addc_co_u32_e32 v68, vcc, 0, v55, vcc
	v_mad_u64_u32 v[62:63], s[8:9], v65, v59, 0
	v_add_co_u32_e32 v59, vcc, v67, v62
	v_mad_u64_u32 v[54:55], s[8:9], v65, v61, 0
	v_addc_co_u32_e32 v59, vcc, v68, v63, vcc
	v_addc_co_u32_e32 v55, vcc, 0, v55, vcc
	v_add_co_u32_e32 v59, vcc, v59, v54
	v_addc_co_u32_e32 v61, vcc, 0, v55, vcc
	v_mul_lo_u32 v62, s17, v59
	v_mul_lo_u32 v63, s16, v61
	v_mad_u64_u32 v[54:55], s[8:9], s16, v59, 0
	v_add3_u32 v55, v55, v63, v62
	v_sub_u32_e32 v62, v65, v55
	v_mov_b32_e32 v63, s17
	v_sub_co_u32_e32 v54, vcc, v66, v54
	v_subb_co_u32_e64 v62, s[8:9], v62, v63, vcc
	v_subrev_co_u32_e64 v63, s[8:9], s16, v54
	v_subbrev_co_u32_e64 v62, s[8:9], 0, v62, s[8:9]
	v_cmp_le_u32_e64 s[8:9], s17, v62
	v_cndmask_b32_e64 v66, 0, -1, s[8:9]
	v_cmp_le_u32_e64 s[8:9], s16, v63
	v_cndmask_b32_e64 v63, 0, -1, s[8:9]
	v_cmp_eq_u32_e64 s[8:9], s17, v62
	v_cndmask_b32_e64 v62, v66, v63, s[8:9]
	v_add_co_u32_e64 v63, s[8:9], 2, v59
	v_subb_co_u32_e32 v55, vcc, v65, v55, vcc
	v_addc_co_u32_e64 v66, s[8:9], 0, v61, s[8:9]
	v_cmp_le_u32_e32 vcc, s17, v55
	v_add_co_u32_e64 v67, s[8:9], 1, v59
	v_cndmask_b32_e64 v65, 0, -1, vcc
	v_cmp_le_u32_e32 vcc, s16, v54
	v_addc_co_u32_e64 v68, s[8:9], 0, v61, s[8:9]
	v_cndmask_b32_e64 v54, 0, -1, vcc
	v_cmp_eq_u32_e32 vcc, s17, v55
	v_cmp_ne_u32_e64 s[8:9], 0, v62
	v_cndmask_b32_e32 v54, v65, v54, vcc
	v_cndmask_b32_e64 v62, v68, v66, s[8:9]
	v_cmp_ne_u32_e32 vcc, 0, v54
	v_cndmask_b32_e64 v55, v67, v63, s[8:9]
	v_cndmask_b32_e32 v54, v61, v62, vcc
	v_cndmask_b32_e32 v55, v59, v55, vcc
	v_xor_b32_e32 v59, s14, v64
	v_xor_b32_e32 v61, v54, v59
	;; [unrolled: 1-line block ×3, first 2 shown]
	v_sub_co_u32_e32 v54, vcc, v54, v59
	v_subb_co_u32_e32 v55, vcc, v61, v59, vcc
.LBB1164_294:
	s_andn2_saveexec_b64 s[8:9], s[12:13]
	s_cbranch_execz .LBB1164_296
; %bb.295:
	v_cvt_f32_u32_e32 v54, s44
	s_sub_i32 s12, 0, s44
	v_rcp_iflag_f32_e32 v54, v54
	v_mul_f32_e32 v54, 0x4f7ffffe, v54
	v_cvt_u32_f32_e32 v54, v54
	v_mul_lo_u32 v55, s12, v54
	v_mul_hi_u32 v55, v54, v55
	v_add_u32_e32 v54, v54, v55
	v_mul_hi_u32 v54, v56, v54
	v_mul_lo_u32 v55, v54, s44
	v_sub_u32_e32 v55, v56, v55
	v_add_u32_e32 v59, 1, v54
	v_subrev_u32_e32 v61, s44, v55
	v_cmp_le_u32_e32 vcc, s44, v55
	v_cndmask_b32_e32 v55, v55, v61, vcc
	v_cndmask_b32_e32 v54, v54, v59, vcc
	v_add_u32_e32 v59, 1, v54
	v_cmp_le_u32_e32 vcc, s44, v55
	v_cndmask_b32_e32 v54, v54, v59, vcc
	v_mov_b32_e32 v55, 0
.LBB1164_296:
	s_or_b64 exec, exec, s[8:9]
	v_mul_lo_u32 v59, v55, s44
	v_mul_lo_u32 v61, v54, s45
	v_mad_u64_u32 v[62:63], s[8:9], v54, s44, 0
	v_add3_u32 v59, v63, v61, v59
	v_sub_co_u32_e32 v56, vcc, v56, v62
	v_subb_co_u32_e32 v57, vcc, v57, v59, vcc
	v_add_co_u32_e32 v54, vcc, v54, v56
	v_addc_co_u32_e32 v55, vcc, v55, v57, vcc
	s_or_b64 exec, exec, s[10:11]
                                        ; implicit-def: $vgpr56_vgpr57
	s_and_saveexec_b64 s[8:9], s[6:7]
	s_cbranch_execz .LBB1164_231
.LBB1164_297:
	v_mov_b32_e32 v57, s79
	v_add_co_u32_e32 v58, vcc, s78, v58
	v_addc_co_u32_e32 v59, vcc, 0, v57, vcc
	v_mov_b32_e32 v56, 0
	v_or_b32_e32 v57, s45, v59
	v_cmp_ne_u64_e32 vcc, 0, v[56:57]
                                        ; implicit-def: $vgpr56_vgpr57
	s_and_saveexec_b64 s[6:7], vcc
	s_xor_b64 s[10:11], exec, s[6:7]
	s_cbranch_execz .LBB1164_299
; %bb.298:
	s_ashr_i32 s12, s45, 31
	s_add_u32 s6, s44, s12
	s_mov_b32 s13, s12
	s_addc_u32 s7, s45, s12
	s_xor_b64 s[14:15], s[6:7], s[12:13]
	v_cvt_f32_u32_e32 v56, s14
	v_cvt_f32_u32_e32 v57, s15
	s_sub_u32 s6, 0, s14
	s_subb_u32 s7, 0, s15
	v_madmk_f32 v56, v57, 0x4f800000, v56
	v_rcp_f32_e32 v56, v56
	v_mul_f32_e32 v56, 0x5f7ffffc, v56
	v_mul_f32_e32 v57, 0x2f800000, v56
	v_trunc_f32_e32 v57, v57
	v_madmk_f32 v56, v57, 0xcf800000, v56
	v_cvt_u32_f32_e32 v57, v57
	v_cvt_u32_f32_e32 v56, v56
	v_mul_lo_u32 v61, s6, v57
	v_mul_hi_u32 v63, s6, v56
	v_mul_lo_u32 v62, s7, v56
	v_add_u32_e32 v61, v63, v61
	v_mul_lo_u32 v64, s6, v56
	v_add_u32_e32 v61, v61, v62
	v_mul_lo_u32 v63, v56, v61
	v_mul_hi_u32 v65, v56, v64
	v_mul_hi_u32 v62, v56, v61
	v_add_co_u32_e32 v63, vcc, v65, v63
	v_addc_co_u32_e32 v62, vcc, 0, v62, vcc
	v_mul_hi_u32 v66, v57, v64
	v_mul_lo_u32 v64, v57, v64
	v_add_co_u32_e32 v63, vcc, v63, v64
	v_mul_hi_u32 v65, v57, v61
	v_addc_co_u32_e32 v62, vcc, v62, v66, vcc
	v_addc_co_u32_e32 v63, vcc, 0, v65, vcc
	v_mul_lo_u32 v61, v57, v61
	v_add_co_u32_e32 v61, vcc, v62, v61
	v_addc_co_u32_e32 v62, vcc, 0, v63, vcc
	v_add_co_u32_e32 v56, vcc, v56, v61
	v_addc_co_u32_e32 v57, vcc, v57, v62, vcc
	v_mul_lo_u32 v61, s6, v57
	v_mul_hi_u32 v62, s6, v56
	v_add_u32_e32 v61, v62, v61
	v_mul_lo_u32 v62, s7, v56
	v_add_u32_e32 v61, v61, v62
	v_mul_lo_u32 v63, s6, v56
	v_mul_hi_u32 v64, v57, v63
	v_mul_lo_u32 v65, v57, v63
	v_mul_lo_u32 v67, v56, v61
	v_mul_hi_u32 v63, v56, v63
	v_mul_hi_u32 v66, v56, v61
	v_add_co_u32_e32 v63, vcc, v63, v67
	v_addc_co_u32_e32 v66, vcc, 0, v66, vcc
	v_add_co_u32_e32 v63, vcc, v63, v65
	v_mul_hi_u32 v62, v57, v61
	v_addc_co_u32_e32 v63, vcc, v66, v64, vcc
	v_addc_co_u32_e32 v62, vcc, 0, v62, vcc
	v_mul_lo_u32 v61, v57, v61
	v_add_co_u32_e32 v61, vcc, v63, v61
	v_addc_co_u32_e32 v62, vcc, 0, v62, vcc
	v_add_co_u32_e32 v61, vcc, v56, v61
	v_addc_co_u32_e32 v62, vcc, v57, v62, vcc
	v_ashrrev_i32_e32 v64, 31, v59
	v_add_co_u32_e32 v56, vcc, v58, v64
	v_addc_co_u32_e32 v57, vcc, v59, v64, vcc
	v_xor_b32_e32 v66, v56, v64
	v_xor_b32_e32 v65, v57, v64
	v_mad_u64_u32 v[56:57], s[6:7], v66, v62, 0
	v_mul_hi_u32 v63, v66, v61
	v_add_co_u32_e32 v67, vcc, v63, v56
	v_addc_co_u32_e32 v68, vcc, 0, v57, vcc
	v_mad_u64_u32 v[56:57], s[6:7], v65, v62, 0
	v_mad_u64_u32 v[62:63], s[6:7], v65, v61, 0
	v_add_co_u32_e32 v61, vcc, v67, v62
	v_addc_co_u32_e32 v61, vcc, v68, v63, vcc
	v_addc_co_u32_e32 v57, vcc, 0, v57, vcc
	v_add_co_u32_e32 v61, vcc, v61, v56
	v_addc_co_u32_e32 v62, vcc, 0, v57, vcc
	v_mul_lo_u32 v63, s15, v61
	v_mul_lo_u32 v67, s14, v62
	v_mad_u64_u32 v[56:57], s[6:7], s14, v61, 0
	v_add3_u32 v57, v57, v67, v63
	v_sub_u32_e32 v63, v65, v57
	v_mov_b32_e32 v67, s15
	v_sub_co_u32_e32 v56, vcc, v66, v56
	v_subb_co_u32_e64 v63, s[6:7], v63, v67, vcc
	v_subrev_co_u32_e64 v66, s[6:7], s14, v56
	v_subbrev_co_u32_e64 v63, s[6:7], 0, v63, s[6:7]
	v_cmp_le_u32_e64 s[6:7], s15, v63
	v_cndmask_b32_e64 v67, 0, -1, s[6:7]
	v_cmp_le_u32_e64 s[6:7], s14, v66
	v_cndmask_b32_e64 v66, 0, -1, s[6:7]
	v_cmp_eq_u32_e64 s[6:7], s15, v63
	v_cndmask_b32_e64 v63, v67, v66, s[6:7]
	v_add_co_u32_e64 v66, s[6:7], 2, v61
	v_subb_co_u32_e32 v57, vcc, v65, v57, vcc
	v_addc_co_u32_e64 v67, s[6:7], 0, v62, s[6:7]
	v_cmp_le_u32_e32 vcc, s15, v57
	v_add_co_u32_e64 v68, s[6:7], 1, v61
	v_cndmask_b32_e64 v65, 0, -1, vcc
	v_cmp_le_u32_e32 vcc, s14, v56
	v_addc_co_u32_e64 v69, s[6:7], 0, v62, s[6:7]
	v_cndmask_b32_e64 v56, 0, -1, vcc
	v_cmp_eq_u32_e32 vcc, s15, v57
	v_cmp_ne_u32_e64 s[6:7], 0, v63
	v_cndmask_b32_e32 v56, v65, v56, vcc
	v_cndmask_b32_e64 v63, v69, v67, s[6:7]
	v_cmp_ne_u32_e32 vcc, 0, v56
	v_cndmask_b32_e64 v57, v68, v66, s[6:7]
	v_cndmask_b32_e32 v56, v62, v63, vcc
	v_cndmask_b32_e32 v57, v61, v57, vcc
	v_xor_b32_e32 v61, s12, v64
	v_xor_b32_e32 v62, v56, v61
	;; [unrolled: 1-line block ×3, first 2 shown]
	v_sub_co_u32_e32 v56, vcc, v56, v61
	v_subb_co_u32_e32 v57, vcc, v62, v61, vcc
.LBB1164_299:
	s_andn2_saveexec_b64 s[6:7], s[10:11]
	s_cbranch_execz .LBB1164_301
; %bb.300:
	v_cvt_f32_u32_e32 v56, s44
	s_sub_i32 s10, 0, s44
	v_rcp_iflag_f32_e32 v56, v56
	v_mul_f32_e32 v56, 0x4f7ffffe, v56
	v_cvt_u32_f32_e32 v56, v56
	v_mul_lo_u32 v57, s10, v56
	v_mul_hi_u32 v57, v56, v57
	v_add_u32_e32 v56, v56, v57
	v_mul_hi_u32 v56, v58, v56
	v_mul_lo_u32 v57, v56, s44
	v_sub_u32_e32 v57, v58, v57
	v_add_u32_e32 v61, 1, v56
	v_subrev_u32_e32 v62, s44, v57
	v_cmp_le_u32_e32 vcc, s44, v57
	v_cndmask_b32_e32 v57, v57, v62, vcc
	v_cndmask_b32_e32 v56, v56, v61, vcc
	v_add_u32_e32 v61, 1, v56
	v_cmp_le_u32_e32 vcc, s44, v57
	v_cndmask_b32_e32 v56, v56, v61, vcc
	v_mov_b32_e32 v57, 0
.LBB1164_301:
	s_or_b64 exec, exec, s[6:7]
	v_mul_lo_u32 v61, v57, s44
	v_mul_lo_u32 v64, v56, s45
	v_mad_u64_u32 v[62:63], s[6:7], v56, s44, 0
	v_add3_u32 v61, v63, v64, v61
	v_sub_co_u32_e32 v58, vcc, v58, v62
	v_subb_co_u32_e32 v59, vcc, v59, v61, vcc
	v_add_co_u32_e32 v56, vcc, v56, v58
	v_addc_co_u32_e32 v57, vcc, v57, v59, vcc
	s_or_b64 exec, exec, s[8:9]
                                        ; implicit-def: $vgpr58_vgpr59
	s_and_saveexec_b64 s[6:7], s[4:5]
	s_cbranch_execz .LBB1164_307
.LBB1164_302:
	v_mov_b32_e32 v59, s79
	v_add_co_u32_e32 v60, vcc, s78, v60
	v_addc_co_u32_e32 v61, vcc, 0, v59, vcc
	v_mov_b32_e32 v58, 0
	v_or_b32_e32 v59, s45, v61
	v_cmp_ne_u64_e32 vcc, 0, v[58:59]
                                        ; implicit-def: $vgpr58_vgpr59
	s_and_saveexec_b64 s[4:5], vcc
	s_xor_b64 s[8:9], exec, s[4:5]
	s_cbranch_execz .LBB1164_304
; %bb.303:
	s_ashr_i32 s10, s45, 31
	s_add_u32 s4, s44, s10
	s_mov_b32 s11, s10
	s_addc_u32 s5, s45, s10
	s_xor_b64 s[12:13], s[4:5], s[10:11]
	v_cvt_f32_u32_e32 v58, s12
	v_cvt_f32_u32_e32 v59, s13
	s_sub_u32 s4, 0, s12
	s_subb_u32 s5, 0, s13
	v_madmk_f32 v58, v59, 0x4f800000, v58
	v_rcp_f32_e32 v58, v58
	v_mul_f32_e32 v58, 0x5f7ffffc, v58
	v_mul_f32_e32 v59, 0x2f800000, v58
	v_trunc_f32_e32 v59, v59
	v_madmk_f32 v58, v59, 0xcf800000, v58
	v_cvt_u32_f32_e32 v59, v59
	v_cvt_u32_f32_e32 v58, v58
	v_mul_lo_u32 v62, s4, v59
	v_mul_hi_u32 v64, s4, v58
	v_mul_lo_u32 v63, s5, v58
	v_add_u32_e32 v62, v64, v62
	v_mul_lo_u32 v65, s4, v58
	v_add_u32_e32 v62, v62, v63
	v_mul_lo_u32 v64, v58, v62
	v_mul_hi_u32 v66, v58, v65
	v_mul_hi_u32 v63, v58, v62
	v_add_co_u32_e32 v64, vcc, v66, v64
	v_addc_co_u32_e32 v63, vcc, 0, v63, vcc
	v_mul_hi_u32 v67, v59, v65
	v_mul_lo_u32 v65, v59, v65
	v_add_co_u32_e32 v64, vcc, v64, v65
	v_mul_hi_u32 v66, v59, v62
	v_addc_co_u32_e32 v63, vcc, v63, v67, vcc
	v_addc_co_u32_e32 v64, vcc, 0, v66, vcc
	v_mul_lo_u32 v62, v59, v62
	v_add_co_u32_e32 v62, vcc, v63, v62
	v_addc_co_u32_e32 v63, vcc, 0, v64, vcc
	v_add_co_u32_e32 v58, vcc, v58, v62
	v_addc_co_u32_e32 v59, vcc, v59, v63, vcc
	v_mul_lo_u32 v62, s4, v59
	v_mul_hi_u32 v63, s4, v58
	v_add_u32_e32 v62, v63, v62
	v_mul_lo_u32 v63, s5, v58
	v_add_u32_e32 v62, v62, v63
	v_mul_lo_u32 v64, s4, v58
	v_mul_hi_u32 v65, v59, v64
	v_mul_lo_u32 v66, v59, v64
	v_mul_lo_u32 v68, v58, v62
	v_mul_hi_u32 v64, v58, v64
	v_mul_hi_u32 v67, v58, v62
	v_add_co_u32_e32 v64, vcc, v64, v68
	v_addc_co_u32_e32 v67, vcc, 0, v67, vcc
	v_add_co_u32_e32 v64, vcc, v64, v66
	v_mul_hi_u32 v63, v59, v62
	v_addc_co_u32_e32 v64, vcc, v67, v65, vcc
	v_addc_co_u32_e32 v63, vcc, 0, v63, vcc
	v_mul_lo_u32 v62, v59, v62
	v_add_co_u32_e32 v62, vcc, v64, v62
	v_addc_co_u32_e32 v63, vcc, 0, v63, vcc
	v_add_co_u32_e32 v62, vcc, v58, v62
	v_addc_co_u32_e32 v63, vcc, v59, v63, vcc
	v_ashrrev_i32_e32 v64, 31, v61
	v_add_co_u32_e32 v58, vcc, v60, v64
	v_addc_co_u32_e32 v59, vcc, v61, v64, vcc
	v_xor_b32_e32 v66, v58, v64
	v_xor_b32_e32 v65, v59, v64
	v_mad_u64_u32 v[58:59], s[4:5], v66, v63, 0
	v_mul_hi_u32 v67, v66, v62
	v_add_co_u32_e32 v67, vcc, v67, v58
	v_addc_co_u32_e32 v68, vcc, 0, v59, vcc
	v_mad_u64_u32 v[58:59], s[4:5], v65, v63, 0
	v_mad_u64_u32 v[62:63], s[4:5], v65, v62, 0
	v_add_co_u32_e32 v62, vcc, v67, v62
	v_addc_co_u32_e32 v62, vcc, v68, v63, vcc
	v_addc_co_u32_e32 v59, vcc, 0, v59, vcc
	v_add_co_u32_e32 v62, vcc, v62, v58
	v_addc_co_u32_e32 v63, vcc, 0, v59, vcc
	v_mul_lo_u32 v67, s13, v62
	v_mul_lo_u32 v68, s12, v63
	v_mad_u64_u32 v[58:59], s[4:5], s12, v62, 0
	v_add3_u32 v59, v59, v68, v67
	v_sub_u32_e32 v67, v65, v59
	v_mov_b32_e32 v68, s13
	v_sub_co_u32_e32 v58, vcc, v66, v58
	v_subb_co_u32_e64 v66, s[4:5], v67, v68, vcc
	v_subrev_co_u32_e64 v67, s[4:5], s12, v58
	v_subbrev_co_u32_e64 v66, s[4:5], 0, v66, s[4:5]
	v_cmp_le_u32_e64 s[4:5], s13, v66
	v_cndmask_b32_e64 v68, 0, -1, s[4:5]
	v_cmp_le_u32_e64 s[4:5], s12, v67
	v_cndmask_b32_e64 v67, 0, -1, s[4:5]
	v_cmp_eq_u32_e64 s[4:5], s13, v66
	v_cndmask_b32_e64 v66, v68, v67, s[4:5]
	v_add_co_u32_e64 v67, s[4:5], 2, v62
	v_subb_co_u32_e32 v59, vcc, v65, v59, vcc
	v_addc_co_u32_e64 v68, s[4:5], 0, v63, s[4:5]
	v_cmp_le_u32_e32 vcc, s13, v59
	v_add_co_u32_e64 v69, s[4:5], 1, v62
	v_cndmask_b32_e64 v65, 0, -1, vcc
	v_cmp_le_u32_e32 vcc, s12, v58
	v_addc_co_u32_e64 v70, s[4:5], 0, v63, s[4:5]
	v_cndmask_b32_e64 v58, 0, -1, vcc
	v_cmp_eq_u32_e32 vcc, s13, v59
	v_cmp_ne_u32_e64 s[4:5], 0, v66
	v_cndmask_b32_e32 v58, v65, v58, vcc
	v_cndmask_b32_e64 v66, v70, v68, s[4:5]
	v_cmp_ne_u32_e32 vcc, 0, v58
	v_cndmask_b32_e64 v59, v69, v67, s[4:5]
	v_cndmask_b32_e32 v58, v63, v66, vcc
	v_cndmask_b32_e32 v59, v62, v59, vcc
	v_xor_b32_e32 v62, s10, v64
	v_xor_b32_e32 v63, v58, v62
	;; [unrolled: 1-line block ×3, first 2 shown]
	v_sub_co_u32_e32 v58, vcc, v58, v62
	v_subb_co_u32_e32 v59, vcc, v63, v62, vcc
.LBB1164_304:
	s_andn2_saveexec_b64 s[4:5], s[8:9]
	s_cbranch_execz .LBB1164_306
; %bb.305:
	v_cvt_f32_u32_e32 v58, s44
	s_sub_i32 s8, 0, s44
	v_rcp_iflag_f32_e32 v58, v58
	v_mul_f32_e32 v58, 0x4f7ffffe, v58
	v_cvt_u32_f32_e32 v58, v58
	v_mul_lo_u32 v59, s8, v58
	v_mul_hi_u32 v59, v58, v59
	v_add_u32_e32 v58, v58, v59
	v_mul_hi_u32 v58, v60, v58
	v_mul_lo_u32 v59, v58, s44
	v_sub_u32_e32 v59, v60, v59
	v_add_u32_e32 v62, 1, v58
	v_subrev_u32_e32 v63, s44, v59
	v_cmp_le_u32_e32 vcc, s44, v59
	v_cndmask_b32_e32 v59, v59, v63, vcc
	v_cndmask_b32_e32 v58, v58, v62, vcc
	v_add_u32_e32 v62, 1, v58
	v_cmp_le_u32_e32 vcc, s44, v59
	v_cndmask_b32_e32 v58, v58, v62, vcc
	v_mov_b32_e32 v59, 0
.LBB1164_306:
	s_or_b64 exec, exec, s[4:5]
	v_mul_lo_u32 v64, v59, s44
	v_mul_lo_u32 v65, v58, s45
	v_mad_u64_u32 v[62:63], s[4:5], v58, s44, 0
	v_add3_u32 v63, v63, v65, v64
	v_sub_co_u32_e32 v60, vcc, v60, v62
	v_subb_co_u32_e32 v61, vcc, v61, v63, vcc
	v_add_co_u32_e32 v58, vcc, v58, v60
	v_addc_co_u32_e32 v59, vcc, v59, v61, vcc
.LBB1164_307:
	s_or_b64 exec, exec, s[6:7]
	ds_write2st64_b64 v1, v[30:31], v[32:33] offset1:4
	ds_write2st64_b64 v1, v[34:35], v[36:37] offset0:8 offset1:12
	ds_write2st64_b64 v1, v[38:39], v[40:41] offset0:16 offset1:20
	;; [unrolled: 1-line block ×6, first 2 shown]
	ds_write_b64 v1, v[58:59] offset:28672
	v_mov_b32_e32 v58, v26
	v_mov_b32_e32 v59, v27
	;; [unrolled: 1-line block ×14, first 2 shown]
	s_waitcnt lgkmcnt(0)
	s_barrier
.LBB1164_308:
	ds_read2_b64 v[54:57], v76 offset1:1
	ds_read2_b64 v[50:53], v76 offset0:2 offset1:3
	ds_read2_b64 v[46:49], v76 offset0:4 offset1:5
	;; [unrolled: 1-line block ×6, first 2 shown]
	ds_read_b64 v[72:73], v76 offset:112
	s_cmp_eq_u64 s[42:43], 0
	s_cselect_b64 s[36:37], -1, 0
	s_cmp_lg_u64 s[42:43], 0
	s_mov_b64 s[6:7], 0
	s_cselect_b64 s[30:31], -1, 0
	s_and_b64 vcc, exec, s[60:61]
	s_waitcnt lgkmcnt(0)
	s_barrier
	s_cbranch_vccz .LBB1164_317
; %bb.309:
	s_and_b64 vcc, exec, s[30:31]
	s_cbranch_vccz .LBB1164_318
; %bb.310:
	s_add_u32 s6, s76, -1
	s_addc_u32 s7, s77, -1
	s_or_b64 s[4:5], s[6:7], s[38:39]
	s_mov_b32 s4, 0
	s_cmp_lg_u64 s[4:5], 0
	s_mov_b64 s[8:9], -1
	s_cbranch_scc0 .LBB1164_539
; %bb.311:
	s_ashr_i32 s10, s39, 31
	s_add_u32 s4, s38, s10
	s_mov_b32 s11, s10
	s_addc_u32 s5, s39, s10
	s_xor_b64 s[12:13], s[4:5], s[10:11]
	v_cvt_f32_u32_e32 v1, s12
	v_cvt_f32_u32_e32 v76, s13
	s_sub_u32 s4, 0, s12
	s_subb_u32 s5, 0, s13
	v_madmk_f32 v1, v76, 0x4f800000, v1
	v_rcp_f32_e32 v1, v1
	v_mul_f32_e32 v1, 0x5f7ffffc, v1
	v_mul_f32_e32 v76, 0x2f800000, v1
	v_trunc_f32_e32 v76, v76
	v_madmk_f32 v1, v76, 0xcf800000, v1
	v_cvt_u32_f32_e32 v76, v76
	v_cvt_u32_f32_e32 v1, v1
	v_readfirstlane_b32 s14, v76
	v_readfirstlane_b32 s15, v1
	s_mul_i32 s16, s4, s14
	s_mul_hi_u32 s18, s4, s15
	s_mul_i32 s17, s5, s15
	s_add_i32 s16, s18, s16
	s_add_i32 s16, s16, s17
	s_mul_i32 s19, s4, s15
	s_mul_hi_u32 s17, s15, s16
	s_mul_i32 s18, s15, s16
	s_mul_hi_u32 s15, s15, s19
	s_add_u32 s15, s15, s18
	s_addc_u32 s17, 0, s17
	s_mul_hi_u32 s20, s14, s19
	s_mul_i32 s19, s14, s19
	s_add_u32 s15, s15, s19
	s_mul_hi_u32 s18, s14, s16
	s_addc_u32 s15, s17, s20
	s_addc_u32 s17, s18, 0
	s_mul_i32 s16, s14, s16
	s_add_u32 s15, s15, s16
	s_addc_u32 s16, 0, s17
	v_add_co_u32_e32 v1, vcc, s15, v1
	s_cmp_lg_u64 vcc, 0
	s_addc_u32 s14, s14, s16
	v_readfirstlane_b32 s16, v1
	s_mul_i32 s15, s4, s14
	s_mul_hi_u32 s17, s4, s16
	s_add_i32 s15, s17, s15
	s_mul_i32 s5, s5, s16
	s_add_i32 s15, s15, s5
	s_mul_i32 s4, s4, s16
	s_mul_hi_u32 s17, s14, s4
	s_mul_i32 s18, s14, s4
	s_mul_i32 s20, s16, s15
	s_mul_hi_u32 s4, s16, s4
	s_mul_hi_u32 s19, s16, s15
	s_add_u32 s4, s4, s20
	s_addc_u32 s16, 0, s19
	s_add_u32 s4, s4, s18
	s_mul_hi_u32 s5, s14, s15
	s_addc_u32 s4, s16, s17
	s_addc_u32 s5, s5, 0
	s_mul_i32 s15, s14, s15
	s_add_u32 s4, s4, s15
	s_addc_u32 s5, 0, s5
	v_add_co_u32_e32 v1, vcc, s4, v1
	s_cmp_lg_u64 vcc, 0
	s_addc_u32 s18, s14, s5
	s_ashr_i32 s14, s7, 31
	s_add_u32 s4, s6, s14
	s_mov_b32 s15, s14
	s_addc_u32 s5, s7, s14
	s_xor_b64 s[16:17], s[4:5], s[14:15]
	v_readfirstlane_b32 s7, v1
	s_mul_i32 s5, s16, s18
	s_mul_hi_u32 s19, s16, s7
	s_mul_hi_u32 s4, s16, s18
	s_add_u32 s5, s19, s5
	s_addc_u32 s4, 0, s4
	s_mul_hi_u32 s20, s17, s7
	s_mul_i32 s7, s17, s7
	s_add_u32 s5, s5, s7
	s_mul_hi_u32 s19, s17, s18
	s_addc_u32 s4, s4, s20
	s_addc_u32 s5, s19, 0
	s_mul_i32 s7, s17, s18
	s_add_u32 s7, s4, s7
	s_addc_u32 s18, 0, s5
	s_mul_i32 s4, s12, s18
	s_mul_hi_u32 s5, s12, s7
	s_add_i32 s4, s5, s4
	s_mul_i32 s5, s13, s7
	s_add_i32 s19, s4, s5
	s_mul_i32 s5, s12, s7
	v_mov_b32_e32 v1, s5
	s_sub_i32 s4, s17, s19
	v_sub_co_u32_e32 v1, vcc, s16, v1
	s_cmp_lg_u64 vcc, 0
	s_subb_u32 s16, s4, s13
	v_subrev_co_u32_e64 v76, s[4:5], s12, v1
	s_cmp_lg_u64 s[4:5], 0
	s_subb_u32 s16, s16, 0
	s_cmp_ge_u32 s16, s13
	s_cselect_b32 s20, -1, 0
	v_cmp_le_u32_e64 s[4:5], s12, v76
	s_cmp_eq_u32 s16, s13
	v_cndmask_b32_e64 v76, 0, -1, s[4:5]
	v_mov_b32_e32 v77, s20
	s_cselect_b64 s[4:5], -1, 0
	v_cndmask_b32_e64 v76, v77, v76, s[4:5]
	s_add_u32 s4, s7, 1
	s_addc_u32 s16, s18, 0
	s_add_u32 s5, s7, 2
	s_addc_u32 s20, s18, 0
	v_mov_b32_e32 v77, s4
	v_mov_b32_e32 v78, s5
	v_cmp_ne_u32_e64 s[4:5], 0, v76
	v_cndmask_b32_e64 v76, v77, v78, s[4:5]
	v_mov_b32_e32 v77, s16
	v_mov_b32_e32 v78, s20
	s_cmp_lg_u64 vcc, 0
	v_cndmask_b32_e64 v77, v77, v78, s[4:5]
	s_subb_u32 s4, s17, s19
	s_cmp_ge_u32 s4, s13
	s_cselect_b32 s5, -1, 0
	v_cmp_le_u32_e32 vcc, s12, v1
	s_cmp_eq_u32 s4, s13
	v_cndmask_b32_e64 v1, 0, -1, vcc
	v_mov_b32_e32 v78, s5
	s_cselect_b64 vcc, -1, 0
	v_cndmask_b32_e32 v1, v78, v1, vcc
	v_mov_b32_e32 v78, s18
	v_cmp_ne_u32_e32 vcc, 0, v1
	v_cndmask_b32_e32 v1, v78, v77, vcc
	v_mov_b32_e32 v77, s7
	v_cndmask_b32_e32 v76, v77, v76, vcc
	s_xor_b64 s[4:5], s[14:15], s[10:11]
	v_xor_b32_e32 v76, s4, v76
	v_xor_b32_e32 v1, s5, v1
	v_mov_b32_e32 v77, s5
	v_subrev_co_u32_e32 v76, vcc, s4, v76
	v_subb_co_u32_e32 v77, vcc, v1, v77, vcc
	s_cbranch_execnz .LBB1164_313
.LBB1164_312:
	v_cvt_f32_u32_e32 v1, s38
	s_sub_i32 s4, 0, s38
	s_mov_b32 s5, 0
	v_rcp_iflag_f32_e32 v1, v1
	v_mul_f32_e32 v1, 0x4f7ffffe, v1
	v_cvt_u32_f32_e32 v1, v1
	v_readfirstlane_b32 s7, v1
	s_mul_i32 s4, s4, s7
	s_mul_hi_u32 s4, s7, s4
	s_add_i32 s7, s7, s4
	s_mul_hi_u32 s4, s6, s7
	s_mul_i32 s8, s4, s38
	s_sub_i32 s6, s6, s8
	s_add_i32 s7, s4, 1
	s_sub_i32 s8, s6, s38
	s_cmp_ge_u32 s6, s38
	s_cselect_b32 s4, s7, s4
	s_cselect_b32 s6, s8, s6
	s_add_i32 s7, s4, 1
	s_cmp_ge_u32 s6, s38
	s_cselect_b32 s4, s7, s4
	v_pk_mov_b32 v[76:77], s[4:5], s[4:5] op_sel:[0,1]
.LBB1164_313:
	v_lshlrev_b32_e32 v1, 3, v0
	v_cmp_ne_u64_e32 vcc, v[4:5], v[74:75]
	v_cmp_ne_u64_e64 s[4:5], v[2:3], v[4:5]
	v_cmp_ne_u64_e64 s[6:7], v[8:9], v[2:3]
	;; [unrolled: 1-line block ×13, first 2 shown]
	ds_write_b64 v1, v[74:75]
	s_waitcnt lgkmcnt(0)
	s_barrier
	s_and_saveexec_b64 s[34:35], s[2:3]
	s_cbranch_execz .LBB1164_315
; %bb.314:
	v_add_u32_e32 v1, -8, v1
	ds_read_b64 v[76:77], v1
.LBB1164_315:
	s_or_b64 exec, exec, s[34:35]
	v_cndmask_b32_e64 v1, 0, 1, vcc
	v_cndmask_b32_e64 v100, 0, 1, s[4:5]
	v_cndmask_b32_e64 v101, 0, 1, s[6:7]
	;; [unrolled: 1-line block ×13, first 2 shown]
	s_waitcnt lgkmcnt(0)
	v_cmp_ne_u64_e64 s[4:5], v[76:77], v[26:27]
	s_mov_b64 s[6:7], -1
.LBB1164_316:
                                        ; implicit-def: $sgpr12
	s_branch .LBB1164_333
.LBB1164_317:
                                        ; implicit-def: $sgpr4_sgpr5
                                        ; implicit-def: $vgpr1
                                        ; implicit-def: $vgpr100
                                        ; implicit-def: $vgpr101
                                        ; implicit-def: $vgpr102
                                        ; implicit-def: $vgpr103
                                        ; implicit-def: $vgpr104
                                        ; implicit-def: $vgpr105
                                        ; implicit-def: $vgpr106
                                        ; implicit-def: $vgpr107
                                        ; implicit-def: $vgpr108
                                        ; implicit-def: $vgpr109
                                        ; implicit-def: $vgpr110
                                        ; implicit-def: $vgpr111
                                        ; implicit-def: $vgpr112
                                        ; implicit-def: $sgpr12
	s_cbranch_execnz .LBB1164_322
	s_branch .LBB1164_333
.LBB1164_318:
                                        ; implicit-def: $sgpr4_sgpr5
                                        ; implicit-def: $vgpr1
                                        ; implicit-def: $vgpr100
                                        ; implicit-def: $vgpr101
                                        ; implicit-def: $vgpr102
                                        ; implicit-def: $vgpr103
                                        ; implicit-def: $vgpr104
                                        ; implicit-def: $vgpr105
                                        ; implicit-def: $vgpr106
                                        ; implicit-def: $vgpr107
                                        ; implicit-def: $vgpr108
                                        ; implicit-def: $vgpr109
                                        ; implicit-def: $vgpr110
                                        ; implicit-def: $vgpr111
                                        ; implicit-def: $vgpr112
	s_cbranch_execz .LBB1164_316
; %bb.319:
	v_cmp_ne_u64_e32 vcc, v[28:29], v[58:59]
	v_cndmask_b32_e64 v112, 0, 1, vcc
	v_cmp_ne_u64_e32 vcc, v[28:29], v[60:61]
	v_cndmask_b32_e64 v111, 0, 1, vcc
	v_cmp_ne_u64_e32 vcc, v[60:61], v[24:25]
	v_cndmask_b32_e64 v110, 0, 1, vcc
	v_cmp_ne_u64_e32 vcc, v[62:63], v[24:25]
	v_cndmask_b32_e64 v109, 0, 1, vcc
	v_cmp_ne_u64_e32 vcc, v[20:21], v[62:63]
	v_cndmask_b32_e64 v108, 0, 1, vcc
	v_cmp_ne_u64_e32 vcc, v[20:21], v[64:65]
	v_cndmask_b32_e64 v107, 0, 1, vcc
	v_cmp_ne_u64_e32 vcc, v[64:65], v[16:17]
	v_cndmask_b32_e64 v106, 0, 1, vcc
	v_cmp_ne_u64_e32 vcc, v[66:67], v[16:17]
	v_cndmask_b32_e64 v105, 0, 1, vcc
	v_cmp_ne_u64_e32 vcc, v[12:13], v[66:67]
	v_cndmask_b32_e64 v104, 0, 1, vcc
	v_cmp_ne_u64_e32 vcc, v[12:13], v[68:69]
	v_cndmask_b32_e64 v103, 0, 1, vcc
	v_cmp_ne_u64_e32 vcc, v[68:69], v[8:9]
	v_cndmask_b32_e64 v102, 0, 1, vcc
	v_cmp_ne_u64_e32 vcc, v[70:71], v[8:9]
	v_cndmask_b32_e64 v101, 0, 1, vcc
	v_cmp_ne_u64_e32 vcc, v[4:5], v[70:71]
	v_cndmask_b32_e64 v100, 0, 1, vcc
	v_cmp_ne_u64_e32 vcc, v[4:5], v[74:75]
	v_lshlrev_b32_e32 v76, 3, v0
	v_cndmask_b32_e64 v1, 0, 1, vcc
	ds_write_b64 v76, v[74:75]
	s_waitcnt lgkmcnt(0)
	s_barrier
	s_waitcnt lgkmcnt(0)
                                        ; implicit-def: $sgpr4_sgpr5
	s_and_saveexec_b64 s[8:9], s[2:3]
	s_xor_b64 s[8:9], exec, s[8:9]
	s_cbranch_execz .LBB1164_321
; %bb.320:
	v_add_u32_e32 v58, -8, v76
	ds_read_b64 v[58:59], v58
	s_or_b64 s[6:7], s[6:7], exec
	s_waitcnt lgkmcnt(0)
	v_cmp_ne_u64_e32 vcc, v[58:59], v[26:27]
	s_and_b64 s[4:5], vcc, exec
.LBB1164_321:
	s_or_b64 exec, exec, s[8:9]
	s_mov_b32 s12, 1
	s_branch .LBB1164_333
.LBB1164_322:
	s_mul_hi_u32 s5, s42, 0xfffff100
	s_mul_i32 s4, s43, 0xfffff100
	s_sub_i32 s5, s5, s42
	s_add_i32 s5, s5, s4
	s_mul_i32 s4, s42, 0xfffff100
	s_add_u32 s8, s4, s64
	s_addc_u32 s9, s5, s65
	s_and_b64 vcc, exec, s[30:31]
	s_cbranch_vccz .LBB1164_330
; %bb.323:
	s_add_u32 s6, s76, -1
	s_addc_u32 s7, s77, -1
	s_or_b64 s[4:5], s[6:7], s[38:39]
	s_mov_b32 s4, 0
	s_cmp_lg_u64 s[4:5], 0
	s_mov_b64 s[10:11], -1
	s_cbranch_scc0 .LBB1164_540
; %bb.324:
	s_ashr_i32 s12, s39, 31
	s_add_u32 s4, s38, s12
	s_mov_b32 s13, s12
	s_addc_u32 s5, s39, s12
	s_xor_b64 s[14:15], s[4:5], s[12:13]
	v_cvt_f32_u32_e32 v1, s14
	v_cvt_f32_u32_e32 v58, s15
	s_sub_u32 s4, 0, s14
	s_subb_u32 s5, 0, s15
	v_madmk_f32 v1, v58, 0x4f800000, v1
	v_rcp_f32_e32 v1, v1
	v_mul_f32_e32 v1, 0x5f7ffffc, v1
	v_mul_f32_e32 v58, 0x2f800000, v1
	v_trunc_f32_e32 v58, v58
	v_madmk_f32 v1, v58, 0xcf800000, v1
	v_cvt_u32_f32_e32 v58, v58
	v_cvt_u32_f32_e32 v1, v1
	v_readfirstlane_b32 s16, v58
	v_readfirstlane_b32 s17, v1
	s_mul_i32 s18, s4, s16
	s_mul_hi_u32 s20, s4, s17
	s_mul_i32 s19, s5, s17
	s_add_i32 s18, s20, s18
	s_add_i32 s18, s18, s19
	s_mul_i32 s21, s4, s17
	s_mul_hi_u32 s19, s17, s18
	s_mul_i32 s20, s17, s18
	s_mul_hi_u32 s17, s17, s21
	s_add_u32 s17, s17, s20
	s_addc_u32 s19, 0, s19
	s_mul_hi_u32 s22, s16, s21
	s_mul_i32 s21, s16, s21
	s_add_u32 s17, s17, s21
	s_mul_hi_u32 s20, s16, s18
	s_addc_u32 s17, s19, s22
	s_addc_u32 s19, s20, 0
	s_mul_i32 s18, s16, s18
	s_add_u32 s17, s17, s18
	s_addc_u32 s18, 0, s19
	v_add_co_u32_e32 v1, vcc, s17, v1
	s_cmp_lg_u64 vcc, 0
	s_addc_u32 s16, s16, s18
	v_readfirstlane_b32 s18, v1
	s_mul_i32 s17, s4, s16
	s_mul_hi_u32 s19, s4, s18
	s_add_i32 s17, s19, s17
	s_mul_i32 s5, s5, s18
	s_add_i32 s17, s17, s5
	s_mul_i32 s4, s4, s18
	s_mul_hi_u32 s19, s16, s4
	s_mul_i32 s20, s16, s4
	s_mul_i32 s22, s18, s17
	s_mul_hi_u32 s4, s18, s4
	s_mul_hi_u32 s21, s18, s17
	s_add_u32 s4, s4, s22
	s_addc_u32 s18, 0, s21
	s_add_u32 s4, s4, s20
	s_mul_hi_u32 s5, s16, s17
	s_addc_u32 s4, s18, s19
	s_addc_u32 s5, s5, 0
	s_mul_i32 s17, s16, s17
	s_add_u32 s4, s4, s17
	s_addc_u32 s5, 0, s5
	v_add_co_u32_e32 v1, vcc, s4, v1
	s_cmp_lg_u64 vcc, 0
	s_addc_u32 s20, s16, s5
	s_ashr_i32 s16, s7, 31
	s_add_u32 s4, s6, s16
	s_mov_b32 s17, s16
	s_addc_u32 s5, s7, s16
	s_xor_b64 s[18:19], s[4:5], s[16:17]
	v_readfirstlane_b32 s7, v1
	s_mul_i32 s5, s18, s20
	s_mul_hi_u32 s21, s18, s7
	s_mul_hi_u32 s4, s18, s20
	s_add_u32 s5, s21, s5
	s_addc_u32 s4, 0, s4
	s_mul_hi_u32 s22, s19, s7
	s_mul_i32 s7, s19, s7
	s_add_u32 s5, s5, s7
	s_mul_hi_u32 s21, s19, s20
	s_addc_u32 s4, s4, s22
	s_addc_u32 s5, s21, 0
	s_mul_i32 s7, s19, s20
	s_add_u32 s7, s4, s7
	s_addc_u32 s20, 0, s5
	s_mul_i32 s4, s14, s20
	s_mul_hi_u32 s5, s14, s7
	s_add_i32 s4, s5, s4
	s_mul_i32 s5, s15, s7
	s_add_i32 s21, s4, s5
	s_mul_i32 s5, s14, s7
	v_mov_b32_e32 v1, s5
	s_sub_i32 s4, s19, s21
	v_sub_co_u32_e32 v1, vcc, s18, v1
	s_cmp_lg_u64 vcc, 0
	s_subb_u32 s18, s4, s15
	v_subrev_co_u32_e64 v58, s[4:5], s14, v1
	s_cmp_lg_u64 s[4:5], 0
	s_subb_u32 s18, s18, 0
	s_cmp_ge_u32 s18, s15
	s_cselect_b32 s22, -1, 0
	v_cmp_le_u32_e64 s[4:5], s14, v58
	s_cmp_eq_u32 s18, s15
	v_cndmask_b32_e64 v58, 0, -1, s[4:5]
	v_mov_b32_e32 v59, s22
	s_cselect_b64 s[4:5], -1, 0
	v_cndmask_b32_e64 v58, v59, v58, s[4:5]
	s_add_u32 s4, s7, 1
	s_addc_u32 s18, s20, 0
	s_add_u32 s5, s7, 2
	s_addc_u32 s22, s20, 0
	v_mov_b32_e32 v59, s4
	v_mov_b32_e32 v60, s5
	v_cmp_ne_u32_e64 s[4:5], 0, v58
	v_cndmask_b32_e64 v58, v59, v60, s[4:5]
	v_mov_b32_e32 v59, s18
	v_mov_b32_e32 v60, s22
	s_cmp_lg_u64 vcc, 0
	v_cndmask_b32_e64 v59, v59, v60, s[4:5]
	s_subb_u32 s4, s19, s21
	s_cmp_ge_u32 s4, s15
	s_cselect_b32 s5, -1, 0
	v_cmp_le_u32_e32 vcc, s14, v1
	s_cmp_eq_u32 s4, s15
	v_cndmask_b32_e64 v1, 0, -1, vcc
	v_mov_b32_e32 v60, s5
	s_cselect_b64 vcc, -1, 0
	v_cndmask_b32_e32 v1, v60, v1, vcc
	v_mov_b32_e32 v60, s20
	v_cmp_ne_u32_e32 vcc, 0, v1
	v_cndmask_b32_e32 v1, v60, v59, vcc
	v_mov_b32_e32 v59, s7
	v_cndmask_b32_e32 v58, v59, v58, vcc
	s_xor_b64 s[4:5], s[16:17], s[12:13]
	v_xor_b32_e32 v58, s4, v58
	v_xor_b32_e32 v1, s5, v1
	v_mov_b32_e32 v59, s5
	v_subrev_co_u32_e32 v58, vcc, s4, v58
	v_subb_co_u32_e32 v59, vcc, v1, v59, vcc
	s_cbranch_execnz .LBB1164_326
.LBB1164_325:
	v_cvt_f32_u32_e32 v1, s38
	s_sub_i32 s4, 0, s38
	s_mov_b32 s5, 0
	v_rcp_iflag_f32_e32 v1, v1
	v_mul_f32_e32 v1, 0x4f7ffffe, v1
	v_cvt_u32_f32_e32 v1, v1
	v_readfirstlane_b32 s7, v1
	s_mul_i32 s4, s4, s7
	s_mul_hi_u32 s4, s7, s4
	s_add_i32 s7, s7, s4
	s_mul_hi_u32 s4, s6, s7
	s_mul_i32 s10, s4, s38
	s_sub_i32 s6, s6, s10
	s_add_i32 s7, s4, 1
	s_sub_i32 s10, s6, s38
	s_cmp_ge_u32 s6, s38
	s_cselect_b32 s4, s7, s4
	s_cselect_b32 s6, s10, s6
	s_add_i32 s7, s4, 1
	s_cmp_ge_u32 s6, s38
	s_cselect_b32 s4, s7, s4
	v_pk_mov_b32 v[58:59], s[4:5], s[4:5] op_sel:[0,1]
.LBB1164_326:
	v_mad_u32_u24 v62, v0, 15, 14
	v_mov_b32_e32 v63, 0
	v_cmp_gt_u64_e32 vcc, s[8:9], v[62:63]
	v_cmp_ne_u64_e64 s[4:5], v[4:5], v[74:75]
	v_mad_u32_u24 v62, v0, 15, 13
	s_and_b64 s[6:7], vcc, s[4:5]
	v_cmp_gt_u64_e32 vcc, s[8:9], v[62:63]
	v_cmp_ne_u64_e64 s[4:5], v[2:3], v[4:5]
	v_mad_u32_u24 v62, v0, 15, 12
	s_and_b64 s[10:11], vcc, s[4:5]
	;; [unrolled: 4-line block ×13, first 2 shown]
	v_cmp_gt_u64_e32 vcc, s[8:9], v[62:63]
	v_cmp_ne_u64_e64 s[4:5], v[26:27], v[28:29]
	v_lshlrev_b32_e32 v1, 3, v0
	v_mul_u32_u24_e32 v60, 15, v0
	s_and_b64 s[4:5], vcc, s[4:5]
	ds_write_b64 v1, v[74:75]
	s_waitcnt lgkmcnt(0)
	s_barrier
	s_and_saveexec_b64 s[38:39], s[2:3]
	s_cbranch_execz .LBB1164_328
; %bb.327:
	v_add_u32_e32 v1, -8, v1
	ds_read_b64 v[58:59], v1
.LBB1164_328:
	s_or_b64 exec, exec, s[38:39]
	v_mov_b32_e32 v61, v63
	v_cndmask_b32_e64 v112, 0, 1, s[4:5]
	v_cmp_gt_u64_e32 vcc, s[8:9], v[60:61]
	s_waitcnt lgkmcnt(0)
	v_cmp_ne_u64_e64 s[4:5], v[58:59], v[26:27]
	v_cndmask_b32_e64 v1, 0, 1, s[6:7]
	v_cndmask_b32_e64 v100, 0, 1, s[10:11]
	;; [unrolled: 1-line block ×13, first 2 shown]
	s_and_b64 s[4:5], vcc, s[4:5]
	s_mov_b64 s[6:7], -1
.LBB1164_329:
                                        ; implicit-def: $sgpr12
	v_mov_b32_e32 v113, s12
	s_and_saveexec_b64 s[2:3], s[6:7]
	s_cbranch_execnz .LBB1164_334
	s_branch .LBB1164_335
.LBB1164_330:
                                        ; implicit-def: $sgpr4_sgpr5
                                        ; implicit-def: $vgpr1
                                        ; implicit-def: $vgpr100
                                        ; implicit-def: $vgpr101
                                        ; implicit-def: $vgpr102
                                        ; implicit-def: $vgpr103
                                        ; implicit-def: $vgpr104
                                        ; implicit-def: $vgpr105
                                        ; implicit-def: $vgpr106
                                        ; implicit-def: $vgpr107
                                        ; implicit-def: $vgpr108
                                        ; implicit-def: $vgpr109
                                        ; implicit-def: $vgpr110
                                        ; implicit-def: $vgpr111
                                        ; implicit-def: $vgpr112
	s_cbranch_execz .LBB1164_329
; %bb.331:
	v_mad_u32_u24 v58, v0, 15, 14
	v_mov_b32_e32 v59, 0
	v_cmp_gt_u64_e32 vcc, s[8:9], v[58:59]
	v_cmp_ne_u64_e64 s[4:5], v[4:5], v[74:75]
	s_and_b64 s[4:5], vcc, s[4:5]
	v_mad_u32_u24 v58, v0, 15, 13
	v_cndmask_b32_e64 v1, 0, 1, s[4:5]
	v_cmp_gt_u64_e32 vcc, s[8:9], v[58:59]
	v_cmp_ne_u64_e64 s[4:5], v[2:3], v[4:5]
	s_and_b64 s[4:5], vcc, s[4:5]
	v_mad_u32_u24 v58, v0, 15, 12
	v_cndmask_b32_e64 v100, 0, 1, s[4:5]
	;; [unrolled: 5-line block ×13, first 2 shown]
	v_cmp_gt_u64_e32 vcc, s[8:9], v[58:59]
	v_cmp_ne_u64_e64 s[4:5], v[26:27], v[28:29]
	s_and_b64 s[4:5], vcc, s[4:5]
	v_lshlrev_b32_e32 v60, 3, v0
	s_mov_b32 s12, 1
	v_cndmask_b32_e64 v112, 0, 1, s[4:5]
	ds_write_b64 v60, v[74:75]
	s_waitcnt lgkmcnt(0)
	s_barrier
	s_waitcnt lgkmcnt(0)
                                        ; implicit-def: $sgpr4_sgpr5
	s_and_saveexec_b64 s[10:11], s[2:3]
	s_cbranch_execz .LBB1164_470
; %bb.332:
	v_add_u32_e32 v58, -8, v60
	ds_read_b64 v[60:61], v58
	v_mul_u32_u24_e32 v58, 15, v0
	v_cmp_gt_u64_e32 vcc, s[8:9], v[58:59]
	s_or_b64 s[6:7], s[6:7], exec
	s_waitcnt lgkmcnt(0)
	v_cmp_ne_u64_e64 s[2:3], v[60:61], v[26:27]
	s_and_b64 s[2:3], vcc, s[2:3]
	s_and_b64 s[4:5], s[2:3], exec
	s_or_b64 exec, exec, s[10:11]
.LBB1164_333:
	v_mov_b32_e32 v113, s12
	s_and_saveexec_b64 s[2:3], s[6:7]
.LBB1164_334:
	v_cndmask_b32_e64 v113, 0, 1, s[4:5]
.LBB1164_335:
	s_or_b64 exec, exec, s[2:3]
	s_cmp_eq_u64 s[58:59], 0
	v_add3_u32 v58, v112, v113, v111
	v_mov_b32_e32 v96, v54
	v_mov_b32_e32 v97, v55
	s_cselect_b64 s[30:31], -1, 0
	s_cmp_lg_u32 s33, 0
	v_cmp_eq_u32_e64 s[26:27], 0, v112
	v_cmp_eq_u32_e64 s[24:25], 0, v111
	;; [unrolled: 1-line block ×3, first 2 shown]
	v_add3_u32 v115, v58, v110, v109
	v_cmp_eq_u32_e64 s[20:21], 0, v109
	v_cmp_eq_u32_e64 s[18:19], 0, v108
	;; [unrolled: 1-line block ×10, first 2 shown]
	v_cmp_eq_u32_e32 vcc, 0, v1
	v_mbcnt_lo_u32_b32 v114, -1, 0
	s_cbranch_scc0 .LBB1164_402
; %bb.336:
	v_cndmask_b32_e64 v59, 0, v54, s[26:27]
	v_cndmask_b32_e64 v58, 0, v55, s[26:27]
	v_add_co_u32_e64 v59, s[28:29], v59, v56
	v_addc_co_u32_e64 v58, s[28:29], v58, v57, s[28:29]
	v_cndmask_b32_e64 v59, 0, v59, s[24:25]
	v_cndmask_b32_e64 v58, 0, v58, s[24:25]
	v_add_co_u32_e64 v59, s[28:29], v59, v50
	v_addc_co_u32_e64 v58, s[28:29], v58, v51, s[28:29]
	;; [unrolled: 4-line block ×11, first 2 shown]
	v_cndmask_b32_e64 v59, 0, v59, s[4:5]
	v_add3_u32 v60, v115, v108, v107
	v_cndmask_b32_e64 v58, 0, v58, s[4:5]
	v_add_co_u32_e64 v59, s[28:29], v59, v30
	v_add3_u32 v60, v60, v106, v105
	v_addc_co_u32_e64 v58, s[28:29], v58, v31, s[28:29]
	v_cndmask_b32_e64 v59, 0, v59, s[2:3]
	v_add3_u32 v60, v60, v104, v103
	v_cndmask_b32_e64 v58, 0, v58, s[2:3]
	v_add_co_u32_e64 v59, s[28:29], v59, v32
	v_add3_u32 v60, v60, v102, v101
	v_addc_co_u32_e64 v58, s[28:29], v58, v33, s[28:29]
	v_cndmask_b32_e32 v59, 0, v59, vcc
	v_add3_u32 v62, v60, v100, v1
	v_cndmask_b32_e32 v58, 0, v58, vcc
	v_add_co_u32_e32 v60, vcc, v59, v72
	v_mbcnt_hi_u32_b32 v63, -1, v114
	v_addc_co_u32_e32 v61, vcc, v58, v73, vcc
	v_and_b32_e32 v58, 15, v63
	v_mov_b32_dpp v64, v62 row_shr:1 row_mask:0xf bank_mask:0xf
	v_mov_b32_dpp v59, v60 row_shr:1 row_mask:0xf bank_mask:0xf
	;; [unrolled: 1-line block ×3, first 2 shown]
	v_cmp_ne_u32_e32 vcc, 0, v58
	s_and_saveexec_b64 s[28:29], vcc
; %bb.337:
	v_cmp_eq_u32_e32 vcc, 0, v62
	v_cndmask_b32_e32 v59, 0, v59, vcc
	v_add_u32_e32 v64, v64, v62
	v_cndmask_b32_e32 v62, 0, v65, vcc
	v_add_co_u32_e32 v60, vcc, v59, v60
	v_addc_co_u32_e32 v61, vcc, v62, v61, vcc
	v_mov_b32_e32 v62, v64
; %bb.338:
	s_or_b64 exec, exec, s[28:29]
	s_nop 0
	v_mov_b32_dpp v64, v62 row_shr:2 row_mask:0xf bank_mask:0xf
	v_mov_b32_dpp v59, v60 row_shr:2 row_mask:0xf bank_mask:0xf
	v_mov_b32_dpp v65, v61 row_shr:2 row_mask:0xf bank_mask:0xf
	v_cmp_lt_u32_e32 vcc, 1, v58
	s_and_saveexec_b64 s[28:29], vcc
; %bb.339:
	v_cmp_eq_u32_e32 vcc, 0, v62
	v_cndmask_b32_e32 v59, 0, v59, vcc
	v_add_u32_e32 v64, v64, v62
	v_cndmask_b32_e32 v62, 0, v65, vcc
	v_add_co_u32_e32 v60, vcc, v59, v60
	v_addc_co_u32_e32 v61, vcc, v62, v61, vcc
	v_mov_b32_e32 v62, v64
; %bb.340:
	s_or_b64 exec, exec, s[28:29]
	s_nop 0
	v_mov_b32_dpp v64, v62 row_shr:4 row_mask:0xf bank_mask:0xf
	v_mov_b32_dpp v59, v60 row_shr:4 row_mask:0xf bank_mask:0xf
	v_mov_b32_dpp v65, v61 row_shr:4 row_mask:0xf bank_mask:0xf
	v_cmp_lt_u32_e32 vcc, 3, v58
	;; [unrolled: 16-line block ×3, first 2 shown]
	s_and_saveexec_b64 s[28:29], vcc
; %bb.343:
	v_cmp_eq_u32_e32 vcc, 0, v62
	v_cndmask_b32_e32 v59, 0, v59, vcc
	v_add_u32_e32 v58, v64, v62
	v_cndmask_b32_e32 v62, 0, v65, vcc
	v_add_co_u32_e32 v60, vcc, v59, v60
	v_addc_co_u32_e32 v61, vcc, v62, v61, vcc
	v_mov_b32_e32 v62, v58
; %bb.344:
	s_or_b64 exec, exec, s[28:29]
	v_and_b32_e32 v65, 16, v63
	v_mov_b32_dpp v59, v62 row_bcast:15 row_mask:0xf bank_mask:0xf
	v_mov_b32_dpp v58, v60 row_bcast:15 row_mask:0xf bank_mask:0xf
	v_mov_b32_dpp v64, v61 row_bcast:15 row_mask:0xf bank_mask:0xf
	v_cmp_ne_u32_e32 vcc, 0, v65
	s_and_saveexec_b64 s[28:29], vcc
; %bb.345:
	v_cmp_eq_u32_e32 vcc, 0, v62
	v_cndmask_b32_e32 v58, 0, v58, vcc
	v_add_u32_e32 v59, v59, v62
	v_cndmask_b32_e32 v62, 0, v64, vcc
	v_add_co_u32_e32 v60, vcc, v58, v60
	v_addc_co_u32_e32 v61, vcc, v62, v61, vcc
	v_mov_b32_e32 v62, v59
; %bb.346:
	s_or_b64 exec, exec, s[28:29]
	s_nop 0
	v_mov_b32_dpp v59, v62 row_bcast:31 row_mask:0xf bank_mask:0xf
	v_mov_b32_dpp v58, v60 row_bcast:31 row_mask:0xf bank_mask:0xf
	;; [unrolled: 1-line block ×3, first 2 shown]
	v_cmp_lt_u32_e32 vcc, 31, v63
	s_and_saveexec_b64 s[28:29], vcc
; %bb.347:
	v_cmp_eq_u32_e32 vcc, 0, v62
	v_cndmask_b32_e32 v58, 0, v58, vcc
	v_add_u32_e32 v59, v59, v62
	v_cndmask_b32_e32 v62, 0, v64, vcc
	v_add_co_u32_e32 v60, vcc, v58, v60
	v_addc_co_u32_e32 v61, vcc, v62, v61, vcc
	v_mov_b32_e32 v62, v59
; %bb.348:
	s_or_b64 exec, exec, s[28:29]
	v_lshrrev_b32_e32 v58, 6, v0
	v_or_b32_e32 v59, 63, v0
	v_cmp_eq_u32_e32 vcc, v59, v0
	v_lshlrev_b32_e32 v64, 4, v58
	s_and_saveexec_b64 s[28:29], vcc
	s_cbranch_execz .LBB1164_350
; %bb.349:
	ds_write_b32 v64, v62 offset:4128
	ds_write_b64 v64, v[60:61] offset:4136
.LBB1164_350:
	s_or_b64 exec, exec, s[28:29]
	v_cmp_gt_u32_e32 vcc, 4, v0
	s_waitcnt lgkmcnt(0)
	s_barrier
	s_and_saveexec_b64 s[28:29], vcc
	s_cbranch_execz .LBB1164_356
; %bb.351:
	v_lshlrev_b32_e32 v65, 4, v0
	ds_read_b32 v66, v65 offset:4128
	ds_read_b64 v[58:59], v65 offset:4136
	v_and_b32_e32 v67, 3, v63
	v_cmp_ne_u32_e32 vcc, 0, v67
	s_waitcnt lgkmcnt(1)
	v_mov_b32_dpp v69, v66 row_shr:1 row_mask:0xf bank_mask:0xf
	s_waitcnt lgkmcnt(0)
	v_mov_b32_dpp v68, v58 row_shr:1 row_mask:0xf bank_mask:0xf
	v_mov_b32_dpp v70, v59 row_shr:1 row_mask:0xf bank_mask:0xf
	s_and_saveexec_b64 s[34:35], vcc
; %bb.352:
	v_cmp_eq_u32_e32 vcc, 0, v66
	v_cndmask_b32_e32 v68, 0, v68, vcc
	v_add_u32_e32 v69, v69, v66
	v_cndmask_b32_e32 v66, 0, v70, vcc
	v_add_co_u32_e32 v58, vcc, v68, v58
	v_addc_co_u32_e32 v59, vcc, v66, v59, vcc
	v_mov_b32_e32 v66, v69
; %bb.353:
	s_or_b64 exec, exec, s[34:35]
	s_nop 0
	v_mov_b32_dpp v69, v66 row_shr:2 row_mask:0xf bank_mask:0xf
	v_mov_b32_dpp v68, v58 row_shr:2 row_mask:0xf bank_mask:0xf
	;; [unrolled: 1-line block ×3, first 2 shown]
	v_cmp_lt_u32_e32 vcc, 1, v67
	s_and_saveexec_b64 s[34:35], vcc
; %bb.354:
	v_cmp_eq_u32_e32 vcc, 0, v66
	v_cndmask_b32_e32 v68, 0, v68, vcc
	v_add_u32_e32 v67, v69, v66
	v_cndmask_b32_e32 v66, 0, v70, vcc
	v_add_co_u32_e32 v58, vcc, v68, v58
	v_addc_co_u32_e32 v59, vcc, v66, v59, vcc
	v_mov_b32_e32 v66, v67
; %bb.355:
	s_or_b64 exec, exec, s[34:35]
	ds_write_b32 v65, v66 offset:4128
	ds_write_b64 v65, v[58:59] offset:4136
.LBB1164_356:
	s_or_b64 exec, exec, s[28:29]
	v_cmp_gt_u32_e32 vcc, 64, v0
	v_cmp_lt_u32_e64 s[28:29], 63, v0
	v_pk_mov_b32 v[58:59], 0, 0
	v_mov_b32_e32 v70, 0
	s_waitcnt lgkmcnt(0)
	s_barrier
	s_and_saveexec_b64 s[34:35], s[28:29]
	s_cbranch_execz .LBB1164_358
; %bb.357:
	ds_read_b32 v70, v64 offset:4112
	ds_read_b64 v[58:59], v64 offset:4120
	v_cmp_eq_u32_e64 s[28:29], 0, v62
	s_waitcnt lgkmcnt(1)
	v_add_u32_e32 v64, v70, v62
	s_waitcnt lgkmcnt(0)
	v_cndmask_b32_e64 v65, 0, v58, s[28:29]
	v_cndmask_b32_e64 v62, 0, v59, s[28:29]
	v_add_co_u32_e64 v60, s[28:29], v65, v60
	v_addc_co_u32_e64 v61, s[28:29], v62, v61, s[28:29]
	v_mov_b32_e32 v62, v64
.LBB1164_358:
	s_or_b64 exec, exec, s[34:35]
	v_add_u32_e32 v64, -1, v63
	v_and_b32_e32 v65, 64, v63
	v_cmp_lt_i32_e64 s[28:29], v64, v65
	v_cndmask_b32_e64 v64, v64, v63, s[28:29]
	v_lshlrev_b32_e32 v64, 2, v64
	ds_bpermute_b32 v71, v64, v62
	ds_bpermute_b32 v76, v64, v60
	;; [unrolled: 1-line block ×3, first 2 shown]
	v_cmp_eq_u32_e64 s[28:29], 0, v63
	s_and_saveexec_b64 s[34:35], vcc
	s_cbranch_execz .LBB1164_401
; %bb.359:
	v_mov_b32_e32 v65, 0
	ds_read_b32 v78, v65 offset:4176
	ds_read_b64 v[60:61], v65 offset:4184
	s_and_saveexec_b64 s[38:39], s[28:29]
	s_cbranch_execz .LBB1164_361
; %bb.360:
	s_add_i32 s42, s33, 64
	s_mov_b32 s43, 0
	s_lshl_b64 s[44:45], s[42:43], 4
	s_add_u32 s44, s52, s44
	s_addc_u32 s45, s53, s45
	v_mov_b32_e32 v62, s42
	v_mov_b32_e32 v64, 1
	s_waitcnt lgkmcnt(1)
	global_store_dword v65, v78, s[44:45]
	s_waitcnt lgkmcnt(0)
	global_store_dwordx2 v65, v[60:61], s[44:45] offset:8
	s_waitcnt vmcnt(0)
	buffer_wbinvl1_vol
	global_store_byte v62, v64, s[56:57]
.LBB1164_361:
	s_or_b64 exec, exec, s[38:39]
	v_xad_u32 v62, v63, -1, s33
	v_add_u32_e32 v64, 64, v62
	global_load_ubyte v79, v64, s[56:57] glc
	s_waitcnt vmcnt(0)
	v_cmp_eq_u16_e32 vcc, 0, v79
	s_and_saveexec_b64 s[38:39], vcc
	s_cbranch_execz .LBB1164_365
; %bb.362:
	v_mov_b32_e32 v67, s57
	v_add_co_u32_e32 v66, vcc, s56, v64
	v_addc_co_u32_e32 v67, vcc, 0, v67, vcc
	s_mov_b64 s[42:43], 0
.LBB1164_363:                           ; =>This Inner Loop Header: Depth=1
	global_load_ubyte v79, v[66:67], off glc
	s_waitcnt vmcnt(0)
	v_cmp_ne_u16_e32 vcc, 0, v79
	s_or_b64 s[42:43], vcc, s[42:43]
	s_andn2_b64 exec, exec, s[42:43]
	s_cbranch_execnz .LBB1164_363
; %bb.364:
	s_or_b64 exec, exec, s[42:43]
.LBB1164_365:
	s_or_b64 exec, exec, s[38:39]
	v_mov_b32_e32 v66, s55
	v_mov_b32_e32 v67, s53
	v_cmp_eq_u16_e32 vcc, 1, v79
	v_cndmask_b32_e32 v66, v66, v67, vcc
	v_mov_b32_e32 v67, s54
	v_mov_b32_e32 v68, s52
	v_cndmask_b32_e32 v67, v67, v68, vcc
	v_lshlrev_b64 v[64:65], 4, v[64:65]
	v_add_co_u32_e32 v64, vcc, v67, v64
	v_addc_co_u32_e32 v65, vcc, v66, v65, vcc
	s_waitcnt lgkmcnt(0)
	buffer_wbinvl1_vol
	global_load_dword v94, v[64:65], off
	global_load_dwordx2 v[68:69], v[64:65], off offset:8
	v_cmp_eq_u16_e32 vcc, 2, v79
	v_lshlrev_b64 v[64:65], v63, -1
	v_and_b32_e32 v80, 63, v63
	v_and_b32_e32 v66, vcc_hi, v65
	v_and_b32_e32 v84, vcc_lo, v64
	v_cmp_ne_u32_e32 vcc, 63, v80
	v_addc_co_u32_e32 v67, vcc, 0, v63, vcc
	v_lshlrev_b32_e32 v81, 2, v67
	v_or_b32_e32 v66, 0x80000000, v66
	v_ffbl_b32_e32 v66, v66
	v_add_u32_e32 v66, 32, v66
	v_ffbl_b32_e32 v84, v84
	v_min_u32_e32 v66, v84, v66
	v_cmp_lt_u32_e32 vcc, v80, v66
	s_waitcnt vmcnt(1)
	ds_bpermute_b32 v82, v81, v94
	s_waitcnt vmcnt(0)
	ds_bpermute_b32 v67, v81, v68
	ds_bpermute_b32 v83, v81, v69
	s_and_saveexec_b64 s[38:39], vcc
	s_cbranch_execz .LBB1164_367
; %bb.366:
	v_cmp_eq_u32_e32 vcc, 0, v94
	s_waitcnt lgkmcnt(1)
	v_cndmask_b32_e32 v67, 0, v67, vcc
	v_add_u32_e32 v82, v82, v94
	s_waitcnt lgkmcnt(0)
	v_cndmask_b32_e32 v83, 0, v83, vcc
	v_add_co_u32_e32 v68, vcc, v67, v68
	v_addc_co_u32_e32 v69, vcc, v83, v69, vcc
	v_mov_b32_e32 v94, v82
.LBB1164_367:
	s_or_b64 exec, exec, s[38:39]
	v_cmp_gt_u32_e32 vcc, 62, v80
	s_waitcnt lgkmcnt(1)
	v_cndmask_b32_e64 v67, 0, 1, vcc
	v_lshlrev_b32_e32 v67, 1, v67
	v_add_lshl_u32 v82, v67, v63, 2
	ds_bpermute_b32 v84, v82, v94
	ds_bpermute_b32 v67, v82, v68
	ds_bpermute_b32 v85, v82, v69
	s_waitcnt lgkmcnt(3)
	v_add_u32_e32 v83, 2, v80
	v_cmp_le_u32_e32 vcc, v83, v66
	s_and_saveexec_b64 s[38:39], vcc
	s_cbranch_execz .LBB1164_369
; %bb.368:
	v_cmp_eq_u32_e32 vcc, 0, v94
	s_waitcnt lgkmcnt(1)
	v_cndmask_b32_e32 v67, 0, v67, vcc
	v_add_u32_e32 v84, v84, v94
	s_waitcnt lgkmcnt(0)
	v_cndmask_b32_e32 v85, 0, v85, vcc
	v_add_co_u32_e32 v68, vcc, v67, v68
	v_addc_co_u32_e32 v69, vcc, v85, v69, vcc
	v_mov_b32_e32 v94, v84
.LBB1164_369:
	s_or_b64 exec, exec, s[38:39]
	v_cmp_gt_u32_e32 vcc, 60, v80
	s_waitcnt lgkmcnt(1)
	v_cndmask_b32_e64 v67, 0, 1, vcc
	v_lshlrev_b32_e32 v67, 2, v67
	v_add_lshl_u32 v84, v67, v63, 2
	ds_bpermute_b32 v86, v84, v94
	ds_bpermute_b32 v67, v84, v68
	ds_bpermute_b32 v87, v84, v69
	s_waitcnt lgkmcnt(3)
	v_add_u32_e32 v85, 4, v80
	v_cmp_le_u32_e32 vcc, v85, v66
	;; [unrolled: 25-line block ×4, first 2 shown]
	s_and_saveexec_b64 s[38:39], vcc
	s_cbranch_execz .LBB1164_375
; %bb.374:
	v_cmp_eq_u32_e32 vcc, 0, v94
	s_waitcnt lgkmcnt(1)
	v_cndmask_b32_e32 v67, 0, v67, vcc
	v_add_u32_e32 v90, v90, v94
	s_waitcnt lgkmcnt(0)
	v_cndmask_b32_e32 v91, 0, v91, vcc
	v_add_co_u32_e32 v68, vcc, v67, v68
	v_addc_co_u32_e32 v69, vcc, v91, v69, vcc
	v_mov_b32_e32 v94, v90
.LBB1164_375:
	s_or_b64 exec, exec, s[38:39]
	v_cmp_gt_u32_e32 vcc, 32, v80
	s_waitcnt lgkmcnt(1)
	v_cndmask_b32_e64 v67, 0, 1, vcc
	v_lshlrev_b32_e32 v67, 5, v67
	v_add_lshl_u32 v90, v67, v63, 2
	ds_bpermute_b32 v67, v90, v94
	ds_bpermute_b32 v63, v90, v68
	s_waitcnt lgkmcnt(2)
	ds_bpermute_b32 v91, v90, v69
	v_add_u32_e32 v92, 32, v80
	v_cmp_le_u32_e32 vcc, v92, v66
	s_and_saveexec_b64 s[38:39], vcc
	s_cbranch_execz .LBB1164_377
; %bb.376:
	v_cmp_eq_u32_e32 vcc, 0, v94
	s_waitcnt lgkmcnt(1)
	v_cndmask_b32_e32 v63, 0, v63, vcc
	v_add_u32_e32 v66, v67, v94
	s_waitcnt lgkmcnt(0)
	v_cndmask_b32_e32 v67, 0, v91, vcc
	v_add_co_u32_e32 v68, vcc, v63, v68
	v_addc_co_u32_e32 v69, vcc, v67, v69, vcc
	v_mov_b32_e32 v94, v66
.LBB1164_377:
	s_or_b64 exec, exec, s[38:39]
	s_waitcnt lgkmcnt(1)
	v_mov_b32_e32 v63, 0
	v_mov_b32_e32 v93, 2
	s_branch .LBB1164_379
.LBB1164_378:                           ;   in Loop: Header=BB1164_379 Depth=1
	s_or_b64 exec, exec, s[38:39]
	v_cmp_eq_u32_e32 vcc, 0, v91
	v_cndmask_b32_e32 v68, 0, v68, vcc
	v_cndmask_b32_e32 v69, 0, v69, vcc
	v_add_co_u32_e32 v68, vcc, v68, v66
	v_subrev_u32_e32 v62, 64, v62
	v_add_u32_e32 v94, v95, v91
	v_addc_co_u32_e32 v69, vcc, v69, v67, vcc
.LBB1164_379:                           ; =>This Loop Header: Depth=1
                                        ;     Child Loop BB1164_382 Depth 2
	v_cmp_ne_u16_sdwa s[38:39], v79, v93 src0_sel:BYTE_0 src1_sel:DWORD
	v_pk_mov_b32 v[66:67], v[68:69], v[68:69] op_sel:[0,1]
	v_cndmask_b32_e64 v68, 0, 1, s[38:39]
	;;#ASMSTART
	;;#ASMEND
	v_cmp_ne_u32_e32 vcc, 0, v68
	s_cmp_lg_u64 vcc, exec
	s_waitcnt lgkmcnt(0)
	v_mov_b32_e32 v91, v94
	s_cbranch_scc1 .LBB1164_396
; %bb.380:                              ;   in Loop: Header=BB1164_379 Depth=1
	global_load_ubyte v79, v62, s[56:57] glc
	s_waitcnt vmcnt(0)
	v_cmp_eq_u16_e32 vcc, 0, v79
	s_and_saveexec_b64 s[38:39], vcc
	s_cbranch_execz .LBB1164_384
; %bb.381:                              ;   in Loop: Header=BB1164_379 Depth=1
	v_mov_b32_e32 v69, s57
	v_add_co_u32_e32 v68, vcc, s56, v62
	v_addc_co_u32_e32 v69, vcc, 0, v69, vcc
	s_mov_b64 s[42:43], 0
.LBB1164_382:                           ;   Parent Loop BB1164_379 Depth=1
                                        ; =>  This Inner Loop Header: Depth=2
	global_load_ubyte v79, v[68:69], off glc
	s_waitcnt vmcnt(0)
	v_cmp_ne_u16_e32 vcc, 0, v79
	s_or_b64 s[42:43], vcc, s[42:43]
	s_andn2_b64 exec, exec, s[42:43]
	s_cbranch_execnz .LBB1164_382
; %bb.383:                              ;   in Loop: Header=BB1164_379 Depth=1
	s_or_b64 exec, exec, s[42:43]
.LBB1164_384:                           ;   in Loop: Header=BB1164_379 Depth=1
	s_or_b64 exec, exec, s[38:39]
	v_mov_b32_e32 v68, s55
	v_mov_b32_e32 v69, s53
	v_cmp_eq_u16_e32 vcc, 1, v79
	v_cndmask_b32_e32 v94, v68, v69, vcc
	v_mov_b32_e32 v68, s54
	v_mov_b32_e32 v69, s52
	v_cndmask_b32_e32 v95, v68, v69, vcc
	v_lshlrev_b64 v[68:69], 4, v[62:63]
	v_add_co_u32_e32 v68, vcc, v95, v68
	v_addc_co_u32_e32 v69, vcc, v94, v69, vcc
	buffer_wbinvl1_vol
	global_load_dword v95, v[68:69], off
	s_nop 0
	global_load_dwordx2 v[68:69], v[68:69], off offset:8
	v_cmp_eq_u16_e32 vcc, 2, v79
	v_and_b32_e32 v94, vcc_hi, v65
	v_or_b32_e32 v94, 0x80000000, v94
	v_and_b32_e32 v117, vcc_lo, v64
	v_ffbl_b32_e32 v94, v94
	v_add_u32_e32 v94, 32, v94
	v_ffbl_b32_e32 v117, v117
	v_min_u32_e32 v94, v117, v94
	v_cmp_lt_u32_e32 vcc, v80, v94
	s_waitcnt vmcnt(1)
	ds_bpermute_b32 v99, v81, v95
	s_waitcnt vmcnt(0)
	ds_bpermute_b32 v98, v81, v68
	ds_bpermute_b32 v116, v81, v69
	s_and_saveexec_b64 s[38:39], vcc
	s_cbranch_execz .LBB1164_386
; %bb.385:                              ;   in Loop: Header=BB1164_379 Depth=1
	v_cmp_eq_u32_e32 vcc, 0, v95
	s_waitcnt lgkmcnt(1)
	v_cndmask_b32_e32 v98, 0, v98, vcc
	v_add_u32_e32 v99, v99, v95
	s_waitcnt lgkmcnt(0)
	v_cndmask_b32_e32 v95, 0, v116, vcc
	v_add_co_u32_e32 v68, vcc, v98, v68
	v_addc_co_u32_e32 v69, vcc, v95, v69, vcc
	v_mov_b32_e32 v95, v99
.LBB1164_386:                           ;   in Loop: Header=BB1164_379 Depth=1
	s_or_b64 exec, exec, s[38:39]
	s_waitcnt lgkmcnt(2)
	ds_bpermute_b32 v99, v82, v95
	s_waitcnt lgkmcnt(2)
	ds_bpermute_b32 v98, v82, v68
	s_waitcnt lgkmcnt(2)
	ds_bpermute_b32 v116, v82, v69
	v_cmp_le_u32_e32 vcc, v83, v94
	s_and_saveexec_b64 s[38:39], vcc
	s_cbranch_execz .LBB1164_388
; %bb.387:                              ;   in Loop: Header=BB1164_379 Depth=1
	v_cmp_eq_u32_e32 vcc, 0, v95
	s_waitcnt lgkmcnt(1)
	v_cndmask_b32_e32 v98, 0, v98, vcc
	v_add_u32_e32 v99, v99, v95
	s_waitcnt lgkmcnt(0)
	v_cndmask_b32_e32 v95, 0, v116, vcc
	v_add_co_u32_e32 v68, vcc, v98, v68
	v_addc_co_u32_e32 v69, vcc, v95, v69, vcc
	v_mov_b32_e32 v95, v99
.LBB1164_388:                           ;   in Loop: Header=BB1164_379 Depth=1
	s_or_b64 exec, exec, s[38:39]
	s_waitcnt lgkmcnt(2)
	ds_bpermute_b32 v99, v84, v95
	s_waitcnt lgkmcnt(2)
	ds_bpermute_b32 v98, v84, v68
	s_waitcnt lgkmcnt(2)
	ds_bpermute_b32 v116, v84, v69
	v_cmp_le_u32_e32 vcc, v85, v94
	;; [unrolled: 21-line block ×5, first 2 shown]
	s_and_saveexec_b64 s[38:39], vcc
	s_cbranch_execz .LBB1164_378
; %bb.395:                              ;   in Loop: Header=BB1164_379 Depth=1
	v_cmp_eq_u32_e32 vcc, 0, v95
	s_waitcnt lgkmcnt(1)
	v_cndmask_b32_e32 v98, 0, v98, vcc
	v_add_u32_e32 v94, v99, v95
	s_waitcnt lgkmcnt(0)
	v_cndmask_b32_e32 v95, 0, v116, vcc
	v_add_co_u32_e32 v68, vcc, v98, v68
	v_addc_co_u32_e32 v69, vcc, v95, v69, vcc
	v_mov_b32_e32 v95, v94
	s_branch .LBB1164_378
.LBB1164_396:                           ;   in Loop: Header=BB1164_379 Depth=1
                                        ; implicit-def: $vgpr68_vgpr69
                                        ; implicit-def: $vgpr94
                                        ; implicit-def: $vgpr79
	s_cbranch_execz .LBB1164_379
; %bb.397:
	s_and_saveexec_b64 s[38:39], s[28:29]
	s_cbranch_execz .LBB1164_399
; %bb.398:
	s_mov_b32 s43, 0
	v_cmp_eq_u32_e32 vcc, 0, v78
	s_add_i32 s42, s33, 64
	v_cndmask_b32_e32 v62, 0, v66, vcc
	s_lshl_b64 s[44:45], s[42:43], 4
	v_cndmask_b32_e32 v63, 0, v67, vcc
	v_add_co_u32_e32 v62, vcc, v62, v60
	s_add_u32 s44, s54, s44
	v_add_u32_e32 v64, v91, v78
	v_addc_co_u32_e32 v63, vcc, v63, v61, vcc
	s_addc_u32 s45, s55, s45
	v_mov_b32_e32 v65, 0
	global_store_dword v65, v64, s[44:45]
	global_store_dwordx2 v65, v[62:63], s[44:45] offset:8
	v_mov_b32_e32 v62, s42
	v_mov_b32_e32 v63, 2
	s_waitcnt vmcnt(0) lgkmcnt(0)
	buffer_wbinvl1_vol
	global_store_byte v62, v63, s[56:57]
	ds_write_b32 v65, v78 offset:4096
	ds_write_b64 v65, v[60:61] offset:4104
	ds_write_b32 v65, v91 offset:4112
	ds_write_b64 v65, v[66:67] offset:4120
.LBB1164_399:
	s_or_b64 exec, exec, s[38:39]
	s_and_b64 exec, exec, s[0:1]
	s_cbranch_execz .LBB1164_401
; %bb.400:
	v_mov_b32_e32 v60, 0
	ds_write_b32 v60, v91 offset:4176
	ds_write_b64 v60, v[66:67] offset:4184
.LBB1164_401:
	s_or_b64 exec, exec, s[34:35]
	v_mov_b32_e32 v63, 0
	s_waitcnt lgkmcnt(0)
	s_barrier
	ds_read_b32 v62, v63 offset:4176
	ds_read_b64 v[60:61], v63 offset:4184
	v_cndmask_b32_e64 v64, v71, v70, s[28:29]
	v_cmp_eq_u32_e32 vcc, 0, v64
	v_cndmask_b32_e64 v58, v76, v58, s[28:29]
	v_cndmask_b32_e64 v59, v77, v59, s[28:29]
	s_waitcnt lgkmcnt(0)
	v_cndmask_b32_e32 v66, 0, v60, vcc
	v_cndmask_b32_e32 v65, 0, v61, vcc
	v_add_co_u32_e32 v58, vcc, v66, v58
	v_addc_co_u32_e32 v65, vcc, v65, v59, vcc
	v_cndmask_b32_e64 v92, v58, v60, s[0:1]
	v_cmp_eq_u32_e32 vcc, 0, v113
	v_cndmask_b32_e64 v93, v65, v61, s[0:1]
	v_cndmask_b32_e32 v60, 0, v92, vcc
	v_cndmask_b32_e64 v59, v64, 0, s[0:1]
	v_cndmask_b32_e32 v58, 0, v93, vcc
	v_add_co_u32_e32 v64, vcc, v60, v54
	v_addc_co_u32_e32 v65, vcc, v58, v55, vcc
	v_cndmask_b32_e64 v60, 0, v64, s[26:27]
	v_cndmask_b32_e64 v58, 0, v65, s[26:27]
	v_add_co_u32_e32 v66, vcc, v60, v56
	v_addc_co_u32_e32 v67, vcc, v58, v57, vcc
	v_cndmask_b32_e64 v60, 0, v66, s[24:25]
	v_cndmask_b32_e64 v58, 0, v67, s[24:25]
	;; [unrolled: 4-line block ×11, first 2 shown]
	v_add_co_u32_e32 v90, vcc, v60, v36
	v_add_u32_e32 v59, v62, v59
	v_addc_co_u32_e32 v91, vcc, v58, v37, vcc
	s_barrier
	ds_read_b32 v58, v63 offset:4096
	ds_read_b64 v[60:61], v63 offset:4104
	ds_read_b32 v62, v63 offset:4112
	ds_read_b64 v[116:117], v63 offset:4120
	v_cndmask_b32_e64 v94, 0, v90, s[4:5]
	v_cndmask_b32_e64 v95, 0, v91, s[4:5]
	v_add_co_u32_e32 v94, vcc, v94, v30
	v_addc_co_u32_e32 v95, vcc, v95, v31, vcc
	s_waitcnt lgkmcnt(3)
	v_cmp_eq_u32_e32 vcc, 0, v58
	s_waitcnt lgkmcnt(0)
	v_cndmask_b32_e32 v116, 0, v116, vcc
	v_cndmask_b32_e32 v63, 0, v117, vcc
	v_add_co_u32_e32 v60, vcc, v116, v60
	v_cndmask_b32_e64 v99, 0, v95, s[2:3]
	v_cndmask_b32_e64 v98, 0, v94, s[2:3]
	v_addc_co_u32_e32 v61, vcc, v63, v61, vcc
	s_branch .LBB1164_430
.LBB1164_402:
                                        ; implicit-def: $vgpr58
                                        ; implicit-def: $vgpr60_vgpr61
                                        ; implicit-def: $vgpr62
                                        ; implicit-def: $vgpr92_vgpr93
                                        ; implicit-def: $vgpr64_vgpr65
                                        ; implicit-def: $vgpr66_vgpr67
                                        ; implicit-def: $vgpr68_vgpr69
                                        ; implicit-def: $vgpr70_vgpr71
                                        ; implicit-def: $vgpr76_vgpr77
                                        ; implicit-def: $vgpr78_vgpr79
                                        ; implicit-def: $vgpr80_vgpr81
                                        ; implicit-def: $vgpr82_vgpr83
                                        ; implicit-def: $vgpr84_vgpr85
                                        ; implicit-def: $vgpr86_vgpr87
                                        ; implicit-def: $vgpr88_vgpr89
                                        ; implicit-def: $vgpr90_vgpr91
                                        ; implicit-def: $vgpr94_vgpr95
                                        ; implicit-def: $vgpr98_vgpr99
                                        ; implicit-def: $vgpr59
	s_cbranch_execz .LBB1164_430
; %bb.403:
	s_and_b64 s[2:3], s[30:31], exec
	s_cselect_b32 s3, 0, s69
	s_cselect_b32 s2, 0, s68
	s_cmp_eq_u64 s[2:3], 0
	s_cbranch_scc1 .LBB1164_405
; %bb.404:
	v_mov_b32_e32 v58, 0
	global_load_dwordx2 v[96:97], v58, s[2:3]
.LBB1164_405:
	v_cmp_eq_u32_e64 s[24:25], 0, v112
	v_cndmask_b32_e64 v59, 0, v54, s[24:25]
	v_cndmask_b32_e64 v58, 0, v55, s[24:25]
	v_add_co_u32_e32 v59, vcc, v59, v56
	v_cmp_eq_u32_e64 s[22:23], 0, v111
	v_addc_co_u32_e32 v58, vcc, v58, v57, vcc
	v_cndmask_b32_e64 v59, 0, v59, s[22:23]
	v_cndmask_b32_e64 v58, 0, v58, s[22:23]
	v_add_co_u32_e32 v59, vcc, v59, v50
	v_cmp_eq_u32_e64 s[20:21], 0, v110
	v_addc_co_u32_e32 v58, vcc, v58, v51, vcc
	;; [unrolled: 5-line block ×11, first 2 shown]
	v_cndmask_b32_e64 v59, 0, v59, s[4:5]
	v_cndmask_b32_e64 v58, 0, v58, s[4:5]
	v_add_co_u32_e32 v59, vcc, v59, v30
	v_addc_co_u32_e32 v58, vcc, v58, v31, vcc
	v_cmp_eq_u32_e32 vcc, 0, v100
	v_add3_u32 v60, v115, v108, v107
	v_cndmask_b32_e32 v59, 0, v59, vcc
	v_add3_u32 v60, v60, v106, v105
	v_cndmask_b32_e32 v58, 0, v58, vcc
	v_add_co_u32_e64 v59, s[26:27], v59, v32
	v_add3_u32 v60, v60, v104, v103
	v_addc_co_u32_e64 v58, s[26:27], v58, v33, s[26:27]
	v_add3_u32 v60, v60, v102, v101
	v_cmp_eq_u32_e64 s[26:27], 0, v1
	v_add3_u32 v63, v60, v100, v1
	v_cndmask_b32_e64 v60, 0, v58, s[26:27]
	v_cndmask_b32_e64 v58, 0, v59, s[26:27]
	v_add_co_u32_e64 v58, s[26:27], v58, v72
	v_mbcnt_hi_u32_b32 v62, -1, v114
	v_addc_co_u32_e64 v59, s[26:27], v60, v73, s[26:27]
	v_and_b32_e32 v60, 15, v62
	v_mov_b32_dpp v64, v63 row_shr:1 row_mask:0xf bank_mask:0xf
	v_mov_b32_dpp v61, v58 row_shr:1 row_mask:0xf bank_mask:0xf
	;; [unrolled: 1-line block ×3, first 2 shown]
	v_cmp_ne_u32_e64 s[26:27], 0, v60
	s_and_saveexec_b64 s[28:29], s[26:27]
; %bb.406:
	v_cmp_eq_u32_e64 s[26:27], 0, v63
	v_cndmask_b32_e64 v61, 0, v61, s[26:27]
	v_add_u32_e32 v64, v64, v63
	v_cndmask_b32_e64 v63, 0, v65, s[26:27]
	v_add_co_u32_e64 v58, s[26:27], v61, v58
	v_addc_co_u32_e64 v59, s[26:27], v63, v59, s[26:27]
	v_mov_b32_e32 v63, v64
; %bb.407:
	s_or_b64 exec, exec, s[28:29]
	s_nop 0
	v_mov_b32_dpp v64, v63 row_shr:2 row_mask:0xf bank_mask:0xf
	v_mov_b32_dpp v61, v58 row_shr:2 row_mask:0xf bank_mask:0xf
	v_mov_b32_dpp v65, v59 row_shr:2 row_mask:0xf bank_mask:0xf
	v_cmp_lt_u32_e64 s[26:27], 1, v60
	s_and_saveexec_b64 s[28:29], s[26:27]
; %bb.408:
	v_cmp_eq_u32_e64 s[26:27], 0, v63
	v_cndmask_b32_e64 v61, 0, v61, s[26:27]
	v_add_u32_e32 v64, v64, v63
	v_cndmask_b32_e64 v63, 0, v65, s[26:27]
	v_add_co_u32_e64 v58, s[26:27], v61, v58
	v_addc_co_u32_e64 v59, s[26:27], v63, v59, s[26:27]
	v_mov_b32_e32 v63, v64
; %bb.409:
	s_or_b64 exec, exec, s[28:29]
	s_nop 0
	v_mov_b32_dpp v64, v63 row_shr:4 row_mask:0xf bank_mask:0xf
	v_mov_b32_dpp v61, v58 row_shr:4 row_mask:0xf bank_mask:0xf
	v_mov_b32_dpp v65, v59 row_shr:4 row_mask:0xf bank_mask:0xf
	v_cmp_lt_u32_e64 s[26:27], 3, v60
	;; [unrolled: 16-line block ×3, first 2 shown]
	s_and_saveexec_b64 s[28:29], s[26:27]
; %bb.412:
	v_cmp_eq_u32_e64 s[26:27], 0, v63
	v_cndmask_b32_e64 v61, 0, v61, s[26:27]
	v_add_u32_e32 v60, v64, v63
	v_cndmask_b32_e64 v63, 0, v65, s[26:27]
	v_add_co_u32_e64 v58, s[26:27], v61, v58
	v_addc_co_u32_e64 v59, s[26:27], v63, v59, s[26:27]
	v_mov_b32_e32 v63, v60
; %bb.413:
	s_or_b64 exec, exec, s[28:29]
	v_and_b32_e32 v65, 16, v62
	v_mov_b32_dpp v61, v63 row_bcast:15 row_mask:0xf bank_mask:0xf
	v_mov_b32_dpp v60, v58 row_bcast:15 row_mask:0xf bank_mask:0xf
	v_mov_b32_dpp v64, v59 row_bcast:15 row_mask:0xf bank_mask:0xf
	v_cmp_ne_u32_e64 s[26:27], 0, v65
	s_and_saveexec_b64 s[28:29], s[26:27]
; %bb.414:
	v_cmp_eq_u32_e64 s[26:27], 0, v63
	v_cndmask_b32_e64 v60, 0, v60, s[26:27]
	v_add_u32_e32 v61, v61, v63
	v_cndmask_b32_e64 v63, 0, v64, s[26:27]
	v_add_co_u32_e64 v58, s[26:27], v60, v58
	v_addc_co_u32_e64 v59, s[26:27], v63, v59, s[26:27]
	v_mov_b32_e32 v63, v61
; %bb.415:
	s_or_b64 exec, exec, s[28:29]
	s_nop 0
	v_mov_b32_dpp v61, v63 row_bcast:31 row_mask:0xf bank_mask:0xf
	v_mov_b32_dpp v60, v58 row_bcast:31 row_mask:0xf bank_mask:0xf
	;; [unrolled: 1-line block ×3, first 2 shown]
	v_cmp_lt_u32_e64 s[26:27], 31, v62
	s_and_saveexec_b64 s[28:29], s[26:27]
; %bb.416:
	v_cmp_eq_u32_e64 s[26:27], 0, v63
	v_cndmask_b32_e64 v60, 0, v60, s[26:27]
	v_add_u32_e32 v61, v61, v63
	v_cndmask_b32_e64 v63, 0, v64, s[26:27]
	v_add_co_u32_e64 v58, s[26:27], v60, v58
	v_addc_co_u32_e64 v59, s[26:27], v63, v59, s[26:27]
	v_mov_b32_e32 v63, v61
; %bb.417:
	s_or_b64 exec, exec, s[28:29]
	v_lshrrev_b32_e32 v60, 6, v0
	v_or_b32_e32 v61, 63, v0
	v_cmp_eq_u32_e64 s[26:27], v61, v0
	v_lshlrev_b32_e32 v64, 4, v60
	s_and_saveexec_b64 s[28:29], s[26:27]
	s_cbranch_execz .LBB1164_419
; %bb.418:
	ds_write_b32 v64, v63 offset:4128
	ds_write_b64 v64, v[58:59] offset:4136
.LBB1164_419:
	s_or_b64 exec, exec, s[28:29]
	v_cmp_gt_u32_e64 s[26:27], 4, v0
	s_waitcnt lgkmcnt(0)
	s_barrier
	s_and_saveexec_b64 s[28:29], s[26:27]
	s_cbranch_execz .LBB1164_425
; %bb.420:
	v_lshlrev_b32_e32 v65, 4, v0
	ds_read_b32 v66, v65 offset:4128
	ds_read_b64 v[60:61], v65 offset:4136
	v_and_b32_e32 v67, 3, v62
	v_cmp_ne_u32_e64 s[26:27], 0, v67
	s_waitcnt lgkmcnt(1)
	v_mov_b32_dpp v69, v66 row_shr:1 row_mask:0xf bank_mask:0xf
	s_waitcnt lgkmcnt(0)
	v_mov_b32_dpp v68, v60 row_shr:1 row_mask:0xf bank_mask:0xf
	v_mov_b32_dpp v70, v61 row_shr:1 row_mask:0xf bank_mask:0xf
	s_and_saveexec_b64 s[34:35], s[26:27]
; %bb.421:
	v_cmp_eq_u32_e64 s[26:27], 0, v66
	v_cndmask_b32_e64 v68, 0, v68, s[26:27]
	v_add_u32_e32 v69, v69, v66
	v_cndmask_b32_e64 v66, 0, v70, s[26:27]
	v_add_co_u32_e64 v60, s[26:27], v68, v60
	v_addc_co_u32_e64 v61, s[26:27], v66, v61, s[26:27]
	v_mov_b32_e32 v66, v69
; %bb.422:
	s_or_b64 exec, exec, s[34:35]
	s_nop 0
	v_mov_b32_dpp v69, v66 row_shr:2 row_mask:0xf bank_mask:0xf
	v_mov_b32_dpp v68, v60 row_shr:2 row_mask:0xf bank_mask:0xf
	;; [unrolled: 1-line block ×3, first 2 shown]
	v_cmp_lt_u32_e64 s[26:27], 1, v67
	s_and_saveexec_b64 s[34:35], s[26:27]
; %bb.423:
	v_cmp_eq_u32_e64 s[26:27], 0, v66
	v_cndmask_b32_e64 v68, 0, v68, s[26:27]
	v_add_u32_e32 v67, v69, v66
	v_cndmask_b32_e64 v66, 0, v70, s[26:27]
	v_add_co_u32_e64 v60, s[26:27], v68, v60
	v_addc_co_u32_e64 v61, s[26:27], v66, v61, s[26:27]
	v_mov_b32_e32 v66, v67
; %bb.424:
	s_or_b64 exec, exec, s[34:35]
	ds_write_b32 v65, v66 offset:4128
	ds_write_b64 v65, v[60:61] offset:4136
.LBB1164_425:
	s_or_b64 exec, exec, s[28:29]
	v_cmp_lt_u32_e64 s[26:27], 63, v0
	v_mov_b32_e32 v72, 0
	v_mov_b32_e32 v65, 0
	s_waitcnt vmcnt(0)
	v_pk_mov_b32 v[60:61], v[96:97], v[96:97] op_sel:[0,1]
	s_waitcnt lgkmcnt(0)
	s_barrier
	s_and_saveexec_b64 s[28:29], s[26:27]
	s_cbranch_execz .LBB1164_427
; %bb.426:
	ds_read_b32 v65, v64 offset:4112
	ds_read_b64 v[60:61], v64 offset:4120
	s_waitcnt lgkmcnt(1)
	v_cmp_eq_u32_e64 s[26:27], 0, v65
	v_cndmask_b32_e64 v66, 0, v96, s[26:27]
	v_cndmask_b32_e64 v64, 0, v97, s[26:27]
	s_waitcnt lgkmcnt(0)
	v_add_co_u32_e64 v60, s[26:27], v66, v60
	v_addc_co_u32_e64 v61, s[26:27], v64, v61, s[26:27]
.LBB1164_427:
	s_or_b64 exec, exec, s[28:29]
	v_cmp_eq_u32_e64 s[26:27], 0, v63
	v_cndmask_b32_e64 v66, 0, v60, s[26:27]
	v_add_u32_e32 v64, v65, v63
	v_cndmask_b32_e64 v63, 0, v61, s[26:27]
	v_add_co_u32_e64 v58, s[26:27], v66, v58
	v_addc_co_u32_e64 v59, s[26:27], v63, v59, s[26:27]
	v_add_u32_e32 v63, -1, v62
	v_and_b32_e32 v66, 64, v62
	v_cmp_lt_i32_e64 s[26:27], v63, v66
	v_cndmask_b32_e64 v63, v63, v62, s[26:27]
	v_lshlrev_b32_e32 v63, 2, v63
	ds_bpermute_b32 v58, v63, v58
	ds_bpermute_b32 v64, v63, v64
	;; [unrolled: 1-line block ×3, first 2 shown]
	v_cmp_eq_u32_e64 s[26:27], 0, v62
	s_waitcnt lgkmcnt(2)
	v_cndmask_b32_e64 v92, v58, v60, s[26:27]
	s_waitcnt lgkmcnt(1)
	v_cndmask_b32_e64 v59, v64, v65, s[26:27]
	;; [unrolled: 2-line block ×3, first 2 shown]
	v_cndmask_b32_e64 v58, v92, v96, s[0:1]
	v_cmp_eq_u32_e64 s[26:27], 0, v113
	v_cndmask_b32_e64 v60, v93, v97, s[0:1]
	v_cndmask_b32_e64 v58, 0, v58, s[26:27]
	;; [unrolled: 1-line block ×3, first 2 shown]
	v_add_co_u32_e64 v64, s[26:27], v58, v54
	v_addc_co_u32_e64 v65, s[26:27], v60, v55, s[26:27]
	v_cndmask_b32_e64 v55, 0, v64, s[24:25]
	v_cndmask_b32_e64 v54, 0, v65, s[24:25]
	v_add_co_u32_e64 v66, s[24:25], v55, v56
	v_addc_co_u32_e64 v67, s[24:25], v54, v57, s[24:25]
	v_cndmask_b32_e64 v55, 0, v66, s[22:23]
	v_cndmask_b32_e64 v54, 0, v67, s[22:23]
	;; [unrolled: 4-line block ×11, first 2 shown]
	v_add_co_u32_e64 v90, s[2:3], v35, v36
	v_addc_co_u32_e64 v91, s[2:3], v34, v37, s[2:3]
	v_cndmask_b32_e64 v35, 0, v90, s[4:5]
	ds_read_b32 v58, v72 offset:4176
	v_cndmask_b32_e64 v34, 0, v91, s[4:5]
	v_add_co_u32_e64 v94, s[2:3], v35, v30
	v_addc_co_u32_e64 v95, s[2:3], v34, v31, s[2:3]
	ds_read_b64 v[30:31], v72 offset:4184
	v_cndmask_b32_e32 v99, 0, v95, vcc
	v_cndmask_b32_e32 v98, 0, v94, vcc
	s_waitcnt lgkmcnt(1)
	v_cmp_eq_u32_e32 vcc, 0, v58
	v_cndmask_b32_e32 v35, 0, v96, vcc
	v_cndmask_b32_e32 v34, 0, v97, vcc
	s_waitcnt lgkmcnt(0)
	v_add_co_u32_e32 v60, vcc, v35, v30
	v_addc_co_u32_e32 v61, vcc, v34, v31, vcc
	s_and_saveexec_b64 s[2:3], s[0:1]
	s_cbranch_execz .LBB1164_429
; %bb.428:
	v_mov_b32_e32 v59, 0
	v_mov_b32_e32 v30, 2
	v_pk_mov_b32 v[92:93], v[96:97], v[96:97] op_sel:[0,1]
	global_store_dword v59, v58, s[54:55] offset:1024
	global_store_dwordx2 v59, v[60:61], s[54:55] offset:1032
	s_waitcnt vmcnt(0)
	buffer_wbinvl1_vol
	global_store_byte v59, v30, s[56:57] offset:64
.LBB1164_429:
	s_or_b64 exec, exec, s[2:3]
	v_mov_b32_e32 v62, 0
.LBB1164_430:
	s_and_b64 s[2:3], s[30:31], exec
	s_cselect_b32 s3, 0, s67
	s_cselect_b32 s2, 0, s66
	s_cmp_eq_u64 s[2:3], 0
	v_pk_mov_b32 v[30:31], 0, 0
	s_barrier
	s_cbranch_scc1 .LBB1164_432
; %bb.431:
	v_mov_b32_e32 v30, 0
	global_load_dwordx2 v[30:31], v30, s[2:3]
.LBB1164_432:
	s_waitcnt vmcnt(0)
	v_lshlrev_b64 v[34:35], 3, v[30:31]
	v_mov_b32_e32 v36, s47
	v_add_co_u32_e32 v52, vcc, s46, v34
	v_mov_b32_e32 v63, 0
	v_addc_co_u32_e32 v53, vcc, v36, v35, vcc
	v_lshlrev_b64 v[36:37], 3, v[62:63]
	v_add_co_u32_e32 v52, vcc, v52, v36
	v_addc_co_u32_e32 v53, vcc, v53, v37, vcc
	v_cmp_eq_u32_e32 vcc, 0, v113
	v_cndmask_b32_e64 v54, 1, 2, vcc
	v_cmp_eq_u32_e32 vcc, 0, v112
	v_cndmask_b32_e64 v55, 1, 2, vcc
	v_cmp_eq_u32_e32 vcc, 0, v111
	v_and_b32_e32 v54, v55, v54
	v_cndmask_b32_e64 v55, 1, 2, vcc
	v_cmp_eq_u32_e32 vcc, 0, v110
	v_add_u32_e32 v51, v59, v113
	v_and_b32_e32 v54, v54, v55
	v_cndmask_b32_e64 v55, 1, 2, vcc
	v_cmp_eq_u32_e32 vcc, 0, v109
	v_add_u32_e32 v50, v51, v112
	;; [unrolled: 4-line block ×12, first 2 shown]
	v_and_b32_e32 v54, v54, v55
	v_cndmask_b32_e64 v55, 1, 2, vcc
	s_movk_i32 s33, 0x100
	v_add_u32_e32 v39, v40, v101
	v_and_b32_e32 v54, v54, v55
	v_cmp_gt_u32_e32 vcc, s33, v58
	v_add_u32_e32 v38, v39, v100
	v_cmp_ne_u32_e64 s[30:31], 0, v113
	v_cmp_ne_u32_e64 s[28:29], 0, v112
	;; [unrolled: 1-line block ×15, first 2 shown]
	s_mov_b64 s[38:39], -1
	v_cmp_gt_i16_e64 s[34:35], 2, v54
	s_cbranch_vccz .LBB1164_439
; %bb.433:
	s_and_saveexec_b64 s[38:39], s[34:35]
	s_cbranch_execz .LBB1164_438
; %bb.434:
	v_cmp_ne_u16_e32 vcc, 1, v54
	s_mov_b64 s[42:43], 0
	s_and_saveexec_b64 s[34:35], vcc
	s_xor_b64 s[34:35], exec, s[34:35]
	s_cbranch_execnz .LBB1164_471
; %bb.435:
	s_andn2_saveexec_b64 s[34:35], s[34:35]
	s_cbranch_execnz .LBB1164_487
.LBB1164_436:
	s_or_b64 exec, exec, s[34:35]
	s_and_b64 exec, exec, s[42:43]
	s_cbranch_execz .LBB1164_438
.LBB1164_437:
	v_sub_u32_e32 v56, v38, v62
	v_mov_b32_e32 v57, 0
	v_lshlrev_b64 v[56:57], 3, v[56:57]
	v_add_co_u32_e32 v56, vcc, v52, v56
	v_addc_co_u32_e32 v57, vcc, v53, v57, vcc
	global_store_dwordx2 v[56:57], v[74:75], off
.LBB1164_438:
	s_or_b64 exec, exec, s[38:39]
	s_mov_b64 s[38:39], 0
.LBB1164_439:
	s_and_b64 vcc, exec, s[38:39]
	s_cbranch_vccz .LBB1164_449
; %bb.440:
	v_cmp_gt_i16_e32 vcc, 2, v54
	s_and_saveexec_b64 s[34:35], vcc
	s_cbranch_execz .LBB1164_445
; %bb.441:
	v_cmp_ne_u16_e32 vcc, 1, v54
	s_mov_b64 s[42:43], 0
	s_and_saveexec_b64 s[38:39], vcc
	s_xor_b64 s[38:39], exec, s[38:39]
	s_cbranch_execnz .LBB1164_488
; %bb.442:
	s_andn2_saveexec_b64 s[2:3], s[38:39]
	s_cbranch_execnz .LBB1164_504
.LBB1164_443:
	s_or_b64 exec, exec, s[2:3]
	s_and_b64 exec, exec, s[42:43]
	s_cbranch_execz .LBB1164_445
.LBB1164_444:
	v_sub_u32_e32 v2, v38, v62
	v_lshlrev_b32_e32 v2, 3, v2
	ds_write_b64 v2, v[74:75]
.LBB1164_445:
	s_or_b64 exec, exec, s[34:35]
	v_cmp_lt_u32_e32 vcc, v0, v58
	s_waitcnt lgkmcnt(0)
	s_barrier
	s_and_saveexec_b64 s[2:3], vcc
	s_cbranch_execz .LBB1164_448
; %bb.446:
	v_lshlrev_b32_e32 v4, 3, v0
	s_mov_b64 s[4:5], 0
	v_mov_b32_e32 v3, 0
	v_mov_b32_e32 v2, v0
.LBB1164_447:                           ; =>This Inner Loop Header: Depth=1
	v_lshlrev_b64 v[6:7], 3, v[2:3]
	ds_read_b64 v[8:9], v4
	v_add_co_u32_e32 v6, vcc, v52, v6
	v_add_u32_e32 v2, 0x100, v2
	v_addc_co_u32_e32 v7, vcc, v53, v7, vcc
	v_cmp_ge_u32_e32 vcc, v2, v58
	v_add_u32_e32 v4, 0x800, v4
	s_or_b64 s[4:5], vcc, s[4:5]
	s_waitcnt lgkmcnt(0)
	global_store_dwordx2 v[6:7], v[8:9], off
	s_andn2_b64 exec, exec, s[4:5]
	s_cbranch_execnz .LBB1164_447
.LBB1164_448:
	s_or_b64 exec, exec, s[2:3]
.LBB1164_449:
	s_cmpk_lg_i32 s80, 0xf00
	s_cselect_b64 s[2:3], -1, 0
	v_cndmask_b32_e64 v8, 0, 1, s[36:37]
	s_and_b64 s[2:3], s[2:3], s[40:41]
	v_sub_u32_e32 v4, v58, v8
	v_cndmask_b32_e64 v5, 0, 1, s[2:3]
	s_and_b64 s[0:1], s[0:1], s[36:37]
	v_add_co_u32_e32 v2, vcc, v98, v32
	v_add_u32_e32 v4, v4, v5
	v_cndmask_b32_e64 v5, v113, 0, s[0:1]
	s_mul_hi_u32 s0, s80, 0x88888889
	v_addc_co_u32_e32 v3, vcc, v99, v33, vcc
	s_lshr_b32 s0, s0, 3
	v_mad_i32_i24 v6, v0, -15, s80
	v_cmp_eq_u32_e32 vcc, s0, v0
	v_cmp_ne_u32_e64 s[0:1], 0, v6
	v_cndmask_b32_e64 v7, 1, v5, s[0:1]
	v_cmp_ne_u32_e64 s[0:1], 1, v6
	v_cndmask_b32_e64 v9, 1, v112, s[0:1]
	;; [unrolled: 2-line block ×15, first 2 shown]
	s_and_b64 vcc, vcc, s[40:41]
	v_cndmask_b32_e32 v22, v1, v6, vcc
	v_cndmask_b32_e32 v21, v100, v21, vcc
	;; [unrolled: 1-line block ×15, first 2 shown]
	v_mov_b32_e32 v1, s49
	v_add_co_u32_e32 v5, vcc, s48, v34
	v_addc_co_u32_e32 v6, vcc, v1, v35, vcc
	v_add_co_u32_e32 v1, vcc, v5, v36
	v_addc_co_u32_e32 v5, vcc, v6, v37, vcc
	v_lshlrev_b32_e32 v6, 3, v8
	v_add_co_u32_e32 v6, vcc, v6, v1
	v_addc_co_u32_e32 v7, vcc, 0, v5, vcc
	v_add_co_u32_e32 v6, vcc, -8, v6
	v_addc_co_u32_e32 v7, vcc, -1, v7, vcc
	v_cmp_eq_u32_e32 vcc, 0, v23
	v_cmp_ne_u32_e64 s[28:29], 0, v23
	v_cndmask_b32_e64 v23, 1, 2, vcc
	v_cmp_eq_u32_e32 vcc, 0, v9
	v_cmp_ne_u32_e64 s[26:27], 0, v9
	v_cndmask_b32_e64 v9, 1, 2, vcc
	v_cmp_eq_u32_e32 vcc, 0, v10
	v_and_b32_e32 v9, v9, v23
	v_cmp_ne_u32_e64 s[24:25], 0, v10
	v_cndmask_b32_e64 v10, 1, 2, vcc
	v_cmp_eq_u32_e32 vcc, 0, v11
	v_and_b32_e32 v9, v9, v10
	v_cndmask_b32_e64 v10, 1, 2, vcc
	v_cmp_eq_u32_e32 vcc, 0, v12
	v_and_b32_e32 v9, v9, v10
	;; [unrolled: 3-line block ×12, first 2 shown]
	v_cndmask_b32_e64 v10, 1, 2, vcc
	s_movk_i32 s30, 0x100
	v_and_b32_e32 v9, v9, v10
	v_cmp_gt_u32_e32 vcc, s30, v4
	v_add_u32_e32 v8, v62, v8
	v_cmp_ne_u32_e64 s[22:23], 0, v11
	v_cmp_ne_u32_e64 s[20:21], 0, v12
	;; [unrolled: 1-line block ×12, first 2 shown]
	s_mov_b64 s[34:35], -1
	v_cmp_gt_i16_e64 s[30:31], 2, v9
	s_barrier
	s_cbranch_vccz .LBB1164_456
; %bb.450:
	s_and_saveexec_b64 s[34:35], s[30:31]
	s_cbranch_execz .LBB1164_455
; %bb.451:
	v_cmp_ne_u16_e32 vcc, 1, v9
	s_mov_b64 s[36:37], 0
	s_and_saveexec_b64 s[30:31], vcc
	s_xor_b64 s[30:31], exec, s[30:31]
	s_cbranch_execnz .LBB1164_505
; %bb.452:
	s_andn2_saveexec_b64 s[30:31], s[30:31]
	s_cbranch_execnz .LBB1164_521
.LBB1164_453:
	s_or_b64 exec, exec, s[30:31]
	s_and_b64 exec, exec, s[36:37]
	s_cbranch_execz .LBB1164_455
.LBB1164_454:
	v_sub_u32_e32 v10, v38, v8
	v_mov_b32_e32 v11, 0
	v_lshlrev_b64 v[10:11], 3, v[10:11]
	v_add_co_u32_e32 v10, vcc, v6, v10
	v_addc_co_u32_e32 v11, vcc, v7, v11, vcc
	global_store_dwordx2 v[10:11], v[2:3], off
.LBB1164_455:
	s_or_b64 exec, exec, s[34:35]
	s_mov_b64 s[34:35], 0
.LBB1164_456:
	s_and_b64 vcc, exec, s[34:35]
	s_cbranch_vccz .LBB1164_466
; %bb.457:
	v_cmp_gt_i16_e32 vcc, 2, v9
	s_and_saveexec_b64 s[30:31], vcc
	s_cbranch_execz .LBB1164_462
; %bb.458:
	v_cmp_ne_u16_e32 vcc, 1, v9
	s_mov_b64 s[36:37], 0
	s_and_saveexec_b64 s[34:35], vcc
	s_xor_b64 s[34:35], exec, s[34:35]
	s_cbranch_execnz .LBB1164_522
; %bb.459:
	s_andn2_saveexec_b64 s[0:1], s[34:35]
	s_cbranch_execnz .LBB1164_538
.LBB1164_460:
	s_or_b64 exec, exec, s[0:1]
	s_and_b64 exec, exec, s[36:37]
	s_cbranch_execz .LBB1164_462
.LBB1164_461:
	v_sub_u32_e32 v8, v38, v8
	v_lshlrev_b32_e32 v8, 3, v8
	ds_write_b64 v8, v[2:3]
.LBB1164_462:
	s_or_b64 exec, exec, s[30:31]
	v_cmp_lt_u32_e32 vcc, v0, v4
	s_waitcnt lgkmcnt(0)
	s_barrier
	s_and_saveexec_b64 s[0:1], vcc
	s_cbranch_execz .LBB1164_465
; %bb.463:
	v_lshlrev_b32_e32 v8, 3, v0
	s_mov_b64 s[2:3], 0
	v_mov_b32_e32 v3, 0
	v_mov_b32_e32 v2, v0
.LBB1164_464:                           ; =>This Inner Loop Header: Depth=1
	v_lshlrev_b64 v[10:11], 3, v[2:3]
	ds_read_b64 v[12:13], v8
	v_add_co_u32_e32 v10, vcc, v6, v10
	v_add_u32_e32 v2, 0x100, v2
	v_addc_co_u32_e32 v11, vcc, v7, v11, vcc
	v_cmp_ge_u32_e32 vcc, v2, v4
	v_add_u32_e32 v8, 0x800, v8
	s_or_b64 s[2:3], vcc, s[2:3]
	s_waitcnt lgkmcnt(0)
	global_store_dwordx2 v[10:11], v[12:13], off
	s_andn2_b64 exec, exec, s[2:3]
	s_cbranch_execnz .LBB1164_464
.LBB1164_465:
	s_or_b64 exec, exec, s[0:1]
.LBB1164_466:
	s_movk_i32 s0, 0xff
	v_cmp_eq_u32_e32 vcc, s0, v0
	s_and_b64 s[0:1], vcc, s[40:41]
	s_and_saveexec_b64 s[2:3], s[0:1]
	s_cbranch_execz .LBB1164_469
; %bb.467:
	v_add_co_u32_e32 v0, vcc, v58, v62
	v_addc_co_u32_e64 v3, s[0:1], 0, 0, vcc
	v_add_co_u32_e32 v2, vcc, v0, v30
	v_mov_b32_e32 v59, 0
	v_addc_co_u32_e32 v3, vcc, v3, v31, vcc
	s_cmpk_lg_i32 s80, 0xf00
	global_store_dwordx2 v59, v[2:3], s[50:51]
	s_cbranch_scc1 .LBB1164_469
; %bb.468:
	v_lshlrev_b64 v[2:3], 3, v[58:59]
	v_add_co_u32_e32 v0, vcc, v1, v2
	v_addc_co_u32_e32 v1, vcc, v5, v3, vcc
	global_store_dwordx2 v[0:1], v[60:61], off offset:-8
.LBB1164_469:
	s_endpgm
.LBB1164_470:
	s_or_b64 exec, exec, s[10:11]
	v_mov_b32_e32 v113, s12
	s_and_saveexec_b64 s[2:3], s[6:7]
	s_cbranch_execnz .LBB1164_334
	s_branch .LBB1164_335
.LBB1164_471:
	s_and_saveexec_b64 s[42:43], s[30:31]
	s_cbranch_execnz .LBB1164_541
; %bb.472:
	s_or_b64 exec, exec, s[42:43]
	s_and_saveexec_b64 s[42:43], s[28:29]
	s_cbranch_execnz .LBB1164_542
.LBB1164_473:
	s_or_b64 exec, exec, s[42:43]
	s_and_saveexec_b64 s[42:43], s[26:27]
	s_cbranch_execnz .LBB1164_543
.LBB1164_474:
	s_or_b64 exec, exec, s[42:43]
	s_and_saveexec_b64 s[42:43], s[24:25]
	s_cbranch_execnz .LBB1164_544
.LBB1164_475:
	s_or_b64 exec, exec, s[42:43]
	s_and_saveexec_b64 s[42:43], s[22:23]
	s_cbranch_execnz .LBB1164_545
.LBB1164_476:
	s_or_b64 exec, exec, s[42:43]
	s_and_saveexec_b64 s[42:43], s[20:21]
	s_cbranch_execnz .LBB1164_546
.LBB1164_477:
	s_or_b64 exec, exec, s[42:43]
	s_and_saveexec_b64 s[42:43], s[18:19]
	s_cbranch_execnz .LBB1164_547
.LBB1164_478:
	s_or_b64 exec, exec, s[42:43]
	s_and_saveexec_b64 s[42:43], s[16:17]
	s_cbranch_execnz .LBB1164_548
.LBB1164_479:
	s_or_b64 exec, exec, s[42:43]
	s_and_saveexec_b64 s[42:43], s[14:15]
	s_cbranch_execnz .LBB1164_549
.LBB1164_480:
	s_or_b64 exec, exec, s[42:43]
	s_and_saveexec_b64 s[42:43], s[12:13]
	s_cbranch_execnz .LBB1164_550
.LBB1164_481:
	s_or_b64 exec, exec, s[42:43]
	s_and_saveexec_b64 s[42:43], s[10:11]
	s_cbranch_execnz .LBB1164_551
.LBB1164_482:
	s_or_b64 exec, exec, s[42:43]
	s_and_saveexec_b64 s[42:43], s[8:9]
	s_cbranch_execnz .LBB1164_552
.LBB1164_483:
	s_or_b64 exec, exec, s[42:43]
	s_and_saveexec_b64 s[42:43], s[6:7]
	s_cbranch_execnz .LBB1164_553
.LBB1164_484:
	s_or_b64 exec, exec, s[42:43]
	s_and_saveexec_b64 s[42:43], s[4:5]
	s_cbranch_execz .LBB1164_486
.LBB1164_485:
	v_sub_u32_e32 v56, v39, v62
	v_mov_b32_e32 v57, 0
	v_lshlrev_b64 v[56:57], 3, v[56:57]
	v_add_co_u32_e32 v56, vcc, v52, v56
	v_addc_co_u32_e32 v57, vcc, v53, v57, vcc
	global_store_dwordx2 v[56:57], v[4:5], off
.LBB1164_486:
	s_or_b64 exec, exec, s[42:43]
	s_and_b64 s[42:43], s[2:3], exec
	s_andn2_saveexec_b64 s[34:35], s[34:35]
	s_cbranch_execz .LBB1164_436
.LBB1164_487:
	v_sub_u32_e32 v56, v59, v62
	v_mov_b32_e32 v57, 0
	v_lshlrev_b64 v[72:73], 3, v[56:57]
	v_add_co_u32_e32 v72, vcc, v52, v72
	v_addc_co_u32_e32 v73, vcc, v53, v73, vcc
	v_sub_u32_e32 v56, v51, v62
	global_store_dwordx2 v[72:73], v[26:27], off
	v_lshlrev_b64 v[72:73], 3, v[56:57]
	v_add_co_u32_e32 v72, vcc, v52, v72
	v_addc_co_u32_e32 v73, vcc, v53, v73, vcc
	v_sub_u32_e32 v56, v50, v62
	global_store_dwordx2 v[72:73], v[28:29], off
	;; [unrolled: 5-line block ×12, first 2 shown]
	v_lshlrev_b64 v[72:73], 3, v[56:57]
	v_add_co_u32_e32 v72, vcc, v52, v72
	v_sub_u32_e32 v56, v39, v62
	v_addc_co_u32_e32 v73, vcc, v53, v73, vcc
	v_lshlrev_b64 v[56:57], 3, v[56:57]
	v_add_co_u32_e32 v56, vcc, v52, v56
	v_addc_co_u32_e32 v57, vcc, v53, v57, vcc
	s_or_b64 s[42:43], s[42:43], exec
	global_store_dwordx2 v[72:73], v[2:3], off
	global_store_dwordx2 v[56:57], v[4:5], off
	s_or_b64 exec, exec, s[34:35]
	s_and_b64 exec, exec, s[42:43]
	s_cbranch_execnz .LBB1164_437
	s_branch .LBB1164_438
.LBB1164_488:
	s_and_saveexec_b64 s[42:43], s[30:31]
	s_cbranch_execnz .LBB1164_554
; %bb.489:
	s_or_b64 exec, exec, s[42:43]
	s_and_saveexec_b64 s[30:31], s[28:29]
	s_cbranch_execnz .LBB1164_555
.LBB1164_490:
	s_or_b64 exec, exec, s[30:31]
	s_and_saveexec_b64 s[28:29], s[26:27]
	s_cbranch_execnz .LBB1164_556
.LBB1164_491:
	s_or_b64 exec, exec, s[28:29]
	s_and_saveexec_b64 s[26:27], s[24:25]
	s_cbranch_execnz .LBB1164_557
.LBB1164_492:
	s_or_b64 exec, exec, s[26:27]
	s_and_saveexec_b64 s[24:25], s[22:23]
	s_cbranch_execnz .LBB1164_558
.LBB1164_493:
	s_or_b64 exec, exec, s[24:25]
	s_and_saveexec_b64 s[22:23], s[20:21]
	s_cbranch_execnz .LBB1164_559
.LBB1164_494:
	s_or_b64 exec, exec, s[22:23]
	s_and_saveexec_b64 s[20:21], s[18:19]
	s_cbranch_execnz .LBB1164_560
.LBB1164_495:
	s_or_b64 exec, exec, s[20:21]
	s_and_saveexec_b64 s[18:19], s[16:17]
	s_cbranch_execnz .LBB1164_561
.LBB1164_496:
	s_or_b64 exec, exec, s[18:19]
	s_and_saveexec_b64 s[16:17], s[14:15]
	s_cbranch_execnz .LBB1164_562
.LBB1164_497:
	s_or_b64 exec, exec, s[16:17]
	s_and_saveexec_b64 s[14:15], s[12:13]
	s_cbranch_execnz .LBB1164_563
.LBB1164_498:
	s_or_b64 exec, exec, s[14:15]
	s_and_saveexec_b64 s[12:13], s[10:11]
	s_cbranch_execnz .LBB1164_564
.LBB1164_499:
	s_or_b64 exec, exec, s[12:13]
	s_and_saveexec_b64 s[10:11], s[8:9]
	s_cbranch_execnz .LBB1164_565
.LBB1164_500:
	s_or_b64 exec, exec, s[10:11]
	s_and_saveexec_b64 s[8:9], s[6:7]
	s_cbranch_execnz .LBB1164_566
.LBB1164_501:
	s_or_b64 exec, exec, s[8:9]
	s_and_saveexec_b64 s[6:7], s[4:5]
	s_cbranch_execz .LBB1164_503
.LBB1164_502:
	v_sub_u32_e32 v2, v39, v62
	v_lshlrev_b32_e32 v2, 3, v2
	ds_write_b64 v2, v[4:5]
.LBB1164_503:
	s_or_b64 exec, exec, s[6:7]
	s_and_b64 s[42:43], s[2:3], exec
                                        ; implicit-def: $vgpr2_vgpr3
                                        ; implicit-def: $vgpr6_vgpr7
                                        ; implicit-def: $vgpr10_vgpr11
                                        ; implicit-def: $vgpr14_vgpr15
                                        ; implicit-def: $vgpr18_vgpr19
                                        ; implicit-def: $vgpr22_vgpr23
                                        ; implicit-def: $vgpr26_vgpr27
	s_andn2_saveexec_b64 s[2:3], s[38:39]
	s_cbranch_execz .LBB1164_443
.LBB1164_504:
	v_sub_u32_e32 v54, v59, v62
	v_lshlrev_b32_e32 v54, 3, v54
	ds_write_b64 v54, v[26:27]
	v_sub_u32_e32 v26, v51, v62
	v_lshlrev_b32_e32 v26, 3, v26
	ds_write_b64 v26, v[28:29]
	;; [unrolled: 3-line block ×13, first 2 shown]
	v_sub_u32_e32 v2, v39, v62
	v_lshlrev_b32_e32 v2, 3, v2
	s_or_b64 s[42:43], s[42:43], exec
	ds_write_b64 v2, v[4:5]
	s_or_b64 exec, exec, s[2:3]
	s_and_b64 exec, exec, s[42:43]
	s_cbranch_execnz .LBB1164_444
	s_branch .LBB1164_445
.LBB1164_505:
	s_and_saveexec_b64 s[36:37], s[28:29]
	s_cbranch_execnz .LBB1164_567
; %bb.506:
	s_or_b64 exec, exec, s[36:37]
	s_and_saveexec_b64 s[36:37], s[26:27]
	s_cbranch_execnz .LBB1164_568
.LBB1164_507:
	s_or_b64 exec, exec, s[36:37]
	s_and_saveexec_b64 s[36:37], s[24:25]
	s_cbranch_execnz .LBB1164_569
.LBB1164_508:
	s_or_b64 exec, exec, s[36:37]
	s_and_saveexec_b64 s[36:37], s[22:23]
	s_cbranch_execnz .LBB1164_570
.LBB1164_509:
	s_or_b64 exec, exec, s[36:37]
	s_and_saveexec_b64 s[36:37], s[20:21]
	s_cbranch_execnz .LBB1164_571
.LBB1164_510:
	s_or_b64 exec, exec, s[36:37]
	s_and_saveexec_b64 s[36:37], s[18:19]
	s_cbranch_execnz .LBB1164_572
.LBB1164_511:
	s_or_b64 exec, exec, s[36:37]
	s_and_saveexec_b64 s[36:37], s[16:17]
	s_cbranch_execnz .LBB1164_573
.LBB1164_512:
	s_or_b64 exec, exec, s[36:37]
	s_and_saveexec_b64 s[36:37], s[14:15]
	s_cbranch_execnz .LBB1164_574
.LBB1164_513:
	s_or_b64 exec, exec, s[36:37]
	s_and_saveexec_b64 s[36:37], s[12:13]
	s_cbranch_execnz .LBB1164_575
.LBB1164_514:
	s_or_b64 exec, exec, s[36:37]
	s_and_saveexec_b64 s[36:37], s[10:11]
	s_cbranch_execnz .LBB1164_576
.LBB1164_515:
	s_or_b64 exec, exec, s[36:37]
	s_and_saveexec_b64 s[36:37], s[8:9]
	s_cbranch_execnz .LBB1164_577
.LBB1164_516:
	s_or_b64 exec, exec, s[36:37]
	s_and_saveexec_b64 s[36:37], s[6:7]
	s_cbranch_execnz .LBB1164_578
.LBB1164_517:
	s_or_b64 exec, exec, s[36:37]
	s_and_saveexec_b64 s[36:37], s[4:5]
	s_cbranch_execnz .LBB1164_579
.LBB1164_518:
	s_or_b64 exec, exec, s[36:37]
	s_and_saveexec_b64 s[36:37], s[2:3]
	s_cbranch_execz .LBB1164_520
.LBB1164_519:
	v_sub_u32_e32 v10, v39, v8
	v_mov_b32_e32 v11, 0
	v_lshlrev_b64 v[10:11], 3, v[10:11]
	v_add_co_u32_e32 v10, vcc, v6, v10
	v_addc_co_u32_e32 v11, vcc, v7, v11, vcc
	global_store_dwordx2 v[10:11], v[94:95], off
.LBB1164_520:
	s_or_b64 exec, exec, s[36:37]
	s_and_b64 s[36:37], s[0:1], exec
	s_andn2_saveexec_b64 s[30:31], s[30:31]
	s_cbranch_execz .LBB1164_453
.LBB1164_521:
	v_sub_u32_e32 v10, v59, v8
	v_mov_b32_e32 v11, 0
	v_lshlrev_b64 v[12:13], 3, v[10:11]
	v_add_co_u32_e32 v12, vcc, v6, v12
	v_addc_co_u32_e32 v13, vcc, v7, v13, vcc
	v_sub_u32_e32 v10, v51, v8
	global_store_dwordx2 v[12:13], v[92:93], off
	v_lshlrev_b64 v[12:13], 3, v[10:11]
	v_add_co_u32_e32 v12, vcc, v6, v12
	v_addc_co_u32_e32 v13, vcc, v7, v13, vcc
	v_sub_u32_e32 v10, v50, v8
	global_store_dwordx2 v[12:13], v[64:65], off
	;; [unrolled: 5-line block ×12, first 2 shown]
	v_lshlrev_b64 v[12:13], 3, v[10:11]
	v_add_co_u32_e32 v12, vcc, v6, v12
	v_sub_u32_e32 v10, v39, v8
	v_addc_co_u32_e32 v13, vcc, v7, v13, vcc
	v_lshlrev_b64 v[10:11], 3, v[10:11]
	v_add_co_u32_e32 v10, vcc, v6, v10
	v_addc_co_u32_e32 v11, vcc, v7, v11, vcc
	s_or_b64 s[36:37], s[36:37], exec
	global_store_dwordx2 v[12:13], v[90:91], off
	global_store_dwordx2 v[10:11], v[94:95], off
	s_or_b64 exec, exec, s[30:31]
	s_and_b64 exec, exec, s[36:37]
	s_cbranch_execnz .LBB1164_454
	s_branch .LBB1164_455
.LBB1164_522:
	s_and_saveexec_b64 s[36:37], s[28:29]
	s_cbranch_execnz .LBB1164_580
; %bb.523:
	s_or_b64 exec, exec, s[36:37]
	s_and_saveexec_b64 s[28:29], s[26:27]
	s_cbranch_execnz .LBB1164_581
.LBB1164_524:
	s_or_b64 exec, exec, s[28:29]
	s_and_saveexec_b64 s[26:27], s[24:25]
	s_cbranch_execnz .LBB1164_582
.LBB1164_525:
	s_or_b64 exec, exec, s[26:27]
	s_and_saveexec_b64 s[24:25], s[22:23]
	s_cbranch_execnz .LBB1164_583
.LBB1164_526:
	s_or_b64 exec, exec, s[24:25]
	s_and_saveexec_b64 s[22:23], s[20:21]
	s_cbranch_execnz .LBB1164_584
.LBB1164_527:
	s_or_b64 exec, exec, s[22:23]
	s_and_saveexec_b64 s[20:21], s[18:19]
	s_cbranch_execnz .LBB1164_585
.LBB1164_528:
	s_or_b64 exec, exec, s[20:21]
	s_and_saveexec_b64 s[18:19], s[16:17]
	s_cbranch_execnz .LBB1164_586
.LBB1164_529:
	s_or_b64 exec, exec, s[18:19]
	s_and_saveexec_b64 s[16:17], s[14:15]
	s_cbranch_execnz .LBB1164_587
.LBB1164_530:
	s_or_b64 exec, exec, s[16:17]
	s_and_saveexec_b64 s[14:15], s[12:13]
	s_cbranch_execnz .LBB1164_588
.LBB1164_531:
	s_or_b64 exec, exec, s[14:15]
	s_and_saveexec_b64 s[12:13], s[10:11]
	s_cbranch_execnz .LBB1164_589
.LBB1164_532:
	s_or_b64 exec, exec, s[12:13]
	s_and_saveexec_b64 s[10:11], s[8:9]
	s_cbranch_execnz .LBB1164_590
.LBB1164_533:
	s_or_b64 exec, exec, s[10:11]
	s_and_saveexec_b64 s[8:9], s[6:7]
	s_cbranch_execnz .LBB1164_591
.LBB1164_534:
	s_or_b64 exec, exec, s[8:9]
	s_and_saveexec_b64 s[6:7], s[4:5]
	s_cbranch_execnz .LBB1164_592
.LBB1164_535:
	s_or_b64 exec, exec, s[6:7]
	s_and_saveexec_b64 s[4:5], s[2:3]
	s_cbranch_execz .LBB1164_537
.LBB1164_536:
	v_sub_u32_e32 v9, v39, v8
	v_lshlrev_b32_e32 v9, 3, v9
	ds_write_b64 v9, v[94:95]
.LBB1164_537:
	s_or_b64 exec, exec, s[4:5]
	s_and_b64 s[36:37], s[0:1], exec
                                        ; implicit-def: $vgpr92_vgpr93
                                        ; implicit-def: $vgpr64_vgpr65
                                        ; implicit-def: $vgpr66_vgpr67
                                        ; implicit-def: $vgpr68_vgpr69
                                        ; implicit-def: $vgpr70_vgpr71
                                        ; implicit-def: $vgpr76_vgpr77
                                        ; implicit-def: $vgpr78_vgpr79
                                        ; implicit-def: $vgpr80_vgpr81
                                        ; implicit-def: $vgpr82_vgpr83
                                        ; implicit-def: $vgpr84_vgpr85
                                        ; implicit-def: $vgpr86_vgpr87
                                        ; implicit-def: $vgpr88_vgpr89
                                        ; implicit-def: $vgpr90_vgpr91
                                        ; implicit-def: $vgpr94_vgpr95
                                        ; implicit-def: $vgpr59
                                        ; implicit-def: $vgpr51
                                        ; implicit-def: $vgpr50
                                        ; implicit-def: $vgpr49
                                        ; implicit-def: $vgpr48
                                        ; implicit-def: $vgpr47
                                        ; implicit-def: $vgpr46
                                        ; implicit-def: $vgpr45
                                        ; implicit-def: $vgpr44
                                        ; implicit-def: $vgpr43
                                        ; implicit-def: $vgpr42
                                        ; implicit-def: $vgpr41
                                        ; implicit-def: $vgpr40
                                        ; implicit-def: $vgpr39
	s_andn2_saveexec_b64 s[0:1], s[34:35]
	s_cbranch_execz .LBB1164_460
.LBB1164_538:
	v_sub_u32_e32 v9, v59, v8
	v_lshlrev_b32_e32 v9, 3, v9
	ds_write_b64 v9, v[92:93]
	v_sub_u32_e32 v9, v51, v8
	v_lshlrev_b32_e32 v9, 3, v9
	ds_write_b64 v9, v[64:65]
	;; [unrolled: 3-line block ×13, first 2 shown]
	v_sub_u32_e32 v9, v39, v8
	v_lshlrev_b32_e32 v9, 3, v9
	s_or_b64 s[36:37], s[36:37], exec
	ds_write_b64 v9, v[94:95]
	s_or_b64 exec, exec, s[0:1]
	s_and_b64 exec, exec, s[36:37]
	s_cbranch_execnz .LBB1164_461
	s_branch .LBB1164_462
.LBB1164_539:
                                        ; implicit-def: $vgpr76_vgpr77
	s_andn2_b64 vcc, exec, s[8:9]
	s_cbranch_vccz .LBB1164_312
	s_branch .LBB1164_313
.LBB1164_540:
                                        ; implicit-def: $vgpr58_vgpr59
	s_andn2_b64 vcc, exec, s[10:11]
	s_cbranch_vccz .LBB1164_325
	s_branch .LBB1164_326
.LBB1164_541:
	v_sub_u32_e32 v56, v59, v62
	v_mov_b32_e32 v57, 0
	v_lshlrev_b64 v[56:57], 3, v[56:57]
	v_add_co_u32_e32 v56, vcc, v52, v56
	v_addc_co_u32_e32 v57, vcc, v53, v57, vcc
	global_store_dwordx2 v[56:57], v[26:27], off
	s_or_b64 exec, exec, s[42:43]
	s_and_saveexec_b64 s[42:43], s[28:29]
	s_cbranch_execz .LBB1164_473
.LBB1164_542:
	v_sub_u32_e32 v56, v51, v62
	v_mov_b32_e32 v57, 0
	v_lshlrev_b64 v[56:57], 3, v[56:57]
	v_add_co_u32_e32 v56, vcc, v52, v56
	v_addc_co_u32_e32 v57, vcc, v53, v57, vcc
	global_store_dwordx2 v[56:57], v[28:29], off
	s_or_b64 exec, exec, s[42:43]
	s_and_saveexec_b64 s[42:43], s[26:27]
	s_cbranch_execz .LBB1164_474
.LBB1164_543:
	v_sub_u32_e32 v56, v50, v62
	v_mov_b32_e32 v57, 0
	v_lshlrev_b64 v[56:57], 3, v[56:57]
	v_add_co_u32_e32 v56, vcc, v52, v56
	v_addc_co_u32_e32 v57, vcc, v53, v57, vcc
	global_store_dwordx2 v[56:57], v[22:23], off
	s_or_b64 exec, exec, s[42:43]
	s_and_saveexec_b64 s[42:43], s[24:25]
	s_cbranch_execz .LBB1164_475
.LBB1164_544:
	v_sub_u32_e32 v56, v49, v62
	v_mov_b32_e32 v57, 0
	v_lshlrev_b64 v[56:57], 3, v[56:57]
	v_add_co_u32_e32 v56, vcc, v52, v56
	v_addc_co_u32_e32 v57, vcc, v53, v57, vcc
	global_store_dwordx2 v[56:57], v[24:25], off
	s_or_b64 exec, exec, s[42:43]
	s_and_saveexec_b64 s[42:43], s[22:23]
	s_cbranch_execz .LBB1164_476
.LBB1164_545:
	v_sub_u32_e32 v56, v48, v62
	v_mov_b32_e32 v57, 0
	v_lshlrev_b64 v[56:57], 3, v[56:57]
	v_add_co_u32_e32 v56, vcc, v52, v56
	v_addc_co_u32_e32 v57, vcc, v53, v57, vcc
	global_store_dwordx2 v[56:57], v[18:19], off
	s_or_b64 exec, exec, s[42:43]
	s_and_saveexec_b64 s[42:43], s[20:21]
	s_cbranch_execz .LBB1164_477
.LBB1164_546:
	v_sub_u32_e32 v56, v47, v62
	v_mov_b32_e32 v57, 0
	v_lshlrev_b64 v[56:57], 3, v[56:57]
	v_add_co_u32_e32 v56, vcc, v52, v56
	v_addc_co_u32_e32 v57, vcc, v53, v57, vcc
	global_store_dwordx2 v[56:57], v[20:21], off
	s_or_b64 exec, exec, s[42:43]
	s_and_saveexec_b64 s[42:43], s[18:19]
	s_cbranch_execz .LBB1164_478
.LBB1164_547:
	v_sub_u32_e32 v56, v46, v62
	v_mov_b32_e32 v57, 0
	v_lshlrev_b64 v[56:57], 3, v[56:57]
	v_add_co_u32_e32 v56, vcc, v52, v56
	v_addc_co_u32_e32 v57, vcc, v53, v57, vcc
	global_store_dwordx2 v[56:57], v[14:15], off
	s_or_b64 exec, exec, s[42:43]
	s_and_saveexec_b64 s[42:43], s[16:17]
	s_cbranch_execz .LBB1164_479
.LBB1164_548:
	v_sub_u32_e32 v56, v45, v62
	v_mov_b32_e32 v57, 0
	v_lshlrev_b64 v[56:57], 3, v[56:57]
	v_add_co_u32_e32 v56, vcc, v52, v56
	v_addc_co_u32_e32 v57, vcc, v53, v57, vcc
	global_store_dwordx2 v[56:57], v[16:17], off
	s_or_b64 exec, exec, s[42:43]
	s_and_saveexec_b64 s[42:43], s[14:15]
	s_cbranch_execz .LBB1164_480
.LBB1164_549:
	v_sub_u32_e32 v56, v44, v62
	v_mov_b32_e32 v57, 0
	v_lshlrev_b64 v[56:57], 3, v[56:57]
	v_add_co_u32_e32 v56, vcc, v52, v56
	v_addc_co_u32_e32 v57, vcc, v53, v57, vcc
	global_store_dwordx2 v[56:57], v[10:11], off
	s_or_b64 exec, exec, s[42:43]
	s_and_saveexec_b64 s[42:43], s[12:13]
	s_cbranch_execz .LBB1164_481
.LBB1164_550:
	v_sub_u32_e32 v56, v43, v62
	v_mov_b32_e32 v57, 0
	v_lshlrev_b64 v[56:57], 3, v[56:57]
	v_add_co_u32_e32 v56, vcc, v52, v56
	v_addc_co_u32_e32 v57, vcc, v53, v57, vcc
	global_store_dwordx2 v[56:57], v[12:13], off
	s_or_b64 exec, exec, s[42:43]
	s_and_saveexec_b64 s[42:43], s[10:11]
	s_cbranch_execz .LBB1164_482
.LBB1164_551:
	v_sub_u32_e32 v56, v42, v62
	v_mov_b32_e32 v57, 0
	v_lshlrev_b64 v[56:57], 3, v[56:57]
	v_add_co_u32_e32 v56, vcc, v52, v56
	v_addc_co_u32_e32 v57, vcc, v53, v57, vcc
	global_store_dwordx2 v[56:57], v[6:7], off
	s_or_b64 exec, exec, s[42:43]
	s_and_saveexec_b64 s[42:43], s[8:9]
	s_cbranch_execz .LBB1164_483
.LBB1164_552:
	v_sub_u32_e32 v56, v41, v62
	v_mov_b32_e32 v57, 0
	v_lshlrev_b64 v[56:57], 3, v[56:57]
	v_add_co_u32_e32 v56, vcc, v52, v56
	v_addc_co_u32_e32 v57, vcc, v53, v57, vcc
	global_store_dwordx2 v[56:57], v[8:9], off
	s_or_b64 exec, exec, s[42:43]
	s_and_saveexec_b64 s[42:43], s[6:7]
	s_cbranch_execz .LBB1164_484
.LBB1164_553:
	v_sub_u32_e32 v56, v40, v62
	v_mov_b32_e32 v57, 0
	v_lshlrev_b64 v[56:57], 3, v[56:57]
	v_add_co_u32_e32 v56, vcc, v52, v56
	v_addc_co_u32_e32 v57, vcc, v53, v57, vcc
	global_store_dwordx2 v[56:57], v[2:3], off
	s_or_b64 exec, exec, s[42:43]
	s_and_saveexec_b64 s[42:43], s[4:5]
	s_cbranch_execnz .LBB1164_485
	s_branch .LBB1164_486
.LBB1164_554:
	v_sub_u32_e32 v54, v59, v62
	v_lshlrev_b32_e32 v54, 3, v54
	ds_write_b64 v54, v[26:27]
	s_or_b64 exec, exec, s[42:43]
	s_and_saveexec_b64 s[30:31], s[28:29]
	s_cbranch_execz .LBB1164_490
.LBB1164_555:
	v_sub_u32_e32 v26, v51, v62
	v_lshlrev_b32_e32 v26, 3, v26
	ds_write_b64 v26, v[28:29]
	s_or_b64 exec, exec, s[30:31]
	s_and_saveexec_b64 s[28:29], s[26:27]
	s_cbranch_execz .LBB1164_491
.LBB1164_556:
	v_sub_u32_e32 v26, v50, v62
	v_lshlrev_b32_e32 v26, 3, v26
	ds_write_b64 v26, v[22:23]
	s_or_b64 exec, exec, s[28:29]
	s_and_saveexec_b64 s[26:27], s[24:25]
	s_cbranch_execz .LBB1164_492
.LBB1164_557:
	v_sub_u32_e32 v22, v49, v62
	v_lshlrev_b32_e32 v22, 3, v22
	ds_write_b64 v22, v[24:25]
	s_or_b64 exec, exec, s[26:27]
	s_and_saveexec_b64 s[24:25], s[22:23]
	s_cbranch_execz .LBB1164_493
.LBB1164_558:
	v_sub_u32_e32 v22, v48, v62
	v_lshlrev_b32_e32 v22, 3, v22
	ds_write_b64 v22, v[18:19]
	s_or_b64 exec, exec, s[24:25]
	s_and_saveexec_b64 s[22:23], s[20:21]
	s_cbranch_execz .LBB1164_494
.LBB1164_559:
	v_sub_u32_e32 v18, v47, v62
	v_lshlrev_b32_e32 v18, 3, v18
	ds_write_b64 v18, v[20:21]
	s_or_b64 exec, exec, s[22:23]
	s_and_saveexec_b64 s[20:21], s[18:19]
	s_cbranch_execz .LBB1164_495
.LBB1164_560:
	v_sub_u32_e32 v18, v46, v62
	v_lshlrev_b32_e32 v18, 3, v18
	ds_write_b64 v18, v[14:15]
	s_or_b64 exec, exec, s[20:21]
	s_and_saveexec_b64 s[18:19], s[16:17]
	s_cbranch_execz .LBB1164_496
.LBB1164_561:
	v_sub_u32_e32 v14, v45, v62
	v_lshlrev_b32_e32 v14, 3, v14
	ds_write_b64 v14, v[16:17]
	s_or_b64 exec, exec, s[18:19]
	s_and_saveexec_b64 s[16:17], s[14:15]
	s_cbranch_execz .LBB1164_497
.LBB1164_562:
	v_sub_u32_e32 v14, v44, v62
	v_lshlrev_b32_e32 v14, 3, v14
	ds_write_b64 v14, v[10:11]
	s_or_b64 exec, exec, s[16:17]
	s_and_saveexec_b64 s[14:15], s[12:13]
	s_cbranch_execz .LBB1164_498
.LBB1164_563:
	v_sub_u32_e32 v10, v43, v62
	v_lshlrev_b32_e32 v10, 3, v10
	ds_write_b64 v10, v[12:13]
	s_or_b64 exec, exec, s[14:15]
	s_and_saveexec_b64 s[12:13], s[10:11]
	s_cbranch_execz .LBB1164_499
.LBB1164_564:
	v_sub_u32_e32 v10, v42, v62
	v_lshlrev_b32_e32 v10, 3, v10
	ds_write_b64 v10, v[6:7]
	s_or_b64 exec, exec, s[12:13]
	s_and_saveexec_b64 s[10:11], s[8:9]
	s_cbranch_execz .LBB1164_500
.LBB1164_565:
	v_sub_u32_e32 v6, v41, v62
	v_lshlrev_b32_e32 v6, 3, v6
	ds_write_b64 v6, v[8:9]
	s_or_b64 exec, exec, s[10:11]
	s_and_saveexec_b64 s[8:9], s[6:7]
	s_cbranch_execz .LBB1164_501
.LBB1164_566:
	v_sub_u32_e32 v6, v40, v62
	v_lshlrev_b32_e32 v6, 3, v6
	ds_write_b64 v6, v[2:3]
	s_or_b64 exec, exec, s[8:9]
	s_and_saveexec_b64 s[6:7], s[4:5]
	s_cbranch_execnz .LBB1164_502
	s_branch .LBB1164_503
.LBB1164_567:
	v_sub_u32_e32 v10, v59, v8
	v_mov_b32_e32 v11, 0
	v_lshlrev_b64 v[10:11], 3, v[10:11]
	v_add_co_u32_e32 v10, vcc, v6, v10
	v_addc_co_u32_e32 v11, vcc, v7, v11, vcc
	global_store_dwordx2 v[10:11], v[92:93], off
	s_or_b64 exec, exec, s[36:37]
	s_and_saveexec_b64 s[36:37], s[26:27]
	s_cbranch_execz .LBB1164_507
.LBB1164_568:
	v_sub_u32_e32 v10, v51, v8
	v_mov_b32_e32 v11, 0
	v_lshlrev_b64 v[10:11], 3, v[10:11]
	v_add_co_u32_e32 v10, vcc, v6, v10
	v_addc_co_u32_e32 v11, vcc, v7, v11, vcc
	global_store_dwordx2 v[10:11], v[64:65], off
	s_or_b64 exec, exec, s[36:37]
	s_and_saveexec_b64 s[36:37], s[24:25]
	s_cbranch_execz .LBB1164_508
.LBB1164_569:
	v_sub_u32_e32 v10, v50, v8
	v_mov_b32_e32 v11, 0
	v_lshlrev_b64 v[10:11], 3, v[10:11]
	v_add_co_u32_e32 v10, vcc, v6, v10
	v_addc_co_u32_e32 v11, vcc, v7, v11, vcc
	global_store_dwordx2 v[10:11], v[66:67], off
	s_or_b64 exec, exec, s[36:37]
	s_and_saveexec_b64 s[36:37], s[22:23]
	s_cbranch_execz .LBB1164_509
.LBB1164_570:
	v_sub_u32_e32 v10, v49, v8
	v_mov_b32_e32 v11, 0
	v_lshlrev_b64 v[10:11], 3, v[10:11]
	v_add_co_u32_e32 v10, vcc, v6, v10
	v_addc_co_u32_e32 v11, vcc, v7, v11, vcc
	global_store_dwordx2 v[10:11], v[68:69], off
	s_or_b64 exec, exec, s[36:37]
	s_and_saveexec_b64 s[36:37], s[20:21]
	s_cbranch_execz .LBB1164_510
.LBB1164_571:
	v_sub_u32_e32 v10, v48, v8
	v_mov_b32_e32 v11, 0
	v_lshlrev_b64 v[10:11], 3, v[10:11]
	v_add_co_u32_e32 v10, vcc, v6, v10
	v_addc_co_u32_e32 v11, vcc, v7, v11, vcc
	global_store_dwordx2 v[10:11], v[70:71], off
	s_or_b64 exec, exec, s[36:37]
	s_and_saveexec_b64 s[36:37], s[18:19]
	s_cbranch_execz .LBB1164_511
.LBB1164_572:
	v_sub_u32_e32 v10, v47, v8
	v_mov_b32_e32 v11, 0
	v_lshlrev_b64 v[10:11], 3, v[10:11]
	v_add_co_u32_e32 v10, vcc, v6, v10
	v_addc_co_u32_e32 v11, vcc, v7, v11, vcc
	global_store_dwordx2 v[10:11], v[76:77], off
	s_or_b64 exec, exec, s[36:37]
	s_and_saveexec_b64 s[36:37], s[16:17]
	s_cbranch_execz .LBB1164_512
.LBB1164_573:
	v_sub_u32_e32 v10, v46, v8
	v_mov_b32_e32 v11, 0
	v_lshlrev_b64 v[10:11], 3, v[10:11]
	v_add_co_u32_e32 v10, vcc, v6, v10
	v_addc_co_u32_e32 v11, vcc, v7, v11, vcc
	global_store_dwordx2 v[10:11], v[78:79], off
	s_or_b64 exec, exec, s[36:37]
	s_and_saveexec_b64 s[36:37], s[14:15]
	s_cbranch_execz .LBB1164_513
.LBB1164_574:
	v_sub_u32_e32 v10, v45, v8
	v_mov_b32_e32 v11, 0
	v_lshlrev_b64 v[10:11], 3, v[10:11]
	v_add_co_u32_e32 v10, vcc, v6, v10
	v_addc_co_u32_e32 v11, vcc, v7, v11, vcc
	global_store_dwordx2 v[10:11], v[80:81], off
	s_or_b64 exec, exec, s[36:37]
	s_and_saveexec_b64 s[36:37], s[12:13]
	s_cbranch_execz .LBB1164_514
.LBB1164_575:
	v_sub_u32_e32 v10, v44, v8
	v_mov_b32_e32 v11, 0
	v_lshlrev_b64 v[10:11], 3, v[10:11]
	v_add_co_u32_e32 v10, vcc, v6, v10
	v_addc_co_u32_e32 v11, vcc, v7, v11, vcc
	global_store_dwordx2 v[10:11], v[82:83], off
	s_or_b64 exec, exec, s[36:37]
	s_and_saveexec_b64 s[36:37], s[10:11]
	s_cbranch_execz .LBB1164_515
.LBB1164_576:
	v_sub_u32_e32 v10, v43, v8
	v_mov_b32_e32 v11, 0
	v_lshlrev_b64 v[10:11], 3, v[10:11]
	v_add_co_u32_e32 v10, vcc, v6, v10
	v_addc_co_u32_e32 v11, vcc, v7, v11, vcc
	global_store_dwordx2 v[10:11], v[84:85], off
	s_or_b64 exec, exec, s[36:37]
	s_and_saveexec_b64 s[36:37], s[8:9]
	s_cbranch_execz .LBB1164_516
.LBB1164_577:
	v_sub_u32_e32 v10, v42, v8
	v_mov_b32_e32 v11, 0
	v_lshlrev_b64 v[10:11], 3, v[10:11]
	v_add_co_u32_e32 v10, vcc, v6, v10
	v_addc_co_u32_e32 v11, vcc, v7, v11, vcc
	global_store_dwordx2 v[10:11], v[86:87], off
	s_or_b64 exec, exec, s[36:37]
	s_and_saveexec_b64 s[36:37], s[6:7]
	s_cbranch_execz .LBB1164_517
.LBB1164_578:
	v_sub_u32_e32 v10, v41, v8
	v_mov_b32_e32 v11, 0
	v_lshlrev_b64 v[10:11], 3, v[10:11]
	v_add_co_u32_e32 v10, vcc, v6, v10
	v_addc_co_u32_e32 v11, vcc, v7, v11, vcc
	global_store_dwordx2 v[10:11], v[88:89], off
	s_or_b64 exec, exec, s[36:37]
	s_and_saveexec_b64 s[36:37], s[4:5]
	s_cbranch_execz .LBB1164_518
.LBB1164_579:
	v_sub_u32_e32 v10, v40, v8
	v_mov_b32_e32 v11, 0
	v_lshlrev_b64 v[10:11], 3, v[10:11]
	v_add_co_u32_e32 v10, vcc, v6, v10
	v_addc_co_u32_e32 v11, vcc, v7, v11, vcc
	global_store_dwordx2 v[10:11], v[90:91], off
	s_or_b64 exec, exec, s[36:37]
	s_and_saveexec_b64 s[36:37], s[2:3]
	s_cbranch_execnz .LBB1164_519
	s_branch .LBB1164_520
.LBB1164_580:
	v_sub_u32_e32 v9, v59, v8
	v_lshlrev_b32_e32 v9, 3, v9
	ds_write_b64 v9, v[92:93]
	s_or_b64 exec, exec, s[36:37]
	s_and_saveexec_b64 s[28:29], s[26:27]
	s_cbranch_execz .LBB1164_524
.LBB1164_581:
	v_sub_u32_e32 v9, v51, v8
	v_lshlrev_b32_e32 v9, 3, v9
	ds_write_b64 v9, v[64:65]
	s_or_b64 exec, exec, s[28:29]
	s_and_saveexec_b64 s[26:27], s[24:25]
	s_cbranch_execz .LBB1164_525
.LBB1164_582:
	v_sub_u32_e32 v9, v50, v8
	v_lshlrev_b32_e32 v9, 3, v9
	ds_write_b64 v9, v[66:67]
	s_or_b64 exec, exec, s[26:27]
	s_and_saveexec_b64 s[24:25], s[22:23]
	s_cbranch_execz .LBB1164_526
.LBB1164_583:
	v_sub_u32_e32 v9, v49, v8
	v_lshlrev_b32_e32 v9, 3, v9
	ds_write_b64 v9, v[68:69]
	s_or_b64 exec, exec, s[24:25]
	s_and_saveexec_b64 s[22:23], s[20:21]
	s_cbranch_execz .LBB1164_527
.LBB1164_584:
	v_sub_u32_e32 v9, v48, v8
	v_lshlrev_b32_e32 v9, 3, v9
	ds_write_b64 v9, v[70:71]
	s_or_b64 exec, exec, s[22:23]
	s_and_saveexec_b64 s[20:21], s[18:19]
	s_cbranch_execz .LBB1164_528
.LBB1164_585:
	v_sub_u32_e32 v9, v47, v8
	v_lshlrev_b32_e32 v9, 3, v9
	ds_write_b64 v9, v[76:77]
	s_or_b64 exec, exec, s[20:21]
	s_and_saveexec_b64 s[18:19], s[16:17]
	s_cbranch_execz .LBB1164_529
.LBB1164_586:
	v_sub_u32_e32 v9, v46, v8
	v_lshlrev_b32_e32 v9, 3, v9
	ds_write_b64 v9, v[78:79]
	s_or_b64 exec, exec, s[18:19]
	s_and_saveexec_b64 s[16:17], s[14:15]
	s_cbranch_execz .LBB1164_530
.LBB1164_587:
	v_sub_u32_e32 v9, v45, v8
	v_lshlrev_b32_e32 v9, 3, v9
	ds_write_b64 v9, v[80:81]
	s_or_b64 exec, exec, s[16:17]
	s_and_saveexec_b64 s[14:15], s[12:13]
	s_cbranch_execz .LBB1164_531
.LBB1164_588:
	v_sub_u32_e32 v9, v44, v8
	v_lshlrev_b32_e32 v9, 3, v9
	ds_write_b64 v9, v[82:83]
	s_or_b64 exec, exec, s[14:15]
	s_and_saveexec_b64 s[12:13], s[10:11]
	s_cbranch_execz .LBB1164_532
.LBB1164_589:
	v_sub_u32_e32 v9, v43, v8
	v_lshlrev_b32_e32 v9, 3, v9
	ds_write_b64 v9, v[84:85]
	s_or_b64 exec, exec, s[12:13]
	s_and_saveexec_b64 s[10:11], s[8:9]
	s_cbranch_execz .LBB1164_533
.LBB1164_590:
	v_sub_u32_e32 v9, v42, v8
	v_lshlrev_b32_e32 v9, 3, v9
	ds_write_b64 v9, v[86:87]
	s_or_b64 exec, exec, s[10:11]
	s_and_saveexec_b64 s[8:9], s[6:7]
	s_cbranch_execz .LBB1164_534
.LBB1164_591:
	v_sub_u32_e32 v9, v41, v8
	v_lshlrev_b32_e32 v9, 3, v9
	ds_write_b64 v9, v[88:89]
	s_or_b64 exec, exec, s[8:9]
	s_and_saveexec_b64 s[6:7], s[4:5]
	s_cbranch_execz .LBB1164_535
.LBB1164_592:
	v_sub_u32_e32 v9, v40, v8
	v_lshlrev_b32_e32 v9, 3, v9
	ds_write_b64 v9, v[90:91]
	s_or_b64 exec, exec, s[6:7]
	s_and_saveexec_b64 s[4:5], s[2:3]
	s_cbranch_execnz .LBB1164_536
	s_branch .LBB1164_537
	.section	.rodata,"a",@progbits
	.p2align	6, 0x0
	.amdhsa_kernel _ZN7rocprim17ROCPRIM_400000_NS6detail17trampoline_kernelINS0_14default_configENS1_29reduce_by_key_config_selectorIllN6thrust23THRUST_200600_302600_NS4plusIlEEEEZZNS1_33reduce_by_key_impl_wrapped_configILNS1_25lookback_scan_determinismE0ES3_S9_NS6_18transform_iteratorI6div_opNS6_17counting_iteratorIlNS6_11use_defaultESF_SF_EESF_SF_EENSC_I6mod_opSG_SF_SF_EENS6_6detail15normal_iteratorINS6_10device_ptrIlEEEESO_PmS8_NS6_8equal_toIlEEEE10hipError_tPvRmT2_T3_mT4_T5_T6_T7_T8_P12ihipStream_tbENKUlT_T0_E_clISt17integral_constantIbLb0EES18_IbLb1EEEEDaS14_S15_EUlS14_E_NS1_11comp_targetILNS1_3genE4ELNS1_11target_archE910ELNS1_3gpuE8ELNS1_3repE0EEENS1_30default_config_static_selectorELNS0_4arch9wavefront6targetE1EEEvT1_
		.amdhsa_group_segment_fixed_size 30720
		.amdhsa_private_segment_fixed_size 0
		.amdhsa_kernarg_size 152
		.amdhsa_user_sgpr_count 6
		.amdhsa_user_sgpr_private_segment_buffer 1
		.amdhsa_user_sgpr_dispatch_ptr 0
		.amdhsa_user_sgpr_queue_ptr 0
		.amdhsa_user_sgpr_kernarg_segment_ptr 1
		.amdhsa_user_sgpr_dispatch_id 0
		.amdhsa_user_sgpr_flat_scratch_init 0
		.amdhsa_user_sgpr_kernarg_preload_length 0
		.amdhsa_user_sgpr_kernarg_preload_offset 0
		.amdhsa_user_sgpr_private_segment_size 0
		.amdhsa_uses_dynamic_stack 0
		.amdhsa_system_sgpr_private_segment_wavefront_offset 0
		.amdhsa_system_sgpr_workgroup_id_x 1
		.amdhsa_system_sgpr_workgroup_id_y 0
		.amdhsa_system_sgpr_workgroup_id_z 0
		.amdhsa_system_sgpr_workgroup_info 0
		.amdhsa_system_vgpr_workitem_id 0
		.amdhsa_next_free_vgpr 118
		.amdhsa_next_free_sgpr 81
		.amdhsa_accum_offset 120
		.amdhsa_reserve_vcc 1
		.amdhsa_reserve_flat_scratch 0
		.amdhsa_float_round_mode_32 0
		.amdhsa_float_round_mode_16_64 0
		.amdhsa_float_denorm_mode_32 3
		.amdhsa_float_denorm_mode_16_64 3
		.amdhsa_dx10_clamp 1
		.amdhsa_ieee_mode 1
		.amdhsa_fp16_overflow 0
		.amdhsa_tg_split 0
		.amdhsa_exception_fp_ieee_invalid_op 0
		.amdhsa_exception_fp_denorm_src 0
		.amdhsa_exception_fp_ieee_div_zero 0
		.amdhsa_exception_fp_ieee_overflow 0
		.amdhsa_exception_fp_ieee_underflow 0
		.amdhsa_exception_fp_ieee_inexact 0
		.amdhsa_exception_int_div_zero 0
	.end_amdhsa_kernel
	.section	.text._ZN7rocprim17ROCPRIM_400000_NS6detail17trampoline_kernelINS0_14default_configENS1_29reduce_by_key_config_selectorIllN6thrust23THRUST_200600_302600_NS4plusIlEEEEZZNS1_33reduce_by_key_impl_wrapped_configILNS1_25lookback_scan_determinismE0ES3_S9_NS6_18transform_iteratorI6div_opNS6_17counting_iteratorIlNS6_11use_defaultESF_SF_EESF_SF_EENSC_I6mod_opSG_SF_SF_EENS6_6detail15normal_iteratorINS6_10device_ptrIlEEEESO_PmS8_NS6_8equal_toIlEEEE10hipError_tPvRmT2_T3_mT4_T5_T6_T7_T8_P12ihipStream_tbENKUlT_T0_E_clISt17integral_constantIbLb0EES18_IbLb1EEEEDaS14_S15_EUlS14_E_NS1_11comp_targetILNS1_3genE4ELNS1_11target_archE910ELNS1_3gpuE8ELNS1_3repE0EEENS1_30default_config_static_selectorELNS0_4arch9wavefront6targetE1EEEvT1_,"axG",@progbits,_ZN7rocprim17ROCPRIM_400000_NS6detail17trampoline_kernelINS0_14default_configENS1_29reduce_by_key_config_selectorIllN6thrust23THRUST_200600_302600_NS4plusIlEEEEZZNS1_33reduce_by_key_impl_wrapped_configILNS1_25lookback_scan_determinismE0ES3_S9_NS6_18transform_iteratorI6div_opNS6_17counting_iteratorIlNS6_11use_defaultESF_SF_EESF_SF_EENSC_I6mod_opSG_SF_SF_EENS6_6detail15normal_iteratorINS6_10device_ptrIlEEEESO_PmS8_NS6_8equal_toIlEEEE10hipError_tPvRmT2_T3_mT4_T5_T6_T7_T8_P12ihipStream_tbENKUlT_T0_E_clISt17integral_constantIbLb0EES18_IbLb1EEEEDaS14_S15_EUlS14_E_NS1_11comp_targetILNS1_3genE4ELNS1_11target_archE910ELNS1_3gpuE8ELNS1_3repE0EEENS1_30default_config_static_selectorELNS0_4arch9wavefront6targetE1EEEvT1_,comdat
.Lfunc_end1164:
	.size	_ZN7rocprim17ROCPRIM_400000_NS6detail17trampoline_kernelINS0_14default_configENS1_29reduce_by_key_config_selectorIllN6thrust23THRUST_200600_302600_NS4plusIlEEEEZZNS1_33reduce_by_key_impl_wrapped_configILNS1_25lookback_scan_determinismE0ES3_S9_NS6_18transform_iteratorI6div_opNS6_17counting_iteratorIlNS6_11use_defaultESF_SF_EESF_SF_EENSC_I6mod_opSG_SF_SF_EENS6_6detail15normal_iteratorINS6_10device_ptrIlEEEESO_PmS8_NS6_8equal_toIlEEEE10hipError_tPvRmT2_T3_mT4_T5_T6_T7_T8_P12ihipStream_tbENKUlT_T0_E_clISt17integral_constantIbLb0EES18_IbLb1EEEEDaS14_S15_EUlS14_E_NS1_11comp_targetILNS1_3genE4ELNS1_11target_archE910ELNS1_3gpuE8ELNS1_3repE0EEENS1_30default_config_static_selectorELNS0_4arch9wavefront6targetE1EEEvT1_, .Lfunc_end1164-_ZN7rocprim17ROCPRIM_400000_NS6detail17trampoline_kernelINS0_14default_configENS1_29reduce_by_key_config_selectorIllN6thrust23THRUST_200600_302600_NS4plusIlEEEEZZNS1_33reduce_by_key_impl_wrapped_configILNS1_25lookback_scan_determinismE0ES3_S9_NS6_18transform_iteratorI6div_opNS6_17counting_iteratorIlNS6_11use_defaultESF_SF_EESF_SF_EENSC_I6mod_opSG_SF_SF_EENS6_6detail15normal_iteratorINS6_10device_ptrIlEEEESO_PmS8_NS6_8equal_toIlEEEE10hipError_tPvRmT2_T3_mT4_T5_T6_T7_T8_P12ihipStream_tbENKUlT_T0_E_clISt17integral_constantIbLb0EES18_IbLb1EEEEDaS14_S15_EUlS14_E_NS1_11comp_targetILNS1_3genE4ELNS1_11target_archE910ELNS1_3gpuE8ELNS1_3repE0EEENS1_30default_config_static_selectorELNS0_4arch9wavefront6targetE1EEEvT1_
                                        ; -- End function
	.section	.AMDGPU.csdata,"",@progbits
; Kernel info:
; codeLenInByte = 67932
; NumSgprs: 85
; NumVgprs: 118
; NumAgprs: 0
; TotalNumVgprs: 118
; ScratchSize: 0
; MemoryBound: 0
; FloatMode: 240
; IeeeMode: 1
; LDSByteSize: 30720 bytes/workgroup (compile time only)
; SGPRBlocks: 10
; VGPRBlocks: 14
; NumSGPRsForWavesPerEU: 85
; NumVGPRsForWavesPerEU: 118
; AccumOffset: 120
; Occupancy: 2
; WaveLimiterHint : 1
; COMPUTE_PGM_RSRC2:SCRATCH_EN: 0
; COMPUTE_PGM_RSRC2:USER_SGPR: 6
; COMPUTE_PGM_RSRC2:TRAP_HANDLER: 0
; COMPUTE_PGM_RSRC2:TGID_X_EN: 1
; COMPUTE_PGM_RSRC2:TGID_Y_EN: 0
; COMPUTE_PGM_RSRC2:TGID_Z_EN: 0
; COMPUTE_PGM_RSRC2:TIDIG_COMP_CNT: 0
; COMPUTE_PGM_RSRC3_GFX90A:ACCUM_OFFSET: 29
; COMPUTE_PGM_RSRC3_GFX90A:TG_SPLIT: 0
	.section	.text._ZN7rocprim17ROCPRIM_400000_NS6detail17trampoline_kernelINS0_14default_configENS1_29reduce_by_key_config_selectorIllN6thrust23THRUST_200600_302600_NS4plusIlEEEEZZNS1_33reduce_by_key_impl_wrapped_configILNS1_25lookback_scan_determinismE0ES3_S9_NS6_18transform_iteratorI6div_opNS6_17counting_iteratorIlNS6_11use_defaultESF_SF_EESF_SF_EENSC_I6mod_opSG_SF_SF_EENS6_6detail15normal_iteratorINS6_10device_ptrIlEEEESO_PmS8_NS6_8equal_toIlEEEE10hipError_tPvRmT2_T3_mT4_T5_T6_T7_T8_P12ihipStream_tbENKUlT_T0_E_clISt17integral_constantIbLb0EES18_IbLb1EEEEDaS14_S15_EUlS14_E_NS1_11comp_targetILNS1_3genE3ELNS1_11target_archE908ELNS1_3gpuE7ELNS1_3repE0EEENS1_30default_config_static_selectorELNS0_4arch9wavefront6targetE1EEEvT1_,"axG",@progbits,_ZN7rocprim17ROCPRIM_400000_NS6detail17trampoline_kernelINS0_14default_configENS1_29reduce_by_key_config_selectorIllN6thrust23THRUST_200600_302600_NS4plusIlEEEEZZNS1_33reduce_by_key_impl_wrapped_configILNS1_25lookback_scan_determinismE0ES3_S9_NS6_18transform_iteratorI6div_opNS6_17counting_iteratorIlNS6_11use_defaultESF_SF_EESF_SF_EENSC_I6mod_opSG_SF_SF_EENS6_6detail15normal_iteratorINS6_10device_ptrIlEEEESO_PmS8_NS6_8equal_toIlEEEE10hipError_tPvRmT2_T3_mT4_T5_T6_T7_T8_P12ihipStream_tbENKUlT_T0_E_clISt17integral_constantIbLb0EES18_IbLb1EEEEDaS14_S15_EUlS14_E_NS1_11comp_targetILNS1_3genE3ELNS1_11target_archE908ELNS1_3gpuE7ELNS1_3repE0EEENS1_30default_config_static_selectorELNS0_4arch9wavefront6targetE1EEEvT1_,comdat
	.protected	_ZN7rocprim17ROCPRIM_400000_NS6detail17trampoline_kernelINS0_14default_configENS1_29reduce_by_key_config_selectorIllN6thrust23THRUST_200600_302600_NS4plusIlEEEEZZNS1_33reduce_by_key_impl_wrapped_configILNS1_25lookback_scan_determinismE0ES3_S9_NS6_18transform_iteratorI6div_opNS6_17counting_iteratorIlNS6_11use_defaultESF_SF_EESF_SF_EENSC_I6mod_opSG_SF_SF_EENS6_6detail15normal_iteratorINS6_10device_ptrIlEEEESO_PmS8_NS6_8equal_toIlEEEE10hipError_tPvRmT2_T3_mT4_T5_T6_T7_T8_P12ihipStream_tbENKUlT_T0_E_clISt17integral_constantIbLb0EES18_IbLb1EEEEDaS14_S15_EUlS14_E_NS1_11comp_targetILNS1_3genE3ELNS1_11target_archE908ELNS1_3gpuE7ELNS1_3repE0EEENS1_30default_config_static_selectorELNS0_4arch9wavefront6targetE1EEEvT1_ ; -- Begin function _ZN7rocprim17ROCPRIM_400000_NS6detail17trampoline_kernelINS0_14default_configENS1_29reduce_by_key_config_selectorIllN6thrust23THRUST_200600_302600_NS4plusIlEEEEZZNS1_33reduce_by_key_impl_wrapped_configILNS1_25lookback_scan_determinismE0ES3_S9_NS6_18transform_iteratorI6div_opNS6_17counting_iteratorIlNS6_11use_defaultESF_SF_EESF_SF_EENSC_I6mod_opSG_SF_SF_EENS6_6detail15normal_iteratorINS6_10device_ptrIlEEEESO_PmS8_NS6_8equal_toIlEEEE10hipError_tPvRmT2_T3_mT4_T5_T6_T7_T8_P12ihipStream_tbENKUlT_T0_E_clISt17integral_constantIbLb0EES18_IbLb1EEEEDaS14_S15_EUlS14_E_NS1_11comp_targetILNS1_3genE3ELNS1_11target_archE908ELNS1_3gpuE7ELNS1_3repE0EEENS1_30default_config_static_selectorELNS0_4arch9wavefront6targetE1EEEvT1_
	.globl	_ZN7rocprim17ROCPRIM_400000_NS6detail17trampoline_kernelINS0_14default_configENS1_29reduce_by_key_config_selectorIllN6thrust23THRUST_200600_302600_NS4plusIlEEEEZZNS1_33reduce_by_key_impl_wrapped_configILNS1_25lookback_scan_determinismE0ES3_S9_NS6_18transform_iteratorI6div_opNS6_17counting_iteratorIlNS6_11use_defaultESF_SF_EESF_SF_EENSC_I6mod_opSG_SF_SF_EENS6_6detail15normal_iteratorINS6_10device_ptrIlEEEESO_PmS8_NS6_8equal_toIlEEEE10hipError_tPvRmT2_T3_mT4_T5_T6_T7_T8_P12ihipStream_tbENKUlT_T0_E_clISt17integral_constantIbLb0EES18_IbLb1EEEEDaS14_S15_EUlS14_E_NS1_11comp_targetILNS1_3genE3ELNS1_11target_archE908ELNS1_3gpuE7ELNS1_3repE0EEENS1_30default_config_static_selectorELNS0_4arch9wavefront6targetE1EEEvT1_
	.p2align	8
	.type	_ZN7rocprim17ROCPRIM_400000_NS6detail17trampoline_kernelINS0_14default_configENS1_29reduce_by_key_config_selectorIllN6thrust23THRUST_200600_302600_NS4plusIlEEEEZZNS1_33reduce_by_key_impl_wrapped_configILNS1_25lookback_scan_determinismE0ES3_S9_NS6_18transform_iteratorI6div_opNS6_17counting_iteratorIlNS6_11use_defaultESF_SF_EESF_SF_EENSC_I6mod_opSG_SF_SF_EENS6_6detail15normal_iteratorINS6_10device_ptrIlEEEESO_PmS8_NS6_8equal_toIlEEEE10hipError_tPvRmT2_T3_mT4_T5_T6_T7_T8_P12ihipStream_tbENKUlT_T0_E_clISt17integral_constantIbLb0EES18_IbLb1EEEEDaS14_S15_EUlS14_E_NS1_11comp_targetILNS1_3genE3ELNS1_11target_archE908ELNS1_3gpuE7ELNS1_3repE0EEENS1_30default_config_static_selectorELNS0_4arch9wavefront6targetE1EEEvT1_,@function
_ZN7rocprim17ROCPRIM_400000_NS6detail17trampoline_kernelINS0_14default_configENS1_29reduce_by_key_config_selectorIllN6thrust23THRUST_200600_302600_NS4plusIlEEEEZZNS1_33reduce_by_key_impl_wrapped_configILNS1_25lookback_scan_determinismE0ES3_S9_NS6_18transform_iteratorI6div_opNS6_17counting_iteratorIlNS6_11use_defaultESF_SF_EESF_SF_EENSC_I6mod_opSG_SF_SF_EENS6_6detail15normal_iteratorINS6_10device_ptrIlEEEESO_PmS8_NS6_8equal_toIlEEEE10hipError_tPvRmT2_T3_mT4_T5_T6_T7_T8_P12ihipStream_tbENKUlT_T0_E_clISt17integral_constantIbLb0EES18_IbLb1EEEEDaS14_S15_EUlS14_E_NS1_11comp_targetILNS1_3genE3ELNS1_11target_archE908ELNS1_3gpuE7ELNS1_3repE0EEENS1_30default_config_static_selectorELNS0_4arch9wavefront6targetE1EEEvT1_: ; @_ZN7rocprim17ROCPRIM_400000_NS6detail17trampoline_kernelINS0_14default_configENS1_29reduce_by_key_config_selectorIllN6thrust23THRUST_200600_302600_NS4plusIlEEEEZZNS1_33reduce_by_key_impl_wrapped_configILNS1_25lookback_scan_determinismE0ES3_S9_NS6_18transform_iteratorI6div_opNS6_17counting_iteratorIlNS6_11use_defaultESF_SF_EESF_SF_EENSC_I6mod_opSG_SF_SF_EENS6_6detail15normal_iteratorINS6_10device_ptrIlEEEESO_PmS8_NS6_8equal_toIlEEEE10hipError_tPvRmT2_T3_mT4_T5_T6_T7_T8_P12ihipStream_tbENKUlT_T0_E_clISt17integral_constantIbLb0EES18_IbLb1EEEEDaS14_S15_EUlS14_E_NS1_11comp_targetILNS1_3genE3ELNS1_11target_archE908ELNS1_3gpuE7ELNS1_3repE0EEENS1_30default_config_static_selectorELNS0_4arch9wavefront6targetE1EEEvT1_
; %bb.0:
	.section	.rodata,"a",@progbits
	.p2align	6, 0x0
	.amdhsa_kernel _ZN7rocprim17ROCPRIM_400000_NS6detail17trampoline_kernelINS0_14default_configENS1_29reduce_by_key_config_selectorIllN6thrust23THRUST_200600_302600_NS4plusIlEEEEZZNS1_33reduce_by_key_impl_wrapped_configILNS1_25lookback_scan_determinismE0ES3_S9_NS6_18transform_iteratorI6div_opNS6_17counting_iteratorIlNS6_11use_defaultESF_SF_EESF_SF_EENSC_I6mod_opSG_SF_SF_EENS6_6detail15normal_iteratorINS6_10device_ptrIlEEEESO_PmS8_NS6_8equal_toIlEEEE10hipError_tPvRmT2_T3_mT4_T5_T6_T7_T8_P12ihipStream_tbENKUlT_T0_E_clISt17integral_constantIbLb0EES18_IbLb1EEEEDaS14_S15_EUlS14_E_NS1_11comp_targetILNS1_3genE3ELNS1_11target_archE908ELNS1_3gpuE7ELNS1_3repE0EEENS1_30default_config_static_selectorELNS0_4arch9wavefront6targetE1EEEvT1_
		.amdhsa_group_segment_fixed_size 0
		.amdhsa_private_segment_fixed_size 0
		.amdhsa_kernarg_size 152
		.amdhsa_user_sgpr_count 6
		.amdhsa_user_sgpr_private_segment_buffer 1
		.amdhsa_user_sgpr_dispatch_ptr 0
		.amdhsa_user_sgpr_queue_ptr 0
		.amdhsa_user_sgpr_kernarg_segment_ptr 1
		.amdhsa_user_sgpr_dispatch_id 0
		.amdhsa_user_sgpr_flat_scratch_init 0
		.amdhsa_user_sgpr_kernarg_preload_length 0
		.amdhsa_user_sgpr_kernarg_preload_offset 0
		.amdhsa_user_sgpr_private_segment_size 0
		.amdhsa_uses_dynamic_stack 0
		.amdhsa_system_sgpr_private_segment_wavefront_offset 0
		.amdhsa_system_sgpr_workgroup_id_x 1
		.amdhsa_system_sgpr_workgroup_id_y 0
		.amdhsa_system_sgpr_workgroup_id_z 0
		.amdhsa_system_sgpr_workgroup_info 0
		.amdhsa_system_vgpr_workitem_id 0
		.amdhsa_next_free_vgpr 1
		.amdhsa_next_free_sgpr 0
		.amdhsa_accum_offset 4
		.amdhsa_reserve_vcc 0
		.amdhsa_reserve_flat_scratch 0
		.amdhsa_float_round_mode_32 0
		.amdhsa_float_round_mode_16_64 0
		.amdhsa_float_denorm_mode_32 3
		.amdhsa_float_denorm_mode_16_64 3
		.amdhsa_dx10_clamp 1
		.amdhsa_ieee_mode 1
		.amdhsa_fp16_overflow 0
		.amdhsa_tg_split 0
		.amdhsa_exception_fp_ieee_invalid_op 0
		.amdhsa_exception_fp_denorm_src 0
		.amdhsa_exception_fp_ieee_div_zero 0
		.amdhsa_exception_fp_ieee_overflow 0
		.amdhsa_exception_fp_ieee_underflow 0
		.amdhsa_exception_fp_ieee_inexact 0
		.amdhsa_exception_int_div_zero 0
	.end_amdhsa_kernel
	.section	.text._ZN7rocprim17ROCPRIM_400000_NS6detail17trampoline_kernelINS0_14default_configENS1_29reduce_by_key_config_selectorIllN6thrust23THRUST_200600_302600_NS4plusIlEEEEZZNS1_33reduce_by_key_impl_wrapped_configILNS1_25lookback_scan_determinismE0ES3_S9_NS6_18transform_iteratorI6div_opNS6_17counting_iteratorIlNS6_11use_defaultESF_SF_EESF_SF_EENSC_I6mod_opSG_SF_SF_EENS6_6detail15normal_iteratorINS6_10device_ptrIlEEEESO_PmS8_NS6_8equal_toIlEEEE10hipError_tPvRmT2_T3_mT4_T5_T6_T7_T8_P12ihipStream_tbENKUlT_T0_E_clISt17integral_constantIbLb0EES18_IbLb1EEEEDaS14_S15_EUlS14_E_NS1_11comp_targetILNS1_3genE3ELNS1_11target_archE908ELNS1_3gpuE7ELNS1_3repE0EEENS1_30default_config_static_selectorELNS0_4arch9wavefront6targetE1EEEvT1_,"axG",@progbits,_ZN7rocprim17ROCPRIM_400000_NS6detail17trampoline_kernelINS0_14default_configENS1_29reduce_by_key_config_selectorIllN6thrust23THRUST_200600_302600_NS4plusIlEEEEZZNS1_33reduce_by_key_impl_wrapped_configILNS1_25lookback_scan_determinismE0ES3_S9_NS6_18transform_iteratorI6div_opNS6_17counting_iteratorIlNS6_11use_defaultESF_SF_EESF_SF_EENSC_I6mod_opSG_SF_SF_EENS6_6detail15normal_iteratorINS6_10device_ptrIlEEEESO_PmS8_NS6_8equal_toIlEEEE10hipError_tPvRmT2_T3_mT4_T5_T6_T7_T8_P12ihipStream_tbENKUlT_T0_E_clISt17integral_constantIbLb0EES18_IbLb1EEEEDaS14_S15_EUlS14_E_NS1_11comp_targetILNS1_3genE3ELNS1_11target_archE908ELNS1_3gpuE7ELNS1_3repE0EEENS1_30default_config_static_selectorELNS0_4arch9wavefront6targetE1EEEvT1_,comdat
.Lfunc_end1165:
	.size	_ZN7rocprim17ROCPRIM_400000_NS6detail17trampoline_kernelINS0_14default_configENS1_29reduce_by_key_config_selectorIllN6thrust23THRUST_200600_302600_NS4plusIlEEEEZZNS1_33reduce_by_key_impl_wrapped_configILNS1_25lookback_scan_determinismE0ES3_S9_NS6_18transform_iteratorI6div_opNS6_17counting_iteratorIlNS6_11use_defaultESF_SF_EESF_SF_EENSC_I6mod_opSG_SF_SF_EENS6_6detail15normal_iteratorINS6_10device_ptrIlEEEESO_PmS8_NS6_8equal_toIlEEEE10hipError_tPvRmT2_T3_mT4_T5_T6_T7_T8_P12ihipStream_tbENKUlT_T0_E_clISt17integral_constantIbLb0EES18_IbLb1EEEEDaS14_S15_EUlS14_E_NS1_11comp_targetILNS1_3genE3ELNS1_11target_archE908ELNS1_3gpuE7ELNS1_3repE0EEENS1_30default_config_static_selectorELNS0_4arch9wavefront6targetE1EEEvT1_, .Lfunc_end1165-_ZN7rocprim17ROCPRIM_400000_NS6detail17trampoline_kernelINS0_14default_configENS1_29reduce_by_key_config_selectorIllN6thrust23THRUST_200600_302600_NS4plusIlEEEEZZNS1_33reduce_by_key_impl_wrapped_configILNS1_25lookback_scan_determinismE0ES3_S9_NS6_18transform_iteratorI6div_opNS6_17counting_iteratorIlNS6_11use_defaultESF_SF_EESF_SF_EENSC_I6mod_opSG_SF_SF_EENS6_6detail15normal_iteratorINS6_10device_ptrIlEEEESO_PmS8_NS6_8equal_toIlEEEE10hipError_tPvRmT2_T3_mT4_T5_T6_T7_T8_P12ihipStream_tbENKUlT_T0_E_clISt17integral_constantIbLb0EES18_IbLb1EEEEDaS14_S15_EUlS14_E_NS1_11comp_targetILNS1_3genE3ELNS1_11target_archE908ELNS1_3gpuE7ELNS1_3repE0EEENS1_30default_config_static_selectorELNS0_4arch9wavefront6targetE1EEEvT1_
                                        ; -- End function
	.section	.AMDGPU.csdata,"",@progbits
; Kernel info:
; codeLenInByte = 0
; NumSgprs: 4
; NumVgprs: 0
; NumAgprs: 0
; TotalNumVgprs: 0
; ScratchSize: 0
; MemoryBound: 0
; FloatMode: 240
; IeeeMode: 1
; LDSByteSize: 0 bytes/workgroup (compile time only)
; SGPRBlocks: 0
; VGPRBlocks: 0
; NumSGPRsForWavesPerEU: 4
; NumVGPRsForWavesPerEU: 1
; AccumOffset: 4
; Occupancy: 8
; WaveLimiterHint : 0
; COMPUTE_PGM_RSRC2:SCRATCH_EN: 0
; COMPUTE_PGM_RSRC2:USER_SGPR: 6
; COMPUTE_PGM_RSRC2:TRAP_HANDLER: 0
; COMPUTE_PGM_RSRC2:TGID_X_EN: 1
; COMPUTE_PGM_RSRC2:TGID_Y_EN: 0
; COMPUTE_PGM_RSRC2:TGID_Z_EN: 0
; COMPUTE_PGM_RSRC2:TIDIG_COMP_CNT: 0
; COMPUTE_PGM_RSRC3_GFX90A:ACCUM_OFFSET: 0
; COMPUTE_PGM_RSRC3_GFX90A:TG_SPLIT: 0
	.section	.text._ZN7rocprim17ROCPRIM_400000_NS6detail17trampoline_kernelINS0_14default_configENS1_29reduce_by_key_config_selectorIllN6thrust23THRUST_200600_302600_NS4plusIlEEEEZZNS1_33reduce_by_key_impl_wrapped_configILNS1_25lookback_scan_determinismE0ES3_S9_NS6_18transform_iteratorI6div_opNS6_17counting_iteratorIlNS6_11use_defaultESF_SF_EESF_SF_EENSC_I6mod_opSG_SF_SF_EENS6_6detail15normal_iteratorINS6_10device_ptrIlEEEESO_PmS8_NS6_8equal_toIlEEEE10hipError_tPvRmT2_T3_mT4_T5_T6_T7_T8_P12ihipStream_tbENKUlT_T0_E_clISt17integral_constantIbLb0EES18_IbLb1EEEEDaS14_S15_EUlS14_E_NS1_11comp_targetILNS1_3genE2ELNS1_11target_archE906ELNS1_3gpuE6ELNS1_3repE0EEENS1_30default_config_static_selectorELNS0_4arch9wavefront6targetE1EEEvT1_,"axG",@progbits,_ZN7rocprim17ROCPRIM_400000_NS6detail17trampoline_kernelINS0_14default_configENS1_29reduce_by_key_config_selectorIllN6thrust23THRUST_200600_302600_NS4plusIlEEEEZZNS1_33reduce_by_key_impl_wrapped_configILNS1_25lookback_scan_determinismE0ES3_S9_NS6_18transform_iteratorI6div_opNS6_17counting_iteratorIlNS6_11use_defaultESF_SF_EESF_SF_EENSC_I6mod_opSG_SF_SF_EENS6_6detail15normal_iteratorINS6_10device_ptrIlEEEESO_PmS8_NS6_8equal_toIlEEEE10hipError_tPvRmT2_T3_mT4_T5_T6_T7_T8_P12ihipStream_tbENKUlT_T0_E_clISt17integral_constantIbLb0EES18_IbLb1EEEEDaS14_S15_EUlS14_E_NS1_11comp_targetILNS1_3genE2ELNS1_11target_archE906ELNS1_3gpuE6ELNS1_3repE0EEENS1_30default_config_static_selectorELNS0_4arch9wavefront6targetE1EEEvT1_,comdat
	.protected	_ZN7rocprim17ROCPRIM_400000_NS6detail17trampoline_kernelINS0_14default_configENS1_29reduce_by_key_config_selectorIllN6thrust23THRUST_200600_302600_NS4plusIlEEEEZZNS1_33reduce_by_key_impl_wrapped_configILNS1_25lookback_scan_determinismE0ES3_S9_NS6_18transform_iteratorI6div_opNS6_17counting_iteratorIlNS6_11use_defaultESF_SF_EESF_SF_EENSC_I6mod_opSG_SF_SF_EENS6_6detail15normal_iteratorINS6_10device_ptrIlEEEESO_PmS8_NS6_8equal_toIlEEEE10hipError_tPvRmT2_T3_mT4_T5_T6_T7_T8_P12ihipStream_tbENKUlT_T0_E_clISt17integral_constantIbLb0EES18_IbLb1EEEEDaS14_S15_EUlS14_E_NS1_11comp_targetILNS1_3genE2ELNS1_11target_archE906ELNS1_3gpuE6ELNS1_3repE0EEENS1_30default_config_static_selectorELNS0_4arch9wavefront6targetE1EEEvT1_ ; -- Begin function _ZN7rocprim17ROCPRIM_400000_NS6detail17trampoline_kernelINS0_14default_configENS1_29reduce_by_key_config_selectorIllN6thrust23THRUST_200600_302600_NS4plusIlEEEEZZNS1_33reduce_by_key_impl_wrapped_configILNS1_25lookback_scan_determinismE0ES3_S9_NS6_18transform_iteratorI6div_opNS6_17counting_iteratorIlNS6_11use_defaultESF_SF_EESF_SF_EENSC_I6mod_opSG_SF_SF_EENS6_6detail15normal_iteratorINS6_10device_ptrIlEEEESO_PmS8_NS6_8equal_toIlEEEE10hipError_tPvRmT2_T3_mT4_T5_T6_T7_T8_P12ihipStream_tbENKUlT_T0_E_clISt17integral_constantIbLb0EES18_IbLb1EEEEDaS14_S15_EUlS14_E_NS1_11comp_targetILNS1_3genE2ELNS1_11target_archE906ELNS1_3gpuE6ELNS1_3repE0EEENS1_30default_config_static_selectorELNS0_4arch9wavefront6targetE1EEEvT1_
	.globl	_ZN7rocprim17ROCPRIM_400000_NS6detail17trampoline_kernelINS0_14default_configENS1_29reduce_by_key_config_selectorIllN6thrust23THRUST_200600_302600_NS4plusIlEEEEZZNS1_33reduce_by_key_impl_wrapped_configILNS1_25lookback_scan_determinismE0ES3_S9_NS6_18transform_iteratorI6div_opNS6_17counting_iteratorIlNS6_11use_defaultESF_SF_EESF_SF_EENSC_I6mod_opSG_SF_SF_EENS6_6detail15normal_iteratorINS6_10device_ptrIlEEEESO_PmS8_NS6_8equal_toIlEEEE10hipError_tPvRmT2_T3_mT4_T5_T6_T7_T8_P12ihipStream_tbENKUlT_T0_E_clISt17integral_constantIbLb0EES18_IbLb1EEEEDaS14_S15_EUlS14_E_NS1_11comp_targetILNS1_3genE2ELNS1_11target_archE906ELNS1_3gpuE6ELNS1_3repE0EEENS1_30default_config_static_selectorELNS0_4arch9wavefront6targetE1EEEvT1_
	.p2align	8
	.type	_ZN7rocprim17ROCPRIM_400000_NS6detail17trampoline_kernelINS0_14default_configENS1_29reduce_by_key_config_selectorIllN6thrust23THRUST_200600_302600_NS4plusIlEEEEZZNS1_33reduce_by_key_impl_wrapped_configILNS1_25lookback_scan_determinismE0ES3_S9_NS6_18transform_iteratorI6div_opNS6_17counting_iteratorIlNS6_11use_defaultESF_SF_EESF_SF_EENSC_I6mod_opSG_SF_SF_EENS6_6detail15normal_iteratorINS6_10device_ptrIlEEEESO_PmS8_NS6_8equal_toIlEEEE10hipError_tPvRmT2_T3_mT4_T5_T6_T7_T8_P12ihipStream_tbENKUlT_T0_E_clISt17integral_constantIbLb0EES18_IbLb1EEEEDaS14_S15_EUlS14_E_NS1_11comp_targetILNS1_3genE2ELNS1_11target_archE906ELNS1_3gpuE6ELNS1_3repE0EEENS1_30default_config_static_selectorELNS0_4arch9wavefront6targetE1EEEvT1_,@function
_ZN7rocprim17ROCPRIM_400000_NS6detail17trampoline_kernelINS0_14default_configENS1_29reduce_by_key_config_selectorIllN6thrust23THRUST_200600_302600_NS4plusIlEEEEZZNS1_33reduce_by_key_impl_wrapped_configILNS1_25lookback_scan_determinismE0ES3_S9_NS6_18transform_iteratorI6div_opNS6_17counting_iteratorIlNS6_11use_defaultESF_SF_EESF_SF_EENSC_I6mod_opSG_SF_SF_EENS6_6detail15normal_iteratorINS6_10device_ptrIlEEEESO_PmS8_NS6_8equal_toIlEEEE10hipError_tPvRmT2_T3_mT4_T5_T6_T7_T8_P12ihipStream_tbENKUlT_T0_E_clISt17integral_constantIbLb0EES18_IbLb1EEEEDaS14_S15_EUlS14_E_NS1_11comp_targetILNS1_3genE2ELNS1_11target_archE906ELNS1_3gpuE6ELNS1_3repE0EEENS1_30default_config_static_selectorELNS0_4arch9wavefront6targetE1EEEvT1_: ; @_ZN7rocprim17ROCPRIM_400000_NS6detail17trampoline_kernelINS0_14default_configENS1_29reduce_by_key_config_selectorIllN6thrust23THRUST_200600_302600_NS4plusIlEEEEZZNS1_33reduce_by_key_impl_wrapped_configILNS1_25lookback_scan_determinismE0ES3_S9_NS6_18transform_iteratorI6div_opNS6_17counting_iteratorIlNS6_11use_defaultESF_SF_EESF_SF_EENSC_I6mod_opSG_SF_SF_EENS6_6detail15normal_iteratorINS6_10device_ptrIlEEEESO_PmS8_NS6_8equal_toIlEEEE10hipError_tPvRmT2_T3_mT4_T5_T6_T7_T8_P12ihipStream_tbENKUlT_T0_E_clISt17integral_constantIbLb0EES18_IbLb1EEEEDaS14_S15_EUlS14_E_NS1_11comp_targetILNS1_3genE2ELNS1_11target_archE906ELNS1_3gpuE6ELNS1_3repE0EEENS1_30default_config_static_selectorELNS0_4arch9wavefront6targetE1EEEvT1_
; %bb.0:
	.section	.rodata,"a",@progbits
	.p2align	6, 0x0
	.amdhsa_kernel _ZN7rocprim17ROCPRIM_400000_NS6detail17trampoline_kernelINS0_14default_configENS1_29reduce_by_key_config_selectorIllN6thrust23THRUST_200600_302600_NS4plusIlEEEEZZNS1_33reduce_by_key_impl_wrapped_configILNS1_25lookback_scan_determinismE0ES3_S9_NS6_18transform_iteratorI6div_opNS6_17counting_iteratorIlNS6_11use_defaultESF_SF_EESF_SF_EENSC_I6mod_opSG_SF_SF_EENS6_6detail15normal_iteratorINS6_10device_ptrIlEEEESO_PmS8_NS6_8equal_toIlEEEE10hipError_tPvRmT2_T3_mT4_T5_T6_T7_T8_P12ihipStream_tbENKUlT_T0_E_clISt17integral_constantIbLb0EES18_IbLb1EEEEDaS14_S15_EUlS14_E_NS1_11comp_targetILNS1_3genE2ELNS1_11target_archE906ELNS1_3gpuE6ELNS1_3repE0EEENS1_30default_config_static_selectorELNS0_4arch9wavefront6targetE1EEEvT1_
		.amdhsa_group_segment_fixed_size 0
		.amdhsa_private_segment_fixed_size 0
		.amdhsa_kernarg_size 152
		.amdhsa_user_sgpr_count 6
		.amdhsa_user_sgpr_private_segment_buffer 1
		.amdhsa_user_sgpr_dispatch_ptr 0
		.amdhsa_user_sgpr_queue_ptr 0
		.amdhsa_user_sgpr_kernarg_segment_ptr 1
		.amdhsa_user_sgpr_dispatch_id 0
		.amdhsa_user_sgpr_flat_scratch_init 0
		.amdhsa_user_sgpr_kernarg_preload_length 0
		.amdhsa_user_sgpr_kernarg_preload_offset 0
		.amdhsa_user_sgpr_private_segment_size 0
		.amdhsa_uses_dynamic_stack 0
		.amdhsa_system_sgpr_private_segment_wavefront_offset 0
		.amdhsa_system_sgpr_workgroup_id_x 1
		.amdhsa_system_sgpr_workgroup_id_y 0
		.amdhsa_system_sgpr_workgroup_id_z 0
		.amdhsa_system_sgpr_workgroup_info 0
		.amdhsa_system_vgpr_workitem_id 0
		.amdhsa_next_free_vgpr 1
		.amdhsa_next_free_sgpr 0
		.amdhsa_accum_offset 4
		.amdhsa_reserve_vcc 0
		.amdhsa_reserve_flat_scratch 0
		.amdhsa_float_round_mode_32 0
		.amdhsa_float_round_mode_16_64 0
		.amdhsa_float_denorm_mode_32 3
		.amdhsa_float_denorm_mode_16_64 3
		.amdhsa_dx10_clamp 1
		.amdhsa_ieee_mode 1
		.amdhsa_fp16_overflow 0
		.amdhsa_tg_split 0
		.amdhsa_exception_fp_ieee_invalid_op 0
		.amdhsa_exception_fp_denorm_src 0
		.amdhsa_exception_fp_ieee_div_zero 0
		.amdhsa_exception_fp_ieee_overflow 0
		.amdhsa_exception_fp_ieee_underflow 0
		.amdhsa_exception_fp_ieee_inexact 0
		.amdhsa_exception_int_div_zero 0
	.end_amdhsa_kernel
	.section	.text._ZN7rocprim17ROCPRIM_400000_NS6detail17trampoline_kernelINS0_14default_configENS1_29reduce_by_key_config_selectorIllN6thrust23THRUST_200600_302600_NS4plusIlEEEEZZNS1_33reduce_by_key_impl_wrapped_configILNS1_25lookback_scan_determinismE0ES3_S9_NS6_18transform_iteratorI6div_opNS6_17counting_iteratorIlNS6_11use_defaultESF_SF_EESF_SF_EENSC_I6mod_opSG_SF_SF_EENS6_6detail15normal_iteratorINS6_10device_ptrIlEEEESO_PmS8_NS6_8equal_toIlEEEE10hipError_tPvRmT2_T3_mT4_T5_T6_T7_T8_P12ihipStream_tbENKUlT_T0_E_clISt17integral_constantIbLb0EES18_IbLb1EEEEDaS14_S15_EUlS14_E_NS1_11comp_targetILNS1_3genE2ELNS1_11target_archE906ELNS1_3gpuE6ELNS1_3repE0EEENS1_30default_config_static_selectorELNS0_4arch9wavefront6targetE1EEEvT1_,"axG",@progbits,_ZN7rocprim17ROCPRIM_400000_NS6detail17trampoline_kernelINS0_14default_configENS1_29reduce_by_key_config_selectorIllN6thrust23THRUST_200600_302600_NS4plusIlEEEEZZNS1_33reduce_by_key_impl_wrapped_configILNS1_25lookback_scan_determinismE0ES3_S9_NS6_18transform_iteratorI6div_opNS6_17counting_iteratorIlNS6_11use_defaultESF_SF_EESF_SF_EENSC_I6mod_opSG_SF_SF_EENS6_6detail15normal_iteratorINS6_10device_ptrIlEEEESO_PmS8_NS6_8equal_toIlEEEE10hipError_tPvRmT2_T3_mT4_T5_T6_T7_T8_P12ihipStream_tbENKUlT_T0_E_clISt17integral_constantIbLb0EES18_IbLb1EEEEDaS14_S15_EUlS14_E_NS1_11comp_targetILNS1_3genE2ELNS1_11target_archE906ELNS1_3gpuE6ELNS1_3repE0EEENS1_30default_config_static_selectorELNS0_4arch9wavefront6targetE1EEEvT1_,comdat
.Lfunc_end1166:
	.size	_ZN7rocprim17ROCPRIM_400000_NS6detail17trampoline_kernelINS0_14default_configENS1_29reduce_by_key_config_selectorIllN6thrust23THRUST_200600_302600_NS4plusIlEEEEZZNS1_33reduce_by_key_impl_wrapped_configILNS1_25lookback_scan_determinismE0ES3_S9_NS6_18transform_iteratorI6div_opNS6_17counting_iteratorIlNS6_11use_defaultESF_SF_EESF_SF_EENSC_I6mod_opSG_SF_SF_EENS6_6detail15normal_iteratorINS6_10device_ptrIlEEEESO_PmS8_NS6_8equal_toIlEEEE10hipError_tPvRmT2_T3_mT4_T5_T6_T7_T8_P12ihipStream_tbENKUlT_T0_E_clISt17integral_constantIbLb0EES18_IbLb1EEEEDaS14_S15_EUlS14_E_NS1_11comp_targetILNS1_3genE2ELNS1_11target_archE906ELNS1_3gpuE6ELNS1_3repE0EEENS1_30default_config_static_selectorELNS0_4arch9wavefront6targetE1EEEvT1_, .Lfunc_end1166-_ZN7rocprim17ROCPRIM_400000_NS6detail17trampoline_kernelINS0_14default_configENS1_29reduce_by_key_config_selectorIllN6thrust23THRUST_200600_302600_NS4plusIlEEEEZZNS1_33reduce_by_key_impl_wrapped_configILNS1_25lookback_scan_determinismE0ES3_S9_NS6_18transform_iteratorI6div_opNS6_17counting_iteratorIlNS6_11use_defaultESF_SF_EESF_SF_EENSC_I6mod_opSG_SF_SF_EENS6_6detail15normal_iteratorINS6_10device_ptrIlEEEESO_PmS8_NS6_8equal_toIlEEEE10hipError_tPvRmT2_T3_mT4_T5_T6_T7_T8_P12ihipStream_tbENKUlT_T0_E_clISt17integral_constantIbLb0EES18_IbLb1EEEEDaS14_S15_EUlS14_E_NS1_11comp_targetILNS1_3genE2ELNS1_11target_archE906ELNS1_3gpuE6ELNS1_3repE0EEENS1_30default_config_static_selectorELNS0_4arch9wavefront6targetE1EEEvT1_
                                        ; -- End function
	.section	.AMDGPU.csdata,"",@progbits
; Kernel info:
; codeLenInByte = 0
; NumSgprs: 4
; NumVgprs: 0
; NumAgprs: 0
; TotalNumVgprs: 0
; ScratchSize: 0
; MemoryBound: 0
; FloatMode: 240
; IeeeMode: 1
; LDSByteSize: 0 bytes/workgroup (compile time only)
; SGPRBlocks: 0
; VGPRBlocks: 0
; NumSGPRsForWavesPerEU: 4
; NumVGPRsForWavesPerEU: 1
; AccumOffset: 4
; Occupancy: 8
; WaveLimiterHint : 0
; COMPUTE_PGM_RSRC2:SCRATCH_EN: 0
; COMPUTE_PGM_RSRC2:USER_SGPR: 6
; COMPUTE_PGM_RSRC2:TRAP_HANDLER: 0
; COMPUTE_PGM_RSRC2:TGID_X_EN: 1
; COMPUTE_PGM_RSRC2:TGID_Y_EN: 0
; COMPUTE_PGM_RSRC2:TGID_Z_EN: 0
; COMPUTE_PGM_RSRC2:TIDIG_COMP_CNT: 0
; COMPUTE_PGM_RSRC3_GFX90A:ACCUM_OFFSET: 0
; COMPUTE_PGM_RSRC3_GFX90A:TG_SPLIT: 0
	.section	.text._ZN7rocprim17ROCPRIM_400000_NS6detail17trampoline_kernelINS0_14default_configENS1_29reduce_by_key_config_selectorIllN6thrust23THRUST_200600_302600_NS4plusIlEEEEZZNS1_33reduce_by_key_impl_wrapped_configILNS1_25lookback_scan_determinismE0ES3_S9_NS6_18transform_iteratorI6div_opNS6_17counting_iteratorIlNS6_11use_defaultESF_SF_EESF_SF_EENSC_I6mod_opSG_SF_SF_EENS6_6detail15normal_iteratorINS6_10device_ptrIlEEEESO_PmS8_NS6_8equal_toIlEEEE10hipError_tPvRmT2_T3_mT4_T5_T6_T7_T8_P12ihipStream_tbENKUlT_T0_E_clISt17integral_constantIbLb0EES18_IbLb1EEEEDaS14_S15_EUlS14_E_NS1_11comp_targetILNS1_3genE10ELNS1_11target_archE1201ELNS1_3gpuE5ELNS1_3repE0EEENS1_30default_config_static_selectorELNS0_4arch9wavefront6targetE1EEEvT1_,"axG",@progbits,_ZN7rocprim17ROCPRIM_400000_NS6detail17trampoline_kernelINS0_14default_configENS1_29reduce_by_key_config_selectorIllN6thrust23THRUST_200600_302600_NS4plusIlEEEEZZNS1_33reduce_by_key_impl_wrapped_configILNS1_25lookback_scan_determinismE0ES3_S9_NS6_18transform_iteratorI6div_opNS6_17counting_iteratorIlNS6_11use_defaultESF_SF_EESF_SF_EENSC_I6mod_opSG_SF_SF_EENS6_6detail15normal_iteratorINS6_10device_ptrIlEEEESO_PmS8_NS6_8equal_toIlEEEE10hipError_tPvRmT2_T3_mT4_T5_T6_T7_T8_P12ihipStream_tbENKUlT_T0_E_clISt17integral_constantIbLb0EES18_IbLb1EEEEDaS14_S15_EUlS14_E_NS1_11comp_targetILNS1_3genE10ELNS1_11target_archE1201ELNS1_3gpuE5ELNS1_3repE0EEENS1_30default_config_static_selectorELNS0_4arch9wavefront6targetE1EEEvT1_,comdat
	.protected	_ZN7rocprim17ROCPRIM_400000_NS6detail17trampoline_kernelINS0_14default_configENS1_29reduce_by_key_config_selectorIllN6thrust23THRUST_200600_302600_NS4plusIlEEEEZZNS1_33reduce_by_key_impl_wrapped_configILNS1_25lookback_scan_determinismE0ES3_S9_NS6_18transform_iteratorI6div_opNS6_17counting_iteratorIlNS6_11use_defaultESF_SF_EESF_SF_EENSC_I6mod_opSG_SF_SF_EENS6_6detail15normal_iteratorINS6_10device_ptrIlEEEESO_PmS8_NS6_8equal_toIlEEEE10hipError_tPvRmT2_T3_mT4_T5_T6_T7_T8_P12ihipStream_tbENKUlT_T0_E_clISt17integral_constantIbLb0EES18_IbLb1EEEEDaS14_S15_EUlS14_E_NS1_11comp_targetILNS1_3genE10ELNS1_11target_archE1201ELNS1_3gpuE5ELNS1_3repE0EEENS1_30default_config_static_selectorELNS0_4arch9wavefront6targetE1EEEvT1_ ; -- Begin function _ZN7rocprim17ROCPRIM_400000_NS6detail17trampoline_kernelINS0_14default_configENS1_29reduce_by_key_config_selectorIllN6thrust23THRUST_200600_302600_NS4plusIlEEEEZZNS1_33reduce_by_key_impl_wrapped_configILNS1_25lookback_scan_determinismE0ES3_S9_NS6_18transform_iteratorI6div_opNS6_17counting_iteratorIlNS6_11use_defaultESF_SF_EESF_SF_EENSC_I6mod_opSG_SF_SF_EENS6_6detail15normal_iteratorINS6_10device_ptrIlEEEESO_PmS8_NS6_8equal_toIlEEEE10hipError_tPvRmT2_T3_mT4_T5_T6_T7_T8_P12ihipStream_tbENKUlT_T0_E_clISt17integral_constantIbLb0EES18_IbLb1EEEEDaS14_S15_EUlS14_E_NS1_11comp_targetILNS1_3genE10ELNS1_11target_archE1201ELNS1_3gpuE5ELNS1_3repE0EEENS1_30default_config_static_selectorELNS0_4arch9wavefront6targetE1EEEvT1_
	.globl	_ZN7rocprim17ROCPRIM_400000_NS6detail17trampoline_kernelINS0_14default_configENS1_29reduce_by_key_config_selectorIllN6thrust23THRUST_200600_302600_NS4plusIlEEEEZZNS1_33reduce_by_key_impl_wrapped_configILNS1_25lookback_scan_determinismE0ES3_S9_NS6_18transform_iteratorI6div_opNS6_17counting_iteratorIlNS6_11use_defaultESF_SF_EESF_SF_EENSC_I6mod_opSG_SF_SF_EENS6_6detail15normal_iteratorINS6_10device_ptrIlEEEESO_PmS8_NS6_8equal_toIlEEEE10hipError_tPvRmT2_T3_mT4_T5_T6_T7_T8_P12ihipStream_tbENKUlT_T0_E_clISt17integral_constantIbLb0EES18_IbLb1EEEEDaS14_S15_EUlS14_E_NS1_11comp_targetILNS1_3genE10ELNS1_11target_archE1201ELNS1_3gpuE5ELNS1_3repE0EEENS1_30default_config_static_selectorELNS0_4arch9wavefront6targetE1EEEvT1_
	.p2align	8
	.type	_ZN7rocprim17ROCPRIM_400000_NS6detail17trampoline_kernelINS0_14default_configENS1_29reduce_by_key_config_selectorIllN6thrust23THRUST_200600_302600_NS4plusIlEEEEZZNS1_33reduce_by_key_impl_wrapped_configILNS1_25lookback_scan_determinismE0ES3_S9_NS6_18transform_iteratorI6div_opNS6_17counting_iteratorIlNS6_11use_defaultESF_SF_EESF_SF_EENSC_I6mod_opSG_SF_SF_EENS6_6detail15normal_iteratorINS6_10device_ptrIlEEEESO_PmS8_NS6_8equal_toIlEEEE10hipError_tPvRmT2_T3_mT4_T5_T6_T7_T8_P12ihipStream_tbENKUlT_T0_E_clISt17integral_constantIbLb0EES18_IbLb1EEEEDaS14_S15_EUlS14_E_NS1_11comp_targetILNS1_3genE10ELNS1_11target_archE1201ELNS1_3gpuE5ELNS1_3repE0EEENS1_30default_config_static_selectorELNS0_4arch9wavefront6targetE1EEEvT1_,@function
_ZN7rocprim17ROCPRIM_400000_NS6detail17trampoline_kernelINS0_14default_configENS1_29reduce_by_key_config_selectorIllN6thrust23THRUST_200600_302600_NS4plusIlEEEEZZNS1_33reduce_by_key_impl_wrapped_configILNS1_25lookback_scan_determinismE0ES3_S9_NS6_18transform_iteratorI6div_opNS6_17counting_iteratorIlNS6_11use_defaultESF_SF_EESF_SF_EENSC_I6mod_opSG_SF_SF_EENS6_6detail15normal_iteratorINS6_10device_ptrIlEEEESO_PmS8_NS6_8equal_toIlEEEE10hipError_tPvRmT2_T3_mT4_T5_T6_T7_T8_P12ihipStream_tbENKUlT_T0_E_clISt17integral_constantIbLb0EES18_IbLb1EEEEDaS14_S15_EUlS14_E_NS1_11comp_targetILNS1_3genE10ELNS1_11target_archE1201ELNS1_3gpuE5ELNS1_3repE0EEENS1_30default_config_static_selectorELNS0_4arch9wavefront6targetE1EEEvT1_: ; @_ZN7rocprim17ROCPRIM_400000_NS6detail17trampoline_kernelINS0_14default_configENS1_29reduce_by_key_config_selectorIllN6thrust23THRUST_200600_302600_NS4plusIlEEEEZZNS1_33reduce_by_key_impl_wrapped_configILNS1_25lookback_scan_determinismE0ES3_S9_NS6_18transform_iteratorI6div_opNS6_17counting_iteratorIlNS6_11use_defaultESF_SF_EESF_SF_EENSC_I6mod_opSG_SF_SF_EENS6_6detail15normal_iteratorINS6_10device_ptrIlEEEESO_PmS8_NS6_8equal_toIlEEEE10hipError_tPvRmT2_T3_mT4_T5_T6_T7_T8_P12ihipStream_tbENKUlT_T0_E_clISt17integral_constantIbLb0EES18_IbLb1EEEEDaS14_S15_EUlS14_E_NS1_11comp_targetILNS1_3genE10ELNS1_11target_archE1201ELNS1_3gpuE5ELNS1_3repE0EEENS1_30default_config_static_selectorELNS0_4arch9wavefront6targetE1EEEvT1_
; %bb.0:
	.section	.rodata,"a",@progbits
	.p2align	6, 0x0
	.amdhsa_kernel _ZN7rocprim17ROCPRIM_400000_NS6detail17trampoline_kernelINS0_14default_configENS1_29reduce_by_key_config_selectorIllN6thrust23THRUST_200600_302600_NS4plusIlEEEEZZNS1_33reduce_by_key_impl_wrapped_configILNS1_25lookback_scan_determinismE0ES3_S9_NS6_18transform_iteratorI6div_opNS6_17counting_iteratorIlNS6_11use_defaultESF_SF_EESF_SF_EENSC_I6mod_opSG_SF_SF_EENS6_6detail15normal_iteratorINS6_10device_ptrIlEEEESO_PmS8_NS6_8equal_toIlEEEE10hipError_tPvRmT2_T3_mT4_T5_T6_T7_T8_P12ihipStream_tbENKUlT_T0_E_clISt17integral_constantIbLb0EES18_IbLb1EEEEDaS14_S15_EUlS14_E_NS1_11comp_targetILNS1_3genE10ELNS1_11target_archE1201ELNS1_3gpuE5ELNS1_3repE0EEENS1_30default_config_static_selectorELNS0_4arch9wavefront6targetE1EEEvT1_
		.amdhsa_group_segment_fixed_size 0
		.amdhsa_private_segment_fixed_size 0
		.amdhsa_kernarg_size 152
		.amdhsa_user_sgpr_count 6
		.amdhsa_user_sgpr_private_segment_buffer 1
		.amdhsa_user_sgpr_dispatch_ptr 0
		.amdhsa_user_sgpr_queue_ptr 0
		.amdhsa_user_sgpr_kernarg_segment_ptr 1
		.amdhsa_user_sgpr_dispatch_id 0
		.amdhsa_user_sgpr_flat_scratch_init 0
		.amdhsa_user_sgpr_kernarg_preload_length 0
		.amdhsa_user_sgpr_kernarg_preload_offset 0
		.amdhsa_user_sgpr_private_segment_size 0
		.amdhsa_uses_dynamic_stack 0
		.amdhsa_system_sgpr_private_segment_wavefront_offset 0
		.amdhsa_system_sgpr_workgroup_id_x 1
		.amdhsa_system_sgpr_workgroup_id_y 0
		.amdhsa_system_sgpr_workgroup_id_z 0
		.amdhsa_system_sgpr_workgroup_info 0
		.amdhsa_system_vgpr_workitem_id 0
		.amdhsa_next_free_vgpr 1
		.amdhsa_next_free_sgpr 0
		.amdhsa_accum_offset 4
		.amdhsa_reserve_vcc 0
		.amdhsa_reserve_flat_scratch 0
		.amdhsa_float_round_mode_32 0
		.amdhsa_float_round_mode_16_64 0
		.amdhsa_float_denorm_mode_32 3
		.amdhsa_float_denorm_mode_16_64 3
		.amdhsa_dx10_clamp 1
		.amdhsa_ieee_mode 1
		.amdhsa_fp16_overflow 0
		.amdhsa_tg_split 0
		.amdhsa_exception_fp_ieee_invalid_op 0
		.amdhsa_exception_fp_denorm_src 0
		.amdhsa_exception_fp_ieee_div_zero 0
		.amdhsa_exception_fp_ieee_overflow 0
		.amdhsa_exception_fp_ieee_underflow 0
		.amdhsa_exception_fp_ieee_inexact 0
		.amdhsa_exception_int_div_zero 0
	.end_amdhsa_kernel
	.section	.text._ZN7rocprim17ROCPRIM_400000_NS6detail17trampoline_kernelINS0_14default_configENS1_29reduce_by_key_config_selectorIllN6thrust23THRUST_200600_302600_NS4plusIlEEEEZZNS1_33reduce_by_key_impl_wrapped_configILNS1_25lookback_scan_determinismE0ES3_S9_NS6_18transform_iteratorI6div_opNS6_17counting_iteratorIlNS6_11use_defaultESF_SF_EESF_SF_EENSC_I6mod_opSG_SF_SF_EENS6_6detail15normal_iteratorINS6_10device_ptrIlEEEESO_PmS8_NS6_8equal_toIlEEEE10hipError_tPvRmT2_T3_mT4_T5_T6_T7_T8_P12ihipStream_tbENKUlT_T0_E_clISt17integral_constantIbLb0EES18_IbLb1EEEEDaS14_S15_EUlS14_E_NS1_11comp_targetILNS1_3genE10ELNS1_11target_archE1201ELNS1_3gpuE5ELNS1_3repE0EEENS1_30default_config_static_selectorELNS0_4arch9wavefront6targetE1EEEvT1_,"axG",@progbits,_ZN7rocprim17ROCPRIM_400000_NS6detail17trampoline_kernelINS0_14default_configENS1_29reduce_by_key_config_selectorIllN6thrust23THRUST_200600_302600_NS4plusIlEEEEZZNS1_33reduce_by_key_impl_wrapped_configILNS1_25lookback_scan_determinismE0ES3_S9_NS6_18transform_iteratorI6div_opNS6_17counting_iteratorIlNS6_11use_defaultESF_SF_EESF_SF_EENSC_I6mod_opSG_SF_SF_EENS6_6detail15normal_iteratorINS6_10device_ptrIlEEEESO_PmS8_NS6_8equal_toIlEEEE10hipError_tPvRmT2_T3_mT4_T5_T6_T7_T8_P12ihipStream_tbENKUlT_T0_E_clISt17integral_constantIbLb0EES18_IbLb1EEEEDaS14_S15_EUlS14_E_NS1_11comp_targetILNS1_3genE10ELNS1_11target_archE1201ELNS1_3gpuE5ELNS1_3repE0EEENS1_30default_config_static_selectorELNS0_4arch9wavefront6targetE1EEEvT1_,comdat
.Lfunc_end1167:
	.size	_ZN7rocprim17ROCPRIM_400000_NS6detail17trampoline_kernelINS0_14default_configENS1_29reduce_by_key_config_selectorIllN6thrust23THRUST_200600_302600_NS4plusIlEEEEZZNS1_33reduce_by_key_impl_wrapped_configILNS1_25lookback_scan_determinismE0ES3_S9_NS6_18transform_iteratorI6div_opNS6_17counting_iteratorIlNS6_11use_defaultESF_SF_EESF_SF_EENSC_I6mod_opSG_SF_SF_EENS6_6detail15normal_iteratorINS6_10device_ptrIlEEEESO_PmS8_NS6_8equal_toIlEEEE10hipError_tPvRmT2_T3_mT4_T5_T6_T7_T8_P12ihipStream_tbENKUlT_T0_E_clISt17integral_constantIbLb0EES18_IbLb1EEEEDaS14_S15_EUlS14_E_NS1_11comp_targetILNS1_3genE10ELNS1_11target_archE1201ELNS1_3gpuE5ELNS1_3repE0EEENS1_30default_config_static_selectorELNS0_4arch9wavefront6targetE1EEEvT1_, .Lfunc_end1167-_ZN7rocprim17ROCPRIM_400000_NS6detail17trampoline_kernelINS0_14default_configENS1_29reduce_by_key_config_selectorIllN6thrust23THRUST_200600_302600_NS4plusIlEEEEZZNS1_33reduce_by_key_impl_wrapped_configILNS1_25lookback_scan_determinismE0ES3_S9_NS6_18transform_iteratorI6div_opNS6_17counting_iteratorIlNS6_11use_defaultESF_SF_EESF_SF_EENSC_I6mod_opSG_SF_SF_EENS6_6detail15normal_iteratorINS6_10device_ptrIlEEEESO_PmS8_NS6_8equal_toIlEEEE10hipError_tPvRmT2_T3_mT4_T5_T6_T7_T8_P12ihipStream_tbENKUlT_T0_E_clISt17integral_constantIbLb0EES18_IbLb1EEEEDaS14_S15_EUlS14_E_NS1_11comp_targetILNS1_3genE10ELNS1_11target_archE1201ELNS1_3gpuE5ELNS1_3repE0EEENS1_30default_config_static_selectorELNS0_4arch9wavefront6targetE1EEEvT1_
                                        ; -- End function
	.section	.AMDGPU.csdata,"",@progbits
; Kernel info:
; codeLenInByte = 0
; NumSgprs: 4
; NumVgprs: 0
; NumAgprs: 0
; TotalNumVgprs: 0
; ScratchSize: 0
; MemoryBound: 0
; FloatMode: 240
; IeeeMode: 1
; LDSByteSize: 0 bytes/workgroup (compile time only)
; SGPRBlocks: 0
; VGPRBlocks: 0
; NumSGPRsForWavesPerEU: 4
; NumVGPRsForWavesPerEU: 1
; AccumOffset: 4
; Occupancy: 8
; WaveLimiterHint : 0
; COMPUTE_PGM_RSRC2:SCRATCH_EN: 0
; COMPUTE_PGM_RSRC2:USER_SGPR: 6
; COMPUTE_PGM_RSRC2:TRAP_HANDLER: 0
; COMPUTE_PGM_RSRC2:TGID_X_EN: 1
; COMPUTE_PGM_RSRC2:TGID_Y_EN: 0
; COMPUTE_PGM_RSRC2:TGID_Z_EN: 0
; COMPUTE_PGM_RSRC2:TIDIG_COMP_CNT: 0
; COMPUTE_PGM_RSRC3_GFX90A:ACCUM_OFFSET: 0
; COMPUTE_PGM_RSRC3_GFX90A:TG_SPLIT: 0
	.section	.text._ZN7rocprim17ROCPRIM_400000_NS6detail17trampoline_kernelINS0_14default_configENS1_29reduce_by_key_config_selectorIllN6thrust23THRUST_200600_302600_NS4plusIlEEEEZZNS1_33reduce_by_key_impl_wrapped_configILNS1_25lookback_scan_determinismE0ES3_S9_NS6_18transform_iteratorI6div_opNS6_17counting_iteratorIlNS6_11use_defaultESF_SF_EESF_SF_EENSC_I6mod_opSG_SF_SF_EENS6_6detail15normal_iteratorINS6_10device_ptrIlEEEESO_PmS8_NS6_8equal_toIlEEEE10hipError_tPvRmT2_T3_mT4_T5_T6_T7_T8_P12ihipStream_tbENKUlT_T0_E_clISt17integral_constantIbLb0EES18_IbLb1EEEEDaS14_S15_EUlS14_E_NS1_11comp_targetILNS1_3genE10ELNS1_11target_archE1200ELNS1_3gpuE4ELNS1_3repE0EEENS1_30default_config_static_selectorELNS0_4arch9wavefront6targetE1EEEvT1_,"axG",@progbits,_ZN7rocprim17ROCPRIM_400000_NS6detail17trampoline_kernelINS0_14default_configENS1_29reduce_by_key_config_selectorIllN6thrust23THRUST_200600_302600_NS4plusIlEEEEZZNS1_33reduce_by_key_impl_wrapped_configILNS1_25lookback_scan_determinismE0ES3_S9_NS6_18transform_iteratorI6div_opNS6_17counting_iteratorIlNS6_11use_defaultESF_SF_EESF_SF_EENSC_I6mod_opSG_SF_SF_EENS6_6detail15normal_iteratorINS6_10device_ptrIlEEEESO_PmS8_NS6_8equal_toIlEEEE10hipError_tPvRmT2_T3_mT4_T5_T6_T7_T8_P12ihipStream_tbENKUlT_T0_E_clISt17integral_constantIbLb0EES18_IbLb1EEEEDaS14_S15_EUlS14_E_NS1_11comp_targetILNS1_3genE10ELNS1_11target_archE1200ELNS1_3gpuE4ELNS1_3repE0EEENS1_30default_config_static_selectorELNS0_4arch9wavefront6targetE1EEEvT1_,comdat
	.protected	_ZN7rocprim17ROCPRIM_400000_NS6detail17trampoline_kernelINS0_14default_configENS1_29reduce_by_key_config_selectorIllN6thrust23THRUST_200600_302600_NS4plusIlEEEEZZNS1_33reduce_by_key_impl_wrapped_configILNS1_25lookback_scan_determinismE0ES3_S9_NS6_18transform_iteratorI6div_opNS6_17counting_iteratorIlNS6_11use_defaultESF_SF_EESF_SF_EENSC_I6mod_opSG_SF_SF_EENS6_6detail15normal_iteratorINS6_10device_ptrIlEEEESO_PmS8_NS6_8equal_toIlEEEE10hipError_tPvRmT2_T3_mT4_T5_T6_T7_T8_P12ihipStream_tbENKUlT_T0_E_clISt17integral_constantIbLb0EES18_IbLb1EEEEDaS14_S15_EUlS14_E_NS1_11comp_targetILNS1_3genE10ELNS1_11target_archE1200ELNS1_3gpuE4ELNS1_3repE0EEENS1_30default_config_static_selectorELNS0_4arch9wavefront6targetE1EEEvT1_ ; -- Begin function _ZN7rocprim17ROCPRIM_400000_NS6detail17trampoline_kernelINS0_14default_configENS1_29reduce_by_key_config_selectorIllN6thrust23THRUST_200600_302600_NS4plusIlEEEEZZNS1_33reduce_by_key_impl_wrapped_configILNS1_25lookback_scan_determinismE0ES3_S9_NS6_18transform_iteratorI6div_opNS6_17counting_iteratorIlNS6_11use_defaultESF_SF_EESF_SF_EENSC_I6mod_opSG_SF_SF_EENS6_6detail15normal_iteratorINS6_10device_ptrIlEEEESO_PmS8_NS6_8equal_toIlEEEE10hipError_tPvRmT2_T3_mT4_T5_T6_T7_T8_P12ihipStream_tbENKUlT_T0_E_clISt17integral_constantIbLb0EES18_IbLb1EEEEDaS14_S15_EUlS14_E_NS1_11comp_targetILNS1_3genE10ELNS1_11target_archE1200ELNS1_3gpuE4ELNS1_3repE0EEENS1_30default_config_static_selectorELNS0_4arch9wavefront6targetE1EEEvT1_
	.globl	_ZN7rocprim17ROCPRIM_400000_NS6detail17trampoline_kernelINS0_14default_configENS1_29reduce_by_key_config_selectorIllN6thrust23THRUST_200600_302600_NS4plusIlEEEEZZNS1_33reduce_by_key_impl_wrapped_configILNS1_25lookback_scan_determinismE0ES3_S9_NS6_18transform_iteratorI6div_opNS6_17counting_iteratorIlNS6_11use_defaultESF_SF_EESF_SF_EENSC_I6mod_opSG_SF_SF_EENS6_6detail15normal_iteratorINS6_10device_ptrIlEEEESO_PmS8_NS6_8equal_toIlEEEE10hipError_tPvRmT2_T3_mT4_T5_T6_T7_T8_P12ihipStream_tbENKUlT_T0_E_clISt17integral_constantIbLb0EES18_IbLb1EEEEDaS14_S15_EUlS14_E_NS1_11comp_targetILNS1_3genE10ELNS1_11target_archE1200ELNS1_3gpuE4ELNS1_3repE0EEENS1_30default_config_static_selectorELNS0_4arch9wavefront6targetE1EEEvT1_
	.p2align	8
	.type	_ZN7rocprim17ROCPRIM_400000_NS6detail17trampoline_kernelINS0_14default_configENS1_29reduce_by_key_config_selectorIllN6thrust23THRUST_200600_302600_NS4plusIlEEEEZZNS1_33reduce_by_key_impl_wrapped_configILNS1_25lookback_scan_determinismE0ES3_S9_NS6_18transform_iteratorI6div_opNS6_17counting_iteratorIlNS6_11use_defaultESF_SF_EESF_SF_EENSC_I6mod_opSG_SF_SF_EENS6_6detail15normal_iteratorINS6_10device_ptrIlEEEESO_PmS8_NS6_8equal_toIlEEEE10hipError_tPvRmT2_T3_mT4_T5_T6_T7_T8_P12ihipStream_tbENKUlT_T0_E_clISt17integral_constantIbLb0EES18_IbLb1EEEEDaS14_S15_EUlS14_E_NS1_11comp_targetILNS1_3genE10ELNS1_11target_archE1200ELNS1_3gpuE4ELNS1_3repE0EEENS1_30default_config_static_selectorELNS0_4arch9wavefront6targetE1EEEvT1_,@function
_ZN7rocprim17ROCPRIM_400000_NS6detail17trampoline_kernelINS0_14default_configENS1_29reduce_by_key_config_selectorIllN6thrust23THRUST_200600_302600_NS4plusIlEEEEZZNS1_33reduce_by_key_impl_wrapped_configILNS1_25lookback_scan_determinismE0ES3_S9_NS6_18transform_iteratorI6div_opNS6_17counting_iteratorIlNS6_11use_defaultESF_SF_EESF_SF_EENSC_I6mod_opSG_SF_SF_EENS6_6detail15normal_iteratorINS6_10device_ptrIlEEEESO_PmS8_NS6_8equal_toIlEEEE10hipError_tPvRmT2_T3_mT4_T5_T6_T7_T8_P12ihipStream_tbENKUlT_T0_E_clISt17integral_constantIbLb0EES18_IbLb1EEEEDaS14_S15_EUlS14_E_NS1_11comp_targetILNS1_3genE10ELNS1_11target_archE1200ELNS1_3gpuE4ELNS1_3repE0EEENS1_30default_config_static_selectorELNS0_4arch9wavefront6targetE1EEEvT1_: ; @_ZN7rocprim17ROCPRIM_400000_NS6detail17trampoline_kernelINS0_14default_configENS1_29reduce_by_key_config_selectorIllN6thrust23THRUST_200600_302600_NS4plusIlEEEEZZNS1_33reduce_by_key_impl_wrapped_configILNS1_25lookback_scan_determinismE0ES3_S9_NS6_18transform_iteratorI6div_opNS6_17counting_iteratorIlNS6_11use_defaultESF_SF_EESF_SF_EENSC_I6mod_opSG_SF_SF_EENS6_6detail15normal_iteratorINS6_10device_ptrIlEEEESO_PmS8_NS6_8equal_toIlEEEE10hipError_tPvRmT2_T3_mT4_T5_T6_T7_T8_P12ihipStream_tbENKUlT_T0_E_clISt17integral_constantIbLb0EES18_IbLb1EEEEDaS14_S15_EUlS14_E_NS1_11comp_targetILNS1_3genE10ELNS1_11target_archE1200ELNS1_3gpuE4ELNS1_3repE0EEENS1_30default_config_static_selectorELNS0_4arch9wavefront6targetE1EEEvT1_
; %bb.0:
	.section	.rodata,"a",@progbits
	.p2align	6, 0x0
	.amdhsa_kernel _ZN7rocprim17ROCPRIM_400000_NS6detail17trampoline_kernelINS0_14default_configENS1_29reduce_by_key_config_selectorIllN6thrust23THRUST_200600_302600_NS4plusIlEEEEZZNS1_33reduce_by_key_impl_wrapped_configILNS1_25lookback_scan_determinismE0ES3_S9_NS6_18transform_iteratorI6div_opNS6_17counting_iteratorIlNS6_11use_defaultESF_SF_EESF_SF_EENSC_I6mod_opSG_SF_SF_EENS6_6detail15normal_iteratorINS6_10device_ptrIlEEEESO_PmS8_NS6_8equal_toIlEEEE10hipError_tPvRmT2_T3_mT4_T5_T6_T7_T8_P12ihipStream_tbENKUlT_T0_E_clISt17integral_constantIbLb0EES18_IbLb1EEEEDaS14_S15_EUlS14_E_NS1_11comp_targetILNS1_3genE10ELNS1_11target_archE1200ELNS1_3gpuE4ELNS1_3repE0EEENS1_30default_config_static_selectorELNS0_4arch9wavefront6targetE1EEEvT1_
		.amdhsa_group_segment_fixed_size 0
		.amdhsa_private_segment_fixed_size 0
		.amdhsa_kernarg_size 152
		.amdhsa_user_sgpr_count 6
		.amdhsa_user_sgpr_private_segment_buffer 1
		.amdhsa_user_sgpr_dispatch_ptr 0
		.amdhsa_user_sgpr_queue_ptr 0
		.amdhsa_user_sgpr_kernarg_segment_ptr 1
		.amdhsa_user_sgpr_dispatch_id 0
		.amdhsa_user_sgpr_flat_scratch_init 0
		.amdhsa_user_sgpr_kernarg_preload_length 0
		.amdhsa_user_sgpr_kernarg_preload_offset 0
		.amdhsa_user_sgpr_private_segment_size 0
		.amdhsa_uses_dynamic_stack 0
		.amdhsa_system_sgpr_private_segment_wavefront_offset 0
		.amdhsa_system_sgpr_workgroup_id_x 1
		.amdhsa_system_sgpr_workgroup_id_y 0
		.amdhsa_system_sgpr_workgroup_id_z 0
		.amdhsa_system_sgpr_workgroup_info 0
		.amdhsa_system_vgpr_workitem_id 0
		.amdhsa_next_free_vgpr 1
		.amdhsa_next_free_sgpr 0
		.amdhsa_accum_offset 4
		.amdhsa_reserve_vcc 0
		.amdhsa_reserve_flat_scratch 0
		.amdhsa_float_round_mode_32 0
		.amdhsa_float_round_mode_16_64 0
		.amdhsa_float_denorm_mode_32 3
		.amdhsa_float_denorm_mode_16_64 3
		.amdhsa_dx10_clamp 1
		.amdhsa_ieee_mode 1
		.amdhsa_fp16_overflow 0
		.amdhsa_tg_split 0
		.amdhsa_exception_fp_ieee_invalid_op 0
		.amdhsa_exception_fp_denorm_src 0
		.amdhsa_exception_fp_ieee_div_zero 0
		.amdhsa_exception_fp_ieee_overflow 0
		.amdhsa_exception_fp_ieee_underflow 0
		.amdhsa_exception_fp_ieee_inexact 0
		.amdhsa_exception_int_div_zero 0
	.end_amdhsa_kernel
	.section	.text._ZN7rocprim17ROCPRIM_400000_NS6detail17trampoline_kernelINS0_14default_configENS1_29reduce_by_key_config_selectorIllN6thrust23THRUST_200600_302600_NS4plusIlEEEEZZNS1_33reduce_by_key_impl_wrapped_configILNS1_25lookback_scan_determinismE0ES3_S9_NS6_18transform_iteratorI6div_opNS6_17counting_iteratorIlNS6_11use_defaultESF_SF_EESF_SF_EENSC_I6mod_opSG_SF_SF_EENS6_6detail15normal_iteratorINS6_10device_ptrIlEEEESO_PmS8_NS6_8equal_toIlEEEE10hipError_tPvRmT2_T3_mT4_T5_T6_T7_T8_P12ihipStream_tbENKUlT_T0_E_clISt17integral_constantIbLb0EES18_IbLb1EEEEDaS14_S15_EUlS14_E_NS1_11comp_targetILNS1_3genE10ELNS1_11target_archE1200ELNS1_3gpuE4ELNS1_3repE0EEENS1_30default_config_static_selectorELNS0_4arch9wavefront6targetE1EEEvT1_,"axG",@progbits,_ZN7rocprim17ROCPRIM_400000_NS6detail17trampoline_kernelINS0_14default_configENS1_29reduce_by_key_config_selectorIllN6thrust23THRUST_200600_302600_NS4plusIlEEEEZZNS1_33reduce_by_key_impl_wrapped_configILNS1_25lookback_scan_determinismE0ES3_S9_NS6_18transform_iteratorI6div_opNS6_17counting_iteratorIlNS6_11use_defaultESF_SF_EESF_SF_EENSC_I6mod_opSG_SF_SF_EENS6_6detail15normal_iteratorINS6_10device_ptrIlEEEESO_PmS8_NS6_8equal_toIlEEEE10hipError_tPvRmT2_T3_mT4_T5_T6_T7_T8_P12ihipStream_tbENKUlT_T0_E_clISt17integral_constantIbLb0EES18_IbLb1EEEEDaS14_S15_EUlS14_E_NS1_11comp_targetILNS1_3genE10ELNS1_11target_archE1200ELNS1_3gpuE4ELNS1_3repE0EEENS1_30default_config_static_selectorELNS0_4arch9wavefront6targetE1EEEvT1_,comdat
.Lfunc_end1168:
	.size	_ZN7rocprim17ROCPRIM_400000_NS6detail17trampoline_kernelINS0_14default_configENS1_29reduce_by_key_config_selectorIllN6thrust23THRUST_200600_302600_NS4plusIlEEEEZZNS1_33reduce_by_key_impl_wrapped_configILNS1_25lookback_scan_determinismE0ES3_S9_NS6_18transform_iteratorI6div_opNS6_17counting_iteratorIlNS6_11use_defaultESF_SF_EESF_SF_EENSC_I6mod_opSG_SF_SF_EENS6_6detail15normal_iteratorINS6_10device_ptrIlEEEESO_PmS8_NS6_8equal_toIlEEEE10hipError_tPvRmT2_T3_mT4_T5_T6_T7_T8_P12ihipStream_tbENKUlT_T0_E_clISt17integral_constantIbLb0EES18_IbLb1EEEEDaS14_S15_EUlS14_E_NS1_11comp_targetILNS1_3genE10ELNS1_11target_archE1200ELNS1_3gpuE4ELNS1_3repE0EEENS1_30default_config_static_selectorELNS0_4arch9wavefront6targetE1EEEvT1_, .Lfunc_end1168-_ZN7rocprim17ROCPRIM_400000_NS6detail17trampoline_kernelINS0_14default_configENS1_29reduce_by_key_config_selectorIllN6thrust23THRUST_200600_302600_NS4plusIlEEEEZZNS1_33reduce_by_key_impl_wrapped_configILNS1_25lookback_scan_determinismE0ES3_S9_NS6_18transform_iteratorI6div_opNS6_17counting_iteratorIlNS6_11use_defaultESF_SF_EESF_SF_EENSC_I6mod_opSG_SF_SF_EENS6_6detail15normal_iteratorINS6_10device_ptrIlEEEESO_PmS8_NS6_8equal_toIlEEEE10hipError_tPvRmT2_T3_mT4_T5_T6_T7_T8_P12ihipStream_tbENKUlT_T0_E_clISt17integral_constantIbLb0EES18_IbLb1EEEEDaS14_S15_EUlS14_E_NS1_11comp_targetILNS1_3genE10ELNS1_11target_archE1200ELNS1_3gpuE4ELNS1_3repE0EEENS1_30default_config_static_selectorELNS0_4arch9wavefront6targetE1EEEvT1_
                                        ; -- End function
	.section	.AMDGPU.csdata,"",@progbits
; Kernel info:
; codeLenInByte = 0
; NumSgprs: 4
; NumVgprs: 0
; NumAgprs: 0
; TotalNumVgprs: 0
; ScratchSize: 0
; MemoryBound: 0
; FloatMode: 240
; IeeeMode: 1
; LDSByteSize: 0 bytes/workgroup (compile time only)
; SGPRBlocks: 0
; VGPRBlocks: 0
; NumSGPRsForWavesPerEU: 4
; NumVGPRsForWavesPerEU: 1
; AccumOffset: 4
; Occupancy: 8
; WaveLimiterHint : 0
; COMPUTE_PGM_RSRC2:SCRATCH_EN: 0
; COMPUTE_PGM_RSRC2:USER_SGPR: 6
; COMPUTE_PGM_RSRC2:TRAP_HANDLER: 0
; COMPUTE_PGM_RSRC2:TGID_X_EN: 1
; COMPUTE_PGM_RSRC2:TGID_Y_EN: 0
; COMPUTE_PGM_RSRC2:TGID_Z_EN: 0
; COMPUTE_PGM_RSRC2:TIDIG_COMP_CNT: 0
; COMPUTE_PGM_RSRC3_GFX90A:ACCUM_OFFSET: 0
; COMPUTE_PGM_RSRC3_GFX90A:TG_SPLIT: 0
	.section	.text._ZN7rocprim17ROCPRIM_400000_NS6detail17trampoline_kernelINS0_14default_configENS1_29reduce_by_key_config_selectorIllN6thrust23THRUST_200600_302600_NS4plusIlEEEEZZNS1_33reduce_by_key_impl_wrapped_configILNS1_25lookback_scan_determinismE0ES3_S9_NS6_18transform_iteratorI6div_opNS6_17counting_iteratorIlNS6_11use_defaultESF_SF_EESF_SF_EENSC_I6mod_opSG_SF_SF_EENS6_6detail15normal_iteratorINS6_10device_ptrIlEEEESO_PmS8_NS6_8equal_toIlEEEE10hipError_tPvRmT2_T3_mT4_T5_T6_T7_T8_P12ihipStream_tbENKUlT_T0_E_clISt17integral_constantIbLb0EES18_IbLb1EEEEDaS14_S15_EUlS14_E_NS1_11comp_targetILNS1_3genE9ELNS1_11target_archE1100ELNS1_3gpuE3ELNS1_3repE0EEENS1_30default_config_static_selectorELNS0_4arch9wavefront6targetE1EEEvT1_,"axG",@progbits,_ZN7rocprim17ROCPRIM_400000_NS6detail17trampoline_kernelINS0_14default_configENS1_29reduce_by_key_config_selectorIllN6thrust23THRUST_200600_302600_NS4plusIlEEEEZZNS1_33reduce_by_key_impl_wrapped_configILNS1_25lookback_scan_determinismE0ES3_S9_NS6_18transform_iteratorI6div_opNS6_17counting_iteratorIlNS6_11use_defaultESF_SF_EESF_SF_EENSC_I6mod_opSG_SF_SF_EENS6_6detail15normal_iteratorINS6_10device_ptrIlEEEESO_PmS8_NS6_8equal_toIlEEEE10hipError_tPvRmT2_T3_mT4_T5_T6_T7_T8_P12ihipStream_tbENKUlT_T0_E_clISt17integral_constantIbLb0EES18_IbLb1EEEEDaS14_S15_EUlS14_E_NS1_11comp_targetILNS1_3genE9ELNS1_11target_archE1100ELNS1_3gpuE3ELNS1_3repE0EEENS1_30default_config_static_selectorELNS0_4arch9wavefront6targetE1EEEvT1_,comdat
	.protected	_ZN7rocprim17ROCPRIM_400000_NS6detail17trampoline_kernelINS0_14default_configENS1_29reduce_by_key_config_selectorIllN6thrust23THRUST_200600_302600_NS4plusIlEEEEZZNS1_33reduce_by_key_impl_wrapped_configILNS1_25lookback_scan_determinismE0ES3_S9_NS6_18transform_iteratorI6div_opNS6_17counting_iteratorIlNS6_11use_defaultESF_SF_EESF_SF_EENSC_I6mod_opSG_SF_SF_EENS6_6detail15normal_iteratorINS6_10device_ptrIlEEEESO_PmS8_NS6_8equal_toIlEEEE10hipError_tPvRmT2_T3_mT4_T5_T6_T7_T8_P12ihipStream_tbENKUlT_T0_E_clISt17integral_constantIbLb0EES18_IbLb1EEEEDaS14_S15_EUlS14_E_NS1_11comp_targetILNS1_3genE9ELNS1_11target_archE1100ELNS1_3gpuE3ELNS1_3repE0EEENS1_30default_config_static_selectorELNS0_4arch9wavefront6targetE1EEEvT1_ ; -- Begin function _ZN7rocprim17ROCPRIM_400000_NS6detail17trampoline_kernelINS0_14default_configENS1_29reduce_by_key_config_selectorIllN6thrust23THRUST_200600_302600_NS4plusIlEEEEZZNS1_33reduce_by_key_impl_wrapped_configILNS1_25lookback_scan_determinismE0ES3_S9_NS6_18transform_iteratorI6div_opNS6_17counting_iteratorIlNS6_11use_defaultESF_SF_EESF_SF_EENSC_I6mod_opSG_SF_SF_EENS6_6detail15normal_iteratorINS6_10device_ptrIlEEEESO_PmS8_NS6_8equal_toIlEEEE10hipError_tPvRmT2_T3_mT4_T5_T6_T7_T8_P12ihipStream_tbENKUlT_T0_E_clISt17integral_constantIbLb0EES18_IbLb1EEEEDaS14_S15_EUlS14_E_NS1_11comp_targetILNS1_3genE9ELNS1_11target_archE1100ELNS1_3gpuE3ELNS1_3repE0EEENS1_30default_config_static_selectorELNS0_4arch9wavefront6targetE1EEEvT1_
	.globl	_ZN7rocprim17ROCPRIM_400000_NS6detail17trampoline_kernelINS0_14default_configENS1_29reduce_by_key_config_selectorIllN6thrust23THRUST_200600_302600_NS4plusIlEEEEZZNS1_33reduce_by_key_impl_wrapped_configILNS1_25lookback_scan_determinismE0ES3_S9_NS6_18transform_iteratorI6div_opNS6_17counting_iteratorIlNS6_11use_defaultESF_SF_EESF_SF_EENSC_I6mod_opSG_SF_SF_EENS6_6detail15normal_iteratorINS6_10device_ptrIlEEEESO_PmS8_NS6_8equal_toIlEEEE10hipError_tPvRmT2_T3_mT4_T5_T6_T7_T8_P12ihipStream_tbENKUlT_T0_E_clISt17integral_constantIbLb0EES18_IbLb1EEEEDaS14_S15_EUlS14_E_NS1_11comp_targetILNS1_3genE9ELNS1_11target_archE1100ELNS1_3gpuE3ELNS1_3repE0EEENS1_30default_config_static_selectorELNS0_4arch9wavefront6targetE1EEEvT1_
	.p2align	8
	.type	_ZN7rocprim17ROCPRIM_400000_NS6detail17trampoline_kernelINS0_14default_configENS1_29reduce_by_key_config_selectorIllN6thrust23THRUST_200600_302600_NS4plusIlEEEEZZNS1_33reduce_by_key_impl_wrapped_configILNS1_25lookback_scan_determinismE0ES3_S9_NS6_18transform_iteratorI6div_opNS6_17counting_iteratorIlNS6_11use_defaultESF_SF_EESF_SF_EENSC_I6mod_opSG_SF_SF_EENS6_6detail15normal_iteratorINS6_10device_ptrIlEEEESO_PmS8_NS6_8equal_toIlEEEE10hipError_tPvRmT2_T3_mT4_T5_T6_T7_T8_P12ihipStream_tbENKUlT_T0_E_clISt17integral_constantIbLb0EES18_IbLb1EEEEDaS14_S15_EUlS14_E_NS1_11comp_targetILNS1_3genE9ELNS1_11target_archE1100ELNS1_3gpuE3ELNS1_3repE0EEENS1_30default_config_static_selectorELNS0_4arch9wavefront6targetE1EEEvT1_,@function
_ZN7rocprim17ROCPRIM_400000_NS6detail17trampoline_kernelINS0_14default_configENS1_29reduce_by_key_config_selectorIllN6thrust23THRUST_200600_302600_NS4plusIlEEEEZZNS1_33reduce_by_key_impl_wrapped_configILNS1_25lookback_scan_determinismE0ES3_S9_NS6_18transform_iteratorI6div_opNS6_17counting_iteratorIlNS6_11use_defaultESF_SF_EESF_SF_EENSC_I6mod_opSG_SF_SF_EENS6_6detail15normal_iteratorINS6_10device_ptrIlEEEESO_PmS8_NS6_8equal_toIlEEEE10hipError_tPvRmT2_T3_mT4_T5_T6_T7_T8_P12ihipStream_tbENKUlT_T0_E_clISt17integral_constantIbLb0EES18_IbLb1EEEEDaS14_S15_EUlS14_E_NS1_11comp_targetILNS1_3genE9ELNS1_11target_archE1100ELNS1_3gpuE3ELNS1_3repE0EEENS1_30default_config_static_selectorELNS0_4arch9wavefront6targetE1EEEvT1_: ; @_ZN7rocprim17ROCPRIM_400000_NS6detail17trampoline_kernelINS0_14default_configENS1_29reduce_by_key_config_selectorIllN6thrust23THRUST_200600_302600_NS4plusIlEEEEZZNS1_33reduce_by_key_impl_wrapped_configILNS1_25lookback_scan_determinismE0ES3_S9_NS6_18transform_iteratorI6div_opNS6_17counting_iteratorIlNS6_11use_defaultESF_SF_EESF_SF_EENSC_I6mod_opSG_SF_SF_EENS6_6detail15normal_iteratorINS6_10device_ptrIlEEEESO_PmS8_NS6_8equal_toIlEEEE10hipError_tPvRmT2_T3_mT4_T5_T6_T7_T8_P12ihipStream_tbENKUlT_T0_E_clISt17integral_constantIbLb0EES18_IbLb1EEEEDaS14_S15_EUlS14_E_NS1_11comp_targetILNS1_3genE9ELNS1_11target_archE1100ELNS1_3gpuE3ELNS1_3repE0EEENS1_30default_config_static_selectorELNS0_4arch9wavefront6targetE1EEEvT1_
; %bb.0:
	.section	.rodata,"a",@progbits
	.p2align	6, 0x0
	.amdhsa_kernel _ZN7rocprim17ROCPRIM_400000_NS6detail17trampoline_kernelINS0_14default_configENS1_29reduce_by_key_config_selectorIllN6thrust23THRUST_200600_302600_NS4plusIlEEEEZZNS1_33reduce_by_key_impl_wrapped_configILNS1_25lookback_scan_determinismE0ES3_S9_NS6_18transform_iteratorI6div_opNS6_17counting_iteratorIlNS6_11use_defaultESF_SF_EESF_SF_EENSC_I6mod_opSG_SF_SF_EENS6_6detail15normal_iteratorINS6_10device_ptrIlEEEESO_PmS8_NS6_8equal_toIlEEEE10hipError_tPvRmT2_T3_mT4_T5_T6_T7_T8_P12ihipStream_tbENKUlT_T0_E_clISt17integral_constantIbLb0EES18_IbLb1EEEEDaS14_S15_EUlS14_E_NS1_11comp_targetILNS1_3genE9ELNS1_11target_archE1100ELNS1_3gpuE3ELNS1_3repE0EEENS1_30default_config_static_selectorELNS0_4arch9wavefront6targetE1EEEvT1_
		.amdhsa_group_segment_fixed_size 0
		.amdhsa_private_segment_fixed_size 0
		.amdhsa_kernarg_size 152
		.amdhsa_user_sgpr_count 6
		.amdhsa_user_sgpr_private_segment_buffer 1
		.amdhsa_user_sgpr_dispatch_ptr 0
		.amdhsa_user_sgpr_queue_ptr 0
		.amdhsa_user_sgpr_kernarg_segment_ptr 1
		.amdhsa_user_sgpr_dispatch_id 0
		.amdhsa_user_sgpr_flat_scratch_init 0
		.amdhsa_user_sgpr_kernarg_preload_length 0
		.amdhsa_user_sgpr_kernarg_preload_offset 0
		.amdhsa_user_sgpr_private_segment_size 0
		.amdhsa_uses_dynamic_stack 0
		.amdhsa_system_sgpr_private_segment_wavefront_offset 0
		.amdhsa_system_sgpr_workgroup_id_x 1
		.amdhsa_system_sgpr_workgroup_id_y 0
		.amdhsa_system_sgpr_workgroup_id_z 0
		.amdhsa_system_sgpr_workgroup_info 0
		.amdhsa_system_vgpr_workitem_id 0
		.amdhsa_next_free_vgpr 1
		.amdhsa_next_free_sgpr 0
		.amdhsa_accum_offset 4
		.amdhsa_reserve_vcc 0
		.amdhsa_reserve_flat_scratch 0
		.amdhsa_float_round_mode_32 0
		.amdhsa_float_round_mode_16_64 0
		.amdhsa_float_denorm_mode_32 3
		.amdhsa_float_denorm_mode_16_64 3
		.amdhsa_dx10_clamp 1
		.amdhsa_ieee_mode 1
		.amdhsa_fp16_overflow 0
		.amdhsa_tg_split 0
		.amdhsa_exception_fp_ieee_invalid_op 0
		.amdhsa_exception_fp_denorm_src 0
		.amdhsa_exception_fp_ieee_div_zero 0
		.amdhsa_exception_fp_ieee_overflow 0
		.amdhsa_exception_fp_ieee_underflow 0
		.amdhsa_exception_fp_ieee_inexact 0
		.amdhsa_exception_int_div_zero 0
	.end_amdhsa_kernel
	.section	.text._ZN7rocprim17ROCPRIM_400000_NS6detail17trampoline_kernelINS0_14default_configENS1_29reduce_by_key_config_selectorIllN6thrust23THRUST_200600_302600_NS4plusIlEEEEZZNS1_33reduce_by_key_impl_wrapped_configILNS1_25lookback_scan_determinismE0ES3_S9_NS6_18transform_iteratorI6div_opNS6_17counting_iteratorIlNS6_11use_defaultESF_SF_EESF_SF_EENSC_I6mod_opSG_SF_SF_EENS6_6detail15normal_iteratorINS6_10device_ptrIlEEEESO_PmS8_NS6_8equal_toIlEEEE10hipError_tPvRmT2_T3_mT4_T5_T6_T7_T8_P12ihipStream_tbENKUlT_T0_E_clISt17integral_constantIbLb0EES18_IbLb1EEEEDaS14_S15_EUlS14_E_NS1_11comp_targetILNS1_3genE9ELNS1_11target_archE1100ELNS1_3gpuE3ELNS1_3repE0EEENS1_30default_config_static_selectorELNS0_4arch9wavefront6targetE1EEEvT1_,"axG",@progbits,_ZN7rocprim17ROCPRIM_400000_NS6detail17trampoline_kernelINS0_14default_configENS1_29reduce_by_key_config_selectorIllN6thrust23THRUST_200600_302600_NS4plusIlEEEEZZNS1_33reduce_by_key_impl_wrapped_configILNS1_25lookback_scan_determinismE0ES3_S9_NS6_18transform_iteratorI6div_opNS6_17counting_iteratorIlNS6_11use_defaultESF_SF_EESF_SF_EENSC_I6mod_opSG_SF_SF_EENS6_6detail15normal_iteratorINS6_10device_ptrIlEEEESO_PmS8_NS6_8equal_toIlEEEE10hipError_tPvRmT2_T3_mT4_T5_T6_T7_T8_P12ihipStream_tbENKUlT_T0_E_clISt17integral_constantIbLb0EES18_IbLb1EEEEDaS14_S15_EUlS14_E_NS1_11comp_targetILNS1_3genE9ELNS1_11target_archE1100ELNS1_3gpuE3ELNS1_3repE0EEENS1_30default_config_static_selectorELNS0_4arch9wavefront6targetE1EEEvT1_,comdat
.Lfunc_end1169:
	.size	_ZN7rocprim17ROCPRIM_400000_NS6detail17trampoline_kernelINS0_14default_configENS1_29reduce_by_key_config_selectorIllN6thrust23THRUST_200600_302600_NS4plusIlEEEEZZNS1_33reduce_by_key_impl_wrapped_configILNS1_25lookback_scan_determinismE0ES3_S9_NS6_18transform_iteratorI6div_opNS6_17counting_iteratorIlNS6_11use_defaultESF_SF_EESF_SF_EENSC_I6mod_opSG_SF_SF_EENS6_6detail15normal_iteratorINS6_10device_ptrIlEEEESO_PmS8_NS6_8equal_toIlEEEE10hipError_tPvRmT2_T3_mT4_T5_T6_T7_T8_P12ihipStream_tbENKUlT_T0_E_clISt17integral_constantIbLb0EES18_IbLb1EEEEDaS14_S15_EUlS14_E_NS1_11comp_targetILNS1_3genE9ELNS1_11target_archE1100ELNS1_3gpuE3ELNS1_3repE0EEENS1_30default_config_static_selectorELNS0_4arch9wavefront6targetE1EEEvT1_, .Lfunc_end1169-_ZN7rocprim17ROCPRIM_400000_NS6detail17trampoline_kernelINS0_14default_configENS1_29reduce_by_key_config_selectorIllN6thrust23THRUST_200600_302600_NS4plusIlEEEEZZNS1_33reduce_by_key_impl_wrapped_configILNS1_25lookback_scan_determinismE0ES3_S9_NS6_18transform_iteratorI6div_opNS6_17counting_iteratorIlNS6_11use_defaultESF_SF_EESF_SF_EENSC_I6mod_opSG_SF_SF_EENS6_6detail15normal_iteratorINS6_10device_ptrIlEEEESO_PmS8_NS6_8equal_toIlEEEE10hipError_tPvRmT2_T3_mT4_T5_T6_T7_T8_P12ihipStream_tbENKUlT_T0_E_clISt17integral_constantIbLb0EES18_IbLb1EEEEDaS14_S15_EUlS14_E_NS1_11comp_targetILNS1_3genE9ELNS1_11target_archE1100ELNS1_3gpuE3ELNS1_3repE0EEENS1_30default_config_static_selectorELNS0_4arch9wavefront6targetE1EEEvT1_
                                        ; -- End function
	.section	.AMDGPU.csdata,"",@progbits
; Kernel info:
; codeLenInByte = 0
; NumSgprs: 4
; NumVgprs: 0
; NumAgprs: 0
; TotalNumVgprs: 0
; ScratchSize: 0
; MemoryBound: 0
; FloatMode: 240
; IeeeMode: 1
; LDSByteSize: 0 bytes/workgroup (compile time only)
; SGPRBlocks: 0
; VGPRBlocks: 0
; NumSGPRsForWavesPerEU: 4
; NumVGPRsForWavesPerEU: 1
; AccumOffset: 4
; Occupancy: 8
; WaveLimiterHint : 0
; COMPUTE_PGM_RSRC2:SCRATCH_EN: 0
; COMPUTE_PGM_RSRC2:USER_SGPR: 6
; COMPUTE_PGM_RSRC2:TRAP_HANDLER: 0
; COMPUTE_PGM_RSRC2:TGID_X_EN: 1
; COMPUTE_PGM_RSRC2:TGID_Y_EN: 0
; COMPUTE_PGM_RSRC2:TGID_Z_EN: 0
; COMPUTE_PGM_RSRC2:TIDIG_COMP_CNT: 0
; COMPUTE_PGM_RSRC3_GFX90A:ACCUM_OFFSET: 0
; COMPUTE_PGM_RSRC3_GFX90A:TG_SPLIT: 0
	.section	.text._ZN7rocprim17ROCPRIM_400000_NS6detail17trampoline_kernelINS0_14default_configENS1_29reduce_by_key_config_selectorIllN6thrust23THRUST_200600_302600_NS4plusIlEEEEZZNS1_33reduce_by_key_impl_wrapped_configILNS1_25lookback_scan_determinismE0ES3_S9_NS6_18transform_iteratorI6div_opNS6_17counting_iteratorIlNS6_11use_defaultESF_SF_EESF_SF_EENSC_I6mod_opSG_SF_SF_EENS6_6detail15normal_iteratorINS6_10device_ptrIlEEEESO_PmS8_NS6_8equal_toIlEEEE10hipError_tPvRmT2_T3_mT4_T5_T6_T7_T8_P12ihipStream_tbENKUlT_T0_E_clISt17integral_constantIbLb0EES18_IbLb1EEEEDaS14_S15_EUlS14_E_NS1_11comp_targetILNS1_3genE8ELNS1_11target_archE1030ELNS1_3gpuE2ELNS1_3repE0EEENS1_30default_config_static_selectorELNS0_4arch9wavefront6targetE1EEEvT1_,"axG",@progbits,_ZN7rocprim17ROCPRIM_400000_NS6detail17trampoline_kernelINS0_14default_configENS1_29reduce_by_key_config_selectorIllN6thrust23THRUST_200600_302600_NS4plusIlEEEEZZNS1_33reduce_by_key_impl_wrapped_configILNS1_25lookback_scan_determinismE0ES3_S9_NS6_18transform_iteratorI6div_opNS6_17counting_iteratorIlNS6_11use_defaultESF_SF_EESF_SF_EENSC_I6mod_opSG_SF_SF_EENS6_6detail15normal_iteratorINS6_10device_ptrIlEEEESO_PmS8_NS6_8equal_toIlEEEE10hipError_tPvRmT2_T3_mT4_T5_T6_T7_T8_P12ihipStream_tbENKUlT_T0_E_clISt17integral_constantIbLb0EES18_IbLb1EEEEDaS14_S15_EUlS14_E_NS1_11comp_targetILNS1_3genE8ELNS1_11target_archE1030ELNS1_3gpuE2ELNS1_3repE0EEENS1_30default_config_static_selectorELNS0_4arch9wavefront6targetE1EEEvT1_,comdat
	.protected	_ZN7rocprim17ROCPRIM_400000_NS6detail17trampoline_kernelINS0_14default_configENS1_29reduce_by_key_config_selectorIllN6thrust23THRUST_200600_302600_NS4plusIlEEEEZZNS1_33reduce_by_key_impl_wrapped_configILNS1_25lookback_scan_determinismE0ES3_S9_NS6_18transform_iteratorI6div_opNS6_17counting_iteratorIlNS6_11use_defaultESF_SF_EESF_SF_EENSC_I6mod_opSG_SF_SF_EENS6_6detail15normal_iteratorINS6_10device_ptrIlEEEESO_PmS8_NS6_8equal_toIlEEEE10hipError_tPvRmT2_T3_mT4_T5_T6_T7_T8_P12ihipStream_tbENKUlT_T0_E_clISt17integral_constantIbLb0EES18_IbLb1EEEEDaS14_S15_EUlS14_E_NS1_11comp_targetILNS1_3genE8ELNS1_11target_archE1030ELNS1_3gpuE2ELNS1_3repE0EEENS1_30default_config_static_selectorELNS0_4arch9wavefront6targetE1EEEvT1_ ; -- Begin function _ZN7rocprim17ROCPRIM_400000_NS6detail17trampoline_kernelINS0_14default_configENS1_29reduce_by_key_config_selectorIllN6thrust23THRUST_200600_302600_NS4plusIlEEEEZZNS1_33reduce_by_key_impl_wrapped_configILNS1_25lookback_scan_determinismE0ES3_S9_NS6_18transform_iteratorI6div_opNS6_17counting_iteratorIlNS6_11use_defaultESF_SF_EESF_SF_EENSC_I6mod_opSG_SF_SF_EENS6_6detail15normal_iteratorINS6_10device_ptrIlEEEESO_PmS8_NS6_8equal_toIlEEEE10hipError_tPvRmT2_T3_mT4_T5_T6_T7_T8_P12ihipStream_tbENKUlT_T0_E_clISt17integral_constantIbLb0EES18_IbLb1EEEEDaS14_S15_EUlS14_E_NS1_11comp_targetILNS1_3genE8ELNS1_11target_archE1030ELNS1_3gpuE2ELNS1_3repE0EEENS1_30default_config_static_selectorELNS0_4arch9wavefront6targetE1EEEvT1_
	.globl	_ZN7rocprim17ROCPRIM_400000_NS6detail17trampoline_kernelINS0_14default_configENS1_29reduce_by_key_config_selectorIllN6thrust23THRUST_200600_302600_NS4plusIlEEEEZZNS1_33reduce_by_key_impl_wrapped_configILNS1_25lookback_scan_determinismE0ES3_S9_NS6_18transform_iteratorI6div_opNS6_17counting_iteratorIlNS6_11use_defaultESF_SF_EESF_SF_EENSC_I6mod_opSG_SF_SF_EENS6_6detail15normal_iteratorINS6_10device_ptrIlEEEESO_PmS8_NS6_8equal_toIlEEEE10hipError_tPvRmT2_T3_mT4_T5_T6_T7_T8_P12ihipStream_tbENKUlT_T0_E_clISt17integral_constantIbLb0EES18_IbLb1EEEEDaS14_S15_EUlS14_E_NS1_11comp_targetILNS1_3genE8ELNS1_11target_archE1030ELNS1_3gpuE2ELNS1_3repE0EEENS1_30default_config_static_selectorELNS0_4arch9wavefront6targetE1EEEvT1_
	.p2align	8
	.type	_ZN7rocprim17ROCPRIM_400000_NS6detail17trampoline_kernelINS0_14default_configENS1_29reduce_by_key_config_selectorIllN6thrust23THRUST_200600_302600_NS4plusIlEEEEZZNS1_33reduce_by_key_impl_wrapped_configILNS1_25lookback_scan_determinismE0ES3_S9_NS6_18transform_iteratorI6div_opNS6_17counting_iteratorIlNS6_11use_defaultESF_SF_EESF_SF_EENSC_I6mod_opSG_SF_SF_EENS6_6detail15normal_iteratorINS6_10device_ptrIlEEEESO_PmS8_NS6_8equal_toIlEEEE10hipError_tPvRmT2_T3_mT4_T5_T6_T7_T8_P12ihipStream_tbENKUlT_T0_E_clISt17integral_constantIbLb0EES18_IbLb1EEEEDaS14_S15_EUlS14_E_NS1_11comp_targetILNS1_3genE8ELNS1_11target_archE1030ELNS1_3gpuE2ELNS1_3repE0EEENS1_30default_config_static_selectorELNS0_4arch9wavefront6targetE1EEEvT1_,@function
_ZN7rocprim17ROCPRIM_400000_NS6detail17trampoline_kernelINS0_14default_configENS1_29reduce_by_key_config_selectorIllN6thrust23THRUST_200600_302600_NS4plusIlEEEEZZNS1_33reduce_by_key_impl_wrapped_configILNS1_25lookback_scan_determinismE0ES3_S9_NS6_18transform_iteratorI6div_opNS6_17counting_iteratorIlNS6_11use_defaultESF_SF_EESF_SF_EENSC_I6mod_opSG_SF_SF_EENS6_6detail15normal_iteratorINS6_10device_ptrIlEEEESO_PmS8_NS6_8equal_toIlEEEE10hipError_tPvRmT2_T3_mT4_T5_T6_T7_T8_P12ihipStream_tbENKUlT_T0_E_clISt17integral_constantIbLb0EES18_IbLb1EEEEDaS14_S15_EUlS14_E_NS1_11comp_targetILNS1_3genE8ELNS1_11target_archE1030ELNS1_3gpuE2ELNS1_3repE0EEENS1_30default_config_static_selectorELNS0_4arch9wavefront6targetE1EEEvT1_: ; @_ZN7rocprim17ROCPRIM_400000_NS6detail17trampoline_kernelINS0_14default_configENS1_29reduce_by_key_config_selectorIllN6thrust23THRUST_200600_302600_NS4plusIlEEEEZZNS1_33reduce_by_key_impl_wrapped_configILNS1_25lookback_scan_determinismE0ES3_S9_NS6_18transform_iteratorI6div_opNS6_17counting_iteratorIlNS6_11use_defaultESF_SF_EESF_SF_EENSC_I6mod_opSG_SF_SF_EENS6_6detail15normal_iteratorINS6_10device_ptrIlEEEESO_PmS8_NS6_8equal_toIlEEEE10hipError_tPvRmT2_T3_mT4_T5_T6_T7_T8_P12ihipStream_tbENKUlT_T0_E_clISt17integral_constantIbLb0EES18_IbLb1EEEEDaS14_S15_EUlS14_E_NS1_11comp_targetILNS1_3genE8ELNS1_11target_archE1030ELNS1_3gpuE2ELNS1_3repE0EEENS1_30default_config_static_selectorELNS0_4arch9wavefront6targetE1EEEvT1_
; %bb.0:
	.section	.rodata,"a",@progbits
	.p2align	6, 0x0
	.amdhsa_kernel _ZN7rocprim17ROCPRIM_400000_NS6detail17trampoline_kernelINS0_14default_configENS1_29reduce_by_key_config_selectorIllN6thrust23THRUST_200600_302600_NS4plusIlEEEEZZNS1_33reduce_by_key_impl_wrapped_configILNS1_25lookback_scan_determinismE0ES3_S9_NS6_18transform_iteratorI6div_opNS6_17counting_iteratorIlNS6_11use_defaultESF_SF_EESF_SF_EENSC_I6mod_opSG_SF_SF_EENS6_6detail15normal_iteratorINS6_10device_ptrIlEEEESO_PmS8_NS6_8equal_toIlEEEE10hipError_tPvRmT2_T3_mT4_T5_T6_T7_T8_P12ihipStream_tbENKUlT_T0_E_clISt17integral_constantIbLb0EES18_IbLb1EEEEDaS14_S15_EUlS14_E_NS1_11comp_targetILNS1_3genE8ELNS1_11target_archE1030ELNS1_3gpuE2ELNS1_3repE0EEENS1_30default_config_static_selectorELNS0_4arch9wavefront6targetE1EEEvT1_
		.amdhsa_group_segment_fixed_size 0
		.amdhsa_private_segment_fixed_size 0
		.amdhsa_kernarg_size 152
		.amdhsa_user_sgpr_count 6
		.amdhsa_user_sgpr_private_segment_buffer 1
		.amdhsa_user_sgpr_dispatch_ptr 0
		.amdhsa_user_sgpr_queue_ptr 0
		.amdhsa_user_sgpr_kernarg_segment_ptr 1
		.amdhsa_user_sgpr_dispatch_id 0
		.amdhsa_user_sgpr_flat_scratch_init 0
		.amdhsa_user_sgpr_kernarg_preload_length 0
		.amdhsa_user_sgpr_kernarg_preload_offset 0
		.amdhsa_user_sgpr_private_segment_size 0
		.amdhsa_uses_dynamic_stack 0
		.amdhsa_system_sgpr_private_segment_wavefront_offset 0
		.amdhsa_system_sgpr_workgroup_id_x 1
		.amdhsa_system_sgpr_workgroup_id_y 0
		.amdhsa_system_sgpr_workgroup_id_z 0
		.amdhsa_system_sgpr_workgroup_info 0
		.amdhsa_system_vgpr_workitem_id 0
		.amdhsa_next_free_vgpr 1
		.amdhsa_next_free_sgpr 0
		.amdhsa_accum_offset 4
		.amdhsa_reserve_vcc 0
		.amdhsa_reserve_flat_scratch 0
		.amdhsa_float_round_mode_32 0
		.amdhsa_float_round_mode_16_64 0
		.amdhsa_float_denorm_mode_32 3
		.amdhsa_float_denorm_mode_16_64 3
		.amdhsa_dx10_clamp 1
		.amdhsa_ieee_mode 1
		.amdhsa_fp16_overflow 0
		.amdhsa_tg_split 0
		.amdhsa_exception_fp_ieee_invalid_op 0
		.amdhsa_exception_fp_denorm_src 0
		.amdhsa_exception_fp_ieee_div_zero 0
		.amdhsa_exception_fp_ieee_overflow 0
		.amdhsa_exception_fp_ieee_underflow 0
		.amdhsa_exception_fp_ieee_inexact 0
		.amdhsa_exception_int_div_zero 0
	.end_amdhsa_kernel
	.section	.text._ZN7rocprim17ROCPRIM_400000_NS6detail17trampoline_kernelINS0_14default_configENS1_29reduce_by_key_config_selectorIllN6thrust23THRUST_200600_302600_NS4plusIlEEEEZZNS1_33reduce_by_key_impl_wrapped_configILNS1_25lookback_scan_determinismE0ES3_S9_NS6_18transform_iteratorI6div_opNS6_17counting_iteratorIlNS6_11use_defaultESF_SF_EESF_SF_EENSC_I6mod_opSG_SF_SF_EENS6_6detail15normal_iteratorINS6_10device_ptrIlEEEESO_PmS8_NS6_8equal_toIlEEEE10hipError_tPvRmT2_T3_mT4_T5_T6_T7_T8_P12ihipStream_tbENKUlT_T0_E_clISt17integral_constantIbLb0EES18_IbLb1EEEEDaS14_S15_EUlS14_E_NS1_11comp_targetILNS1_3genE8ELNS1_11target_archE1030ELNS1_3gpuE2ELNS1_3repE0EEENS1_30default_config_static_selectorELNS0_4arch9wavefront6targetE1EEEvT1_,"axG",@progbits,_ZN7rocprim17ROCPRIM_400000_NS6detail17trampoline_kernelINS0_14default_configENS1_29reduce_by_key_config_selectorIllN6thrust23THRUST_200600_302600_NS4plusIlEEEEZZNS1_33reduce_by_key_impl_wrapped_configILNS1_25lookback_scan_determinismE0ES3_S9_NS6_18transform_iteratorI6div_opNS6_17counting_iteratorIlNS6_11use_defaultESF_SF_EESF_SF_EENSC_I6mod_opSG_SF_SF_EENS6_6detail15normal_iteratorINS6_10device_ptrIlEEEESO_PmS8_NS6_8equal_toIlEEEE10hipError_tPvRmT2_T3_mT4_T5_T6_T7_T8_P12ihipStream_tbENKUlT_T0_E_clISt17integral_constantIbLb0EES18_IbLb1EEEEDaS14_S15_EUlS14_E_NS1_11comp_targetILNS1_3genE8ELNS1_11target_archE1030ELNS1_3gpuE2ELNS1_3repE0EEENS1_30default_config_static_selectorELNS0_4arch9wavefront6targetE1EEEvT1_,comdat
.Lfunc_end1170:
	.size	_ZN7rocprim17ROCPRIM_400000_NS6detail17trampoline_kernelINS0_14default_configENS1_29reduce_by_key_config_selectorIllN6thrust23THRUST_200600_302600_NS4plusIlEEEEZZNS1_33reduce_by_key_impl_wrapped_configILNS1_25lookback_scan_determinismE0ES3_S9_NS6_18transform_iteratorI6div_opNS6_17counting_iteratorIlNS6_11use_defaultESF_SF_EESF_SF_EENSC_I6mod_opSG_SF_SF_EENS6_6detail15normal_iteratorINS6_10device_ptrIlEEEESO_PmS8_NS6_8equal_toIlEEEE10hipError_tPvRmT2_T3_mT4_T5_T6_T7_T8_P12ihipStream_tbENKUlT_T0_E_clISt17integral_constantIbLb0EES18_IbLb1EEEEDaS14_S15_EUlS14_E_NS1_11comp_targetILNS1_3genE8ELNS1_11target_archE1030ELNS1_3gpuE2ELNS1_3repE0EEENS1_30default_config_static_selectorELNS0_4arch9wavefront6targetE1EEEvT1_, .Lfunc_end1170-_ZN7rocprim17ROCPRIM_400000_NS6detail17trampoline_kernelINS0_14default_configENS1_29reduce_by_key_config_selectorIllN6thrust23THRUST_200600_302600_NS4plusIlEEEEZZNS1_33reduce_by_key_impl_wrapped_configILNS1_25lookback_scan_determinismE0ES3_S9_NS6_18transform_iteratorI6div_opNS6_17counting_iteratorIlNS6_11use_defaultESF_SF_EESF_SF_EENSC_I6mod_opSG_SF_SF_EENS6_6detail15normal_iteratorINS6_10device_ptrIlEEEESO_PmS8_NS6_8equal_toIlEEEE10hipError_tPvRmT2_T3_mT4_T5_T6_T7_T8_P12ihipStream_tbENKUlT_T0_E_clISt17integral_constantIbLb0EES18_IbLb1EEEEDaS14_S15_EUlS14_E_NS1_11comp_targetILNS1_3genE8ELNS1_11target_archE1030ELNS1_3gpuE2ELNS1_3repE0EEENS1_30default_config_static_selectorELNS0_4arch9wavefront6targetE1EEEvT1_
                                        ; -- End function
	.section	.AMDGPU.csdata,"",@progbits
; Kernel info:
; codeLenInByte = 0
; NumSgprs: 4
; NumVgprs: 0
; NumAgprs: 0
; TotalNumVgprs: 0
; ScratchSize: 0
; MemoryBound: 0
; FloatMode: 240
; IeeeMode: 1
; LDSByteSize: 0 bytes/workgroup (compile time only)
; SGPRBlocks: 0
; VGPRBlocks: 0
; NumSGPRsForWavesPerEU: 4
; NumVGPRsForWavesPerEU: 1
; AccumOffset: 4
; Occupancy: 8
; WaveLimiterHint : 0
; COMPUTE_PGM_RSRC2:SCRATCH_EN: 0
; COMPUTE_PGM_RSRC2:USER_SGPR: 6
; COMPUTE_PGM_RSRC2:TRAP_HANDLER: 0
; COMPUTE_PGM_RSRC2:TGID_X_EN: 1
; COMPUTE_PGM_RSRC2:TGID_Y_EN: 0
; COMPUTE_PGM_RSRC2:TGID_Z_EN: 0
; COMPUTE_PGM_RSRC2:TIDIG_COMP_CNT: 0
; COMPUTE_PGM_RSRC3_GFX90A:ACCUM_OFFSET: 0
; COMPUTE_PGM_RSRC3_GFX90A:TG_SPLIT: 0
	.section	.text._ZN7rocprim17ROCPRIM_400000_NS6detail17trampoline_kernelINS0_14default_configENS1_22reduce_config_selectorIN6thrust23THRUST_200600_302600_NS5tupleIblNS6_9null_typeES8_S8_S8_S8_S8_S8_S8_EEEEZNS1_11reduce_implILb1ES3_PS9_SC_S9_NS6_11hip_rocprim9__find_if7functorIS9_EEEE10hipError_tPvRmT1_T2_T3_mT4_P12ihipStream_tbEUlT_E0_NS1_11comp_targetILNS1_3genE0ELNS1_11target_archE4294967295ELNS1_3gpuE0ELNS1_3repE0EEENS1_30default_config_static_selectorELNS0_4arch9wavefront6targetE1EEEvSK_,"axG",@progbits,_ZN7rocprim17ROCPRIM_400000_NS6detail17trampoline_kernelINS0_14default_configENS1_22reduce_config_selectorIN6thrust23THRUST_200600_302600_NS5tupleIblNS6_9null_typeES8_S8_S8_S8_S8_S8_S8_EEEEZNS1_11reduce_implILb1ES3_PS9_SC_S9_NS6_11hip_rocprim9__find_if7functorIS9_EEEE10hipError_tPvRmT1_T2_T3_mT4_P12ihipStream_tbEUlT_E0_NS1_11comp_targetILNS1_3genE0ELNS1_11target_archE4294967295ELNS1_3gpuE0ELNS1_3repE0EEENS1_30default_config_static_selectorELNS0_4arch9wavefront6targetE1EEEvSK_,comdat
	.protected	_ZN7rocprim17ROCPRIM_400000_NS6detail17trampoline_kernelINS0_14default_configENS1_22reduce_config_selectorIN6thrust23THRUST_200600_302600_NS5tupleIblNS6_9null_typeES8_S8_S8_S8_S8_S8_S8_EEEEZNS1_11reduce_implILb1ES3_PS9_SC_S9_NS6_11hip_rocprim9__find_if7functorIS9_EEEE10hipError_tPvRmT1_T2_T3_mT4_P12ihipStream_tbEUlT_E0_NS1_11comp_targetILNS1_3genE0ELNS1_11target_archE4294967295ELNS1_3gpuE0ELNS1_3repE0EEENS1_30default_config_static_selectorELNS0_4arch9wavefront6targetE1EEEvSK_ ; -- Begin function _ZN7rocprim17ROCPRIM_400000_NS6detail17trampoline_kernelINS0_14default_configENS1_22reduce_config_selectorIN6thrust23THRUST_200600_302600_NS5tupleIblNS6_9null_typeES8_S8_S8_S8_S8_S8_S8_EEEEZNS1_11reduce_implILb1ES3_PS9_SC_S9_NS6_11hip_rocprim9__find_if7functorIS9_EEEE10hipError_tPvRmT1_T2_T3_mT4_P12ihipStream_tbEUlT_E0_NS1_11comp_targetILNS1_3genE0ELNS1_11target_archE4294967295ELNS1_3gpuE0ELNS1_3repE0EEENS1_30default_config_static_selectorELNS0_4arch9wavefront6targetE1EEEvSK_
	.globl	_ZN7rocprim17ROCPRIM_400000_NS6detail17trampoline_kernelINS0_14default_configENS1_22reduce_config_selectorIN6thrust23THRUST_200600_302600_NS5tupleIblNS6_9null_typeES8_S8_S8_S8_S8_S8_S8_EEEEZNS1_11reduce_implILb1ES3_PS9_SC_S9_NS6_11hip_rocprim9__find_if7functorIS9_EEEE10hipError_tPvRmT1_T2_T3_mT4_P12ihipStream_tbEUlT_E0_NS1_11comp_targetILNS1_3genE0ELNS1_11target_archE4294967295ELNS1_3gpuE0ELNS1_3repE0EEENS1_30default_config_static_selectorELNS0_4arch9wavefront6targetE1EEEvSK_
	.p2align	8
	.type	_ZN7rocprim17ROCPRIM_400000_NS6detail17trampoline_kernelINS0_14default_configENS1_22reduce_config_selectorIN6thrust23THRUST_200600_302600_NS5tupleIblNS6_9null_typeES8_S8_S8_S8_S8_S8_S8_EEEEZNS1_11reduce_implILb1ES3_PS9_SC_S9_NS6_11hip_rocprim9__find_if7functorIS9_EEEE10hipError_tPvRmT1_T2_T3_mT4_P12ihipStream_tbEUlT_E0_NS1_11comp_targetILNS1_3genE0ELNS1_11target_archE4294967295ELNS1_3gpuE0ELNS1_3repE0EEENS1_30default_config_static_selectorELNS0_4arch9wavefront6targetE1EEEvSK_,@function
_ZN7rocprim17ROCPRIM_400000_NS6detail17trampoline_kernelINS0_14default_configENS1_22reduce_config_selectorIN6thrust23THRUST_200600_302600_NS5tupleIblNS6_9null_typeES8_S8_S8_S8_S8_S8_S8_EEEEZNS1_11reduce_implILb1ES3_PS9_SC_S9_NS6_11hip_rocprim9__find_if7functorIS9_EEEE10hipError_tPvRmT1_T2_T3_mT4_P12ihipStream_tbEUlT_E0_NS1_11comp_targetILNS1_3genE0ELNS1_11target_archE4294967295ELNS1_3gpuE0ELNS1_3repE0EEENS1_30default_config_static_selectorELNS0_4arch9wavefront6targetE1EEEvSK_: ; @_ZN7rocprim17ROCPRIM_400000_NS6detail17trampoline_kernelINS0_14default_configENS1_22reduce_config_selectorIN6thrust23THRUST_200600_302600_NS5tupleIblNS6_9null_typeES8_S8_S8_S8_S8_S8_S8_EEEEZNS1_11reduce_implILb1ES3_PS9_SC_S9_NS6_11hip_rocprim9__find_if7functorIS9_EEEE10hipError_tPvRmT1_T2_T3_mT4_P12ihipStream_tbEUlT_E0_NS1_11comp_targetILNS1_3genE0ELNS1_11target_archE4294967295ELNS1_3gpuE0ELNS1_3repE0EEENS1_30default_config_static_selectorELNS0_4arch9wavefront6targetE1EEEvSK_
; %bb.0:
	.section	.rodata,"a",@progbits
	.p2align	6, 0x0
	.amdhsa_kernel _ZN7rocprim17ROCPRIM_400000_NS6detail17trampoline_kernelINS0_14default_configENS1_22reduce_config_selectorIN6thrust23THRUST_200600_302600_NS5tupleIblNS6_9null_typeES8_S8_S8_S8_S8_S8_S8_EEEEZNS1_11reduce_implILb1ES3_PS9_SC_S9_NS6_11hip_rocprim9__find_if7functorIS9_EEEE10hipError_tPvRmT1_T2_T3_mT4_P12ihipStream_tbEUlT_E0_NS1_11comp_targetILNS1_3genE0ELNS1_11target_archE4294967295ELNS1_3gpuE0ELNS1_3repE0EEENS1_30default_config_static_selectorELNS0_4arch9wavefront6targetE1EEEvSK_
		.amdhsa_group_segment_fixed_size 0
		.amdhsa_private_segment_fixed_size 0
		.amdhsa_kernarg_size 72
		.amdhsa_user_sgpr_count 6
		.amdhsa_user_sgpr_private_segment_buffer 1
		.amdhsa_user_sgpr_dispatch_ptr 0
		.amdhsa_user_sgpr_queue_ptr 0
		.amdhsa_user_sgpr_kernarg_segment_ptr 1
		.amdhsa_user_sgpr_dispatch_id 0
		.amdhsa_user_sgpr_flat_scratch_init 0
		.amdhsa_user_sgpr_kernarg_preload_length 0
		.amdhsa_user_sgpr_kernarg_preload_offset 0
		.amdhsa_user_sgpr_private_segment_size 0
		.amdhsa_uses_dynamic_stack 0
		.amdhsa_system_sgpr_private_segment_wavefront_offset 0
		.amdhsa_system_sgpr_workgroup_id_x 1
		.amdhsa_system_sgpr_workgroup_id_y 0
		.amdhsa_system_sgpr_workgroup_id_z 0
		.amdhsa_system_sgpr_workgroup_info 0
		.amdhsa_system_vgpr_workitem_id 0
		.amdhsa_next_free_vgpr 1
		.amdhsa_next_free_sgpr 0
		.amdhsa_accum_offset 4
		.amdhsa_reserve_vcc 0
		.amdhsa_reserve_flat_scratch 0
		.amdhsa_float_round_mode_32 0
		.amdhsa_float_round_mode_16_64 0
		.amdhsa_float_denorm_mode_32 3
		.amdhsa_float_denorm_mode_16_64 3
		.amdhsa_dx10_clamp 1
		.amdhsa_ieee_mode 1
		.amdhsa_fp16_overflow 0
		.amdhsa_tg_split 0
		.amdhsa_exception_fp_ieee_invalid_op 0
		.amdhsa_exception_fp_denorm_src 0
		.amdhsa_exception_fp_ieee_div_zero 0
		.amdhsa_exception_fp_ieee_overflow 0
		.amdhsa_exception_fp_ieee_underflow 0
		.amdhsa_exception_fp_ieee_inexact 0
		.amdhsa_exception_int_div_zero 0
	.end_amdhsa_kernel
	.section	.text._ZN7rocprim17ROCPRIM_400000_NS6detail17trampoline_kernelINS0_14default_configENS1_22reduce_config_selectorIN6thrust23THRUST_200600_302600_NS5tupleIblNS6_9null_typeES8_S8_S8_S8_S8_S8_S8_EEEEZNS1_11reduce_implILb1ES3_PS9_SC_S9_NS6_11hip_rocprim9__find_if7functorIS9_EEEE10hipError_tPvRmT1_T2_T3_mT4_P12ihipStream_tbEUlT_E0_NS1_11comp_targetILNS1_3genE0ELNS1_11target_archE4294967295ELNS1_3gpuE0ELNS1_3repE0EEENS1_30default_config_static_selectorELNS0_4arch9wavefront6targetE1EEEvSK_,"axG",@progbits,_ZN7rocprim17ROCPRIM_400000_NS6detail17trampoline_kernelINS0_14default_configENS1_22reduce_config_selectorIN6thrust23THRUST_200600_302600_NS5tupleIblNS6_9null_typeES8_S8_S8_S8_S8_S8_S8_EEEEZNS1_11reduce_implILb1ES3_PS9_SC_S9_NS6_11hip_rocprim9__find_if7functorIS9_EEEE10hipError_tPvRmT1_T2_T3_mT4_P12ihipStream_tbEUlT_E0_NS1_11comp_targetILNS1_3genE0ELNS1_11target_archE4294967295ELNS1_3gpuE0ELNS1_3repE0EEENS1_30default_config_static_selectorELNS0_4arch9wavefront6targetE1EEEvSK_,comdat
.Lfunc_end1171:
	.size	_ZN7rocprim17ROCPRIM_400000_NS6detail17trampoline_kernelINS0_14default_configENS1_22reduce_config_selectorIN6thrust23THRUST_200600_302600_NS5tupleIblNS6_9null_typeES8_S8_S8_S8_S8_S8_S8_EEEEZNS1_11reduce_implILb1ES3_PS9_SC_S9_NS6_11hip_rocprim9__find_if7functorIS9_EEEE10hipError_tPvRmT1_T2_T3_mT4_P12ihipStream_tbEUlT_E0_NS1_11comp_targetILNS1_3genE0ELNS1_11target_archE4294967295ELNS1_3gpuE0ELNS1_3repE0EEENS1_30default_config_static_selectorELNS0_4arch9wavefront6targetE1EEEvSK_, .Lfunc_end1171-_ZN7rocprim17ROCPRIM_400000_NS6detail17trampoline_kernelINS0_14default_configENS1_22reduce_config_selectorIN6thrust23THRUST_200600_302600_NS5tupleIblNS6_9null_typeES8_S8_S8_S8_S8_S8_S8_EEEEZNS1_11reduce_implILb1ES3_PS9_SC_S9_NS6_11hip_rocprim9__find_if7functorIS9_EEEE10hipError_tPvRmT1_T2_T3_mT4_P12ihipStream_tbEUlT_E0_NS1_11comp_targetILNS1_3genE0ELNS1_11target_archE4294967295ELNS1_3gpuE0ELNS1_3repE0EEENS1_30default_config_static_selectorELNS0_4arch9wavefront6targetE1EEEvSK_
                                        ; -- End function
	.section	.AMDGPU.csdata,"",@progbits
; Kernel info:
; codeLenInByte = 0
; NumSgprs: 4
; NumVgprs: 0
; NumAgprs: 0
; TotalNumVgprs: 0
; ScratchSize: 0
; MemoryBound: 0
; FloatMode: 240
; IeeeMode: 1
; LDSByteSize: 0 bytes/workgroup (compile time only)
; SGPRBlocks: 0
; VGPRBlocks: 0
; NumSGPRsForWavesPerEU: 4
; NumVGPRsForWavesPerEU: 1
; AccumOffset: 4
; Occupancy: 8
; WaveLimiterHint : 0
; COMPUTE_PGM_RSRC2:SCRATCH_EN: 0
; COMPUTE_PGM_RSRC2:USER_SGPR: 6
; COMPUTE_PGM_RSRC2:TRAP_HANDLER: 0
; COMPUTE_PGM_RSRC2:TGID_X_EN: 1
; COMPUTE_PGM_RSRC2:TGID_Y_EN: 0
; COMPUTE_PGM_RSRC2:TGID_Z_EN: 0
; COMPUTE_PGM_RSRC2:TIDIG_COMP_CNT: 0
; COMPUTE_PGM_RSRC3_GFX90A:ACCUM_OFFSET: 0
; COMPUTE_PGM_RSRC3_GFX90A:TG_SPLIT: 0
	.section	.text._ZN7rocprim17ROCPRIM_400000_NS6detail17trampoline_kernelINS0_14default_configENS1_22reduce_config_selectorIN6thrust23THRUST_200600_302600_NS5tupleIblNS6_9null_typeES8_S8_S8_S8_S8_S8_S8_EEEEZNS1_11reduce_implILb1ES3_PS9_SC_S9_NS6_11hip_rocprim9__find_if7functorIS9_EEEE10hipError_tPvRmT1_T2_T3_mT4_P12ihipStream_tbEUlT_E0_NS1_11comp_targetILNS1_3genE5ELNS1_11target_archE942ELNS1_3gpuE9ELNS1_3repE0EEENS1_30default_config_static_selectorELNS0_4arch9wavefront6targetE1EEEvSK_,"axG",@progbits,_ZN7rocprim17ROCPRIM_400000_NS6detail17trampoline_kernelINS0_14default_configENS1_22reduce_config_selectorIN6thrust23THRUST_200600_302600_NS5tupleIblNS6_9null_typeES8_S8_S8_S8_S8_S8_S8_EEEEZNS1_11reduce_implILb1ES3_PS9_SC_S9_NS6_11hip_rocprim9__find_if7functorIS9_EEEE10hipError_tPvRmT1_T2_T3_mT4_P12ihipStream_tbEUlT_E0_NS1_11comp_targetILNS1_3genE5ELNS1_11target_archE942ELNS1_3gpuE9ELNS1_3repE0EEENS1_30default_config_static_selectorELNS0_4arch9wavefront6targetE1EEEvSK_,comdat
	.protected	_ZN7rocprim17ROCPRIM_400000_NS6detail17trampoline_kernelINS0_14default_configENS1_22reduce_config_selectorIN6thrust23THRUST_200600_302600_NS5tupleIblNS6_9null_typeES8_S8_S8_S8_S8_S8_S8_EEEEZNS1_11reduce_implILb1ES3_PS9_SC_S9_NS6_11hip_rocprim9__find_if7functorIS9_EEEE10hipError_tPvRmT1_T2_T3_mT4_P12ihipStream_tbEUlT_E0_NS1_11comp_targetILNS1_3genE5ELNS1_11target_archE942ELNS1_3gpuE9ELNS1_3repE0EEENS1_30default_config_static_selectorELNS0_4arch9wavefront6targetE1EEEvSK_ ; -- Begin function _ZN7rocprim17ROCPRIM_400000_NS6detail17trampoline_kernelINS0_14default_configENS1_22reduce_config_selectorIN6thrust23THRUST_200600_302600_NS5tupleIblNS6_9null_typeES8_S8_S8_S8_S8_S8_S8_EEEEZNS1_11reduce_implILb1ES3_PS9_SC_S9_NS6_11hip_rocprim9__find_if7functorIS9_EEEE10hipError_tPvRmT1_T2_T3_mT4_P12ihipStream_tbEUlT_E0_NS1_11comp_targetILNS1_3genE5ELNS1_11target_archE942ELNS1_3gpuE9ELNS1_3repE0EEENS1_30default_config_static_selectorELNS0_4arch9wavefront6targetE1EEEvSK_
	.globl	_ZN7rocprim17ROCPRIM_400000_NS6detail17trampoline_kernelINS0_14default_configENS1_22reduce_config_selectorIN6thrust23THRUST_200600_302600_NS5tupleIblNS6_9null_typeES8_S8_S8_S8_S8_S8_S8_EEEEZNS1_11reduce_implILb1ES3_PS9_SC_S9_NS6_11hip_rocprim9__find_if7functorIS9_EEEE10hipError_tPvRmT1_T2_T3_mT4_P12ihipStream_tbEUlT_E0_NS1_11comp_targetILNS1_3genE5ELNS1_11target_archE942ELNS1_3gpuE9ELNS1_3repE0EEENS1_30default_config_static_selectorELNS0_4arch9wavefront6targetE1EEEvSK_
	.p2align	8
	.type	_ZN7rocprim17ROCPRIM_400000_NS6detail17trampoline_kernelINS0_14default_configENS1_22reduce_config_selectorIN6thrust23THRUST_200600_302600_NS5tupleIblNS6_9null_typeES8_S8_S8_S8_S8_S8_S8_EEEEZNS1_11reduce_implILb1ES3_PS9_SC_S9_NS6_11hip_rocprim9__find_if7functorIS9_EEEE10hipError_tPvRmT1_T2_T3_mT4_P12ihipStream_tbEUlT_E0_NS1_11comp_targetILNS1_3genE5ELNS1_11target_archE942ELNS1_3gpuE9ELNS1_3repE0EEENS1_30default_config_static_selectorELNS0_4arch9wavefront6targetE1EEEvSK_,@function
_ZN7rocprim17ROCPRIM_400000_NS6detail17trampoline_kernelINS0_14default_configENS1_22reduce_config_selectorIN6thrust23THRUST_200600_302600_NS5tupleIblNS6_9null_typeES8_S8_S8_S8_S8_S8_S8_EEEEZNS1_11reduce_implILb1ES3_PS9_SC_S9_NS6_11hip_rocprim9__find_if7functorIS9_EEEE10hipError_tPvRmT1_T2_T3_mT4_P12ihipStream_tbEUlT_E0_NS1_11comp_targetILNS1_3genE5ELNS1_11target_archE942ELNS1_3gpuE9ELNS1_3repE0EEENS1_30default_config_static_selectorELNS0_4arch9wavefront6targetE1EEEvSK_: ; @_ZN7rocprim17ROCPRIM_400000_NS6detail17trampoline_kernelINS0_14default_configENS1_22reduce_config_selectorIN6thrust23THRUST_200600_302600_NS5tupleIblNS6_9null_typeES8_S8_S8_S8_S8_S8_S8_EEEEZNS1_11reduce_implILb1ES3_PS9_SC_S9_NS6_11hip_rocprim9__find_if7functorIS9_EEEE10hipError_tPvRmT1_T2_T3_mT4_P12ihipStream_tbEUlT_E0_NS1_11comp_targetILNS1_3genE5ELNS1_11target_archE942ELNS1_3gpuE9ELNS1_3repE0EEENS1_30default_config_static_selectorELNS0_4arch9wavefront6targetE1EEEvSK_
; %bb.0:
	.section	.rodata,"a",@progbits
	.p2align	6, 0x0
	.amdhsa_kernel _ZN7rocprim17ROCPRIM_400000_NS6detail17trampoline_kernelINS0_14default_configENS1_22reduce_config_selectorIN6thrust23THRUST_200600_302600_NS5tupleIblNS6_9null_typeES8_S8_S8_S8_S8_S8_S8_EEEEZNS1_11reduce_implILb1ES3_PS9_SC_S9_NS6_11hip_rocprim9__find_if7functorIS9_EEEE10hipError_tPvRmT1_T2_T3_mT4_P12ihipStream_tbEUlT_E0_NS1_11comp_targetILNS1_3genE5ELNS1_11target_archE942ELNS1_3gpuE9ELNS1_3repE0EEENS1_30default_config_static_selectorELNS0_4arch9wavefront6targetE1EEEvSK_
		.amdhsa_group_segment_fixed_size 0
		.amdhsa_private_segment_fixed_size 0
		.amdhsa_kernarg_size 72
		.amdhsa_user_sgpr_count 6
		.amdhsa_user_sgpr_private_segment_buffer 1
		.amdhsa_user_sgpr_dispatch_ptr 0
		.amdhsa_user_sgpr_queue_ptr 0
		.amdhsa_user_sgpr_kernarg_segment_ptr 1
		.amdhsa_user_sgpr_dispatch_id 0
		.amdhsa_user_sgpr_flat_scratch_init 0
		.amdhsa_user_sgpr_kernarg_preload_length 0
		.amdhsa_user_sgpr_kernarg_preload_offset 0
		.amdhsa_user_sgpr_private_segment_size 0
		.amdhsa_uses_dynamic_stack 0
		.amdhsa_system_sgpr_private_segment_wavefront_offset 0
		.amdhsa_system_sgpr_workgroup_id_x 1
		.amdhsa_system_sgpr_workgroup_id_y 0
		.amdhsa_system_sgpr_workgroup_id_z 0
		.amdhsa_system_sgpr_workgroup_info 0
		.amdhsa_system_vgpr_workitem_id 0
		.amdhsa_next_free_vgpr 1
		.amdhsa_next_free_sgpr 0
		.amdhsa_accum_offset 4
		.amdhsa_reserve_vcc 0
		.amdhsa_reserve_flat_scratch 0
		.amdhsa_float_round_mode_32 0
		.amdhsa_float_round_mode_16_64 0
		.amdhsa_float_denorm_mode_32 3
		.amdhsa_float_denorm_mode_16_64 3
		.amdhsa_dx10_clamp 1
		.amdhsa_ieee_mode 1
		.amdhsa_fp16_overflow 0
		.amdhsa_tg_split 0
		.amdhsa_exception_fp_ieee_invalid_op 0
		.amdhsa_exception_fp_denorm_src 0
		.amdhsa_exception_fp_ieee_div_zero 0
		.amdhsa_exception_fp_ieee_overflow 0
		.amdhsa_exception_fp_ieee_underflow 0
		.amdhsa_exception_fp_ieee_inexact 0
		.amdhsa_exception_int_div_zero 0
	.end_amdhsa_kernel
	.section	.text._ZN7rocprim17ROCPRIM_400000_NS6detail17trampoline_kernelINS0_14default_configENS1_22reduce_config_selectorIN6thrust23THRUST_200600_302600_NS5tupleIblNS6_9null_typeES8_S8_S8_S8_S8_S8_S8_EEEEZNS1_11reduce_implILb1ES3_PS9_SC_S9_NS6_11hip_rocprim9__find_if7functorIS9_EEEE10hipError_tPvRmT1_T2_T3_mT4_P12ihipStream_tbEUlT_E0_NS1_11comp_targetILNS1_3genE5ELNS1_11target_archE942ELNS1_3gpuE9ELNS1_3repE0EEENS1_30default_config_static_selectorELNS0_4arch9wavefront6targetE1EEEvSK_,"axG",@progbits,_ZN7rocprim17ROCPRIM_400000_NS6detail17trampoline_kernelINS0_14default_configENS1_22reduce_config_selectorIN6thrust23THRUST_200600_302600_NS5tupleIblNS6_9null_typeES8_S8_S8_S8_S8_S8_S8_EEEEZNS1_11reduce_implILb1ES3_PS9_SC_S9_NS6_11hip_rocprim9__find_if7functorIS9_EEEE10hipError_tPvRmT1_T2_T3_mT4_P12ihipStream_tbEUlT_E0_NS1_11comp_targetILNS1_3genE5ELNS1_11target_archE942ELNS1_3gpuE9ELNS1_3repE0EEENS1_30default_config_static_selectorELNS0_4arch9wavefront6targetE1EEEvSK_,comdat
.Lfunc_end1172:
	.size	_ZN7rocprim17ROCPRIM_400000_NS6detail17trampoline_kernelINS0_14default_configENS1_22reduce_config_selectorIN6thrust23THRUST_200600_302600_NS5tupleIblNS6_9null_typeES8_S8_S8_S8_S8_S8_S8_EEEEZNS1_11reduce_implILb1ES3_PS9_SC_S9_NS6_11hip_rocprim9__find_if7functorIS9_EEEE10hipError_tPvRmT1_T2_T3_mT4_P12ihipStream_tbEUlT_E0_NS1_11comp_targetILNS1_3genE5ELNS1_11target_archE942ELNS1_3gpuE9ELNS1_3repE0EEENS1_30default_config_static_selectorELNS0_4arch9wavefront6targetE1EEEvSK_, .Lfunc_end1172-_ZN7rocprim17ROCPRIM_400000_NS6detail17trampoline_kernelINS0_14default_configENS1_22reduce_config_selectorIN6thrust23THRUST_200600_302600_NS5tupleIblNS6_9null_typeES8_S8_S8_S8_S8_S8_S8_EEEEZNS1_11reduce_implILb1ES3_PS9_SC_S9_NS6_11hip_rocprim9__find_if7functorIS9_EEEE10hipError_tPvRmT1_T2_T3_mT4_P12ihipStream_tbEUlT_E0_NS1_11comp_targetILNS1_3genE5ELNS1_11target_archE942ELNS1_3gpuE9ELNS1_3repE0EEENS1_30default_config_static_selectorELNS0_4arch9wavefront6targetE1EEEvSK_
                                        ; -- End function
	.section	.AMDGPU.csdata,"",@progbits
; Kernel info:
; codeLenInByte = 0
; NumSgprs: 4
; NumVgprs: 0
; NumAgprs: 0
; TotalNumVgprs: 0
; ScratchSize: 0
; MemoryBound: 0
; FloatMode: 240
; IeeeMode: 1
; LDSByteSize: 0 bytes/workgroup (compile time only)
; SGPRBlocks: 0
; VGPRBlocks: 0
; NumSGPRsForWavesPerEU: 4
; NumVGPRsForWavesPerEU: 1
; AccumOffset: 4
; Occupancy: 8
; WaveLimiterHint : 0
; COMPUTE_PGM_RSRC2:SCRATCH_EN: 0
; COMPUTE_PGM_RSRC2:USER_SGPR: 6
; COMPUTE_PGM_RSRC2:TRAP_HANDLER: 0
; COMPUTE_PGM_RSRC2:TGID_X_EN: 1
; COMPUTE_PGM_RSRC2:TGID_Y_EN: 0
; COMPUTE_PGM_RSRC2:TGID_Z_EN: 0
; COMPUTE_PGM_RSRC2:TIDIG_COMP_CNT: 0
; COMPUTE_PGM_RSRC3_GFX90A:ACCUM_OFFSET: 0
; COMPUTE_PGM_RSRC3_GFX90A:TG_SPLIT: 0
	.section	.text._ZN7rocprim17ROCPRIM_400000_NS6detail17trampoline_kernelINS0_14default_configENS1_22reduce_config_selectorIN6thrust23THRUST_200600_302600_NS5tupleIblNS6_9null_typeES8_S8_S8_S8_S8_S8_S8_EEEEZNS1_11reduce_implILb1ES3_PS9_SC_S9_NS6_11hip_rocprim9__find_if7functorIS9_EEEE10hipError_tPvRmT1_T2_T3_mT4_P12ihipStream_tbEUlT_E0_NS1_11comp_targetILNS1_3genE4ELNS1_11target_archE910ELNS1_3gpuE8ELNS1_3repE0EEENS1_30default_config_static_selectorELNS0_4arch9wavefront6targetE1EEEvSK_,"axG",@progbits,_ZN7rocprim17ROCPRIM_400000_NS6detail17trampoline_kernelINS0_14default_configENS1_22reduce_config_selectorIN6thrust23THRUST_200600_302600_NS5tupleIblNS6_9null_typeES8_S8_S8_S8_S8_S8_S8_EEEEZNS1_11reduce_implILb1ES3_PS9_SC_S9_NS6_11hip_rocprim9__find_if7functorIS9_EEEE10hipError_tPvRmT1_T2_T3_mT4_P12ihipStream_tbEUlT_E0_NS1_11comp_targetILNS1_3genE4ELNS1_11target_archE910ELNS1_3gpuE8ELNS1_3repE0EEENS1_30default_config_static_selectorELNS0_4arch9wavefront6targetE1EEEvSK_,comdat
	.protected	_ZN7rocprim17ROCPRIM_400000_NS6detail17trampoline_kernelINS0_14default_configENS1_22reduce_config_selectorIN6thrust23THRUST_200600_302600_NS5tupleIblNS6_9null_typeES8_S8_S8_S8_S8_S8_S8_EEEEZNS1_11reduce_implILb1ES3_PS9_SC_S9_NS6_11hip_rocprim9__find_if7functorIS9_EEEE10hipError_tPvRmT1_T2_T3_mT4_P12ihipStream_tbEUlT_E0_NS1_11comp_targetILNS1_3genE4ELNS1_11target_archE910ELNS1_3gpuE8ELNS1_3repE0EEENS1_30default_config_static_selectorELNS0_4arch9wavefront6targetE1EEEvSK_ ; -- Begin function _ZN7rocprim17ROCPRIM_400000_NS6detail17trampoline_kernelINS0_14default_configENS1_22reduce_config_selectorIN6thrust23THRUST_200600_302600_NS5tupleIblNS6_9null_typeES8_S8_S8_S8_S8_S8_S8_EEEEZNS1_11reduce_implILb1ES3_PS9_SC_S9_NS6_11hip_rocprim9__find_if7functorIS9_EEEE10hipError_tPvRmT1_T2_T3_mT4_P12ihipStream_tbEUlT_E0_NS1_11comp_targetILNS1_3genE4ELNS1_11target_archE910ELNS1_3gpuE8ELNS1_3repE0EEENS1_30default_config_static_selectorELNS0_4arch9wavefront6targetE1EEEvSK_
	.globl	_ZN7rocprim17ROCPRIM_400000_NS6detail17trampoline_kernelINS0_14default_configENS1_22reduce_config_selectorIN6thrust23THRUST_200600_302600_NS5tupleIblNS6_9null_typeES8_S8_S8_S8_S8_S8_S8_EEEEZNS1_11reduce_implILb1ES3_PS9_SC_S9_NS6_11hip_rocprim9__find_if7functorIS9_EEEE10hipError_tPvRmT1_T2_T3_mT4_P12ihipStream_tbEUlT_E0_NS1_11comp_targetILNS1_3genE4ELNS1_11target_archE910ELNS1_3gpuE8ELNS1_3repE0EEENS1_30default_config_static_selectorELNS0_4arch9wavefront6targetE1EEEvSK_
	.p2align	8
	.type	_ZN7rocprim17ROCPRIM_400000_NS6detail17trampoline_kernelINS0_14default_configENS1_22reduce_config_selectorIN6thrust23THRUST_200600_302600_NS5tupleIblNS6_9null_typeES8_S8_S8_S8_S8_S8_S8_EEEEZNS1_11reduce_implILb1ES3_PS9_SC_S9_NS6_11hip_rocprim9__find_if7functorIS9_EEEE10hipError_tPvRmT1_T2_T3_mT4_P12ihipStream_tbEUlT_E0_NS1_11comp_targetILNS1_3genE4ELNS1_11target_archE910ELNS1_3gpuE8ELNS1_3repE0EEENS1_30default_config_static_selectorELNS0_4arch9wavefront6targetE1EEEvSK_,@function
_ZN7rocprim17ROCPRIM_400000_NS6detail17trampoline_kernelINS0_14default_configENS1_22reduce_config_selectorIN6thrust23THRUST_200600_302600_NS5tupleIblNS6_9null_typeES8_S8_S8_S8_S8_S8_S8_EEEEZNS1_11reduce_implILb1ES3_PS9_SC_S9_NS6_11hip_rocprim9__find_if7functorIS9_EEEE10hipError_tPvRmT1_T2_T3_mT4_P12ihipStream_tbEUlT_E0_NS1_11comp_targetILNS1_3genE4ELNS1_11target_archE910ELNS1_3gpuE8ELNS1_3repE0EEENS1_30default_config_static_selectorELNS0_4arch9wavefront6targetE1EEEvSK_: ; @_ZN7rocprim17ROCPRIM_400000_NS6detail17trampoline_kernelINS0_14default_configENS1_22reduce_config_selectorIN6thrust23THRUST_200600_302600_NS5tupleIblNS6_9null_typeES8_S8_S8_S8_S8_S8_S8_EEEEZNS1_11reduce_implILb1ES3_PS9_SC_S9_NS6_11hip_rocprim9__find_if7functorIS9_EEEE10hipError_tPvRmT1_T2_T3_mT4_P12ihipStream_tbEUlT_E0_NS1_11comp_targetILNS1_3genE4ELNS1_11target_archE910ELNS1_3gpuE8ELNS1_3repE0EEENS1_30default_config_static_selectorELNS0_4arch9wavefront6targetE1EEEvSK_
; %bb.0:
	s_load_dwordx8 s[8:15], s[4:5], 0x0
	s_load_dwordx4 s[16:19], s[4:5], 0x20
	s_waitcnt lgkmcnt(0)
	s_lshl_b64 s[0:1], s[10:11], 4
	s_add_u32 s8, s8, s0
	s_addc_u32 s9, s9, s1
	s_lshl_b32 s10, s6, 9
	s_mov_b32 s11, 0
	s_lshr_b64 s[0:1], s[12:13], 9
	s_lshl_b64 s[2:3], s[10:11], 4
	s_add_u32 s8, s8, s2
	s_mov_b32 s7, s11
	s_addc_u32 s9, s9, s3
	s_cmp_lg_u64 s[0:1], s[6:7]
	s_cbranch_scc0 .LBB1173_20
; %bb.1:
	v_lshlrev_b32_e32 v7, 4, v0
	v_mov_b32_e32 v1, s9
	v_add_co_u32_e32 v4, vcc, s8, v7
	v_addc_co_u32_e32 v5, vcc, 0, v1, vcc
	v_add_co_u32_e32 v8, vcc, 0x1000, v4
	v_addc_co_u32_e32 v9, vcc, 0, v5, vcc
	global_load_ubyte v1, v7, s[8:9]
	global_load_ubyte v6, v[8:9], off
	global_load_dwordx2 v[2:3], v[8:9], off offset:8
	s_waitcnt vmcnt(2)
	v_and_b32_e32 v7, 1, v1
	v_cmp_eq_u32_e32 vcc, 1, v7
	s_and_saveexec_b64 s[2:3], vcc
	s_cbranch_execz .LBB1173_3
; %bb.2:
	global_load_dwordx2 v[4:5], v[4:5], off offset:8
	s_waitcnt vmcnt(2)
	v_and_b32_e32 v6, 1, v6
	v_cmp_eq_u32_e32 vcc, 1, v6
	v_cndmask_b32_e64 v6, v1, 1, vcc
	s_waitcnt vmcnt(0)
	v_cmp_lt_i64_e64 s[0:1], v[2:3], v[4:5]
	v_cndmask_b32_e64 v1, v5, v3, s[0:1]
	v_cndmask_b32_e32 v3, v5, v1, vcc
	s_and_b64 vcc, vcc, s[0:1]
	v_cndmask_b32_e32 v2, v4, v2, vcc
.LBB1173_3:
	s_or_b64 exec, exec, s[2:3]
	s_waitcnt vmcnt(1)
	v_and_b32_e32 v1, 0xff, v6
	v_and_b32_e32 v6, 1, v6
	s_waitcnt vmcnt(0)
	v_mov_b32_dpp v4, v2 quad_perm:[1,0,3,2] row_mask:0xf bank_mask:0xf bound_ctrl:1
	v_mov_b32_dpp v7, v1 quad_perm:[1,0,3,2] row_mask:0xf bank_mask:0xf bound_ctrl:1
	v_and_b32_e32 v8, 1, v7
	v_mov_b32_dpp v5, v3 quad_perm:[1,0,3,2] row_mask:0xf bank_mask:0xf bound_ctrl:1
	v_cmp_eq_u32_e32 vcc, 1, v8
	v_cmp_eq_u32_e64 s[0:1], 1, v6
	s_and_saveexec_b64 s[2:3], vcc
; %bb.4:
	v_cmp_lt_i64_e32 vcc, v[2:3], v[4:5]
	v_cndmask_b32_e64 v6, v7, 1, s[0:1]
	s_and_b64 vcc, s[0:1], vcc
	v_cndmask_b32_e32 v2, v4, v2, vcc
	v_and_b32_e32 v4, 1, v6
	v_cndmask_b32_e32 v3, v5, v3, vcc
	v_cmp_eq_u32_e32 vcc, 1, v4
	s_andn2_b64 s[0:1], s[0:1], exec
	s_and_b64 s[20:21], vcc, exec
	v_and_b32_e32 v1, 0xff, v6
	s_or_b64 s[0:1], s[0:1], s[20:21]
; %bb.5:
	s_or_b64 exec, exec, s[2:3]
	v_mov_b32_dpp v6, v1 quad_perm:[2,3,0,1] row_mask:0xf bank_mask:0xf bound_ctrl:1
	v_and_b32_e32 v7, 1, v6
	v_mov_b32_dpp v4, v2 quad_perm:[2,3,0,1] row_mask:0xf bank_mask:0xf bound_ctrl:1
	v_mov_b32_dpp v5, v3 quad_perm:[2,3,0,1] row_mask:0xf bank_mask:0xf bound_ctrl:1
	v_cmp_eq_u32_e32 vcc, 1, v7
	s_and_saveexec_b64 s[2:3], vcc
; %bb.6:
	v_cmp_lt_i64_e32 vcc, v[2:3], v[4:5]
	v_cndmask_b32_e64 v6, v6, 1, s[0:1]
	s_and_b64 vcc, s[0:1], vcc
	v_cndmask_b32_e32 v2, v4, v2, vcc
	v_and_b32_e32 v4, 1, v6
	v_cndmask_b32_e32 v3, v5, v3, vcc
	v_cmp_eq_u32_e32 vcc, 1, v4
	s_andn2_b64 s[0:1], s[0:1], exec
	s_and_b64 s[20:21], vcc, exec
	v_and_b32_e32 v1, 0xff, v6
	s_or_b64 s[0:1], s[0:1], s[20:21]
; %bb.7:
	s_or_b64 exec, exec, s[2:3]
	v_mov_b32_dpp v6, v1 row_ror:4 row_mask:0xf bank_mask:0xf bound_ctrl:1
	v_and_b32_e32 v7, 1, v6
	v_mov_b32_dpp v4, v2 row_ror:4 row_mask:0xf bank_mask:0xf bound_ctrl:1
	v_mov_b32_dpp v5, v3 row_ror:4 row_mask:0xf bank_mask:0xf bound_ctrl:1
	v_cmp_eq_u32_e32 vcc, 1, v7
	s_and_saveexec_b64 s[2:3], vcc
; %bb.8:
	v_cmp_lt_i64_e32 vcc, v[2:3], v[4:5]
	v_cndmask_b32_e64 v6, v6, 1, s[0:1]
	s_and_b64 vcc, s[0:1], vcc
	v_cndmask_b32_e32 v2, v4, v2, vcc
	v_and_b32_e32 v4, 1, v6
	v_cndmask_b32_e32 v3, v5, v3, vcc
	v_cmp_eq_u32_e32 vcc, 1, v4
	s_andn2_b64 s[0:1], s[0:1], exec
	s_and_b64 s[20:21], vcc, exec
	v_and_b32_e32 v1, 0xff, v6
	s_or_b64 s[0:1], s[0:1], s[20:21]
; %bb.9:
	s_or_b64 exec, exec, s[2:3]
	v_mov_b32_dpp v6, v1 row_ror:8 row_mask:0xf bank_mask:0xf bound_ctrl:1
	v_and_b32_e32 v7, 1, v6
	v_mov_b32_dpp v4, v2 row_ror:8 row_mask:0xf bank_mask:0xf bound_ctrl:1
	v_mov_b32_dpp v5, v3 row_ror:8 row_mask:0xf bank_mask:0xf bound_ctrl:1
	v_cmp_eq_u32_e32 vcc, 1, v7
	s_and_saveexec_b64 s[2:3], vcc
; %bb.10:
	v_cmp_lt_i64_e32 vcc, v[2:3], v[4:5]
	v_cndmask_b32_e64 v6, v6, 1, s[0:1]
	s_and_b64 vcc, s[0:1], vcc
	v_cndmask_b32_e32 v2, v4, v2, vcc
	v_and_b32_e32 v4, 1, v6
	v_cndmask_b32_e32 v3, v5, v3, vcc
	v_cmp_eq_u32_e32 vcc, 1, v4
	s_andn2_b64 s[0:1], s[0:1], exec
	s_and_b64 s[20:21], vcc, exec
	v_and_b32_e32 v1, 0xff, v6
	s_or_b64 s[0:1], s[0:1], s[20:21]
; %bb.11:
	s_or_b64 exec, exec, s[2:3]
	v_mov_b32_dpp v6, v1 row_bcast:15 row_mask:0xf bank_mask:0xf bound_ctrl:1
	v_and_b32_e32 v7, 1, v6
	v_mov_b32_dpp v4, v2 row_bcast:15 row_mask:0xf bank_mask:0xf bound_ctrl:1
	v_mov_b32_dpp v5, v3 row_bcast:15 row_mask:0xf bank_mask:0xf bound_ctrl:1
	v_cmp_eq_u32_e32 vcc, 1, v7
	s_and_saveexec_b64 s[2:3], vcc
; %bb.12:
	v_cmp_lt_i64_e32 vcc, v[2:3], v[4:5]
	v_cndmask_b32_e64 v6, v6, 1, s[0:1]
	s_and_b64 vcc, s[0:1], vcc
	v_cndmask_b32_e32 v2, v4, v2, vcc
	v_and_b32_e32 v4, 1, v6
	v_cndmask_b32_e32 v3, v5, v3, vcc
	v_cmp_eq_u32_e32 vcc, 1, v4
	s_andn2_b64 s[0:1], s[0:1], exec
	s_and_b64 s[20:21], vcc, exec
	v_and_b32_e32 v1, 0xff, v6
	s_or_b64 s[0:1], s[0:1], s[20:21]
; %bb.13:
	s_or_b64 exec, exec, s[2:3]
	v_mov_b32_dpp v6, v1 row_bcast:31 row_mask:0xf bank_mask:0xf bound_ctrl:1
	v_and_b32_e32 v7, 1, v6
	v_mov_b32_dpp v4, v2 row_bcast:31 row_mask:0xf bank_mask:0xf bound_ctrl:1
	v_mov_b32_dpp v5, v3 row_bcast:31 row_mask:0xf bank_mask:0xf bound_ctrl:1
	v_cmp_eq_u32_e32 vcc, 1, v7
	s_and_saveexec_b64 s[2:3], vcc
; %bb.14:
	v_cmp_lt_i64_e32 vcc, v[2:3], v[4:5]
	v_and_b32_e32 v1, 0xff, v6
	s_and_b64 vcc, s[0:1], vcc
	v_cndmask_b32_e32 v2, v4, v2, vcc
	v_cndmask_b32_e32 v3, v5, v3, vcc
	v_cndmask_b32_e64 v1, v1, 1, s[0:1]
; %bb.15:
	s_or_b64 exec, exec, s[2:3]
	v_mbcnt_lo_u32_b32 v4, -1, 0
	v_mbcnt_hi_u32_b32 v4, -1, v4
	v_bfrev_b32_e32 v5, 0.5
	v_lshl_or_b32 v5, v4, 2, v5
	ds_bpermute_b32 v6, v5, v1
	ds_bpermute_b32 v2, v5, v2
	;; [unrolled: 1-line block ×3, first 2 shown]
	v_cmp_eq_u32_e32 vcc, 0, v4
	s_and_saveexec_b64 s[0:1], vcc
	s_cbranch_execz .LBB1173_17
; %bb.16:
	v_lshrrev_b32_e32 v1, 2, v0
	v_and_b32_e32 v1, 48, v1
	s_waitcnt lgkmcnt(2)
	ds_write_b8 v1, v6
	s_waitcnt lgkmcnt(1)
	ds_write_b64 v1, v[2:3] offset:8
.LBB1173_17:
	s_or_b64 exec, exec, s[0:1]
	v_cmp_gt_u32_e32 vcc, 64, v0
	s_waitcnt lgkmcnt(0)
	s_barrier
	s_and_saveexec_b64 s[2:3], vcc
	s_cbranch_execz .LBB1173_19
; %bb.18:
	v_and_b32_e32 v1, 3, v4
	v_lshlrev_b32_e32 v2, 4, v1
	ds_read_u8 v5, v2
	ds_read_b64 v[2:3], v2 offset:8
	v_cmp_ne_u32_e32 vcc, 3, v1
	v_addc_co_u32_e32 v6, vcc, 0, v4, vcc
	s_waitcnt lgkmcnt(1)
	v_and_b32_e32 v7, 0xff, v5
	v_lshlrev_b32_e32 v8, 2, v6
	ds_bpermute_b32 v9, v8, v7
	s_waitcnt lgkmcnt(1)
	ds_bpermute_b32 v6, v8, v2
	ds_bpermute_b32 v7, v8, v3
	v_and_b32_e32 v8, 1, v5
	s_waitcnt lgkmcnt(2)
	v_and_b32_e32 v10, 1, v9
	v_cmp_eq_u32_e64 s[0:1], 1, v10
	s_waitcnt lgkmcnt(0)
	v_cmp_lt_i64_e32 vcc, v[6:7], v[2:3]
	s_and_b64 vcc, s[0:1], vcc
	v_cndmask_b32_e64 v5, v5, 1, s[0:1]
	v_cndmask_b32_e32 v2, v2, v6, vcc
	v_cndmask_b32_e32 v3, v3, v7, vcc
	v_cmp_eq_u32_e32 vcc, 1, v8
	v_cndmask_b32_e32 v8, v9, v5, vcc
	v_cndmask_b32_e32 v3, v7, v3, vcc
	;; [unrolled: 1-line block ×3, first 2 shown]
	v_cmp_gt_u32_e32 vcc, 2, v1
	v_cndmask_b32_e64 v1, 0, 1, vcc
	v_lshlrev_b32_e32 v1, 1, v1
	v_and_b32_e32 v5, 0xff, v8
	v_add_lshl_u32 v1, v1, v4, 2
	ds_bpermute_b32 v6, v1, v5
	ds_bpermute_b32 v4, v1, v2
	;; [unrolled: 1-line block ×3, first 2 shown]
	v_and_b32_e32 v1, 1, v8
	s_waitcnt lgkmcnt(2)
	v_and_b32_e32 v7, 1, v6
	v_cmp_eq_u32_e64 s[0:1], 1, v7
	s_waitcnt lgkmcnt(0)
	v_cmp_lt_i64_e32 vcc, v[4:5], v[2:3]
	s_and_b64 vcc, s[0:1], vcc
	v_cndmask_b32_e64 v7, v8, 1, s[0:1]
	v_cndmask_b32_e32 v2, v2, v4, vcc
	v_cndmask_b32_e32 v3, v3, v5, vcc
	v_cmp_eq_u32_e32 vcc, 1, v1
	v_cndmask_b32_e32 v1, v6, v7, vcc
	v_cndmask_b32_e32 v3, v5, v3, vcc
	;; [unrolled: 1-line block ×3, first 2 shown]
	v_and_b32_e32 v6, 0xff, v1
.LBB1173_19:
	s_or_b64 exec, exec, s[2:3]
	s_load_dword s11, s[4:5], 0x30
	s_load_dwordx2 s[2:3], s[4:5], 0x38
	s_branch .LBB1173_48
.LBB1173_20:
                                        ; implicit-def: $vgpr2_vgpr3
                                        ; implicit-def: $vgpr6
	s_load_dword s11, s[4:5], 0x30
	s_load_dwordx2 s[2:3], s[4:5], 0x38
	s_cbranch_execz .LBB1173_48
; %bb.21:
	s_sub_i32 s10, s12, s10
	v_pk_mov_b32 v[4:5], 0, 0
	v_cmp_gt_u32_e32 vcc, s10, v0
	v_mov_b32_e32 v1, 0
	v_pk_mov_b32 v[2:3], v[4:5], v[4:5] op_sel:[0,1]
	v_mov_b32_e32 v7, 0
	s_and_saveexec_b64 s[0:1], vcc
	s_cbranch_execz .LBB1173_23
; %bb.22:
	v_lshlrev_b32_e32 v6, 4, v0
	global_load_ubyte v7, v6, s[8:9]
	global_load_dwordx2 v[2:3], v6, s[8:9] offset:8
.LBB1173_23:
	s_or_b64 exec, exec, s[0:1]
	v_or_b32_e32 v6, 0x100, v0
	v_cmp_gt_u32_e32 vcc, s10, v6
	s_and_saveexec_b64 s[0:1], vcc
	s_cbranch_execz .LBB1173_25
; %bb.24:
	v_lshlrev_b32_e32 v6, 4, v6
	global_load_ubyte v1, v6, s[8:9]
	global_load_dwordx2 v[4:5], v6, s[8:9] offset:8
.LBB1173_25:
	s_or_b64 exec, exec, s[0:1]
	s_and_saveexec_b64 s[4:5], vcc
	s_cbranch_execz .LBB1173_27
; %bb.26:
	s_waitcnt vmcnt(1)
	v_and_b32_e32 v8, 1, v1
	s_waitcnt vmcnt(0)
	v_cmp_lt_i64_e32 vcc, v[4:5], v[2:3]
	v_cmp_eq_u32_e64 s[0:1], 1, v8
	v_and_b32_e32 v6, 1, v7
	s_and_b64 vcc, s[0:1], vcc
	v_cndmask_b32_e64 v7, v7, 1, s[0:1]
	v_cndmask_b32_e32 v2, v2, v4, vcc
	v_cndmask_b32_e32 v3, v3, v5, vcc
	v_cmp_eq_u32_e32 vcc, 1, v6
	v_cndmask_b32_e32 v7, v1, v7, vcc
	v_cndmask_b32_e32 v3, v5, v3, vcc
	;; [unrolled: 1-line block ×3, first 2 shown]
.LBB1173_27:
	s_or_b64 exec, exec, s[4:5]
	s_waitcnt vmcnt(1)
	v_mbcnt_lo_u32_b32 v1, -1, 0
	v_mbcnt_hi_u32_b32 v1, -1, v1
	v_and_b32_e32 v8, 63, v1
	v_cmp_ne_u32_e32 vcc, 63, v8
	s_waitcnt vmcnt(0)
	v_addc_co_u32_e32 v4, vcc, 0, v1, vcc
	v_and_b32_e32 v6, 0xff, v7
	v_lshlrev_b32_e32 v5, 2, v4
	ds_bpermute_b32 v10, v5, v6
	ds_bpermute_b32 v4, v5, v2
	;; [unrolled: 1-line block ×3, first 2 shown]
	s_min_u32 s8, s10, 0x100
	v_and_b32_e32 v9, 0xc0, v0
	v_sub_u32_e64 v9, s8, v9 clamp
	v_add_u32_e32 v11, 1, v8
	v_cmp_lt_u32_e32 vcc, v11, v9
	s_and_saveexec_b64 s[4:5], vcc
	s_cbranch_execz .LBB1173_29
; %bb.28:
	s_waitcnt lgkmcnt(0)
	v_and_b32_e32 v11, 1, v10
	v_cmp_lt_i64_e32 vcc, v[4:5], v[2:3]
	v_cmp_eq_u32_e64 s[0:1], 1, v11
	v_and_b32_e32 v6, 1, v7
	s_and_b64 vcc, s[0:1], vcc
	v_cndmask_b32_e64 v7, v7, 1, s[0:1]
	v_cndmask_b32_e32 v2, v2, v4, vcc
	v_cndmask_b32_e32 v3, v3, v5, vcc
	v_cmp_eq_u32_e32 vcc, 1, v6
	v_cndmask_b32_e32 v7, v10, v7, vcc
	v_cndmask_b32_e32 v3, v5, v3, vcc
	;; [unrolled: 1-line block ×3, first 2 shown]
	v_and_b32_e32 v6, 0xff, v7
.LBB1173_29:
	s_or_b64 exec, exec, s[4:5]
	v_cmp_gt_u32_e32 vcc, 62, v8
	s_waitcnt lgkmcnt(0)
	v_cndmask_b32_e64 v4, 0, 1, vcc
	v_lshlrev_b32_e32 v4, 1, v4
	v_add_lshl_u32 v5, v4, v1, 2
	ds_bpermute_b32 v10, v5, v6
	ds_bpermute_b32 v4, v5, v2
	ds_bpermute_b32 v5, v5, v3
	v_add_u32_e32 v11, 2, v8
	v_cmp_lt_u32_e32 vcc, v11, v9
	s_and_saveexec_b64 s[4:5], vcc
	s_cbranch_execz .LBB1173_31
; %bb.30:
	s_waitcnt lgkmcnt(2)
	v_and_b32_e32 v11, 1, v10
	s_waitcnt lgkmcnt(0)
	v_cmp_lt_i64_e32 vcc, v[4:5], v[2:3]
	v_cmp_eq_u32_e64 s[0:1], 1, v11
	v_and_b32_e32 v6, 1, v7
	s_and_b64 vcc, s[0:1], vcc
	v_cndmask_b32_e64 v7, v7, 1, s[0:1]
	v_cndmask_b32_e32 v2, v2, v4, vcc
	v_cndmask_b32_e32 v3, v3, v5, vcc
	v_cmp_eq_u32_e32 vcc, 1, v6
	v_cndmask_b32_e32 v7, v10, v7, vcc
	v_cndmask_b32_e32 v3, v5, v3, vcc
	v_cndmask_b32_e32 v2, v4, v2, vcc
	v_and_b32_e32 v6, 0xff, v7
.LBB1173_31:
	s_or_b64 exec, exec, s[4:5]
	v_cmp_gt_u32_e32 vcc, 60, v8
	s_waitcnt lgkmcnt(1)
	v_cndmask_b32_e64 v4, 0, 1, vcc
	v_lshlrev_b32_e32 v4, 2, v4
	s_waitcnt lgkmcnt(0)
	v_add_lshl_u32 v5, v4, v1, 2
	ds_bpermute_b32 v10, v5, v6
	ds_bpermute_b32 v4, v5, v2
	ds_bpermute_b32 v5, v5, v3
	v_add_u32_e32 v11, 4, v8
	v_cmp_lt_u32_e32 vcc, v11, v9
	s_and_saveexec_b64 s[4:5], vcc
	s_cbranch_execz .LBB1173_33
; %bb.32:
	s_waitcnt lgkmcnt(2)
	v_and_b32_e32 v11, 1, v10
	s_waitcnt lgkmcnt(0)
	v_cmp_lt_i64_e32 vcc, v[4:5], v[2:3]
	v_cmp_eq_u32_e64 s[0:1], 1, v11
	v_and_b32_e32 v6, 1, v7
	s_and_b64 vcc, s[0:1], vcc
	v_cndmask_b32_e64 v7, v7, 1, s[0:1]
	v_cndmask_b32_e32 v2, v2, v4, vcc
	v_cndmask_b32_e32 v3, v3, v5, vcc
	v_cmp_eq_u32_e32 vcc, 1, v6
	v_cndmask_b32_e32 v7, v10, v7, vcc
	v_cndmask_b32_e32 v3, v5, v3, vcc
	v_cndmask_b32_e32 v2, v4, v2, vcc
	v_and_b32_e32 v6, 0xff, v7
.LBB1173_33:
	s_or_b64 exec, exec, s[4:5]
	v_cmp_gt_u32_e32 vcc, 56, v8
	s_waitcnt lgkmcnt(1)
	v_cndmask_b32_e64 v4, 0, 1, vcc
	v_lshlrev_b32_e32 v4, 3, v4
	s_waitcnt lgkmcnt(0)
	;; [unrolled: 31-line block ×4, first 2 shown]
	v_add_lshl_u32 v5, v4, v1, 2
	ds_bpermute_b32 v10, v5, v6
	ds_bpermute_b32 v4, v5, v2
	;; [unrolled: 1-line block ×3, first 2 shown]
	v_add_u32_e32 v8, 32, v8
	v_cmp_lt_u32_e32 vcc, v8, v9
	s_and_saveexec_b64 s[4:5], vcc
	s_cbranch_execz .LBB1173_39
; %bb.38:
	s_waitcnt lgkmcnt(2)
	v_and_b32_e32 v8, 1, v10
	s_waitcnt lgkmcnt(0)
	v_cmp_lt_i64_e32 vcc, v[4:5], v[2:3]
	v_cmp_eq_u32_e64 s[0:1], 1, v8
	v_and_b32_e32 v6, 1, v7
	s_and_b64 vcc, s[0:1], vcc
	v_cndmask_b32_e64 v7, v7, 1, s[0:1]
	v_cndmask_b32_e32 v2, v2, v4, vcc
	v_cndmask_b32_e32 v3, v3, v5, vcc
	v_cmp_eq_u32_e32 vcc, 1, v6
	v_cndmask_b32_e32 v7, v10, v7, vcc
	v_cndmask_b32_e32 v3, v5, v3, vcc
	;; [unrolled: 1-line block ×3, first 2 shown]
	v_and_b32_e32 v6, 0xff, v7
.LBB1173_39:
	s_or_b64 exec, exec, s[4:5]
	v_cmp_eq_u32_e32 vcc, 0, v1
	s_and_saveexec_b64 s[0:1], vcc
	s_cbranch_execz .LBB1173_41
; %bb.40:
	s_waitcnt lgkmcnt(1)
	v_lshrrev_b32_e32 v4, 2, v0
	v_and_b32_e32 v4, 48, v4
	ds_write_b8 v4, v7 offset:64
	ds_write_b64 v4, v[2:3] offset:72
.LBB1173_41:
	s_or_b64 exec, exec, s[0:1]
	v_cmp_gt_u32_e32 vcc, 4, v0
	s_waitcnt lgkmcnt(0)
	s_barrier
	s_and_saveexec_b64 s[4:5], vcc
	s_cbranch_execz .LBB1173_47
; %bb.42:
	v_lshlrev_b32_e32 v2, 4, v1
	ds_read_u8 v7, v2 offset:64
	ds_read_b64 v[2:3], v2 offset:72
	v_and_b32_e32 v8, 3, v1
	v_cmp_ne_u32_e32 vcc, 3, v8
	v_addc_co_u32_e32 v4, vcc, 0, v1, vcc
	s_waitcnt lgkmcnt(1)
	v_and_b32_e32 v6, 0xff, v7
	v_lshlrev_b32_e32 v5, 2, v4
	ds_bpermute_b32 v9, v5, v6
	s_waitcnt lgkmcnt(1)
	ds_bpermute_b32 v4, v5, v2
	ds_bpermute_b32 v5, v5, v3
	s_add_i32 s8, s8, 63
	s_lshr_b32 s10, s8, 6
	v_add_u32_e32 v10, 1, v8
	v_cmp_gt_u32_e32 vcc, s10, v10
	s_and_saveexec_b64 s[8:9], vcc
	s_cbranch_execz .LBB1173_44
; %bb.43:
	s_waitcnt lgkmcnt(2)
	v_and_b32_e32 v10, 1, v9
	s_waitcnt lgkmcnt(0)
	v_cmp_lt_i64_e32 vcc, v[4:5], v[2:3]
	v_cmp_eq_u32_e64 s[0:1], 1, v10
	v_and_b32_e32 v6, 1, v7
	s_and_b64 vcc, s[0:1], vcc
	v_cndmask_b32_e64 v7, v7, 1, s[0:1]
	v_cndmask_b32_e32 v2, v2, v4, vcc
	v_cndmask_b32_e32 v3, v3, v5, vcc
	v_cmp_eq_u32_e32 vcc, 1, v6
	v_cndmask_b32_e32 v7, v9, v7, vcc
	v_cndmask_b32_e32 v3, v5, v3, vcc
	;; [unrolled: 1-line block ×3, first 2 shown]
	v_and_b32_e32 v6, 0xff, v7
.LBB1173_44:
	s_or_b64 exec, exec, s[8:9]
	v_cmp_gt_u32_e32 vcc, 2, v8
	s_waitcnt lgkmcnt(1)
	v_cndmask_b32_e64 v4, 0, 1, vcc
	v_lshlrev_b32_e32 v4, 1, v4
	s_waitcnt lgkmcnt(0)
	v_add_lshl_u32 v5, v4, v1, 2
	ds_bpermute_b32 v1, v5, v6
	ds_bpermute_b32 v4, v5, v2
	ds_bpermute_b32 v5, v5, v3
	v_add_u32_e32 v8, 2, v8
	v_cmp_gt_u32_e32 vcc, s10, v8
	s_and_saveexec_b64 s[8:9], vcc
	s_cbranch_execz .LBB1173_46
; %bb.45:
	s_waitcnt lgkmcnt(2)
	v_and_b32_e32 v8, 1, v1
	s_waitcnt lgkmcnt(0)
	v_cmp_lt_i64_e32 vcc, v[4:5], v[2:3]
	v_cmp_eq_u32_e64 s[0:1], 1, v8
	v_and_b32_e32 v6, 1, v7
	s_and_b64 vcc, s[0:1], vcc
	v_cndmask_b32_e64 v7, v7, 1, s[0:1]
	v_cndmask_b32_e32 v2, v2, v4, vcc
	v_cndmask_b32_e32 v3, v3, v5, vcc
	v_cmp_eq_u32_e32 vcc, 1, v6
	v_cndmask_b32_e32 v1, v1, v7, vcc
	v_cndmask_b32_e32 v3, v5, v3, vcc
	;; [unrolled: 1-line block ×3, first 2 shown]
	v_and_b32_e32 v6, 0xff, v1
.LBB1173_46:
	s_or_b64 exec, exec, s[8:9]
.LBB1173_47:
	s_or_b64 exec, exec, s[4:5]
.LBB1173_48:
	v_cmp_eq_u32_e32 vcc, 0, v0
	s_and_saveexec_b64 s[0:1], vcc
	s_cbranch_execnz .LBB1173_50
; %bb.49:
	s_endpgm
.LBB1173_50:
	s_mul_i32 s0, s18, s17
	s_mul_hi_u32 s1, s18, s16
	s_add_i32 s0, s1, s0
	s_mul_i32 s1, s19, s16
	s_add_i32 s1, s0, s1
	s_mul_i32 s0, s18, s16
	s_lshl_b64 s[0:1], s[0:1], 4
	s_add_u32 s4, s14, s0
	s_addc_u32 s5, s15, s1
	s_cmp_eq_u64 s[12:13], 0
	s_waitcnt lgkmcnt(0)
	v_mov_b32_e32 v0, s3
	s_cselect_b64 vcc, -1, 0
	v_cndmask_b32_e32 v1, v3, v0, vcc
	v_mov_b32_e32 v0, s2
	s_lshl_b64 s[0:1], s[6:7], 4
	v_cndmask_b32_e32 v0, v2, v0, vcc
	v_mov_b32_e32 v2, s11
	s_add_u32 s0, s4, s0
	v_cndmask_b32_e32 v2, v6, v2, vcc
	s_addc_u32 s1, s5, s1
	v_mov_b32_e32 v3, 0
	global_store_byte v3, v2, s[0:1]
	global_store_dwordx2 v3, v[0:1], s[0:1] offset:8
	s_endpgm
	.section	.rodata,"a",@progbits
	.p2align	6, 0x0
	.amdhsa_kernel _ZN7rocprim17ROCPRIM_400000_NS6detail17trampoline_kernelINS0_14default_configENS1_22reduce_config_selectorIN6thrust23THRUST_200600_302600_NS5tupleIblNS6_9null_typeES8_S8_S8_S8_S8_S8_S8_EEEEZNS1_11reduce_implILb1ES3_PS9_SC_S9_NS6_11hip_rocprim9__find_if7functorIS9_EEEE10hipError_tPvRmT1_T2_T3_mT4_P12ihipStream_tbEUlT_E0_NS1_11comp_targetILNS1_3genE4ELNS1_11target_archE910ELNS1_3gpuE8ELNS1_3repE0EEENS1_30default_config_static_selectorELNS0_4arch9wavefront6targetE1EEEvSK_
		.amdhsa_group_segment_fixed_size 128
		.amdhsa_private_segment_fixed_size 0
		.amdhsa_kernarg_size 72
		.amdhsa_user_sgpr_count 6
		.amdhsa_user_sgpr_private_segment_buffer 1
		.amdhsa_user_sgpr_dispatch_ptr 0
		.amdhsa_user_sgpr_queue_ptr 0
		.amdhsa_user_sgpr_kernarg_segment_ptr 1
		.amdhsa_user_sgpr_dispatch_id 0
		.amdhsa_user_sgpr_flat_scratch_init 0
		.amdhsa_user_sgpr_kernarg_preload_length 0
		.amdhsa_user_sgpr_kernarg_preload_offset 0
		.amdhsa_user_sgpr_private_segment_size 0
		.amdhsa_uses_dynamic_stack 0
		.amdhsa_system_sgpr_private_segment_wavefront_offset 0
		.amdhsa_system_sgpr_workgroup_id_x 1
		.amdhsa_system_sgpr_workgroup_id_y 0
		.amdhsa_system_sgpr_workgroup_id_z 0
		.amdhsa_system_sgpr_workgroup_info 0
		.amdhsa_system_vgpr_workitem_id 0
		.amdhsa_next_free_vgpr 12
		.amdhsa_next_free_sgpr 22
		.amdhsa_accum_offset 12
		.amdhsa_reserve_vcc 1
		.amdhsa_reserve_flat_scratch 0
		.amdhsa_float_round_mode_32 0
		.amdhsa_float_round_mode_16_64 0
		.amdhsa_float_denorm_mode_32 3
		.amdhsa_float_denorm_mode_16_64 3
		.amdhsa_dx10_clamp 1
		.amdhsa_ieee_mode 1
		.amdhsa_fp16_overflow 0
		.amdhsa_tg_split 0
		.amdhsa_exception_fp_ieee_invalid_op 0
		.amdhsa_exception_fp_denorm_src 0
		.amdhsa_exception_fp_ieee_div_zero 0
		.amdhsa_exception_fp_ieee_overflow 0
		.amdhsa_exception_fp_ieee_underflow 0
		.amdhsa_exception_fp_ieee_inexact 0
		.amdhsa_exception_int_div_zero 0
	.end_amdhsa_kernel
	.section	.text._ZN7rocprim17ROCPRIM_400000_NS6detail17trampoline_kernelINS0_14default_configENS1_22reduce_config_selectorIN6thrust23THRUST_200600_302600_NS5tupleIblNS6_9null_typeES8_S8_S8_S8_S8_S8_S8_EEEEZNS1_11reduce_implILb1ES3_PS9_SC_S9_NS6_11hip_rocprim9__find_if7functorIS9_EEEE10hipError_tPvRmT1_T2_T3_mT4_P12ihipStream_tbEUlT_E0_NS1_11comp_targetILNS1_3genE4ELNS1_11target_archE910ELNS1_3gpuE8ELNS1_3repE0EEENS1_30default_config_static_selectorELNS0_4arch9wavefront6targetE1EEEvSK_,"axG",@progbits,_ZN7rocprim17ROCPRIM_400000_NS6detail17trampoline_kernelINS0_14default_configENS1_22reduce_config_selectorIN6thrust23THRUST_200600_302600_NS5tupleIblNS6_9null_typeES8_S8_S8_S8_S8_S8_S8_EEEEZNS1_11reduce_implILb1ES3_PS9_SC_S9_NS6_11hip_rocprim9__find_if7functorIS9_EEEE10hipError_tPvRmT1_T2_T3_mT4_P12ihipStream_tbEUlT_E0_NS1_11comp_targetILNS1_3genE4ELNS1_11target_archE910ELNS1_3gpuE8ELNS1_3repE0EEENS1_30default_config_static_selectorELNS0_4arch9wavefront6targetE1EEEvSK_,comdat
.Lfunc_end1173:
	.size	_ZN7rocprim17ROCPRIM_400000_NS6detail17trampoline_kernelINS0_14default_configENS1_22reduce_config_selectorIN6thrust23THRUST_200600_302600_NS5tupleIblNS6_9null_typeES8_S8_S8_S8_S8_S8_S8_EEEEZNS1_11reduce_implILb1ES3_PS9_SC_S9_NS6_11hip_rocprim9__find_if7functorIS9_EEEE10hipError_tPvRmT1_T2_T3_mT4_P12ihipStream_tbEUlT_E0_NS1_11comp_targetILNS1_3genE4ELNS1_11target_archE910ELNS1_3gpuE8ELNS1_3repE0EEENS1_30default_config_static_selectorELNS0_4arch9wavefront6targetE1EEEvSK_, .Lfunc_end1173-_ZN7rocprim17ROCPRIM_400000_NS6detail17trampoline_kernelINS0_14default_configENS1_22reduce_config_selectorIN6thrust23THRUST_200600_302600_NS5tupleIblNS6_9null_typeES8_S8_S8_S8_S8_S8_S8_EEEEZNS1_11reduce_implILb1ES3_PS9_SC_S9_NS6_11hip_rocprim9__find_if7functorIS9_EEEE10hipError_tPvRmT1_T2_T3_mT4_P12ihipStream_tbEUlT_E0_NS1_11comp_targetILNS1_3genE4ELNS1_11target_archE910ELNS1_3gpuE8ELNS1_3repE0EEENS1_30default_config_static_selectorELNS0_4arch9wavefront6targetE1EEEvSK_
                                        ; -- End function
	.section	.AMDGPU.csdata,"",@progbits
; Kernel info:
; codeLenInByte = 2816
; NumSgprs: 26
; NumVgprs: 12
; NumAgprs: 0
; TotalNumVgprs: 12
; ScratchSize: 0
; MemoryBound: 0
; FloatMode: 240
; IeeeMode: 1
; LDSByteSize: 128 bytes/workgroup (compile time only)
; SGPRBlocks: 3
; VGPRBlocks: 1
; NumSGPRsForWavesPerEU: 26
; NumVGPRsForWavesPerEU: 12
; AccumOffset: 12
; Occupancy: 8
; WaveLimiterHint : 1
; COMPUTE_PGM_RSRC2:SCRATCH_EN: 0
; COMPUTE_PGM_RSRC2:USER_SGPR: 6
; COMPUTE_PGM_RSRC2:TRAP_HANDLER: 0
; COMPUTE_PGM_RSRC2:TGID_X_EN: 1
; COMPUTE_PGM_RSRC2:TGID_Y_EN: 0
; COMPUTE_PGM_RSRC2:TGID_Z_EN: 0
; COMPUTE_PGM_RSRC2:TIDIG_COMP_CNT: 0
; COMPUTE_PGM_RSRC3_GFX90A:ACCUM_OFFSET: 2
; COMPUTE_PGM_RSRC3_GFX90A:TG_SPLIT: 0
	.section	.text._ZN7rocprim17ROCPRIM_400000_NS6detail17trampoline_kernelINS0_14default_configENS1_22reduce_config_selectorIN6thrust23THRUST_200600_302600_NS5tupleIblNS6_9null_typeES8_S8_S8_S8_S8_S8_S8_EEEEZNS1_11reduce_implILb1ES3_PS9_SC_S9_NS6_11hip_rocprim9__find_if7functorIS9_EEEE10hipError_tPvRmT1_T2_T3_mT4_P12ihipStream_tbEUlT_E0_NS1_11comp_targetILNS1_3genE3ELNS1_11target_archE908ELNS1_3gpuE7ELNS1_3repE0EEENS1_30default_config_static_selectorELNS0_4arch9wavefront6targetE1EEEvSK_,"axG",@progbits,_ZN7rocprim17ROCPRIM_400000_NS6detail17trampoline_kernelINS0_14default_configENS1_22reduce_config_selectorIN6thrust23THRUST_200600_302600_NS5tupleIblNS6_9null_typeES8_S8_S8_S8_S8_S8_S8_EEEEZNS1_11reduce_implILb1ES3_PS9_SC_S9_NS6_11hip_rocprim9__find_if7functorIS9_EEEE10hipError_tPvRmT1_T2_T3_mT4_P12ihipStream_tbEUlT_E0_NS1_11comp_targetILNS1_3genE3ELNS1_11target_archE908ELNS1_3gpuE7ELNS1_3repE0EEENS1_30default_config_static_selectorELNS0_4arch9wavefront6targetE1EEEvSK_,comdat
	.protected	_ZN7rocprim17ROCPRIM_400000_NS6detail17trampoline_kernelINS0_14default_configENS1_22reduce_config_selectorIN6thrust23THRUST_200600_302600_NS5tupleIblNS6_9null_typeES8_S8_S8_S8_S8_S8_S8_EEEEZNS1_11reduce_implILb1ES3_PS9_SC_S9_NS6_11hip_rocprim9__find_if7functorIS9_EEEE10hipError_tPvRmT1_T2_T3_mT4_P12ihipStream_tbEUlT_E0_NS1_11comp_targetILNS1_3genE3ELNS1_11target_archE908ELNS1_3gpuE7ELNS1_3repE0EEENS1_30default_config_static_selectorELNS0_4arch9wavefront6targetE1EEEvSK_ ; -- Begin function _ZN7rocprim17ROCPRIM_400000_NS6detail17trampoline_kernelINS0_14default_configENS1_22reduce_config_selectorIN6thrust23THRUST_200600_302600_NS5tupleIblNS6_9null_typeES8_S8_S8_S8_S8_S8_S8_EEEEZNS1_11reduce_implILb1ES3_PS9_SC_S9_NS6_11hip_rocprim9__find_if7functorIS9_EEEE10hipError_tPvRmT1_T2_T3_mT4_P12ihipStream_tbEUlT_E0_NS1_11comp_targetILNS1_3genE3ELNS1_11target_archE908ELNS1_3gpuE7ELNS1_3repE0EEENS1_30default_config_static_selectorELNS0_4arch9wavefront6targetE1EEEvSK_
	.globl	_ZN7rocprim17ROCPRIM_400000_NS6detail17trampoline_kernelINS0_14default_configENS1_22reduce_config_selectorIN6thrust23THRUST_200600_302600_NS5tupleIblNS6_9null_typeES8_S8_S8_S8_S8_S8_S8_EEEEZNS1_11reduce_implILb1ES3_PS9_SC_S9_NS6_11hip_rocprim9__find_if7functorIS9_EEEE10hipError_tPvRmT1_T2_T3_mT4_P12ihipStream_tbEUlT_E0_NS1_11comp_targetILNS1_3genE3ELNS1_11target_archE908ELNS1_3gpuE7ELNS1_3repE0EEENS1_30default_config_static_selectorELNS0_4arch9wavefront6targetE1EEEvSK_
	.p2align	8
	.type	_ZN7rocprim17ROCPRIM_400000_NS6detail17trampoline_kernelINS0_14default_configENS1_22reduce_config_selectorIN6thrust23THRUST_200600_302600_NS5tupleIblNS6_9null_typeES8_S8_S8_S8_S8_S8_S8_EEEEZNS1_11reduce_implILb1ES3_PS9_SC_S9_NS6_11hip_rocprim9__find_if7functorIS9_EEEE10hipError_tPvRmT1_T2_T3_mT4_P12ihipStream_tbEUlT_E0_NS1_11comp_targetILNS1_3genE3ELNS1_11target_archE908ELNS1_3gpuE7ELNS1_3repE0EEENS1_30default_config_static_selectorELNS0_4arch9wavefront6targetE1EEEvSK_,@function
_ZN7rocprim17ROCPRIM_400000_NS6detail17trampoline_kernelINS0_14default_configENS1_22reduce_config_selectorIN6thrust23THRUST_200600_302600_NS5tupleIblNS6_9null_typeES8_S8_S8_S8_S8_S8_S8_EEEEZNS1_11reduce_implILb1ES3_PS9_SC_S9_NS6_11hip_rocprim9__find_if7functorIS9_EEEE10hipError_tPvRmT1_T2_T3_mT4_P12ihipStream_tbEUlT_E0_NS1_11comp_targetILNS1_3genE3ELNS1_11target_archE908ELNS1_3gpuE7ELNS1_3repE0EEENS1_30default_config_static_selectorELNS0_4arch9wavefront6targetE1EEEvSK_: ; @_ZN7rocprim17ROCPRIM_400000_NS6detail17trampoline_kernelINS0_14default_configENS1_22reduce_config_selectorIN6thrust23THRUST_200600_302600_NS5tupleIblNS6_9null_typeES8_S8_S8_S8_S8_S8_S8_EEEEZNS1_11reduce_implILb1ES3_PS9_SC_S9_NS6_11hip_rocprim9__find_if7functorIS9_EEEE10hipError_tPvRmT1_T2_T3_mT4_P12ihipStream_tbEUlT_E0_NS1_11comp_targetILNS1_3genE3ELNS1_11target_archE908ELNS1_3gpuE7ELNS1_3repE0EEENS1_30default_config_static_selectorELNS0_4arch9wavefront6targetE1EEEvSK_
; %bb.0:
	.section	.rodata,"a",@progbits
	.p2align	6, 0x0
	.amdhsa_kernel _ZN7rocprim17ROCPRIM_400000_NS6detail17trampoline_kernelINS0_14default_configENS1_22reduce_config_selectorIN6thrust23THRUST_200600_302600_NS5tupleIblNS6_9null_typeES8_S8_S8_S8_S8_S8_S8_EEEEZNS1_11reduce_implILb1ES3_PS9_SC_S9_NS6_11hip_rocprim9__find_if7functorIS9_EEEE10hipError_tPvRmT1_T2_T3_mT4_P12ihipStream_tbEUlT_E0_NS1_11comp_targetILNS1_3genE3ELNS1_11target_archE908ELNS1_3gpuE7ELNS1_3repE0EEENS1_30default_config_static_selectorELNS0_4arch9wavefront6targetE1EEEvSK_
		.amdhsa_group_segment_fixed_size 0
		.amdhsa_private_segment_fixed_size 0
		.amdhsa_kernarg_size 72
		.amdhsa_user_sgpr_count 6
		.amdhsa_user_sgpr_private_segment_buffer 1
		.amdhsa_user_sgpr_dispatch_ptr 0
		.amdhsa_user_sgpr_queue_ptr 0
		.amdhsa_user_sgpr_kernarg_segment_ptr 1
		.amdhsa_user_sgpr_dispatch_id 0
		.amdhsa_user_sgpr_flat_scratch_init 0
		.amdhsa_user_sgpr_kernarg_preload_length 0
		.amdhsa_user_sgpr_kernarg_preload_offset 0
		.amdhsa_user_sgpr_private_segment_size 0
		.amdhsa_uses_dynamic_stack 0
		.amdhsa_system_sgpr_private_segment_wavefront_offset 0
		.amdhsa_system_sgpr_workgroup_id_x 1
		.amdhsa_system_sgpr_workgroup_id_y 0
		.amdhsa_system_sgpr_workgroup_id_z 0
		.amdhsa_system_sgpr_workgroup_info 0
		.amdhsa_system_vgpr_workitem_id 0
		.amdhsa_next_free_vgpr 1
		.amdhsa_next_free_sgpr 0
		.amdhsa_accum_offset 4
		.amdhsa_reserve_vcc 0
		.amdhsa_reserve_flat_scratch 0
		.amdhsa_float_round_mode_32 0
		.amdhsa_float_round_mode_16_64 0
		.amdhsa_float_denorm_mode_32 3
		.amdhsa_float_denorm_mode_16_64 3
		.amdhsa_dx10_clamp 1
		.amdhsa_ieee_mode 1
		.amdhsa_fp16_overflow 0
		.amdhsa_tg_split 0
		.amdhsa_exception_fp_ieee_invalid_op 0
		.amdhsa_exception_fp_denorm_src 0
		.amdhsa_exception_fp_ieee_div_zero 0
		.amdhsa_exception_fp_ieee_overflow 0
		.amdhsa_exception_fp_ieee_underflow 0
		.amdhsa_exception_fp_ieee_inexact 0
		.amdhsa_exception_int_div_zero 0
	.end_amdhsa_kernel
	.section	.text._ZN7rocprim17ROCPRIM_400000_NS6detail17trampoline_kernelINS0_14default_configENS1_22reduce_config_selectorIN6thrust23THRUST_200600_302600_NS5tupleIblNS6_9null_typeES8_S8_S8_S8_S8_S8_S8_EEEEZNS1_11reduce_implILb1ES3_PS9_SC_S9_NS6_11hip_rocprim9__find_if7functorIS9_EEEE10hipError_tPvRmT1_T2_T3_mT4_P12ihipStream_tbEUlT_E0_NS1_11comp_targetILNS1_3genE3ELNS1_11target_archE908ELNS1_3gpuE7ELNS1_3repE0EEENS1_30default_config_static_selectorELNS0_4arch9wavefront6targetE1EEEvSK_,"axG",@progbits,_ZN7rocprim17ROCPRIM_400000_NS6detail17trampoline_kernelINS0_14default_configENS1_22reduce_config_selectorIN6thrust23THRUST_200600_302600_NS5tupleIblNS6_9null_typeES8_S8_S8_S8_S8_S8_S8_EEEEZNS1_11reduce_implILb1ES3_PS9_SC_S9_NS6_11hip_rocprim9__find_if7functorIS9_EEEE10hipError_tPvRmT1_T2_T3_mT4_P12ihipStream_tbEUlT_E0_NS1_11comp_targetILNS1_3genE3ELNS1_11target_archE908ELNS1_3gpuE7ELNS1_3repE0EEENS1_30default_config_static_selectorELNS0_4arch9wavefront6targetE1EEEvSK_,comdat
.Lfunc_end1174:
	.size	_ZN7rocprim17ROCPRIM_400000_NS6detail17trampoline_kernelINS0_14default_configENS1_22reduce_config_selectorIN6thrust23THRUST_200600_302600_NS5tupleIblNS6_9null_typeES8_S8_S8_S8_S8_S8_S8_EEEEZNS1_11reduce_implILb1ES3_PS9_SC_S9_NS6_11hip_rocprim9__find_if7functorIS9_EEEE10hipError_tPvRmT1_T2_T3_mT4_P12ihipStream_tbEUlT_E0_NS1_11comp_targetILNS1_3genE3ELNS1_11target_archE908ELNS1_3gpuE7ELNS1_3repE0EEENS1_30default_config_static_selectorELNS0_4arch9wavefront6targetE1EEEvSK_, .Lfunc_end1174-_ZN7rocprim17ROCPRIM_400000_NS6detail17trampoline_kernelINS0_14default_configENS1_22reduce_config_selectorIN6thrust23THRUST_200600_302600_NS5tupleIblNS6_9null_typeES8_S8_S8_S8_S8_S8_S8_EEEEZNS1_11reduce_implILb1ES3_PS9_SC_S9_NS6_11hip_rocprim9__find_if7functorIS9_EEEE10hipError_tPvRmT1_T2_T3_mT4_P12ihipStream_tbEUlT_E0_NS1_11comp_targetILNS1_3genE3ELNS1_11target_archE908ELNS1_3gpuE7ELNS1_3repE0EEENS1_30default_config_static_selectorELNS0_4arch9wavefront6targetE1EEEvSK_
                                        ; -- End function
	.section	.AMDGPU.csdata,"",@progbits
; Kernel info:
; codeLenInByte = 0
; NumSgprs: 4
; NumVgprs: 0
; NumAgprs: 0
; TotalNumVgprs: 0
; ScratchSize: 0
; MemoryBound: 0
; FloatMode: 240
; IeeeMode: 1
; LDSByteSize: 0 bytes/workgroup (compile time only)
; SGPRBlocks: 0
; VGPRBlocks: 0
; NumSGPRsForWavesPerEU: 4
; NumVGPRsForWavesPerEU: 1
; AccumOffset: 4
; Occupancy: 8
; WaveLimiterHint : 0
; COMPUTE_PGM_RSRC2:SCRATCH_EN: 0
; COMPUTE_PGM_RSRC2:USER_SGPR: 6
; COMPUTE_PGM_RSRC2:TRAP_HANDLER: 0
; COMPUTE_PGM_RSRC2:TGID_X_EN: 1
; COMPUTE_PGM_RSRC2:TGID_Y_EN: 0
; COMPUTE_PGM_RSRC2:TGID_Z_EN: 0
; COMPUTE_PGM_RSRC2:TIDIG_COMP_CNT: 0
; COMPUTE_PGM_RSRC3_GFX90A:ACCUM_OFFSET: 0
; COMPUTE_PGM_RSRC3_GFX90A:TG_SPLIT: 0
	.section	.text._ZN7rocprim17ROCPRIM_400000_NS6detail17trampoline_kernelINS0_14default_configENS1_22reduce_config_selectorIN6thrust23THRUST_200600_302600_NS5tupleIblNS6_9null_typeES8_S8_S8_S8_S8_S8_S8_EEEEZNS1_11reduce_implILb1ES3_PS9_SC_S9_NS6_11hip_rocprim9__find_if7functorIS9_EEEE10hipError_tPvRmT1_T2_T3_mT4_P12ihipStream_tbEUlT_E0_NS1_11comp_targetILNS1_3genE2ELNS1_11target_archE906ELNS1_3gpuE6ELNS1_3repE0EEENS1_30default_config_static_selectorELNS0_4arch9wavefront6targetE1EEEvSK_,"axG",@progbits,_ZN7rocprim17ROCPRIM_400000_NS6detail17trampoline_kernelINS0_14default_configENS1_22reduce_config_selectorIN6thrust23THRUST_200600_302600_NS5tupleIblNS6_9null_typeES8_S8_S8_S8_S8_S8_S8_EEEEZNS1_11reduce_implILb1ES3_PS9_SC_S9_NS6_11hip_rocprim9__find_if7functorIS9_EEEE10hipError_tPvRmT1_T2_T3_mT4_P12ihipStream_tbEUlT_E0_NS1_11comp_targetILNS1_3genE2ELNS1_11target_archE906ELNS1_3gpuE6ELNS1_3repE0EEENS1_30default_config_static_selectorELNS0_4arch9wavefront6targetE1EEEvSK_,comdat
	.protected	_ZN7rocprim17ROCPRIM_400000_NS6detail17trampoline_kernelINS0_14default_configENS1_22reduce_config_selectorIN6thrust23THRUST_200600_302600_NS5tupleIblNS6_9null_typeES8_S8_S8_S8_S8_S8_S8_EEEEZNS1_11reduce_implILb1ES3_PS9_SC_S9_NS6_11hip_rocprim9__find_if7functorIS9_EEEE10hipError_tPvRmT1_T2_T3_mT4_P12ihipStream_tbEUlT_E0_NS1_11comp_targetILNS1_3genE2ELNS1_11target_archE906ELNS1_3gpuE6ELNS1_3repE0EEENS1_30default_config_static_selectorELNS0_4arch9wavefront6targetE1EEEvSK_ ; -- Begin function _ZN7rocprim17ROCPRIM_400000_NS6detail17trampoline_kernelINS0_14default_configENS1_22reduce_config_selectorIN6thrust23THRUST_200600_302600_NS5tupleIblNS6_9null_typeES8_S8_S8_S8_S8_S8_S8_EEEEZNS1_11reduce_implILb1ES3_PS9_SC_S9_NS6_11hip_rocprim9__find_if7functorIS9_EEEE10hipError_tPvRmT1_T2_T3_mT4_P12ihipStream_tbEUlT_E0_NS1_11comp_targetILNS1_3genE2ELNS1_11target_archE906ELNS1_3gpuE6ELNS1_3repE0EEENS1_30default_config_static_selectorELNS0_4arch9wavefront6targetE1EEEvSK_
	.globl	_ZN7rocprim17ROCPRIM_400000_NS6detail17trampoline_kernelINS0_14default_configENS1_22reduce_config_selectorIN6thrust23THRUST_200600_302600_NS5tupleIblNS6_9null_typeES8_S8_S8_S8_S8_S8_S8_EEEEZNS1_11reduce_implILb1ES3_PS9_SC_S9_NS6_11hip_rocprim9__find_if7functorIS9_EEEE10hipError_tPvRmT1_T2_T3_mT4_P12ihipStream_tbEUlT_E0_NS1_11comp_targetILNS1_3genE2ELNS1_11target_archE906ELNS1_3gpuE6ELNS1_3repE0EEENS1_30default_config_static_selectorELNS0_4arch9wavefront6targetE1EEEvSK_
	.p2align	8
	.type	_ZN7rocprim17ROCPRIM_400000_NS6detail17trampoline_kernelINS0_14default_configENS1_22reduce_config_selectorIN6thrust23THRUST_200600_302600_NS5tupleIblNS6_9null_typeES8_S8_S8_S8_S8_S8_S8_EEEEZNS1_11reduce_implILb1ES3_PS9_SC_S9_NS6_11hip_rocprim9__find_if7functorIS9_EEEE10hipError_tPvRmT1_T2_T3_mT4_P12ihipStream_tbEUlT_E0_NS1_11comp_targetILNS1_3genE2ELNS1_11target_archE906ELNS1_3gpuE6ELNS1_3repE0EEENS1_30default_config_static_selectorELNS0_4arch9wavefront6targetE1EEEvSK_,@function
_ZN7rocprim17ROCPRIM_400000_NS6detail17trampoline_kernelINS0_14default_configENS1_22reduce_config_selectorIN6thrust23THRUST_200600_302600_NS5tupleIblNS6_9null_typeES8_S8_S8_S8_S8_S8_S8_EEEEZNS1_11reduce_implILb1ES3_PS9_SC_S9_NS6_11hip_rocprim9__find_if7functorIS9_EEEE10hipError_tPvRmT1_T2_T3_mT4_P12ihipStream_tbEUlT_E0_NS1_11comp_targetILNS1_3genE2ELNS1_11target_archE906ELNS1_3gpuE6ELNS1_3repE0EEENS1_30default_config_static_selectorELNS0_4arch9wavefront6targetE1EEEvSK_: ; @_ZN7rocprim17ROCPRIM_400000_NS6detail17trampoline_kernelINS0_14default_configENS1_22reduce_config_selectorIN6thrust23THRUST_200600_302600_NS5tupleIblNS6_9null_typeES8_S8_S8_S8_S8_S8_S8_EEEEZNS1_11reduce_implILb1ES3_PS9_SC_S9_NS6_11hip_rocprim9__find_if7functorIS9_EEEE10hipError_tPvRmT1_T2_T3_mT4_P12ihipStream_tbEUlT_E0_NS1_11comp_targetILNS1_3genE2ELNS1_11target_archE906ELNS1_3gpuE6ELNS1_3repE0EEENS1_30default_config_static_selectorELNS0_4arch9wavefront6targetE1EEEvSK_
; %bb.0:
	.section	.rodata,"a",@progbits
	.p2align	6, 0x0
	.amdhsa_kernel _ZN7rocprim17ROCPRIM_400000_NS6detail17trampoline_kernelINS0_14default_configENS1_22reduce_config_selectorIN6thrust23THRUST_200600_302600_NS5tupleIblNS6_9null_typeES8_S8_S8_S8_S8_S8_S8_EEEEZNS1_11reduce_implILb1ES3_PS9_SC_S9_NS6_11hip_rocprim9__find_if7functorIS9_EEEE10hipError_tPvRmT1_T2_T3_mT4_P12ihipStream_tbEUlT_E0_NS1_11comp_targetILNS1_3genE2ELNS1_11target_archE906ELNS1_3gpuE6ELNS1_3repE0EEENS1_30default_config_static_selectorELNS0_4arch9wavefront6targetE1EEEvSK_
		.amdhsa_group_segment_fixed_size 0
		.amdhsa_private_segment_fixed_size 0
		.amdhsa_kernarg_size 72
		.amdhsa_user_sgpr_count 6
		.amdhsa_user_sgpr_private_segment_buffer 1
		.amdhsa_user_sgpr_dispatch_ptr 0
		.amdhsa_user_sgpr_queue_ptr 0
		.amdhsa_user_sgpr_kernarg_segment_ptr 1
		.amdhsa_user_sgpr_dispatch_id 0
		.amdhsa_user_sgpr_flat_scratch_init 0
		.amdhsa_user_sgpr_kernarg_preload_length 0
		.amdhsa_user_sgpr_kernarg_preload_offset 0
		.amdhsa_user_sgpr_private_segment_size 0
		.amdhsa_uses_dynamic_stack 0
		.amdhsa_system_sgpr_private_segment_wavefront_offset 0
		.amdhsa_system_sgpr_workgroup_id_x 1
		.amdhsa_system_sgpr_workgroup_id_y 0
		.amdhsa_system_sgpr_workgroup_id_z 0
		.amdhsa_system_sgpr_workgroup_info 0
		.amdhsa_system_vgpr_workitem_id 0
		.amdhsa_next_free_vgpr 1
		.amdhsa_next_free_sgpr 0
		.amdhsa_accum_offset 4
		.amdhsa_reserve_vcc 0
		.amdhsa_reserve_flat_scratch 0
		.amdhsa_float_round_mode_32 0
		.amdhsa_float_round_mode_16_64 0
		.amdhsa_float_denorm_mode_32 3
		.amdhsa_float_denorm_mode_16_64 3
		.amdhsa_dx10_clamp 1
		.amdhsa_ieee_mode 1
		.amdhsa_fp16_overflow 0
		.amdhsa_tg_split 0
		.amdhsa_exception_fp_ieee_invalid_op 0
		.amdhsa_exception_fp_denorm_src 0
		.amdhsa_exception_fp_ieee_div_zero 0
		.amdhsa_exception_fp_ieee_overflow 0
		.amdhsa_exception_fp_ieee_underflow 0
		.amdhsa_exception_fp_ieee_inexact 0
		.amdhsa_exception_int_div_zero 0
	.end_amdhsa_kernel
	.section	.text._ZN7rocprim17ROCPRIM_400000_NS6detail17trampoline_kernelINS0_14default_configENS1_22reduce_config_selectorIN6thrust23THRUST_200600_302600_NS5tupleIblNS6_9null_typeES8_S8_S8_S8_S8_S8_S8_EEEEZNS1_11reduce_implILb1ES3_PS9_SC_S9_NS6_11hip_rocprim9__find_if7functorIS9_EEEE10hipError_tPvRmT1_T2_T3_mT4_P12ihipStream_tbEUlT_E0_NS1_11comp_targetILNS1_3genE2ELNS1_11target_archE906ELNS1_3gpuE6ELNS1_3repE0EEENS1_30default_config_static_selectorELNS0_4arch9wavefront6targetE1EEEvSK_,"axG",@progbits,_ZN7rocprim17ROCPRIM_400000_NS6detail17trampoline_kernelINS0_14default_configENS1_22reduce_config_selectorIN6thrust23THRUST_200600_302600_NS5tupleIblNS6_9null_typeES8_S8_S8_S8_S8_S8_S8_EEEEZNS1_11reduce_implILb1ES3_PS9_SC_S9_NS6_11hip_rocprim9__find_if7functorIS9_EEEE10hipError_tPvRmT1_T2_T3_mT4_P12ihipStream_tbEUlT_E0_NS1_11comp_targetILNS1_3genE2ELNS1_11target_archE906ELNS1_3gpuE6ELNS1_3repE0EEENS1_30default_config_static_selectorELNS0_4arch9wavefront6targetE1EEEvSK_,comdat
.Lfunc_end1175:
	.size	_ZN7rocprim17ROCPRIM_400000_NS6detail17trampoline_kernelINS0_14default_configENS1_22reduce_config_selectorIN6thrust23THRUST_200600_302600_NS5tupleIblNS6_9null_typeES8_S8_S8_S8_S8_S8_S8_EEEEZNS1_11reduce_implILb1ES3_PS9_SC_S9_NS6_11hip_rocprim9__find_if7functorIS9_EEEE10hipError_tPvRmT1_T2_T3_mT4_P12ihipStream_tbEUlT_E0_NS1_11comp_targetILNS1_3genE2ELNS1_11target_archE906ELNS1_3gpuE6ELNS1_3repE0EEENS1_30default_config_static_selectorELNS0_4arch9wavefront6targetE1EEEvSK_, .Lfunc_end1175-_ZN7rocprim17ROCPRIM_400000_NS6detail17trampoline_kernelINS0_14default_configENS1_22reduce_config_selectorIN6thrust23THRUST_200600_302600_NS5tupleIblNS6_9null_typeES8_S8_S8_S8_S8_S8_S8_EEEEZNS1_11reduce_implILb1ES3_PS9_SC_S9_NS6_11hip_rocprim9__find_if7functorIS9_EEEE10hipError_tPvRmT1_T2_T3_mT4_P12ihipStream_tbEUlT_E0_NS1_11comp_targetILNS1_3genE2ELNS1_11target_archE906ELNS1_3gpuE6ELNS1_3repE0EEENS1_30default_config_static_selectorELNS0_4arch9wavefront6targetE1EEEvSK_
                                        ; -- End function
	.section	.AMDGPU.csdata,"",@progbits
; Kernel info:
; codeLenInByte = 0
; NumSgprs: 4
; NumVgprs: 0
; NumAgprs: 0
; TotalNumVgprs: 0
; ScratchSize: 0
; MemoryBound: 0
; FloatMode: 240
; IeeeMode: 1
; LDSByteSize: 0 bytes/workgroup (compile time only)
; SGPRBlocks: 0
; VGPRBlocks: 0
; NumSGPRsForWavesPerEU: 4
; NumVGPRsForWavesPerEU: 1
; AccumOffset: 4
; Occupancy: 8
; WaveLimiterHint : 0
; COMPUTE_PGM_RSRC2:SCRATCH_EN: 0
; COMPUTE_PGM_RSRC2:USER_SGPR: 6
; COMPUTE_PGM_RSRC2:TRAP_HANDLER: 0
; COMPUTE_PGM_RSRC2:TGID_X_EN: 1
; COMPUTE_PGM_RSRC2:TGID_Y_EN: 0
; COMPUTE_PGM_RSRC2:TGID_Z_EN: 0
; COMPUTE_PGM_RSRC2:TIDIG_COMP_CNT: 0
; COMPUTE_PGM_RSRC3_GFX90A:ACCUM_OFFSET: 0
; COMPUTE_PGM_RSRC3_GFX90A:TG_SPLIT: 0
	.section	.text._ZN7rocprim17ROCPRIM_400000_NS6detail17trampoline_kernelINS0_14default_configENS1_22reduce_config_selectorIN6thrust23THRUST_200600_302600_NS5tupleIblNS6_9null_typeES8_S8_S8_S8_S8_S8_S8_EEEEZNS1_11reduce_implILb1ES3_PS9_SC_S9_NS6_11hip_rocprim9__find_if7functorIS9_EEEE10hipError_tPvRmT1_T2_T3_mT4_P12ihipStream_tbEUlT_E0_NS1_11comp_targetILNS1_3genE10ELNS1_11target_archE1201ELNS1_3gpuE5ELNS1_3repE0EEENS1_30default_config_static_selectorELNS0_4arch9wavefront6targetE1EEEvSK_,"axG",@progbits,_ZN7rocprim17ROCPRIM_400000_NS6detail17trampoline_kernelINS0_14default_configENS1_22reduce_config_selectorIN6thrust23THRUST_200600_302600_NS5tupleIblNS6_9null_typeES8_S8_S8_S8_S8_S8_S8_EEEEZNS1_11reduce_implILb1ES3_PS9_SC_S9_NS6_11hip_rocprim9__find_if7functorIS9_EEEE10hipError_tPvRmT1_T2_T3_mT4_P12ihipStream_tbEUlT_E0_NS1_11comp_targetILNS1_3genE10ELNS1_11target_archE1201ELNS1_3gpuE5ELNS1_3repE0EEENS1_30default_config_static_selectorELNS0_4arch9wavefront6targetE1EEEvSK_,comdat
	.protected	_ZN7rocprim17ROCPRIM_400000_NS6detail17trampoline_kernelINS0_14default_configENS1_22reduce_config_selectorIN6thrust23THRUST_200600_302600_NS5tupleIblNS6_9null_typeES8_S8_S8_S8_S8_S8_S8_EEEEZNS1_11reduce_implILb1ES3_PS9_SC_S9_NS6_11hip_rocprim9__find_if7functorIS9_EEEE10hipError_tPvRmT1_T2_T3_mT4_P12ihipStream_tbEUlT_E0_NS1_11comp_targetILNS1_3genE10ELNS1_11target_archE1201ELNS1_3gpuE5ELNS1_3repE0EEENS1_30default_config_static_selectorELNS0_4arch9wavefront6targetE1EEEvSK_ ; -- Begin function _ZN7rocprim17ROCPRIM_400000_NS6detail17trampoline_kernelINS0_14default_configENS1_22reduce_config_selectorIN6thrust23THRUST_200600_302600_NS5tupleIblNS6_9null_typeES8_S8_S8_S8_S8_S8_S8_EEEEZNS1_11reduce_implILb1ES3_PS9_SC_S9_NS6_11hip_rocprim9__find_if7functorIS9_EEEE10hipError_tPvRmT1_T2_T3_mT4_P12ihipStream_tbEUlT_E0_NS1_11comp_targetILNS1_3genE10ELNS1_11target_archE1201ELNS1_3gpuE5ELNS1_3repE0EEENS1_30default_config_static_selectorELNS0_4arch9wavefront6targetE1EEEvSK_
	.globl	_ZN7rocprim17ROCPRIM_400000_NS6detail17trampoline_kernelINS0_14default_configENS1_22reduce_config_selectorIN6thrust23THRUST_200600_302600_NS5tupleIblNS6_9null_typeES8_S8_S8_S8_S8_S8_S8_EEEEZNS1_11reduce_implILb1ES3_PS9_SC_S9_NS6_11hip_rocprim9__find_if7functorIS9_EEEE10hipError_tPvRmT1_T2_T3_mT4_P12ihipStream_tbEUlT_E0_NS1_11comp_targetILNS1_3genE10ELNS1_11target_archE1201ELNS1_3gpuE5ELNS1_3repE0EEENS1_30default_config_static_selectorELNS0_4arch9wavefront6targetE1EEEvSK_
	.p2align	8
	.type	_ZN7rocprim17ROCPRIM_400000_NS6detail17trampoline_kernelINS0_14default_configENS1_22reduce_config_selectorIN6thrust23THRUST_200600_302600_NS5tupleIblNS6_9null_typeES8_S8_S8_S8_S8_S8_S8_EEEEZNS1_11reduce_implILb1ES3_PS9_SC_S9_NS6_11hip_rocprim9__find_if7functorIS9_EEEE10hipError_tPvRmT1_T2_T3_mT4_P12ihipStream_tbEUlT_E0_NS1_11comp_targetILNS1_3genE10ELNS1_11target_archE1201ELNS1_3gpuE5ELNS1_3repE0EEENS1_30default_config_static_selectorELNS0_4arch9wavefront6targetE1EEEvSK_,@function
_ZN7rocprim17ROCPRIM_400000_NS6detail17trampoline_kernelINS0_14default_configENS1_22reduce_config_selectorIN6thrust23THRUST_200600_302600_NS5tupleIblNS6_9null_typeES8_S8_S8_S8_S8_S8_S8_EEEEZNS1_11reduce_implILb1ES3_PS9_SC_S9_NS6_11hip_rocprim9__find_if7functorIS9_EEEE10hipError_tPvRmT1_T2_T3_mT4_P12ihipStream_tbEUlT_E0_NS1_11comp_targetILNS1_3genE10ELNS1_11target_archE1201ELNS1_3gpuE5ELNS1_3repE0EEENS1_30default_config_static_selectorELNS0_4arch9wavefront6targetE1EEEvSK_: ; @_ZN7rocprim17ROCPRIM_400000_NS6detail17trampoline_kernelINS0_14default_configENS1_22reduce_config_selectorIN6thrust23THRUST_200600_302600_NS5tupleIblNS6_9null_typeES8_S8_S8_S8_S8_S8_S8_EEEEZNS1_11reduce_implILb1ES3_PS9_SC_S9_NS6_11hip_rocprim9__find_if7functorIS9_EEEE10hipError_tPvRmT1_T2_T3_mT4_P12ihipStream_tbEUlT_E0_NS1_11comp_targetILNS1_3genE10ELNS1_11target_archE1201ELNS1_3gpuE5ELNS1_3repE0EEENS1_30default_config_static_selectorELNS0_4arch9wavefront6targetE1EEEvSK_
; %bb.0:
	.section	.rodata,"a",@progbits
	.p2align	6, 0x0
	.amdhsa_kernel _ZN7rocprim17ROCPRIM_400000_NS6detail17trampoline_kernelINS0_14default_configENS1_22reduce_config_selectorIN6thrust23THRUST_200600_302600_NS5tupleIblNS6_9null_typeES8_S8_S8_S8_S8_S8_S8_EEEEZNS1_11reduce_implILb1ES3_PS9_SC_S9_NS6_11hip_rocprim9__find_if7functorIS9_EEEE10hipError_tPvRmT1_T2_T3_mT4_P12ihipStream_tbEUlT_E0_NS1_11comp_targetILNS1_3genE10ELNS1_11target_archE1201ELNS1_3gpuE5ELNS1_3repE0EEENS1_30default_config_static_selectorELNS0_4arch9wavefront6targetE1EEEvSK_
		.amdhsa_group_segment_fixed_size 0
		.amdhsa_private_segment_fixed_size 0
		.amdhsa_kernarg_size 72
		.amdhsa_user_sgpr_count 6
		.amdhsa_user_sgpr_private_segment_buffer 1
		.amdhsa_user_sgpr_dispatch_ptr 0
		.amdhsa_user_sgpr_queue_ptr 0
		.amdhsa_user_sgpr_kernarg_segment_ptr 1
		.amdhsa_user_sgpr_dispatch_id 0
		.amdhsa_user_sgpr_flat_scratch_init 0
		.amdhsa_user_sgpr_kernarg_preload_length 0
		.amdhsa_user_sgpr_kernarg_preload_offset 0
		.amdhsa_user_sgpr_private_segment_size 0
		.amdhsa_uses_dynamic_stack 0
		.amdhsa_system_sgpr_private_segment_wavefront_offset 0
		.amdhsa_system_sgpr_workgroup_id_x 1
		.amdhsa_system_sgpr_workgroup_id_y 0
		.amdhsa_system_sgpr_workgroup_id_z 0
		.amdhsa_system_sgpr_workgroup_info 0
		.amdhsa_system_vgpr_workitem_id 0
		.amdhsa_next_free_vgpr 1
		.amdhsa_next_free_sgpr 0
		.amdhsa_accum_offset 4
		.amdhsa_reserve_vcc 0
		.amdhsa_reserve_flat_scratch 0
		.amdhsa_float_round_mode_32 0
		.amdhsa_float_round_mode_16_64 0
		.amdhsa_float_denorm_mode_32 3
		.amdhsa_float_denorm_mode_16_64 3
		.amdhsa_dx10_clamp 1
		.amdhsa_ieee_mode 1
		.amdhsa_fp16_overflow 0
		.amdhsa_tg_split 0
		.amdhsa_exception_fp_ieee_invalid_op 0
		.amdhsa_exception_fp_denorm_src 0
		.amdhsa_exception_fp_ieee_div_zero 0
		.amdhsa_exception_fp_ieee_overflow 0
		.amdhsa_exception_fp_ieee_underflow 0
		.amdhsa_exception_fp_ieee_inexact 0
		.amdhsa_exception_int_div_zero 0
	.end_amdhsa_kernel
	.section	.text._ZN7rocprim17ROCPRIM_400000_NS6detail17trampoline_kernelINS0_14default_configENS1_22reduce_config_selectorIN6thrust23THRUST_200600_302600_NS5tupleIblNS6_9null_typeES8_S8_S8_S8_S8_S8_S8_EEEEZNS1_11reduce_implILb1ES3_PS9_SC_S9_NS6_11hip_rocprim9__find_if7functorIS9_EEEE10hipError_tPvRmT1_T2_T3_mT4_P12ihipStream_tbEUlT_E0_NS1_11comp_targetILNS1_3genE10ELNS1_11target_archE1201ELNS1_3gpuE5ELNS1_3repE0EEENS1_30default_config_static_selectorELNS0_4arch9wavefront6targetE1EEEvSK_,"axG",@progbits,_ZN7rocprim17ROCPRIM_400000_NS6detail17trampoline_kernelINS0_14default_configENS1_22reduce_config_selectorIN6thrust23THRUST_200600_302600_NS5tupleIblNS6_9null_typeES8_S8_S8_S8_S8_S8_S8_EEEEZNS1_11reduce_implILb1ES3_PS9_SC_S9_NS6_11hip_rocprim9__find_if7functorIS9_EEEE10hipError_tPvRmT1_T2_T3_mT4_P12ihipStream_tbEUlT_E0_NS1_11comp_targetILNS1_3genE10ELNS1_11target_archE1201ELNS1_3gpuE5ELNS1_3repE0EEENS1_30default_config_static_selectorELNS0_4arch9wavefront6targetE1EEEvSK_,comdat
.Lfunc_end1176:
	.size	_ZN7rocprim17ROCPRIM_400000_NS6detail17trampoline_kernelINS0_14default_configENS1_22reduce_config_selectorIN6thrust23THRUST_200600_302600_NS5tupleIblNS6_9null_typeES8_S8_S8_S8_S8_S8_S8_EEEEZNS1_11reduce_implILb1ES3_PS9_SC_S9_NS6_11hip_rocprim9__find_if7functorIS9_EEEE10hipError_tPvRmT1_T2_T3_mT4_P12ihipStream_tbEUlT_E0_NS1_11comp_targetILNS1_3genE10ELNS1_11target_archE1201ELNS1_3gpuE5ELNS1_3repE0EEENS1_30default_config_static_selectorELNS0_4arch9wavefront6targetE1EEEvSK_, .Lfunc_end1176-_ZN7rocprim17ROCPRIM_400000_NS6detail17trampoline_kernelINS0_14default_configENS1_22reduce_config_selectorIN6thrust23THRUST_200600_302600_NS5tupleIblNS6_9null_typeES8_S8_S8_S8_S8_S8_S8_EEEEZNS1_11reduce_implILb1ES3_PS9_SC_S9_NS6_11hip_rocprim9__find_if7functorIS9_EEEE10hipError_tPvRmT1_T2_T3_mT4_P12ihipStream_tbEUlT_E0_NS1_11comp_targetILNS1_3genE10ELNS1_11target_archE1201ELNS1_3gpuE5ELNS1_3repE0EEENS1_30default_config_static_selectorELNS0_4arch9wavefront6targetE1EEEvSK_
                                        ; -- End function
	.section	.AMDGPU.csdata,"",@progbits
; Kernel info:
; codeLenInByte = 0
; NumSgprs: 4
; NumVgprs: 0
; NumAgprs: 0
; TotalNumVgprs: 0
; ScratchSize: 0
; MemoryBound: 0
; FloatMode: 240
; IeeeMode: 1
; LDSByteSize: 0 bytes/workgroup (compile time only)
; SGPRBlocks: 0
; VGPRBlocks: 0
; NumSGPRsForWavesPerEU: 4
; NumVGPRsForWavesPerEU: 1
; AccumOffset: 4
; Occupancy: 8
; WaveLimiterHint : 0
; COMPUTE_PGM_RSRC2:SCRATCH_EN: 0
; COMPUTE_PGM_RSRC2:USER_SGPR: 6
; COMPUTE_PGM_RSRC2:TRAP_HANDLER: 0
; COMPUTE_PGM_RSRC2:TGID_X_EN: 1
; COMPUTE_PGM_RSRC2:TGID_Y_EN: 0
; COMPUTE_PGM_RSRC2:TGID_Z_EN: 0
; COMPUTE_PGM_RSRC2:TIDIG_COMP_CNT: 0
; COMPUTE_PGM_RSRC3_GFX90A:ACCUM_OFFSET: 0
; COMPUTE_PGM_RSRC3_GFX90A:TG_SPLIT: 0
	.section	.text._ZN7rocprim17ROCPRIM_400000_NS6detail17trampoline_kernelINS0_14default_configENS1_22reduce_config_selectorIN6thrust23THRUST_200600_302600_NS5tupleIblNS6_9null_typeES8_S8_S8_S8_S8_S8_S8_EEEEZNS1_11reduce_implILb1ES3_PS9_SC_S9_NS6_11hip_rocprim9__find_if7functorIS9_EEEE10hipError_tPvRmT1_T2_T3_mT4_P12ihipStream_tbEUlT_E0_NS1_11comp_targetILNS1_3genE10ELNS1_11target_archE1200ELNS1_3gpuE4ELNS1_3repE0EEENS1_30default_config_static_selectorELNS0_4arch9wavefront6targetE1EEEvSK_,"axG",@progbits,_ZN7rocprim17ROCPRIM_400000_NS6detail17trampoline_kernelINS0_14default_configENS1_22reduce_config_selectorIN6thrust23THRUST_200600_302600_NS5tupleIblNS6_9null_typeES8_S8_S8_S8_S8_S8_S8_EEEEZNS1_11reduce_implILb1ES3_PS9_SC_S9_NS6_11hip_rocprim9__find_if7functorIS9_EEEE10hipError_tPvRmT1_T2_T3_mT4_P12ihipStream_tbEUlT_E0_NS1_11comp_targetILNS1_3genE10ELNS1_11target_archE1200ELNS1_3gpuE4ELNS1_3repE0EEENS1_30default_config_static_selectorELNS0_4arch9wavefront6targetE1EEEvSK_,comdat
	.protected	_ZN7rocprim17ROCPRIM_400000_NS6detail17trampoline_kernelINS0_14default_configENS1_22reduce_config_selectorIN6thrust23THRUST_200600_302600_NS5tupleIblNS6_9null_typeES8_S8_S8_S8_S8_S8_S8_EEEEZNS1_11reduce_implILb1ES3_PS9_SC_S9_NS6_11hip_rocprim9__find_if7functorIS9_EEEE10hipError_tPvRmT1_T2_T3_mT4_P12ihipStream_tbEUlT_E0_NS1_11comp_targetILNS1_3genE10ELNS1_11target_archE1200ELNS1_3gpuE4ELNS1_3repE0EEENS1_30default_config_static_selectorELNS0_4arch9wavefront6targetE1EEEvSK_ ; -- Begin function _ZN7rocprim17ROCPRIM_400000_NS6detail17trampoline_kernelINS0_14default_configENS1_22reduce_config_selectorIN6thrust23THRUST_200600_302600_NS5tupleIblNS6_9null_typeES8_S8_S8_S8_S8_S8_S8_EEEEZNS1_11reduce_implILb1ES3_PS9_SC_S9_NS6_11hip_rocprim9__find_if7functorIS9_EEEE10hipError_tPvRmT1_T2_T3_mT4_P12ihipStream_tbEUlT_E0_NS1_11comp_targetILNS1_3genE10ELNS1_11target_archE1200ELNS1_3gpuE4ELNS1_3repE0EEENS1_30default_config_static_selectorELNS0_4arch9wavefront6targetE1EEEvSK_
	.globl	_ZN7rocprim17ROCPRIM_400000_NS6detail17trampoline_kernelINS0_14default_configENS1_22reduce_config_selectorIN6thrust23THRUST_200600_302600_NS5tupleIblNS6_9null_typeES8_S8_S8_S8_S8_S8_S8_EEEEZNS1_11reduce_implILb1ES3_PS9_SC_S9_NS6_11hip_rocprim9__find_if7functorIS9_EEEE10hipError_tPvRmT1_T2_T3_mT4_P12ihipStream_tbEUlT_E0_NS1_11comp_targetILNS1_3genE10ELNS1_11target_archE1200ELNS1_3gpuE4ELNS1_3repE0EEENS1_30default_config_static_selectorELNS0_4arch9wavefront6targetE1EEEvSK_
	.p2align	8
	.type	_ZN7rocprim17ROCPRIM_400000_NS6detail17trampoline_kernelINS0_14default_configENS1_22reduce_config_selectorIN6thrust23THRUST_200600_302600_NS5tupleIblNS6_9null_typeES8_S8_S8_S8_S8_S8_S8_EEEEZNS1_11reduce_implILb1ES3_PS9_SC_S9_NS6_11hip_rocprim9__find_if7functorIS9_EEEE10hipError_tPvRmT1_T2_T3_mT4_P12ihipStream_tbEUlT_E0_NS1_11comp_targetILNS1_3genE10ELNS1_11target_archE1200ELNS1_3gpuE4ELNS1_3repE0EEENS1_30default_config_static_selectorELNS0_4arch9wavefront6targetE1EEEvSK_,@function
_ZN7rocprim17ROCPRIM_400000_NS6detail17trampoline_kernelINS0_14default_configENS1_22reduce_config_selectorIN6thrust23THRUST_200600_302600_NS5tupleIblNS6_9null_typeES8_S8_S8_S8_S8_S8_S8_EEEEZNS1_11reduce_implILb1ES3_PS9_SC_S9_NS6_11hip_rocprim9__find_if7functorIS9_EEEE10hipError_tPvRmT1_T2_T3_mT4_P12ihipStream_tbEUlT_E0_NS1_11comp_targetILNS1_3genE10ELNS1_11target_archE1200ELNS1_3gpuE4ELNS1_3repE0EEENS1_30default_config_static_selectorELNS0_4arch9wavefront6targetE1EEEvSK_: ; @_ZN7rocprim17ROCPRIM_400000_NS6detail17trampoline_kernelINS0_14default_configENS1_22reduce_config_selectorIN6thrust23THRUST_200600_302600_NS5tupleIblNS6_9null_typeES8_S8_S8_S8_S8_S8_S8_EEEEZNS1_11reduce_implILb1ES3_PS9_SC_S9_NS6_11hip_rocprim9__find_if7functorIS9_EEEE10hipError_tPvRmT1_T2_T3_mT4_P12ihipStream_tbEUlT_E0_NS1_11comp_targetILNS1_3genE10ELNS1_11target_archE1200ELNS1_3gpuE4ELNS1_3repE0EEENS1_30default_config_static_selectorELNS0_4arch9wavefront6targetE1EEEvSK_
; %bb.0:
	.section	.rodata,"a",@progbits
	.p2align	6, 0x0
	.amdhsa_kernel _ZN7rocprim17ROCPRIM_400000_NS6detail17trampoline_kernelINS0_14default_configENS1_22reduce_config_selectorIN6thrust23THRUST_200600_302600_NS5tupleIblNS6_9null_typeES8_S8_S8_S8_S8_S8_S8_EEEEZNS1_11reduce_implILb1ES3_PS9_SC_S9_NS6_11hip_rocprim9__find_if7functorIS9_EEEE10hipError_tPvRmT1_T2_T3_mT4_P12ihipStream_tbEUlT_E0_NS1_11comp_targetILNS1_3genE10ELNS1_11target_archE1200ELNS1_3gpuE4ELNS1_3repE0EEENS1_30default_config_static_selectorELNS0_4arch9wavefront6targetE1EEEvSK_
		.amdhsa_group_segment_fixed_size 0
		.amdhsa_private_segment_fixed_size 0
		.amdhsa_kernarg_size 72
		.amdhsa_user_sgpr_count 6
		.amdhsa_user_sgpr_private_segment_buffer 1
		.amdhsa_user_sgpr_dispatch_ptr 0
		.amdhsa_user_sgpr_queue_ptr 0
		.amdhsa_user_sgpr_kernarg_segment_ptr 1
		.amdhsa_user_sgpr_dispatch_id 0
		.amdhsa_user_sgpr_flat_scratch_init 0
		.amdhsa_user_sgpr_kernarg_preload_length 0
		.amdhsa_user_sgpr_kernarg_preload_offset 0
		.amdhsa_user_sgpr_private_segment_size 0
		.amdhsa_uses_dynamic_stack 0
		.amdhsa_system_sgpr_private_segment_wavefront_offset 0
		.amdhsa_system_sgpr_workgroup_id_x 1
		.amdhsa_system_sgpr_workgroup_id_y 0
		.amdhsa_system_sgpr_workgroup_id_z 0
		.amdhsa_system_sgpr_workgroup_info 0
		.amdhsa_system_vgpr_workitem_id 0
		.amdhsa_next_free_vgpr 1
		.amdhsa_next_free_sgpr 0
		.amdhsa_accum_offset 4
		.amdhsa_reserve_vcc 0
		.amdhsa_reserve_flat_scratch 0
		.amdhsa_float_round_mode_32 0
		.amdhsa_float_round_mode_16_64 0
		.amdhsa_float_denorm_mode_32 3
		.amdhsa_float_denorm_mode_16_64 3
		.amdhsa_dx10_clamp 1
		.amdhsa_ieee_mode 1
		.amdhsa_fp16_overflow 0
		.amdhsa_tg_split 0
		.amdhsa_exception_fp_ieee_invalid_op 0
		.amdhsa_exception_fp_denorm_src 0
		.amdhsa_exception_fp_ieee_div_zero 0
		.amdhsa_exception_fp_ieee_overflow 0
		.amdhsa_exception_fp_ieee_underflow 0
		.amdhsa_exception_fp_ieee_inexact 0
		.amdhsa_exception_int_div_zero 0
	.end_amdhsa_kernel
	.section	.text._ZN7rocprim17ROCPRIM_400000_NS6detail17trampoline_kernelINS0_14default_configENS1_22reduce_config_selectorIN6thrust23THRUST_200600_302600_NS5tupleIblNS6_9null_typeES8_S8_S8_S8_S8_S8_S8_EEEEZNS1_11reduce_implILb1ES3_PS9_SC_S9_NS6_11hip_rocprim9__find_if7functorIS9_EEEE10hipError_tPvRmT1_T2_T3_mT4_P12ihipStream_tbEUlT_E0_NS1_11comp_targetILNS1_3genE10ELNS1_11target_archE1200ELNS1_3gpuE4ELNS1_3repE0EEENS1_30default_config_static_selectorELNS0_4arch9wavefront6targetE1EEEvSK_,"axG",@progbits,_ZN7rocprim17ROCPRIM_400000_NS6detail17trampoline_kernelINS0_14default_configENS1_22reduce_config_selectorIN6thrust23THRUST_200600_302600_NS5tupleIblNS6_9null_typeES8_S8_S8_S8_S8_S8_S8_EEEEZNS1_11reduce_implILb1ES3_PS9_SC_S9_NS6_11hip_rocprim9__find_if7functorIS9_EEEE10hipError_tPvRmT1_T2_T3_mT4_P12ihipStream_tbEUlT_E0_NS1_11comp_targetILNS1_3genE10ELNS1_11target_archE1200ELNS1_3gpuE4ELNS1_3repE0EEENS1_30default_config_static_selectorELNS0_4arch9wavefront6targetE1EEEvSK_,comdat
.Lfunc_end1177:
	.size	_ZN7rocprim17ROCPRIM_400000_NS6detail17trampoline_kernelINS0_14default_configENS1_22reduce_config_selectorIN6thrust23THRUST_200600_302600_NS5tupleIblNS6_9null_typeES8_S8_S8_S8_S8_S8_S8_EEEEZNS1_11reduce_implILb1ES3_PS9_SC_S9_NS6_11hip_rocprim9__find_if7functorIS9_EEEE10hipError_tPvRmT1_T2_T3_mT4_P12ihipStream_tbEUlT_E0_NS1_11comp_targetILNS1_3genE10ELNS1_11target_archE1200ELNS1_3gpuE4ELNS1_3repE0EEENS1_30default_config_static_selectorELNS0_4arch9wavefront6targetE1EEEvSK_, .Lfunc_end1177-_ZN7rocprim17ROCPRIM_400000_NS6detail17trampoline_kernelINS0_14default_configENS1_22reduce_config_selectorIN6thrust23THRUST_200600_302600_NS5tupleIblNS6_9null_typeES8_S8_S8_S8_S8_S8_S8_EEEEZNS1_11reduce_implILb1ES3_PS9_SC_S9_NS6_11hip_rocprim9__find_if7functorIS9_EEEE10hipError_tPvRmT1_T2_T3_mT4_P12ihipStream_tbEUlT_E0_NS1_11comp_targetILNS1_3genE10ELNS1_11target_archE1200ELNS1_3gpuE4ELNS1_3repE0EEENS1_30default_config_static_selectorELNS0_4arch9wavefront6targetE1EEEvSK_
                                        ; -- End function
	.section	.AMDGPU.csdata,"",@progbits
; Kernel info:
; codeLenInByte = 0
; NumSgprs: 4
; NumVgprs: 0
; NumAgprs: 0
; TotalNumVgprs: 0
; ScratchSize: 0
; MemoryBound: 0
; FloatMode: 240
; IeeeMode: 1
; LDSByteSize: 0 bytes/workgroup (compile time only)
; SGPRBlocks: 0
; VGPRBlocks: 0
; NumSGPRsForWavesPerEU: 4
; NumVGPRsForWavesPerEU: 1
; AccumOffset: 4
; Occupancy: 8
; WaveLimiterHint : 0
; COMPUTE_PGM_RSRC2:SCRATCH_EN: 0
; COMPUTE_PGM_RSRC2:USER_SGPR: 6
; COMPUTE_PGM_RSRC2:TRAP_HANDLER: 0
; COMPUTE_PGM_RSRC2:TGID_X_EN: 1
; COMPUTE_PGM_RSRC2:TGID_Y_EN: 0
; COMPUTE_PGM_RSRC2:TGID_Z_EN: 0
; COMPUTE_PGM_RSRC2:TIDIG_COMP_CNT: 0
; COMPUTE_PGM_RSRC3_GFX90A:ACCUM_OFFSET: 0
; COMPUTE_PGM_RSRC3_GFX90A:TG_SPLIT: 0
	.section	.text._ZN7rocprim17ROCPRIM_400000_NS6detail17trampoline_kernelINS0_14default_configENS1_22reduce_config_selectorIN6thrust23THRUST_200600_302600_NS5tupleIblNS6_9null_typeES8_S8_S8_S8_S8_S8_S8_EEEEZNS1_11reduce_implILb1ES3_PS9_SC_S9_NS6_11hip_rocprim9__find_if7functorIS9_EEEE10hipError_tPvRmT1_T2_T3_mT4_P12ihipStream_tbEUlT_E0_NS1_11comp_targetILNS1_3genE9ELNS1_11target_archE1100ELNS1_3gpuE3ELNS1_3repE0EEENS1_30default_config_static_selectorELNS0_4arch9wavefront6targetE1EEEvSK_,"axG",@progbits,_ZN7rocprim17ROCPRIM_400000_NS6detail17trampoline_kernelINS0_14default_configENS1_22reduce_config_selectorIN6thrust23THRUST_200600_302600_NS5tupleIblNS6_9null_typeES8_S8_S8_S8_S8_S8_S8_EEEEZNS1_11reduce_implILb1ES3_PS9_SC_S9_NS6_11hip_rocprim9__find_if7functorIS9_EEEE10hipError_tPvRmT1_T2_T3_mT4_P12ihipStream_tbEUlT_E0_NS1_11comp_targetILNS1_3genE9ELNS1_11target_archE1100ELNS1_3gpuE3ELNS1_3repE0EEENS1_30default_config_static_selectorELNS0_4arch9wavefront6targetE1EEEvSK_,comdat
	.protected	_ZN7rocprim17ROCPRIM_400000_NS6detail17trampoline_kernelINS0_14default_configENS1_22reduce_config_selectorIN6thrust23THRUST_200600_302600_NS5tupleIblNS6_9null_typeES8_S8_S8_S8_S8_S8_S8_EEEEZNS1_11reduce_implILb1ES3_PS9_SC_S9_NS6_11hip_rocprim9__find_if7functorIS9_EEEE10hipError_tPvRmT1_T2_T3_mT4_P12ihipStream_tbEUlT_E0_NS1_11comp_targetILNS1_3genE9ELNS1_11target_archE1100ELNS1_3gpuE3ELNS1_3repE0EEENS1_30default_config_static_selectorELNS0_4arch9wavefront6targetE1EEEvSK_ ; -- Begin function _ZN7rocprim17ROCPRIM_400000_NS6detail17trampoline_kernelINS0_14default_configENS1_22reduce_config_selectorIN6thrust23THRUST_200600_302600_NS5tupleIblNS6_9null_typeES8_S8_S8_S8_S8_S8_S8_EEEEZNS1_11reduce_implILb1ES3_PS9_SC_S9_NS6_11hip_rocprim9__find_if7functorIS9_EEEE10hipError_tPvRmT1_T2_T3_mT4_P12ihipStream_tbEUlT_E0_NS1_11comp_targetILNS1_3genE9ELNS1_11target_archE1100ELNS1_3gpuE3ELNS1_3repE0EEENS1_30default_config_static_selectorELNS0_4arch9wavefront6targetE1EEEvSK_
	.globl	_ZN7rocprim17ROCPRIM_400000_NS6detail17trampoline_kernelINS0_14default_configENS1_22reduce_config_selectorIN6thrust23THRUST_200600_302600_NS5tupleIblNS6_9null_typeES8_S8_S8_S8_S8_S8_S8_EEEEZNS1_11reduce_implILb1ES3_PS9_SC_S9_NS6_11hip_rocprim9__find_if7functorIS9_EEEE10hipError_tPvRmT1_T2_T3_mT4_P12ihipStream_tbEUlT_E0_NS1_11comp_targetILNS1_3genE9ELNS1_11target_archE1100ELNS1_3gpuE3ELNS1_3repE0EEENS1_30default_config_static_selectorELNS0_4arch9wavefront6targetE1EEEvSK_
	.p2align	8
	.type	_ZN7rocprim17ROCPRIM_400000_NS6detail17trampoline_kernelINS0_14default_configENS1_22reduce_config_selectorIN6thrust23THRUST_200600_302600_NS5tupleIblNS6_9null_typeES8_S8_S8_S8_S8_S8_S8_EEEEZNS1_11reduce_implILb1ES3_PS9_SC_S9_NS6_11hip_rocprim9__find_if7functorIS9_EEEE10hipError_tPvRmT1_T2_T3_mT4_P12ihipStream_tbEUlT_E0_NS1_11comp_targetILNS1_3genE9ELNS1_11target_archE1100ELNS1_3gpuE3ELNS1_3repE0EEENS1_30default_config_static_selectorELNS0_4arch9wavefront6targetE1EEEvSK_,@function
_ZN7rocprim17ROCPRIM_400000_NS6detail17trampoline_kernelINS0_14default_configENS1_22reduce_config_selectorIN6thrust23THRUST_200600_302600_NS5tupleIblNS6_9null_typeES8_S8_S8_S8_S8_S8_S8_EEEEZNS1_11reduce_implILb1ES3_PS9_SC_S9_NS6_11hip_rocprim9__find_if7functorIS9_EEEE10hipError_tPvRmT1_T2_T3_mT4_P12ihipStream_tbEUlT_E0_NS1_11comp_targetILNS1_3genE9ELNS1_11target_archE1100ELNS1_3gpuE3ELNS1_3repE0EEENS1_30default_config_static_selectorELNS0_4arch9wavefront6targetE1EEEvSK_: ; @_ZN7rocprim17ROCPRIM_400000_NS6detail17trampoline_kernelINS0_14default_configENS1_22reduce_config_selectorIN6thrust23THRUST_200600_302600_NS5tupleIblNS6_9null_typeES8_S8_S8_S8_S8_S8_S8_EEEEZNS1_11reduce_implILb1ES3_PS9_SC_S9_NS6_11hip_rocprim9__find_if7functorIS9_EEEE10hipError_tPvRmT1_T2_T3_mT4_P12ihipStream_tbEUlT_E0_NS1_11comp_targetILNS1_3genE9ELNS1_11target_archE1100ELNS1_3gpuE3ELNS1_3repE0EEENS1_30default_config_static_selectorELNS0_4arch9wavefront6targetE1EEEvSK_
; %bb.0:
	.section	.rodata,"a",@progbits
	.p2align	6, 0x0
	.amdhsa_kernel _ZN7rocprim17ROCPRIM_400000_NS6detail17trampoline_kernelINS0_14default_configENS1_22reduce_config_selectorIN6thrust23THRUST_200600_302600_NS5tupleIblNS6_9null_typeES8_S8_S8_S8_S8_S8_S8_EEEEZNS1_11reduce_implILb1ES3_PS9_SC_S9_NS6_11hip_rocprim9__find_if7functorIS9_EEEE10hipError_tPvRmT1_T2_T3_mT4_P12ihipStream_tbEUlT_E0_NS1_11comp_targetILNS1_3genE9ELNS1_11target_archE1100ELNS1_3gpuE3ELNS1_3repE0EEENS1_30default_config_static_selectorELNS0_4arch9wavefront6targetE1EEEvSK_
		.amdhsa_group_segment_fixed_size 0
		.amdhsa_private_segment_fixed_size 0
		.amdhsa_kernarg_size 72
		.amdhsa_user_sgpr_count 6
		.amdhsa_user_sgpr_private_segment_buffer 1
		.amdhsa_user_sgpr_dispatch_ptr 0
		.amdhsa_user_sgpr_queue_ptr 0
		.amdhsa_user_sgpr_kernarg_segment_ptr 1
		.amdhsa_user_sgpr_dispatch_id 0
		.amdhsa_user_sgpr_flat_scratch_init 0
		.amdhsa_user_sgpr_kernarg_preload_length 0
		.amdhsa_user_sgpr_kernarg_preload_offset 0
		.amdhsa_user_sgpr_private_segment_size 0
		.amdhsa_uses_dynamic_stack 0
		.amdhsa_system_sgpr_private_segment_wavefront_offset 0
		.amdhsa_system_sgpr_workgroup_id_x 1
		.amdhsa_system_sgpr_workgroup_id_y 0
		.amdhsa_system_sgpr_workgroup_id_z 0
		.amdhsa_system_sgpr_workgroup_info 0
		.amdhsa_system_vgpr_workitem_id 0
		.amdhsa_next_free_vgpr 1
		.amdhsa_next_free_sgpr 0
		.amdhsa_accum_offset 4
		.amdhsa_reserve_vcc 0
		.amdhsa_reserve_flat_scratch 0
		.amdhsa_float_round_mode_32 0
		.amdhsa_float_round_mode_16_64 0
		.amdhsa_float_denorm_mode_32 3
		.amdhsa_float_denorm_mode_16_64 3
		.amdhsa_dx10_clamp 1
		.amdhsa_ieee_mode 1
		.amdhsa_fp16_overflow 0
		.amdhsa_tg_split 0
		.amdhsa_exception_fp_ieee_invalid_op 0
		.amdhsa_exception_fp_denorm_src 0
		.amdhsa_exception_fp_ieee_div_zero 0
		.amdhsa_exception_fp_ieee_overflow 0
		.amdhsa_exception_fp_ieee_underflow 0
		.amdhsa_exception_fp_ieee_inexact 0
		.amdhsa_exception_int_div_zero 0
	.end_amdhsa_kernel
	.section	.text._ZN7rocprim17ROCPRIM_400000_NS6detail17trampoline_kernelINS0_14default_configENS1_22reduce_config_selectorIN6thrust23THRUST_200600_302600_NS5tupleIblNS6_9null_typeES8_S8_S8_S8_S8_S8_S8_EEEEZNS1_11reduce_implILb1ES3_PS9_SC_S9_NS6_11hip_rocprim9__find_if7functorIS9_EEEE10hipError_tPvRmT1_T2_T3_mT4_P12ihipStream_tbEUlT_E0_NS1_11comp_targetILNS1_3genE9ELNS1_11target_archE1100ELNS1_3gpuE3ELNS1_3repE0EEENS1_30default_config_static_selectorELNS0_4arch9wavefront6targetE1EEEvSK_,"axG",@progbits,_ZN7rocprim17ROCPRIM_400000_NS6detail17trampoline_kernelINS0_14default_configENS1_22reduce_config_selectorIN6thrust23THRUST_200600_302600_NS5tupleIblNS6_9null_typeES8_S8_S8_S8_S8_S8_S8_EEEEZNS1_11reduce_implILb1ES3_PS9_SC_S9_NS6_11hip_rocprim9__find_if7functorIS9_EEEE10hipError_tPvRmT1_T2_T3_mT4_P12ihipStream_tbEUlT_E0_NS1_11comp_targetILNS1_3genE9ELNS1_11target_archE1100ELNS1_3gpuE3ELNS1_3repE0EEENS1_30default_config_static_selectorELNS0_4arch9wavefront6targetE1EEEvSK_,comdat
.Lfunc_end1178:
	.size	_ZN7rocprim17ROCPRIM_400000_NS6detail17trampoline_kernelINS0_14default_configENS1_22reduce_config_selectorIN6thrust23THRUST_200600_302600_NS5tupleIblNS6_9null_typeES8_S8_S8_S8_S8_S8_S8_EEEEZNS1_11reduce_implILb1ES3_PS9_SC_S9_NS6_11hip_rocprim9__find_if7functorIS9_EEEE10hipError_tPvRmT1_T2_T3_mT4_P12ihipStream_tbEUlT_E0_NS1_11comp_targetILNS1_3genE9ELNS1_11target_archE1100ELNS1_3gpuE3ELNS1_3repE0EEENS1_30default_config_static_selectorELNS0_4arch9wavefront6targetE1EEEvSK_, .Lfunc_end1178-_ZN7rocprim17ROCPRIM_400000_NS6detail17trampoline_kernelINS0_14default_configENS1_22reduce_config_selectorIN6thrust23THRUST_200600_302600_NS5tupleIblNS6_9null_typeES8_S8_S8_S8_S8_S8_S8_EEEEZNS1_11reduce_implILb1ES3_PS9_SC_S9_NS6_11hip_rocprim9__find_if7functorIS9_EEEE10hipError_tPvRmT1_T2_T3_mT4_P12ihipStream_tbEUlT_E0_NS1_11comp_targetILNS1_3genE9ELNS1_11target_archE1100ELNS1_3gpuE3ELNS1_3repE0EEENS1_30default_config_static_selectorELNS0_4arch9wavefront6targetE1EEEvSK_
                                        ; -- End function
	.section	.AMDGPU.csdata,"",@progbits
; Kernel info:
; codeLenInByte = 0
; NumSgprs: 4
; NumVgprs: 0
; NumAgprs: 0
; TotalNumVgprs: 0
; ScratchSize: 0
; MemoryBound: 0
; FloatMode: 240
; IeeeMode: 1
; LDSByteSize: 0 bytes/workgroup (compile time only)
; SGPRBlocks: 0
; VGPRBlocks: 0
; NumSGPRsForWavesPerEU: 4
; NumVGPRsForWavesPerEU: 1
; AccumOffset: 4
; Occupancy: 8
; WaveLimiterHint : 0
; COMPUTE_PGM_RSRC2:SCRATCH_EN: 0
; COMPUTE_PGM_RSRC2:USER_SGPR: 6
; COMPUTE_PGM_RSRC2:TRAP_HANDLER: 0
; COMPUTE_PGM_RSRC2:TGID_X_EN: 1
; COMPUTE_PGM_RSRC2:TGID_Y_EN: 0
; COMPUTE_PGM_RSRC2:TGID_Z_EN: 0
; COMPUTE_PGM_RSRC2:TIDIG_COMP_CNT: 0
; COMPUTE_PGM_RSRC3_GFX90A:ACCUM_OFFSET: 0
; COMPUTE_PGM_RSRC3_GFX90A:TG_SPLIT: 0
	.section	.text._ZN7rocprim17ROCPRIM_400000_NS6detail17trampoline_kernelINS0_14default_configENS1_22reduce_config_selectorIN6thrust23THRUST_200600_302600_NS5tupleIblNS6_9null_typeES8_S8_S8_S8_S8_S8_S8_EEEEZNS1_11reduce_implILb1ES3_PS9_SC_S9_NS6_11hip_rocprim9__find_if7functorIS9_EEEE10hipError_tPvRmT1_T2_T3_mT4_P12ihipStream_tbEUlT_E0_NS1_11comp_targetILNS1_3genE8ELNS1_11target_archE1030ELNS1_3gpuE2ELNS1_3repE0EEENS1_30default_config_static_selectorELNS0_4arch9wavefront6targetE1EEEvSK_,"axG",@progbits,_ZN7rocprim17ROCPRIM_400000_NS6detail17trampoline_kernelINS0_14default_configENS1_22reduce_config_selectorIN6thrust23THRUST_200600_302600_NS5tupleIblNS6_9null_typeES8_S8_S8_S8_S8_S8_S8_EEEEZNS1_11reduce_implILb1ES3_PS9_SC_S9_NS6_11hip_rocprim9__find_if7functorIS9_EEEE10hipError_tPvRmT1_T2_T3_mT4_P12ihipStream_tbEUlT_E0_NS1_11comp_targetILNS1_3genE8ELNS1_11target_archE1030ELNS1_3gpuE2ELNS1_3repE0EEENS1_30default_config_static_selectorELNS0_4arch9wavefront6targetE1EEEvSK_,comdat
	.protected	_ZN7rocprim17ROCPRIM_400000_NS6detail17trampoline_kernelINS0_14default_configENS1_22reduce_config_selectorIN6thrust23THRUST_200600_302600_NS5tupleIblNS6_9null_typeES8_S8_S8_S8_S8_S8_S8_EEEEZNS1_11reduce_implILb1ES3_PS9_SC_S9_NS6_11hip_rocprim9__find_if7functorIS9_EEEE10hipError_tPvRmT1_T2_T3_mT4_P12ihipStream_tbEUlT_E0_NS1_11comp_targetILNS1_3genE8ELNS1_11target_archE1030ELNS1_3gpuE2ELNS1_3repE0EEENS1_30default_config_static_selectorELNS0_4arch9wavefront6targetE1EEEvSK_ ; -- Begin function _ZN7rocprim17ROCPRIM_400000_NS6detail17trampoline_kernelINS0_14default_configENS1_22reduce_config_selectorIN6thrust23THRUST_200600_302600_NS5tupleIblNS6_9null_typeES8_S8_S8_S8_S8_S8_S8_EEEEZNS1_11reduce_implILb1ES3_PS9_SC_S9_NS6_11hip_rocprim9__find_if7functorIS9_EEEE10hipError_tPvRmT1_T2_T3_mT4_P12ihipStream_tbEUlT_E0_NS1_11comp_targetILNS1_3genE8ELNS1_11target_archE1030ELNS1_3gpuE2ELNS1_3repE0EEENS1_30default_config_static_selectorELNS0_4arch9wavefront6targetE1EEEvSK_
	.globl	_ZN7rocprim17ROCPRIM_400000_NS6detail17trampoline_kernelINS0_14default_configENS1_22reduce_config_selectorIN6thrust23THRUST_200600_302600_NS5tupleIblNS6_9null_typeES8_S8_S8_S8_S8_S8_S8_EEEEZNS1_11reduce_implILb1ES3_PS9_SC_S9_NS6_11hip_rocprim9__find_if7functorIS9_EEEE10hipError_tPvRmT1_T2_T3_mT4_P12ihipStream_tbEUlT_E0_NS1_11comp_targetILNS1_3genE8ELNS1_11target_archE1030ELNS1_3gpuE2ELNS1_3repE0EEENS1_30default_config_static_selectorELNS0_4arch9wavefront6targetE1EEEvSK_
	.p2align	8
	.type	_ZN7rocprim17ROCPRIM_400000_NS6detail17trampoline_kernelINS0_14default_configENS1_22reduce_config_selectorIN6thrust23THRUST_200600_302600_NS5tupleIblNS6_9null_typeES8_S8_S8_S8_S8_S8_S8_EEEEZNS1_11reduce_implILb1ES3_PS9_SC_S9_NS6_11hip_rocprim9__find_if7functorIS9_EEEE10hipError_tPvRmT1_T2_T3_mT4_P12ihipStream_tbEUlT_E0_NS1_11comp_targetILNS1_3genE8ELNS1_11target_archE1030ELNS1_3gpuE2ELNS1_3repE0EEENS1_30default_config_static_selectorELNS0_4arch9wavefront6targetE1EEEvSK_,@function
_ZN7rocprim17ROCPRIM_400000_NS6detail17trampoline_kernelINS0_14default_configENS1_22reduce_config_selectorIN6thrust23THRUST_200600_302600_NS5tupleIblNS6_9null_typeES8_S8_S8_S8_S8_S8_S8_EEEEZNS1_11reduce_implILb1ES3_PS9_SC_S9_NS6_11hip_rocprim9__find_if7functorIS9_EEEE10hipError_tPvRmT1_T2_T3_mT4_P12ihipStream_tbEUlT_E0_NS1_11comp_targetILNS1_3genE8ELNS1_11target_archE1030ELNS1_3gpuE2ELNS1_3repE0EEENS1_30default_config_static_selectorELNS0_4arch9wavefront6targetE1EEEvSK_: ; @_ZN7rocprim17ROCPRIM_400000_NS6detail17trampoline_kernelINS0_14default_configENS1_22reduce_config_selectorIN6thrust23THRUST_200600_302600_NS5tupleIblNS6_9null_typeES8_S8_S8_S8_S8_S8_S8_EEEEZNS1_11reduce_implILb1ES3_PS9_SC_S9_NS6_11hip_rocprim9__find_if7functorIS9_EEEE10hipError_tPvRmT1_T2_T3_mT4_P12ihipStream_tbEUlT_E0_NS1_11comp_targetILNS1_3genE8ELNS1_11target_archE1030ELNS1_3gpuE2ELNS1_3repE0EEENS1_30default_config_static_selectorELNS0_4arch9wavefront6targetE1EEEvSK_
; %bb.0:
	.section	.rodata,"a",@progbits
	.p2align	6, 0x0
	.amdhsa_kernel _ZN7rocprim17ROCPRIM_400000_NS6detail17trampoline_kernelINS0_14default_configENS1_22reduce_config_selectorIN6thrust23THRUST_200600_302600_NS5tupleIblNS6_9null_typeES8_S8_S8_S8_S8_S8_S8_EEEEZNS1_11reduce_implILb1ES3_PS9_SC_S9_NS6_11hip_rocprim9__find_if7functorIS9_EEEE10hipError_tPvRmT1_T2_T3_mT4_P12ihipStream_tbEUlT_E0_NS1_11comp_targetILNS1_3genE8ELNS1_11target_archE1030ELNS1_3gpuE2ELNS1_3repE0EEENS1_30default_config_static_selectorELNS0_4arch9wavefront6targetE1EEEvSK_
		.amdhsa_group_segment_fixed_size 0
		.amdhsa_private_segment_fixed_size 0
		.amdhsa_kernarg_size 72
		.amdhsa_user_sgpr_count 6
		.amdhsa_user_sgpr_private_segment_buffer 1
		.amdhsa_user_sgpr_dispatch_ptr 0
		.amdhsa_user_sgpr_queue_ptr 0
		.amdhsa_user_sgpr_kernarg_segment_ptr 1
		.amdhsa_user_sgpr_dispatch_id 0
		.amdhsa_user_sgpr_flat_scratch_init 0
		.amdhsa_user_sgpr_kernarg_preload_length 0
		.amdhsa_user_sgpr_kernarg_preload_offset 0
		.amdhsa_user_sgpr_private_segment_size 0
		.amdhsa_uses_dynamic_stack 0
		.amdhsa_system_sgpr_private_segment_wavefront_offset 0
		.amdhsa_system_sgpr_workgroup_id_x 1
		.amdhsa_system_sgpr_workgroup_id_y 0
		.amdhsa_system_sgpr_workgroup_id_z 0
		.amdhsa_system_sgpr_workgroup_info 0
		.amdhsa_system_vgpr_workitem_id 0
		.amdhsa_next_free_vgpr 1
		.amdhsa_next_free_sgpr 0
		.amdhsa_accum_offset 4
		.amdhsa_reserve_vcc 0
		.amdhsa_reserve_flat_scratch 0
		.amdhsa_float_round_mode_32 0
		.amdhsa_float_round_mode_16_64 0
		.amdhsa_float_denorm_mode_32 3
		.amdhsa_float_denorm_mode_16_64 3
		.amdhsa_dx10_clamp 1
		.amdhsa_ieee_mode 1
		.amdhsa_fp16_overflow 0
		.amdhsa_tg_split 0
		.amdhsa_exception_fp_ieee_invalid_op 0
		.amdhsa_exception_fp_denorm_src 0
		.amdhsa_exception_fp_ieee_div_zero 0
		.amdhsa_exception_fp_ieee_overflow 0
		.amdhsa_exception_fp_ieee_underflow 0
		.amdhsa_exception_fp_ieee_inexact 0
		.amdhsa_exception_int_div_zero 0
	.end_amdhsa_kernel
	.section	.text._ZN7rocprim17ROCPRIM_400000_NS6detail17trampoline_kernelINS0_14default_configENS1_22reduce_config_selectorIN6thrust23THRUST_200600_302600_NS5tupleIblNS6_9null_typeES8_S8_S8_S8_S8_S8_S8_EEEEZNS1_11reduce_implILb1ES3_PS9_SC_S9_NS6_11hip_rocprim9__find_if7functorIS9_EEEE10hipError_tPvRmT1_T2_T3_mT4_P12ihipStream_tbEUlT_E0_NS1_11comp_targetILNS1_3genE8ELNS1_11target_archE1030ELNS1_3gpuE2ELNS1_3repE0EEENS1_30default_config_static_selectorELNS0_4arch9wavefront6targetE1EEEvSK_,"axG",@progbits,_ZN7rocprim17ROCPRIM_400000_NS6detail17trampoline_kernelINS0_14default_configENS1_22reduce_config_selectorIN6thrust23THRUST_200600_302600_NS5tupleIblNS6_9null_typeES8_S8_S8_S8_S8_S8_S8_EEEEZNS1_11reduce_implILb1ES3_PS9_SC_S9_NS6_11hip_rocprim9__find_if7functorIS9_EEEE10hipError_tPvRmT1_T2_T3_mT4_P12ihipStream_tbEUlT_E0_NS1_11comp_targetILNS1_3genE8ELNS1_11target_archE1030ELNS1_3gpuE2ELNS1_3repE0EEENS1_30default_config_static_selectorELNS0_4arch9wavefront6targetE1EEEvSK_,comdat
.Lfunc_end1179:
	.size	_ZN7rocprim17ROCPRIM_400000_NS6detail17trampoline_kernelINS0_14default_configENS1_22reduce_config_selectorIN6thrust23THRUST_200600_302600_NS5tupleIblNS6_9null_typeES8_S8_S8_S8_S8_S8_S8_EEEEZNS1_11reduce_implILb1ES3_PS9_SC_S9_NS6_11hip_rocprim9__find_if7functorIS9_EEEE10hipError_tPvRmT1_T2_T3_mT4_P12ihipStream_tbEUlT_E0_NS1_11comp_targetILNS1_3genE8ELNS1_11target_archE1030ELNS1_3gpuE2ELNS1_3repE0EEENS1_30default_config_static_selectorELNS0_4arch9wavefront6targetE1EEEvSK_, .Lfunc_end1179-_ZN7rocprim17ROCPRIM_400000_NS6detail17trampoline_kernelINS0_14default_configENS1_22reduce_config_selectorIN6thrust23THRUST_200600_302600_NS5tupleIblNS6_9null_typeES8_S8_S8_S8_S8_S8_S8_EEEEZNS1_11reduce_implILb1ES3_PS9_SC_S9_NS6_11hip_rocprim9__find_if7functorIS9_EEEE10hipError_tPvRmT1_T2_T3_mT4_P12ihipStream_tbEUlT_E0_NS1_11comp_targetILNS1_3genE8ELNS1_11target_archE1030ELNS1_3gpuE2ELNS1_3repE0EEENS1_30default_config_static_selectorELNS0_4arch9wavefront6targetE1EEEvSK_
                                        ; -- End function
	.section	.AMDGPU.csdata,"",@progbits
; Kernel info:
; codeLenInByte = 0
; NumSgprs: 4
; NumVgprs: 0
; NumAgprs: 0
; TotalNumVgprs: 0
; ScratchSize: 0
; MemoryBound: 0
; FloatMode: 240
; IeeeMode: 1
; LDSByteSize: 0 bytes/workgroup (compile time only)
; SGPRBlocks: 0
; VGPRBlocks: 0
; NumSGPRsForWavesPerEU: 4
; NumVGPRsForWavesPerEU: 1
; AccumOffset: 4
; Occupancy: 8
; WaveLimiterHint : 0
; COMPUTE_PGM_RSRC2:SCRATCH_EN: 0
; COMPUTE_PGM_RSRC2:USER_SGPR: 6
; COMPUTE_PGM_RSRC2:TRAP_HANDLER: 0
; COMPUTE_PGM_RSRC2:TGID_X_EN: 1
; COMPUTE_PGM_RSRC2:TGID_Y_EN: 0
; COMPUTE_PGM_RSRC2:TGID_Z_EN: 0
; COMPUTE_PGM_RSRC2:TIDIG_COMP_CNT: 0
; COMPUTE_PGM_RSRC3_GFX90A:ACCUM_OFFSET: 0
; COMPUTE_PGM_RSRC3_GFX90A:TG_SPLIT: 0
	.section	.text._ZN7rocprim17ROCPRIM_400000_NS6detail17trampoline_kernelINS0_14default_configENS1_22reduce_config_selectorIN6thrust23THRUST_200600_302600_NS5tupleIblNS6_9null_typeES8_S8_S8_S8_S8_S8_S8_EEEEZNS1_11reduce_implILb1ES3_PS9_SC_S9_NS6_11hip_rocprim9__find_if7functorIS9_EEEE10hipError_tPvRmT1_T2_T3_mT4_P12ihipStream_tbEUlT_E1_NS1_11comp_targetILNS1_3genE0ELNS1_11target_archE4294967295ELNS1_3gpuE0ELNS1_3repE0EEENS1_30default_config_static_selectorELNS0_4arch9wavefront6targetE1EEEvSK_,"axG",@progbits,_ZN7rocprim17ROCPRIM_400000_NS6detail17trampoline_kernelINS0_14default_configENS1_22reduce_config_selectorIN6thrust23THRUST_200600_302600_NS5tupleIblNS6_9null_typeES8_S8_S8_S8_S8_S8_S8_EEEEZNS1_11reduce_implILb1ES3_PS9_SC_S9_NS6_11hip_rocprim9__find_if7functorIS9_EEEE10hipError_tPvRmT1_T2_T3_mT4_P12ihipStream_tbEUlT_E1_NS1_11comp_targetILNS1_3genE0ELNS1_11target_archE4294967295ELNS1_3gpuE0ELNS1_3repE0EEENS1_30default_config_static_selectorELNS0_4arch9wavefront6targetE1EEEvSK_,comdat
	.protected	_ZN7rocprim17ROCPRIM_400000_NS6detail17trampoline_kernelINS0_14default_configENS1_22reduce_config_selectorIN6thrust23THRUST_200600_302600_NS5tupleIblNS6_9null_typeES8_S8_S8_S8_S8_S8_S8_EEEEZNS1_11reduce_implILb1ES3_PS9_SC_S9_NS6_11hip_rocprim9__find_if7functorIS9_EEEE10hipError_tPvRmT1_T2_T3_mT4_P12ihipStream_tbEUlT_E1_NS1_11comp_targetILNS1_3genE0ELNS1_11target_archE4294967295ELNS1_3gpuE0ELNS1_3repE0EEENS1_30default_config_static_selectorELNS0_4arch9wavefront6targetE1EEEvSK_ ; -- Begin function _ZN7rocprim17ROCPRIM_400000_NS6detail17trampoline_kernelINS0_14default_configENS1_22reduce_config_selectorIN6thrust23THRUST_200600_302600_NS5tupleIblNS6_9null_typeES8_S8_S8_S8_S8_S8_S8_EEEEZNS1_11reduce_implILb1ES3_PS9_SC_S9_NS6_11hip_rocprim9__find_if7functorIS9_EEEE10hipError_tPvRmT1_T2_T3_mT4_P12ihipStream_tbEUlT_E1_NS1_11comp_targetILNS1_3genE0ELNS1_11target_archE4294967295ELNS1_3gpuE0ELNS1_3repE0EEENS1_30default_config_static_selectorELNS0_4arch9wavefront6targetE1EEEvSK_
	.globl	_ZN7rocprim17ROCPRIM_400000_NS6detail17trampoline_kernelINS0_14default_configENS1_22reduce_config_selectorIN6thrust23THRUST_200600_302600_NS5tupleIblNS6_9null_typeES8_S8_S8_S8_S8_S8_S8_EEEEZNS1_11reduce_implILb1ES3_PS9_SC_S9_NS6_11hip_rocprim9__find_if7functorIS9_EEEE10hipError_tPvRmT1_T2_T3_mT4_P12ihipStream_tbEUlT_E1_NS1_11comp_targetILNS1_3genE0ELNS1_11target_archE4294967295ELNS1_3gpuE0ELNS1_3repE0EEENS1_30default_config_static_selectorELNS0_4arch9wavefront6targetE1EEEvSK_
	.p2align	8
	.type	_ZN7rocprim17ROCPRIM_400000_NS6detail17trampoline_kernelINS0_14default_configENS1_22reduce_config_selectorIN6thrust23THRUST_200600_302600_NS5tupleIblNS6_9null_typeES8_S8_S8_S8_S8_S8_S8_EEEEZNS1_11reduce_implILb1ES3_PS9_SC_S9_NS6_11hip_rocprim9__find_if7functorIS9_EEEE10hipError_tPvRmT1_T2_T3_mT4_P12ihipStream_tbEUlT_E1_NS1_11comp_targetILNS1_3genE0ELNS1_11target_archE4294967295ELNS1_3gpuE0ELNS1_3repE0EEENS1_30default_config_static_selectorELNS0_4arch9wavefront6targetE1EEEvSK_,@function
_ZN7rocprim17ROCPRIM_400000_NS6detail17trampoline_kernelINS0_14default_configENS1_22reduce_config_selectorIN6thrust23THRUST_200600_302600_NS5tupleIblNS6_9null_typeES8_S8_S8_S8_S8_S8_S8_EEEEZNS1_11reduce_implILb1ES3_PS9_SC_S9_NS6_11hip_rocprim9__find_if7functorIS9_EEEE10hipError_tPvRmT1_T2_T3_mT4_P12ihipStream_tbEUlT_E1_NS1_11comp_targetILNS1_3genE0ELNS1_11target_archE4294967295ELNS1_3gpuE0ELNS1_3repE0EEENS1_30default_config_static_selectorELNS0_4arch9wavefront6targetE1EEEvSK_: ; @_ZN7rocprim17ROCPRIM_400000_NS6detail17trampoline_kernelINS0_14default_configENS1_22reduce_config_selectorIN6thrust23THRUST_200600_302600_NS5tupleIblNS6_9null_typeES8_S8_S8_S8_S8_S8_S8_EEEEZNS1_11reduce_implILb1ES3_PS9_SC_S9_NS6_11hip_rocprim9__find_if7functorIS9_EEEE10hipError_tPvRmT1_T2_T3_mT4_P12ihipStream_tbEUlT_E1_NS1_11comp_targetILNS1_3genE0ELNS1_11target_archE4294967295ELNS1_3gpuE0ELNS1_3repE0EEENS1_30default_config_static_selectorELNS0_4arch9wavefront6targetE1EEEvSK_
; %bb.0:
	.section	.rodata,"a",@progbits
	.p2align	6, 0x0
	.amdhsa_kernel _ZN7rocprim17ROCPRIM_400000_NS6detail17trampoline_kernelINS0_14default_configENS1_22reduce_config_selectorIN6thrust23THRUST_200600_302600_NS5tupleIblNS6_9null_typeES8_S8_S8_S8_S8_S8_S8_EEEEZNS1_11reduce_implILb1ES3_PS9_SC_S9_NS6_11hip_rocprim9__find_if7functorIS9_EEEE10hipError_tPvRmT1_T2_T3_mT4_P12ihipStream_tbEUlT_E1_NS1_11comp_targetILNS1_3genE0ELNS1_11target_archE4294967295ELNS1_3gpuE0ELNS1_3repE0EEENS1_30default_config_static_selectorELNS0_4arch9wavefront6targetE1EEEvSK_
		.amdhsa_group_segment_fixed_size 0
		.amdhsa_private_segment_fixed_size 0
		.amdhsa_kernarg_size 56
		.amdhsa_user_sgpr_count 6
		.amdhsa_user_sgpr_private_segment_buffer 1
		.amdhsa_user_sgpr_dispatch_ptr 0
		.amdhsa_user_sgpr_queue_ptr 0
		.amdhsa_user_sgpr_kernarg_segment_ptr 1
		.amdhsa_user_sgpr_dispatch_id 0
		.amdhsa_user_sgpr_flat_scratch_init 0
		.amdhsa_user_sgpr_kernarg_preload_length 0
		.amdhsa_user_sgpr_kernarg_preload_offset 0
		.amdhsa_user_sgpr_private_segment_size 0
		.amdhsa_uses_dynamic_stack 0
		.amdhsa_system_sgpr_private_segment_wavefront_offset 0
		.amdhsa_system_sgpr_workgroup_id_x 1
		.amdhsa_system_sgpr_workgroup_id_y 0
		.amdhsa_system_sgpr_workgroup_id_z 0
		.amdhsa_system_sgpr_workgroup_info 0
		.amdhsa_system_vgpr_workitem_id 0
		.amdhsa_next_free_vgpr 1
		.amdhsa_next_free_sgpr 0
		.amdhsa_accum_offset 4
		.amdhsa_reserve_vcc 0
		.amdhsa_reserve_flat_scratch 0
		.amdhsa_float_round_mode_32 0
		.amdhsa_float_round_mode_16_64 0
		.amdhsa_float_denorm_mode_32 3
		.amdhsa_float_denorm_mode_16_64 3
		.amdhsa_dx10_clamp 1
		.amdhsa_ieee_mode 1
		.amdhsa_fp16_overflow 0
		.amdhsa_tg_split 0
		.amdhsa_exception_fp_ieee_invalid_op 0
		.amdhsa_exception_fp_denorm_src 0
		.amdhsa_exception_fp_ieee_div_zero 0
		.amdhsa_exception_fp_ieee_overflow 0
		.amdhsa_exception_fp_ieee_underflow 0
		.amdhsa_exception_fp_ieee_inexact 0
		.amdhsa_exception_int_div_zero 0
	.end_amdhsa_kernel
	.section	.text._ZN7rocprim17ROCPRIM_400000_NS6detail17trampoline_kernelINS0_14default_configENS1_22reduce_config_selectorIN6thrust23THRUST_200600_302600_NS5tupleIblNS6_9null_typeES8_S8_S8_S8_S8_S8_S8_EEEEZNS1_11reduce_implILb1ES3_PS9_SC_S9_NS6_11hip_rocprim9__find_if7functorIS9_EEEE10hipError_tPvRmT1_T2_T3_mT4_P12ihipStream_tbEUlT_E1_NS1_11comp_targetILNS1_3genE0ELNS1_11target_archE4294967295ELNS1_3gpuE0ELNS1_3repE0EEENS1_30default_config_static_selectorELNS0_4arch9wavefront6targetE1EEEvSK_,"axG",@progbits,_ZN7rocprim17ROCPRIM_400000_NS6detail17trampoline_kernelINS0_14default_configENS1_22reduce_config_selectorIN6thrust23THRUST_200600_302600_NS5tupleIblNS6_9null_typeES8_S8_S8_S8_S8_S8_S8_EEEEZNS1_11reduce_implILb1ES3_PS9_SC_S9_NS6_11hip_rocprim9__find_if7functorIS9_EEEE10hipError_tPvRmT1_T2_T3_mT4_P12ihipStream_tbEUlT_E1_NS1_11comp_targetILNS1_3genE0ELNS1_11target_archE4294967295ELNS1_3gpuE0ELNS1_3repE0EEENS1_30default_config_static_selectorELNS0_4arch9wavefront6targetE1EEEvSK_,comdat
.Lfunc_end1180:
	.size	_ZN7rocprim17ROCPRIM_400000_NS6detail17trampoline_kernelINS0_14default_configENS1_22reduce_config_selectorIN6thrust23THRUST_200600_302600_NS5tupleIblNS6_9null_typeES8_S8_S8_S8_S8_S8_S8_EEEEZNS1_11reduce_implILb1ES3_PS9_SC_S9_NS6_11hip_rocprim9__find_if7functorIS9_EEEE10hipError_tPvRmT1_T2_T3_mT4_P12ihipStream_tbEUlT_E1_NS1_11comp_targetILNS1_3genE0ELNS1_11target_archE4294967295ELNS1_3gpuE0ELNS1_3repE0EEENS1_30default_config_static_selectorELNS0_4arch9wavefront6targetE1EEEvSK_, .Lfunc_end1180-_ZN7rocprim17ROCPRIM_400000_NS6detail17trampoline_kernelINS0_14default_configENS1_22reduce_config_selectorIN6thrust23THRUST_200600_302600_NS5tupleIblNS6_9null_typeES8_S8_S8_S8_S8_S8_S8_EEEEZNS1_11reduce_implILb1ES3_PS9_SC_S9_NS6_11hip_rocprim9__find_if7functorIS9_EEEE10hipError_tPvRmT1_T2_T3_mT4_P12ihipStream_tbEUlT_E1_NS1_11comp_targetILNS1_3genE0ELNS1_11target_archE4294967295ELNS1_3gpuE0ELNS1_3repE0EEENS1_30default_config_static_selectorELNS0_4arch9wavefront6targetE1EEEvSK_
                                        ; -- End function
	.section	.AMDGPU.csdata,"",@progbits
; Kernel info:
; codeLenInByte = 0
; NumSgprs: 4
; NumVgprs: 0
; NumAgprs: 0
; TotalNumVgprs: 0
; ScratchSize: 0
; MemoryBound: 0
; FloatMode: 240
; IeeeMode: 1
; LDSByteSize: 0 bytes/workgroup (compile time only)
; SGPRBlocks: 0
; VGPRBlocks: 0
; NumSGPRsForWavesPerEU: 4
; NumVGPRsForWavesPerEU: 1
; AccumOffset: 4
; Occupancy: 8
; WaveLimiterHint : 0
; COMPUTE_PGM_RSRC2:SCRATCH_EN: 0
; COMPUTE_PGM_RSRC2:USER_SGPR: 6
; COMPUTE_PGM_RSRC2:TRAP_HANDLER: 0
; COMPUTE_PGM_RSRC2:TGID_X_EN: 1
; COMPUTE_PGM_RSRC2:TGID_Y_EN: 0
; COMPUTE_PGM_RSRC2:TGID_Z_EN: 0
; COMPUTE_PGM_RSRC2:TIDIG_COMP_CNT: 0
; COMPUTE_PGM_RSRC3_GFX90A:ACCUM_OFFSET: 0
; COMPUTE_PGM_RSRC3_GFX90A:TG_SPLIT: 0
	.section	.text._ZN7rocprim17ROCPRIM_400000_NS6detail17trampoline_kernelINS0_14default_configENS1_22reduce_config_selectorIN6thrust23THRUST_200600_302600_NS5tupleIblNS6_9null_typeES8_S8_S8_S8_S8_S8_S8_EEEEZNS1_11reduce_implILb1ES3_PS9_SC_S9_NS6_11hip_rocprim9__find_if7functorIS9_EEEE10hipError_tPvRmT1_T2_T3_mT4_P12ihipStream_tbEUlT_E1_NS1_11comp_targetILNS1_3genE5ELNS1_11target_archE942ELNS1_3gpuE9ELNS1_3repE0EEENS1_30default_config_static_selectorELNS0_4arch9wavefront6targetE1EEEvSK_,"axG",@progbits,_ZN7rocprim17ROCPRIM_400000_NS6detail17trampoline_kernelINS0_14default_configENS1_22reduce_config_selectorIN6thrust23THRUST_200600_302600_NS5tupleIblNS6_9null_typeES8_S8_S8_S8_S8_S8_S8_EEEEZNS1_11reduce_implILb1ES3_PS9_SC_S9_NS6_11hip_rocprim9__find_if7functorIS9_EEEE10hipError_tPvRmT1_T2_T3_mT4_P12ihipStream_tbEUlT_E1_NS1_11comp_targetILNS1_3genE5ELNS1_11target_archE942ELNS1_3gpuE9ELNS1_3repE0EEENS1_30default_config_static_selectorELNS0_4arch9wavefront6targetE1EEEvSK_,comdat
	.protected	_ZN7rocprim17ROCPRIM_400000_NS6detail17trampoline_kernelINS0_14default_configENS1_22reduce_config_selectorIN6thrust23THRUST_200600_302600_NS5tupleIblNS6_9null_typeES8_S8_S8_S8_S8_S8_S8_EEEEZNS1_11reduce_implILb1ES3_PS9_SC_S9_NS6_11hip_rocprim9__find_if7functorIS9_EEEE10hipError_tPvRmT1_T2_T3_mT4_P12ihipStream_tbEUlT_E1_NS1_11comp_targetILNS1_3genE5ELNS1_11target_archE942ELNS1_3gpuE9ELNS1_3repE0EEENS1_30default_config_static_selectorELNS0_4arch9wavefront6targetE1EEEvSK_ ; -- Begin function _ZN7rocprim17ROCPRIM_400000_NS6detail17trampoline_kernelINS0_14default_configENS1_22reduce_config_selectorIN6thrust23THRUST_200600_302600_NS5tupleIblNS6_9null_typeES8_S8_S8_S8_S8_S8_S8_EEEEZNS1_11reduce_implILb1ES3_PS9_SC_S9_NS6_11hip_rocprim9__find_if7functorIS9_EEEE10hipError_tPvRmT1_T2_T3_mT4_P12ihipStream_tbEUlT_E1_NS1_11comp_targetILNS1_3genE5ELNS1_11target_archE942ELNS1_3gpuE9ELNS1_3repE0EEENS1_30default_config_static_selectorELNS0_4arch9wavefront6targetE1EEEvSK_
	.globl	_ZN7rocprim17ROCPRIM_400000_NS6detail17trampoline_kernelINS0_14default_configENS1_22reduce_config_selectorIN6thrust23THRUST_200600_302600_NS5tupleIblNS6_9null_typeES8_S8_S8_S8_S8_S8_S8_EEEEZNS1_11reduce_implILb1ES3_PS9_SC_S9_NS6_11hip_rocprim9__find_if7functorIS9_EEEE10hipError_tPvRmT1_T2_T3_mT4_P12ihipStream_tbEUlT_E1_NS1_11comp_targetILNS1_3genE5ELNS1_11target_archE942ELNS1_3gpuE9ELNS1_3repE0EEENS1_30default_config_static_selectorELNS0_4arch9wavefront6targetE1EEEvSK_
	.p2align	8
	.type	_ZN7rocprim17ROCPRIM_400000_NS6detail17trampoline_kernelINS0_14default_configENS1_22reduce_config_selectorIN6thrust23THRUST_200600_302600_NS5tupleIblNS6_9null_typeES8_S8_S8_S8_S8_S8_S8_EEEEZNS1_11reduce_implILb1ES3_PS9_SC_S9_NS6_11hip_rocprim9__find_if7functorIS9_EEEE10hipError_tPvRmT1_T2_T3_mT4_P12ihipStream_tbEUlT_E1_NS1_11comp_targetILNS1_3genE5ELNS1_11target_archE942ELNS1_3gpuE9ELNS1_3repE0EEENS1_30default_config_static_selectorELNS0_4arch9wavefront6targetE1EEEvSK_,@function
_ZN7rocprim17ROCPRIM_400000_NS6detail17trampoline_kernelINS0_14default_configENS1_22reduce_config_selectorIN6thrust23THRUST_200600_302600_NS5tupleIblNS6_9null_typeES8_S8_S8_S8_S8_S8_S8_EEEEZNS1_11reduce_implILb1ES3_PS9_SC_S9_NS6_11hip_rocprim9__find_if7functorIS9_EEEE10hipError_tPvRmT1_T2_T3_mT4_P12ihipStream_tbEUlT_E1_NS1_11comp_targetILNS1_3genE5ELNS1_11target_archE942ELNS1_3gpuE9ELNS1_3repE0EEENS1_30default_config_static_selectorELNS0_4arch9wavefront6targetE1EEEvSK_: ; @_ZN7rocprim17ROCPRIM_400000_NS6detail17trampoline_kernelINS0_14default_configENS1_22reduce_config_selectorIN6thrust23THRUST_200600_302600_NS5tupleIblNS6_9null_typeES8_S8_S8_S8_S8_S8_S8_EEEEZNS1_11reduce_implILb1ES3_PS9_SC_S9_NS6_11hip_rocprim9__find_if7functorIS9_EEEE10hipError_tPvRmT1_T2_T3_mT4_P12ihipStream_tbEUlT_E1_NS1_11comp_targetILNS1_3genE5ELNS1_11target_archE942ELNS1_3gpuE9ELNS1_3repE0EEENS1_30default_config_static_selectorELNS0_4arch9wavefront6targetE1EEEvSK_
; %bb.0:
	.section	.rodata,"a",@progbits
	.p2align	6, 0x0
	.amdhsa_kernel _ZN7rocprim17ROCPRIM_400000_NS6detail17trampoline_kernelINS0_14default_configENS1_22reduce_config_selectorIN6thrust23THRUST_200600_302600_NS5tupleIblNS6_9null_typeES8_S8_S8_S8_S8_S8_S8_EEEEZNS1_11reduce_implILb1ES3_PS9_SC_S9_NS6_11hip_rocprim9__find_if7functorIS9_EEEE10hipError_tPvRmT1_T2_T3_mT4_P12ihipStream_tbEUlT_E1_NS1_11comp_targetILNS1_3genE5ELNS1_11target_archE942ELNS1_3gpuE9ELNS1_3repE0EEENS1_30default_config_static_selectorELNS0_4arch9wavefront6targetE1EEEvSK_
		.amdhsa_group_segment_fixed_size 0
		.amdhsa_private_segment_fixed_size 0
		.amdhsa_kernarg_size 56
		.amdhsa_user_sgpr_count 6
		.amdhsa_user_sgpr_private_segment_buffer 1
		.amdhsa_user_sgpr_dispatch_ptr 0
		.amdhsa_user_sgpr_queue_ptr 0
		.amdhsa_user_sgpr_kernarg_segment_ptr 1
		.amdhsa_user_sgpr_dispatch_id 0
		.amdhsa_user_sgpr_flat_scratch_init 0
		.amdhsa_user_sgpr_kernarg_preload_length 0
		.amdhsa_user_sgpr_kernarg_preload_offset 0
		.amdhsa_user_sgpr_private_segment_size 0
		.amdhsa_uses_dynamic_stack 0
		.amdhsa_system_sgpr_private_segment_wavefront_offset 0
		.amdhsa_system_sgpr_workgroup_id_x 1
		.amdhsa_system_sgpr_workgroup_id_y 0
		.amdhsa_system_sgpr_workgroup_id_z 0
		.amdhsa_system_sgpr_workgroup_info 0
		.amdhsa_system_vgpr_workitem_id 0
		.amdhsa_next_free_vgpr 1
		.amdhsa_next_free_sgpr 0
		.amdhsa_accum_offset 4
		.amdhsa_reserve_vcc 0
		.amdhsa_reserve_flat_scratch 0
		.amdhsa_float_round_mode_32 0
		.amdhsa_float_round_mode_16_64 0
		.amdhsa_float_denorm_mode_32 3
		.amdhsa_float_denorm_mode_16_64 3
		.amdhsa_dx10_clamp 1
		.amdhsa_ieee_mode 1
		.amdhsa_fp16_overflow 0
		.amdhsa_tg_split 0
		.amdhsa_exception_fp_ieee_invalid_op 0
		.amdhsa_exception_fp_denorm_src 0
		.amdhsa_exception_fp_ieee_div_zero 0
		.amdhsa_exception_fp_ieee_overflow 0
		.amdhsa_exception_fp_ieee_underflow 0
		.amdhsa_exception_fp_ieee_inexact 0
		.amdhsa_exception_int_div_zero 0
	.end_amdhsa_kernel
	.section	.text._ZN7rocprim17ROCPRIM_400000_NS6detail17trampoline_kernelINS0_14default_configENS1_22reduce_config_selectorIN6thrust23THRUST_200600_302600_NS5tupleIblNS6_9null_typeES8_S8_S8_S8_S8_S8_S8_EEEEZNS1_11reduce_implILb1ES3_PS9_SC_S9_NS6_11hip_rocprim9__find_if7functorIS9_EEEE10hipError_tPvRmT1_T2_T3_mT4_P12ihipStream_tbEUlT_E1_NS1_11comp_targetILNS1_3genE5ELNS1_11target_archE942ELNS1_3gpuE9ELNS1_3repE0EEENS1_30default_config_static_selectorELNS0_4arch9wavefront6targetE1EEEvSK_,"axG",@progbits,_ZN7rocprim17ROCPRIM_400000_NS6detail17trampoline_kernelINS0_14default_configENS1_22reduce_config_selectorIN6thrust23THRUST_200600_302600_NS5tupleIblNS6_9null_typeES8_S8_S8_S8_S8_S8_S8_EEEEZNS1_11reduce_implILb1ES3_PS9_SC_S9_NS6_11hip_rocprim9__find_if7functorIS9_EEEE10hipError_tPvRmT1_T2_T3_mT4_P12ihipStream_tbEUlT_E1_NS1_11comp_targetILNS1_3genE5ELNS1_11target_archE942ELNS1_3gpuE9ELNS1_3repE0EEENS1_30default_config_static_selectorELNS0_4arch9wavefront6targetE1EEEvSK_,comdat
.Lfunc_end1181:
	.size	_ZN7rocprim17ROCPRIM_400000_NS6detail17trampoline_kernelINS0_14default_configENS1_22reduce_config_selectorIN6thrust23THRUST_200600_302600_NS5tupleIblNS6_9null_typeES8_S8_S8_S8_S8_S8_S8_EEEEZNS1_11reduce_implILb1ES3_PS9_SC_S9_NS6_11hip_rocprim9__find_if7functorIS9_EEEE10hipError_tPvRmT1_T2_T3_mT4_P12ihipStream_tbEUlT_E1_NS1_11comp_targetILNS1_3genE5ELNS1_11target_archE942ELNS1_3gpuE9ELNS1_3repE0EEENS1_30default_config_static_selectorELNS0_4arch9wavefront6targetE1EEEvSK_, .Lfunc_end1181-_ZN7rocprim17ROCPRIM_400000_NS6detail17trampoline_kernelINS0_14default_configENS1_22reduce_config_selectorIN6thrust23THRUST_200600_302600_NS5tupleIblNS6_9null_typeES8_S8_S8_S8_S8_S8_S8_EEEEZNS1_11reduce_implILb1ES3_PS9_SC_S9_NS6_11hip_rocprim9__find_if7functorIS9_EEEE10hipError_tPvRmT1_T2_T3_mT4_P12ihipStream_tbEUlT_E1_NS1_11comp_targetILNS1_3genE5ELNS1_11target_archE942ELNS1_3gpuE9ELNS1_3repE0EEENS1_30default_config_static_selectorELNS0_4arch9wavefront6targetE1EEEvSK_
                                        ; -- End function
	.section	.AMDGPU.csdata,"",@progbits
; Kernel info:
; codeLenInByte = 0
; NumSgprs: 4
; NumVgprs: 0
; NumAgprs: 0
; TotalNumVgprs: 0
; ScratchSize: 0
; MemoryBound: 0
; FloatMode: 240
; IeeeMode: 1
; LDSByteSize: 0 bytes/workgroup (compile time only)
; SGPRBlocks: 0
; VGPRBlocks: 0
; NumSGPRsForWavesPerEU: 4
; NumVGPRsForWavesPerEU: 1
; AccumOffset: 4
; Occupancy: 8
; WaveLimiterHint : 0
; COMPUTE_PGM_RSRC2:SCRATCH_EN: 0
; COMPUTE_PGM_RSRC2:USER_SGPR: 6
; COMPUTE_PGM_RSRC2:TRAP_HANDLER: 0
; COMPUTE_PGM_RSRC2:TGID_X_EN: 1
; COMPUTE_PGM_RSRC2:TGID_Y_EN: 0
; COMPUTE_PGM_RSRC2:TGID_Z_EN: 0
; COMPUTE_PGM_RSRC2:TIDIG_COMP_CNT: 0
; COMPUTE_PGM_RSRC3_GFX90A:ACCUM_OFFSET: 0
; COMPUTE_PGM_RSRC3_GFX90A:TG_SPLIT: 0
	.section	.text._ZN7rocprim17ROCPRIM_400000_NS6detail17trampoline_kernelINS0_14default_configENS1_22reduce_config_selectorIN6thrust23THRUST_200600_302600_NS5tupleIblNS6_9null_typeES8_S8_S8_S8_S8_S8_S8_EEEEZNS1_11reduce_implILb1ES3_PS9_SC_S9_NS6_11hip_rocprim9__find_if7functorIS9_EEEE10hipError_tPvRmT1_T2_T3_mT4_P12ihipStream_tbEUlT_E1_NS1_11comp_targetILNS1_3genE4ELNS1_11target_archE910ELNS1_3gpuE8ELNS1_3repE0EEENS1_30default_config_static_selectorELNS0_4arch9wavefront6targetE1EEEvSK_,"axG",@progbits,_ZN7rocprim17ROCPRIM_400000_NS6detail17trampoline_kernelINS0_14default_configENS1_22reduce_config_selectorIN6thrust23THRUST_200600_302600_NS5tupleIblNS6_9null_typeES8_S8_S8_S8_S8_S8_S8_EEEEZNS1_11reduce_implILb1ES3_PS9_SC_S9_NS6_11hip_rocprim9__find_if7functorIS9_EEEE10hipError_tPvRmT1_T2_T3_mT4_P12ihipStream_tbEUlT_E1_NS1_11comp_targetILNS1_3genE4ELNS1_11target_archE910ELNS1_3gpuE8ELNS1_3repE0EEENS1_30default_config_static_selectorELNS0_4arch9wavefront6targetE1EEEvSK_,comdat
	.protected	_ZN7rocprim17ROCPRIM_400000_NS6detail17trampoline_kernelINS0_14default_configENS1_22reduce_config_selectorIN6thrust23THRUST_200600_302600_NS5tupleIblNS6_9null_typeES8_S8_S8_S8_S8_S8_S8_EEEEZNS1_11reduce_implILb1ES3_PS9_SC_S9_NS6_11hip_rocprim9__find_if7functorIS9_EEEE10hipError_tPvRmT1_T2_T3_mT4_P12ihipStream_tbEUlT_E1_NS1_11comp_targetILNS1_3genE4ELNS1_11target_archE910ELNS1_3gpuE8ELNS1_3repE0EEENS1_30default_config_static_selectorELNS0_4arch9wavefront6targetE1EEEvSK_ ; -- Begin function _ZN7rocprim17ROCPRIM_400000_NS6detail17trampoline_kernelINS0_14default_configENS1_22reduce_config_selectorIN6thrust23THRUST_200600_302600_NS5tupleIblNS6_9null_typeES8_S8_S8_S8_S8_S8_S8_EEEEZNS1_11reduce_implILb1ES3_PS9_SC_S9_NS6_11hip_rocprim9__find_if7functorIS9_EEEE10hipError_tPvRmT1_T2_T3_mT4_P12ihipStream_tbEUlT_E1_NS1_11comp_targetILNS1_3genE4ELNS1_11target_archE910ELNS1_3gpuE8ELNS1_3repE0EEENS1_30default_config_static_selectorELNS0_4arch9wavefront6targetE1EEEvSK_
	.globl	_ZN7rocprim17ROCPRIM_400000_NS6detail17trampoline_kernelINS0_14default_configENS1_22reduce_config_selectorIN6thrust23THRUST_200600_302600_NS5tupleIblNS6_9null_typeES8_S8_S8_S8_S8_S8_S8_EEEEZNS1_11reduce_implILb1ES3_PS9_SC_S9_NS6_11hip_rocprim9__find_if7functorIS9_EEEE10hipError_tPvRmT1_T2_T3_mT4_P12ihipStream_tbEUlT_E1_NS1_11comp_targetILNS1_3genE4ELNS1_11target_archE910ELNS1_3gpuE8ELNS1_3repE0EEENS1_30default_config_static_selectorELNS0_4arch9wavefront6targetE1EEEvSK_
	.p2align	8
	.type	_ZN7rocprim17ROCPRIM_400000_NS6detail17trampoline_kernelINS0_14default_configENS1_22reduce_config_selectorIN6thrust23THRUST_200600_302600_NS5tupleIblNS6_9null_typeES8_S8_S8_S8_S8_S8_S8_EEEEZNS1_11reduce_implILb1ES3_PS9_SC_S9_NS6_11hip_rocprim9__find_if7functorIS9_EEEE10hipError_tPvRmT1_T2_T3_mT4_P12ihipStream_tbEUlT_E1_NS1_11comp_targetILNS1_3genE4ELNS1_11target_archE910ELNS1_3gpuE8ELNS1_3repE0EEENS1_30default_config_static_selectorELNS0_4arch9wavefront6targetE1EEEvSK_,@function
_ZN7rocprim17ROCPRIM_400000_NS6detail17trampoline_kernelINS0_14default_configENS1_22reduce_config_selectorIN6thrust23THRUST_200600_302600_NS5tupleIblNS6_9null_typeES8_S8_S8_S8_S8_S8_S8_EEEEZNS1_11reduce_implILb1ES3_PS9_SC_S9_NS6_11hip_rocprim9__find_if7functorIS9_EEEE10hipError_tPvRmT1_T2_T3_mT4_P12ihipStream_tbEUlT_E1_NS1_11comp_targetILNS1_3genE4ELNS1_11target_archE910ELNS1_3gpuE8ELNS1_3repE0EEENS1_30default_config_static_selectorELNS0_4arch9wavefront6targetE1EEEvSK_: ; @_ZN7rocprim17ROCPRIM_400000_NS6detail17trampoline_kernelINS0_14default_configENS1_22reduce_config_selectorIN6thrust23THRUST_200600_302600_NS5tupleIblNS6_9null_typeES8_S8_S8_S8_S8_S8_S8_EEEEZNS1_11reduce_implILb1ES3_PS9_SC_S9_NS6_11hip_rocprim9__find_if7functorIS9_EEEE10hipError_tPvRmT1_T2_T3_mT4_P12ihipStream_tbEUlT_E1_NS1_11comp_targetILNS1_3genE4ELNS1_11target_archE910ELNS1_3gpuE8ELNS1_3repE0EEENS1_30default_config_static_selectorELNS0_4arch9wavefront6targetE1EEEvSK_
; %bb.0:
	s_load_dword s29, s[4:5], 0x4
	s_load_dwordx4 s[20:23], s[4:5], 0x8
	s_load_dword s28, s[4:5], 0x20
	s_load_dwordx2 s[18:19], s[4:5], 0x28
	s_waitcnt lgkmcnt(0)
	s_cmp_lt_i32 s29, 4
	s_cbranch_scc1 .LBB1182_23
; %bb.1:
	s_cmp_gt_i32 s29, 7
	s_cbranch_scc0 .LBB1182_24
; %bb.2:
	s_cmp_eq_u32 s29, 8
	s_mov_b64 s[24:25], 0
	s_cbranch_scc0 .LBB1182_25
; %bb.3:
	s_mov_b32 s7, 0
	s_lshl_b32 s2, s6, 11
	s_mov_b32 s3, s7
	s_lshr_b64 s[0:1], s[22:23], 11
	s_lshl_b64 s[8:9], s[2:3], 4
	s_add_u32 s16, s20, s8
	s_addc_u32 s17, s21, s9
	s_cmp_lg_u64 s[0:1], s[6:7]
	s_cbranch_scc0 .LBB1182_48
; %bb.4:
	v_lshlrev_b32_e32 v1, 4, v0
	v_mov_b32_e32 v2, s17
	v_add_co_u32_e32 v14, vcc, s16, v1
	v_addc_co_u32_e32 v15, vcc, 0, v2, vcc
	v_add_co_u32_e32 v2, vcc, 0x1000, v14
	v_addc_co_u32_e32 v3, vcc, 0, v15, vcc
	;; [unrolled: 2-line block ×3, first 2 shown]
	global_load_ubyte v24, v1, s[16:17]
	global_load_ubyte v23, v[2:3], off
	global_load_dwordx2 v[12:13], v[2:3], off offset:8
	global_load_ubyte v22, v[4:5], off
	v_add_co_u32_e32 v2, vcc, 0x3000, v14
	v_addc_co_u32_e32 v3, vcc, 0, v15, vcc
	v_add_co_u32_e32 v26, vcc, 0x4000, v14
	v_addc_co_u32_e32 v27, vcc, 0, v15, vcc
	global_load_dwordx2 v[16:17], v[4:5], off offset:8
	global_load_ubyte v21, v[2:3], off
	global_load_dwordx2 v[8:9], v[2:3], off offset:8
	global_load_ubyte v20, v[26:27], off
	v_add_co_u32_e32 v2, vcc, 0x5000, v14
	v_addc_co_u32_e32 v3, vcc, 0, v15, vcc
	v_add_co_u32_e32 v28, vcc, 0x6000, v14
	v_addc_co_u32_e32 v29, vcc, 0, v15, vcc
	global_load_dwordx2 v[10:11], v[26:27], off offset:8
	global_load_ubyte v19, v[2:3], off
	global_load_dwordx2 v[6:7], v[2:3], off offset:8
	global_load_ubyte v18, v[28:29], off
	v_add_co_u32_e32 v26, vcc, 0x7000, v14
	v_addc_co_u32_e32 v27, vcc, 0, v15, vcc
	global_load_dwordx2 v[4:5], v[28:29], off offset:8
	global_load_ubyte v1, v[26:27], off
	global_load_dwordx2 v[2:3], v[26:27], off offset:8
	s_waitcnt vmcnt(14)
	v_and_b32_e32 v25, 1, v24
	v_cmp_eq_u32_e32 vcc, 1, v25
	s_and_saveexec_b64 s[8:9], vcc
	s_cbranch_execz .LBB1182_6
; %bb.5:
	global_load_dwordx2 v[14:15], v[14:15], off offset:8
	s_waitcnt vmcnt(14)
	v_and_b32_e32 v23, 1, v23
	v_cmp_eq_u32_e32 vcc, 1, v23
	v_cndmask_b32_e64 v23, v24, 1, vcc
	s_waitcnt vmcnt(0)
	v_cmp_lt_i64_e64 s[0:1], v[12:13], v[14:15]
	v_cndmask_b32_e64 v13, v15, v13, s[0:1]
	v_cndmask_b32_e32 v13, v15, v13, vcc
	s_and_b64 vcc, vcc, s[0:1]
	v_cndmask_b32_e32 v12, v14, v12, vcc
.LBB1182_6:
	s_or_b64 exec, exec, s[8:9]
	s_waitcnt vmcnt(11)
	v_and_b32_e32 v15, 1, v22
	s_waitcnt vmcnt(10)
	v_cmp_lt_i64_e32 vcc, v[16:17], v[12:13]
	v_cmp_eq_u32_e64 s[0:1], 1, v15
	v_and_b32_e32 v14, 1, v23
	s_and_b64 vcc, s[0:1], vcc
	v_cndmask_b32_e32 v12, v12, v16, vcc
	v_cndmask_b32_e32 v13, v13, v17, vcc
	v_cmp_eq_u32_e32 vcc, 1, v14
	v_cndmask_b32_e64 v15, v23, 1, s[0:1]
	v_cndmask_b32_e32 v13, v17, v13, vcc
	v_cndmask_b32_e32 v12, v16, v12, vcc
	s_waitcnt vmcnt(9)
	v_and_b32_e32 v16, 1, v21
	v_cndmask_b32_e32 v14, v22, v15, vcc
	s_waitcnt vmcnt(8)
	v_cmp_lt_i64_e32 vcc, v[8:9], v[12:13]
	v_cmp_eq_u32_e64 s[0:1], 1, v16
	v_and_b32_e32 v15, 1, v14
	s_and_b64 vcc, s[0:1], vcc
	v_cndmask_b32_e32 v12, v12, v8, vcc
	v_cndmask_b32_e32 v13, v13, v9, vcc
	v_cmp_eq_u32_e32 vcc, 1, v15
	v_cndmask_b32_e64 v14, v14, 1, s[0:1]
	v_cndmask_b32_e32 v9, v9, v13, vcc
	v_cndmask_b32_e32 v8, v8, v12, vcc
	s_waitcnt vmcnt(7)
	v_and_b32_e32 v13, 1, v20
	v_cndmask_b32_e32 v14, v21, v14, vcc
	;; [unrolled: 14-line block ×5, first 2 shown]
	s_waitcnt vmcnt(0)
	v_cmp_lt_i64_e32 vcc, v[2:3], v[4:5]
	v_cmp_eq_u32_e64 s[0:1], 1, v7
	v_and_b32_e32 v6, 1, v8
	s_and_b64 vcc, s[0:1], vcc
	v_cndmask_b32_e64 v7, v8, 1, s[0:1]
	v_cndmask_b32_e32 v4, v4, v2, vcc
	v_cndmask_b32_e32 v5, v5, v3, vcc
	v_cmp_eq_u32_e32 vcc, 1, v6
	v_cndmask_b32_e32 v7, v1, v7, vcc
	v_and_b32_e32 v1, 0xff, v7
	v_cndmask_b32_e32 v3, v3, v5, vcc
	v_cndmask_b32_e32 v2, v2, v4, vcc
	v_mov_b32_dpp v6, v1 quad_perm:[1,0,3,2] row_mask:0xf bank_mask:0xf bound_ctrl:1
	v_and_b32_e32 v8, 1, v6
	v_and_b32_e32 v7, 1, v7
	v_mov_b32_dpp v4, v2 quad_perm:[1,0,3,2] row_mask:0xf bank_mask:0xf bound_ctrl:1
	v_mov_b32_dpp v5, v3 quad_perm:[1,0,3,2] row_mask:0xf bank_mask:0xf bound_ctrl:1
	v_cmp_eq_u32_e32 vcc, 1, v8
	v_cmp_eq_u32_e64 s[0:1], 1, v7
	s_and_saveexec_b64 s[8:9], vcc
	s_xor_b64 s[8:9], exec, s[8:9]
; %bb.7:
	v_cmp_lt_i64_e32 vcc, v[2:3], v[4:5]
	v_cndmask_b32_e64 v6, v6, 1, s[0:1]
	s_and_b64 vcc, s[0:1], vcc
	v_cndmask_b32_e32 v2, v4, v2, vcc
	v_and_b32_e32 v4, 1, v6
	v_cndmask_b32_e32 v3, v5, v3, vcc
	v_cmp_eq_u32_e32 vcc, 1, v4
	s_andn2_b64 s[0:1], s[0:1], exec
	s_and_b64 s[10:11], vcc, exec
	v_and_b32_e32 v1, 0xff, v6
	s_or_b64 s[0:1], s[0:1], s[10:11]
; %bb.8:
	s_or_b64 exec, exec, s[8:9]
	v_mov_b32_dpp v6, v1 quad_perm:[2,3,0,1] row_mask:0xf bank_mask:0xf bound_ctrl:1
	v_and_b32_e32 v7, 1, v6
	v_mov_b32_dpp v4, v2 quad_perm:[2,3,0,1] row_mask:0xf bank_mask:0xf bound_ctrl:1
	v_mov_b32_dpp v5, v3 quad_perm:[2,3,0,1] row_mask:0xf bank_mask:0xf bound_ctrl:1
	v_cmp_eq_u32_e32 vcc, 1, v7
	s_and_saveexec_b64 s[8:9], vcc
; %bb.9:
	v_cmp_lt_i64_e32 vcc, v[2:3], v[4:5]
	v_cndmask_b32_e64 v6, v6, 1, s[0:1]
	s_and_b64 vcc, s[0:1], vcc
	v_cndmask_b32_e32 v2, v4, v2, vcc
	v_and_b32_e32 v4, 1, v6
	v_cndmask_b32_e32 v3, v5, v3, vcc
	v_cmp_eq_u32_e32 vcc, 1, v4
	s_andn2_b64 s[0:1], s[0:1], exec
	s_and_b64 s[10:11], vcc, exec
	v_and_b32_e32 v1, 0xff, v6
	s_or_b64 s[0:1], s[0:1], s[10:11]
; %bb.10:
	s_or_b64 exec, exec, s[8:9]
	v_mov_b32_dpp v6, v1 row_ror:4 row_mask:0xf bank_mask:0xf bound_ctrl:1
	v_and_b32_e32 v7, 1, v6
	v_mov_b32_dpp v4, v2 row_ror:4 row_mask:0xf bank_mask:0xf bound_ctrl:1
	v_mov_b32_dpp v5, v3 row_ror:4 row_mask:0xf bank_mask:0xf bound_ctrl:1
	v_cmp_eq_u32_e32 vcc, 1, v7
	s_and_saveexec_b64 s[8:9], vcc
; %bb.11:
	v_cmp_lt_i64_e32 vcc, v[2:3], v[4:5]
	v_cndmask_b32_e64 v6, v6, 1, s[0:1]
	s_and_b64 vcc, s[0:1], vcc
	v_cndmask_b32_e32 v2, v4, v2, vcc
	v_and_b32_e32 v4, 1, v6
	v_cndmask_b32_e32 v3, v5, v3, vcc
	v_cmp_eq_u32_e32 vcc, 1, v4
	s_andn2_b64 s[0:1], s[0:1], exec
	s_and_b64 s[10:11], vcc, exec
	v_and_b32_e32 v1, 0xff, v6
	s_or_b64 s[0:1], s[0:1], s[10:11]
; %bb.12:
	s_or_b64 exec, exec, s[8:9]
	v_mov_b32_dpp v6, v1 row_ror:8 row_mask:0xf bank_mask:0xf bound_ctrl:1
	v_and_b32_e32 v7, 1, v6
	v_mov_b32_dpp v4, v2 row_ror:8 row_mask:0xf bank_mask:0xf bound_ctrl:1
	v_mov_b32_dpp v5, v3 row_ror:8 row_mask:0xf bank_mask:0xf bound_ctrl:1
	v_cmp_eq_u32_e32 vcc, 1, v7
	s_and_saveexec_b64 s[8:9], vcc
; %bb.13:
	v_cmp_lt_i64_e32 vcc, v[2:3], v[4:5]
	v_cndmask_b32_e64 v6, v6, 1, s[0:1]
	s_and_b64 vcc, s[0:1], vcc
	v_cndmask_b32_e32 v2, v4, v2, vcc
	v_and_b32_e32 v4, 1, v6
	v_cndmask_b32_e32 v3, v5, v3, vcc
	v_cmp_eq_u32_e32 vcc, 1, v4
	s_andn2_b64 s[0:1], s[0:1], exec
	s_and_b64 s[10:11], vcc, exec
	v_and_b32_e32 v1, 0xff, v6
	s_or_b64 s[0:1], s[0:1], s[10:11]
; %bb.14:
	s_or_b64 exec, exec, s[8:9]
	v_mov_b32_dpp v6, v1 row_bcast:15 row_mask:0xf bank_mask:0xf bound_ctrl:1
	v_and_b32_e32 v7, 1, v6
	v_mov_b32_dpp v4, v2 row_bcast:15 row_mask:0xf bank_mask:0xf bound_ctrl:1
	v_mov_b32_dpp v5, v3 row_bcast:15 row_mask:0xf bank_mask:0xf bound_ctrl:1
	v_cmp_eq_u32_e32 vcc, 1, v7
	s_and_saveexec_b64 s[8:9], vcc
; %bb.15:
	v_cmp_lt_i64_e32 vcc, v[2:3], v[4:5]
	v_cndmask_b32_e64 v6, v6, 1, s[0:1]
	s_and_b64 vcc, s[0:1], vcc
	v_cndmask_b32_e32 v2, v4, v2, vcc
	v_and_b32_e32 v4, 1, v6
	v_cndmask_b32_e32 v3, v5, v3, vcc
	v_cmp_eq_u32_e32 vcc, 1, v4
	s_andn2_b64 s[0:1], s[0:1], exec
	s_and_b64 s[10:11], vcc, exec
	v_and_b32_e32 v1, 0xff, v6
	s_or_b64 s[0:1], s[0:1], s[10:11]
; %bb.16:
	s_or_b64 exec, exec, s[8:9]
	v_mov_b32_dpp v6, v1 row_bcast:31 row_mask:0xf bank_mask:0xf bound_ctrl:1
	v_and_b32_e32 v7, 1, v6
	v_mov_b32_dpp v4, v2 row_bcast:31 row_mask:0xf bank_mask:0xf bound_ctrl:1
	v_mov_b32_dpp v5, v3 row_bcast:31 row_mask:0xf bank_mask:0xf bound_ctrl:1
	v_cmp_eq_u32_e32 vcc, 1, v7
	s_and_saveexec_b64 s[8:9], vcc
; %bb.17:
	v_cmp_lt_i64_e32 vcc, v[2:3], v[4:5]
	v_and_b32_e32 v1, 0xff, v6
	s_and_b64 vcc, s[0:1], vcc
	v_cndmask_b32_e32 v2, v4, v2, vcc
	v_cndmask_b32_e32 v3, v5, v3, vcc
	v_cndmask_b32_e64 v1, v1, 1, s[0:1]
; %bb.18:
	s_or_b64 exec, exec, s[8:9]
	v_mbcnt_lo_u32_b32 v4, -1, 0
	v_mbcnt_hi_u32_b32 v4, -1, v4
	v_bfrev_b32_e32 v5, 0.5
	v_lshl_or_b32 v5, v4, 2, v5
	ds_bpermute_b32 v6, v5, v1
	ds_bpermute_b32 v2, v5, v2
	;; [unrolled: 1-line block ×3, first 2 shown]
	v_cmp_eq_u32_e32 vcc, 0, v4
	s_and_saveexec_b64 s[0:1], vcc
	s_cbranch_execz .LBB1182_20
; %bb.19:
	v_lshrrev_b32_e32 v1, 2, v0
	v_and_b32_e32 v1, 48, v1
	s_waitcnt lgkmcnt(2)
	ds_write_b8 v1, v6 offset:192
	s_waitcnt lgkmcnt(1)
	ds_write_b64 v1, v[2:3] offset:200
.LBB1182_20:
	s_or_b64 exec, exec, s[0:1]
	v_cmp_gt_u32_e32 vcc, 64, v0
	s_waitcnt lgkmcnt(0)
	s_barrier
	s_and_saveexec_b64 s[8:9], vcc
	s_cbranch_execz .LBB1182_22
; %bb.21:
	v_and_b32_e32 v1, 3, v4
	v_lshlrev_b32_e32 v2, 4, v1
	ds_read_u8 v5, v2 offset:192
	ds_read_b64 v[2:3], v2 offset:200
	v_cmp_ne_u32_e32 vcc, 3, v1
	v_addc_co_u32_e32 v6, vcc, 0, v4, vcc
	s_waitcnt lgkmcnt(1)
	v_and_b32_e32 v7, 0xff, v5
	v_lshlrev_b32_e32 v8, 2, v6
	ds_bpermute_b32 v9, v8, v7
	s_waitcnt lgkmcnt(1)
	ds_bpermute_b32 v6, v8, v2
	ds_bpermute_b32 v7, v8, v3
	v_and_b32_e32 v8, 1, v5
	s_waitcnt lgkmcnt(2)
	v_and_b32_e32 v10, 1, v9
	v_cmp_eq_u32_e64 s[0:1], 1, v10
	s_waitcnt lgkmcnt(0)
	v_cmp_lt_i64_e32 vcc, v[6:7], v[2:3]
	s_and_b64 vcc, s[0:1], vcc
	v_cndmask_b32_e64 v5, v5, 1, s[0:1]
	v_cndmask_b32_e32 v2, v2, v6, vcc
	v_cndmask_b32_e32 v3, v3, v7, vcc
	v_cmp_eq_u32_e32 vcc, 1, v8
	v_cndmask_b32_e32 v8, v9, v5, vcc
	v_cndmask_b32_e32 v3, v7, v3, vcc
	;; [unrolled: 1-line block ×3, first 2 shown]
	v_cmp_gt_u32_e32 vcc, 2, v1
	v_cndmask_b32_e64 v1, 0, 1, vcc
	v_lshlrev_b32_e32 v1, 1, v1
	v_and_b32_e32 v5, 0xff, v8
	v_add_lshl_u32 v1, v1, v4, 2
	ds_bpermute_b32 v6, v1, v5
	ds_bpermute_b32 v4, v1, v2
	;; [unrolled: 1-line block ×3, first 2 shown]
	v_and_b32_e32 v1, 1, v8
	s_waitcnt lgkmcnt(2)
	v_and_b32_e32 v7, 1, v6
	v_cmp_eq_u32_e64 s[0:1], 1, v7
	s_waitcnt lgkmcnt(0)
	v_cmp_lt_i64_e32 vcc, v[4:5], v[2:3]
	s_and_b64 vcc, s[0:1], vcc
	v_cndmask_b32_e64 v7, v8, 1, s[0:1]
	v_cndmask_b32_e32 v2, v2, v4, vcc
	v_cndmask_b32_e32 v3, v3, v5, vcc
	v_cmp_eq_u32_e32 vcc, 1, v1
	v_cndmask_b32_e32 v1, v6, v7, vcc
	v_cndmask_b32_e32 v3, v5, v3, vcc
	;; [unrolled: 1-line block ×3, first 2 shown]
	v_and_b32_e32 v6, 0xff, v1
.LBB1182_22:
	s_or_b64 exec, exec, s[8:9]
	s_branch .LBB1182_93
.LBB1182_23:
	s_mov_b64 s[10:11], 0
                                        ; implicit-def: $vgpr4_vgpr5
                                        ; implicit-def: $vgpr1
	s_cbranch_execnz .LBB1182_137
	s_branch .LBB1182_214
.LBB1182_24:
	s_mov_b64 s[24:25], -1
.LBB1182_25:
	s_mov_b64 s[10:11], 0
                                        ; implicit-def: $vgpr4_vgpr5
                                        ; implicit-def: $vgpr1
	s_and_b64 vcc, exec, s[24:25]
	s_cbranch_vccz .LBB1182_98
.LBB1182_26:
	s_cmp_eq_u32 s29, 4
	s_cbranch_scc0 .LBB1182_47
; %bb.27:
	s_mov_b32 s7, 0
	s_lshl_b32 s2, s6, 10
	s_mov_b32 s3, s7
	s_lshr_b64 s[0:1], s[22:23], 10
	s_lshl_b64 s[8:9], s[2:3], 4
	s_add_u32 s8, s20, s8
	s_addc_u32 s9, s21, s9
	s_cmp_lg_u64 s[0:1], s[6:7]
	s_cbranch_scc0 .LBB1182_99
; %bb.28:
	s_waitcnt lgkmcnt(2)
	v_lshlrev_b32_e32 v1, 4, v0
	v_mov_b32_e32 v2, s9
	v_add_co_u32_e32 v8, vcc, s8, v1
	v_addc_co_u32_e32 v9, vcc, 0, v2, vcc
	v_add_co_u32_e32 v2, vcc, 0x1000, v8
	v_addc_co_u32_e32 v3, vcc, 0, v9, vcc
	v_add_co_u32_e32 v14, vcc, 0x2000, v8
	v_addc_co_u32_e32 v15, vcc, 0, v9, vcc
	v_add_co_u32_e32 v16, vcc, 0x3000, v8
	global_load_ubyte v12, v1, s[8:9]
	global_load_ubyte v11, v[2:3], off
	s_waitcnt lgkmcnt(0)
	global_load_dwordx2 v[4:5], v[2:3], off offset:8
	global_load_ubyte v10, v[14:15], off
	v_addc_co_u32_e32 v17, vcc, 0, v9, vcc
	global_load_dwordx2 v[6:7], v[14:15], off offset:8
	global_load_ubyte v1, v[16:17], off
	global_load_dwordx2 v[2:3], v[16:17], off offset:8
	s_waitcnt vmcnt(6)
	v_and_b32_e32 v13, 1, v12
	v_cmp_eq_u32_e32 vcc, 1, v13
	s_and_saveexec_b64 s[12:13], vcc
	s_cbranch_execz .LBB1182_30
; %bb.29:
	global_load_dwordx2 v[8:9], v[8:9], off offset:8
	s_waitcnt vmcnt(6)
	v_and_b32_e32 v11, 1, v11
	v_cmp_eq_u32_e32 vcc, 1, v11
	v_cndmask_b32_e64 v11, v12, 1, vcc
	s_waitcnt vmcnt(0)
	v_cmp_lt_i64_e64 s[0:1], v[4:5], v[8:9]
	v_cndmask_b32_e64 v5, v9, v5, s[0:1]
	v_cndmask_b32_e32 v5, v9, v5, vcc
	s_and_b64 vcc, vcc, s[0:1]
	v_cndmask_b32_e32 v4, v8, v4, vcc
.LBB1182_30:
	s_or_b64 exec, exec, s[12:13]
	s_waitcnt vmcnt(3)
	v_and_b32_e32 v9, 1, v10
	s_waitcnt vmcnt(2)
	v_cmp_lt_i64_e32 vcc, v[6:7], v[4:5]
	v_cmp_eq_u32_e64 s[0:1], 1, v9
	v_and_b32_e32 v8, 1, v11
	s_and_b64 vcc, s[0:1], vcc
	v_cndmask_b32_e32 v4, v4, v6, vcc
	v_cndmask_b32_e32 v5, v5, v7, vcc
	v_cmp_eq_u32_e32 vcc, 1, v8
	v_cndmask_b32_e64 v9, v11, 1, s[0:1]
	v_cndmask_b32_e32 v5, v7, v5, vcc
	v_cndmask_b32_e32 v4, v6, v4, vcc
	s_waitcnt vmcnt(1)
	v_and_b32_e32 v7, 1, v1
	v_cndmask_b32_e32 v8, v10, v9, vcc
	s_waitcnt vmcnt(0)
	v_cmp_lt_i64_e32 vcc, v[2:3], v[4:5]
	v_cmp_eq_u32_e64 s[0:1], 1, v7
	v_and_b32_e32 v6, 1, v8
	s_and_b64 vcc, s[0:1], vcc
	v_cndmask_b32_e64 v7, v8, 1, s[0:1]
	v_cndmask_b32_e32 v4, v4, v2, vcc
	v_cndmask_b32_e32 v5, v5, v3, vcc
	v_cmp_eq_u32_e32 vcc, 1, v6
	v_cndmask_b32_e32 v7, v1, v7, vcc
	v_and_b32_e32 v1, 0xff, v7
	v_cndmask_b32_e32 v3, v3, v5, vcc
	v_cndmask_b32_e32 v2, v2, v4, vcc
	v_mov_b32_dpp v6, v1 quad_perm:[1,0,3,2] row_mask:0xf bank_mask:0xf bound_ctrl:1
	v_and_b32_e32 v8, 1, v6
	v_and_b32_e32 v7, 1, v7
	v_mov_b32_dpp v4, v2 quad_perm:[1,0,3,2] row_mask:0xf bank_mask:0xf bound_ctrl:1
	v_mov_b32_dpp v5, v3 quad_perm:[1,0,3,2] row_mask:0xf bank_mask:0xf bound_ctrl:1
	v_cmp_eq_u32_e32 vcc, 1, v8
	v_cmp_eq_u32_e64 s[0:1], 1, v7
	s_and_saveexec_b64 s[12:13], vcc
	s_xor_b64 s[12:13], exec, s[12:13]
; %bb.31:
	v_cmp_lt_i64_e32 vcc, v[2:3], v[4:5]
	v_cndmask_b32_e64 v6, v6, 1, s[0:1]
	s_and_b64 vcc, s[0:1], vcc
	v_cndmask_b32_e32 v2, v4, v2, vcc
	v_and_b32_e32 v4, 1, v6
	v_cndmask_b32_e32 v3, v5, v3, vcc
	v_cmp_eq_u32_e32 vcc, 1, v4
	s_andn2_b64 s[0:1], s[0:1], exec
	s_and_b64 s[14:15], vcc, exec
	v_and_b32_e32 v1, 0xff, v6
	s_or_b64 s[0:1], s[0:1], s[14:15]
; %bb.32:
	s_or_b64 exec, exec, s[12:13]
	v_mov_b32_dpp v6, v1 quad_perm:[2,3,0,1] row_mask:0xf bank_mask:0xf bound_ctrl:1
	v_and_b32_e32 v7, 1, v6
	v_mov_b32_dpp v4, v2 quad_perm:[2,3,0,1] row_mask:0xf bank_mask:0xf bound_ctrl:1
	v_mov_b32_dpp v5, v3 quad_perm:[2,3,0,1] row_mask:0xf bank_mask:0xf bound_ctrl:1
	v_cmp_eq_u32_e32 vcc, 1, v7
	s_and_saveexec_b64 s[12:13], vcc
; %bb.33:
	v_cmp_lt_i64_e32 vcc, v[2:3], v[4:5]
	v_cndmask_b32_e64 v6, v6, 1, s[0:1]
	s_and_b64 vcc, s[0:1], vcc
	v_cndmask_b32_e32 v2, v4, v2, vcc
	v_and_b32_e32 v4, 1, v6
	v_cndmask_b32_e32 v3, v5, v3, vcc
	v_cmp_eq_u32_e32 vcc, 1, v4
	s_andn2_b64 s[0:1], s[0:1], exec
	s_and_b64 s[14:15], vcc, exec
	v_and_b32_e32 v1, 0xff, v6
	s_or_b64 s[0:1], s[0:1], s[14:15]
; %bb.34:
	s_or_b64 exec, exec, s[12:13]
	v_mov_b32_dpp v6, v1 row_ror:4 row_mask:0xf bank_mask:0xf bound_ctrl:1
	v_and_b32_e32 v7, 1, v6
	v_mov_b32_dpp v4, v2 row_ror:4 row_mask:0xf bank_mask:0xf bound_ctrl:1
	v_mov_b32_dpp v5, v3 row_ror:4 row_mask:0xf bank_mask:0xf bound_ctrl:1
	v_cmp_eq_u32_e32 vcc, 1, v7
	s_and_saveexec_b64 s[12:13], vcc
; %bb.35:
	v_cmp_lt_i64_e32 vcc, v[2:3], v[4:5]
	v_cndmask_b32_e64 v6, v6, 1, s[0:1]
	s_and_b64 vcc, s[0:1], vcc
	v_cndmask_b32_e32 v2, v4, v2, vcc
	v_and_b32_e32 v4, 1, v6
	v_cndmask_b32_e32 v3, v5, v3, vcc
	v_cmp_eq_u32_e32 vcc, 1, v4
	s_andn2_b64 s[0:1], s[0:1], exec
	s_and_b64 s[14:15], vcc, exec
	v_and_b32_e32 v1, 0xff, v6
	s_or_b64 s[0:1], s[0:1], s[14:15]
; %bb.36:
	s_or_b64 exec, exec, s[12:13]
	v_mov_b32_dpp v6, v1 row_ror:8 row_mask:0xf bank_mask:0xf bound_ctrl:1
	v_and_b32_e32 v7, 1, v6
	v_mov_b32_dpp v4, v2 row_ror:8 row_mask:0xf bank_mask:0xf bound_ctrl:1
	v_mov_b32_dpp v5, v3 row_ror:8 row_mask:0xf bank_mask:0xf bound_ctrl:1
	v_cmp_eq_u32_e32 vcc, 1, v7
	s_and_saveexec_b64 s[12:13], vcc
; %bb.37:
	v_cmp_lt_i64_e32 vcc, v[2:3], v[4:5]
	v_cndmask_b32_e64 v6, v6, 1, s[0:1]
	s_and_b64 vcc, s[0:1], vcc
	v_cndmask_b32_e32 v2, v4, v2, vcc
	v_and_b32_e32 v4, 1, v6
	v_cndmask_b32_e32 v3, v5, v3, vcc
	v_cmp_eq_u32_e32 vcc, 1, v4
	s_andn2_b64 s[0:1], s[0:1], exec
	s_and_b64 s[14:15], vcc, exec
	v_and_b32_e32 v1, 0xff, v6
	s_or_b64 s[0:1], s[0:1], s[14:15]
; %bb.38:
	s_or_b64 exec, exec, s[12:13]
	v_mov_b32_dpp v6, v1 row_bcast:15 row_mask:0xf bank_mask:0xf bound_ctrl:1
	v_and_b32_e32 v7, 1, v6
	v_mov_b32_dpp v4, v2 row_bcast:15 row_mask:0xf bank_mask:0xf bound_ctrl:1
	v_mov_b32_dpp v5, v3 row_bcast:15 row_mask:0xf bank_mask:0xf bound_ctrl:1
	v_cmp_eq_u32_e32 vcc, 1, v7
	s_and_saveexec_b64 s[12:13], vcc
; %bb.39:
	v_cmp_lt_i64_e32 vcc, v[2:3], v[4:5]
	v_cndmask_b32_e64 v6, v6, 1, s[0:1]
	s_and_b64 vcc, s[0:1], vcc
	v_cndmask_b32_e32 v2, v4, v2, vcc
	v_and_b32_e32 v4, 1, v6
	v_cndmask_b32_e32 v3, v5, v3, vcc
	v_cmp_eq_u32_e32 vcc, 1, v4
	s_andn2_b64 s[0:1], s[0:1], exec
	s_and_b64 s[14:15], vcc, exec
	v_and_b32_e32 v1, 0xff, v6
	s_or_b64 s[0:1], s[0:1], s[14:15]
; %bb.40:
	s_or_b64 exec, exec, s[12:13]
	v_mov_b32_dpp v6, v1 row_bcast:31 row_mask:0xf bank_mask:0xf bound_ctrl:1
	v_and_b32_e32 v7, 1, v6
	v_mov_b32_dpp v4, v2 row_bcast:31 row_mask:0xf bank_mask:0xf bound_ctrl:1
	v_mov_b32_dpp v5, v3 row_bcast:31 row_mask:0xf bank_mask:0xf bound_ctrl:1
	v_cmp_eq_u32_e32 vcc, 1, v7
	s_and_saveexec_b64 s[12:13], vcc
; %bb.41:
	v_cmp_lt_i64_e32 vcc, v[2:3], v[4:5]
	v_and_b32_e32 v1, 0xff, v6
	s_and_b64 vcc, s[0:1], vcc
	v_cndmask_b32_e32 v2, v4, v2, vcc
	v_cndmask_b32_e32 v3, v5, v3, vcc
	v_cndmask_b32_e64 v1, v1, 1, s[0:1]
; %bb.42:
	s_or_b64 exec, exec, s[12:13]
	v_mbcnt_lo_u32_b32 v4, -1, 0
	v_mbcnt_hi_u32_b32 v4, -1, v4
	v_bfrev_b32_e32 v5, 0.5
	v_lshl_or_b32 v5, v4, 2, v5
	ds_bpermute_b32 v6, v5, v1
	ds_bpermute_b32 v2, v5, v2
	;; [unrolled: 1-line block ×3, first 2 shown]
	v_cmp_eq_u32_e32 vcc, 0, v4
	s_and_saveexec_b64 s[0:1], vcc
	s_cbranch_execz .LBB1182_44
; %bb.43:
	v_lshrrev_b32_e32 v1, 2, v0
	v_and_b32_e32 v1, 48, v1
	s_waitcnt lgkmcnt(2)
	ds_write_b8 v1, v6 offset:128
	s_waitcnt lgkmcnt(1)
	ds_write_b64 v1, v[2:3] offset:136
.LBB1182_44:
	s_or_b64 exec, exec, s[0:1]
	v_cmp_gt_u32_e32 vcc, 64, v0
	s_waitcnt lgkmcnt(0)
	s_barrier
	s_and_saveexec_b64 s[12:13], vcc
	s_cbranch_execz .LBB1182_46
; %bb.45:
	v_and_b32_e32 v1, 3, v4
	v_lshlrev_b32_e32 v2, 4, v1
	ds_read_u8 v5, v2 offset:128
	ds_read_b64 v[2:3], v2 offset:136
	v_cmp_ne_u32_e32 vcc, 3, v1
	v_addc_co_u32_e32 v6, vcc, 0, v4, vcc
	s_waitcnt lgkmcnt(1)
	v_and_b32_e32 v7, 0xff, v5
	v_lshlrev_b32_e32 v8, 2, v6
	ds_bpermute_b32 v9, v8, v7
	s_waitcnt lgkmcnt(1)
	ds_bpermute_b32 v6, v8, v2
	ds_bpermute_b32 v7, v8, v3
	v_and_b32_e32 v8, 1, v5
	s_waitcnt lgkmcnt(2)
	v_and_b32_e32 v10, 1, v9
	v_cmp_eq_u32_e64 s[0:1], 1, v10
	s_waitcnt lgkmcnt(0)
	v_cmp_lt_i64_e32 vcc, v[6:7], v[2:3]
	s_and_b64 vcc, s[0:1], vcc
	v_cndmask_b32_e64 v5, v5, 1, s[0:1]
	v_cndmask_b32_e32 v2, v2, v6, vcc
	v_cndmask_b32_e32 v3, v3, v7, vcc
	v_cmp_eq_u32_e32 vcc, 1, v8
	v_cndmask_b32_e32 v8, v9, v5, vcc
	v_cndmask_b32_e32 v3, v7, v3, vcc
	;; [unrolled: 1-line block ×3, first 2 shown]
	v_cmp_gt_u32_e32 vcc, 2, v1
	v_cndmask_b32_e64 v1, 0, 1, vcc
	v_lshlrev_b32_e32 v1, 1, v1
	v_and_b32_e32 v5, 0xff, v8
	v_add_lshl_u32 v1, v1, v4, 2
	ds_bpermute_b32 v6, v1, v5
	ds_bpermute_b32 v4, v1, v2
	;; [unrolled: 1-line block ×3, first 2 shown]
	v_and_b32_e32 v1, 1, v8
	s_waitcnt lgkmcnt(2)
	v_and_b32_e32 v7, 1, v6
	v_cmp_eq_u32_e64 s[0:1], 1, v7
	s_waitcnt lgkmcnt(0)
	v_cmp_lt_i64_e32 vcc, v[4:5], v[2:3]
	s_and_b64 vcc, s[0:1], vcc
	v_cndmask_b32_e64 v7, v8, 1, s[0:1]
	v_cndmask_b32_e32 v2, v2, v4, vcc
	v_cndmask_b32_e32 v3, v3, v5, vcc
	v_cmp_eq_u32_e32 vcc, 1, v1
	v_cndmask_b32_e32 v1, v6, v7, vcc
	v_cndmask_b32_e32 v3, v5, v3, vcc
	;; [unrolled: 1-line block ×3, first 2 shown]
	v_and_b32_e32 v6, 0xff, v1
.LBB1182_46:
	s_or_b64 exec, exec, s[12:13]
	s_branch .LBB1182_132
.LBB1182_47:
                                        ; implicit-def: $vgpr4_vgpr5
                                        ; implicit-def: $vgpr1
	s_branch .LBB1182_214
.LBB1182_48:
                                        ; implicit-def: $vgpr2_vgpr3
                                        ; implicit-def: $vgpr6
	s_cbranch_execz .LBB1182_93
; %bb.49:
	s_sub_i32 s30, s22, s2
	v_pk_mov_b32 v[14:15], 0, 0
	v_cmp_gt_u32_e32 vcc, s30, v0
	v_mov_b32_e32 v23, 0
	v_pk_mov_b32 v[2:3], v[14:15], v[14:15] op_sel:[0,1]
	v_mov_b32_e32 v18, 0
	s_and_saveexec_b64 s[0:1], vcc
	s_cbranch_execz .LBB1182_51
; %bb.50:
	v_lshlrev_b32_e32 v1, 4, v0
	global_load_ubyte v18, v1, s[16:17]
	global_load_dwordx2 v[2:3], v1, s[16:17] offset:8
.LBB1182_51:
	s_or_b64 exec, exec, s[0:1]
	v_or_b32_e32 v1, 0x100, v0
	v_cmp_gt_u32_e64 s[14:15], s30, v1
	s_and_saveexec_b64 s[0:1], s[14:15]
	s_cbranch_execz .LBB1182_53
; %bb.52:
	v_lshlrev_b32_e32 v1, 4, v1
	global_load_ubyte v23, v1, s[16:17]
	global_load_dwordx2 v[14:15], v1, s[16:17] offset:8
.LBB1182_53:
	s_or_b64 exec, exec, s[0:1]
	v_or_b32_e32 v1, 0x200, v0
	v_pk_mov_b32 v[10:11], 0, 0
	v_cmp_gt_u32_e64 s[12:13], s30, v1
	v_mov_b32_e32 v21, 0
	v_pk_mov_b32 v[16:17], v[10:11], v[10:11] op_sel:[0,1]
	v_mov_b32_e32 v24, 0
	s_and_saveexec_b64 s[0:1], s[12:13]
	s_cbranch_execz .LBB1182_55
; %bb.54:
	v_lshlrev_b32_e32 v1, 4, v1
	global_load_ubyte v24, v1, s[16:17]
	global_load_dwordx2 v[16:17], v1, s[16:17] offset:8
.LBB1182_55:
	s_or_b64 exec, exec, s[0:1]
	v_or_b32_e32 v1, 0x300, v0
	v_cmp_gt_u32_e64 s[10:11], s30, v1
	s_and_saveexec_b64 s[0:1], s[10:11]
	s_cbranch_execz .LBB1182_57
; %bb.56:
	v_lshlrev_b32_e32 v1, 4, v1
	global_load_ubyte v21, v1, s[16:17]
	global_load_dwordx2 v[10:11], v1, s[16:17] offset:8
.LBB1182_57:
	s_or_b64 exec, exec, s[0:1]
	v_or_b32_e32 v1, 0x400, v0
	v_pk_mov_b32 v[6:7], 0, 0
	v_cmp_gt_u32_e64 s[8:9], s30, v1
	v_mov_b32_e32 v19, 0
	v_pk_mov_b32 v[12:13], v[6:7], v[6:7] op_sel:[0,1]
	v_mov_b32_e32 v22, 0
	s_and_saveexec_b64 s[0:1], s[8:9]
	s_cbranch_execz .LBB1182_59
; %bb.58:
	v_lshlrev_b32_e32 v1, 4, v1
	global_load_ubyte v22, v1, s[16:17]
	global_load_dwordx2 v[12:13], v1, s[16:17] offset:8
.LBB1182_59:
	s_or_b64 exec, exec, s[0:1]
	v_or_b32_e32 v1, 0x500, v0
	v_cmp_gt_u32_e64 s[2:3], s30, v1
	s_and_saveexec_b64 s[0:1], s[2:3]
	s_cbranch_execz .LBB1182_61
; %bb.60:
	v_lshlrev_b32_e32 v1, 4, v1
	global_load_ubyte v19, v1, s[16:17]
	global_load_dwordx2 v[6:7], v1, s[16:17] offset:8
.LBB1182_61:
	s_or_b64 exec, exec, s[0:1]
	v_or_b32_e32 v25, 0x600, v0
	v_pk_mov_b32 v[4:5], 0, 0
	v_cmp_gt_u32_e64 s[0:1], s30, v25
	v_mov_b32_e32 v1, 0
	v_mov_b32_e32 v20, 0
	v_pk_mov_b32 v[8:9], v[4:5], v[4:5] op_sel:[0,1]
	s_and_saveexec_b64 s[26:27], s[0:1]
	s_cbranch_execz .LBB1182_63
; %bb.62:
	v_lshlrev_b32_e32 v25, 4, v25
	global_load_ubyte v20, v25, s[16:17]
	global_load_dwordx2 v[8:9], v25, s[16:17] offset:8
.LBB1182_63:
	s_or_b64 exec, exec, s[26:27]
	v_or_b32_e32 v25, 0x700, v0
	v_cmp_gt_u32_e32 vcc, s30, v25
	s_and_saveexec_b64 s[26:27], vcc
	s_cbranch_execnz .LBB1182_246
; %bb.64:
	s_or_b64 exec, exec, s[26:27]
	s_and_saveexec_b64 s[26:27], s[14:15]
	s_cbranch_execnz .LBB1182_247
.LBB1182_65:
	s_or_b64 exec, exec, s[26:27]
	s_and_saveexec_b64 s[16:17], s[12:13]
	s_cbranch_execnz .LBB1182_248
.LBB1182_66:
	s_or_b64 exec, exec, s[16:17]
	s_and_saveexec_b64 s[14:15], s[10:11]
	s_cbranch_execnz .LBB1182_249
.LBB1182_67:
	s_or_b64 exec, exec, s[14:15]
	s_and_saveexec_b64 s[12:13], s[8:9]
	s_cbranch_execnz .LBB1182_250
.LBB1182_68:
	s_or_b64 exec, exec, s[12:13]
	s_and_saveexec_b64 s[10:11], s[2:3]
	s_cbranch_execnz .LBB1182_251
.LBB1182_69:
	s_or_b64 exec, exec, s[10:11]
	s_and_saveexec_b64 s[8:9], s[0:1]
	s_cbranch_execnz .LBB1182_252
.LBB1182_70:
	s_or_b64 exec, exec, s[8:9]
	s_and_saveexec_b64 s[2:3], vcc
	s_cbranch_execz .LBB1182_72
.LBB1182_71:
	s_waitcnt vmcnt(0)
	v_and_b32_e32 v7, 1, v1
	v_cmp_lt_i64_e32 vcc, v[4:5], v[2:3]
	v_cmp_eq_u32_e64 s[0:1], 1, v7
	v_and_b32_e32 v6, 1, v18
	s_and_b64 vcc, s[0:1], vcc
	v_cndmask_b32_e64 v7, v18, 1, s[0:1]
	v_cndmask_b32_e32 v2, v2, v4, vcc
	v_cndmask_b32_e32 v3, v3, v5, vcc
	v_cmp_eq_u32_e32 vcc, 1, v6
	v_cndmask_b32_e32 v18, v1, v7, vcc
	v_cndmask_b32_e32 v3, v5, v3, vcc
	;; [unrolled: 1-line block ×3, first 2 shown]
.LBB1182_72:
	s_or_b64 exec, exec, s[2:3]
	s_waitcnt vmcnt(1)
	v_mbcnt_lo_u32_b32 v1, -1, 0
	v_mbcnt_hi_u32_b32 v1, -1, v1
	s_waitcnt vmcnt(0)
	v_and_b32_e32 v7, 63, v1
	v_cmp_ne_u32_e32 vcc, 63, v7
	v_addc_co_u32_e32 v4, vcc, 0, v1, vcc
	v_and_b32_e32 v6, 0xff, v18
	v_lshlrev_b32_e32 v5, 2, v4
	ds_bpermute_b32 v10, v5, v6
	ds_bpermute_b32 v4, v5, v2
	;; [unrolled: 1-line block ×3, first 2 shown]
	s_min_u32 s8, s30, 0x100
	v_and_b32_e32 v8, 0xc0, v0
	v_sub_u32_e64 v9, s8, v8 clamp
	v_add_u32_e32 v8, 1, v7
	v_cmp_lt_u32_e32 vcc, v8, v9
	v_mov_b32_e32 v8, v6
	s_and_saveexec_b64 s[0:1], vcc
	s_xor_b64 s[2:3], exec, s[0:1]
	s_cbranch_execz .LBB1182_74
; %bb.73:
	s_waitcnt lgkmcnt(2)
	v_and_b32_e32 v11, 1, v10
	s_waitcnt lgkmcnt(0)
	v_cmp_lt_i64_e32 vcc, v[4:5], v[2:3]
	v_cmp_eq_u32_e64 s[0:1], 1, v11
	v_and_b32_e32 v8, 1, v18
	s_and_b64 vcc, s[0:1], vcc
	v_cndmask_b32_e64 v6, v6, 1, s[0:1]
	v_cndmask_b32_e32 v2, v2, v4, vcc
	v_cndmask_b32_e32 v3, v3, v5, vcc
	v_cmp_eq_u32_e32 vcc, 1, v8
	v_cndmask_b32_e32 v8, v10, v6, vcc
	v_cndmask_b32_e32 v3, v5, v3, vcc
	v_cndmask_b32_e32 v2, v4, v2, vcc
	v_and_b32_e32 v6, 0xff, v8
.LBB1182_74:
	s_or_b64 exec, exec, s[2:3]
	v_cmp_gt_u32_e32 vcc, 62, v7
	s_waitcnt lgkmcnt(1)
	v_cndmask_b32_e64 v4, 0, 1, vcc
	v_lshlrev_b32_e32 v4, 1, v4
	s_waitcnt lgkmcnt(0)
	v_add_lshl_u32 v5, v4, v1, 2
	ds_bpermute_b32 v10, v5, v6
	ds_bpermute_b32 v4, v5, v2
	ds_bpermute_b32 v5, v5, v3
	v_add_u32_e32 v11, 2, v7
	v_cmp_lt_u32_e32 vcc, v11, v9
	s_and_saveexec_b64 s[2:3], vcc
	s_cbranch_execz .LBB1182_76
; %bb.75:
	s_waitcnt lgkmcnt(2)
	v_and_b32_e32 v11, 1, v10
	s_waitcnt lgkmcnt(0)
	v_cmp_lt_i64_e32 vcc, v[4:5], v[2:3]
	v_cmp_eq_u32_e64 s[0:1], 1, v11
	v_and_b32_e32 v6, 1, v8
	s_and_b64 vcc, s[0:1], vcc
	v_cndmask_b32_e64 v8, v8, 1, s[0:1]
	v_cndmask_b32_e32 v2, v2, v4, vcc
	v_cndmask_b32_e32 v3, v3, v5, vcc
	v_cmp_eq_u32_e32 vcc, 1, v6
	v_cndmask_b32_e32 v8, v10, v8, vcc
	v_cndmask_b32_e32 v3, v5, v3, vcc
	v_cndmask_b32_e32 v2, v4, v2, vcc
	v_and_b32_e32 v6, 0xff, v8
.LBB1182_76:
	s_or_b64 exec, exec, s[2:3]
	v_cmp_gt_u32_e32 vcc, 60, v7
	s_waitcnt lgkmcnt(1)
	v_cndmask_b32_e64 v4, 0, 1, vcc
	v_lshlrev_b32_e32 v4, 2, v4
	s_waitcnt lgkmcnt(0)
	v_add_lshl_u32 v5, v4, v1, 2
	ds_bpermute_b32 v10, v5, v6
	ds_bpermute_b32 v4, v5, v2
	ds_bpermute_b32 v5, v5, v3
	v_add_u32_e32 v11, 4, v7
	v_cmp_lt_u32_e32 vcc, v11, v9
	s_and_saveexec_b64 s[2:3], vcc
	;; [unrolled: 31-line block ×5, first 2 shown]
	s_cbranch_execz .LBB1182_84
; %bb.83:
	s_waitcnt lgkmcnt(2)
	v_and_b32_e32 v7, 1, v10
	s_waitcnt lgkmcnt(0)
	v_cmp_lt_i64_e32 vcc, v[4:5], v[2:3]
	v_cmp_eq_u32_e64 s[0:1], 1, v7
	v_and_b32_e32 v6, 1, v8
	s_and_b64 vcc, s[0:1], vcc
	v_cndmask_b32_e64 v7, v8, 1, s[0:1]
	v_cndmask_b32_e32 v2, v2, v4, vcc
	v_cndmask_b32_e32 v3, v3, v5, vcc
	v_cmp_eq_u32_e32 vcc, 1, v6
	v_cndmask_b32_e32 v8, v10, v7, vcc
	v_cndmask_b32_e32 v3, v5, v3, vcc
	;; [unrolled: 1-line block ×3, first 2 shown]
	v_and_b32_e32 v6, 0xff, v8
.LBB1182_84:
	s_or_b64 exec, exec, s[2:3]
	v_cmp_eq_u32_e32 vcc, 0, v1
	s_and_saveexec_b64 s[0:1], vcc
	s_cbranch_execz .LBB1182_86
; %bb.85:
	s_waitcnt lgkmcnt(1)
	v_lshrrev_b32_e32 v4, 2, v0
	v_and_b32_e32 v4, 48, v4
	ds_write_b8 v4, v8 offset:256
	ds_write_b64 v4, v[2:3] offset:264
.LBB1182_86:
	s_or_b64 exec, exec, s[0:1]
	v_cmp_gt_u32_e32 vcc, 4, v0
	s_waitcnt lgkmcnt(0)
	s_barrier
	s_and_saveexec_b64 s[2:3], vcc
	s_cbranch_execz .LBB1182_92
; %bb.87:
	v_lshlrev_b32_e32 v2, 4, v1
	ds_read_u8 v7, v2 offset:256
	ds_read_b64 v[2:3], v2 offset:264
	v_and_b32_e32 v8, 3, v1
	v_cmp_ne_u32_e32 vcc, 3, v8
	v_addc_co_u32_e32 v4, vcc, 0, v1, vcc
	s_waitcnt lgkmcnt(1)
	v_and_b32_e32 v6, 0xff, v7
	v_lshlrev_b32_e32 v5, 2, v4
	ds_bpermute_b32 v9, v5, v6
	s_waitcnt lgkmcnt(1)
	ds_bpermute_b32 v4, v5, v2
	ds_bpermute_b32 v5, v5, v3
	s_add_i32 s8, s8, 63
	s_lshr_b32 s10, s8, 6
	v_add_u32_e32 v10, 1, v8
	v_cmp_gt_u32_e32 vcc, s10, v10
	s_and_saveexec_b64 s[8:9], vcc
	s_cbranch_execz .LBB1182_89
; %bb.88:
	s_waitcnt lgkmcnt(2)
	v_and_b32_e32 v10, 1, v9
	s_waitcnt lgkmcnt(0)
	v_cmp_lt_i64_e32 vcc, v[4:5], v[2:3]
	v_cmp_eq_u32_e64 s[0:1], 1, v10
	v_and_b32_e32 v6, 1, v7
	s_and_b64 vcc, s[0:1], vcc
	v_cndmask_b32_e64 v7, v7, 1, s[0:1]
	v_cndmask_b32_e32 v2, v2, v4, vcc
	v_cndmask_b32_e32 v3, v3, v5, vcc
	v_cmp_eq_u32_e32 vcc, 1, v6
	v_cndmask_b32_e32 v7, v9, v7, vcc
	v_cndmask_b32_e32 v3, v5, v3, vcc
	;; [unrolled: 1-line block ×3, first 2 shown]
	v_and_b32_e32 v6, 0xff, v7
.LBB1182_89:
	s_or_b64 exec, exec, s[8:9]
	v_cmp_gt_u32_e32 vcc, 2, v8
	s_waitcnt lgkmcnt(1)
	v_cndmask_b32_e64 v4, 0, 1, vcc
	v_lshlrev_b32_e32 v4, 1, v4
	s_waitcnt lgkmcnt(0)
	v_add_lshl_u32 v5, v4, v1, 2
	ds_bpermute_b32 v1, v5, v6
	ds_bpermute_b32 v4, v5, v2
	;; [unrolled: 1-line block ×3, first 2 shown]
	v_add_u32_e32 v8, 2, v8
	v_cmp_gt_u32_e32 vcc, s10, v8
	s_and_saveexec_b64 s[8:9], vcc
	s_cbranch_execz .LBB1182_91
; %bb.90:
	s_waitcnt lgkmcnt(2)
	v_and_b32_e32 v8, 1, v1
	s_waitcnt lgkmcnt(0)
	v_cmp_lt_i64_e32 vcc, v[4:5], v[2:3]
	v_cmp_eq_u32_e64 s[0:1], 1, v8
	v_and_b32_e32 v6, 1, v7
	s_and_b64 vcc, s[0:1], vcc
	v_cndmask_b32_e64 v7, v7, 1, s[0:1]
	v_cndmask_b32_e32 v2, v2, v4, vcc
	v_cndmask_b32_e32 v3, v3, v5, vcc
	v_cmp_eq_u32_e32 vcc, 1, v6
	v_cndmask_b32_e32 v1, v1, v7, vcc
	v_cndmask_b32_e32 v3, v5, v3, vcc
	;; [unrolled: 1-line block ×3, first 2 shown]
	v_and_b32_e32 v6, 0xff, v1
.LBB1182_91:
	s_or_b64 exec, exec, s[8:9]
.LBB1182_92:
	s_or_b64 exec, exec, s[2:3]
.LBB1182_93:
	v_cmp_eq_u32_e32 vcc, 0, v0
	s_mov_b64 s[10:11], 0
                                        ; implicit-def: $vgpr4_vgpr5
                                        ; implicit-def: $vgpr1
	s_and_saveexec_b64 s[0:1], vcc
	s_xor_b64 s[8:9], exec, s[0:1]
	s_cbranch_execz .LBB1182_97
; %bb.94:
	s_cmp_eq_u64 s[22:23], 0
	s_waitcnt lgkmcnt(0)
	v_pk_mov_b32 v[4:5], s[18:19], s[18:19] op_sel:[0,1]
	v_mov_b32_e32 v1, s28
	s_cbranch_scc1 .LBB1182_96
; %bb.95:
	v_and_b32_e32 v1, 1, v6
	s_bitcmp1_b32 s28, 0
	v_mov_b32_e32 v4, s28
	v_cmp_eq_u32_e32 vcc, 1, v1
	v_cmp_gt_i64_e64 s[2:3], s[18:19], v[2:3]
	v_cndmask_b32_e64 v1, v4, 1, vcc
	s_cselect_b64 s[0:1], -1, 0
	v_mov_b32_e32 v4, s18
	s_and_b64 vcc, vcc, s[2:3]
	v_mov_b32_e32 v5, s19
	v_cndmask_b32_e32 v4, v4, v2, vcc
	v_cndmask_b32_e32 v5, v5, v3, vcc
	v_cndmask_b32_e64 v1, v6, v1, s[0:1]
	v_cndmask_b32_e64 v5, v3, v5, s[0:1]
	;; [unrolled: 1-line block ×3, first 2 shown]
.LBB1182_96:
	s_mov_b64 s[10:11], exec
.LBB1182_97:
	s_or_b64 exec, exec, s[8:9]
	s_and_b64 vcc, exec, s[24:25]
	s_cbranch_vccnz .LBB1182_26
.LBB1182_98:
	s_branch .LBB1182_214
.LBB1182_99:
                                        ; implicit-def: $vgpr2_vgpr3
                                        ; implicit-def: $vgpr6
	s_cbranch_execz .LBB1182_132
; %bb.100:
	s_sub_i32 s14, s22, s2
	v_pk_mov_b32 v[6:7], 0, 0
	v_cmp_gt_u32_e32 vcc, s14, v0
	v_mov_b32_e32 v11, 0
	v_pk_mov_b32 v[2:3], v[6:7], v[6:7] op_sel:[0,1]
	v_mov_b32_e32 v10, 0
	s_and_saveexec_b64 s[0:1], vcc
	s_cbranch_execz .LBB1182_102
; %bb.101:
	s_waitcnt lgkmcnt(2)
	v_lshlrev_b32_e32 v1, 4, v0
	global_load_ubyte v10, v1, s[8:9]
	global_load_dwordx2 v[2:3], v1, s[8:9] offset:8
.LBB1182_102:
	s_or_b64 exec, exec, s[0:1]
	s_waitcnt lgkmcnt(2)
	v_or_b32_e32 v1, 0x100, v0
	v_cmp_gt_u32_e64 s[2:3], s14, v1
	s_and_saveexec_b64 s[0:1], s[2:3]
	s_cbranch_execz .LBB1182_104
; %bb.103:
	v_lshlrev_b32_e32 v1, 4, v1
	global_load_ubyte v11, v1, s[8:9]
	global_load_dwordx2 v[6:7], v1, s[8:9] offset:8
.LBB1182_104:
	s_or_b64 exec, exec, s[0:1]
	v_or_b32_e32 v13, 0x200, v0
	s_waitcnt lgkmcnt(0)
	v_pk_mov_b32 v[4:5], 0, 0
	v_cmp_gt_u32_e64 s[0:1], s14, v13
	v_mov_b32_e32 v1, 0
	v_pk_mov_b32 v[8:9], v[4:5], v[4:5] op_sel:[0,1]
	v_mov_b32_e32 v12, 0
	s_and_saveexec_b64 s[12:13], s[0:1]
	s_cbranch_execz .LBB1182_106
; %bb.105:
	v_lshlrev_b32_e32 v13, 4, v13
	global_load_ubyte v12, v13, s[8:9]
	global_load_dwordx2 v[8:9], v13, s[8:9] offset:8
.LBB1182_106:
	s_or_b64 exec, exec, s[12:13]
	v_or_b32_e32 v13, 0x300, v0
	v_cmp_gt_u32_e32 vcc, s14, v13
	s_and_saveexec_b64 s[12:13], vcc
	s_cbranch_execnz .LBB1182_253
; %bb.107:
	s_or_b64 exec, exec, s[12:13]
	s_and_saveexec_b64 s[12:13], s[2:3]
	s_cbranch_execnz .LBB1182_254
.LBB1182_108:
	s_or_b64 exec, exec, s[12:13]
	s_and_saveexec_b64 s[8:9], s[0:1]
	s_cbranch_execnz .LBB1182_255
.LBB1182_109:
	s_or_b64 exec, exec, s[8:9]
	s_and_saveexec_b64 s[2:3], vcc
	s_cbranch_execz .LBB1182_111
.LBB1182_110:
	s_waitcnt vmcnt(0)
	v_and_b32_e32 v7, 1, v1
	v_cmp_lt_i64_e32 vcc, v[4:5], v[2:3]
	v_cmp_eq_u32_e64 s[0:1], 1, v7
	v_and_b32_e32 v6, 1, v10
	s_and_b64 vcc, s[0:1], vcc
	v_cndmask_b32_e64 v7, v10, 1, s[0:1]
	v_cndmask_b32_e32 v2, v2, v4, vcc
	v_cndmask_b32_e32 v3, v3, v5, vcc
	v_cmp_eq_u32_e32 vcc, 1, v6
	v_cndmask_b32_e32 v10, v1, v7, vcc
	v_cndmask_b32_e32 v3, v5, v3, vcc
	;; [unrolled: 1-line block ×3, first 2 shown]
.LBB1182_111:
	s_or_b64 exec, exec, s[2:3]
	s_waitcnt vmcnt(1)
	v_mbcnt_lo_u32_b32 v1, -1, 0
	v_mbcnt_hi_u32_b32 v1, -1, v1
	s_waitcnt vmcnt(0)
	v_and_b32_e32 v7, 63, v1
	v_cmp_ne_u32_e32 vcc, 63, v7
	v_addc_co_u32_e32 v4, vcc, 0, v1, vcc
	v_and_b32_e32 v6, 0xff, v10
	v_lshlrev_b32_e32 v5, 2, v4
	ds_bpermute_b32 v11, v5, v6
	ds_bpermute_b32 v4, v5, v2
	;; [unrolled: 1-line block ×3, first 2 shown]
	s_min_u32 s8, s14, 0x100
	v_and_b32_e32 v8, 0xc0, v0
	v_sub_u32_e64 v9, s8, v8 clamp
	v_add_u32_e32 v8, 1, v7
	v_cmp_lt_u32_e32 vcc, v8, v9
	v_mov_b32_e32 v8, v6
	s_and_saveexec_b64 s[0:1], vcc
	s_xor_b64 s[2:3], exec, s[0:1]
	s_cbranch_execz .LBB1182_113
; %bb.112:
	v_and_b32_e32 v8, 1, v10
	s_waitcnt lgkmcnt(2)
	v_and_b32_e32 v10, 1, v11
	s_waitcnt lgkmcnt(0)
	v_cmp_lt_i64_e32 vcc, v[4:5], v[2:3]
	v_cmp_eq_u32_e64 s[0:1], 1, v10
	s_and_b64 vcc, s[0:1], vcc
	v_cndmask_b32_e64 v6, v6, 1, s[0:1]
	v_cndmask_b32_e32 v2, v2, v4, vcc
	v_cndmask_b32_e32 v3, v3, v5, vcc
	v_cmp_eq_u32_e32 vcc, 1, v8
	v_cndmask_b32_e32 v8, v11, v6, vcc
	v_cndmask_b32_e32 v3, v5, v3, vcc
	;; [unrolled: 1-line block ×3, first 2 shown]
	v_and_b32_e32 v6, 0xff, v8
.LBB1182_113:
	s_or_b64 exec, exec, s[2:3]
	v_cmp_gt_u32_e32 vcc, 62, v7
	s_waitcnt lgkmcnt(1)
	v_cndmask_b32_e64 v4, 0, 1, vcc
	v_lshlrev_b32_e32 v4, 1, v4
	s_waitcnt lgkmcnt(0)
	v_add_lshl_u32 v5, v4, v1, 2
	ds_bpermute_b32 v10, v5, v6
	ds_bpermute_b32 v4, v5, v2
	ds_bpermute_b32 v5, v5, v3
	v_add_u32_e32 v11, 2, v7
	v_cmp_lt_u32_e32 vcc, v11, v9
	s_and_saveexec_b64 s[2:3], vcc
	s_cbranch_execz .LBB1182_115
; %bb.114:
	s_waitcnt lgkmcnt(2)
	v_and_b32_e32 v11, 1, v10
	s_waitcnt lgkmcnt(0)
	v_cmp_lt_i64_e32 vcc, v[4:5], v[2:3]
	v_cmp_eq_u32_e64 s[0:1], 1, v11
	v_and_b32_e32 v6, 1, v8
	s_and_b64 vcc, s[0:1], vcc
	v_cndmask_b32_e64 v8, v8, 1, s[0:1]
	v_cndmask_b32_e32 v2, v2, v4, vcc
	v_cndmask_b32_e32 v3, v3, v5, vcc
	v_cmp_eq_u32_e32 vcc, 1, v6
	v_cndmask_b32_e32 v8, v10, v8, vcc
	v_cndmask_b32_e32 v3, v5, v3, vcc
	v_cndmask_b32_e32 v2, v4, v2, vcc
	v_and_b32_e32 v6, 0xff, v8
.LBB1182_115:
	s_or_b64 exec, exec, s[2:3]
	v_cmp_gt_u32_e32 vcc, 60, v7
	s_waitcnt lgkmcnt(1)
	v_cndmask_b32_e64 v4, 0, 1, vcc
	v_lshlrev_b32_e32 v4, 2, v4
	s_waitcnt lgkmcnt(0)
	v_add_lshl_u32 v5, v4, v1, 2
	ds_bpermute_b32 v10, v5, v6
	ds_bpermute_b32 v4, v5, v2
	ds_bpermute_b32 v5, v5, v3
	v_add_u32_e32 v11, 4, v7
	v_cmp_lt_u32_e32 vcc, v11, v9
	s_and_saveexec_b64 s[2:3], vcc
	s_cbranch_execz .LBB1182_117
; %bb.116:
	s_waitcnt lgkmcnt(2)
	v_and_b32_e32 v11, 1, v10
	s_waitcnt lgkmcnt(0)
	v_cmp_lt_i64_e32 vcc, v[4:5], v[2:3]
	v_cmp_eq_u32_e64 s[0:1], 1, v11
	v_and_b32_e32 v6, 1, v8
	s_and_b64 vcc, s[0:1], vcc
	v_cndmask_b32_e64 v8, v8, 1, s[0:1]
	v_cndmask_b32_e32 v2, v2, v4, vcc
	v_cndmask_b32_e32 v3, v3, v5, vcc
	v_cmp_eq_u32_e32 vcc, 1, v6
	v_cndmask_b32_e32 v8, v10, v8, vcc
	v_cndmask_b32_e32 v3, v5, v3, vcc
	v_cndmask_b32_e32 v2, v4, v2, vcc
	v_and_b32_e32 v6, 0xff, v8
.LBB1182_117:
	;; [unrolled: 31-line block ×5, first 2 shown]
	s_or_b64 exec, exec, s[2:3]
	v_cmp_eq_u32_e32 vcc, 0, v1
	s_and_saveexec_b64 s[0:1], vcc
	s_cbranch_execz .LBB1182_125
; %bb.124:
	s_waitcnt lgkmcnt(1)
	v_lshrrev_b32_e32 v4, 2, v0
	v_and_b32_e32 v4, 48, v4
	ds_write_b8 v4, v8 offset:256
	ds_write_b64 v4, v[2:3] offset:264
.LBB1182_125:
	s_or_b64 exec, exec, s[0:1]
	v_cmp_gt_u32_e32 vcc, 4, v0
	s_waitcnt lgkmcnt(0)
	s_barrier
	s_and_saveexec_b64 s[2:3], vcc
	s_cbranch_execz .LBB1182_131
; %bb.126:
	v_lshlrev_b32_e32 v2, 4, v1
	ds_read_u8 v7, v2 offset:256
	ds_read_b64 v[2:3], v2 offset:264
	v_and_b32_e32 v8, 3, v1
	v_cmp_ne_u32_e32 vcc, 3, v8
	v_addc_co_u32_e32 v4, vcc, 0, v1, vcc
	s_waitcnt lgkmcnt(1)
	v_and_b32_e32 v6, 0xff, v7
	v_lshlrev_b32_e32 v5, 2, v4
	ds_bpermute_b32 v9, v5, v6
	s_waitcnt lgkmcnt(1)
	ds_bpermute_b32 v4, v5, v2
	ds_bpermute_b32 v5, v5, v3
	s_add_i32 s8, s8, 63
	s_lshr_b32 s12, s8, 6
	v_add_u32_e32 v10, 1, v8
	v_cmp_gt_u32_e32 vcc, s12, v10
	s_and_saveexec_b64 s[8:9], vcc
	s_cbranch_execz .LBB1182_128
; %bb.127:
	s_waitcnt lgkmcnt(2)
	v_and_b32_e32 v10, 1, v9
	s_waitcnt lgkmcnt(0)
	v_cmp_lt_i64_e32 vcc, v[4:5], v[2:3]
	v_cmp_eq_u32_e64 s[0:1], 1, v10
	v_and_b32_e32 v6, 1, v7
	s_and_b64 vcc, s[0:1], vcc
	v_cndmask_b32_e64 v7, v7, 1, s[0:1]
	v_cndmask_b32_e32 v2, v2, v4, vcc
	v_cndmask_b32_e32 v3, v3, v5, vcc
	v_cmp_eq_u32_e32 vcc, 1, v6
	v_cndmask_b32_e32 v7, v9, v7, vcc
	v_cndmask_b32_e32 v3, v5, v3, vcc
	;; [unrolled: 1-line block ×3, first 2 shown]
	v_and_b32_e32 v6, 0xff, v7
.LBB1182_128:
	s_or_b64 exec, exec, s[8:9]
	v_cmp_gt_u32_e32 vcc, 2, v8
	s_waitcnt lgkmcnt(1)
	v_cndmask_b32_e64 v4, 0, 1, vcc
	v_lshlrev_b32_e32 v4, 1, v4
	s_waitcnt lgkmcnt(0)
	v_add_lshl_u32 v5, v4, v1, 2
	ds_bpermute_b32 v1, v5, v6
	ds_bpermute_b32 v4, v5, v2
	ds_bpermute_b32 v5, v5, v3
	v_add_u32_e32 v8, 2, v8
	v_cmp_gt_u32_e32 vcc, s12, v8
	s_and_saveexec_b64 s[8:9], vcc
	s_cbranch_execz .LBB1182_130
; %bb.129:
	s_waitcnt lgkmcnt(2)
	v_and_b32_e32 v8, 1, v1
	s_waitcnt lgkmcnt(0)
	v_cmp_lt_i64_e32 vcc, v[4:5], v[2:3]
	v_cmp_eq_u32_e64 s[0:1], 1, v8
	v_and_b32_e32 v6, 1, v7
	s_and_b64 vcc, s[0:1], vcc
	v_cndmask_b32_e64 v7, v7, 1, s[0:1]
	v_cndmask_b32_e32 v2, v2, v4, vcc
	v_cndmask_b32_e32 v3, v3, v5, vcc
	v_cmp_eq_u32_e32 vcc, 1, v6
	v_cndmask_b32_e32 v1, v1, v7, vcc
	v_cndmask_b32_e32 v3, v5, v3, vcc
	;; [unrolled: 1-line block ×3, first 2 shown]
	v_and_b32_e32 v6, 0xff, v1
.LBB1182_130:
	s_or_b64 exec, exec, s[8:9]
.LBB1182_131:
	s_or_b64 exec, exec, s[2:3]
.LBB1182_132:
	v_cmp_eq_u32_e32 vcc, 0, v0
                                        ; implicit-def: $vgpr4_vgpr5
                                        ; implicit-def: $vgpr1
	s_and_saveexec_b64 s[0:1], vcc
	s_xor_b64 s[8:9], exec, s[0:1]
	s_cbranch_execz .LBB1182_136
; %bb.133:
	s_cmp_eq_u64 s[22:23], 0
	s_waitcnt lgkmcnt(0)
	v_pk_mov_b32 v[4:5], s[18:19], s[18:19] op_sel:[0,1]
	v_mov_b32_e32 v1, s28
	s_cbranch_scc1 .LBB1182_135
; %bb.134:
	v_and_b32_e32 v1, 1, v6
	s_bitcmp1_b32 s28, 0
	v_mov_b32_e32 v4, s28
	v_cmp_eq_u32_e32 vcc, 1, v1
	v_cmp_gt_i64_e64 s[2:3], s[18:19], v[2:3]
	v_cndmask_b32_e64 v1, v4, 1, vcc
	s_cselect_b64 s[0:1], -1, 0
	v_mov_b32_e32 v4, s18
	s_and_b64 vcc, vcc, s[2:3]
	v_mov_b32_e32 v5, s19
	v_cndmask_b32_e32 v4, v4, v2, vcc
	v_cndmask_b32_e32 v5, v5, v3, vcc
	v_cndmask_b32_e64 v1, v6, v1, s[0:1]
	v_cndmask_b32_e64 v5, v3, v5, s[0:1]
	;; [unrolled: 1-line block ×3, first 2 shown]
.LBB1182_135:
	s_or_b64 s[10:11], s[10:11], exec
.LBB1182_136:
	s_or_b64 exec, exec, s[8:9]
	s_branch .LBB1182_214
.LBB1182_137:
	s_cmp_gt_i32 s29, 1
	s_cbranch_scc0 .LBB1182_159
; %bb.138:
	s_cmp_eq_u32 s29, 2
	s_cbranch_scc0 .LBB1182_160
; %bb.139:
	s_mov_b32 s7, 0
	s_lshl_b32 s8, s6, 9
	s_mov_b32 s9, s7
	s_lshr_b64 s[0:1], s[22:23], 9
	s_lshl_b64 s[2:3], s[8:9], 4
	s_add_u32 s2, s20, s2
	s_addc_u32 s3, s21, s3
	s_cmp_lg_u64 s[0:1], s[6:7]
	s_cbranch_scc0 .LBB1182_161
; %bb.140:
	v_lshlrev_b32_e32 v7, 4, v0
	s_waitcnt lgkmcnt(2)
	v_mov_b32_e32 v1, s3
	s_waitcnt lgkmcnt(1)
	v_add_co_u32_e32 v4, vcc, s2, v7
	s_waitcnt lgkmcnt(0)
	v_addc_co_u32_e32 v5, vcc, 0, v1, vcc
	v_add_co_u32_e32 v8, vcc, 0x1000, v4
	v_addc_co_u32_e32 v9, vcc, 0, v5, vcc
	global_load_ubyte v1, v7, s[2:3]
	global_load_ubyte v6, v[8:9], off
	global_load_dwordx2 v[2:3], v[8:9], off offset:8
	s_waitcnt vmcnt(2)
	v_and_b32_e32 v7, 1, v1
	v_cmp_eq_u32_e32 vcc, 1, v7
	s_and_saveexec_b64 s[12:13], vcc
	s_cbranch_execz .LBB1182_142
; %bb.141:
	global_load_dwordx2 v[4:5], v[4:5], off offset:8
	s_waitcnt vmcnt(2)
	v_and_b32_e32 v6, 1, v6
	v_cmp_eq_u32_e32 vcc, 1, v6
	v_cndmask_b32_e64 v6, v1, 1, vcc
	s_waitcnt vmcnt(0)
	v_cmp_lt_i64_e64 s[0:1], v[2:3], v[4:5]
	v_cndmask_b32_e64 v1, v5, v3, s[0:1]
	v_cndmask_b32_e32 v3, v5, v1, vcc
	s_and_b64 vcc, vcc, s[0:1]
	v_cndmask_b32_e32 v2, v4, v2, vcc
.LBB1182_142:
	s_or_b64 exec, exec, s[12:13]
	s_waitcnt vmcnt(1)
	v_and_b32_e32 v1, 0xff, v6
	v_and_b32_e32 v6, 1, v6
	s_waitcnt vmcnt(0)
	v_mov_b32_dpp v4, v2 quad_perm:[1,0,3,2] row_mask:0xf bank_mask:0xf bound_ctrl:1
	v_mov_b32_dpp v7, v1 quad_perm:[1,0,3,2] row_mask:0xf bank_mask:0xf bound_ctrl:1
	v_and_b32_e32 v8, 1, v7
	v_mov_b32_dpp v5, v3 quad_perm:[1,0,3,2] row_mask:0xf bank_mask:0xf bound_ctrl:1
	v_cmp_eq_u32_e32 vcc, 1, v8
	v_cmp_eq_u32_e64 s[0:1], 1, v6
	s_and_saveexec_b64 s[12:13], vcc
; %bb.143:
	v_cmp_lt_i64_e32 vcc, v[2:3], v[4:5]
	v_cndmask_b32_e64 v6, v7, 1, s[0:1]
	s_and_b64 vcc, s[0:1], vcc
	v_cndmask_b32_e32 v2, v4, v2, vcc
	v_and_b32_e32 v4, 1, v6
	v_cndmask_b32_e32 v3, v5, v3, vcc
	v_cmp_eq_u32_e32 vcc, 1, v4
	s_andn2_b64 s[0:1], s[0:1], exec
	s_and_b64 s[14:15], vcc, exec
	v_and_b32_e32 v1, 0xff, v6
	s_or_b64 s[0:1], s[0:1], s[14:15]
; %bb.144:
	s_or_b64 exec, exec, s[12:13]
	v_mov_b32_dpp v6, v1 quad_perm:[2,3,0,1] row_mask:0xf bank_mask:0xf bound_ctrl:1
	v_and_b32_e32 v7, 1, v6
	v_mov_b32_dpp v4, v2 quad_perm:[2,3,0,1] row_mask:0xf bank_mask:0xf bound_ctrl:1
	v_mov_b32_dpp v5, v3 quad_perm:[2,3,0,1] row_mask:0xf bank_mask:0xf bound_ctrl:1
	v_cmp_eq_u32_e32 vcc, 1, v7
	s_and_saveexec_b64 s[12:13], vcc
; %bb.145:
	v_cmp_lt_i64_e32 vcc, v[2:3], v[4:5]
	v_cndmask_b32_e64 v6, v6, 1, s[0:1]
	s_and_b64 vcc, s[0:1], vcc
	v_cndmask_b32_e32 v2, v4, v2, vcc
	v_and_b32_e32 v4, 1, v6
	v_cndmask_b32_e32 v3, v5, v3, vcc
	v_cmp_eq_u32_e32 vcc, 1, v4
	s_andn2_b64 s[0:1], s[0:1], exec
	s_and_b64 s[14:15], vcc, exec
	v_and_b32_e32 v1, 0xff, v6
	s_or_b64 s[0:1], s[0:1], s[14:15]
; %bb.146:
	s_or_b64 exec, exec, s[12:13]
	v_mov_b32_dpp v6, v1 row_ror:4 row_mask:0xf bank_mask:0xf bound_ctrl:1
	v_and_b32_e32 v7, 1, v6
	v_mov_b32_dpp v4, v2 row_ror:4 row_mask:0xf bank_mask:0xf bound_ctrl:1
	v_mov_b32_dpp v5, v3 row_ror:4 row_mask:0xf bank_mask:0xf bound_ctrl:1
	v_cmp_eq_u32_e32 vcc, 1, v7
	s_and_saveexec_b64 s[12:13], vcc
; %bb.147:
	v_cmp_lt_i64_e32 vcc, v[2:3], v[4:5]
	v_cndmask_b32_e64 v6, v6, 1, s[0:1]
	s_and_b64 vcc, s[0:1], vcc
	v_cndmask_b32_e32 v2, v4, v2, vcc
	v_and_b32_e32 v4, 1, v6
	v_cndmask_b32_e32 v3, v5, v3, vcc
	v_cmp_eq_u32_e32 vcc, 1, v4
	s_andn2_b64 s[0:1], s[0:1], exec
	s_and_b64 s[14:15], vcc, exec
	v_and_b32_e32 v1, 0xff, v6
	s_or_b64 s[0:1], s[0:1], s[14:15]
; %bb.148:
	s_or_b64 exec, exec, s[12:13]
	v_mov_b32_dpp v6, v1 row_ror:8 row_mask:0xf bank_mask:0xf bound_ctrl:1
	v_and_b32_e32 v7, 1, v6
	v_mov_b32_dpp v4, v2 row_ror:8 row_mask:0xf bank_mask:0xf bound_ctrl:1
	v_mov_b32_dpp v5, v3 row_ror:8 row_mask:0xf bank_mask:0xf bound_ctrl:1
	v_cmp_eq_u32_e32 vcc, 1, v7
	s_and_saveexec_b64 s[12:13], vcc
; %bb.149:
	v_cmp_lt_i64_e32 vcc, v[2:3], v[4:5]
	v_cndmask_b32_e64 v6, v6, 1, s[0:1]
	s_and_b64 vcc, s[0:1], vcc
	v_cndmask_b32_e32 v2, v4, v2, vcc
	v_and_b32_e32 v4, 1, v6
	v_cndmask_b32_e32 v3, v5, v3, vcc
	v_cmp_eq_u32_e32 vcc, 1, v4
	s_andn2_b64 s[0:1], s[0:1], exec
	s_and_b64 s[14:15], vcc, exec
	v_and_b32_e32 v1, 0xff, v6
	s_or_b64 s[0:1], s[0:1], s[14:15]
; %bb.150:
	s_or_b64 exec, exec, s[12:13]
	v_mov_b32_dpp v6, v1 row_bcast:15 row_mask:0xf bank_mask:0xf bound_ctrl:1
	v_and_b32_e32 v7, 1, v6
	v_mov_b32_dpp v4, v2 row_bcast:15 row_mask:0xf bank_mask:0xf bound_ctrl:1
	v_mov_b32_dpp v5, v3 row_bcast:15 row_mask:0xf bank_mask:0xf bound_ctrl:1
	v_cmp_eq_u32_e32 vcc, 1, v7
	s_and_saveexec_b64 s[12:13], vcc
; %bb.151:
	v_cmp_lt_i64_e32 vcc, v[2:3], v[4:5]
	v_cndmask_b32_e64 v6, v6, 1, s[0:1]
	s_and_b64 vcc, s[0:1], vcc
	v_cndmask_b32_e32 v2, v4, v2, vcc
	v_and_b32_e32 v4, 1, v6
	v_cndmask_b32_e32 v3, v5, v3, vcc
	v_cmp_eq_u32_e32 vcc, 1, v4
	s_andn2_b64 s[0:1], s[0:1], exec
	s_and_b64 s[14:15], vcc, exec
	v_and_b32_e32 v1, 0xff, v6
	s_or_b64 s[0:1], s[0:1], s[14:15]
; %bb.152:
	s_or_b64 exec, exec, s[12:13]
	v_mov_b32_dpp v6, v1 row_bcast:31 row_mask:0xf bank_mask:0xf bound_ctrl:1
	v_and_b32_e32 v7, 1, v6
	v_mov_b32_dpp v4, v2 row_bcast:31 row_mask:0xf bank_mask:0xf bound_ctrl:1
	v_mov_b32_dpp v5, v3 row_bcast:31 row_mask:0xf bank_mask:0xf bound_ctrl:1
	v_cmp_eq_u32_e32 vcc, 1, v7
	s_and_saveexec_b64 s[12:13], vcc
; %bb.153:
	v_cmp_lt_i64_e32 vcc, v[2:3], v[4:5]
	v_and_b32_e32 v1, 0xff, v6
	s_and_b64 vcc, s[0:1], vcc
	v_cndmask_b32_e32 v2, v4, v2, vcc
	v_cndmask_b32_e32 v3, v5, v3, vcc
	v_cndmask_b32_e64 v1, v1, 1, s[0:1]
; %bb.154:
	s_or_b64 exec, exec, s[12:13]
	v_mbcnt_lo_u32_b32 v4, -1, 0
	v_mbcnt_hi_u32_b32 v4, -1, v4
	v_bfrev_b32_e32 v5, 0.5
	v_lshl_or_b32 v5, v4, 2, v5
	ds_bpermute_b32 v6, v5, v1
	ds_bpermute_b32 v2, v5, v2
	;; [unrolled: 1-line block ×3, first 2 shown]
	v_cmp_eq_u32_e32 vcc, 0, v4
	s_and_saveexec_b64 s[0:1], vcc
	s_cbranch_execz .LBB1182_156
; %bb.155:
	v_lshrrev_b32_e32 v1, 2, v0
	v_and_b32_e32 v1, 48, v1
	s_waitcnt lgkmcnt(2)
	ds_write_b8 v1, v6 offset:64
	s_waitcnt lgkmcnt(1)
	ds_write_b64 v1, v[2:3] offset:72
.LBB1182_156:
	s_or_b64 exec, exec, s[0:1]
	v_cmp_gt_u32_e32 vcc, 64, v0
	s_waitcnt lgkmcnt(0)
	s_barrier
	s_and_saveexec_b64 s[12:13], vcc
	s_cbranch_execz .LBB1182_158
; %bb.157:
	v_and_b32_e32 v1, 3, v4
	v_lshlrev_b32_e32 v2, 4, v1
	ds_read_u8 v5, v2 offset:64
	ds_read_b64 v[2:3], v2 offset:72
	v_cmp_ne_u32_e32 vcc, 3, v1
	v_addc_co_u32_e32 v6, vcc, 0, v4, vcc
	s_waitcnt lgkmcnt(1)
	v_and_b32_e32 v7, 0xff, v5
	v_lshlrev_b32_e32 v8, 2, v6
	ds_bpermute_b32 v9, v8, v7
	s_waitcnt lgkmcnt(1)
	ds_bpermute_b32 v6, v8, v2
	ds_bpermute_b32 v7, v8, v3
	v_and_b32_e32 v8, 1, v5
	s_waitcnt lgkmcnt(2)
	v_and_b32_e32 v10, 1, v9
	v_cmp_eq_u32_e64 s[0:1], 1, v10
	s_waitcnt lgkmcnt(0)
	v_cmp_lt_i64_e32 vcc, v[6:7], v[2:3]
	s_and_b64 vcc, s[0:1], vcc
	v_cndmask_b32_e64 v5, v5, 1, s[0:1]
	v_cndmask_b32_e32 v2, v2, v6, vcc
	v_cndmask_b32_e32 v3, v3, v7, vcc
	v_cmp_eq_u32_e32 vcc, 1, v8
	v_cndmask_b32_e32 v8, v9, v5, vcc
	v_cndmask_b32_e32 v3, v7, v3, vcc
	;; [unrolled: 1-line block ×3, first 2 shown]
	v_cmp_gt_u32_e32 vcc, 2, v1
	v_cndmask_b32_e64 v1, 0, 1, vcc
	v_lshlrev_b32_e32 v1, 1, v1
	v_and_b32_e32 v5, 0xff, v8
	v_add_lshl_u32 v1, v1, v4, 2
	ds_bpermute_b32 v6, v1, v5
	ds_bpermute_b32 v4, v1, v2
	;; [unrolled: 1-line block ×3, first 2 shown]
	v_and_b32_e32 v1, 1, v8
	s_waitcnt lgkmcnt(2)
	v_and_b32_e32 v7, 1, v6
	v_cmp_eq_u32_e64 s[0:1], 1, v7
	s_waitcnt lgkmcnt(0)
	v_cmp_lt_i64_e32 vcc, v[4:5], v[2:3]
	s_and_b64 vcc, s[0:1], vcc
	v_cndmask_b32_e64 v7, v8, 1, s[0:1]
	v_cndmask_b32_e32 v2, v2, v4, vcc
	v_cndmask_b32_e32 v3, v3, v5, vcc
	v_cmp_eq_u32_e32 vcc, 1, v1
	v_cndmask_b32_e32 v1, v6, v7, vcc
	v_cndmask_b32_e32 v3, v5, v3, vcc
	;; [unrolled: 1-line block ×3, first 2 shown]
	v_and_b32_e32 v6, 0xff, v1
.LBB1182_158:
	s_or_b64 exec, exec, s[12:13]
	s_branch .LBB1182_189
.LBB1182_159:
                                        ; implicit-def: $vgpr4_vgpr5
                                        ; implicit-def: $vgpr1
	s_cbranch_execnz .LBB1182_194
	s_branch .LBB1182_214
.LBB1182_160:
                                        ; implicit-def: $vgpr4_vgpr5
                                        ; implicit-def: $vgpr1
	s_branch .LBB1182_214
.LBB1182_161:
                                        ; implicit-def: $vgpr2_vgpr3
                                        ; implicit-def: $vgpr6
	s_cbranch_execz .LBB1182_189
; %bb.162:
	s_sub_i32 s8, s22, s8
	s_waitcnt lgkmcnt(0)
	v_pk_mov_b32 v[4:5], 0, 0
	v_cmp_gt_u32_e32 vcc, s8, v0
	v_mov_b32_e32 v1, 0
	v_pk_mov_b32 v[2:3], v[4:5], v[4:5] op_sel:[0,1]
	v_mov_b32_e32 v7, 0
	s_and_saveexec_b64 s[0:1], vcc
	s_cbranch_execz .LBB1182_164
; %bb.163:
	v_lshlrev_b32_e32 v6, 4, v0
	global_load_ubyte v7, v6, s[2:3]
	global_load_dwordx2 v[2:3], v6, s[2:3] offset:8
.LBB1182_164:
	s_or_b64 exec, exec, s[0:1]
	v_or_b32_e32 v6, 0x100, v0
	v_cmp_gt_u32_e32 vcc, s8, v6
	s_and_saveexec_b64 s[0:1], vcc
	s_cbranch_execz .LBB1182_166
; %bb.165:
	v_lshlrev_b32_e32 v6, 4, v6
	global_load_ubyte v1, v6, s[2:3]
	global_load_dwordx2 v[4:5], v6, s[2:3] offset:8
.LBB1182_166:
	s_or_b64 exec, exec, s[0:1]
	s_and_saveexec_b64 s[2:3], vcc
	s_cbranch_execz .LBB1182_168
; %bb.167:
	s_waitcnt vmcnt(1)
	v_and_b32_e32 v8, 1, v1
	s_waitcnt vmcnt(0)
	v_cmp_lt_i64_e32 vcc, v[4:5], v[2:3]
	v_cmp_eq_u32_e64 s[0:1], 1, v8
	v_and_b32_e32 v6, 1, v7
	s_and_b64 vcc, s[0:1], vcc
	v_cndmask_b32_e64 v7, v7, 1, s[0:1]
	v_cndmask_b32_e32 v2, v2, v4, vcc
	v_cndmask_b32_e32 v3, v3, v5, vcc
	v_cmp_eq_u32_e32 vcc, 1, v6
	v_cndmask_b32_e32 v7, v1, v7, vcc
	v_cndmask_b32_e32 v3, v5, v3, vcc
	;; [unrolled: 1-line block ×3, first 2 shown]
.LBB1182_168:
	s_or_b64 exec, exec, s[2:3]
	s_waitcnt vmcnt(1)
	v_mbcnt_lo_u32_b32 v1, -1, 0
	v_mbcnt_hi_u32_b32 v1, -1, v1
	v_and_b32_e32 v8, 63, v1
	v_cmp_ne_u32_e32 vcc, 63, v8
	s_waitcnt vmcnt(0)
	v_addc_co_u32_e32 v4, vcc, 0, v1, vcc
	v_and_b32_e32 v6, 0xff, v7
	v_lshlrev_b32_e32 v5, 2, v4
	ds_bpermute_b32 v10, v5, v6
	ds_bpermute_b32 v4, v5, v2
	;; [unrolled: 1-line block ×3, first 2 shown]
	s_min_u32 s8, s8, 0x100
	v_and_b32_e32 v9, 0xc0, v0
	v_sub_u32_e64 v9, s8, v9 clamp
	v_add_u32_e32 v11, 1, v8
	v_cmp_lt_u32_e32 vcc, v11, v9
	s_and_saveexec_b64 s[2:3], vcc
	s_cbranch_execz .LBB1182_170
; %bb.169:
	s_waitcnt lgkmcnt(2)
	v_and_b32_e32 v11, 1, v10
	s_waitcnt lgkmcnt(0)
	v_cmp_lt_i64_e32 vcc, v[4:5], v[2:3]
	v_cmp_eq_u32_e64 s[0:1], 1, v11
	v_and_b32_e32 v6, 1, v7
	s_and_b64 vcc, s[0:1], vcc
	v_cndmask_b32_e64 v7, v7, 1, s[0:1]
	v_cndmask_b32_e32 v2, v2, v4, vcc
	v_cndmask_b32_e32 v3, v3, v5, vcc
	v_cmp_eq_u32_e32 vcc, 1, v6
	v_cndmask_b32_e32 v7, v10, v7, vcc
	v_cndmask_b32_e32 v3, v5, v3, vcc
	v_cndmask_b32_e32 v2, v4, v2, vcc
	v_and_b32_e32 v6, 0xff, v7
.LBB1182_170:
	s_or_b64 exec, exec, s[2:3]
	v_cmp_gt_u32_e32 vcc, 62, v8
	s_waitcnt lgkmcnt(1)
	v_cndmask_b32_e64 v4, 0, 1, vcc
	v_lshlrev_b32_e32 v4, 1, v4
	s_waitcnt lgkmcnt(0)
	v_add_lshl_u32 v5, v4, v1, 2
	ds_bpermute_b32 v10, v5, v6
	ds_bpermute_b32 v4, v5, v2
	ds_bpermute_b32 v5, v5, v3
	v_add_u32_e32 v11, 2, v8
	v_cmp_lt_u32_e32 vcc, v11, v9
	s_and_saveexec_b64 s[2:3], vcc
	s_cbranch_execz .LBB1182_172
; %bb.171:
	s_waitcnt lgkmcnt(2)
	v_and_b32_e32 v11, 1, v10
	s_waitcnt lgkmcnt(0)
	v_cmp_lt_i64_e32 vcc, v[4:5], v[2:3]
	v_cmp_eq_u32_e64 s[0:1], 1, v11
	v_and_b32_e32 v6, 1, v7
	s_and_b64 vcc, s[0:1], vcc
	v_cndmask_b32_e64 v7, v7, 1, s[0:1]
	v_cndmask_b32_e32 v2, v2, v4, vcc
	v_cndmask_b32_e32 v3, v3, v5, vcc
	v_cmp_eq_u32_e32 vcc, 1, v6
	v_cndmask_b32_e32 v7, v10, v7, vcc
	v_cndmask_b32_e32 v3, v5, v3, vcc
	v_cndmask_b32_e32 v2, v4, v2, vcc
	v_and_b32_e32 v6, 0xff, v7
.LBB1182_172:
	s_or_b64 exec, exec, s[2:3]
	v_cmp_gt_u32_e32 vcc, 60, v8
	s_waitcnt lgkmcnt(1)
	v_cndmask_b32_e64 v4, 0, 1, vcc
	v_lshlrev_b32_e32 v4, 2, v4
	s_waitcnt lgkmcnt(0)
	v_add_lshl_u32 v5, v4, v1, 2
	ds_bpermute_b32 v10, v5, v6
	ds_bpermute_b32 v4, v5, v2
	ds_bpermute_b32 v5, v5, v3
	;; [unrolled: 31-line block ×5, first 2 shown]
	v_add_u32_e32 v8, 32, v8
	v_cmp_lt_u32_e32 vcc, v8, v9
	s_and_saveexec_b64 s[2:3], vcc
	s_cbranch_execz .LBB1182_180
; %bb.179:
	s_waitcnt lgkmcnt(2)
	v_and_b32_e32 v8, 1, v10
	s_waitcnt lgkmcnt(0)
	v_cmp_lt_i64_e32 vcc, v[4:5], v[2:3]
	v_cmp_eq_u32_e64 s[0:1], 1, v8
	v_and_b32_e32 v6, 1, v7
	s_and_b64 vcc, s[0:1], vcc
	v_cndmask_b32_e64 v7, v7, 1, s[0:1]
	v_cndmask_b32_e32 v2, v2, v4, vcc
	v_cndmask_b32_e32 v3, v3, v5, vcc
	v_cmp_eq_u32_e32 vcc, 1, v6
	v_cndmask_b32_e32 v7, v10, v7, vcc
	v_cndmask_b32_e32 v3, v5, v3, vcc
	;; [unrolled: 1-line block ×3, first 2 shown]
	v_and_b32_e32 v6, 0xff, v7
.LBB1182_180:
	s_or_b64 exec, exec, s[2:3]
	v_cmp_eq_u32_e32 vcc, 0, v1
	s_and_saveexec_b64 s[0:1], vcc
	s_cbranch_execz .LBB1182_182
; %bb.181:
	s_waitcnt lgkmcnt(1)
	v_lshrrev_b32_e32 v4, 2, v0
	v_and_b32_e32 v4, 48, v4
	ds_write_b8 v4, v7 offset:256
	ds_write_b64 v4, v[2:3] offset:264
.LBB1182_182:
	s_or_b64 exec, exec, s[0:1]
	v_cmp_gt_u32_e32 vcc, 4, v0
	s_waitcnt lgkmcnt(0)
	s_barrier
	s_and_saveexec_b64 s[2:3], vcc
	s_cbranch_execz .LBB1182_188
; %bb.183:
	v_lshlrev_b32_e32 v2, 4, v1
	ds_read_u8 v7, v2 offset:256
	ds_read_b64 v[2:3], v2 offset:264
	v_and_b32_e32 v8, 3, v1
	v_cmp_ne_u32_e32 vcc, 3, v8
	v_addc_co_u32_e32 v4, vcc, 0, v1, vcc
	s_waitcnt lgkmcnt(1)
	v_and_b32_e32 v6, 0xff, v7
	v_lshlrev_b32_e32 v5, 2, v4
	ds_bpermute_b32 v9, v5, v6
	s_waitcnt lgkmcnt(1)
	ds_bpermute_b32 v4, v5, v2
	ds_bpermute_b32 v5, v5, v3
	s_add_i32 s8, s8, 63
	s_lshr_b32 s12, s8, 6
	v_add_u32_e32 v10, 1, v8
	v_cmp_gt_u32_e32 vcc, s12, v10
	s_and_saveexec_b64 s[8:9], vcc
	s_cbranch_execz .LBB1182_185
; %bb.184:
	s_waitcnt lgkmcnt(2)
	v_and_b32_e32 v10, 1, v9
	s_waitcnt lgkmcnt(0)
	v_cmp_lt_i64_e32 vcc, v[4:5], v[2:3]
	v_cmp_eq_u32_e64 s[0:1], 1, v10
	v_and_b32_e32 v6, 1, v7
	s_and_b64 vcc, s[0:1], vcc
	v_cndmask_b32_e64 v7, v7, 1, s[0:1]
	v_cndmask_b32_e32 v2, v2, v4, vcc
	v_cndmask_b32_e32 v3, v3, v5, vcc
	v_cmp_eq_u32_e32 vcc, 1, v6
	v_cndmask_b32_e32 v7, v9, v7, vcc
	v_cndmask_b32_e32 v3, v5, v3, vcc
	;; [unrolled: 1-line block ×3, first 2 shown]
	v_and_b32_e32 v6, 0xff, v7
.LBB1182_185:
	s_or_b64 exec, exec, s[8:9]
	v_cmp_gt_u32_e32 vcc, 2, v8
	s_waitcnt lgkmcnt(1)
	v_cndmask_b32_e64 v4, 0, 1, vcc
	v_lshlrev_b32_e32 v4, 1, v4
	s_waitcnt lgkmcnt(0)
	v_add_lshl_u32 v5, v4, v1, 2
	ds_bpermute_b32 v1, v5, v6
	ds_bpermute_b32 v4, v5, v2
	;; [unrolled: 1-line block ×3, first 2 shown]
	v_add_u32_e32 v8, 2, v8
	v_cmp_gt_u32_e32 vcc, s12, v8
	s_and_saveexec_b64 s[8:9], vcc
	s_cbranch_execz .LBB1182_187
; %bb.186:
	s_waitcnt lgkmcnt(2)
	v_and_b32_e32 v8, 1, v1
	s_waitcnt lgkmcnt(0)
	v_cmp_lt_i64_e32 vcc, v[4:5], v[2:3]
	v_cmp_eq_u32_e64 s[0:1], 1, v8
	v_and_b32_e32 v6, 1, v7
	s_and_b64 vcc, s[0:1], vcc
	v_cndmask_b32_e64 v7, v7, 1, s[0:1]
	v_cndmask_b32_e32 v2, v2, v4, vcc
	v_cndmask_b32_e32 v3, v3, v5, vcc
	v_cmp_eq_u32_e32 vcc, 1, v6
	v_cndmask_b32_e32 v1, v1, v7, vcc
	v_cndmask_b32_e32 v3, v5, v3, vcc
	;; [unrolled: 1-line block ×3, first 2 shown]
	v_and_b32_e32 v6, 0xff, v1
.LBB1182_187:
	s_or_b64 exec, exec, s[8:9]
.LBB1182_188:
	s_or_b64 exec, exec, s[2:3]
.LBB1182_189:
	v_cmp_eq_u32_e32 vcc, 0, v0
                                        ; implicit-def: $vgpr4_vgpr5
                                        ; implicit-def: $vgpr1
	s_and_saveexec_b64 s[0:1], vcc
	s_xor_b64 s[8:9], exec, s[0:1]
	s_cbranch_execz .LBB1182_193
; %bb.190:
	s_cmp_eq_u64 s[22:23], 0
	s_waitcnt lgkmcnt(0)
	v_pk_mov_b32 v[4:5], s[18:19], s[18:19] op_sel:[0,1]
	v_mov_b32_e32 v1, s28
	s_cbranch_scc1 .LBB1182_192
; %bb.191:
	v_and_b32_e32 v1, 1, v6
	s_bitcmp1_b32 s28, 0
	v_mov_b32_e32 v4, s28
	v_cmp_eq_u32_e32 vcc, 1, v1
	v_cmp_gt_i64_e64 s[2:3], s[18:19], v[2:3]
	v_cndmask_b32_e64 v1, v4, 1, vcc
	s_cselect_b64 s[0:1], -1, 0
	v_mov_b32_e32 v4, s18
	s_and_b64 vcc, vcc, s[2:3]
	v_mov_b32_e32 v5, s19
	v_cndmask_b32_e32 v4, v4, v2, vcc
	v_cndmask_b32_e32 v5, v5, v3, vcc
	v_cndmask_b32_e64 v1, v6, v1, s[0:1]
	v_cndmask_b32_e64 v5, v3, v5, s[0:1]
	;; [unrolled: 1-line block ×3, first 2 shown]
.LBB1182_192:
	s_or_b64 s[10:11], s[10:11], exec
.LBB1182_193:
	s_or_b64 exec, exec, s[8:9]
	s_branch .LBB1182_214
.LBB1182_194:
	s_cmp_eq_u32 s29, 1
	s_cbranch_scc0 .LBB1182_213
; %bb.195:
	s_mov_b32 s3, 0
	s_lshl_b32 s2, s6, 8
	s_mov_b32 s7, s3
	s_lshr_b64 s[0:1], s[22:23], 8
	s_cmp_lg_u64 s[0:1], s[6:7]
	s_cbranch_scc0 .LBB1182_217
; %bb.196:
	s_lshl_b64 s[0:1], s[2:3], 4
	s_add_u32 s0, s20, s0
	s_addc_u32 s1, s21, s1
	s_waitcnt lgkmcnt(2)
	v_lshlrev_b32_e32 v1, 4, v0
	s_waitcnt lgkmcnt(1)
	global_load_ubyte v4, v1, s[0:1]
	global_load_dwordx2 v[2:3], v1, s[0:1] offset:8
	s_waitcnt vmcnt(1)
	v_and_b32_e32 v1, 1, v4
	s_nop 1
	v_mov_b32_dpp v6, v1 quad_perm:[1,0,3,2] row_mask:0xf bank_mask:0xf bound_ctrl:1
	v_and_b32_e32 v7, 1, v6
	s_waitcnt vmcnt(0)
	v_mov_b32_dpp v4, v2 quad_perm:[1,0,3,2] row_mask:0xf bank_mask:0xf bound_ctrl:1
	s_waitcnt lgkmcnt(0)
	v_mov_b32_dpp v5, v3 quad_perm:[1,0,3,2] row_mask:0xf bank_mask:0xf bound_ctrl:1
	v_cmp_eq_u32_e32 vcc, 1, v7
	v_cmp_eq_u32_e64 s[0:1], 1, v1
	s_and_saveexec_b64 s[8:9], vcc
; %bb.197:
	v_cmp_lt_i64_e32 vcc, v[2:3], v[4:5]
	v_cndmask_b32_e64 v6, v6, 1, s[0:1]
	s_and_b64 vcc, s[0:1], vcc
	v_cndmask_b32_e32 v2, v4, v2, vcc
	v_and_b32_e32 v4, 1, v6
	v_cndmask_b32_e32 v3, v5, v3, vcc
	v_cmp_eq_u32_e32 vcc, 1, v4
	s_andn2_b64 s[0:1], s[0:1], exec
	s_and_b64 s[12:13], vcc, exec
	v_and_b32_e32 v1, 0xff, v6
	s_or_b64 s[0:1], s[0:1], s[12:13]
; %bb.198:
	s_or_b64 exec, exec, s[8:9]
	v_mov_b32_dpp v6, v1 quad_perm:[2,3,0,1] row_mask:0xf bank_mask:0xf bound_ctrl:1
	v_and_b32_e32 v7, 1, v6
	v_mov_b32_dpp v4, v2 quad_perm:[2,3,0,1] row_mask:0xf bank_mask:0xf bound_ctrl:1
	v_mov_b32_dpp v5, v3 quad_perm:[2,3,0,1] row_mask:0xf bank_mask:0xf bound_ctrl:1
	v_cmp_eq_u32_e32 vcc, 1, v7
	s_and_saveexec_b64 s[8:9], vcc
; %bb.199:
	v_cmp_lt_i64_e32 vcc, v[2:3], v[4:5]
	v_cndmask_b32_e64 v6, v6, 1, s[0:1]
	s_and_b64 vcc, s[0:1], vcc
	v_cndmask_b32_e32 v2, v4, v2, vcc
	v_and_b32_e32 v4, 1, v6
	v_cndmask_b32_e32 v3, v5, v3, vcc
	v_cmp_eq_u32_e32 vcc, 1, v4
	s_andn2_b64 s[0:1], s[0:1], exec
	s_and_b64 s[12:13], vcc, exec
	v_and_b32_e32 v1, 0xff, v6
	s_or_b64 s[0:1], s[0:1], s[12:13]
; %bb.200:
	s_or_b64 exec, exec, s[8:9]
	v_mov_b32_dpp v6, v1 row_ror:4 row_mask:0xf bank_mask:0xf bound_ctrl:1
	v_and_b32_e32 v7, 1, v6
	v_mov_b32_dpp v4, v2 row_ror:4 row_mask:0xf bank_mask:0xf bound_ctrl:1
	v_mov_b32_dpp v5, v3 row_ror:4 row_mask:0xf bank_mask:0xf bound_ctrl:1
	v_cmp_eq_u32_e32 vcc, 1, v7
	s_and_saveexec_b64 s[8:9], vcc
; %bb.201:
	v_cmp_lt_i64_e32 vcc, v[2:3], v[4:5]
	v_cndmask_b32_e64 v6, v6, 1, s[0:1]
	s_and_b64 vcc, s[0:1], vcc
	v_cndmask_b32_e32 v2, v4, v2, vcc
	v_and_b32_e32 v4, 1, v6
	v_cndmask_b32_e32 v3, v5, v3, vcc
	v_cmp_eq_u32_e32 vcc, 1, v4
	s_andn2_b64 s[0:1], s[0:1], exec
	s_and_b64 s[12:13], vcc, exec
	v_and_b32_e32 v1, 0xff, v6
	s_or_b64 s[0:1], s[0:1], s[12:13]
; %bb.202:
	s_or_b64 exec, exec, s[8:9]
	v_mov_b32_dpp v6, v1 row_ror:8 row_mask:0xf bank_mask:0xf bound_ctrl:1
	v_and_b32_e32 v7, 1, v6
	v_mov_b32_dpp v4, v2 row_ror:8 row_mask:0xf bank_mask:0xf bound_ctrl:1
	v_mov_b32_dpp v5, v3 row_ror:8 row_mask:0xf bank_mask:0xf bound_ctrl:1
	v_cmp_eq_u32_e32 vcc, 1, v7
	s_and_saveexec_b64 s[8:9], vcc
; %bb.203:
	v_cmp_lt_i64_e32 vcc, v[2:3], v[4:5]
	v_cndmask_b32_e64 v6, v6, 1, s[0:1]
	s_and_b64 vcc, s[0:1], vcc
	v_cndmask_b32_e32 v2, v4, v2, vcc
	v_and_b32_e32 v4, 1, v6
	v_cndmask_b32_e32 v3, v5, v3, vcc
	v_cmp_eq_u32_e32 vcc, 1, v4
	s_andn2_b64 s[0:1], s[0:1], exec
	s_and_b64 s[12:13], vcc, exec
	v_and_b32_e32 v1, 0xff, v6
	s_or_b64 s[0:1], s[0:1], s[12:13]
; %bb.204:
	s_or_b64 exec, exec, s[8:9]
	v_mov_b32_dpp v6, v1 row_bcast:15 row_mask:0xf bank_mask:0xf bound_ctrl:1
	v_and_b32_e32 v7, 1, v6
	v_mov_b32_dpp v4, v2 row_bcast:15 row_mask:0xf bank_mask:0xf bound_ctrl:1
	v_mov_b32_dpp v5, v3 row_bcast:15 row_mask:0xf bank_mask:0xf bound_ctrl:1
	v_cmp_eq_u32_e32 vcc, 1, v7
	s_and_saveexec_b64 s[8:9], vcc
; %bb.205:
	v_cmp_lt_i64_e32 vcc, v[2:3], v[4:5]
	v_cndmask_b32_e64 v6, v6, 1, s[0:1]
	s_and_b64 vcc, s[0:1], vcc
	v_cndmask_b32_e32 v2, v4, v2, vcc
	v_and_b32_e32 v4, 1, v6
	v_cndmask_b32_e32 v3, v5, v3, vcc
	v_cmp_eq_u32_e32 vcc, 1, v4
	s_andn2_b64 s[0:1], s[0:1], exec
	s_and_b64 s[12:13], vcc, exec
	v_and_b32_e32 v1, 0xff, v6
	s_or_b64 s[0:1], s[0:1], s[12:13]
; %bb.206:
	s_or_b64 exec, exec, s[8:9]
	v_mov_b32_dpp v6, v1 row_bcast:31 row_mask:0xf bank_mask:0xf bound_ctrl:1
	v_and_b32_e32 v7, 1, v6
	v_mov_b32_dpp v4, v2 row_bcast:31 row_mask:0xf bank_mask:0xf bound_ctrl:1
	v_mov_b32_dpp v5, v3 row_bcast:31 row_mask:0xf bank_mask:0xf bound_ctrl:1
	v_cmp_eq_u32_e32 vcc, 1, v7
	s_and_saveexec_b64 s[8:9], vcc
; %bb.207:
	v_cmp_lt_i64_e32 vcc, v[2:3], v[4:5]
	v_and_b32_e32 v1, 0xff, v6
	s_and_b64 vcc, s[0:1], vcc
	v_cndmask_b32_e32 v2, v4, v2, vcc
	v_cndmask_b32_e32 v3, v5, v3, vcc
	v_cndmask_b32_e64 v1, v1, 1, s[0:1]
; %bb.208:
	s_or_b64 exec, exec, s[8:9]
	v_mbcnt_lo_u32_b32 v4, -1, 0
	v_mbcnt_hi_u32_b32 v4, -1, v4
	v_bfrev_b32_e32 v5, 0.5
	v_lshl_or_b32 v5, v4, 2, v5
	ds_bpermute_b32 v6, v5, v1
	ds_bpermute_b32 v2, v5, v2
	;; [unrolled: 1-line block ×3, first 2 shown]
	v_cmp_eq_u32_e32 vcc, 0, v4
	s_and_saveexec_b64 s[0:1], vcc
	s_cbranch_execz .LBB1182_210
; %bb.209:
	v_lshrrev_b32_e32 v1, 2, v0
	v_and_b32_e32 v1, 48, v1
	s_waitcnt lgkmcnt(2)
	ds_write_b8 v1, v6
	s_waitcnt lgkmcnt(1)
	ds_write_b64 v1, v[2:3] offset:8
.LBB1182_210:
	s_or_b64 exec, exec, s[0:1]
	v_cmp_gt_u32_e32 vcc, 64, v0
	s_waitcnt lgkmcnt(0)
	s_barrier
	s_and_saveexec_b64 s[8:9], vcc
	s_cbranch_execz .LBB1182_212
; %bb.211:
	v_and_b32_e32 v1, 3, v4
	v_lshlrev_b32_e32 v2, 4, v1
	ds_read_u8 v5, v2
	ds_read_b64 v[2:3], v2 offset:8
	v_cmp_ne_u32_e32 vcc, 3, v1
	v_addc_co_u32_e32 v6, vcc, 0, v4, vcc
	s_waitcnt lgkmcnt(1)
	v_and_b32_e32 v7, 0xff, v5
	v_lshlrev_b32_e32 v8, 2, v6
	ds_bpermute_b32 v9, v8, v7
	s_waitcnt lgkmcnt(1)
	ds_bpermute_b32 v6, v8, v2
	ds_bpermute_b32 v7, v8, v3
	v_and_b32_e32 v8, 1, v5
	s_waitcnt lgkmcnt(2)
	v_and_b32_e32 v10, 1, v9
	v_cmp_eq_u32_e64 s[0:1], 1, v10
	s_waitcnt lgkmcnt(0)
	v_cmp_lt_i64_e32 vcc, v[6:7], v[2:3]
	s_and_b64 vcc, s[0:1], vcc
	v_cndmask_b32_e64 v5, v5, 1, s[0:1]
	v_cndmask_b32_e32 v2, v2, v6, vcc
	v_cndmask_b32_e32 v3, v3, v7, vcc
	v_cmp_eq_u32_e32 vcc, 1, v8
	v_cndmask_b32_e32 v8, v9, v5, vcc
	v_cndmask_b32_e32 v3, v7, v3, vcc
	v_cndmask_b32_e32 v2, v6, v2, vcc
	v_cmp_gt_u32_e32 vcc, 2, v1
	v_cndmask_b32_e64 v1, 0, 1, vcc
	v_lshlrev_b32_e32 v1, 1, v1
	v_and_b32_e32 v5, 0xff, v8
	v_add_lshl_u32 v1, v1, v4, 2
	ds_bpermute_b32 v6, v1, v5
	ds_bpermute_b32 v4, v1, v2
	;; [unrolled: 1-line block ×3, first 2 shown]
	v_and_b32_e32 v1, 1, v8
	s_waitcnt lgkmcnt(2)
	v_and_b32_e32 v7, 1, v6
	v_cmp_eq_u32_e64 s[0:1], 1, v7
	s_waitcnt lgkmcnt(0)
	v_cmp_lt_i64_e32 vcc, v[4:5], v[2:3]
	s_and_b64 vcc, s[0:1], vcc
	v_cndmask_b32_e64 v7, v8, 1, s[0:1]
	v_cndmask_b32_e32 v2, v2, v4, vcc
	v_cndmask_b32_e32 v3, v3, v5, vcc
	v_cmp_eq_u32_e32 vcc, 1, v1
	v_cndmask_b32_e32 v1, v6, v7, vcc
	v_cndmask_b32_e32 v3, v5, v3, vcc
	;; [unrolled: 1-line block ×3, first 2 shown]
	v_and_b32_e32 v6, 0xff, v1
.LBB1182_212:
	s_or_b64 exec, exec, s[8:9]
	s_branch .LBB1182_241
.LBB1182_213:
                                        ; implicit-def: $vgpr4_vgpr5
                                        ; implicit-def: $vgpr1
                                        ; implicit-def: $sgpr6_sgpr7
.LBB1182_214:
	s_and_saveexec_b64 s[0:1], s[10:11]
	s_cbranch_execz .LBB1182_216
.LBB1182_215:
	s_load_dwordx2 s[0:1], s[4:5], 0x18
	s_lshl_b64 s[2:3], s[6:7], 4
	v_mov_b32_e32 v0, 0
	s_waitcnt lgkmcnt(0)
	s_add_u32 s0, s0, s2
	s_addc_u32 s1, s1, s3
	global_store_byte v0, v1, s[0:1]
	global_store_dwordx2 v0, v[4:5], s[0:1] offset:8
.LBB1182_216:
	s_endpgm
.LBB1182_217:
                                        ; implicit-def: $vgpr2_vgpr3
                                        ; implicit-def: $vgpr6
	s_cbranch_execz .LBB1182_241
; %bb.218:
	s_sub_i32 s8, s22, s2
	v_cmp_gt_u32_e32 vcc, s8, v0
	v_pk_mov_b32 v[2:3], 0, 0
	v_mov_b32_e32 v7, 0
	s_and_saveexec_b64 s[0:1], vcc
	s_cbranch_execz .LBB1182_220
; %bb.219:
	s_lshl_b64 s[2:3], s[2:3], 4
	s_add_u32 s2, s20, s2
	s_addc_u32 s3, s21, s3
	s_waitcnt lgkmcnt(2)
	v_lshlrev_b32_e32 v1, 4, v0
	global_load_ubyte v7, v1, s[2:3]
	global_load_dwordx2 v[2:3], v1, s[2:3] offset:8
.LBB1182_220:
	s_or_b64 exec, exec, s[0:1]
	s_waitcnt lgkmcnt(2)
	v_mbcnt_lo_u32_b32 v1, -1, 0
	v_mbcnt_hi_u32_b32 v1, -1, v1
	v_and_b32_e32 v8, 63, v1
	v_cmp_ne_u32_e32 vcc, 63, v8
	s_waitcnt lgkmcnt(1)
	v_addc_co_u32_e32 v4, vcc, 0, v1, vcc
	s_waitcnt vmcnt(1)
	v_and_b32_e32 v6, 0xff, v7
	s_waitcnt lgkmcnt(0)
	v_lshlrev_b32_e32 v5, 2, v4
	ds_bpermute_b32 v10, v5, v6
	s_waitcnt vmcnt(0)
	ds_bpermute_b32 v4, v5, v2
	ds_bpermute_b32 v5, v5, v3
	s_min_u32 s8, s8, 0x100
	v_and_b32_e32 v9, 0xc0, v0
	v_sub_u32_e64 v9, s8, v9 clamp
	v_add_u32_e32 v11, 1, v8
	v_cmp_lt_u32_e32 vcc, v11, v9
	s_and_saveexec_b64 s[2:3], vcc
	s_cbranch_execz .LBB1182_222
; %bb.221:
	s_waitcnt lgkmcnt(2)
	v_and_b32_e32 v11, 1, v10
	s_waitcnt lgkmcnt(0)
	v_cmp_lt_i64_e32 vcc, v[4:5], v[2:3]
	v_cmp_eq_u32_e64 s[0:1], 1, v11
	v_and_b32_e32 v6, 1, v7
	s_and_b64 vcc, s[0:1], vcc
	v_cndmask_b32_e64 v7, v7, 1, s[0:1]
	v_cndmask_b32_e32 v2, v2, v4, vcc
	v_cndmask_b32_e32 v3, v3, v5, vcc
	v_cmp_eq_u32_e32 vcc, 1, v6
	v_cndmask_b32_e32 v7, v10, v7, vcc
	v_cndmask_b32_e32 v3, v5, v3, vcc
	v_cndmask_b32_e32 v2, v4, v2, vcc
	v_and_b32_e32 v6, 0xff, v7
.LBB1182_222:
	s_or_b64 exec, exec, s[2:3]
	v_cmp_gt_u32_e32 vcc, 62, v8
	s_waitcnt lgkmcnt(1)
	v_cndmask_b32_e64 v4, 0, 1, vcc
	v_lshlrev_b32_e32 v4, 1, v4
	s_waitcnt lgkmcnt(0)
	v_add_lshl_u32 v5, v4, v1, 2
	ds_bpermute_b32 v10, v5, v6
	ds_bpermute_b32 v4, v5, v2
	ds_bpermute_b32 v5, v5, v3
	v_add_u32_e32 v11, 2, v8
	v_cmp_lt_u32_e32 vcc, v11, v9
	s_and_saveexec_b64 s[2:3], vcc
	s_cbranch_execz .LBB1182_224
; %bb.223:
	s_waitcnt lgkmcnt(2)
	v_and_b32_e32 v11, 1, v10
	s_waitcnt lgkmcnt(0)
	v_cmp_lt_i64_e32 vcc, v[4:5], v[2:3]
	v_cmp_eq_u32_e64 s[0:1], 1, v11
	v_and_b32_e32 v6, 1, v7
	s_and_b64 vcc, s[0:1], vcc
	v_cndmask_b32_e64 v7, v7, 1, s[0:1]
	v_cndmask_b32_e32 v2, v2, v4, vcc
	v_cndmask_b32_e32 v3, v3, v5, vcc
	v_cmp_eq_u32_e32 vcc, 1, v6
	v_cndmask_b32_e32 v7, v10, v7, vcc
	v_cndmask_b32_e32 v3, v5, v3, vcc
	v_cndmask_b32_e32 v2, v4, v2, vcc
	v_and_b32_e32 v6, 0xff, v7
.LBB1182_224:
	s_or_b64 exec, exec, s[2:3]
	v_cmp_gt_u32_e32 vcc, 60, v8
	s_waitcnt lgkmcnt(1)
	v_cndmask_b32_e64 v4, 0, 1, vcc
	v_lshlrev_b32_e32 v4, 2, v4
	s_waitcnt lgkmcnt(0)
	v_add_lshl_u32 v5, v4, v1, 2
	ds_bpermute_b32 v10, v5, v6
	ds_bpermute_b32 v4, v5, v2
	ds_bpermute_b32 v5, v5, v3
	;; [unrolled: 31-line block ×5, first 2 shown]
	v_add_u32_e32 v8, 32, v8
	v_cmp_lt_u32_e32 vcc, v8, v9
	s_and_saveexec_b64 s[2:3], vcc
	s_cbranch_execz .LBB1182_232
; %bb.231:
	s_waitcnt lgkmcnt(2)
	v_and_b32_e32 v8, 1, v10
	s_waitcnt lgkmcnt(0)
	v_cmp_lt_i64_e32 vcc, v[4:5], v[2:3]
	v_cmp_eq_u32_e64 s[0:1], 1, v8
	v_and_b32_e32 v6, 1, v7
	s_and_b64 vcc, s[0:1], vcc
	v_cndmask_b32_e64 v7, v7, 1, s[0:1]
	v_cndmask_b32_e32 v2, v2, v4, vcc
	v_cndmask_b32_e32 v3, v3, v5, vcc
	v_cmp_eq_u32_e32 vcc, 1, v6
	v_cndmask_b32_e32 v7, v10, v7, vcc
	v_cndmask_b32_e32 v3, v5, v3, vcc
	;; [unrolled: 1-line block ×3, first 2 shown]
	v_and_b32_e32 v6, 0xff, v7
.LBB1182_232:
	s_or_b64 exec, exec, s[2:3]
	v_cmp_eq_u32_e32 vcc, 0, v1
	s_and_saveexec_b64 s[0:1], vcc
	s_cbranch_execz .LBB1182_234
; %bb.233:
	s_waitcnt lgkmcnt(1)
	v_lshrrev_b32_e32 v4, 2, v0
	v_and_b32_e32 v4, 48, v4
	ds_write_b8 v4, v7 offset:256
	ds_write_b64 v4, v[2:3] offset:264
.LBB1182_234:
	s_or_b64 exec, exec, s[0:1]
	v_cmp_gt_u32_e32 vcc, 4, v0
	s_waitcnt lgkmcnt(0)
	s_barrier
	s_and_saveexec_b64 s[2:3], vcc
	s_cbranch_execz .LBB1182_240
; %bb.235:
	v_lshlrev_b32_e32 v2, 4, v1
	ds_read_u8 v7, v2 offset:256
	ds_read_b64 v[2:3], v2 offset:264
	v_and_b32_e32 v8, 3, v1
	v_cmp_ne_u32_e32 vcc, 3, v8
	v_addc_co_u32_e32 v4, vcc, 0, v1, vcc
	s_waitcnt lgkmcnt(1)
	v_and_b32_e32 v6, 0xff, v7
	v_lshlrev_b32_e32 v5, 2, v4
	ds_bpermute_b32 v9, v5, v6
	s_waitcnt lgkmcnt(1)
	ds_bpermute_b32 v4, v5, v2
	ds_bpermute_b32 v5, v5, v3
	s_add_i32 s8, s8, 63
	s_lshr_b32 s12, s8, 6
	v_add_u32_e32 v10, 1, v8
	v_cmp_gt_u32_e32 vcc, s12, v10
	s_and_saveexec_b64 s[8:9], vcc
	s_cbranch_execz .LBB1182_237
; %bb.236:
	s_waitcnt lgkmcnt(2)
	v_and_b32_e32 v10, 1, v9
	s_waitcnt lgkmcnt(0)
	v_cmp_lt_i64_e32 vcc, v[4:5], v[2:3]
	v_cmp_eq_u32_e64 s[0:1], 1, v10
	v_and_b32_e32 v6, 1, v7
	s_and_b64 vcc, s[0:1], vcc
	v_cndmask_b32_e64 v7, v7, 1, s[0:1]
	v_cndmask_b32_e32 v2, v2, v4, vcc
	v_cndmask_b32_e32 v3, v3, v5, vcc
	v_cmp_eq_u32_e32 vcc, 1, v6
	v_cndmask_b32_e32 v7, v9, v7, vcc
	v_cndmask_b32_e32 v3, v5, v3, vcc
	;; [unrolled: 1-line block ×3, first 2 shown]
	v_and_b32_e32 v6, 0xff, v7
.LBB1182_237:
	s_or_b64 exec, exec, s[8:9]
	v_cmp_gt_u32_e32 vcc, 2, v8
	s_waitcnt lgkmcnt(1)
	v_cndmask_b32_e64 v4, 0, 1, vcc
	v_lshlrev_b32_e32 v4, 1, v4
	s_waitcnt lgkmcnt(0)
	v_add_lshl_u32 v5, v4, v1, 2
	ds_bpermute_b32 v1, v5, v6
	ds_bpermute_b32 v4, v5, v2
	;; [unrolled: 1-line block ×3, first 2 shown]
	v_add_u32_e32 v8, 2, v8
	v_cmp_gt_u32_e32 vcc, s12, v8
	s_and_saveexec_b64 s[8:9], vcc
	s_cbranch_execz .LBB1182_239
; %bb.238:
	s_waitcnt lgkmcnt(2)
	v_and_b32_e32 v8, 1, v1
	s_waitcnt lgkmcnt(0)
	v_cmp_lt_i64_e32 vcc, v[4:5], v[2:3]
	v_cmp_eq_u32_e64 s[0:1], 1, v8
	v_and_b32_e32 v6, 1, v7
	s_and_b64 vcc, s[0:1], vcc
	v_cndmask_b32_e64 v7, v7, 1, s[0:1]
	v_cndmask_b32_e32 v2, v2, v4, vcc
	v_cndmask_b32_e32 v3, v3, v5, vcc
	v_cmp_eq_u32_e32 vcc, 1, v6
	v_cndmask_b32_e32 v1, v1, v7, vcc
	v_cndmask_b32_e32 v3, v5, v3, vcc
	v_cndmask_b32_e32 v2, v4, v2, vcc
	v_and_b32_e32 v6, 0xff, v1
.LBB1182_239:
	s_or_b64 exec, exec, s[8:9]
.LBB1182_240:
	s_or_b64 exec, exec, s[2:3]
.LBB1182_241:
	v_cmp_eq_u32_e32 vcc, 0, v0
                                        ; implicit-def: $vgpr4_vgpr5
                                        ; implicit-def: $vgpr1
	s_and_saveexec_b64 s[8:9], vcc
	s_cbranch_execz .LBB1182_245
; %bb.242:
	s_cmp_eq_u64 s[22:23], 0
	s_waitcnt lgkmcnt(0)
	v_pk_mov_b32 v[4:5], s[18:19], s[18:19] op_sel:[0,1]
	v_mov_b32_e32 v1, s28
	s_cbranch_scc1 .LBB1182_244
; %bb.243:
	v_and_b32_e32 v0, 1, v6
	s_bitcmp1_b32 s28, 0
	v_mov_b32_e32 v1, s28
	v_cmp_eq_u32_e32 vcc, 1, v0
	v_cmp_gt_i64_e64 s[2:3], s[18:19], v[2:3]
	v_cndmask_b32_e64 v0, v1, 1, vcc
	s_cselect_b64 s[0:1], -1, 0
	v_mov_b32_e32 v1, s18
	s_and_b64 vcc, vcc, s[2:3]
	v_cndmask_b32_e32 v4, v1, v2, vcc
	v_mov_b32_e32 v1, s19
	v_cndmask_b32_e32 v5, v1, v3, vcc
	v_cndmask_b32_e64 v1, v6, v0, s[0:1]
	v_cndmask_b32_e64 v5, v3, v5, s[0:1]
	;; [unrolled: 1-line block ×3, first 2 shown]
.LBB1182_244:
	s_or_b64 s[10:11], s[10:11], exec
.LBB1182_245:
	s_or_b64 exec, exec, s[8:9]
	s_and_saveexec_b64 s[0:1], s[10:11]
	s_cbranch_execnz .LBB1182_215
	s_branch .LBB1182_216
.LBB1182_246:
	v_lshlrev_b32_e32 v25, 4, v25
	global_load_ubyte v1, v25, s[16:17]
	global_load_dwordx2 v[4:5], v25, s[16:17] offset:8
	s_or_b64 exec, exec, s[26:27]
	s_and_saveexec_b64 s[26:27], s[14:15]
	s_cbranch_execz .LBB1182_65
.LBB1182_247:
	s_waitcnt vmcnt(1)
	v_and_b32_e32 v26, 1, v23
	s_waitcnt vmcnt(0)
	v_cmp_lt_i64_e64 s[14:15], v[14:15], v[2:3]
	v_cmp_eq_u32_e64 s[16:17], 1, v26
	v_and_b32_e32 v25, 1, v18
	s_and_b64 s[14:15], s[16:17], s[14:15]
	v_cndmask_b32_e64 v18, v18, 1, s[16:17]
	v_cndmask_b32_e64 v2, v2, v14, s[14:15]
	;; [unrolled: 1-line block ×3, first 2 shown]
	v_cmp_eq_u32_e64 s[14:15], 1, v25
	v_cndmask_b32_e64 v18, v23, v18, s[14:15]
	v_cndmask_b32_e64 v3, v15, v3, s[14:15]
	;; [unrolled: 1-line block ×3, first 2 shown]
	s_or_b64 exec, exec, s[26:27]
	s_and_saveexec_b64 s[16:17], s[12:13]
	s_cbranch_execz .LBB1182_66
.LBB1182_248:
	s_waitcnt vmcnt(0)
	v_and_b32_e32 v15, 1, v24
	v_cmp_lt_i64_e64 s[12:13], v[16:17], v[2:3]
	v_cmp_eq_u32_e64 s[14:15], 1, v15
	v_and_b32_e32 v14, 1, v18
	s_and_b64 s[12:13], s[14:15], s[12:13]
	v_cndmask_b32_e64 v15, v18, 1, s[14:15]
	v_cndmask_b32_e64 v2, v2, v16, s[12:13]
	;; [unrolled: 1-line block ×3, first 2 shown]
	v_cmp_eq_u32_e64 s[12:13], 1, v14
	v_cndmask_b32_e64 v18, v24, v15, s[12:13]
	v_cndmask_b32_e64 v3, v17, v3, s[12:13]
	;; [unrolled: 1-line block ×3, first 2 shown]
	s_or_b64 exec, exec, s[16:17]
	s_and_saveexec_b64 s[14:15], s[10:11]
	s_cbranch_execz .LBB1182_67
.LBB1182_249:
	s_waitcnt vmcnt(0)
	v_and_b32_e32 v15, 1, v21
	v_cmp_lt_i64_e64 s[10:11], v[10:11], v[2:3]
	v_cmp_eq_u32_e64 s[12:13], 1, v15
	v_and_b32_e32 v14, 1, v18
	s_and_b64 s[10:11], s[12:13], s[10:11]
	v_cndmask_b32_e64 v15, v18, 1, s[12:13]
	v_cndmask_b32_e64 v2, v2, v10, s[10:11]
	;; [unrolled: 1-line block ×3, first 2 shown]
	v_cmp_eq_u32_e64 s[10:11], 1, v14
	v_cndmask_b32_e64 v18, v21, v15, s[10:11]
	v_cndmask_b32_e64 v3, v11, v3, s[10:11]
	;; [unrolled: 1-line block ×3, first 2 shown]
	s_or_b64 exec, exec, s[14:15]
	s_and_saveexec_b64 s[12:13], s[8:9]
	s_cbranch_execz .LBB1182_68
.LBB1182_250:
	s_waitcnt vmcnt(0)
	v_and_b32_e32 v11, 1, v22
	v_cmp_lt_i64_e64 s[8:9], v[12:13], v[2:3]
	v_cmp_eq_u32_e64 s[10:11], 1, v11
	v_and_b32_e32 v10, 1, v18
	s_and_b64 s[8:9], s[10:11], s[8:9]
	v_cndmask_b32_e64 v11, v18, 1, s[10:11]
	v_cndmask_b32_e64 v2, v2, v12, s[8:9]
	;; [unrolled: 1-line block ×3, first 2 shown]
	v_cmp_eq_u32_e64 s[8:9], 1, v10
	v_cndmask_b32_e64 v18, v22, v11, s[8:9]
	v_cndmask_b32_e64 v3, v13, v3, s[8:9]
	;; [unrolled: 1-line block ×3, first 2 shown]
	s_or_b64 exec, exec, s[12:13]
	s_and_saveexec_b64 s[10:11], s[2:3]
	s_cbranch_execz .LBB1182_69
.LBB1182_251:
	s_waitcnt vmcnt(0)
	v_and_b32_e32 v11, 1, v19
	v_cmp_lt_i64_e64 s[2:3], v[6:7], v[2:3]
	v_cmp_eq_u32_e64 s[8:9], 1, v11
	v_and_b32_e32 v10, 1, v18
	s_and_b64 s[2:3], s[8:9], s[2:3]
	v_cndmask_b32_e64 v11, v18, 1, s[8:9]
	v_cndmask_b32_e64 v2, v2, v6, s[2:3]
	v_cndmask_b32_e64 v3, v3, v7, s[2:3]
	v_cmp_eq_u32_e64 s[2:3], 1, v10
	v_cndmask_b32_e64 v18, v19, v11, s[2:3]
	v_cndmask_b32_e64 v3, v7, v3, s[2:3]
	v_cndmask_b32_e64 v2, v6, v2, s[2:3]
	s_or_b64 exec, exec, s[10:11]
	s_and_saveexec_b64 s[8:9], s[0:1]
	s_cbranch_execz .LBB1182_70
.LBB1182_252:
	s_waitcnt vmcnt(0)
	v_and_b32_e32 v7, 1, v20
	v_cmp_lt_i64_e64 s[0:1], v[8:9], v[2:3]
	v_cmp_eq_u32_e64 s[2:3], 1, v7
	v_and_b32_e32 v6, 1, v18
	s_and_b64 s[0:1], s[2:3], s[0:1]
	v_cndmask_b32_e64 v7, v18, 1, s[2:3]
	v_cndmask_b32_e64 v2, v2, v8, s[0:1]
	;; [unrolled: 1-line block ×3, first 2 shown]
	v_cmp_eq_u32_e64 s[0:1], 1, v6
	v_cndmask_b32_e64 v18, v20, v7, s[0:1]
	v_cndmask_b32_e64 v3, v9, v3, s[0:1]
	;; [unrolled: 1-line block ×3, first 2 shown]
	s_or_b64 exec, exec, s[8:9]
	s_and_saveexec_b64 s[2:3], vcc
	s_cbranch_execnz .LBB1182_71
	s_branch .LBB1182_72
.LBB1182_253:
	v_lshlrev_b32_e32 v13, 4, v13
	global_load_ubyte v1, v13, s[8:9]
	global_load_dwordx2 v[4:5], v13, s[8:9] offset:8
	s_or_b64 exec, exec, s[12:13]
	s_and_saveexec_b64 s[12:13], s[2:3]
	s_cbranch_execz .LBB1182_108
.LBB1182_254:
	s_waitcnt vmcnt(1)
	v_and_b32_e32 v14, 1, v11
	s_waitcnt vmcnt(0)
	v_cmp_lt_i64_e64 s[2:3], v[6:7], v[2:3]
	v_cmp_eq_u32_e64 s[8:9], 1, v14
	v_and_b32_e32 v13, 1, v10
	s_and_b64 s[2:3], s[8:9], s[2:3]
	v_cndmask_b32_e64 v10, v10, 1, s[8:9]
	v_cndmask_b32_e64 v2, v2, v6, s[2:3]
	;; [unrolled: 1-line block ×3, first 2 shown]
	v_cmp_eq_u32_e64 s[2:3], 1, v13
	v_cndmask_b32_e64 v10, v11, v10, s[2:3]
	v_cndmask_b32_e64 v3, v7, v3, s[2:3]
	;; [unrolled: 1-line block ×3, first 2 shown]
	s_or_b64 exec, exec, s[12:13]
	s_and_saveexec_b64 s[8:9], s[0:1]
	s_cbranch_execz .LBB1182_109
.LBB1182_255:
	s_waitcnt vmcnt(0)
	v_and_b32_e32 v7, 1, v12
	v_cmp_lt_i64_e64 s[0:1], v[8:9], v[2:3]
	v_cmp_eq_u32_e64 s[2:3], 1, v7
	v_and_b32_e32 v6, 1, v10
	s_and_b64 s[0:1], s[2:3], s[0:1]
	v_cndmask_b32_e64 v7, v10, 1, s[2:3]
	v_cndmask_b32_e64 v2, v2, v8, s[0:1]
	;; [unrolled: 1-line block ×3, first 2 shown]
	v_cmp_eq_u32_e64 s[0:1], 1, v6
	v_cndmask_b32_e64 v10, v12, v7, s[0:1]
	v_cndmask_b32_e64 v3, v9, v3, s[0:1]
	;; [unrolled: 1-line block ×3, first 2 shown]
	s_or_b64 exec, exec, s[8:9]
	s_and_saveexec_b64 s[2:3], vcc
	s_cbranch_execnz .LBB1182_110
	s_branch .LBB1182_111
	.section	.rodata,"a",@progbits
	.p2align	6, 0x0
	.amdhsa_kernel _ZN7rocprim17ROCPRIM_400000_NS6detail17trampoline_kernelINS0_14default_configENS1_22reduce_config_selectorIN6thrust23THRUST_200600_302600_NS5tupleIblNS6_9null_typeES8_S8_S8_S8_S8_S8_S8_EEEEZNS1_11reduce_implILb1ES3_PS9_SC_S9_NS6_11hip_rocprim9__find_if7functorIS9_EEEE10hipError_tPvRmT1_T2_T3_mT4_P12ihipStream_tbEUlT_E1_NS1_11comp_targetILNS1_3genE4ELNS1_11target_archE910ELNS1_3gpuE8ELNS1_3repE0EEENS1_30default_config_static_selectorELNS0_4arch9wavefront6targetE1EEEvSK_
		.amdhsa_group_segment_fixed_size 320
		.amdhsa_private_segment_fixed_size 0
		.amdhsa_kernarg_size 56
		.amdhsa_user_sgpr_count 6
		.amdhsa_user_sgpr_private_segment_buffer 1
		.amdhsa_user_sgpr_dispatch_ptr 0
		.amdhsa_user_sgpr_queue_ptr 0
		.amdhsa_user_sgpr_kernarg_segment_ptr 1
		.amdhsa_user_sgpr_dispatch_id 0
		.amdhsa_user_sgpr_flat_scratch_init 0
		.amdhsa_user_sgpr_kernarg_preload_length 0
		.amdhsa_user_sgpr_kernarg_preload_offset 0
		.amdhsa_user_sgpr_private_segment_size 0
		.amdhsa_uses_dynamic_stack 0
		.amdhsa_system_sgpr_private_segment_wavefront_offset 0
		.amdhsa_system_sgpr_workgroup_id_x 1
		.amdhsa_system_sgpr_workgroup_id_y 0
		.amdhsa_system_sgpr_workgroup_id_z 0
		.amdhsa_system_sgpr_workgroup_info 0
		.amdhsa_system_vgpr_workitem_id 0
		.amdhsa_next_free_vgpr 30
		.amdhsa_next_free_sgpr 31
		.amdhsa_accum_offset 32
		.amdhsa_reserve_vcc 1
		.amdhsa_reserve_flat_scratch 0
		.amdhsa_float_round_mode_32 0
		.amdhsa_float_round_mode_16_64 0
		.amdhsa_float_denorm_mode_32 3
		.amdhsa_float_denorm_mode_16_64 3
		.amdhsa_dx10_clamp 1
		.amdhsa_ieee_mode 1
		.amdhsa_fp16_overflow 0
		.amdhsa_tg_split 0
		.amdhsa_exception_fp_ieee_invalid_op 0
		.amdhsa_exception_fp_denorm_src 0
		.amdhsa_exception_fp_ieee_div_zero 0
		.amdhsa_exception_fp_ieee_overflow 0
		.amdhsa_exception_fp_ieee_underflow 0
		.amdhsa_exception_fp_ieee_inexact 0
		.amdhsa_exception_int_div_zero 0
	.end_amdhsa_kernel
	.section	.text._ZN7rocprim17ROCPRIM_400000_NS6detail17trampoline_kernelINS0_14default_configENS1_22reduce_config_selectorIN6thrust23THRUST_200600_302600_NS5tupleIblNS6_9null_typeES8_S8_S8_S8_S8_S8_S8_EEEEZNS1_11reduce_implILb1ES3_PS9_SC_S9_NS6_11hip_rocprim9__find_if7functorIS9_EEEE10hipError_tPvRmT1_T2_T3_mT4_P12ihipStream_tbEUlT_E1_NS1_11comp_targetILNS1_3genE4ELNS1_11target_archE910ELNS1_3gpuE8ELNS1_3repE0EEENS1_30default_config_static_selectorELNS0_4arch9wavefront6targetE1EEEvSK_,"axG",@progbits,_ZN7rocprim17ROCPRIM_400000_NS6detail17trampoline_kernelINS0_14default_configENS1_22reduce_config_selectorIN6thrust23THRUST_200600_302600_NS5tupleIblNS6_9null_typeES8_S8_S8_S8_S8_S8_S8_EEEEZNS1_11reduce_implILb1ES3_PS9_SC_S9_NS6_11hip_rocprim9__find_if7functorIS9_EEEE10hipError_tPvRmT1_T2_T3_mT4_P12ihipStream_tbEUlT_E1_NS1_11comp_targetILNS1_3genE4ELNS1_11target_archE910ELNS1_3gpuE8ELNS1_3repE0EEENS1_30default_config_static_selectorELNS0_4arch9wavefront6targetE1EEEvSK_,comdat
.Lfunc_end1182:
	.size	_ZN7rocprim17ROCPRIM_400000_NS6detail17trampoline_kernelINS0_14default_configENS1_22reduce_config_selectorIN6thrust23THRUST_200600_302600_NS5tupleIblNS6_9null_typeES8_S8_S8_S8_S8_S8_S8_EEEEZNS1_11reduce_implILb1ES3_PS9_SC_S9_NS6_11hip_rocprim9__find_if7functorIS9_EEEE10hipError_tPvRmT1_T2_T3_mT4_P12ihipStream_tbEUlT_E1_NS1_11comp_targetILNS1_3genE4ELNS1_11target_archE910ELNS1_3gpuE8ELNS1_3repE0EEENS1_30default_config_static_selectorELNS0_4arch9wavefront6targetE1EEEvSK_, .Lfunc_end1182-_ZN7rocprim17ROCPRIM_400000_NS6detail17trampoline_kernelINS0_14default_configENS1_22reduce_config_selectorIN6thrust23THRUST_200600_302600_NS5tupleIblNS6_9null_typeES8_S8_S8_S8_S8_S8_S8_EEEEZNS1_11reduce_implILb1ES3_PS9_SC_S9_NS6_11hip_rocprim9__find_if7functorIS9_EEEE10hipError_tPvRmT1_T2_T3_mT4_P12ihipStream_tbEUlT_E1_NS1_11comp_targetILNS1_3genE4ELNS1_11target_archE910ELNS1_3gpuE8ELNS1_3repE0EEENS1_30default_config_static_selectorELNS0_4arch9wavefront6targetE1EEEvSK_
                                        ; -- End function
	.section	.AMDGPU.csdata,"",@progbits
; Kernel info:
; codeLenInByte = 13260
; NumSgprs: 35
; NumVgprs: 30
; NumAgprs: 0
; TotalNumVgprs: 30
; ScratchSize: 0
; MemoryBound: 0
; FloatMode: 240
; IeeeMode: 1
; LDSByteSize: 320 bytes/workgroup (compile time only)
; SGPRBlocks: 4
; VGPRBlocks: 3
; NumSGPRsForWavesPerEU: 35
; NumVGPRsForWavesPerEU: 30
; AccumOffset: 32
; Occupancy: 8
; WaveLimiterHint : 1
; COMPUTE_PGM_RSRC2:SCRATCH_EN: 0
; COMPUTE_PGM_RSRC2:USER_SGPR: 6
; COMPUTE_PGM_RSRC2:TRAP_HANDLER: 0
; COMPUTE_PGM_RSRC2:TGID_X_EN: 1
; COMPUTE_PGM_RSRC2:TGID_Y_EN: 0
; COMPUTE_PGM_RSRC2:TGID_Z_EN: 0
; COMPUTE_PGM_RSRC2:TIDIG_COMP_CNT: 0
; COMPUTE_PGM_RSRC3_GFX90A:ACCUM_OFFSET: 7
; COMPUTE_PGM_RSRC3_GFX90A:TG_SPLIT: 0
	.section	.text._ZN7rocprim17ROCPRIM_400000_NS6detail17trampoline_kernelINS0_14default_configENS1_22reduce_config_selectorIN6thrust23THRUST_200600_302600_NS5tupleIblNS6_9null_typeES8_S8_S8_S8_S8_S8_S8_EEEEZNS1_11reduce_implILb1ES3_PS9_SC_S9_NS6_11hip_rocprim9__find_if7functorIS9_EEEE10hipError_tPvRmT1_T2_T3_mT4_P12ihipStream_tbEUlT_E1_NS1_11comp_targetILNS1_3genE3ELNS1_11target_archE908ELNS1_3gpuE7ELNS1_3repE0EEENS1_30default_config_static_selectorELNS0_4arch9wavefront6targetE1EEEvSK_,"axG",@progbits,_ZN7rocprim17ROCPRIM_400000_NS6detail17trampoline_kernelINS0_14default_configENS1_22reduce_config_selectorIN6thrust23THRUST_200600_302600_NS5tupleIblNS6_9null_typeES8_S8_S8_S8_S8_S8_S8_EEEEZNS1_11reduce_implILb1ES3_PS9_SC_S9_NS6_11hip_rocprim9__find_if7functorIS9_EEEE10hipError_tPvRmT1_T2_T3_mT4_P12ihipStream_tbEUlT_E1_NS1_11comp_targetILNS1_3genE3ELNS1_11target_archE908ELNS1_3gpuE7ELNS1_3repE0EEENS1_30default_config_static_selectorELNS0_4arch9wavefront6targetE1EEEvSK_,comdat
	.protected	_ZN7rocprim17ROCPRIM_400000_NS6detail17trampoline_kernelINS0_14default_configENS1_22reduce_config_selectorIN6thrust23THRUST_200600_302600_NS5tupleIblNS6_9null_typeES8_S8_S8_S8_S8_S8_S8_EEEEZNS1_11reduce_implILb1ES3_PS9_SC_S9_NS6_11hip_rocprim9__find_if7functorIS9_EEEE10hipError_tPvRmT1_T2_T3_mT4_P12ihipStream_tbEUlT_E1_NS1_11comp_targetILNS1_3genE3ELNS1_11target_archE908ELNS1_3gpuE7ELNS1_3repE0EEENS1_30default_config_static_selectorELNS0_4arch9wavefront6targetE1EEEvSK_ ; -- Begin function _ZN7rocprim17ROCPRIM_400000_NS6detail17trampoline_kernelINS0_14default_configENS1_22reduce_config_selectorIN6thrust23THRUST_200600_302600_NS5tupleIblNS6_9null_typeES8_S8_S8_S8_S8_S8_S8_EEEEZNS1_11reduce_implILb1ES3_PS9_SC_S9_NS6_11hip_rocprim9__find_if7functorIS9_EEEE10hipError_tPvRmT1_T2_T3_mT4_P12ihipStream_tbEUlT_E1_NS1_11comp_targetILNS1_3genE3ELNS1_11target_archE908ELNS1_3gpuE7ELNS1_3repE0EEENS1_30default_config_static_selectorELNS0_4arch9wavefront6targetE1EEEvSK_
	.globl	_ZN7rocprim17ROCPRIM_400000_NS6detail17trampoline_kernelINS0_14default_configENS1_22reduce_config_selectorIN6thrust23THRUST_200600_302600_NS5tupleIblNS6_9null_typeES8_S8_S8_S8_S8_S8_S8_EEEEZNS1_11reduce_implILb1ES3_PS9_SC_S9_NS6_11hip_rocprim9__find_if7functorIS9_EEEE10hipError_tPvRmT1_T2_T3_mT4_P12ihipStream_tbEUlT_E1_NS1_11comp_targetILNS1_3genE3ELNS1_11target_archE908ELNS1_3gpuE7ELNS1_3repE0EEENS1_30default_config_static_selectorELNS0_4arch9wavefront6targetE1EEEvSK_
	.p2align	8
	.type	_ZN7rocprim17ROCPRIM_400000_NS6detail17trampoline_kernelINS0_14default_configENS1_22reduce_config_selectorIN6thrust23THRUST_200600_302600_NS5tupleIblNS6_9null_typeES8_S8_S8_S8_S8_S8_S8_EEEEZNS1_11reduce_implILb1ES3_PS9_SC_S9_NS6_11hip_rocprim9__find_if7functorIS9_EEEE10hipError_tPvRmT1_T2_T3_mT4_P12ihipStream_tbEUlT_E1_NS1_11comp_targetILNS1_3genE3ELNS1_11target_archE908ELNS1_3gpuE7ELNS1_3repE0EEENS1_30default_config_static_selectorELNS0_4arch9wavefront6targetE1EEEvSK_,@function
_ZN7rocprim17ROCPRIM_400000_NS6detail17trampoline_kernelINS0_14default_configENS1_22reduce_config_selectorIN6thrust23THRUST_200600_302600_NS5tupleIblNS6_9null_typeES8_S8_S8_S8_S8_S8_S8_EEEEZNS1_11reduce_implILb1ES3_PS9_SC_S9_NS6_11hip_rocprim9__find_if7functorIS9_EEEE10hipError_tPvRmT1_T2_T3_mT4_P12ihipStream_tbEUlT_E1_NS1_11comp_targetILNS1_3genE3ELNS1_11target_archE908ELNS1_3gpuE7ELNS1_3repE0EEENS1_30default_config_static_selectorELNS0_4arch9wavefront6targetE1EEEvSK_: ; @_ZN7rocprim17ROCPRIM_400000_NS6detail17trampoline_kernelINS0_14default_configENS1_22reduce_config_selectorIN6thrust23THRUST_200600_302600_NS5tupleIblNS6_9null_typeES8_S8_S8_S8_S8_S8_S8_EEEEZNS1_11reduce_implILb1ES3_PS9_SC_S9_NS6_11hip_rocprim9__find_if7functorIS9_EEEE10hipError_tPvRmT1_T2_T3_mT4_P12ihipStream_tbEUlT_E1_NS1_11comp_targetILNS1_3genE3ELNS1_11target_archE908ELNS1_3gpuE7ELNS1_3repE0EEENS1_30default_config_static_selectorELNS0_4arch9wavefront6targetE1EEEvSK_
; %bb.0:
	.section	.rodata,"a",@progbits
	.p2align	6, 0x0
	.amdhsa_kernel _ZN7rocprim17ROCPRIM_400000_NS6detail17trampoline_kernelINS0_14default_configENS1_22reduce_config_selectorIN6thrust23THRUST_200600_302600_NS5tupleIblNS6_9null_typeES8_S8_S8_S8_S8_S8_S8_EEEEZNS1_11reduce_implILb1ES3_PS9_SC_S9_NS6_11hip_rocprim9__find_if7functorIS9_EEEE10hipError_tPvRmT1_T2_T3_mT4_P12ihipStream_tbEUlT_E1_NS1_11comp_targetILNS1_3genE3ELNS1_11target_archE908ELNS1_3gpuE7ELNS1_3repE0EEENS1_30default_config_static_selectorELNS0_4arch9wavefront6targetE1EEEvSK_
		.amdhsa_group_segment_fixed_size 0
		.amdhsa_private_segment_fixed_size 0
		.amdhsa_kernarg_size 56
		.amdhsa_user_sgpr_count 6
		.amdhsa_user_sgpr_private_segment_buffer 1
		.amdhsa_user_sgpr_dispatch_ptr 0
		.amdhsa_user_sgpr_queue_ptr 0
		.amdhsa_user_sgpr_kernarg_segment_ptr 1
		.amdhsa_user_sgpr_dispatch_id 0
		.amdhsa_user_sgpr_flat_scratch_init 0
		.amdhsa_user_sgpr_kernarg_preload_length 0
		.amdhsa_user_sgpr_kernarg_preload_offset 0
		.amdhsa_user_sgpr_private_segment_size 0
		.amdhsa_uses_dynamic_stack 0
		.amdhsa_system_sgpr_private_segment_wavefront_offset 0
		.amdhsa_system_sgpr_workgroup_id_x 1
		.amdhsa_system_sgpr_workgroup_id_y 0
		.amdhsa_system_sgpr_workgroup_id_z 0
		.amdhsa_system_sgpr_workgroup_info 0
		.amdhsa_system_vgpr_workitem_id 0
		.amdhsa_next_free_vgpr 1
		.amdhsa_next_free_sgpr 0
		.amdhsa_accum_offset 4
		.amdhsa_reserve_vcc 0
		.amdhsa_reserve_flat_scratch 0
		.amdhsa_float_round_mode_32 0
		.amdhsa_float_round_mode_16_64 0
		.amdhsa_float_denorm_mode_32 3
		.amdhsa_float_denorm_mode_16_64 3
		.amdhsa_dx10_clamp 1
		.amdhsa_ieee_mode 1
		.amdhsa_fp16_overflow 0
		.amdhsa_tg_split 0
		.amdhsa_exception_fp_ieee_invalid_op 0
		.amdhsa_exception_fp_denorm_src 0
		.amdhsa_exception_fp_ieee_div_zero 0
		.amdhsa_exception_fp_ieee_overflow 0
		.amdhsa_exception_fp_ieee_underflow 0
		.amdhsa_exception_fp_ieee_inexact 0
		.amdhsa_exception_int_div_zero 0
	.end_amdhsa_kernel
	.section	.text._ZN7rocprim17ROCPRIM_400000_NS6detail17trampoline_kernelINS0_14default_configENS1_22reduce_config_selectorIN6thrust23THRUST_200600_302600_NS5tupleIblNS6_9null_typeES8_S8_S8_S8_S8_S8_S8_EEEEZNS1_11reduce_implILb1ES3_PS9_SC_S9_NS6_11hip_rocprim9__find_if7functorIS9_EEEE10hipError_tPvRmT1_T2_T3_mT4_P12ihipStream_tbEUlT_E1_NS1_11comp_targetILNS1_3genE3ELNS1_11target_archE908ELNS1_3gpuE7ELNS1_3repE0EEENS1_30default_config_static_selectorELNS0_4arch9wavefront6targetE1EEEvSK_,"axG",@progbits,_ZN7rocprim17ROCPRIM_400000_NS6detail17trampoline_kernelINS0_14default_configENS1_22reduce_config_selectorIN6thrust23THRUST_200600_302600_NS5tupleIblNS6_9null_typeES8_S8_S8_S8_S8_S8_S8_EEEEZNS1_11reduce_implILb1ES3_PS9_SC_S9_NS6_11hip_rocprim9__find_if7functorIS9_EEEE10hipError_tPvRmT1_T2_T3_mT4_P12ihipStream_tbEUlT_E1_NS1_11comp_targetILNS1_3genE3ELNS1_11target_archE908ELNS1_3gpuE7ELNS1_3repE0EEENS1_30default_config_static_selectorELNS0_4arch9wavefront6targetE1EEEvSK_,comdat
.Lfunc_end1183:
	.size	_ZN7rocprim17ROCPRIM_400000_NS6detail17trampoline_kernelINS0_14default_configENS1_22reduce_config_selectorIN6thrust23THRUST_200600_302600_NS5tupleIblNS6_9null_typeES8_S8_S8_S8_S8_S8_S8_EEEEZNS1_11reduce_implILb1ES3_PS9_SC_S9_NS6_11hip_rocprim9__find_if7functorIS9_EEEE10hipError_tPvRmT1_T2_T3_mT4_P12ihipStream_tbEUlT_E1_NS1_11comp_targetILNS1_3genE3ELNS1_11target_archE908ELNS1_3gpuE7ELNS1_3repE0EEENS1_30default_config_static_selectorELNS0_4arch9wavefront6targetE1EEEvSK_, .Lfunc_end1183-_ZN7rocprim17ROCPRIM_400000_NS6detail17trampoline_kernelINS0_14default_configENS1_22reduce_config_selectorIN6thrust23THRUST_200600_302600_NS5tupleIblNS6_9null_typeES8_S8_S8_S8_S8_S8_S8_EEEEZNS1_11reduce_implILb1ES3_PS9_SC_S9_NS6_11hip_rocprim9__find_if7functorIS9_EEEE10hipError_tPvRmT1_T2_T3_mT4_P12ihipStream_tbEUlT_E1_NS1_11comp_targetILNS1_3genE3ELNS1_11target_archE908ELNS1_3gpuE7ELNS1_3repE0EEENS1_30default_config_static_selectorELNS0_4arch9wavefront6targetE1EEEvSK_
                                        ; -- End function
	.section	.AMDGPU.csdata,"",@progbits
; Kernel info:
; codeLenInByte = 0
; NumSgprs: 4
; NumVgprs: 0
; NumAgprs: 0
; TotalNumVgprs: 0
; ScratchSize: 0
; MemoryBound: 0
; FloatMode: 240
; IeeeMode: 1
; LDSByteSize: 0 bytes/workgroup (compile time only)
; SGPRBlocks: 0
; VGPRBlocks: 0
; NumSGPRsForWavesPerEU: 4
; NumVGPRsForWavesPerEU: 1
; AccumOffset: 4
; Occupancy: 8
; WaveLimiterHint : 0
; COMPUTE_PGM_RSRC2:SCRATCH_EN: 0
; COMPUTE_PGM_RSRC2:USER_SGPR: 6
; COMPUTE_PGM_RSRC2:TRAP_HANDLER: 0
; COMPUTE_PGM_RSRC2:TGID_X_EN: 1
; COMPUTE_PGM_RSRC2:TGID_Y_EN: 0
; COMPUTE_PGM_RSRC2:TGID_Z_EN: 0
; COMPUTE_PGM_RSRC2:TIDIG_COMP_CNT: 0
; COMPUTE_PGM_RSRC3_GFX90A:ACCUM_OFFSET: 0
; COMPUTE_PGM_RSRC3_GFX90A:TG_SPLIT: 0
	.section	.text._ZN7rocprim17ROCPRIM_400000_NS6detail17trampoline_kernelINS0_14default_configENS1_22reduce_config_selectorIN6thrust23THRUST_200600_302600_NS5tupleIblNS6_9null_typeES8_S8_S8_S8_S8_S8_S8_EEEEZNS1_11reduce_implILb1ES3_PS9_SC_S9_NS6_11hip_rocprim9__find_if7functorIS9_EEEE10hipError_tPvRmT1_T2_T3_mT4_P12ihipStream_tbEUlT_E1_NS1_11comp_targetILNS1_3genE2ELNS1_11target_archE906ELNS1_3gpuE6ELNS1_3repE0EEENS1_30default_config_static_selectorELNS0_4arch9wavefront6targetE1EEEvSK_,"axG",@progbits,_ZN7rocprim17ROCPRIM_400000_NS6detail17trampoline_kernelINS0_14default_configENS1_22reduce_config_selectorIN6thrust23THRUST_200600_302600_NS5tupleIblNS6_9null_typeES8_S8_S8_S8_S8_S8_S8_EEEEZNS1_11reduce_implILb1ES3_PS9_SC_S9_NS6_11hip_rocprim9__find_if7functorIS9_EEEE10hipError_tPvRmT1_T2_T3_mT4_P12ihipStream_tbEUlT_E1_NS1_11comp_targetILNS1_3genE2ELNS1_11target_archE906ELNS1_3gpuE6ELNS1_3repE0EEENS1_30default_config_static_selectorELNS0_4arch9wavefront6targetE1EEEvSK_,comdat
	.protected	_ZN7rocprim17ROCPRIM_400000_NS6detail17trampoline_kernelINS0_14default_configENS1_22reduce_config_selectorIN6thrust23THRUST_200600_302600_NS5tupleIblNS6_9null_typeES8_S8_S8_S8_S8_S8_S8_EEEEZNS1_11reduce_implILb1ES3_PS9_SC_S9_NS6_11hip_rocprim9__find_if7functorIS9_EEEE10hipError_tPvRmT1_T2_T3_mT4_P12ihipStream_tbEUlT_E1_NS1_11comp_targetILNS1_3genE2ELNS1_11target_archE906ELNS1_3gpuE6ELNS1_3repE0EEENS1_30default_config_static_selectorELNS0_4arch9wavefront6targetE1EEEvSK_ ; -- Begin function _ZN7rocprim17ROCPRIM_400000_NS6detail17trampoline_kernelINS0_14default_configENS1_22reduce_config_selectorIN6thrust23THRUST_200600_302600_NS5tupleIblNS6_9null_typeES8_S8_S8_S8_S8_S8_S8_EEEEZNS1_11reduce_implILb1ES3_PS9_SC_S9_NS6_11hip_rocprim9__find_if7functorIS9_EEEE10hipError_tPvRmT1_T2_T3_mT4_P12ihipStream_tbEUlT_E1_NS1_11comp_targetILNS1_3genE2ELNS1_11target_archE906ELNS1_3gpuE6ELNS1_3repE0EEENS1_30default_config_static_selectorELNS0_4arch9wavefront6targetE1EEEvSK_
	.globl	_ZN7rocprim17ROCPRIM_400000_NS6detail17trampoline_kernelINS0_14default_configENS1_22reduce_config_selectorIN6thrust23THRUST_200600_302600_NS5tupleIblNS6_9null_typeES8_S8_S8_S8_S8_S8_S8_EEEEZNS1_11reduce_implILb1ES3_PS9_SC_S9_NS6_11hip_rocprim9__find_if7functorIS9_EEEE10hipError_tPvRmT1_T2_T3_mT4_P12ihipStream_tbEUlT_E1_NS1_11comp_targetILNS1_3genE2ELNS1_11target_archE906ELNS1_3gpuE6ELNS1_3repE0EEENS1_30default_config_static_selectorELNS0_4arch9wavefront6targetE1EEEvSK_
	.p2align	8
	.type	_ZN7rocprim17ROCPRIM_400000_NS6detail17trampoline_kernelINS0_14default_configENS1_22reduce_config_selectorIN6thrust23THRUST_200600_302600_NS5tupleIblNS6_9null_typeES8_S8_S8_S8_S8_S8_S8_EEEEZNS1_11reduce_implILb1ES3_PS9_SC_S9_NS6_11hip_rocprim9__find_if7functorIS9_EEEE10hipError_tPvRmT1_T2_T3_mT4_P12ihipStream_tbEUlT_E1_NS1_11comp_targetILNS1_3genE2ELNS1_11target_archE906ELNS1_3gpuE6ELNS1_3repE0EEENS1_30default_config_static_selectorELNS0_4arch9wavefront6targetE1EEEvSK_,@function
_ZN7rocprim17ROCPRIM_400000_NS6detail17trampoline_kernelINS0_14default_configENS1_22reduce_config_selectorIN6thrust23THRUST_200600_302600_NS5tupleIblNS6_9null_typeES8_S8_S8_S8_S8_S8_S8_EEEEZNS1_11reduce_implILb1ES3_PS9_SC_S9_NS6_11hip_rocprim9__find_if7functorIS9_EEEE10hipError_tPvRmT1_T2_T3_mT4_P12ihipStream_tbEUlT_E1_NS1_11comp_targetILNS1_3genE2ELNS1_11target_archE906ELNS1_3gpuE6ELNS1_3repE0EEENS1_30default_config_static_selectorELNS0_4arch9wavefront6targetE1EEEvSK_: ; @_ZN7rocprim17ROCPRIM_400000_NS6detail17trampoline_kernelINS0_14default_configENS1_22reduce_config_selectorIN6thrust23THRUST_200600_302600_NS5tupleIblNS6_9null_typeES8_S8_S8_S8_S8_S8_S8_EEEEZNS1_11reduce_implILb1ES3_PS9_SC_S9_NS6_11hip_rocprim9__find_if7functorIS9_EEEE10hipError_tPvRmT1_T2_T3_mT4_P12ihipStream_tbEUlT_E1_NS1_11comp_targetILNS1_3genE2ELNS1_11target_archE906ELNS1_3gpuE6ELNS1_3repE0EEENS1_30default_config_static_selectorELNS0_4arch9wavefront6targetE1EEEvSK_
; %bb.0:
	.section	.rodata,"a",@progbits
	.p2align	6, 0x0
	.amdhsa_kernel _ZN7rocprim17ROCPRIM_400000_NS6detail17trampoline_kernelINS0_14default_configENS1_22reduce_config_selectorIN6thrust23THRUST_200600_302600_NS5tupleIblNS6_9null_typeES8_S8_S8_S8_S8_S8_S8_EEEEZNS1_11reduce_implILb1ES3_PS9_SC_S9_NS6_11hip_rocprim9__find_if7functorIS9_EEEE10hipError_tPvRmT1_T2_T3_mT4_P12ihipStream_tbEUlT_E1_NS1_11comp_targetILNS1_3genE2ELNS1_11target_archE906ELNS1_3gpuE6ELNS1_3repE0EEENS1_30default_config_static_selectorELNS0_4arch9wavefront6targetE1EEEvSK_
		.amdhsa_group_segment_fixed_size 0
		.amdhsa_private_segment_fixed_size 0
		.amdhsa_kernarg_size 56
		.amdhsa_user_sgpr_count 6
		.amdhsa_user_sgpr_private_segment_buffer 1
		.amdhsa_user_sgpr_dispatch_ptr 0
		.amdhsa_user_sgpr_queue_ptr 0
		.amdhsa_user_sgpr_kernarg_segment_ptr 1
		.amdhsa_user_sgpr_dispatch_id 0
		.amdhsa_user_sgpr_flat_scratch_init 0
		.amdhsa_user_sgpr_kernarg_preload_length 0
		.amdhsa_user_sgpr_kernarg_preload_offset 0
		.amdhsa_user_sgpr_private_segment_size 0
		.amdhsa_uses_dynamic_stack 0
		.amdhsa_system_sgpr_private_segment_wavefront_offset 0
		.amdhsa_system_sgpr_workgroup_id_x 1
		.amdhsa_system_sgpr_workgroup_id_y 0
		.amdhsa_system_sgpr_workgroup_id_z 0
		.amdhsa_system_sgpr_workgroup_info 0
		.amdhsa_system_vgpr_workitem_id 0
		.amdhsa_next_free_vgpr 1
		.amdhsa_next_free_sgpr 0
		.amdhsa_accum_offset 4
		.amdhsa_reserve_vcc 0
		.amdhsa_reserve_flat_scratch 0
		.amdhsa_float_round_mode_32 0
		.amdhsa_float_round_mode_16_64 0
		.amdhsa_float_denorm_mode_32 3
		.amdhsa_float_denorm_mode_16_64 3
		.amdhsa_dx10_clamp 1
		.amdhsa_ieee_mode 1
		.amdhsa_fp16_overflow 0
		.amdhsa_tg_split 0
		.amdhsa_exception_fp_ieee_invalid_op 0
		.amdhsa_exception_fp_denorm_src 0
		.amdhsa_exception_fp_ieee_div_zero 0
		.amdhsa_exception_fp_ieee_overflow 0
		.amdhsa_exception_fp_ieee_underflow 0
		.amdhsa_exception_fp_ieee_inexact 0
		.amdhsa_exception_int_div_zero 0
	.end_amdhsa_kernel
	.section	.text._ZN7rocprim17ROCPRIM_400000_NS6detail17trampoline_kernelINS0_14default_configENS1_22reduce_config_selectorIN6thrust23THRUST_200600_302600_NS5tupleIblNS6_9null_typeES8_S8_S8_S8_S8_S8_S8_EEEEZNS1_11reduce_implILb1ES3_PS9_SC_S9_NS6_11hip_rocprim9__find_if7functorIS9_EEEE10hipError_tPvRmT1_T2_T3_mT4_P12ihipStream_tbEUlT_E1_NS1_11comp_targetILNS1_3genE2ELNS1_11target_archE906ELNS1_3gpuE6ELNS1_3repE0EEENS1_30default_config_static_selectorELNS0_4arch9wavefront6targetE1EEEvSK_,"axG",@progbits,_ZN7rocprim17ROCPRIM_400000_NS6detail17trampoline_kernelINS0_14default_configENS1_22reduce_config_selectorIN6thrust23THRUST_200600_302600_NS5tupleIblNS6_9null_typeES8_S8_S8_S8_S8_S8_S8_EEEEZNS1_11reduce_implILb1ES3_PS9_SC_S9_NS6_11hip_rocprim9__find_if7functorIS9_EEEE10hipError_tPvRmT1_T2_T3_mT4_P12ihipStream_tbEUlT_E1_NS1_11comp_targetILNS1_3genE2ELNS1_11target_archE906ELNS1_3gpuE6ELNS1_3repE0EEENS1_30default_config_static_selectorELNS0_4arch9wavefront6targetE1EEEvSK_,comdat
.Lfunc_end1184:
	.size	_ZN7rocprim17ROCPRIM_400000_NS6detail17trampoline_kernelINS0_14default_configENS1_22reduce_config_selectorIN6thrust23THRUST_200600_302600_NS5tupleIblNS6_9null_typeES8_S8_S8_S8_S8_S8_S8_EEEEZNS1_11reduce_implILb1ES3_PS9_SC_S9_NS6_11hip_rocprim9__find_if7functorIS9_EEEE10hipError_tPvRmT1_T2_T3_mT4_P12ihipStream_tbEUlT_E1_NS1_11comp_targetILNS1_3genE2ELNS1_11target_archE906ELNS1_3gpuE6ELNS1_3repE0EEENS1_30default_config_static_selectorELNS0_4arch9wavefront6targetE1EEEvSK_, .Lfunc_end1184-_ZN7rocprim17ROCPRIM_400000_NS6detail17trampoline_kernelINS0_14default_configENS1_22reduce_config_selectorIN6thrust23THRUST_200600_302600_NS5tupleIblNS6_9null_typeES8_S8_S8_S8_S8_S8_S8_EEEEZNS1_11reduce_implILb1ES3_PS9_SC_S9_NS6_11hip_rocprim9__find_if7functorIS9_EEEE10hipError_tPvRmT1_T2_T3_mT4_P12ihipStream_tbEUlT_E1_NS1_11comp_targetILNS1_3genE2ELNS1_11target_archE906ELNS1_3gpuE6ELNS1_3repE0EEENS1_30default_config_static_selectorELNS0_4arch9wavefront6targetE1EEEvSK_
                                        ; -- End function
	.section	.AMDGPU.csdata,"",@progbits
; Kernel info:
; codeLenInByte = 0
; NumSgprs: 4
; NumVgprs: 0
; NumAgprs: 0
; TotalNumVgprs: 0
; ScratchSize: 0
; MemoryBound: 0
; FloatMode: 240
; IeeeMode: 1
; LDSByteSize: 0 bytes/workgroup (compile time only)
; SGPRBlocks: 0
; VGPRBlocks: 0
; NumSGPRsForWavesPerEU: 4
; NumVGPRsForWavesPerEU: 1
; AccumOffset: 4
; Occupancy: 8
; WaveLimiterHint : 0
; COMPUTE_PGM_RSRC2:SCRATCH_EN: 0
; COMPUTE_PGM_RSRC2:USER_SGPR: 6
; COMPUTE_PGM_RSRC2:TRAP_HANDLER: 0
; COMPUTE_PGM_RSRC2:TGID_X_EN: 1
; COMPUTE_PGM_RSRC2:TGID_Y_EN: 0
; COMPUTE_PGM_RSRC2:TGID_Z_EN: 0
; COMPUTE_PGM_RSRC2:TIDIG_COMP_CNT: 0
; COMPUTE_PGM_RSRC3_GFX90A:ACCUM_OFFSET: 0
; COMPUTE_PGM_RSRC3_GFX90A:TG_SPLIT: 0
	.section	.text._ZN7rocprim17ROCPRIM_400000_NS6detail17trampoline_kernelINS0_14default_configENS1_22reduce_config_selectorIN6thrust23THRUST_200600_302600_NS5tupleIblNS6_9null_typeES8_S8_S8_S8_S8_S8_S8_EEEEZNS1_11reduce_implILb1ES3_PS9_SC_S9_NS6_11hip_rocprim9__find_if7functorIS9_EEEE10hipError_tPvRmT1_T2_T3_mT4_P12ihipStream_tbEUlT_E1_NS1_11comp_targetILNS1_3genE10ELNS1_11target_archE1201ELNS1_3gpuE5ELNS1_3repE0EEENS1_30default_config_static_selectorELNS0_4arch9wavefront6targetE1EEEvSK_,"axG",@progbits,_ZN7rocprim17ROCPRIM_400000_NS6detail17trampoline_kernelINS0_14default_configENS1_22reduce_config_selectorIN6thrust23THRUST_200600_302600_NS5tupleIblNS6_9null_typeES8_S8_S8_S8_S8_S8_S8_EEEEZNS1_11reduce_implILb1ES3_PS9_SC_S9_NS6_11hip_rocprim9__find_if7functorIS9_EEEE10hipError_tPvRmT1_T2_T3_mT4_P12ihipStream_tbEUlT_E1_NS1_11comp_targetILNS1_3genE10ELNS1_11target_archE1201ELNS1_3gpuE5ELNS1_3repE0EEENS1_30default_config_static_selectorELNS0_4arch9wavefront6targetE1EEEvSK_,comdat
	.protected	_ZN7rocprim17ROCPRIM_400000_NS6detail17trampoline_kernelINS0_14default_configENS1_22reduce_config_selectorIN6thrust23THRUST_200600_302600_NS5tupleIblNS6_9null_typeES8_S8_S8_S8_S8_S8_S8_EEEEZNS1_11reduce_implILb1ES3_PS9_SC_S9_NS6_11hip_rocprim9__find_if7functorIS9_EEEE10hipError_tPvRmT1_T2_T3_mT4_P12ihipStream_tbEUlT_E1_NS1_11comp_targetILNS1_3genE10ELNS1_11target_archE1201ELNS1_3gpuE5ELNS1_3repE0EEENS1_30default_config_static_selectorELNS0_4arch9wavefront6targetE1EEEvSK_ ; -- Begin function _ZN7rocprim17ROCPRIM_400000_NS6detail17trampoline_kernelINS0_14default_configENS1_22reduce_config_selectorIN6thrust23THRUST_200600_302600_NS5tupleIblNS6_9null_typeES8_S8_S8_S8_S8_S8_S8_EEEEZNS1_11reduce_implILb1ES3_PS9_SC_S9_NS6_11hip_rocprim9__find_if7functorIS9_EEEE10hipError_tPvRmT1_T2_T3_mT4_P12ihipStream_tbEUlT_E1_NS1_11comp_targetILNS1_3genE10ELNS1_11target_archE1201ELNS1_3gpuE5ELNS1_3repE0EEENS1_30default_config_static_selectorELNS0_4arch9wavefront6targetE1EEEvSK_
	.globl	_ZN7rocprim17ROCPRIM_400000_NS6detail17trampoline_kernelINS0_14default_configENS1_22reduce_config_selectorIN6thrust23THRUST_200600_302600_NS5tupleIblNS6_9null_typeES8_S8_S8_S8_S8_S8_S8_EEEEZNS1_11reduce_implILb1ES3_PS9_SC_S9_NS6_11hip_rocprim9__find_if7functorIS9_EEEE10hipError_tPvRmT1_T2_T3_mT4_P12ihipStream_tbEUlT_E1_NS1_11comp_targetILNS1_3genE10ELNS1_11target_archE1201ELNS1_3gpuE5ELNS1_3repE0EEENS1_30default_config_static_selectorELNS0_4arch9wavefront6targetE1EEEvSK_
	.p2align	8
	.type	_ZN7rocprim17ROCPRIM_400000_NS6detail17trampoline_kernelINS0_14default_configENS1_22reduce_config_selectorIN6thrust23THRUST_200600_302600_NS5tupleIblNS6_9null_typeES8_S8_S8_S8_S8_S8_S8_EEEEZNS1_11reduce_implILb1ES3_PS9_SC_S9_NS6_11hip_rocprim9__find_if7functorIS9_EEEE10hipError_tPvRmT1_T2_T3_mT4_P12ihipStream_tbEUlT_E1_NS1_11comp_targetILNS1_3genE10ELNS1_11target_archE1201ELNS1_3gpuE5ELNS1_3repE0EEENS1_30default_config_static_selectorELNS0_4arch9wavefront6targetE1EEEvSK_,@function
_ZN7rocprim17ROCPRIM_400000_NS6detail17trampoline_kernelINS0_14default_configENS1_22reduce_config_selectorIN6thrust23THRUST_200600_302600_NS5tupleIblNS6_9null_typeES8_S8_S8_S8_S8_S8_S8_EEEEZNS1_11reduce_implILb1ES3_PS9_SC_S9_NS6_11hip_rocprim9__find_if7functorIS9_EEEE10hipError_tPvRmT1_T2_T3_mT4_P12ihipStream_tbEUlT_E1_NS1_11comp_targetILNS1_3genE10ELNS1_11target_archE1201ELNS1_3gpuE5ELNS1_3repE0EEENS1_30default_config_static_selectorELNS0_4arch9wavefront6targetE1EEEvSK_: ; @_ZN7rocprim17ROCPRIM_400000_NS6detail17trampoline_kernelINS0_14default_configENS1_22reduce_config_selectorIN6thrust23THRUST_200600_302600_NS5tupleIblNS6_9null_typeES8_S8_S8_S8_S8_S8_S8_EEEEZNS1_11reduce_implILb1ES3_PS9_SC_S9_NS6_11hip_rocprim9__find_if7functorIS9_EEEE10hipError_tPvRmT1_T2_T3_mT4_P12ihipStream_tbEUlT_E1_NS1_11comp_targetILNS1_3genE10ELNS1_11target_archE1201ELNS1_3gpuE5ELNS1_3repE0EEENS1_30default_config_static_selectorELNS0_4arch9wavefront6targetE1EEEvSK_
; %bb.0:
	.section	.rodata,"a",@progbits
	.p2align	6, 0x0
	.amdhsa_kernel _ZN7rocprim17ROCPRIM_400000_NS6detail17trampoline_kernelINS0_14default_configENS1_22reduce_config_selectorIN6thrust23THRUST_200600_302600_NS5tupleIblNS6_9null_typeES8_S8_S8_S8_S8_S8_S8_EEEEZNS1_11reduce_implILb1ES3_PS9_SC_S9_NS6_11hip_rocprim9__find_if7functorIS9_EEEE10hipError_tPvRmT1_T2_T3_mT4_P12ihipStream_tbEUlT_E1_NS1_11comp_targetILNS1_3genE10ELNS1_11target_archE1201ELNS1_3gpuE5ELNS1_3repE0EEENS1_30default_config_static_selectorELNS0_4arch9wavefront6targetE1EEEvSK_
		.amdhsa_group_segment_fixed_size 0
		.amdhsa_private_segment_fixed_size 0
		.amdhsa_kernarg_size 56
		.amdhsa_user_sgpr_count 6
		.amdhsa_user_sgpr_private_segment_buffer 1
		.amdhsa_user_sgpr_dispatch_ptr 0
		.amdhsa_user_sgpr_queue_ptr 0
		.amdhsa_user_sgpr_kernarg_segment_ptr 1
		.amdhsa_user_sgpr_dispatch_id 0
		.amdhsa_user_sgpr_flat_scratch_init 0
		.amdhsa_user_sgpr_kernarg_preload_length 0
		.amdhsa_user_sgpr_kernarg_preload_offset 0
		.amdhsa_user_sgpr_private_segment_size 0
		.amdhsa_uses_dynamic_stack 0
		.amdhsa_system_sgpr_private_segment_wavefront_offset 0
		.amdhsa_system_sgpr_workgroup_id_x 1
		.amdhsa_system_sgpr_workgroup_id_y 0
		.amdhsa_system_sgpr_workgroup_id_z 0
		.amdhsa_system_sgpr_workgroup_info 0
		.amdhsa_system_vgpr_workitem_id 0
		.amdhsa_next_free_vgpr 1
		.amdhsa_next_free_sgpr 0
		.amdhsa_accum_offset 4
		.amdhsa_reserve_vcc 0
		.amdhsa_reserve_flat_scratch 0
		.amdhsa_float_round_mode_32 0
		.amdhsa_float_round_mode_16_64 0
		.amdhsa_float_denorm_mode_32 3
		.amdhsa_float_denorm_mode_16_64 3
		.amdhsa_dx10_clamp 1
		.amdhsa_ieee_mode 1
		.amdhsa_fp16_overflow 0
		.amdhsa_tg_split 0
		.amdhsa_exception_fp_ieee_invalid_op 0
		.amdhsa_exception_fp_denorm_src 0
		.amdhsa_exception_fp_ieee_div_zero 0
		.amdhsa_exception_fp_ieee_overflow 0
		.amdhsa_exception_fp_ieee_underflow 0
		.amdhsa_exception_fp_ieee_inexact 0
		.amdhsa_exception_int_div_zero 0
	.end_amdhsa_kernel
	.section	.text._ZN7rocprim17ROCPRIM_400000_NS6detail17trampoline_kernelINS0_14default_configENS1_22reduce_config_selectorIN6thrust23THRUST_200600_302600_NS5tupleIblNS6_9null_typeES8_S8_S8_S8_S8_S8_S8_EEEEZNS1_11reduce_implILb1ES3_PS9_SC_S9_NS6_11hip_rocprim9__find_if7functorIS9_EEEE10hipError_tPvRmT1_T2_T3_mT4_P12ihipStream_tbEUlT_E1_NS1_11comp_targetILNS1_3genE10ELNS1_11target_archE1201ELNS1_3gpuE5ELNS1_3repE0EEENS1_30default_config_static_selectorELNS0_4arch9wavefront6targetE1EEEvSK_,"axG",@progbits,_ZN7rocprim17ROCPRIM_400000_NS6detail17trampoline_kernelINS0_14default_configENS1_22reduce_config_selectorIN6thrust23THRUST_200600_302600_NS5tupleIblNS6_9null_typeES8_S8_S8_S8_S8_S8_S8_EEEEZNS1_11reduce_implILb1ES3_PS9_SC_S9_NS6_11hip_rocprim9__find_if7functorIS9_EEEE10hipError_tPvRmT1_T2_T3_mT4_P12ihipStream_tbEUlT_E1_NS1_11comp_targetILNS1_3genE10ELNS1_11target_archE1201ELNS1_3gpuE5ELNS1_3repE0EEENS1_30default_config_static_selectorELNS0_4arch9wavefront6targetE1EEEvSK_,comdat
.Lfunc_end1185:
	.size	_ZN7rocprim17ROCPRIM_400000_NS6detail17trampoline_kernelINS0_14default_configENS1_22reduce_config_selectorIN6thrust23THRUST_200600_302600_NS5tupleIblNS6_9null_typeES8_S8_S8_S8_S8_S8_S8_EEEEZNS1_11reduce_implILb1ES3_PS9_SC_S9_NS6_11hip_rocprim9__find_if7functorIS9_EEEE10hipError_tPvRmT1_T2_T3_mT4_P12ihipStream_tbEUlT_E1_NS1_11comp_targetILNS1_3genE10ELNS1_11target_archE1201ELNS1_3gpuE5ELNS1_3repE0EEENS1_30default_config_static_selectorELNS0_4arch9wavefront6targetE1EEEvSK_, .Lfunc_end1185-_ZN7rocprim17ROCPRIM_400000_NS6detail17trampoline_kernelINS0_14default_configENS1_22reduce_config_selectorIN6thrust23THRUST_200600_302600_NS5tupleIblNS6_9null_typeES8_S8_S8_S8_S8_S8_S8_EEEEZNS1_11reduce_implILb1ES3_PS9_SC_S9_NS6_11hip_rocprim9__find_if7functorIS9_EEEE10hipError_tPvRmT1_T2_T3_mT4_P12ihipStream_tbEUlT_E1_NS1_11comp_targetILNS1_3genE10ELNS1_11target_archE1201ELNS1_3gpuE5ELNS1_3repE0EEENS1_30default_config_static_selectorELNS0_4arch9wavefront6targetE1EEEvSK_
                                        ; -- End function
	.section	.AMDGPU.csdata,"",@progbits
; Kernel info:
; codeLenInByte = 0
; NumSgprs: 4
; NumVgprs: 0
; NumAgprs: 0
; TotalNumVgprs: 0
; ScratchSize: 0
; MemoryBound: 0
; FloatMode: 240
; IeeeMode: 1
; LDSByteSize: 0 bytes/workgroup (compile time only)
; SGPRBlocks: 0
; VGPRBlocks: 0
; NumSGPRsForWavesPerEU: 4
; NumVGPRsForWavesPerEU: 1
; AccumOffset: 4
; Occupancy: 8
; WaveLimiterHint : 0
; COMPUTE_PGM_RSRC2:SCRATCH_EN: 0
; COMPUTE_PGM_RSRC2:USER_SGPR: 6
; COMPUTE_PGM_RSRC2:TRAP_HANDLER: 0
; COMPUTE_PGM_RSRC2:TGID_X_EN: 1
; COMPUTE_PGM_RSRC2:TGID_Y_EN: 0
; COMPUTE_PGM_RSRC2:TGID_Z_EN: 0
; COMPUTE_PGM_RSRC2:TIDIG_COMP_CNT: 0
; COMPUTE_PGM_RSRC3_GFX90A:ACCUM_OFFSET: 0
; COMPUTE_PGM_RSRC3_GFX90A:TG_SPLIT: 0
	.section	.text._ZN7rocprim17ROCPRIM_400000_NS6detail17trampoline_kernelINS0_14default_configENS1_22reduce_config_selectorIN6thrust23THRUST_200600_302600_NS5tupleIblNS6_9null_typeES8_S8_S8_S8_S8_S8_S8_EEEEZNS1_11reduce_implILb1ES3_PS9_SC_S9_NS6_11hip_rocprim9__find_if7functorIS9_EEEE10hipError_tPvRmT1_T2_T3_mT4_P12ihipStream_tbEUlT_E1_NS1_11comp_targetILNS1_3genE10ELNS1_11target_archE1200ELNS1_3gpuE4ELNS1_3repE0EEENS1_30default_config_static_selectorELNS0_4arch9wavefront6targetE1EEEvSK_,"axG",@progbits,_ZN7rocprim17ROCPRIM_400000_NS6detail17trampoline_kernelINS0_14default_configENS1_22reduce_config_selectorIN6thrust23THRUST_200600_302600_NS5tupleIblNS6_9null_typeES8_S8_S8_S8_S8_S8_S8_EEEEZNS1_11reduce_implILb1ES3_PS9_SC_S9_NS6_11hip_rocprim9__find_if7functorIS9_EEEE10hipError_tPvRmT1_T2_T3_mT4_P12ihipStream_tbEUlT_E1_NS1_11comp_targetILNS1_3genE10ELNS1_11target_archE1200ELNS1_3gpuE4ELNS1_3repE0EEENS1_30default_config_static_selectorELNS0_4arch9wavefront6targetE1EEEvSK_,comdat
	.protected	_ZN7rocprim17ROCPRIM_400000_NS6detail17trampoline_kernelINS0_14default_configENS1_22reduce_config_selectorIN6thrust23THRUST_200600_302600_NS5tupleIblNS6_9null_typeES8_S8_S8_S8_S8_S8_S8_EEEEZNS1_11reduce_implILb1ES3_PS9_SC_S9_NS6_11hip_rocprim9__find_if7functorIS9_EEEE10hipError_tPvRmT1_T2_T3_mT4_P12ihipStream_tbEUlT_E1_NS1_11comp_targetILNS1_3genE10ELNS1_11target_archE1200ELNS1_3gpuE4ELNS1_3repE0EEENS1_30default_config_static_selectorELNS0_4arch9wavefront6targetE1EEEvSK_ ; -- Begin function _ZN7rocprim17ROCPRIM_400000_NS6detail17trampoline_kernelINS0_14default_configENS1_22reduce_config_selectorIN6thrust23THRUST_200600_302600_NS5tupleIblNS6_9null_typeES8_S8_S8_S8_S8_S8_S8_EEEEZNS1_11reduce_implILb1ES3_PS9_SC_S9_NS6_11hip_rocprim9__find_if7functorIS9_EEEE10hipError_tPvRmT1_T2_T3_mT4_P12ihipStream_tbEUlT_E1_NS1_11comp_targetILNS1_3genE10ELNS1_11target_archE1200ELNS1_3gpuE4ELNS1_3repE0EEENS1_30default_config_static_selectorELNS0_4arch9wavefront6targetE1EEEvSK_
	.globl	_ZN7rocprim17ROCPRIM_400000_NS6detail17trampoline_kernelINS0_14default_configENS1_22reduce_config_selectorIN6thrust23THRUST_200600_302600_NS5tupleIblNS6_9null_typeES8_S8_S8_S8_S8_S8_S8_EEEEZNS1_11reduce_implILb1ES3_PS9_SC_S9_NS6_11hip_rocprim9__find_if7functorIS9_EEEE10hipError_tPvRmT1_T2_T3_mT4_P12ihipStream_tbEUlT_E1_NS1_11comp_targetILNS1_3genE10ELNS1_11target_archE1200ELNS1_3gpuE4ELNS1_3repE0EEENS1_30default_config_static_selectorELNS0_4arch9wavefront6targetE1EEEvSK_
	.p2align	8
	.type	_ZN7rocprim17ROCPRIM_400000_NS6detail17trampoline_kernelINS0_14default_configENS1_22reduce_config_selectorIN6thrust23THRUST_200600_302600_NS5tupleIblNS6_9null_typeES8_S8_S8_S8_S8_S8_S8_EEEEZNS1_11reduce_implILb1ES3_PS9_SC_S9_NS6_11hip_rocprim9__find_if7functorIS9_EEEE10hipError_tPvRmT1_T2_T3_mT4_P12ihipStream_tbEUlT_E1_NS1_11comp_targetILNS1_3genE10ELNS1_11target_archE1200ELNS1_3gpuE4ELNS1_3repE0EEENS1_30default_config_static_selectorELNS0_4arch9wavefront6targetE1EEEvSK_,@function
_ZN7rocprim17ROCPRIM_400000_NS6detail17trampoline_kernelINS0_14default_configENS1_22reduce_config_selectorIN6thrust23THRUST_200600_302600_NS5tupleIblNS6_9null_typeES8_S8_S8_S8_S8_S8_S8_EEEEZNS1_11reduce_implILb1ES3_PS9_SC_S9_NS6_11hip_rocprim9__find_if7functorIS9_EEEE10hipError_tPvRmT1_T2_T3_mT4_P12ihipStream_tbEUlT_E1_NS1_11comp_targetILNS1_3genE10ELNS1_11target_archE1200ELNS1_3gpuE4ELNS1_3repE0EEENS1_30default_config_static_selectorELNS0_4arch9wavefront6targetE1EEEvSK_: ; @_ZN7rocprim17ROCPRIM_400000_NS6detail17trampoline_kernelINS0_14default_configENS1_22reduce_config_selectorIN6thrust23THRUST_200600_302600_NS5tupleIblNS6_9null_typeES8_S8_S8_S8_S8_S8_S8_EEEEZNS1_11reduce_implILb1ES3_PS9_SC_S9_NS6_11hip_rocprim9__find_if7functorIS9_EEEE10hipError_tPvRmT1_T2_T3_mT4_P12ihipStream_tbEUlT_E1_NS1_11comp_targetILNS1_3genE10ELNS1_11target_archE1200ELNS1_3gpuE4ELNS1_3repE0EEENS1_30default_config_static_selectorELNS0_4arch9wavefront6targetE1EEEvSK_
; %bb.0:
	.section	.rodata,"a",@progbits
	.p2align	6, 0x0
	.amdhsa_kernel _ZN7rocprim17ROCPRIM_400000_NS6detail17trampoline_kernelINS0_14default_configENS1_22reduce_config_selectorIN6thrust23THRUST_200600_302600_NS5tupleIblNS6_9null_typeES8_S8_S8_S8_S8_S8_S8_EEEEZNS1_11reduce_implILb1ES3_PS9_SC_S9_NS6_11hip_rocprim9__find_if7functorIS9_EEEE10hipError_tPvRmT1_T2_T3_mT4_P12ihipStream_tbEUlT_E1_NS1_11comp_targetILNS1_3genE10ELNS1_11target_archE1200ELNS1_3gpuE4ELNS1_3repE0EEENS1_30default_config_static_selectorELNS0_4arch9wavefront6targetE1EEEvSK_
		.amdhsa_group_segment_fixed_size 0
		.amdhsa_private_segment_fixed_size 0
		.amdhsa_kernarg_size 56
		.amdhsa_user_sgpr_count 6
		.amdhsa_user_sgpr_private_segment_buffer 1
		.amdhsa_user_sgpr_dispatch_ptr 0
		.amdhsa_user_sgpr_queue_ptr 0
		.amdhsa_user_sgpr_kernarg_segment_ptr 1
		.amdhsa_user_sgpr_dispatch_id 0
		.amdhsa_user_sgpr_flat_scratch_init 0
		.amdhsa_user_sgpr_kernarg_preload_length 0
		.amdhsa_user_sgpr_kernarg_preload_offset 0
		.amdhsa_user_sgpr_private_segment_size 0
		.amdhsa_uses_dynamic_stack 0
		.amdhsa_system_sgpr_private_segment_wavefront_offset 0
		.amdhsa_system_sgpr_workgroup_id_x 1
		.amdhsa_system_sgpr_workgroup_id_y 0
		.amdhsa_system_sgpr_workgroup_id_z 0
		.amdhsa_system_sgpr_workgroup_info 0
		.amdhsa_system_vgpr_workitem_id 0
		.amdhsa_next_free_vgpr 1
		.amdhsa_next_free_sgpr 0
		.amdhsa_accum_offset 4
		.amdhsa_reserve_vcc 0
		.amdhsa_reserve_flat_scratch 0
		.amdhsa_float_round_mode_32 0
		.amdhsa_float_round_mode_16_64 0
		.amdhsa_float_denorm_mode_32 3
		.amdhsa_float_denorm_mode_16_64 3
		.amdhsa_dx10_clamp 1
		.amdhsa_ieee_mode 1
		.amdhsa_fp16_overflow 0
		.amdhsa_tg_split 0
		.amdhsa_exception_fp_ieee_invalid_op 0
		.amdhsa_exception_fp_denorm_src 0
		.amdhsa_exception_fp_ieee_div_zero 0
		.amdhsa_exception_fp_ieee_overflow 0
		.amdhsa_exception_fp_ieee_underflow 0
		.amdhsa_exception_fp_ieee_inexact 0
		.amdhsa_exception_int_div_zero 0
	.end_amdhsa_kernel
	.section	.text._ZN7rocprim17ROCPRIM_400000_NS6detail17trampoline_kernelINS0_14default_configENS1_22reduce_config_selectorIN6thrust23THRUST_200600_302600_NS5tupleIblNS6_9null_typeES8_S8_S8_S8_S8_S8_S8_EEEEZNS1_11reduce_implILb1ES3_PS9_SC_S9_NS6_11hip_rocprim9__find_if7functorIS9_EEEE10hipError_tPvRmT1_T2_T3_mT4_P12ihipStream_tbEUlT_E1_NS1_11comp_targetILNS1_3genE10ELNS1_11target_archE1200ELNS1_3gpuE4ELNS1_3repE0EEENS1_30default_config_static_selectorELNS0_4arch9wavefront6targetE1EEEvSK_,"axG",@progbits,_ZN7rocprim17ROCPRIM_400000_NS6detail17trampoline_kernelINS0_14default_configENS1_22reduce_config_selectorIN6thrust23THRUST_200600_302600_NS5tupleIblNS6_9null_typeES8_S8_S8_S8_S8_S8_S8_EEEEZNS1_11reduce_implILb1ES3_PS9_SC_S9_NS6_11hip_rocprim9__find_if7functorIS9_EEEE10hipError_tPvRmT1_T2_T3_mT4_P12ihipStream_tbEUlT_E1_NS1_11comp_targetILNS1_3genE10ELNS1_11target_archE1200ELNS1_3gpuE4ELNS1_3repE0EEENS1_30default_config_static_selectorELNS0_4arch9wavefront6targetE1EEEvSK_,comdat
.Lfunc_end1186:
	.size	_ZN7rocprim17ROCPRIM_400000_NS6detail17trampoline_kernelINS0_14default_configENS1_22reduce_config_selectorIN6thrust23THRUST_200600_302600_NS5tupleIblNS6_9null_typeES8_S8_S8_S8_S8_S8_S8_EEEEZNS1_11reduce_implILb1ES3_PS9_SC_S9_NS6_11hip_rocprim9__find_if7functorIS9_EEEE10hipError_tPvRmT1_T2_T3_mT4_P12ihipStream_tbEUlT_E1_NS1_11comp_targetILNS1_3genE10ELNS1_11target_archE1200ELNS1_3gpuE4ELNS1_3repE0EEENS1_30default_config_static_selectorELNS0_4arch9wavefront6targetE1EEEvSK_, .Lfunc_end1186-_ZN7rocprim17ROCPRIM_400000_NS6detail17trampoline_kernelINS0_14default_configENS1_22reduce_config_selectorIN6thrust23THRUST_200600_302600_NS5tupleIblNS6_9null_typeES8_S8_S8_S8_S8_S8_S8_EEEEZNS1_11reduce_implILb1ES3_PS9_SC_S9_NS6_11hip_rocprim9__find_if7functorIS9_EEEE10hipError_tPvRmT1_T2_T3_mT4_P12ihipStream_tbEUlT_E1_NS1_11comp_targetILNS1_3genE10ELNS1_11target_archE1200ELNS1_3gpuE4ELNS1_3repE0EEENS1_30default_config_static_selectorELNS0_4arch9wavefront6targetE1EEEvSK_
                                        ; -- End function
	.section	.AMDGPU.csdata,"",@progbits
; Kernel info:
; codeLenInByte = 0
; NumSgprs: 4
; NumVgprs: 0
; NumAgprs: 0
; TotalNumVgprs: 0
; ScratchSize: 0
; MemoryBound: 0
; FloatMode: 240
; IeeeMode: 1
; LDSByteSize: 0 bytes/workgroup (compile time only)
; SGPRBlocks: 0
; VGPRBlocks: 0
; NumSGPRsForWavesPerEU: 4
; NumVGPRsForWavesPerEU: 1
; AccumOffset: 4
; Occupancy: 8
; WaveLimiterHint : 0
; COMPUTE_PGM_RSRC2:SCRATCH_EN: 0
; COMPUTE_PGM_RSRC2:USER_SGPR: 6
; COMPUTE_PGM_RSRC2:TRAP_HANDLER: 0
; COMPUTE_PGM_RSRC2:TGID_X_EN: 1
; COMPUTE_PGM_RSRC2:TGID_Y_EN: 0
; COMPUTE_PGM_RSRC2:TGID_Z_EN: 0
; COMPUTE_PGM_RSRC2:TIDIG_COMP_CNT: 0
; COMPUTE_PGM_RSRC3_GFX90A:ACCUM_OFFSET: 0
; COMPUTE_PGM_RSRC3_GFX90A:TG_SPLIT: 0
	.section	.text._ZN7rocprim17ROCPRIM_400000_NS6detail17trampoline_kernelINS0_14default_configENS1_22reduce_config_selectorIN6thrust23THRUST_200600_302600_NS5tupleIblNS6_9null_typeES8_S8_S8_S8_S8_S8_S8_EEEEZNS1_11reduce_implILb1ES3_PS9_SC_S9_NS6_11hip_rocprim9__find_if7functorIS9_EEEE10hipError_tPvRmT1_T2_T3_mT4_P12ihipStream_tbEUlT_E1_NS1_11comp_targetILNS1_3genE9ELNS1_11target_archE1100ELNS1_3gpuE3ELNS1_3repE0EEENS1_30default_config_static_selectorELNS0_4arch9wavefront6targetE1EEEvSK_,"axG",@progbits,_ZN7rocprim17ROCPRIM_400000_NS6detail17trampoline_kernelINS0_14default_configENS1_22reduce_config_selectorIN6thrust23THRUST_200600_302600_NS5tupleIblNS6_9null_typeES8_S8_S8_S8_S8_S8_S8_EEEEZNS1_11reduce_implILb1ES3_PS9_SC_S9_NS6_11hip_rocprim9__find_if7functorIS9_EEEE10hipError_tPvRmT1_T2_T3_mT4_P12ihipStream_tbEUlT_E1_NS1_11comp_targetILNS1_3genE9ELNS1_11target_archE1100ELNS1_3gpuE3ELNS1_3repE0EEENS1_30default_config_static_selectorELNS0_4arch9wavefront6targetE1EEEvSK_,comdat
	.protected	_ZN7rocprim17ROCPRIM_400000_NS6detail17trampoline_kernelINS0_14default_configENS1_22reduce_config_selectorIN6thrust23THRUST_200600_302600_NS5tupleIblNS6_9null_typeES8_S8_S8_S8_S8_S8_S8_EEEEZNS1_11reduce_implILb1ES3_PS9_SC_S9_NS6_11hip_rocprim9__find_if7functorIS9_EEEE10hipError_tPvRmT1_T2_T3_mT4_P12ihipStream_tbEUlT_E1_NS1_11comp_targetILNS1_3genE9ELNS1_11target_archE1100ELNS1_3gpuE3ELNS1_3repE0EEENS1_30default_config_static_selectorELNS0_4arch9wavefront6targetE1EEEvSK_ ; -- Begin function _ZN7rocprim17ROCPRIM_400000_NS6detail17trampoline_kernelINS0_14default_configENS1_22reduce_config_selectorIN6thrust23THRUST_200600_302600_NS5tupleIblNS6_9null_typeES8_S8_S8_S8_S8_S8_S8_EEEEZNS1_11reduce_implILb1ES3_PS9_SC_S9_NS6_11hip_rocprim9__find_if7functorIS9_EEEE10hipError_tPvRmT1_T2_T3_mT4_P12ihipStream_tbEUlT_E1_NS1_11comp_targetILNS1_3genE9ELNS1_11target_archE1100ELNS1_3gpuE3ELNS1_3repE0EEENS1_30default_config_static_selectorELNS0_4arch9wavefront6targetE1EEEvSK_
	.globl	_ZN7rocprim17ROCPRIM_400000_NS6detail17trampoline_kernelINS0_14default_configENS1_22reduce_config_selectorIN6thrust23THRUST_200600_302600_NS5tupleIblNS6_9null_typeES8_S8_S8_S8_S8_S8_S8_EEEEZNS1_11reduce_implILb1ES3_PS9_SC_S9_NS6_11hip_rocprim9__find_if7functorIS9_EEEE10hipError_tPvRmT1_T2_T3_mT4_P12ihipStream_tbEUlT_E1_NS1_11comp_targetILNS1_3genE9ELNS1_11target_archE1100ELNS1_3gpuE3ELNS1_3repE0EEENS1_30default_config_static_selectorELNS0_4arch9wavefront6targetE1EEEvSK_
	.p2align	8
	.type	_ZN7rocprim17ROCPRIM_400000_NS6detail17trampoline_kernelINS0_14default_configENS1_22reduce_config_selectorIN6thrust23THRUST_200600_302600_NS5tupleIblNS6_9null_typeES8_S8_S8_S8_S8_S8_S8_EEEEZNS1_11reduce_implILb1ES3_PS9_SC_S9_NS6_11hip_rocprim9__find_if7functorIS9_EEEE10hipError_tPvRmT1_T2_T3_mT4_P12ihipStream_tbEUlT_E1_NS1_11comp_targetILNS1_3genE9ELNS1_11target_archE1100ELNS1_3gpuE3ELNS1_3repE0EEENS1_30default_config_static_selectorELNS0_4arch9wavefront6targetE1EEEvSK_,@function
_ZN7rocprim17ROCPRIM_400000_NS6detail17trampoline_kernelINS0_14default_configENS1_22reduce_config_selectorIN6thrust23THRUST_200600_302600_NS5tupleIblNS6_9null_typeES8_S8_S8_S8_S8_S8_S8_EEEEZNS1_11reduce_implILb1ES3_PS9_SC_S9_NS6_11hip_rocprim9__find_if7functorIS9_EEEE10hipError_tPvRmT1_T2_T3_mT4_P12ihipStream_tbEUlT_E1_NS1_11comp_targetILNS1_3genE9ELNS1_11target_archE1100ELNS1_3gpuE3ELNS1_3repE0EEENS1_30default_config_static_selectorELNS0_4arch9wavefront6targetE1EEEvSK_: ; @_ZN7rocprim17ROCPRIM_400000_NS6detail17trampoline_kernelINS0_14default_configENS1_22reduce_config_selectorIN6thrust23THRUST_200600_302600_NS5tupleIblNS6_9null_typeES8_S8_S8_S8_S8_S8_S8_EEEEZNS1_11reduce_implILb1ES3_PS9_SC_S9_NS6_11hip_rocprim9__find_if7functorIS9_EEEE10hipError_tPvRmT1_T2_T3_mT4_P12ihipStream_tbEUlT_E1_NS1_11comp_targetILNS1_3genE9ELNS1_11target_archE1100ELNS1_3gpuE3ELNS1_3repE0EEENS1_30default_config_static_selectorELNS0_4arch9wavefront6targetE1EEEvSK_
; %bb.0:
	.section	.rodata,"a",@progbits
	.p2align	6, 0x0
	.amdhsa_kernel _ZN7rocprim17ROCPRIM_400000_NS6detail17trampoline_kernelINS0_14default_configENS1_22reduce_config_selectorIN6thrust23THRUST_200600_302600_NS5tupleIblNS6_9null_typeES8_S8_S8_S8_S8_S8_S8_EEEEZNS1_11reduce_implILb1ES3_PS9_SC_S9_NS6_11hip_rocprim9__find_if7functorIS9_EEEE10hipError_tPvRmT1_T2_T3_mT4_P12ihipStream_tbEUlT_E1_NS1_11comp_targetILNS1_3genE9ELNS1_11target_archE1100ELNS1_3gpuE3ELNS1_3repE0EEENS1_30default_config_static_selectorELNS0_4arch9wavefront6targetE1EEEvSK_
		.amdhsa_group_segment_fixed_size 0
		.amdhsa_private_segment_fixed_size 0
		.amdhsa_kernarg_size 56
		.amdhsa_user_sgpr_count 6
		.amdhsa_user_sgpr_private_segment_buffer 1
		.amdhsa_user_sgpr_dispatch_ptr 0
		.amdhsa_user_sgpr_queue_ptr 0
		.amdhsa_user_sgpr_kernarg_segment_ptr 1
		.amdhsa_user_sgpr_dispatch_id 0
		.amdhsa_user_sgpr_flat_scratch_init 0
		.amdhsa_user_sgpr_kernarg_preload_length 0
		.amdhsa_user_sgpr_kernarg_preload_offset 0
		.amdhsa_user_sgpr_private_segment_size 0
		.amdhsa_uses_dynamic_stack 0
		.amdhsa_system_sgpr_private_segment_wavefront_offset 0
		.amdhsa_system_sgpr_workgroup_id_x 1
		.amdhsa_system_sgpr_workgroup_id_y 0
		.amdhsa_system_sgpr_workgroup_id_z 0
		.amdhsa_system_sgpr_workgroup_info 0
		.amdhsa_system_vgpr_workitem_id 0
		.amdhsa_next_free_vgpr 1
		.amdhsa_next_free_sgpr 0
		.amdhsa_accum_offset 4
		.amdhsa_reserve_vcc 0
		.amdhsa_reserve_flat_scratch 0
		.amdhsa_float_round_mode_32 0
		.amdhsa_float_round_mode_16_64 0
		.amdhsa_float_denorm_mode_32 3
		.amdhsa_float_denorm_mode_16_64 3
		.amdhsa_dx10_clamp 1
		.amdhsa_ieee_mode 1
		.amdhsa_fp16_overflow 0
		.amdhsa_tg_split 0
		.amdhsa_exception_fp_ieee_invalid_op 0
		.amdhsa_exception_fp_denorm_src 0
		.amdhsa_exception_fp_ieee_div_zero 0
		.amdhsa_exception_fp_ieee_overflow 0
		.amdhsa_exception_fp_ieee_underflow 0
		.amdhsa_exception_fp_ieee_inexact 0
		.amdhsa_exception_int_div_zero 0
	.end_amdhsa_kernel
	.section	.text._ZN7rocprim17ROCPRIM_400000_NS6detail17trampoline_kernelINS0_14default_configENS1_22reduce_config_selectorIN6thrust23THRUST_200600_302600_NS5tupleIblNS6_9null_typeES8_S8_S8_S8_S8_S8_S8_EEEEZNS1_11reduce_implILb1ES3_PS9_SC_S9_NS6_11hip_rocprim9__find_if7functorIS9_EEEE10hipError_tPvRmT1_T2_T3_mT4_P12ihipStream_tbEUlT_E1_NS1_11comp_targetILNS1_3genE9ELNS1_11target_archE1100ELNS1_3gpuE3ELNS1_3repE0EEENS1_30default_config_static_selectorELNS0_4arch9wavefront6targetE1EEEvSK_,"axG",@progbits,_ZN7rocprim17ROCPRIM_400000_NS6detail17trampoline_kernelINS0_14default_configENS1_22reduce_config_selectorIN6thrust23THRUST_200600_302600_NS5tupleIblNS6_9null_typeES8_S8_S8_S8_S8_S8_S8_EEEEZNS1_11reduce_implILb1ES3_PS9_SC_S9_NS6_11hip_rocprim9__find_if7functorIS9_EEEE10hipError_tPvRmT1_T2_T3_mT4_P12ihipStream_tbEUlT_E1_NS1_11comp_targetILNS1_3genE9ELNS1_11target_archE1100ELNS1_3gpuE3ELNS1_3repE0EEENS1_30default_config_static_selectorELNS0_4arch9wavefront6targetE1EEEvSK_,comdat
.Lfunc_end1187:
	.size	_ZN7rocprim17ROCPRIM_400000_NS6detail17trampoline_kernelINS0_14default_configENS1_22reduce_config_selectorIN6thrust23THRUST_200600_302600_NS5tupleIblNS6_9null_typeES8_S8_S8_S8_S8_S8_S8_EEEEZNS1_11reduce_implILb1ES3_PS9_SC_S9_NS6_11hip_rocprim9__find_if7functorIS9_EEEE10hipError_tPvRmT1_T2_T3_mT4_P12ihipStream_tbEUlT_E1_NS1_11comp_targetILNS1_3genE9ELNS1_11target_archE1100ELNS1_3gpuE3ELNS1_3repE0EEENS1_30default_config_static_selectorELNS0_4arch9wavefront6targetE1EEEvSK_, .Lfunc_end1187-_ZN7rocprim17ROCPRIM_400000_NS6detail17trampoline_kernelINS0_14default_configENS1_22reduce_config_selectorIN6thrust23THRUST_200600_302600_NS5tupleIblNS6_9null_typeES8_S8_S8_S8_S8_S8_S8_EEEEZNS1_11reduce_implILb1ES3_PS9_SC_S9_NS6_11hip_rocprim9__find_if7functorIS9_EEEE10hipError_tPvRmT1_T2_T3_mT4_P12ihipStream_tbEUlT_E1_NS1_11comp_targetILNS1_3genE9ELNS1_11target_archE1100ELNS1_3gpuE3ELNS1_3repE0EEENS1_30default_config_static_selectorELNS0_4arch9wavefront6targetE1EEEvSK_
                                        ; -- End function
	.section	.AMDGPU.csdata,"",@progbits
; Kernel info:
; codeLenInByte = 0
; NumSgprs: 4
; NumVgprs: 0
; NumAgprs: 0
; TotalNumVgprs: 0
; ScratchSize: 0
; MemoryBound: 0
; FloatMode: 240
; IeeeMode: 1
; LDSByteSize: 0 bytes/workgroup (compile time only)
; SGPRBlocks: 0
; VGPRBlocks: 0
; NumSGPRsForWavesPerEU: 4
; NumVGPRsForWavesPerEU: 1
; AccumOffset: 4
; Occupancy: 8
; WaveLimiterHint : 0
; COMPUTE_PGM_RSRC2:SCRATCH_EN: 0
; COMPUTE_PGM_RSRC2:USER_SGPR: 6
; COMPUTE_PGM_RSRC2:TRAP_HANDLER: 0
; COMPUTE_PGM_RSRC2:TGID_X_EN: 1
; COMPUTE_PGM_RSRC2:TGID_Y_EN: 0
; COMPUTE_PGM_RSRC2:TGID_Z_EN: 0
; COMPUTE_PGM_RSRC2:TIDIG_COMP_CNT: 0
; COMPUTE_PGM_RSRC3_GFX90A:ACCUM_OFFSET: 0
; COMPUTE_PGM_RSRC3_GFX90A:TG_SPLIT: 0
	.section	.text._ZN7rocprim17ROCPRIM_400000_NS6detail17trampoline_kernelINS0_14default_configENS1_22reduce_config_selectorIN6thrust23THRUST_200600_302600_NS5tupleIblNS6_9null_typeES8_S8_S8_S8_S8_S8_S8_EEEEZNS1_11reduce_implILb1ES3_PS9_SC_S9_NS6_11hip_rocprim9__find_if7functorIS9_EEEE10hipError_tPvRmT1_T2_T3_mT4_P12ihipStream_tbEUlT_E1_NS1_11comp_targetILNS1_3genE8ELNS1_11target_archE1030ELNS1_3gpuE2ELNS1_3repE0EEENS1_30default_config_static_selectorELNS0_4arch9wavefront6targetE1EEEvSK_,"axG",@progbits,_ZN7rocprim17ROCPRIM_400000_NS6detail17trampoline_kernelINS0_14default_configENS1_22reduce_config_selectorIN6thrust23THRUST_200600_302600_NS5tupleIblNS6_9null_typeES8_S8_S8_S8_S8_S8_S8_EEEEZNS1_11reduce_implILb1ES3_PS9_SC_S9_NS6_11hip_rocprim9__find_if7functorIS9_EEEE10hipError_tPvRmT1_T2_T3_mT4_P12ihipStream_tbEUlT_E1_NS1_11comp_targetILNS1_3genE8ELNS1_11target_archE1030ELNS1_3gpuE2ELNS1_3repE0EEENS1_30default_config_static_selectorELNS0_4arch9wavefront6targetE1EEEvSK_,comdat
	.protected	_ZN7rocprim17ROCPRIM_400000_NS6detail17trampoline_kernelINS0_14default_configENS1_22reduce_config_selectorIN6thrust23THRUST_200600_302600_NS5tupleIblNS6_9null_typeES8_S8_S8_S8_S8_S8_S8_EEEEZNS1_11reduce_implILb1ES3_PS9_SC_S9_NS6_11hip_rocprim9__find_if7functorIS9_EEEE10hipError_tPvRmT1_T2_T3_mT4_P12ihipStream_tbEUlT_E1_NS1_11comp_targetILNS1_3genE8ELNS1_11target_archE1030ELNS1_3gpuE2ELNS1_3repE0EEENS1_30default_config_static_selectorELNS0_4arch9wavefront6targetE1EEEvSK_ ; -- Begin function _ZN7rocprim17ROCPRIM_400000_NS6detail17trampoline_kernelINS0_14default_configENS1_22reduce_config_selectorIN6thrust23THRUST_200600_302600_NS5tupleIblNS6_9null_typeES8_S8_S8_S8_S8_S8_S8_EEEEZNS1_11reduce_implILb1ES3_PS9_SC_S9_NS6_11hip_rocprim9__find_if7functorIS9_EEEE10hipError_tPvRmT1_T2_T3_mT4_P12ihipStream_tbEUlT_E1_NS1_11comp_targetILNS1_3genE8ELNS1_11target_archE1030ELNS1_3gpuE2ELNS1_3repE0EEENS1_30default_config_static_selectorELNS0_4arch9wavefront6targetE1EEEvSK_
	.globl	_ZN7rocprim17ROCPRIM_400000_NS6detail17trampoline_kernelINS0_14default_configENS1_22reduce_config_selectorIN6thrust23THRUST_200600_302600_NS5tupleIblNS6_9null_typeES8_S8_S8_S8_S8_S8_S8_EEEEZNS1_11reduce_implILb1ES3_PS9_SC_S9_NS6_11hip_rocprim9__find_if7functorIS9_EEEE10hipError_tPvRmT1_T2_T3_mT4_P12ihipStream_tbEUlT_E1_NS1_11comp_targetILNS1_3genE8ELNS1_11target_archE1030ELNS1_3gpuE2ELNS1_3repE0EEENS1_30default_config_static_selectorELNS0_4arch9wavefront6targetE1EEEvSK_
	.p2align	8
	.type	_ZN7rocprim17ROCPRIM_400000_NS6detail17trampoline_kernelINS0_14default_configENS1_22reduce_config_selectorIN6thrust23THRUST_200600_302600_NS5tupleIblNS6_9null_typeES8_S8_S8_S8_S8_S8_S8_EEEEZNS1_11reduce_implILb1ES3_PS9_SC_S9_NS6_11hip_rocprim9__find_if7functorIS9_EEEE10hipError_tPvRmT1_T2_T3_mT4_P12ihipStream_tbEUlT_E1_NS1_11comp_targetILNS1_3genE8ELNS1_11target_archE1030ELNS1_3gpuE2ELNS1_3repE0EEENS1_30default_config_static_selectorELNS0_4arch9wavefront6targetE1EEEvSK_,@function
_ZN7rocprim17ROCPRIM_400000_NS6detail17trampoline_kernelINS0_14default_configENS1_22reduce_config_selectorIN6thrust23THRUST_200600_302600_NS5tupleIblNS6_9null_typeES8_S8_S8_S8_S8_S8_S8_EEEEZNS1_11reduce_implILb1ES3_PS9_SC_S9_NS6_11hip_rocprim9__find_if7functorIS9_EEEE10hipError_tPvRmT1_T2_T3_mT4_P12ihipStream_tbEUlT_E1_NS1_11comp_targetILNS1_3genE8ELNS1_11target_archE1030ELNS1_3gpuE2ELNS1_3repE0EEENS1_30default_config_static_selectorELNS0_4arch9wavefront6targetE1EEEvSK_: ; @_ZN7rocprim17ROCPRIM_400000_NS6detail17trampoline_kernelINS0_14default_configENS1_22reduce_config_selectorIN6thrust23THRUST_200600_302600_NS5tupleIblNS6_9null_typeES8_S8_S8_S8_S8_S8_S8_EEEEZNS1_11reduce_implILb1ES3_PS9_SC_S9_NS6_11hip_rocprim9__find_if7functorIS9_EEEE10hipError_tPvRmT1_T2_T3_mT4_P12ihipStream_tbEUlT_E1_NS1_11comp_targetILNS1_3genE8ELNS1_11target_archE1030ELNS1_3gpuE2ELNS1_3repE0EEENS1_30default_config_static_selectorELNS0_4arch9wavefront6targetE1EEEvSK_
; %bb.0:
	.section	.rodata,"a",@progbits
	.p2align	6, 0x0
	.amdhsa_kernel _ZN7rocprim17ROCPRIM_400000_NS6detail17trampoline_kernelINS0_14default_configENS1_22reduce_config_selectorIN6thrust23THRUST_200600_302600_NS5tupleIblNS6_9null_typeES8_S8_S8_S8_S8_S8_S8_EEEEZNS1_11reduce_implILb1ES3_PS9_SC_S9_NS6_11hip_rocprim9__find_if7functorIS9_EEEE10hipError_tPvRmT1_T2_T3_mT4_P12ihipStream_tbEUlT_E1_NS1_11comp_targetILNS1_3genE8ELNS1_11target_archE1030ELNS1_3gpuE2ELNS1_3repE0EEENS1_30default_config_static_selectorELNS0_4arch9wavefront6targetE1EEEvSK_
		.amdhsa_group_segment_fixed_size 0
		.amdhsa_private_segment_fixed_size 0
		.amdhsa_kernarg_size 56
		.amdhsa_user_sgpr_count 6
		.amdhsa_user_sgpr_private_segment_buffer 1
		.amdhsa_user_sgpr_dispatch_ptr 0
		.amdhsa_user_sgpr_queue_ptr 0
		.amdhsa_user_sgpr_kernarg_segment_ptr 1
		.amdhsa_user_sgpr_dispatch_id 0
		.amdhsa_user_sgpr_flat_scratch_init 0
		.amdhsa_user_sgpr_kernarg_preload_length 0
		.amdhsa_user_sgpr_kernarg_preload_offset 0
		.amdhsa_user_sgpr_private_segment_size 0
		.amdhsa_uses_dynamic_stack 0
		.amdhsa_system_sgpr_private_segment_wavefront_offset 0
		.amdhsa_system_sgpr_workgroup_id_x 1
		.amdhsa_system_sgpr_workgroup_id_y 0
		.amdhsa_system_sgpr_workgroup_id_z 0
		.amdhsa_system_sgpr_workgroup_info 0
		.amdhsa_system_vgpr_workitem_id 0
		.amdhsa_next_free_vgpr 1
		.amdhsa_next_free_sgpr 0
		.amdhsa_accum_offset 4
		.amdhsa_reserve_vcc 0
		.amdhsa_reserve_flat_scratch 0
		.amdhsa_float_round_mode_32 0
		.amdhsa_float_round_mode_16_64 0
		.amdhsa_float_denorm_mode_32 3
		.amdhsa_float_denorm_mode_16_64 3
		.amdhsa_dx10_clamp 1
		.amdhsa_ieee_mode 1
		.amdhsa_fp16_overflow 0
		.amdhsa_tg_split 0
		.amdhsa_exception_fp_ieee_invalid_op 0
		.amdhsa_exception_fp_denorm_src 0
		.amdhsa_exception_fp_ieee_div_zero 0
		.amdhsa_exception_fp_ieee_overflow 0
		.amdhsa_exception_fp_ieee_underflow 0
		.amdhsa_exception_fp_ieee_inexact 0
		.amdhsa_exception_int_div_zero 0
	.end_amdhsa_kernel
	.section	.text._ZN7rocprim17ROCPRIM_400000_NS6detail17trampoline_kernelINS0_14default_configENS1_22reduce_config_selectorIN6thrust23THRUST_200600_302600_NS5tupleIblNS6_9null_typeES8_S8_S8_S8_S8_S8_S8_EEEEZNS1_11reduce_implILb1ES3_PS9_SC_S9_NS6_11hip_rocprim9__find_if7functorIS9_EEEE10hipError_tPvRmT1_T2_T3_mT4_P12ihipStream_tbEUlT_E1_NS1_11comp_targetILNS1_3genE8ELNS1_11target_archE1030ELNS1_3gpuE2ELNS1_3repE0EEENS1_30default_config_static_selectorELNS0_4arch9wavefront6targetE1EEEvSK_,"axG",@progbits,_ZN7rocprim17ROCPRIM_400000_NS6detail17trampoline_kernelINS0_14default_configENS1_22reduce_config_selectorIN6thrust23THRUST_200600_302600_NS5tupleIblNS6_9null_typeES8_S8_S8_S8_S8_S8_S8_EEEEZNS1_11reduce_implILb1ES3_PS9_SC_S9_NS6_11hip_rocprim9__find_if7functorIS9_EEEE10hipError_tPvRmT1_T2_T3_mT4_P12ihipStream_tbEUlT_E1_NS1_11comp_targetILNS1_3genE8ELNS1_11target_archE1030ELNS1_3gpuE2ELNS1_3repE0EEENS1_30default_config_static_selectorELNS0_4arch9wavefront6targetE1EEEvSK_,comdat
.Lfunc_end1188:
	.size	_ZN7rocprim17ROCPRIM_400000_NS6detail17trampoline_kernelINS0_14default_configENS1_22reduce_config_selectorIN6thrust23THRUST_200600_302600_NS5tupleIblNS6_9null_typeES8_S8_S8_S8_S8_S8_S8_EEEEZNS1_11reduce_implILb1ES3_PS9_SC_S9_NS6_11hip_rocprim9__find_if7functorIS9_EEEE10hipError_tPvRmT1_T2_T3_mT4_P12ihipStream_tbEUlT_E1_NS1_11comp_targetILNS1_3genE8ELNS1_11target_archE1030ELNS1_3gpuE2ELNS1_3repE0EEENS1_30default_config_static_selectorELNS0_4arch9wavefront6targetE1EEEvSK_, .Lfunc_end1188-_ZN7rocprim17ROCPRIM_400000_NS6detail17trampoline_kernelINS0_14default_configENS1_22reduce_config_selectorIN6thrust23THRUST_200600_302600_NS5tupleIblNS6_9null_typeES8_S8_S8_S8_S8_S8_S8_EEEEZNS1_11reduce_implILb1ES3_PS9_SC_S9_NS6_11hip_rocprim9__find_if7functorIS9_EEEE10hipError_tPvRmT1_T2_T3_mT4_P12ihipStream_tbEUlT_E1_NS1_11comp_targetILNS1_3genE8ELNS1_11target_archE1030ELNS1_3gpuE2ELNS1_3repE0EEENS1_30default_config_static_selectorELNS0_4arch9wavefront6targetE1EEEvSK_
                                        ; -- End function
	.section	.AMDGPU.csdata,"",@progbits
; Kernel info:
; codeLenInByte = 0
; NumSgprs: 4
; NumVgprs: 0
; NumAgprs: 0
; TotalNumVgprs: 0
; ScratchSize: 0
; MemoryBound: 0
; FloatMode: 240
; IeeeMode: 1
; LDSByteSize: 0 bytes/workgroup (compile time only)
; SGPRBlocks: 0
; VGPRBlocks: 0
; NumSGPRsForWavesPerEU: 4
; NumVGPRsForWavesPerEU: 1
; AccumOffset: 4
; Occupancy: 8
; WaveLimiterHint : 0
; COMPUTE_PGM_RSRC2:SCRATCH_EN: 0
; COMPUTE_PGM_RSRC2:USER_SGPR: 6
; COMPUTE_PGM_RSRC2:TRAP_HANDLER: 0
; COMPUTE_PGM_RSRC2:TGID_X_EN: 1
; COMPUTE_PGM_RSRC2:TGID_Y_EN: 0
; COMPUTE_PGM_RSRC2:TGID_Z_EN: 0
; COMPUTE_PGM_RSRC2:TIDIG_COMP_CNT: 0
; COMPUTE_PGM_RSRC3_GFX90A:ACCUM_OFFSET: 0
; COMPUTE_PGM_RSRC3_GFX90A:TG_SPLIT: 0
	.section	.text._ZN7rocprim17ROCPRIM_400000_NS6detail17trampoline_kernelINS0_14default_configENS1_22reduce_config_selectorIN6thrust23THRUST_200600_302600_NS5tupleIblNS6_9null_typeES8_S8_S8_S8_S8_S8_S8_EEEEZNS1_11reduce_implILb1ES3_NS6_12zip_iteratorINS7_INS6_11hip_rocprim26transform_input_iterator_tIbNSD_35transform_pair_of_input_iterators_tIbNS6_6detail15normal_iteratorINS6_10device_ptrIlEEEENS6_17counting_iteratorIlNS6_11use_defaultESM_SM_EENS6_8equal_toIlEEEENSG_9not_fun_tINSD_8identityEEEEENSD_19counting_iterator_tIlEES8_S8_S8_S8_S8_S8_S8_S8_EEEEPS9_S9_NSD_9__find_if7functorIS9_EEEE10hipError_tPvRmT1_T2_T3_mT4_P12ihipStream_tbEUlT_E0_NS1_11comp_targetILNS1_3genE0ELNS1_11target_archE4294967295ELNS1_3gpuE0ELNS1_3repE0EEENS1_30default_config_static_selectorELNS0_4arch9wavefront6targetE1EEEvS16_,"axG",@progbits,_ZN7rocprim17ROCPRIM_400000_NS6detail17trampoline_kernelINS0_14default_configENS1_22reduce_config_selectorIN6thrust23THRUST_200600_302600_NS5tupleIblNS6_9null_typeES8_S8_S8_S8_S8_S8_S8_EEEEZNS1_11reduce_implILb1ES3_NS6_12zip_iteratorINS7_INS6_11hip_rocprim26transform_input_iterator_tIbNSD_35transform_pair_of_input_iterators_tIbNS6_6detail15normal_iteratorINS6_10device_ptrIlEEEENS6_17counting_iteratorIlNS6_11use_defaultESM_SM_EENS6_8equal_toIlEEEENSG_9not_fun_tINSD_8identityEEEEENSD_19counting_iterator_tIlEES8_S8_S8_S8_S8_S8_S8_S8_EEEEPS9_S9_NSD_9__find_if7functorIS9_EEEE10hipError_tPvRmT1_T2_T3_mT4_P12ihipStream_tbEUlT_E0_NS1_11comp_targetILNS1_3genE0ELNS1_11target_archE4294967295ELNS1_3gpuE0ELNS1_3repE0EEENS1_30default_config_static_selectorELNS0_4arch9wavefront6targetE1EEEvS16_,comdat
	.protected	_ZN7rocprim17ROCPRIM_400000_NS6detail17trampoline_kernelINS0_14default_configENS1_22reduce_config_selectorIN6thrust23THRUST_200600_302600_NS5tupleIblNS6_9null_typeES8_S8_S8_S8_S8_S8_S8_EEEEZNS1_11reduce_implILb1ES3_NS6_12zip_iteratorINS7_INS6_11hip_rocprim26transform_input_iterator_tIbNSD_35transform_pair_of_input_iterators_tIbNS6_6detail15normal_iteratorINS6_10device_ptrIlEEEENS6_17counting_iteratorIlNS6_11use_defaultESM_SM_EENS6_8equal_toIlEEEENSG_9not_fun_tINSD_8identityEEEEENSD_19counting_iterator_tIlEES8_S8_S8_S8_S8_S8_S8_S8_EEEEPS9_S9_NSD_9__find_if7functorIS9_EEEE10hipError_tPvRmT1_T2_T3_mT4_P12ihipStream_tbEUlT_E0_NS1_11comp_targetILNS1_3genE0ELNS1_11target_archE4294967295ELNS1_3gpuE0ELNS1_3repE0EEENS1_30default_config_static_selectorELNS0_4arch9wavefront6targetE1EEEvS16_ ; -- Begin function _ZN7rocprim17ROCPRIM_400000_NS6detail17trampoline_kernelINS0_14default_configENS1_22reduce_config_selectorIN6thrust23THRUST_200600_302600_NS5tupleIblNS6_9null_typeES8_S8_S8_S8_S8_S8_S8_EEEEZNS1_11reduce_implILb1ES3_NS6_12zip_iteratorINS7_INS6_11hip_rocprim26transform_input_iterator_tIbNSD_35transform_pair_of_input_iterators_tIbNS6_6detail15normal_iteratorINS6_10device_ptrIlEEEENS6_17counting_iteratorIlNS6_11use_defaultESM_SM_EENS6_8equal_toIlEEEENSG_9not_fun_tINSD_8identityEEEEENSD_19counting_iterator_tIlEES8_S8_S8_S8_S8_S8_S8_S8_EEEEPS9_S9_NSD_9__find_if7functorIS9_EEEE10hipError_tPvRmT1_T2_T3_mT4_P12ihipStream_tbEUlT_E0_NS1_11comp_targetILNS1_3genE0ELNS1_11target_archE4294967295ELNS1_3gpuE0ELNS1_3repE0EEENS1_30default_config_static_selectorELNS0_4arch9wavefront6targetE1EEEvS16_
	.globl	_ZN7rocprim17ROCPRIM_400000_NS6detail17trampoline_kernelINS0_14default_configENS1_22reduce_config_selectorIN6thrust23THRUST_200600_302600_NS5tupleIblNS6_9null_typeES8_S8_S8_S8_S8_S8_S8_EEEEZNS1_11reduce_implILb1ES3_NS6_12zip_iteratorINS7_INS6_11hip_rocprim26transform_input_iterator_tIbNSD_35transform_pair_of_input_iterators_tIbNS6_6detail15normal_iteratorINS6_10device_ptrIlEEEENS6_17counting_iteratorIlNS6_11use_defaultESM_SM_EENS6_8equal_toIlEEEENSG_9not_fun_tINSD_8identityEEEEENSD_19counting_iterator_tIlEES8_S8_S8_S8_S8_S8_S8_S8_EEEEPS9_S9_NSD_9__find_if7functorIS9_EEEE10hipError_tPvRmT1_T2_T3_mT4_P12ihipStream_tbEUlT_E0_NS1_11comp_targetILNS1_3genE0ELNS1_11target_archE4294967295ELNS1_3gpuE0ELNS1_3repE0EEENS1_30default_config_static_selectorELNS0_4arch9wavefront6targetE1EEEvS16_
	.p2align	8
	.type	_ZN7rocprim17ROCPRIM_400000_NS6detail17trampoline_kernelINS0_14default_configENS1_22reduce_config_selectorIN6thrust23THRUST_200600_302600_NS5tupleIblNS6_9null_typeES8_S8_S8_S8_S8_S8_S8_EEEEZNS1_11reduce_implILb1ES3_NS6_12zip_iteratorINS7_INS6_11hip_rocprim26transform_input_iterator_tIbNSD_35transform_pair_of_input_iterators_tIbNS6_6detail15normal_iteratorINS6_10device_ptrIlEEEENS6_17counting_iteratorIlNS6_11use_defaultESM_SM_EENS6_8equal_toIlEEEENSG_9not_fun_tINSD_8identityEEEEENSD_19counting_iterator_tIlEES8_S8_S8_S8_S8_S8_S8_S8_EEEEPS9_S9_NSD_9__find_if7functorIS9_EEEE10hipError_tPvRmT1_T2_T3_mT4_P12ihipStream_tbEUlT_E0_NS1_11comp_targetILNS1_3genE0ELNS1_11target_archE4294967295ELNS1_3gpuE0ELNS1_3repE0EEENS1_30default_config_static_selectorELNS0_4arch9wavefront6targetE1EEEvS16_,@function
_ZN7rocprim17ROCPRIM_400000_NS6detail17trampoline_kernelINS0_14default_configENS1_22reduce_config_selectorIN6thrust23THRUST_200600_302600_NS5tupleIblNS6_9null_typeES8_S8_S8_S8_S8_S8_S8_EEEEZNS1_11reduce_implILb1ES3_NS6_12zip_iteratorINS7_INS6_11hip_rocprim26transform_input_iterator_tIbNSD_35transform_pair_of_input_iterators_tIbNS6_6detail15normal_iteratorINS6_10device_ptrIlEEEENS6_17counting_iteratorIlNS6_11use_defaultESM_SM_EENS6_8equal_toIlEEEENSG_9not_fun_tINSD_8identityEEEEENSD_19counting_iterator_tIlEES8_S8_S8_S8_S8_S8_S8_S8_EEEEPS9_S9_NSD_9__find_if7functorIS9_EEEE10hipError_tPvRmT1_T2_T3_mT4_P12ihipStream_tbEUlT_E0_NS1_11comp_targetILNS1_3genE0ELNS1_11target_archE4294967295ELNS1_3gpuE0ELNS1_3repE0EEENS1_30default_config_static_selectorELNS0_4arch9wavefront6targetE1EEEvS16_: ; @_ZN7rocprim17ROCPRIM_400000_NS6detail17trampoline_kernelINS0_14default_configENS1_22reduce_config_selectorIN6thrust23THRUST_200600_302600_NS5tupleIblNS6_9null_typeES8_S8_S8_S8_S8_S8_S8_EEEEZNS1_11reduce_implILb1ES3_NS6_12zip_iteratorINS7_INS6_11hip_rocprim26transform_input_iterator_tIbNSD_35transform_pair_of_input_iterators_tIbNS6_6detail15normal_iteratorINS6_10device_ptrIlEEEENS6_17counting_iteratorIlNS6_11use_defaultESM_SM_EENS6_8equal_toIlEEEENSG_9not_fun_tINSD_8identityEEEEENSD_19counting_iterator_tIlEES8_S8_S8_S8_S8_S8_S8_S8_EEEEPS9_S9_NSD_9__find_if7functorIS9_EEEE10hipError_tPvRmT1_T2_T3_mT4_P12ihipStream_tbEUlT_E0_NS1_11comp_targetILNS1_3genE0ELNS1_11target_archE4294967295ELNS1_3gpuE0ELNS1_3repE0EEENS1_30default_config_static_selectorELNS0_4arch9wavefront6targetE1EEEvS16_
; %bb.0:
	.section	.rodata,"a",@progbits
	.p2align	6, 0x0
	.amdhsa_kernel _ZN7rocprim17ROCPRIM_400000_NS6detail17trampoline_kernelINS0_14default_configENS1_22reduce_config_selectorIN6thrust23THRUST_200600_302600_NS5tupleIblNS6_9null_typeES8_S8_S8_S8_S8_S8_S8_EEEEZNS1_11reduce_implILb1ES3_NS6_12zip_iteratorINS7_INS6_11hip_rocprim26transform_input_iterator_tIbNSD_35transform_pair_of_input_iterators_tIbNS6_6detail15normal_iteratorINS6_10device_ptrIlEEEENS6_17counting_iteratorIlNS6_11use_defaultESM_SM_EENS6_8equal_toIlEEEENSG_9not_fun_tINSD_8identityEEEEENSD_19counting_iterator_tIlEES8_S8_S8_S8_S8_S8_S8_S8_EEEEPS9_S9_NSD_9__find_if7functorIS9_EEEE10hipError_tPvRmT1_T2_T3_mT4_P12ihipStream_tbEUlT_E0_NS1_11comp_targetILNS1_3genE0ELNS1_11target_archE4294967295ELNS1_3gpuE0ELNS1_3repE0EEENS1_30default_config_static_selectorELNS0_4arch9wavefront6targetE1EEEvS16_
		.amdhsa_group_segment_fixed_size 0
		.amdhsa_private_segment_fixed_size 0
		.amdhsa_kernarg_size 104
		.amdhsa_user_sgpr_count 6
		.amdhsa_user_sgpr_private_segment_buffer 1
		.amdhsa_user_sgpr_dispatch_ptr 0
		.amdhsa_user_sgpr_queue_ptr 0
		.amdhsa_user_sgpr_kernarg_segment_ptr 1
		.amdhsa_user_sgpr_dispatch_id 0
		.amdhsa_user_sgpr_flat_scratch_init 0
		.amdhsa_user_sgpr_kernarg_preload_length 0
		.amdhsa_user_sgpr_kernarg_preload_offset 0
		.amdhsa_user_sgpr_private_segment_size 0
		.amdhsa_uses_dynamic_stack 0
		.amdhsa_system_sgpr_private_segment_wavefront_offset 0
		.amdhsa_system_sgpr_workgroup_id_x 1
		.amdhsa_system_sgpr_workgroup_id_y 0
		.amdhsa_system_sgpr_workgroup_id_z 0
		.amdhsa_system_sgpr_workgroup_info 0
		.amdhsa_system_vgpr_workitem_id 0
		.amdhsa_next_free_vgpr 1
		.amdhsa_next_free_sgpr 0
		.amdhsa_accum_offset 4
		.amdhsa_reserve_vcc 0
		.amdhsa_reserve_flat_scratch 0
		.amdhsa_float_round_mode_32 0
		.amdhsa_float_round_mode_16_64 0
		.amdhsa_float_denorm_mode_32 3
		.amdhsa_float_denorm_mode_16_64 3
		.amdhsa_dx10_clamp 1
		.amdhsa_ieee_mode 1
		.amdhsa_fp16_overflow 0
		.amdhsa_tg_split 0
		.amdhsa_exception_fp_ieee_invalid_op 0
		.amdhsa_exception_fp_denorm_src 0
		.amdhsa_exception_fp_ieee_div_zero 0
		.amdhsa_exception_fp_ieee_overflow 0
		.amdhsa_exception_fp_ieee_underflow 0
		.amdhsa_exception_fp_ieee_inexact 0
		.amdhsa_exception_int_div_zero 0
	.end_amdhsa_kernel
	.section	.text._ZN7rocprim17ROCPRIM_400000_NS6detail17trampoline_kernelINS0_14default_configENS1_22reduce_config_selectorIN6thrust23THRUST_200600_302600_NS5tupleIblNS6_9null_typeES8_S8_S8_S8_S8_S8_S8_EEEEZNS1_11reduce_implILb1ES3_NS6_12zip_iteratorINS7_INS6_11hip_rocprim26transform_input_iterator_tIbNSD_35transform_pair_of_input_iterators_tIbNS6_6detail15normal_iteratorINS6_10device_ptrIlEEEENS6_17counting_iteratorIlNS6_11use_defaultESM_SM_EENS6_8equal_toIlEEEENSG_9not_fun_tINSD_8identityEEEEENSD_19counting_iterator_tIlEES8_S8_S8_S8_S8_S8_S8_S8_EEEEPS9_S9_NSD_9__find_if7functorIS9_EEEE10hipError_tPvRmT1_T2_T3_mT4_P12ihipStream_tbEUlT_E0_NS1_11comp_targetILNS1_3genE0ELNS1_11target_archE4294967295ELNS1_3gpuE0ELNS1_3repE0EEENS1_30default_config_static_selectorELNS0_4arch9wavefront6targetE1EEEvS16_,"axG",@progbits,_ZN7rocprim17ROCPRIM_400000_NS6detail17trampoline_kernelINS0_14default_configENS1_22reduce_config_selectorIN6thrust23THRUST_200600_302600_NS5tupleIblNS6_9null_typeES8_S8_S8_S8_S8_S8_S8_EEEEZNS1_11reduce_implILb1ES3_NS6_12zip_iteratorINS7_INS6_11hip_rocprim26transform_input_iterator_tIbNSD_35transform_pair_of_input_iterators_tIbNS6_6detail15normal_iteratorINS6_10device_ptrIlEEEENS6_17counting_iteratorIlNS6_11use_defaultESM_SM_EENS6_8equal_toIlEEEENSG_9not_fun_tINSD_8identityEEEEENSD_19counting_iterator_tIlEES8_S8_S8_S8_S8_S8_S8_S8_EEEEPS9_S9_NSD_9__find_if7functorIS9_EEEE10hipError_tPvRmT1_T2_T3_mT4_P12ihipStream_tbEUlT_E0_NS1_11comp_targetILNS1_3genE0ELNS1_11target_archE4294967295ELNS1_3gpuE0ELNS1_3repE0EEENS1_30default_config_static_selectorELNS0_4arch9wavefront6targetE1EEEvS16_,comdat
.Lfunc_end1189:
	.size	_ZN7rocprim17ROCPRIM_400000_NS6detail17trampoline_kernelINS0_14default_configENS1_22reduce_config_selectorIN6thrust23THRUST_200600_302600_NS5tupleIblNS6_9null_typeES8_S8_S8_S8_S8_S8_S8_EEEEZNS1_11reduce_implILb1ES3_NS6_12zip_iteratorINS7_INS6_11hip_rocprim26transform_input_iterator_tIbNSD_35transform_pair_of_input_iterators_tIbNS6_6detail15normal_iteratorINS6_10device_ptrIlEEEENS6_17counting_iteratorIlNS6_11use_defaultESM_SM_EENS6_8equal_toIlEEEENSG_9not_fun_tINSD_8identityEEEEENSD_19counting_iterator_tIlEES8_S8_S8_S8_S8_S8_S8_S8_EEEEPS9_S9_NSD_9__find_if7functorIS9_EEEE10hipError_tPvRmT1_T2_T3_mT4_P12ihipStream_tbEUlT_E0_NS1_11comp_targetILNS1_3genE0ELNS1_11target_archE4294967295ELNS1_3gpuE0ELNS1_3repE0EEENS1_30default_config_static_selectorELNS0_4arch9wavefront6targetE1EEEvS16_, .Lfunc_end1189-_ZN7rocprim17ROCPRIM_400000_NS6detail17trampoline_kernelINS0_14default_configENS1_22reduce_config_selectorIN6thrust23THRUST_200600_302600_NS5tupleIblNS6_9null_typeES8_S8_S8_S8_S8_S8_S8_EEEEZNS1_11reduce_implILb1ES3_NS6_12zip_iteratorINS7_INS6_11hip_rocprim26transform_input_iterator_tIbNSD_35transform_pair_of_input_iterators_tIbNS6_6detail15normal_iteratorINS6_10device_ptrIlEEEENS6_17counting_iteratorIlNS6_11use_defaultESM_SM_EENS6_8equal_toIlEEEENSG_9not_fun_tINSD_8identityEEEEENSD_19counting_iterator_tIlEES8_S8_S8_S8_S8_S8_S8_S8_EEEEPS9_S9_NSD_9__find_if7functorIS9_EEEE10hipError_tPvRmT1_T2_T3_mT4_P12ihipStream_tbEUlT_E0_NS1_11comp_targetILNS1_3genE0ELNS1_11target_archE4294967295ELNS1_3gpuE0ELNS1_3repE0EEENS1_30default_config_static_selectorELNS0_4arch9wavefront6targetE1EEEvS16_
                                        ; -- End function
	.section	.AMDGPU.csdata,"",@progbits
; Kernel info:
; codeLenInByte = 0
; NumSgprs: 4
; NumVgprs: 0
; NumAgprs: 0
; TotalNumVgprs: 0
; ScratchSize: 0
; MemoryBound: 0
; FloatMode: 240
; IeeeMode: 1
; LDSByteSize: 0 bytes/workgroup (compile time only)
; SGPRBlocks: 0
; VGPRBlocks: 0
; NumSGPRsForWavesPerEU: 4
; NumVGPRsForWavesPerEU: 1
; AccumOffset: 4
; Occupancy: 8
; WaveLimiterHint : 0
; COMPUTE_PGM_RSRC2:SCRATCH_EN: 0
; COMPUTE_PGM_RSRC2:USER_SGPR: 6
; COMPUTE_PGM_RSRC2:TRAP_HANDLER: 0
; COMPUTE_PGM_RSRC2:TGID_X_EN: 1
; COMPUTE_PGM_RSRC2:TGID_Y_EN: 0
; COMPUTE_PGM_RSRC2:TGID_Z_EN: 0
; COMPUTE_PGM_RSRC2:TIDIG_COMP_CNT: 0
; COMPUTE_PGM_RSRC3_GFX90A:ACCUM_OFFSET: 0
; COMPUTE_PGM_RSRC3_GFX90A:TG_SPLIT: 0
	.section	.text._ZN7rocprim17ROCPRIM_400000_NS6detail17trampoline_kernelINS0_14default_configENS1_22reduce_config_selectorIN6thrust23THRUST_200600_302600_NS5tupleIblNS6_9null_typeES8_S8_S8_S8_S8_S8_S8_EEEEZNS1_11reduce_implILb1ES3_NS6_12zip_iteratorINS7_INS6_11hip_rocprim26transform_input_iterator_tIbNSD_35transform_pair_of_input_iterators_tIbNS6_6detail15normal_iteratorINS6_10device_ptrIlEEEENS6_17counting_iteratorIlNS6_11use_defaultESM_SM_EENS6_8equal_toIlEEEENSG_9not_fun_tINSD_8identityEEEEENSD_19counting_iterator_tIlEES8_S8_S8_S8_S8_S8_S8_S8_EEEEPS9_S9_NSD_9__find_if7functorIS9_EEEE10hipError_tPvRmT1_T2_T3_mT4_P12ihipStream_tbEUlT_E0_NS1_11comp_targetILNS1_3genE5ELNS1_11target_archE942ELNS1_3gpuE9ELNS1_3repE0EEENS1_30default_config_static_selectorELNS0_4arch9wavefront6targetE1EEEvS16_,"axG",@progbits,_ZN7rocprim17ROCPRIM_400000_NS6detail17trampoline_kernelINS0_14default_configENS1_22reduce_config_selectorIN6thrust23THRUST_200600_302600_NS5tupleIblNS6_9null_typeES8_S8_S8_S8_S8_S8_S8_EEEEZNS1_11reduce_implILb1ES3_NS6_12zip_iteratorINS7_INS6_11hip_rocprim26transform_input_iterator_tIbNSD_35transform_pair_of_input_iterators_tIbNS6_6detail15normal_iteratorINS6_10device_ptrIlEEEENS6_17counting_iteratorIlNS6_11use_defaultESM_SM_EENS6_8equal_toIlEEEENSG_9not_fun_tINSD_8identityEEEEENSD_19counting_iterator_tIlEES8_S8_S8_S8_S8_S8_S8_S8_EEEEPS9_S9_NSD_9__find_if7functorIS9_EEEE10hipError_tPvRmT1_T2_T3_mT4_P12ihipStream_tbEUlT_E0_NS1_11comp_targetILNS1_3genE5ELNS1_11target_archE942ELNS1_3gpuE9ELNS1_3repE0EEENS1_30default_config_static_selectorELNS0_4arch9wavefront6targetE1EEEvS16_,comdat
	.protected	_ZN7rocprim17ROCPRIM_400000_NS6detail17trampoline_kernelINS0_14default_configENS1_22reduce_config_selectorIN6thrust23THRUST_200600_302600_NS5tupleIblNS6_9null_typeES8_S8_S8_S8_S8_S8_S8_EEEEZNS1_11reduce_implILb1ES3_NS6_12zip_iteratorINS7_INS6_11hip_rocprim26transform_input_iterator_tIbNSD_35transform_pair_of_input_iterators_tIbNS6_6detail15normal_iteratorINS6_10device_ptrIlEEEENS6_17counting_iteratorIlNS6_11use_defaultESM_SM_EENS6_8equal_toIlEEEENSG_9not_fun_tINSD_8identityEEEEENSD_19counting_iterator_tIlEES8_S8_S8_S8_S8_S8_S8_S8_EEEEPS9_S9_NSD_9__find_if7functorIS9_EEEE10hipError_tPvRmT1_T2_T3_mT4_P12ihipStream_tbEUlT_E0_NS1_11comp_targetILNS1_3genE5ELNS1_11target_archE942ELNS1_3gpuE9ELNS1_3repE0EEENS1_30default_config_static_selectorELNS0_4arch9wavefront6targetE1EEEvS16_ ; -- Begin function _ZN7rocprim17ROCPRIM_400000_NS6detail17trampoline_kernelINS0_14default_configENS1_22reduce_config_selectorIN6thrust23THRUST_200600_302600_NS5tupleIblNS6_9null_typeES8_S8_S8_S8_S8_S8_S8_EEEEZNS1_11reduce_implILb1ES3_NS6_12zip_iteratorINS7_INS6_11hip_rocprim26transform_input_iterator_tIbNSD_35transform_pair_of_input_iterators_tIbNS6_6detail15normal_iteratorINS6_10device_ptrIlEEEENS6_17counting_iteratorIlNS6_11use_defaultESM_SM_EENS6_8equal_toIlEEEENSG_9not_fun_tINSD_8identityEEEEENSD_19counting_iterator_tIlEES8_S8_S8_S8_S8_S8_S8_S8_EEEEPS9_S9_NSD_9__find_if7functorIS9_EEEE10hipError_tPvRmT1_T2_T3_mT4_P12ihipStream_tbEUlT_E0_NS1_11comp_targetILNS1_3genE5ELNS1_11target_archE942ELNS1_3gpuE9ELNS1_3repE0EEENS1_30default_config_static_selectorELNS0_4arch9wavefront6targetE1EEEvS16_
	.globl	_ZN7rocprim17ROCPRIM_400000_NS6detail17trampoline_kernelINS0_14default_configENS1_22reduce_config_selectorIN6thrust23THRUST_200600_302600_NS5tupleIblNS6_9null_typeES8_S8_S8_S8_S8_S8_S8_EEEEZNS1_11reduce_implILb1ES3_NS6_12zip_iteratorINS7_INS6_11hip_rocprim26transform_input_iterator_tIbNSD_35transform_pair_of_input_iterators_tIbNS6_6detail15normal_iteratorINS6_10device_ptrIlEEEENS6_17counting_iteratorIlNS6_11use_defaultESM_SM_EENS6_8equal_toIlEEEENSG_9not_fun_tINSD_8identityEEEEENSD_19counting_iterator_tIlEES8_S8_S8_S8_S8_S8_S8_S8_EEEEPS9_S9_NSD_9__find_if7functorIS9_EEEE10hipError_tPvRmT1_T2_T3_mT4_P12ihipStream_tbEUlT_E0_NS1_11comp_targetILNS1_3genE5ELNS1_11target_archE942ELNS1_3gpuE9ELNS1_3repE0EEENS1_30default_config_static_selectorELNS0_4arch9wavefront6targetE1EEEvS16_
	.p2align	8
	.type	_ZN7rocprim17ROCPRIM_400000_NS6detail17trampoline_kernelINS0_14default_configENS1_22reduce_config_selectorIN6thrust23THRUST_200600_302600_NS5tupleIblNS6_9null_typeES8_S8_S8_S8_S8_S8_S8_EEEEZNS1_11reduce_implILb1ES3_NS6_12zip_iteratorINS7_INS6_11hip_rocprim26transform_input_iterator_tIbNSD_35transform_pair_of_input_iterators_tIbNS6_6detail15normal_iteratorINS6_10device_ptrIlEEEENS6_17counting_iteratorIlNS6_11use_defaultESM_SM_EENS6_8equal_toIlEEEENSG_9not_fun_tINSD_8identityEEEEENSD_19counting_iterator_tIlEES8_S8_S8_S8_S8_S8_S8_S8_EEEEPS9_S9_NSD_9__find_if7functorIS9_EEEE10hipError_tPvRmT1_T2_T3_mT4_P12ihipStream_tbEUlT_E0_NS1_11comp_targetILNS1_3genE5ELNS1_11target_archE942ELNS1_3gpuE9ELNS1_3repE0EEENS1_30default_config_static_selectorELNS0_4arch9wavefront6targetE1EEEvS16_,@function
_ZN7rocprim17ROCPRIM_400000_NS6detail17trampoline_kernelINS0_14default_configENS1_22reduce_config_selectorIN6thrust23THRUST_200600_302600_NS5tupleIblNS6_9null_typeES8_S8_S8_S8_S8_S8_S8_EEEEZNS1_11reduce_implILb1ES3_NS6_12zip_iteratorINS7_INS6_11hip_rocprim26transform_input_iterator_tIbNSD_35transform_pair_of_input_iterators_tIbNS6_6detail15normal_iteratorINS6_10device_ptrIlEEEENS6_17counting_iteratorIlNS6_11use_defaultESM_SM_EENS6_8equal_toIlEEEENSG_9not_fun_tINSD_8identityEEEEENSD_19counting_iterator_tIlEES8_S8_S8_S8_S8_S8_S8_S8_EEEEPS9_S9_NSD_9__find_if7functorIS9_EEEE10hipError_tPvRmT1_T2_T3_mT4_P12ihipStream_tbEUlT_E0_NS1_11comp_targetILNS1_3genE5ELNS1_11target_archE942ELNS1_3gpuE9ELNS1_3repE0EEENS1_30default_config_static_selectorELNS0_4arch9wavefront6targetE1EEEvS16_: ; @_ZN7rocprim17ROCPRIM_400000_NS6detail17trampoline_kernelINS0_14default_configENS1_22reduce_config_selectorIN6thrust23THRUST_200600_302600_NS5tupleIblNS6_9null_typeES8_S8_S8_S8_S8_S8_S8_EEEEZNS1_11reduce_implILb1ES3_NS6_12zip_iteratorINS7_INS6_11hip_rocprim26transform_input_iterator_tIbNSD_35transform_pair_of_input_iterators_tIbNS6_6detail15normal_iteratorINS6_10device_ptrIlEEEENS6_17counting_iteratorIlNS6_11use_defaultESM_SM_EENS6_8equal_toIlEEEENSG_9not_fun_tINSD_8identityEEEEENSD_19counting_iterator_tIlEES8_S8_S8_S8_S8_S8_S8_S8_EEEEPS9_S9_NSD_9__find_if7functorIS9_EEEE10hipError_tPvRmT1_T2_T3_mT4_P12ihipStream_tbEUlT_E0_NS1_11comp_targetILNS1_3genE5ELNS1_11target_archE942ELNS1_3gpuE9ELNS1_3repE0EEENS1_30default_config_static_selectorELNS0_4arch9wavefront6targetE1EEEvS16_
; %bb.0:
	.section	.rodata,"a",@progbits
	.p2align	6, 0x0
	.amdhsa_kernel _ZN7rocprim17ROCPRIM_400000_NS6detail17trampoline_kernelINS0_14default_configENS1_22reduce_config_selectorIN6thrust23THRUST_200600_302600_NS5tupleIblNS6_9null_typeES8_S8_S8_S8_S8_S8_S8_EEEEZNS1_11reduce_implILb1ES3_NS6_12zip_iteratorINS7_INS6_11hip_rocprim26transform_input_iterator_tIbNSD_35transform_pair_of_input_iterators_tIbNS6_6detail15normal_iteratorINS6_10device_ptrIlEEEENS6_17counting_iteratorIlNS6_11use_defaultESM_SM_EENS6_8equal_toIlEEEENSG_9not_fun_tINSD_8identityEEEEENSD_19counting_iterator_tIlEES8_S8_S8_S8_S8_S8_S8_S8_EEEEPS9_S9_NSD_9__find_if7functorIS9_EEEE10hipError_tPvRmT1_T2_T3_mT4_P12ihipStream_tbEUlT_E0_NS1_11comp_targetILNS1_3genE5ELNS1_11target_archE942ELNS1_3gpuE9ELNS1_3repE0EEENS1_30default_config_static_selectorELNS0_4arch9wavefront6targetE1EEEvS16_
		.amdhsa_group_segment_fixed_size 0
		.amdhsa_private_segment_fixed_size 0
		.amdhsa_kernarg_size 104
		.amdhsa_user_sgpr_count 6
		.amdhsa_user_sgpr_private_segment_buffer 1
		.amdhsa_user_sgpr_dispatch_ptr 0
		.amdhsa_user_sgpr_queue_ptr 0
		.amdhsa_user_sgpr_kernarg_segment_ptr 1
		.amdhsa_user_sgpr_dispatch_id 0
		.amdhsa_user_sgpr_flat_scratch_init 0
		.amdhsa_user_sgpr_kernarg_preload_length 0
		.amdhsa_user_sgpr_kernarg_preload_offset 0
		.amdhsa_user_sgpr_private_segment_size 0
		.amdhsa_uses_dynamic_stack 0
		.amdhsa_system_sgpr_private_segment_wavefront_offset 0
		.amdhsa_system_sgpr_workgroup_id_x 1
		.amdhsa_system_sgpr_workgroup_id_y 0
		.amdhsa_system_sgpr_workgroup_id_z 0
		.amdhsa_system_sgpr_workgroup_info 0
		.amdhsa_system_vgpr_workitem_id 0
		.amdhsa_next_free_vgpr 1
		.amdhsa_next_free_sgpr 0
		.amdhsa_accum_offset 4
		.amdhsa_reserve_vcc 0
		.amdhsa_reserve_flat_scratch 0
		.amdhsa_float_round_mode_32 0
		.amdhsa_float_round_mode_16_64 0
		.amdhsa_float_denorm_mode_32 3
		.amdhsa_float_denorm_mode_16_64 3
		.amdhsa_dx10_clamp 1
		.amdhsa_ieee_mode 1
		.amdhsa_fp16_overflow 0
		.amdhsa_tg_split 0
		.amdhsa_exception_fp_ieee_invalid_op 0
		.amdhsa_exception_fp_denorm_src 0
		.amdhsa_exception_fp_ieee_div_zero 0
		.amdhsa_exception_fp_ieee_overflow 0
		.amdhsa_exception_fp_ieee_underflow 0
		.amdhsa_exception_fp_ieee_inexact 0
		.amdhsa_exception_int_div_zero 0
	.end_amdhsa_kernel
	.section	.text._ZN7rocprim17ROCPRIM_400000_NS6detail17trampoline_kernelINS0_14default_configENS1_22reduce_config_selectorIN6thrust23THRUST_200600_302600_NS5tupleIblNS6_9null_typeES8_S8_S8_S8_S8_S8_S8_EEEEZNS1_11reduce_implILb1ES3_NS6_12zip_iteratorINS7_INS6_11hip_rocprim26transform_input_iterator_tIbNSD_35transform_pair_of_input_iterators_tIbNS6_6detail15normal_iteratorINS6_10device_ptrIlEEEENS6_17counting_iteratorIlNS6_11use_defaultESM_SM_EENS6_8equal_toIlEEEENSG_9not_fun_tINSD_8identityEEEEENSD_19counting_iterator_tIlEES8_S8_S8_S8_S8_S8_S8_S8_EEEEPS9_S9_NSD_9__find_if7functorIS9_EEEE10hipError_tPvRmT1_T2_T3_mT4_P12ihipStream_tbEUlT_E0_NS1_11comp_targetILNS1_3genE5ELNS1_11target_archE942ELNS1_3gpuE9ELNS1_3repE0EEENS1_30default_config_static_selectorELNS0_4arch9wavefront6targetE1EEEvS16_,"axG",@progbits,_ZN7rocprim17ROCPRIM_400000_NS6detail17trampoline_kernelINS0_14default_configENS1_22reduce_config_selectorIN6thrust23THRUST_200600_302600_NS5tupleIblNS6_9null_typeES8_S8_S8_S8_S8_S8_S8_EEEEZNS1_11reduce_implILb1ES3_NS6_12zip_iteratorINS7_INS6_11hip_rocprim26transform_input_iterator_tIbNSD_35transform_pair_of_input_iterators_tIbNS6_6detail15normal_iteratorINS6_10device_ptrIlEEEENS6_17counting_iteratorIlNS6_11use_defaultESM_SM_EENS6_8equal_toIlEEEENSG_9not_fun_tINSD_8identityEEEEENSD_19counting_iterator_tIlEES8_S8_S8_S8_S8_S8_S8_S8_EEEEPS9_S9_NSD_9__find_if7functorIS9_EEEE10hipError_tPvRmT1_T2_T3_mT4_P12ihipStream_tbEUlT_E0_NS1_11comp_targetILNS1_3genE5ELNS1_11target_archE942ELNS1_3gpuE9ELNS1_3repE0EEENS1_30default_config_static_selectorELNS0_4arch9wavefront6targetE1EEEvS16_,comdat
.Lfunc_end1190:
	.size	_ZN7rocprim17ROCPRIM_400000_NS6detail17trampoline_kernelINS0_14default_configENS1_22reduce_config_selectorIN6thrust23THRUST_200600_302600_NS5tupleIblNS6_9null_typeES8_S8_S8_S8_S8_S8_S8_EEEEZNS1_11reduce_implILb1ES3_NS6_12zip_iteratorINS7_INS6_11hip_rocprim26transform_input_iterator_tIbNSD_35transform_pair_of_input_iterators_tIbNS6_6detail15normal_iteratorINS6_10device_ptrIlEEEENS6_17counting_iteratorIlNS6_11use_defaultESM_SM_EENS6_8equal_toIlEEEENSG_9not_fun_tINSD_8identityEEEEENSD_19counting_iterator_tIlEES8_S8_S8_S8_S8_S8_S8_S8_EEEEPS9_S9_NSD_9__find_if7functorIS9_EEEE10hipError_tPvRmT1_T2_T3_mT4_P12ihipStream_tbEUlT_E0_NS1_11comp_targetILNS1_3genE5ELNS1_11target_archE942ELNS1_3gpuE9ELNS1_3repE0EEENS1_30default_config_static_selectorELNS0_4arch9wavefront6targetE1EEEvS16_, .Lfunc_end1190-_ZN7rocprim17ROCPRIM_400000_NS6detail17trampoline_kernelINS0_14default_configENS1_22reduce_config_selectorIN6thrust23THRUST_200600_302600_NS5tupleIblNS6_9null_typeES8_S8_S8_S8_S8_S8_S8_EEEEZNS1_11reduce_implILb1ES3_NS6_12zip_iteratorINS7_INS6_11hip_rocprim26transform_input_iterator_tIbNSD_35transform_pair_of_input_iterators_tIbNS6_6detail15normal_iteratorINS6_10device_ptrIlEEEENS6_17counting_iteratorIlNS6_11use_defaultESM_SM_EENS6_8equal_toIlEEEENSG_9not_fun_tINSD_8identityEEEEENSD_19counting_iterator_tIlEES8_S8_S8_S8_S8_S8_S8_S8_EEEEPS9_S9_NSD_9__find_if7functorIS9_EEEE10hipError_tPvRmT1_T2_T3_mT4_P12ihipStream_tbEUlT_E0_NS1_11comp_targetILNS1_3genE5ELNS1_11target_archE942ELNS1_3gpuE9ELNS1_3repE0EEENS1_30default_config_static_selectorELNS0_4arch9wavefront6targetE1EEEvS16_
                                        ; -- End function
	.section	.AMDGPU.csdata,"",@progbits
; Kernel info:
; codeLenInByte = 0
; NumSgprs: 4
; NumVgprs: 0
; NumAgprs: 0
; TotalNumVgprs: 0
; ScratchSize: 0
; MemoryBound: 0
; FloatMode: 240
; IeeeMode: 1
; LDSByteSize: 0 bytes/workgroup (compile time only)
; SGPRBlocks: 0
; VGPRBlocks: 0
; NumSGPRsForWavesPerEU: 4
; NumVGPRsForWavesPerEU: 1
; AccumOffset: 4
; Occupancy: 8
; WaveLimiterHint : 0
; COMPUTE_PGM_RSRC2:SCRATCH_EN: 0
; COMPUTE_PGM_RSRC2:USER_SGPR: 6
; COMPUTE_PGM_RSRC2:TRAP_HANDLER: 0
; COMPUTE_PGM_RSRC2:TGID_X_EN: 1
; COMPUTE_PGM_RSRC2:TGID_Y_EN: 0
; COMPUTE_PGM_RSRC2:TGID_Z_EN: 0
; COMPUTE_PGM_RSRC2:TIDIG_COMP_CNT: 0
; COMPUTE_PGM_RSRC3_GFX90A:ACCUM_OFFSET: 0
; COMPUTE_PGM_RSRC3_GFX90A:TG_SPLIT: 0
	.section	.text._ZN7rocprim17ROCPRIM_400000_NS6detail17trampoline_kernelINS0_14default_configENS1_22reduce_config_selectorIN6thrust23THRUST_200600_302600_NS5tupleIblNS6_9null_typeES8_S8_S8_S8_S8_S8_S8_EEEEZNS1_11reduce_implILb1ES3_NS6_12zip_iteratorINS7_INS6_11hip_rocprim26transform_input_iterator_tIbNSD_35transform_pair_of_input_iterators_tIbNS6_6detail15normal_iteratorINS6_10device_ptrIlEEEENS6_17counting_iteratorIlNS6_11use_defaultESM_SM_EENS6_8equal_toIlEEEENSG_9not_fun_tINSD_8identityEEEEENSD_19counting_iterator_tIlEES8_S8_S8_S8_S8_S8_S8_S8_EEEEPS9_S9_NSD_9__find_if7functorIS9_EEEE10hipError_tPvRmT1_T2_T3_mT4_P12ihipStream_tbEUlT_E0_NS1_11comp_targetILNS1_3genE4ELNS1_11target_archE910ELNS1_3gpuE8ELNS1_3repE0EEENS1_30default_config_static_selectorELNS0_4arch9wavefront6targetE1EEEvS16_,"axG",@progbits,_ZN7rocprim17ROCPRIM_400000_NS6detail17trampoline_kernelINS0_14default_configENS1_22reduce_config_selectorIN6thrust23THRUST_200600_302600_NS5tupleIblNS6_9null_typeES8_S8_S8_S8_S8_S8_S8_EEEEZNS1_11reduce_implILb1ES3_NS6_12zip_iteratorINS7_INS6_11hip_rocprim26transform_input_iterator_tIbNSD_35transform_pair_of_input_iterators_tIbNS6_6detail15normal_iteratorINS6_10device_ptrIlEEEENS6_17counting_iteratorIlNS6_11use_defaultESM_SM_EENS6_8equal_toIlEEEENSG_9not_fun_tINSD_8identityEEEEENSD_19counting_iterator_tIlEES8_S8_S8_S8_S8_S8_S8_S8_EEEEPS9_S9_NSD_9__find_if7functorIS9_EEEE10hipError_tPvRmT1_T2_T3_mT4_P12ihipStream_tbEUlT_E0_NS1_11comp_targetILNS1_3genE4ELNS1_11target_archE910ELNS1_3gpuE8ELNS1_3repE0EEENS1_30default_config_static_selectorELNS0_4arch9wavefront6targetE1EEEvS16_,comdat
	.protected	_ZN7rocprim17ROCPRIM_400000_NS6detail17trampoline_kernelINS0_14default_configENS1_22reduce_config_selectorIN6thrust23THRUST_200600_302600_NS5tupleIblNS6_9null_typeES8_S8_S8_S8_S8_S8_S8_EEEEZNS1_11reduce_implILb1ES3_NS6_12zip_iteratorINS7_INS6_11hip_rocprim26transform_input_iterator_tIbNSD_35transform_pair_of_input_iterators_tIbNS6_6detail15normal_iteratorINS6_10device_ptrIlEEEENS6_17counting_iteratorIlNS6_11use_defaultESM_SM_EENS6_8equal_toIlEEEENSG_9not_fun_tINSD_8identityEEEEENSD_19counting_iterator_tIlEES8_S8_S8_S8_S8_S8_S8_S8_EEEEPS9_S9_NSD_9__find_if7functorIS9_EEEE10hipError_tPvRmT1_T2_T3_mT4_P12ihipStream_tbEUlT_E0_NS1_11comp_targetILNS1_3genE4ELNS1_11target_archE910ELNS1_3gpuE8ELNS1_3repE0EEENS1_30default_config_static_selectorELNS0_4arch9wavefront6targetE1EEEvS16_ ; -- Begin function _ZN7rocprim17ROCPRIM_400000_NS6detail17trampoline_kernelINS0_14default_configENS1_22reduce_config_selectorIN6thrust23THRUST_200600_302600_NS5tupleIblNS6_9null_typeES8_S8_S8_S8_S8_S8_S8_EEEEZNS1_11reduce_implILb1ES3_NS6_12zip_iteratorINS7_INS6_11hip_rocprim26transform_input_iterator_tIbNSD_35transform_pair_of_input_iterators_tIbNS6_6detail15normal_iteratorINS6_10device_ptrIlEEEENS6_17counting_iteratorIlNS6_11use_defaultESM_SM_EENS6_8equal_toIlEEEENSG_9not_fun_tINSD_8identityEEEEENSD_19counting_iterator_tIlEES8_S8_S8_S8_S8_S8_S8_S8_EEEEPS9_S9_NSD_9__find_if7functorIS9_EEEE10hipError_tPvRmT1_T2_T3_mT4_P12ihipStream_tbEUlT_E0_NS1_11comp_targetILNS1_3genE4ELNS1_11target_archE910ELNS1_3gpuE8ELNS1_3repE0EEENS1_30default_config_static_selectorELNS0_4arch9wavefront6targetE1EEEvS16_
	.globl	_ZN7rocprim17ROCPRIM_400000_NS6detail17trampoline_kernelINS0_14default_configENS1_22reduce_config_selectorIN6thrust23THRUST_200600_302600_NS5tupleIblNS6_9null_typeES8_S8_S8_S8_S8_S8_S8_EEEEZNS1_11reduce_implILb1ES3_NS6_12zip_iteratorINS7_INS6_11hip_rocprim26transform_input_iterator_tIbNSD_35transform_pair_of_input_iterators_tIbNS6_6detail15normal_iteratorINS6_10device_ptrIlEEEENS6_17counting_iteratorIlNS6_11use_defaultESM_SM_EENS6_8equal_toIlEEEENSG_9not_fun_tINSD_8identityEEEEENSD_19counting_iterator_tIlEES8_S8_S8_S8_S8_S8_S8_S8_EEEEPS9_S9_NSD_9__find_if7functorIS9_EEEE10hipError_tPvRmT1_T2_T3_mT4_P12ihipStream_tbEUlT_E0_NS1_11comp_targetILNS1_3genE4ELNS1_11target_archE910ELNS1_3gpuE8ELNS1_3repE0EEENS1_30default_config_static_selectorELNS0_4arch9wavefront6targetE1EEEvS16_
	.p2align	8
	.type	_ZN7rocprim17ROCPRIM_400000_NS6detail17trampoline_kernelINS0_14default_configENS1_22reduce_config_selectorIN6thrust23THRUST_200600_302600_NS5tupleIblNS6_9null_typeES8_S8_S8_S8_S8_S8_S8_EEEEZNS1_11reduce_implILb1ES3_NS6_12zip_iteratorINS7_INS6_11hip_rocprim26transform_input_iterator_tIbNSD_35transform_pair_of_input_iterators_tIbNS6_6detail15normal_iteratorINS6_10device_ptrIlEEEENS6_17counting_iteratorIlNS6_11use_defaultESM_SM_EENS6_8equal_toIlEEEENSG_9not_fun_tINSD_8identityEEEEENSD_19counting_iterator_tIlEES8_S8_S8_S8_S8_S8_S8_S8_EEEEPS9_S9_NSD_9__find_if7functorIS9_EEEE10hipError_tPvRmT1_T2_T3_mT4_P12ihipStream_tbEUlT_E0_NS1_11comp_targetILNS1_3genE4ELNS1_11target_archE910ELNS1_3gpuE8ELNS1_3repE0EEENS1_30default_config_static_selectorELNS0_4arch9wavefront6targetE1EEEvS16_,@function
_ZN7rocprim17ROCPRIM_400000_NS6detail17trampoline_kernelINS0_14default_configENS1_22reduce_config_selectorIN6thrust23THRUST_200600_302600_NS5tupleIblNS6_9null_typeES8_S8_S8_S8_S8_S8_S8_EEEEZNS1_11reduce_implILb1ES3_NS6_12zip_iteratorINS7_INS6_11hip_rocprim26transform_input_iterator_tIbNSD_35transform_pair_of_input_iterators_tIbNS6_6detail15normal_iteratorINS6_10device_ptrIlEEEENS6_17counting_iteratorIlNS6_11use_defaultESM_SM_EENS6_8equal_toIlEEEENSG_9not_fun_tINSD_8identityEEEEENSD_19counting_iterator_tIlEES8_S8_S8_S8_S8_S8_S8_S8_EEEEPS9_S9_NSD_9__find_if7functorIS9_EEEE10hipError_tPvRmT1_T2_T3_mT4_P12ihipStream_tbEUlT_E0_NS1_11comp_targetILNS1_3genE4ELNS1_11target_archE910ELNS1_3gpuE8ELNS1_3repE0EEENS1_30default_config_static_selectorELNS0_4arch9wavefront6targetE1EEEvS16_: ; @_ZN7rocprim17ROCPRIM_400000_NS6detail17trampoline_kernelINS0_14default_configENS1_22reduce_config_selectorIN6thrust23THRUST_200600_302600_NS5tupleIblNS6_9null_typeES8_S8_S8_S8_S8_S8_S8_EEEEZNS1_11reduce_implILb1ES3_NS6_12zip_iteratorINS7_INS6_11hip_rocprim26transform_input_iterator_tIbNSD_35transform_pair_of_input_iterators_tIbNS6_6detail15normal_iteratorINS6_10device_ptrIlEEEENS6_17counting_iteratorIlNS6_11use_defaultESM_SM_EENS6_8equal_toIlEEEENSG_9not_fun_tINSD_8identityEEEEENSD_19counting_iterator_tIlEES8_S8_S8_S8_S8_S8_S8_S8_EEEEPS9_S9_NSD_9__find_if7functorIS9_EEEE10hipError_tPvRmT1_T2_T3_mT4_P12ihipStream_tbEUlT_E0_NS1_11comp_targetILNS1_3genE4ELNS1_11target_archE910ELNS1_3gpuE8ELNS1_3repE0EEENS1_30default_config_static_selectorELNS0_4arch9wavefront6targetE1EEEvS16_
; %bb.0:
	s_load_dwordx8 s[8:15], s[4:5], 0x20
	s_load_dwordx4 s[0:3], s[4:5], 0x0
	s_load_dwordx4 s[16:19], s[4:5], 0x40
	v_lshlrev_b32_e32 v1, 3, v0
	s_waitcnt lgkmcnt(0)
	s_lshl_b64 s[20:21], s[10:11], 3
	s_add_u32 s24, s0, s20
	s_addc_u32 s25, s1, s21
	s_add_u32 s20, s10, s2
	s_addc_u32 s21, s11, s3
	;; [unrolled: 2-line block ×3, first 2 shown]
	s_lshl_b32 s10, s6, 9
	s_mov_b32 s11, 0
	s_lshr_b64 s[0:1], s[12:13], 9
	s_lshl_b64 s[2:3], s[10:11], 3
	s_add_u32 s8, s24, s2
	s_mov_b32 s7, s11
	s_addc_u32 s9, s25, s3
	s_cmp_lg_u64 s[0:1], s[6:7]
	s_cbranch_scc0 .LBB1191_18
; %bb.1:
	global_load_dwordx2 v[2:3], v1, s[8:9] offset:2048
	global_load_dwordx2 v[4:5], v1, s[8:9]
	v_mov_b32_e32 v6, s11
	v_add_co_u32_e32 v9, vcc, s10, v0
	v_addc_co_u32_e32 v10, vcc, 0, v6, vcc
	v_mov_b32_e32 v7, s21
	v_add_co_u32_e32 v6, vcc, s20, v9
	v_addc_co_u32_e32 v7, vcc, v7, v10, vcc
	;; [unrolled: 3-line block ×3, first 2 shown]
	v_add_co_u32_e32 v8, vcc, 0x100, v6
	v_addc_co_u32_e32 v9, vcc, 0, v7, vcc
	v_add_co_u32_e32 v12, vcc, 0x100, v11
	v_addc_co_u32_e32 v13, vcc, 0, v10, vcc
	s_waitcnt vmcnt(1)
	v_cmp_ne_u64_e32 vcc, v[2:3], v[8:9]
	s_waitcnt vmcnt(0)
	v_cmp_ne_u64_e64 s[0:1], v[4:5], v[6:7]
	v_cndmask_b32_e64 v3, v13, v10, s[0:1]
	v_cndmask_b32_e64 v2, v12, v11, s[0:1]
	s_or_b64 s[0:1], s[0:1], vcc
	v_cndmask_b32_e64 v6, 0, 1, s[0:1]
	v_mov_b32_dpp v4, v2 quad_perm:[1,0,3,2] row_mask:0xf bank_mask:0xf bound_ctrl:1
	v_mov_b32_dpp v5, v3 quad_perm:[1,0,3,2] row_mask:0xf bank_mask:0xf bound_ctrl:1
	;; [unrolled: 1-line block ×3, first 2 shown]
	v_and_b32_e32 v8, 1, v7
	v_cmp_eq_u32_e32 vcc, 1, v8
	s_and_saveexec_b64 s[2:3], vcc
; %bb.2:
	v_cmp_lt_i64_e32 vcc, v[2:3], v[4:5]
	v_cndmask_b32_e64 v7, v7, 1, s[0:1]
	s_and_b64 vcc, s[0:1], vcc
	v_cndmask_b32_e32 v2, v4, v2, vcc
	v_and_b32_e32 v4, 1, v7
	v_cndmask_b32_e32 v3, v5, v3, vcc
	v_cmp_eq_u32_e32 vcc, 1, v4
	s_andn2_b64 s[0:1], s[0:1], exec
	s_and_b64 s[24:25], vcc, exec
	v_and_b32_e32 v6, 0xff, v7
	s_or_b64 s[0:1], s[0:1], s[24:25]
; %bb.3:
	s_or_b64 exec, exec, s[2:3]
	v_mov_b32_dpp v7, v6 quad_perm:[2,3,0,1] row_mask:0xf bank_mask:0xf bound_ctrl:1
	v_and_b32_e32 v8, 1, v7
	v_mov_b32_dpp v4, v2 quad_perm:[2,3,0,1] row_mask:0xf bank_mask:0xf bound_ctrl:1
	v_mov_b32_dpp v5, v3 quad_perm:[2,3,0,1] row_mask:0xf bank_mask:0xf bound_ctrl:1
	v_cmp_eq_u32_e32 vcc, 1, v8
	s_and_saveexec_b64 s[2:3], vcc
; %bb.4:
	v_cmp_lt_i64_e32 vcc, v[2:3], v[4:5]
	v_cndmask_b32_e64 v7, v7, 1, s[0:1]
	s_and_b64 vcc, s[0:1], vcc
	v_cndmask_b32_e32 v2, v4, v2, vcc
	v_and_b32_e32 v4, 1, v7
	v_cndmask_b32_e32 v3, v5, v3, vcc
	v_cmp_eq_u32_e32 vcc, 1, v4
	s_andn2_b64 s[0:1], s[0:1], exec
	s_and_b64 s[24:25], vcc, exec
	v_and_b32_e32 v6, 0xff, v7
	s_or_b64 s[0:1], s[0:1], s[24:25]
; %bb.5:
	s_or_b64 exec, exec, s[2:3]
	v_mov_b32_dpp v7, v6 row_ror:4 row_mask:0xf bank_mask:0xf bound_ctrl:1
	v_and_b32_e32 v8, 1, v7
	v_mov_b32_dpp v4, v2 row_ror:4 row_mask:0xf bank_mask:0xf bound_ctrl:1
	v_mov_b32_dpp v5, v3 row_ror:4 row_mask:0xf bank_mask:0xf bound_ctrl:1
	v_cmp_eq_u32_e32 vcc, 1, v8
	s_and_saveexec_b64 s[2:3], vcc
; %bb.6:
	v_cmp_lt_i64_e32 vcc, v[2:3], v[4:5]
	v_cndmask_b32_e64 v7, v7, 1, s[0:1]
	s_and_b64 vcc, s[0:1], vcc
	v_cndmask_b32_e32 v2, v4, v2, vcc
	v_and_b32_e32 v4, 1, v7
	v_cndmask_b32_e32 v3, v5, v3, vcc
	v_cmp_eq_u32_e32 vcc, 1, v4
	s_andn2_b64 s[0:1], s[0:1], exec
	s_and_b64 s[24:25], vcc, exec
	v_and_b32_e32 v6, 0xff, v7
	s_or_b64 s[0:1], s[0:1], s[24:25]
; %bb.7:
	s_or_b64 exec, exec, s[2:3]
	v_mov_b32_dpp v7, v6 row_ror:8 row_mask:0xf bank_mask:0xf bound_ctrl:1
	v_and_b32_e32 v8, 1, v7
	v_mov_b32_dpp v4, v2 row_ror:8 row_mask:0xf bank_mask:0xf bound_ctrl:1
	v_mov_b32_dpp v5, v3 row_ror:8 row_mask:0xf bank_mask:0xf bound_ctrl:1
	v_cmp_eq_u32_e32 vcc, 1, v8
	s_and_saveexec_b64 s[2:3], vcc
; %bb.8:
	v_cmp_lt_i64_e32 vcc, v[2:3], v[4:5]
	v_cndmask_b32_e64 v7, v7, 1, s[0:1]
	s_and_b64 vcc, s[0:1], vcc
	v_cndmask_b32_e32 v2, v4, v2, vcc
	v_and_b32_e32 v4, 1, v7
	v_cndmask_b32_e32 v3, v5, v3, vcc
	v_cmp_eq_u32_e32 vcc, 1, v4
	s_andn2_b64 s[0:1], s[0:1], exec
	s_and_b64 s[24:25], vcc, exec
	v_and_b32_e32 v6, 0xff, v7
	s_or_b64 s[0:1], s[0:1], s[24:25]
; %bb.9:
	s_or_b64 exec, exec, s[2:3]
	v_mov_b32_dpp v7, v6 row_bcast:15 row_mask:0xf bank_mask:0xf bound_ctrl:1
	v_and_b32_e32 v8, 1, v7
	v_mov_b32_dpp v4, v2 row_bcast:15 row_mask:0xf bank_mask:0xf bound_ctrl:1
	v_mov_b32_dpp v5, v3 row_bcast:15 row_mask:0xf bank_mask:0xf bound_ctrl:1
	v_cmp_eq_u32_e32 vcc, 1, v8
	s_and_saveexec_b64 s[2:3], vcc
; %bb.10:
	v_cmp_lt_i64_e32 vcc, v[2:3], v[4:5]
	v_cndmask_b32_e64 v7, v7, 1, s[0:1]
	s_and_b64 vcc, s[0:1], vcc
	v_cndmask_b32_e32 v2, v4, v2, vcc
	v_and_b32_e32 v4, 1, v7
	v_cndmask_b32_e32 v3, v5, v3, vcc
	v_cmp_eq_u32_e32 vcc, 1, v4
	s_andn2_b64 s[0:1], s[0:1], exec
	s_and_b64 s[24:25], vcc, exec
	v_and_b32_e32 v6, 0xff, v7
	s_or_b64 s[0:1], s[0:1], s[24:25]
; %bb.11:
	s_or_b64 exec, exec, s[2:3]
	v_mov_b32_dpp v7, v6 row_bcast:31 row_mask:0xf bank_mask:0xf bound_ctrl:1
	v_and_b32_e32 v8, 1, v7
	v_mov_b32_dpp v4, v2 row_bcast:31 row_mask:0xf bank_mask:0xf bound_ctrl:1
	v_mov_b32_dpp v5, v3 row_bcast:31 row_mask:0xf bank_mask:0xf bound_ctrl:1
	v_cmp_eq_u32_e32 vcc, 1, v8
	s_and_saveexec_b64 s[2:3], vcc
; %bb.12:
	v_cmp_lt_i64_e32 vcc, v[2:3], v[4:5]
	v_and_b32_e32 v6, 0xff, v7
	s_and_b64 vcc, s[0:1], vcc
	v_cndmask_b32_e32 v2, v4, v2, vcc
	v_cndmask_b32_e32 v3, v5, v3, vcc
	v_cndmask_b32_e64 v6, v6, 1, s[0:1]
; %bb.13:
	s_or_b64 exec, exec, s[2:3]
	v_mbcnt_lo_u32_b32 v4, -1, 0
	v_mbcnt_hi_u32_b32 v4, -1, v4
	v_bfrev_b32_e32 v5, 0.5
	v_lshl_or_b32 v5, v4, 2, v5
	ds_bpermute_b32 v6, v5, v6
	ds_bpermute_b32 v2, v5, v2
	;; [unrolled: 1-line block ×3, first 2 shown]
	v_cmp_eq_u32_e32 vcc, 0, v4
	s_and_saveexec_b64 s[0:1], vcc
	s_cbranch_execz .LBB1191_15
; %bb.14:
	v_lshrrev_b32_e32 v5, 2, v0
	v_and_b32_e32 v5, 48, v5
	s_waitcnt lgkmcnt(2)
	ds_write_b8 v5, v6
	s_waitcnt lgkmcnt(1)
	ds_write_b64 v5, v[2:3] offset:8
.LBB1191_15:
	s_or_b64 exec, exec, s[0:1]
	v_cmp_gt_u32_e32 vcc, 64, v0
	s_waitcnt lgkmcnt(0)
	s_barrier
	s_and_saveexec_b64 s[2:3], vcc
	s_cbranch_execz .LBB1191_17
; %bb.16:
	v_and_b32_e32 v5, 3, v4
	v_lshlrev_b32_e32 v2, 4, v5
	ds_read_u8 v8, v2
	ds_read_b64 v[2:3], v2 offset:8
	v_cmp_ne_u32_e32 vcc, 3, v5
	v_addc_co_u32_e32 v6, vcc, 0, v4, vcc
	s_waitcnt lgkmcnt(1)
	v_and_b32_e32 v7, 0xff, v8
	v_lshlrev_b32_e32 v9, 2, v6
	ds_bpermute_b32 v10, v9, v7
	s_waitcnt lgkmcnt(1)
	ds_bpermute_b32 v6, v9, v2
	ds_bpermute_b32 v7, v9, v3
	v_and_b32_e32 v9, 1, v8
	s_waitcnt lgkmcnt(2)
	v_and_b32_e32 v11, 1, v10
	v_cmp_eq_u32_e64 s[0:1], 1, v11
	s_waitcnt lgkmcnt(0)
	v_cmp_lt_i64_e32 vcc, v[6:7], v[2:3]
	s_and_b64 vcc, s[0:1], vcc
	v_cndmask_b32_e64 v8, v8, 1, s[0:1]
	v_cndmask_b32_e32 v2, v2, v6, vcc
	v_cndmask_b32_e32 v3, v3, v7, vcc
	v_cmp_eq_u32_e32 vcc, 1, v9
	v_cndmask_b32_e32 v8, v10, v8, vcc
	v_cndmask_b32_e32 v3, v7, v3, vcc
	;; [unrolled: 1-line block ×3, first 2 shown]
	v_cmp_gt_u32_e32 vcc, 2, v5
	v_cndmask_b32_e64 v5, 0, 1, vcc
	v_lshlrev_b32_e32 v5, 1, v5
	v_and_b32_e32 v6, 0xff, v8
	v_add_lshl_u32 v5, v5, v4, 2
	ds_bpermute_b32 v6, v5, v6
	ds_bpermute_b32 v4, v5, v2
	;; [unrolled: 1-line block ×3, first 2 shown]
	v_and_b32_e32 v7, 1, v8
	s_waitcnt lgkmcnt(2)
	v_and_b32_e32 v9, 1, v6
	v_cmp_eq_u32_e64 s[0:1], 1, v9
	s_waitcnt lgkmcnt(0)
	v_cmp_lt_i64_e32 vcc, v[4:5], v[2:3]
	s_and_b64 vcc, s[0:1], vcc
	v_cndmask_b32_e64 v8, v8, 1, s[0:1]
	v_cndmask_b32_e32 v2, v2, v4, vcc
	v_cndmask_b32_e32 v3, v3, v5, vcc
	v_cmp_eq_u32_e32 vcc, 1, v7
	v_cndmask_b32_e32 v6, v6, v8, vcc
	v_cndmask_b32_e32 v3, v5, v3, vcc
	;; [unrolled: 1-line block ×3, first 2 shown]
	v_and_b32_e32 v6, 0xff, v6
.LBB1191_17:
	s_or_b64 exec, exec, s[2:3]
	s_load_dword s11, s[4:5], 0x50
	s_load_dwordx2 s[2:3], s[4:5], 0x58
	s_branch .LBB1191_46
.LBB1191_18:
                                        ; implicit-def: $vgpr2_vgpr3
                                        ; implicit-def: $vgpr6
	s_load_dword s11, s[4:5], 0x50
	s_load_dwordx2 s[2:3], s[4:5], 0x58
	s_cbranch_execz .LBB1191_46
; %bb.19:
	s_sub_i32 s24, s12, s10
	s_add_u32 s20, s20, s10
	s_addc_u32 s21, s21, 0
	s_add_u32 s10, s22, s10
	v_pk_mov_b32 v[4:5], 0, 0
	s_addc_u32 s22, s23, 0
	v_cmp_gt_u32_e32 vcc, s24, v0
	v_mov_b32_e32 v6, 0
	v_pk_mov_b32 v[2:3], v[4:5], v[4:5] op_sel:[0,1]
	v_mov_b32_e32 v7, 0
	s_and_saveexec_b64 s[0:1], vcc
	s_cbranch_execz .LBB1191_21
; %bb.20:
	global_load_dwordx2 v[8:9], v1, s[8:9]
	v_mov_b32_e32 v2, s21
	v_add_co_u32_e32 v10, vcc, s20, v0
	v_addc_co_u32_e32 v11, vcc, 0, v2, vcc
	v_mov_b32_e32 v3, s22
	v_add_co_u32_e32 v2, vcc, s10, v0
	v_addc_co_u32_e32 v3, vcc, 0, v3, vcc
	s_waitcnt vmcnt(0)
	v_cmp_ne_u64_e32 vcc, v[8:9], v[10:11]
	v_cndmask_b32_e64 v7, 0, 1, vcc
.LBB1191_21:
	s_or_b64 exec, exec, s[0:1]
	v_or_b32_e32 v8, 0x100, v0
	v_cmp_gt_u32_e32 vcc, s24, v8
	s_and_saveexec_b64 s[4:5], vcc
	s_cbranch_execz .LBB1191_23
; %bb.22:
	global_load_dwordx2 v[10:11], v1, s[8:9] offset:2048
	v_mov_b32_e32 v1, s21
	v_add_co_u32_e64 v12, s[0:1], s20, v8
	v_addc_co_u32_e64 v13, s[0:1], 0, v1, s[0:1]
	v_mov_b32_e32 v5, s22
	v_add_co_u32_e64 v4, s[0:1], s10, v8
	v_addc_co_u32_e64 v5, s[0:1], 0, v5, s[0:1]
	s_waitcnt vmcnt(0)
	v_cmp_ne_u64_e64 s[0:1], v[10:11], v[12:13]
	v_cndmask_b32_e64 v6, 0, 1, s[0:1]
.LBB1191_23:
	s_or_b64 exec, exec, s[4:5]
	s_and_saveexec_b64 s[4:5], vcc
	s_cbranch_execz .LBB1191_25
; %bb.24:
	v_and_b32_e32 v8, 1, v6
	v_cmp_lt_i64_e32 vcc, v[4:5], v[2:3]
	v_cmp_eq_u32_e64 s[0:1], 1, v8
	v_and_b32_e32 v1, 1, v7
	s_and_b64 vcc, s[0:1], vcc
	v_cndmask_b32_e64 v7, v7, 1, s[0:1]
	v_cndmask_b32_e32 v2, v2, v4, vcc
	v_cndmask_b32_e32 v3, v3, v5, vcc
	v_cmp_eq_u32_e32 vcc, 1, v1
	v_cndmask_b32_e32 v7, v6, v7, vcc
	v_cndmask_b32_e32 v3, v5, v3, vcc
	;; [unrolled: 1-line block ×3, first 2 shown]
.LBB1191_25:
	s_or_b64 exec, exec, s[4:5]
	v_mbcnt_lo_u32_b32 v1, -1, 0
	v_mbcnt_hi_u32_b32 v1, -1, v1
	v_and_b32_e32 v8, 63, v1
	v_cmp_ne_u32_e32 vcc, 63, v8
	v_addc_co_u32_e32 v4, vcc, 0, v1, vcc
	v_and_b32_e32 v6, 0xffff, v7
	v_lshlrev_b32_e32 v5, 2, v4
	ds_bpermute_b32 v10, v5, v6
	ds_bpermute_b32 v4, v5, v2
	;; [unrolled: 1-line block ×3, first 2 shown]
	s_min_u32 s8, s24, 0x100
	v_and_b32_e32 v9, 0xc0, v0
	v_sub_u32_e64 v9, s8, v9 clamp
	v_add_u32_e32 v11, 1, v8
	v_cmp_lt_u32_e32 vcc, v11, v9
	s_and_saveexec_b64 s[4:5], vcc
	s_cbranch_execz .LBB1191_27
; %bb.26:
	s_waitcnt lgkmcnt(0)
	v_and_b32_e32 v11, 1, v10
	v_cmp_lt_i64_e32 vcc, v[4:5], v[2:3]
	v_cmp_eq_u32_e64 s[0:1], 1, v11
	v_and_b32_e32 v6, 1, v7
	s_and_b64 vcc, s[0:1], vcc
	v_cndmask_b32_e64 v7, v7, 1, s[0:1]
	v_cndmask_b32_e32 v2, v2, v4, vcc
	v_cndmask_b32_e32 v3, v3, v5, vcc
	v_cmp_eq_u32_e32 vcc, 1, v6
	v_cndmask_b32_e32 v7, v10, v7, vcc
	v_cndmask_b32_e32 v3, v5, v3, vcc
	;; [unrolled: 1-line block ×3, first 2 shown]
	v_and_b32_e32 v6, 0xff, v7
.LBB1191_27:
	s_or_b64 exec, exec, s[4:5]
	v_cmp_gt_u32_e32 vcc, 62, v8
	s_waitcnt lgkmcnt(0)
	v_cndmask_b32_e64 v4, 0, 1, vcc
	v_lshlrev_b32_e32 v4, 1, v4
	v_add_lshl_u32 v5, v4, v1, 2
	ds_bpermute_b32 v10, v5, v6
	ds_bpermute_b32 v4, v5, v2
	ds_bpermute_b32 v5, v5, v3
	v_add_u32_e32 v11, 2, v8
	v_cmp_lt_u32_e32 vcc, v11, v9
	s_and_saveexec_b64 s[4:5], vcc
	s_cbranch_execz .LBB1191_29
; %bb.28:
	s_waitcnt lgkmcnt(2)
	v_and_b32_e32 v11, 1, v10
	s_waitcnt lgkmcnt(0)
	v_cmp_lt_i64_e32 vcc, v[4:5], v[2:3]
	v_cmp_eq_u32_e64 s[0:1], 1, v11
	v_and_b32_e32 v6, 1, v7
	s_and_b64 vcc, s[0:1], vcc
	v_cndmask_b32_e64 v7, v7, 1, s[0:1]
	v_cndmask_b32_e32 v2, v2, v4, vcc
	v_cndmask_b32_e32 v3, v3, v5, vcc
	v_cmp_eq_u32_e32 vcc, 1, v6
	v_cndmask_b32_e32 v7, v10, v7, vcc
	v_cndmask_b32_e32 v3, v5, v3, vcc
	v_cndmask_b32_e32 v2, v4, v2, vcc
	v_and_b32_e32 v6, 0xff, v7
.LBB1191_29:
	s_or_b64 exec, exec, s[4:5]
	v_cmp_gt_u32_e32 vcc, 60, v8
	s_waitcnt lgkmcnt(1)
	v_cndmask_b32_e64 v4, 0, 1, vcc
	v_lshlrev_b32_e32 v4, 2, v4
	s_waitcnt lgkmcnt(0)
	v_add_lshl_u32 v5, v4, v1, 2
	ds_bpermute_b32 v10, v5, v6
	ds_bpermute_b32 v4, v5, v2
	ds_bpermute_b32 v5, v5, v3
	v_add_u32_e32 v11, 4, v8
	v_cmp_lt_u32_e32 vcc, v11, v9
	s_and_saveexec_b64 s[4:5], vcc
	s_cbranch_execz .LBB1191_31
; %bb.30:
	s_waitcnt lgkmcnt(2)
	v_and_b32_e32 v11, 1, v10
	s_waitcnt lgkmcnt(0)
	v_cmp_lt_i64_e32 vcc, v[4:5], v[2:3]
	v_cmp_eq_u32_e64 s[0:1], 1, v11
	v_and_b32_e32 v6, 1, v7
	s_and_b64 vcc, s[0:1], vcc
	v_cndmask_b32_e64 v7, v7, 1, s[0:1]
	v_cndmask_b32_e32 v2, v2, v4, vcc
	v_cndmask_b32_e32 v3, v3, v5, vcc
	v_cmp_eq_u32_e32 vcc, 1, v6
	v_cndmask_b32_e32 v7, v10, v7, vcc
	v_cndmask_b32_e32 v3, v5, v3, vcc
	v_cndmask_b32_e32 v2, v4, v2, vcc
	v_and_b32_e32 v6, 0xff, v7
.LBB1191_31:
	s_or_b64 exec, exec, s[4:5]
	v_cmp_gt_u32_e32 vcc, 56, v8
	s_waitcnt lgkmcnt(1)
	v_cndmask_b32_e64 v4, 0, 1, vcc
	v_lshlrev_b32_e32 v4, 3, v4
	s_waitcnt lgkmcnt(0)
	;; [unrolled: 31-line block ×4, first 2 shown]
	v_add_lshl_u32 v5, v4, v1, 2
	ds_bpermute_b32 v10, v5, v6
	ds_bpermute_b32 v4, v5, v2
	ds_bpermute_b32 v5, v5, v3
	v_add_u32_e32 v8, 32, v8
	v_cmp_lt_u32_e32 vcc, v8, v9
	s_and_saveexec_b64 s[4:5], vcc
	s_cbranch_execz .LBB1191_37
; %bb.36:
	s_waitcnt lgkmcnt(2)
	v_and_b32_e32 v8, 1, v10
	s_waitcnt lgkmcnt(0)
	v_cmp_lt_i64_e32 vcc, v[4:5], v[2:3]
	v_cmp_eq_u32_e64 s[0:1], 1, v8
	v_and_b32_e32 v6, 1, v7
	s_and_b64 vcc, s[0:1], vcc
	v_cndmask_b32_e64 v7, v7, 1, s[0:1]
	v_cndmask_b32_e32 v2, v2, v4, vcc
	v_cndmask_b32_e32 v3, v3, v5, vcc
	v_cmp_eq_u32_e32 vcc, 1, v6
	v_cndmask_b32_e32 v7, v10, v7, vcc
	v_cndmask_b32_e32 v3, v5, v3, vcc
	;; [unrolled: 1-line block ×3, first 2 shown]
	v_and_b32_e32 v6, 0xff, v7
.LBB1191_37:
	s_or_b64 exec, exec, s[4:5]
	v_cmp_eq_u32_e32 vcc, 0, v1
	s_and_saveexec_b64 s[0:1], vcc
	s_cbranch_execz .LBB1191_39
; %bb.38:
	s_waitcnt lgkmcnt(1)
	v_lshrrev_b32_e32 v4, 2, v0
	v_and_b32_e32 v4, 48, v4
	ds_write_b8 v4, v7 offset:64
	ds_write_b64 v4, v[2:3] offset:72
.LBB1191_39:
	s_or_b64 exec, exec, s[0:1]
	v_cmp_gt_u32_e32 vcc, 4, v0
	s_waitcnt lgkmcnt(0)
	s_barrier
	s_and_saveexec_b64 s[4:5], vcc
	s_cbranch_execz .LBB1191_45
; %bb.40:
	v_lshlrev_b32_e32 v2, 4, v1
	ds_read_u8 v7, v2 offset:64
	ds_read_b64 v[2:3], v2 offset:72
	v_and_b32_e32 v8, 3, v1
	v_cmp_ne_u32_e32 vcc, 3, v8
	v_addc_co_u32_e32 v4, vcc, 0, v1, vcc
	s_waitcnt lgkmcnt(1)
	v_and_b32_e32 v6, 0xff, v7
	v_lshlrev_b32_e32 v5, 2, v4
	ds_bpermute_b32 v9, v5, v6
	s_waitcnt lgkmcnt(1)
	ds_bpermute_b32 v4, v5, v2
	ds_bpermute_b32 v5, v5, v3
	s_add_i32 s8, s8, 63
	s_lshr_b32 s10, s8, 6
	v_add_u32_e32 v10, 1, v8
	v_cmp_gt_u32_e32 vcc, s10, v10
	s_and_saveexec_b64 s[8:9], vcc
	s_cbranch_execz .LBB1191_42
; %bb.41:
	s_waitcnt lgkmcnt(2)
	v_and_b32_e32 v10, 1, v9
	s_waitcnt lgkmcnt(0)
	v_cmp_lt_i64_e32 vcc, v[4:5], v[2:3]
	v_cmp_eq_u32_e64 s[0:1], 1, v10
	v_and_b32_e32 v6, 1, v7
	s_and_b64 vcc, s[0:1], vcc
	v_cndmask_b32_e64 v7, v7, 1, s[0:1]
	v_cndmask_b32_e32 v2, v2, v4, vcc
	v_cndmask_b32_e32 v3, v3, v5, vcc
	v_cmp_eq_u32_e32 vcc, 1, v6
	v_cndmask_b32_e32 v7, v9, v7, vcc
	v_cndmask_b32_e32 v3, v5, v3, vcc
	;; [unrolled: 1-line block ×3, first 2 shown]
	v_and_b32_e32 v6, 0xff, v7
.LBB1191_42:
	s_or_b64 exec, exec, s[8:9]
	v_cmp_gt_u32_e32 vcc, 2, v8
	s_waitcnt lgkmcnt(1)
	v_cndmask_b32_e64 v4, 0, 1, vcc
	v_lshlrev_b32_e32 v4, 1, v4
	s_waitcnt lgkmcnt(0)
	v_add_lshl_u32 v5, v4, v1, 2
	ds_bpermute_b32 v1, v5, v6
	ds_bpermute_b32 v4, v5, v2
	;; [unrolled: 1-line block ×3, first 2 shown]
	v_add_u32_e32 v8, 2, v8
	v_cmp_gt_u32_e32 vcc, s10, v8
	s_and_saveexec_b64 s[8:9], vcc
	s_cbranch_execz .LBB1191_44
; %bb.43:
	s_waitcnt lgkmcnt(2)
	v_and_b32_e32 v8, 1, v1
	s_waitcnt lgkmcnt(0)
	v_cmp_lt_i64_e32 vcc, v[4:5], v[2:3]
	v_cmp_eq_u32_e64 s[0:1], 1, v8
	v_and_b32_e32 v6, 1, v7
	s_and_b64 vcc, s[0:1], vcc
	v_cndmask_b32_e64 v7, v7, 1, s[0:1]
	v_cndmask_b32_e32 v2, v2, v4, vcc
	v_cndmask_b32_e32 v3, v3, v5, vcc
	v_cmp_eq_u32_e32 vcc, 1, v6
	v_cndmask_b32_e32 v1, v1, v7, vcc
	v_cndmask_b32_e32 v3, v5, v3, vcc
	;; [unrolled: 1-line block ×3, first 2 shown]
	v_and_b32_e32 v6, 0xff, v1
.LBB1191_44:
	s_or_b64 exec, exec, s[8:9]
.LBB1191_45:
	s_or_b64 exec, exec, s[4:5]
.LBB1191_46:
	v_cmp_eq_u32_e32 vcc, 0, v0
	s_and_saveexec_b64 s[0:1], vcc
	s_cbranch_execnz .LBB1191_48
; %bb.47:
	s_endpgm
.LBB1191_48:
	s_mul_i32 s0, s18, s17
	s_mul_hi_u32 s1, s18, s16
	s_add_i32 s0, s1, s0
	s_mul_i32 s1, s19, s16
	s_add_i32 s1, s0, s1
	s_mul_i32 s0, s18, s16
	s_lshl_b64 s[0:1], s[0:1], 4
	s_add_u32 s4, s14, s0
	s_addc_u32 s5, s15, s1
	s_cmp_eq_u64 s[12:13], 0
	s_waitcnt lgkmcnt(0)
	v_mov_b32_e32 v0, s3
	s_cselect_b64 vcc, -1, 0
	v_cndmask_b32_e32 v1, v3, v0, vcc
	v_mov_b32_e32 v0, s2
	s_lshl_b64 s[0:1], s[6:7], 4
	v_cndmask_b32_e32 v0, v2, v0, vcc
	v_mov_b32_e32 v2, s11
	s_add_u32 s0, s4, s0
	v_cndmask_b32_e32 v2, v6, v2, vcc
	s_addc_u32 s1, s5, s1
	v_mov_b32_e32 v3, 0
	global_store_byte v3, v2, s[0:1]
	global_store_dwordx2 v3, v[0:1], s[0:1] offset:8
	s_endpgm
	.section	.rodata,"a",@progbits
	.p2align	6, 0x0
	.amdhsa_kernel _ZN7rocprim17ROCPRIM_400000_NS6detail17trampoline_kernelINS0_14default_configENS1_22reduce_config_selectorIN6thrust23THRUST_200600_302600_NS5tupleIblNS6_9null_typeES8_S8_S8_S8_S8_S8_S8_EEEEZNS1_11reduce_implILb1ES3_NS6_12zip_iteratorINS7_INS6_11hip_rocprim26transform_input_iterator_tIbNSD_35transform_pair_of_input_iterators_tIbNS6_6detail15normal_iteratorINS6_10device_ptrIlEEEENS6_17counting_iteratorIlNS6_11use_defaultESM_SM_EENS6_8equal_toIlEEEENSG_9not_fun_tINSD_8identityEEEEENSD_19counting_iterator_tIlEES8_S8_S8_S8_S8_S8_S8_S8_EEEEPS9_S9_NSD_9__find_if7functorIS9_EEEE10hipError_tPvRmT1_T2_T3_mT4_P12ihipStream_tbEUlT_E0_NS1_11comp_targetILNS1_3genE4ELNS1_11target_archE910ELNS1_3gpuE8ELNS1_3repE0EEENS1_30default_config_static_selectorELNS0_4arch9wavefront6targetE1EEEvS16_
		.amdhsa_group_segment_fixed_size 128
		.amdhsa_private_segment_fixed_size 0
		.amdhsa_kernarg_size 104
		.amdhsa_user_sgpr_count 6
		.amdhsa_user_sgpr_private_segment_buffer 1
		.amdhsa_user_sgpr_dispatch_ptr 0
		.amdhsa_user_sgpr_queue_ptr 0
		.amdhsa_user_sgpr_kernarg_segment_ptr 1
		.amdhsa_user_sgpr_dispatch_id 0
		.amdhsa_user_sgpr_flat_scratch_init 0
		.amdhsa_user_sgpr_kernarg_preload_length 0
		.amdhsa_user_sgpr_kernarg_preload_offset 0
		.amdhsa_user_sgpr_private_segment_size 0
		.amdhsa_uses_dynamic_stack 0
		.amdhsa_system_sgpr_private_segment_wavefront_offset 0
		.amdhsa_system_sgpr_workgroup_id_x 1
		.amdhsa_system_sgpr_workgroup_id_y 0
		.amdhsa_system_sgpr_workgroup_id_z 0
		.amdhsa_system_sgpr_workgroup_info 0
		.amdhsa_system_vgpr_workitem_id 0
		.amdhsa_next_free_vgpr 14
		.amdhsa_next_free_sgpr 26
		.amdhsa_accum_offset 16
		.amdhsa_reserve_vcc 1
		.amdhsa_reserve_flat_scratch 0
		.amdhsa_float_round_mode_32 0
		.amdhsa_float_round_mode_16_64 0
		.amdhsa_float_denorm_mode_32 3
		.amdhsa_float_denorm_mode_16_64 3
		.amdhsa_dx10_clamp 1
		.amdhsa_ieee_mode 1
		.amdhsa_fp16_overflow 0
		.amdhsa_tg_split 0
		.amdhsa_exception_fp_ieee_invalid_op 0
		.amdhsa_exception_fp_denorm_src 0
		.amdhsa_exception_fp_ieee_div_zero 0
		.amdhsa_exception_fp_ieee_overflow 0
		.amdhsa_exception_fp_ieee_underflow 0
		.amdhsa_exception_fp_ieee_inexact 0
		.amdhsa_exception_int_div_zero 0
	.end_amdhsa_kernel
	.section	.text._ZN7rocprim17ROCPRIM_400000_NS6detail17trampoline_kernelINS0_14default_configENS1_22reduce_config_selectorIN6thrust23THRUST_200600_302600_NS5tupleIblNS6_9null_typeES8_S8_S8_S8_S8_S8_S8_EEEEZNS1_11reduce_implILb1ES3_NS6_12zip_iteratorINS7_INS6_11hip_rocprim26transform_input_iterator_tIbNSD_35transform_pair_of_input_iterators_tIbNS6_6detail15normal_iteratorINS6_10device_ptrIlEEEENS6_17counting_iteratorIlNS6_11use_defaultESM_SM_EENS6_8equal_toIlEEEENSG_9not_fun_tINSD_8identityEEEEENSD_19counting_iterator_tIlEES8_S8_S8_S8_S8_S8_S8_S8_EEEEPS9_S9_NSD_9__find_if7functorIS9_EEEE10hipError_tPvRmT1_T2_T3_mT4_P12ihipStream_tbEUlT_E0_NS1_11comp_targetILNS1_3genE4ELNS1_11target_archE910ELNS1_3gpuE8ELNS1_3repE0EEENS1_30default_config_static_selectorELNS0_4arch9wavefront6targetE1EEEvS16_,"axG",@progbits,_ZN7rocprim17ROCPRIM_400000_NS6detail17trampoline_kernelINS0_14default_configENS1_22reduce_config_selectorIN6thrust23THRUST_200600_302600_NS5tupleIblNS6_9null_typeES8_S8_S8_S8_S8_S8_S8_EEEEZNS1_11reduce_implILb1ES3_NS6_12zip_iteratorINS7_INS6_11hip_rocprim26transform_input_iterator_tIbNSD_35transform_pair_of_input_iterators_tIbNS6_6detail15normal_iteratorINS6_10device_ptrIlEEEENS6_17counting_iteratorIlNS6_11use_defaultESM_SM_EENS6_8equal_toIlEEEENSG_9not_fun_tINSD_8identityEEEEENSD_19counting_iterator_tIlEES8_S8_S8_S8_S8_S8_S8_S8_EEEEPS9_S9_NSD_9__find_if7functorIS9_EEEE10hipError_tPvRmT1_T2_T3_mT4_P12ihipStream_tbEUlT_E0_NS1_11comp_targetILNS1_3genE4ELNS1_11target_archE910ELNS1_3gpuE8ELNS1_3repE0EEENS1_30default_config_static_selectorELNS0_4arch9wavefront6targetE1EEEvS16_,comdat
.Lfunc_end1191:
	.size	_ZN7rocprim17ROCPRIM_400000_NS6detail17trampoline_kernelINS0_14default_configENS1_22reduce_config_selectorIN6thrust23THRUST_200600_302600_NS5tupleIblNS6_9null_typeES8_S8_S8_S8_S8_S8_S8_EEEEZNS1_11reduce_implILb1ES3_NS6_12zip_iteratorINS7_INS6_11hip_rocprim26transform_input_iterator_tIbNSD_35transform_pair_of_input_iterators_tIbNS6_6detail15normal_iteratorINS6_10device_ptrIlEEEENS6_17counting_iteratorIlNS6_11use_defaultESM_SM_EENS6_8equal_toIlEEEENSG_9not_fun_tINSD_8identityEEEEENSD_19counting_iterator_tIlEES8_S8_S8_S8_S8_S8_S8_S8_EEEEPS9_S9_NSD_9__find_if7functorIS9_EEEE10hipError_tPvRmT1_T2_T3_mT4_P12ihipStream_tbEUlT_E0_NS1_11comp_targetILNS1_3genE4ELNS1_11target_archE910ELNS1_3gpuE8ELNS1_3repE0EEENS1_30default_config_static_selectorELNS0_4arch9wavefront6targetE1EEEvS16_, .Lfunc_end1191-_ZN7rocprim17ROCPRIM_400000_NS6detail17trampoline_kernelINS0_14default_configENS1_22reduce_config_selectorIN6thrust23THRUST_200600_302600_NS5tupleIblNS6_9null_typeES8_S8_S8_S8_S8_S8_S8_EEEEZNS1_11reduce_implILb1ES3_NS6_12zip_iteratorINS7_INS6_11hip_rocprim26transform_input_iterator_tIbNSD_35transform_pair_of_input_iterators_tIbNS6_6detail15normal_iteratorINS6_10device_ptrIlEEEENS6_17counting_iteratorIlNS6_11use_defaultESM_SM_EENS6_8equal_toIlEEEENSG_9not_fun_tINSD_8identityEEEEENSD_19counting_iterator_tIlEES8_S8_S8_S8_S8_S8_S8_S8_EEEEPS9_S9_NSD_9__find_if7functorIS9_EEEE10hipError_tPvRmT1_T2_T3_mT4_P12ihipStream_tbEUlT_E0_NS1_11comp_targetILNS1_3genE4ELNS1_11target_archE910ELNS1_3gpuE8ELNS1_3repE0EEENS1_30default_config_static_selectorELNS0_4arch9wavefront6targetE1EEEvS16_
                                        ; -- End function
	.section	.AMDGPU.csdata,"",@progbits
; Kernel info:
; codeLenInByte = 2880
; NumSgprs: 30
; NumVgprs: 14
; NumAgprs: 0
; TotalNumVgprs: 14
; ScratchSize: 0
; MemoryBound: 0
; FloatMode: 240
; IeeeMode: 1
; LDSByteSize: 128 bytes/workgroup (compile time only)
; SGPRBlocks: 3
; VGPRBlocks: 1
; NumSGPRsForWavesPerEU: 30
; NumVGPRsForWavesPerEU: 14
; AccumOffset: 16
; Occupancy: 8
; WaveLimiterHint : 1
; COMPUTE_PGM_RSRC2:SCRATCH_EN: 0
; COMPUTE_PGM_RSRC2:USER_SGPR: 6
; COMPUTE_PGM_RSRC2:TRAP_HANDLER: 0
; COMPUTE_PGM_RSRC2:TGID_X_EN: 1
; COMPUTE_PGM_RSRC2:TGID_Y_EN: 0
; COMPUTE_PGM_RSRC2:TGID_Z_EN: 0
; COMPUTE_PGM_RSRC2:TIDIG_COMP_CNT: 0
; COMPUTE_PGM_RSRC3_GFX90A:ACCUM_OFFSET: 3
; COMPUTE_PGM_RSRC3_GFX90A:TG_SPLIT: 0
	.section	.text._ZN7rocprim17ROCPRIM_400000_NS6detail17trampoline_kernelINS0_14default_configENS1_22reduce_config_selectorIN6thrust23THRUST_200600_302600_NS5tupleIblNS6_9null_typeES8_S8_S8_S8_S8_S8_S8_EEEEZNS1_11reduce_implILb1ES3_NS6_12zip_iteratorINS7_INS6_11hip_rocprim26transform_input_iterator_tIbNSD_35transform_pair_of_input_iterators_tIbNS6_6detail15normal_iteratorINS6_10device_ptrIlEEEENS6_17counting_iteratorIlNS6_11use_defaultESM_SM_EENS6_8equal_toIlEEEENSG_9not_fun_tINSD_8identityEEEEENSD_19counting_iterator_tIlEES8_S8_S8_S8_S8_S8_S8_S8_EEEEPS9_S9_NSD_9__find_if7functorIS9_EEEE10hipError_tPvRmT1_T2_T3_mT4_P12ihipStream_tbEUlT_E0_NS1_11comp_targetILNS1_3genE3ELNS1_11target_archE908ELNS1_3gpuE7ELNS1_3repE0EEENS1_30default_config_static_selectorELNS0_4arch9wavefront6targetE1EEEvS16_,"axG",@progbits,_ZN7rocprim17ROCPRIM_400000_NS6detail17trampoline_kernelINS0_14default_configENS1_22reduce_config_selectorIN6thrust23THRUST_200600_302600_NS5tupleIblNS6_9null_typeES8_S8_S8_S8_S8_S8_S8_EEEEZNS1_11reduce_implILb1ES3_NS6_12zip_iteratorINS7_INS6_11hip_rocprim26transform_input_iterator_tIbNSD_35transform_pair_of_input_iterators_tIbNS6_6detail15normal_iteratorINS6_10device_ptrIlEEEENS6_17counting_iteratorIlNS6_11use_defaultESM_SM_EENS6_8equal_toIlEEEENSG_9not_fun_tINSD_8identityEEEEENSD_19counting_iterator_tIlEES8_S8_S8_S8_S8_S8_S8_S8_EEEEPS9_S9_NSD_9__find_if7functorIS9_EEEE10hipError_tPvRmT1_T2_T3_mT4_P12ihipStream_tbEUlT_E0_NS1_11comp_targetILNS1_3genE3ELNS1_11target_archE908ELNS1_3gpuE7ELNS1_3repE0EEENS1_30default_config_static_selectorELNS0_4arch9wavefront6targetE1EEEvS16_,comdat
	.protected	_ZN7rocprim17ROCPRIM_400000_NS6detail17trampoline_kernelINS0_14default_configENS1_22reduce_config_selectorIN6thrust23THRUST_200600_302600_NS5tupleIblNS6_9null_typeES8_S8_S8_S8_S8_S8_S8_EEEEZNS1_11reduce_implILb1ES3_NS6_12zip_iteratorINS7_INS6_11hip_rocprim26transform_input_iterator_tIbNSD_35transform_pair_of_input_iterators_tIbNS6_6detail15normal_iteratorINS6_10device_ptrIlEEEENS6_17counting_iteratorIlNS6_11use_defaultESM_SM_EENS6_8equal_toIlEEEENSG_9not_fun_tINSD_8identityEEEEENSD_19counting_iterator_tIlEES8_S8_S8_S8_S8_S8_S8_S8_EEEEPS9_S9_NSD_9__find_if7functorIS9_EEEE10hipError_tPvRmT1_T2_T3_mT4_P12ihipStream_tbEUlT_E0_NS1_11comp_targetILNS1_3genE3ELNS1_11target_archE908ELNS1_3gpuE7ELNS1_3repE0EEENS1_30default_config_static_selectorELNS0_4arch9wavefront6targetE1EEEvS16_ ; -- Begin function _ZN7rocprim17ROCPRIM_400000_NS6detail17trampoline_kernelINS0_14default_configENS1_22reduce_config_selectorIN6thrust23THRUST_200600_302600_NS5tupleIblNS6_9null_typeES8_S8_S8_S8_S8_S8_S8_EEEEZNS1_11reduce_implILb1ES3_NS6_12zip_iteratorINS7_INS6_11hip_rocprim26transform_input_iterator_tIbNSD_35transform_pair_of_input_iterators_tIbNS6_6detail15normal_iteratorINS6_10device_ptrIlEEEENS6_17counting_iteratorIlNS6_11use_defaultESM_SM_EENS6_8equal_toIlEEEENSG_9not_fun_tINSD_8identityEEEEENSD_19counting_iterator_tIlEES8_S8_S8_S8_S8_S8_S8_S8_EEEEPS9_S9_NSD_9__find_if7functorIS9_EEEE10hipError_tPvRmT1_T2_T3_mT4_P12ihipStream_tbEUlT_E0_NS1_11comp_targetILNS1_3genE3ELNS1_11target_archE908ELNS1_3gpuE7ELNS1_3repE0EEENS1_30default_config_static_selectorELNS0_4arch9wavefront6targetE1EEEvS16_
	.globl	_ZN7rocprim17ROCPRIM_400000_NS6detail17trampoline_kernelINS0_14default_configENS1_22reduce_config_selectorIN6thrust23THRUST_200600_302600_NS5tupleIblNS6_9null_typeES8_S8_S8_S8_S8_S8_S8_EEEEZNS1_11reduce_implILb1ES3_NS6_12zip_iteratorINS7_INS6_11hip_rocprim26transform_input_iterator_tIbNSD_35transform_pair_of_input_iterators_tIbNS6_6detail15normal_iteratorINS6_10device_ptrIlEEEENS6_17counting_iteratorIlNS6_11use_defaultESM_SM_EENS6_8equal_toIlEEEENSG_9not_fun_tINSD_8identityEEEEENSD_19counting_iterator_tIlEES8_S8_S8_S8_S8_S8_S8_S8_EEEEPS9_S9_NSD_9__find_if7functorIS9_EEEE10hipError_tPvRmT1_T2_T3_mT4_P12ihipStream_tbEUlT_E0_NS1_11comp_targetILNS1_3genE3ELNS1_11target_archE908ELNS1_3gpuE7ELNS1_3repE0EEENS1_30default_config_static_selectorELNS0_4arch9wavefront6targetE1EEEvS16_
	.p2align	8
	.type	_ZN7rocprim17ROCPRIM_400000_NS6detail17trampoline_kernelINS0_14default_configENS1_22reduce_config_selectorIN6thrust23THRUST_200600_302600_NS5tupleIblNS6_9null_typeES8_S8_S8_S8_S8_S8_S8_EEEEZNS1_11reduce_implILb1ES3_NS6_12zip_iteratorINS7_INS6_11hip_rocprim26transform_input_iterator_tIbNSD_35transform_pair_of_input_iterators_tIbNS6_6detail15normal_iteratorINS6_10device_ptrIlEEEENS6_17counting_iteratorIlNS6_11use_defaultESM_SM_EENS6_8equal_toIlEEEENSG_9not_fun_tINSD_8identityEEEEENSD_19counting_iterator_tIlEES8_S8_S8_S8_S8_S8_S8_S8_EEEEPS9_S9_NSD_9__find_if7functorIS9_EEEE10hipError_tPvRmT1_T2_T3_mT4_P12ihipStream_tbEUlT_E0_NS1_11comp_targetILNS1_3genE3ELNS1_11target_archE908ELNS1_3gpuE7ELNS1_3repE0EEENS1_30default_config_static_selectorELNS0_4arch9wavefront6targetE1EEEvS16_,@function
_ZN7rocprim17ROCPRIM_400000_NS6detail17trampoline_kernelINS0_14default_configENS1_22reduce_config_selectorIN6thrust23THRUST_200600_302600_NS5tupleIblNS6_9null_typeES8_S8_S8_S8_S8_S8_S8_EEEEZNS1_11reduce_implILb1ES3_NS6_12zip_iteratorINS7_INS6_11hip_rocprim26transform_input_iterator_tIbNSD_35transform_pair_of_input_iterators_tIbNS6_6detail15normal_iteratorINS6_10device_ptrIlEEEENS6_17counting_iteratorIlNS6_11use_defaultESM_SM_EENS6_8equal_toIlEEEENSG_9not_fun_tINSD_8identityEEEEENSD_19counting_iterator_tIlEES8_S8_S8_S8_S8_S8_S8_S8_EEEEPS9_S9_NSD_9__find_if7functorIS9_EEEE10hipError_tPvRmT1_T2_T3_mT4_P12ihipStream_tbEUlT_E0_NS1_11comp_targetILNS1_3genE3ELNS1_11target_archE908ELNS1_3gpuE7ELNS1_3repE0EEENS1_30default_config_static_selectorELNS0_4arch9wavefront6targetE1EEEvS16_: ; @_ZN7rocprim17ROCPRIM_400000_NS6detail17trampoline_kernelINS0_14default_configENS1_22reduce_config_selectorIN6thrust23THRUST_200600_302600_NS5tupleIblNS6_9null_typeES8_S8_S8_S8_S8_S8_S8_EEEEZNS1_11reduce_implILb1ES3_NS6_12zip_iteratorINS7_INS6_11hip_rocprim26transform_input_iterator_tIbNSD_35transform_pair_of_input_iterators_tIbNS6_6detail15normal_iteratorINS6_10device_ptrIlEEEENS6_17counting_iteratorIlNS6_11use_defaultESM_SM_EENS6_8equal_toIlEEEENSG_9not_fun_tINSD_8identityEEEEENSD_19counting_iterator_tIlEES8_S8_S8_S8_S8_S8_S8_S8_EEEEPS9_S9_NSD_9__find_if7functorIS9_EEEE10hipError_tPvRmT1_T2_T3_mT4_P12ihipStream_tbEUlT_E0_NS1_11comp_targetILNS1_3genE3ELNS1_11target_archE908ELNS1_3gpuE7ELNS1_3repE0EEENS1_30default_config_static_selectorELNS0_4arch9wavefront6targetE1EEEvS16_
; %bb.0:
	.section	.rodata,"a",@progbits
	.p2align	6, 0x0
	.amdhsa_kernel _ZN7rocprim17ROCPRIM_400000_NS6detail17trampoline_kernelINS0_14default_configENS1_22reduce_config_selectorIN6thrust23THRUST_200600_302600_NS5tupleIblNS6_9null_typeES8_S8_S8_S8_S8_S8_S8_EEEEZNS1_11reduce_implILb1ES3_NS6_12zip_iteratorINS7_INS6_11hip_rocprim26transform_input_iterator_tIbNSD_35transform_pair_of_input_iterators_tIbNS6_6detail15normal_iteratorINS6_10device_ptrIlEEEENS6_17counting_iteratorIlNS6_11use_defaultESM_SM_EENS6_8equal_toIlEEEENSG_9not_fun_tINSD_8identityEEEEENSD_19counting_iterator_tIlEES8_S8_S8_S8_S8_S8_S8_S8_EEEEPS9_S9_NSD_9__find_if7functorIS9_EEEE10hipError_tPvRmT1_T2_T3_mT4_P12ihipStream_tbEUlT_E0_NS1_11comp_targetILNS1_3genE3ELNS1_11target_archE908ELNS1_3gpuE7ELNS1_3repE0EEENS1_30default_config_static_selectorELNS0_4arch9wavefront6targetE1EEEvS16_
		.amdhsa_group_segment_fixed_size 0
		.amdhsa_private_segment_fixed_size 0
		.amdhsa_kernarg_size 104
		.amdhsa_user_sgpr_count 6
		.amdhsa_user_sgpr_private_segment_buffer 1
		.amdhsa_user_sgpr_dispatch_ptr 0
		.amdhsa_user_sgpr_queue_ptr 0
		.amdhsa_user_sgpr_kernarg_segment_ptr 1
		.amdhsa_user_sgpr_dispatch_id 0
		.amdhsa_user_sgpr_flat_scratch_init 0
		.amdhsa_user_sgpr_kernarg_preload_length 0
		.amdhsa_user_sgpr_kernarg_preload_offset 0
		.amdhsa_user_sgpr_private_segment_size 0
		.amdhsa_uses_dynamic_stack 0
		.amdhsa_system_sgpr_private_segment_wavefront_offset 0
		.amdhsa_system_sgpr_workgroup_id_x 1
		.amdhsa_system_sgpr_workgroup_id_y 0
		.amdhsa_system_sgpr_workgroup_id_z 0
		.amdhsa_system_sgpr_workgroup_info 0
		.amdhsa_system_vgpr_workitem_id 0
		.amdhsa_next_free_vgpr 1
		.amdhsa_next_free_sgpr 0
		.amdhsa_accum_offset 4
		.amdhsa_reserve_vcc 0
		.amdhsa_reserve_flat_scratch 0
		.amdhsa_float_round_mode_32 0
		.amdhsa_float_round_mode_16_64 0
		.amdhsa_float_denorm_mode_32 3
		.amdhsa_float_denorm_mode_16_64 3
		.amdhsa_dx10_clamp 1
		.amdhsa_ieee_mode 1
		.amdhsa_fp16_overflow 0
		.amdhsa_tg_split 0
		.amdhsa_exception_fp_ieee_invalid_op 0
		.amdhsa_exception_fp_denorm_src 0
		.amdhsa_exception_fp_ieee_div_zero 0
		.amdhsa_exception_fp_ieee_overflow 0
		.amdhsa_exception_fp_ieee_underflow 0
		.amdhsa_exception_fp_ieee_inexact 0
		.amdhsa_exception_int_div_zero 0
	.end_amdhsa_kernel
	.section	.text._ZN7rocprim17ROCPRIM_400000_NS6detail17trampoline_kernelINS0_14default_configENS1_22reduce_config_selectorIN6thrust23THRUST_200600_302600_NS5tupleIblNS6_9null_typeES8_S8_S8_S8_S8_S8_S8_EEEEZNS1_11reduce_implILb1ES3_NS6_12zip_iteratorINS7_INS6_11hip_rocprim26transform_input_iterator_tIbNSD_35transform_pair_of_input_iterators_tIbNS6_6detail15normal_iteratorINS6_10device_ptrIlEEEENS6_17counting_iteratorIlNS6_11use_defaultESM_SM_EENS6_8equal_toIlEEEENSG_9not_fun_tINSD_8identityEEEEENSD_19counting_iterator_tIlEES8_S8_S8_S8_S8_S8_S8_S8_EEEEPS9_S9_NSD_9__find_if7functorIS9_EEEE10hipError_tPvRmT1_T2_T3_mT4_P12ihipStream_tbEUlT_E0_NS1_11comp_targetILNS1_3genE3ELNS1_11target_archE908ELNS1_3gpuE7ELNS1_3repE0EEENS1_30default_config_static_selectorELNS0_4arch9wavefront6targetE1EEEvS16_,"axG",@progbits,_ZN7rocprim17ROCPRIM_400000_NS6detail17trampoline_kernelINS0_14default_configENS1_22reduce_config_selectorIN6thrust23THRUST_200600_302600_NS5tupleIblNS6_9null_typeES8_S8_S8_S8_S8_S8_S8_EEEEZNS1_11reduce_implILb1ES3_NS6_12zip_iteratorINS7_INS6_11hip_rocprim26transform_input_iterator_tIbNSD_35transform_pair_of_input_iterators_tIbNS6_6detail15normal_iteratorINS6_10device_ptrIlEEEENS6_17counting_iteratorIlNS6_11use_defaultESM_SM_EENS6_8equal_toIlEEEENSG_9not_fun_tINSD_8identityEEEEENSD_19counting_iterator_tIlEES8_S8_S8_S8_S8_S8_S8_S8_EEEEPS9_S9_NSD_9__find_if7functorIS9_EEEE10hipError_tPvRmT1_T2_T3_mT4_P12ihipStream_tbEUlT_E0_NS1_11comp_targetILNS1_3genE3ELNS1_11target_archE908ELNS1_3gpuE7ELNS1_3repE0EEENS1_30default_config_static_selectorELNS0_4arch9wavefront6targetE1EEEvS16_,comdat
.Lfunc_end1192:
	.size	_ZN7rocprim17ROCPRIM_400000_NS6detail17trampoline_kernelINS0_14default_configENS1_22reduce_config_selectorIN6thrust23THRUST_200600_302600_NS5tupleIblNS6_9null_typeES8_S8_S8_S8_S8_S8_S8_EEEEZNS1_11reduce_implILb1ES3_NS6_12zip_iteratorINS7_INS6_11hip_rocprim26transform_input_iterator_tIbNSD_35transform_pair_of_input_iterators_tIbNS6_6detail15normal_iteratorINS6_10device_ptrIlEEEENS6_17counting_iteratorIlNS6_11use_defaultESM_SM_EENS6_8equal_toIlEEEENSG_9not_fun_tINSD_8identityEEEEENSD_19counting_iterator_tIlEES8_S8_S8_S8_S8_S8_S8_S8_EEEEPS9_S9_NSD_9__find_if7functorIS9_EEEE10hipError_tPvRmT1_T2_T3_mT4_P12ihipStream_tbEUlT_E0_NS1_11comp_targetILNS1_3genE3ELNS1_11target_archE908ELNS1_3gpuE7ELNS1_3repE0EEENS1_30default_config_static_selectorELNS0_4arch9wavefront6targetE1EEEvS16_, .Lfunc_end1192-_ZN7rocprim17ROCPRIM_400000_NS6detail17trampoline_kernelINS0_14default_configENS1_22reduce_config_selectorIN6thrust23THRUST_200600_302600_NS5tupleIblNS6_9null_typeES8_S8_S8_S8_S8_S8_S8_EEEEZNS1_11reduce_implILb1ES3_NS6_12zip_iteratorINS7_INS6_11hip_rocprim26transform_input_iterator_tIbNSD_35transform_pair_of_input_iterators_tIbNS6_6detail15normal_iteratorINS6_10device_ptrIlEEEENS6_17counting_iteratorIlNS6_11use_defaultESM_SM_EENS6_8equal_toIlEEEENSG_9not_fun_tINSD_8identityEEEEENSD_19counting_iterator_tIlEES8_S8_S8_S8_S8_S8_S8_S8_EEEEPS9_S9_NSD_9__find_if7functorIS9_EEEE10hipError_tPvRmT1_T2_T3_mT4_P12ihipStream_tbEUlT_E0_NS1_11comp_targetILNS1_3genE3ELNS1_11target_archE908ELNS1_3gpuE7ELNS1_3repE0EEENS1_30default_config_static_selectorELNS0_4arch9wavefront6targetE1EEEvS16_
                                        ; -- End function
	.section	.AMDGPU.csdata,"",@progbits
; Kernel info:
; codeLenInByte = 0
; NumSgprs: 4
; NumVgprs: 0
; NumAgprs: 0
; TotalNumVgprs: 0
; ScratchSize: 0
; MemoryBound: 0
; FloatMode: 240
; IeeeMode: 1
; LDSByteSize: 0 bytes/workgroup (compile time only)
; SGPRBlocks: 0
; VGPRBlocks: 0
; NumSGPRsForWavesPerEU: 4
; NumVGPRsForWavesPerEU: 1
; AccumOffset: 4
; Occupancy: 8
; WaveLimiterHint : 0
; COMPUTE_PGM_RSRC2:SCRATCH_EN: 0
; COMPUTE_PGM_RSRC2:USER_SGPR: 6
; COMPUTE_PGM_RSRC2:TRAP_HANDLER: 0
; COMPUTE_PGM_RSRC2:TGID_X_EN: 1
; COMPUTE_PGM_RSRC2:TGID_Y_EN: 0
; COMPUTE_PGM_RSRC2:TGID_Z_EN: 0
; COMPUTE_PGM_RSRC2:TIDIG_COMP_CNT: 0
; COMPUTE_PGM_RSRC3_GFX90A:ACCUM_OFFSET: 0
; COMPUTE_PGM_RSRC3_GFX90A:TG_SPLIT: 0
	.section	.text._ZN7rocprim17ROCPRIM_400000_NS6detail17trampoline_kernelINS0_14default_configENS1_22reduce_config_selectorIN6thrust23THRUST_200600_302600_NS5tupleIblNS6_9null_typeES8_S8_S8_S8_S8_S8_S8_EEEEZNS1_11reduce_implILb1ES3_NS6_12zip_iteratorINS7_INS6_11hip_rocprim26transform_input_iterator_tIbNSD_35transform_pair_of_input_iterators_tIbNS6_6detail15normal_iteratorINS6_10device_ptrIlEEEENS6_17counting_iteratorIlNS6_11use_defaultESM_SM_EENS6_8equal_toIlEEEENSG_9not_fun_tINSD_8identityEEEEENSD_19counting_iterator_tIlEES8_S8_S8_S8_S8_S8_S8_S8_EEEEPS9_S9_NSD_9__find_if7functorIS9_EEEE10hipError_tPvRmT1_T2_T3_mT4_P12ihipStream_tbEUlT_E0_NS1_11comp_targetILNS1_3genE2ELNS1_11target_archE906ELNS1_3gpuE6ELNS1_3repE0EEENS1_30default_config_static_selectorELNS0_4arch9wavefront6targetE1EEEvS16_,"axG",@progbits,_ZN7rocprim17ROCPRIM_400000_NS6detail17trampoline_kernelINS0_14default_configENS1_22reduce_config_selectorIN6thrust23THRUST_200600_302600_NS5tupleIblNS6_9null_typeES8_S8_S8_S8_S8_S8_S8_EEEEZNS1_11reduce_implILb1ES3_NS6_12zip_iteratorINS7_INS6_11hip_rocprim26transform_input_iterator_tIbNSD_35transform_pair_of_input_iterators_tIbNS6_6detail15normal_iteratorINS6_10device_ptrIlEEEENS6_17counting_iteratorIlNS6_11use_defaultESM_SM_EENS6_8equal_toIlEEEENSG_9not_fun_tINSD_8identityEEEEENSD_19counting_iterator_tIlEES8_S8_S8_S8_S8_S8_S8_S8_EEEEPS9_S9_NSD_9__find_if7functorIS9_EEEE10hipError_tPvRmT1_T2_T3_mT4_P12ihipStream_tbEUlT_E0_NS1_11comp_targetILNS1_3genE2ELNS1_11target_archE906ELNS1_3gpuE6ELNS1_3repE0EEENS1_30default_config_static_selectorELNS0_4arch9wavefront6targetE1EEEvS16_,comdat
	.protected	_ZN7rocprim17ROCPRIM_400000_NS6detail17trampoline_kernelINS0_14default_configENS1_22reduce_config_selectorIN6thrust23THRUST_200600_302600_NS5tupleIblNS6_9null_typeES8_S8_S8_S8_S8_S8_S8_EEEEZNS1_11reduce_implILb1ES3_NS6_12zip_iteratorINS7_INS6_11hip_rocprim26transform_input_iterator_tIbNSD_35transform_pair_of_input_iterators_tIbNS6_6detail15normal_iteratorINS6_10device_ptrIlEEEENS6_17counting_iteratorIlNS6_11use_defaultESM_SM_EENS6_8equal_toIlEEEENSG_9not_fun_tINSD_8identityEEEEENSD_19counting_iterator_tIlEES8_S8_S8_S8_S8_S8_S8_S8_EEEEPS9_S9_NSD_9__find_if7functorIS9_EEEE10hipError_tPvRmT1_T2_T3_mT4_P12ihipStream_tbEUlT_E0_NS1_11comp_targetILNS1_3genE2ELNS1_11target_archE906ELNS1_3gpuE6ELNS1_3repE0EEENS1_30default_config_static_selectorELNS0_4arch9wavefront6targetE1EEEvS16_ ; -- Begin function _ZN7rocprim17ROCPRIM_400000_NS6detail17trampoline_kernelINS0_14default_configENS1_22reduce_config_selectorIN6thrust23THRUST_200600_302600_NS5tupleIblNS6_9null_typeES8_S8_S8_S8_S8_S8_S8_EEEEZNS1_11reduce_implILb1ES3_NS6_12zip_iteratorINS7_INS6_11hip_rocprim26transform_input_iterator_tIbNSD_35transform_pair_of_input_iterators_tIbNS6_6detail15normal_iteratorINS6_10device_ptrIlEEEENS6_17counting_iteratorIlNS6_11use_defaultESM_SM_EENS6_8equal_toIlEEEENSG_9not_fun_tINSD_8identityEEEEENSD_19counting_iterator_tIlEES8_S8_S8_S8_S8_S8_S8_S8_EEEEPS9_S9_NSD_9__find_if7functorIS9_EEEE10hipError_tPvRmT1_T2_T3_mT4_P12ihipStream_tbEUlT_E0_NS1_11comp_targetILNS1_3genE2ELNS1_11target_archE906ELNS1_3gpuE6ELNS1_3repE0EEENS1_30default_config_static_selectorELNS0_4arch9wavefront6targetE1EEEvS16_
	.globl	_ZN7rocprim17ROCPRIM_400000_NS6detail17trampoline_kernelINS0_14default_configENS1_22reduce_config_selectorIN6thrust23THRUST_200600_302600_NS5tupleIblNS6_9null_typeES8_S8_S8_S8_S8_S8_S8_EEEEZNS1_11reduce_implILb1ES3_NS6_12zip_iteratorINS7_INS6_11hip_rocprim26transform_input_iterator_tIbNSD_35transform_pair_of_input_iterators_tIbNS6_6detail15normal_iteratorINS6_10device_ptrIlEEEENS6_17counting_iteratorIlNS6_11use_defaultESM_SM_EENS6_8equal_toIlEEEENSG_9not_fun_tINSD_8identityEEEEENSD_19counting_iterator_tIlEES8_S8_S8_S8_S8_S8_S8_S8_EEEEPS9_S9_NSD_9__find_if7functorIS9_EEEE10hipError_tPvRmT1_T2_T3_mT4_P12ihipStream_tbEUlT_E0_NS1_11comp_targetILNS1_3genE2ELNS1_11target_archE906ELNS1_3gpuE6ELNS1_3repE0EEENS1_30default_config_static_selectorELNS0_4arch9wavefront6targetE1EEEvS16_
	.p2align	8
	.type	_ZN7rocprim17ROCPRIM_400000_NS6detail17trampoline_kernelINS0_14default_configENS1_22reduce_config_selectorIN6thrust23THRUST_200600_302600_NS5tupleIblNS6_9null_typeES8_S8_S8_S8_S8_S8_S8_EEEEZNS1_11reduce_implILb1ES3_NS6_12zip_iteratorINS7_INS6_11hip_rocprim26transform_input_iterator_tIbNSD_35transform_pair_of_input_iterators_tIbNS6_6detail15normal_iteratorINS6_10device_ptrIlEEEENS6_17counting_iteratorIlNS6_11use_defaultESM_SM_EENS6_8equal_toIlEEEENSG_9not_fun_tINSD_8identityEEEEENSD_19counting_iterator_tIlEES8_S8_S8_S8_S8_S8_S8_S8_EEEEPS9_S9_NSD_9__find_if7functorIS9_EEEE10hipError_tPvRmT1_T2_T3_mT4_P12ihipStream_tbEUlT_E0_NS1_11comp_targetILNS1_3genE2ELNS1_11target_archE906ELNS1_3gpuE6ELNS1_3repE0EEENS1_30default_config_static_selectorELNS0_4arch9wavefront6targetE1EEEvS16_,@function
_ZN7rocprim17ROCPRIM_400000_NS6detail17trampoline_kernelINS0_14default_configENS1_22reduce_config_selectorIN6thrust23THRUST_200600_302600_NS5tupleIblNS6_9null_typeES8_S8_S8_S8_S8_S8_S8_EEEEZNS1_11reduce_implILb1ES3_NS6_12zip_iteratorINS7_INS6_11hip_rocprim26transform_input_iterator_tIbNSD_35transform_pair_of_input_iterators_tIbNS6_6detail15normal_iteratorINS6_10device_ptrIlEEEENS6_17counting_iteratorIlNS6_11use_defaultESM_SM_EENS6_8equal_toIlEEEENSG_9not_fun_tINSD_8identityEEEEENSD_19counting_iterator_tIlEES8_S8_S8_S8_S8_S8_S8_S8_EEEEPS9_S9_NSD_9__find_if7functorIS9_EEEE10hipError_tPvRmT1_T2_T3_mT4_P12ihipStream_tbEUlT_E0_NS1_11comp_targetILNS1_3genE2ELNS1_11target_archE906ELNS1_3gpuE6ELNS1_3repE0EEENS1_30default_config_static_selectorELNS0_4arch9wavefront6targetE1EEEvS16_: ; @_ZN7rocprim17ROCPRIM_400000_NS6detail17trampoline_kernelINS0_14default_configENS1_22reduce_config_selectorIN6thrust23THRUST_200600_302600_NS5tupleIblNS6_9null_typeES8_S8_S8_S8_S8_S8_S8_EEEEZNS1_11reduce_implILb1ES3_NS6_12zip_iteratorINS7_INS6_11hip_rocprim26transform_input_iterator_tIbNSD_35transform_pair_of_input_iterators_tIbNS6_6detail15normal_iteratorINS6_10device_ptrIlEEEENS6_17counting_iteratorIlNS6_11use_defaultESM_SM_EENS6_8equal_toIlEEEENSG_9not_fun_tINSD_8identityEEEEENSD_19counting_iterator_tIlEES8_S8_S8_S8_S8_S8_S8_S8_EEEEPS9_S9_NSD_9__find_if7functorIS9_EEEE10hipError_tPvRmT1_T2_T3_mT4_P12ihipStream_tbEUlT_E0_NS1_11comp_targetILNS1_3genE2ELNS1_11target_archE906ELNS1_3gpuE6ELNS1_3repE0EEENS1_30default_config_static_selectorELNS0_4arch9wavefront6targetE1EEEvS16_
; %bb.0:
	.section	.rodata,"a",@progbits
	.p2align	6, 0x0
	.amdhsa_kernel _ZN7rocprim17ROCPRIM_400000_NS6detail17trampoline_kernelINS0_14default_configENS1_22reduce_config_selectorIN6thrust23THRUST_200600_302600_NS5tupleIblNS6_9null_typeES8_S8_S8_S8_S8_S8_S8_EEEEZNS1_11reduce_implILb1ES3_NS6_12zip_iteratorINS7_INS6_11hip_rocprim26transform_input_iterator_tIbNSD_35transform_pair_of_input_iterators_tIbNS6_6detail15normal_iteratorINS6_10device_ptrIlEEEENS6_17counting_iteratorIlNS6_11use_defaultESM_SM_EENS6_8equal_toIlEEEENSG_9not_fun_tINSD_8identityEEEEENSD_19counting_iterator_tIlEES8_S8_S8_S8_S8_S8_S8_S8_EEEEPS9_S9_NSD_9__find_if7functorIS9_EEEE10hipError_tPvRmT1_T2_T3_mT4_P12ihipStream_tbEUlT_E0_NS1_11comp_targetILNS1_3genE2ELNS1_11target_archE906ELNS1_3gpuE6ELNS1_3repE0EEENS1_30default_config_static_selectorELNS0_4arch9wavefront6targetE1EEEvS16_
		.amdhsa_group_segment_fixed_size 0
		.amdhsa_private_segment_fixed_size 0
		.amdhsa_kernarg_size 104
		.amdhsa_user_sgpr_count 6
		.amdhsa_user_sgpr_private_segment_buffer 1
		.amdhsa_user_sgpr_dispatch_ptr 0
		.amdhsa_user_sgpr_queue_ptr 0
		.amdhsa_user_sgpr_kernarg_segment_ptr 1
		.amdhsa_user_sgpr_dispatch_id 0
		.amdhsa_user_sgpr_flat_scratch_init 0
		.amdhsa_user_sgpr_kernarg_preload_length 0
		.amdhsa_user_sgpr_kernarg_preload_offset 0
		.amdhsa_user_sgpr_private_segment_size 0
		.amdhsa_uses_dynamic_stack 0
		.amdhsa_system_sgpr_private_segment_wavefront_offset 0
		.amdhsa_system_sgpr_workgroup_id_x 1
		.amdhsa_system_sgpr_workgroup_id_y 0
		.amdhsa_system_sgpr_workgroup_id_z 0
		.amdhsa_system_sgpr_workgroup_info 0
		.amdhsa_system_vgpr_workitem_id 0
		.amdhsa_next_free_vgpr 1
		.amdhsa_next_free_sgpr 0
		.amdhsa_accum_offset 4
		.amdhsa_reserve_vcc 0
		.amdhsa_reserve_flat_scratch 0
		.amdhsa_float_round_mode_32 0
		.amdhsa_float_round_mode_16_64 0
		.amdhsa_float_denorm_mode_32 3
		.amdhsa_float_denorm_mode_16_64 3
		.amdhsa_dx10_clamp 1
		.amdhsa_ieee_mode 1
		.amdhsa_fp16_overflow 0
		.amdhsa_tg_split 0
		.amdhsa_exception_fp_ieee_invalid_op 0
		.amdhsa_exception_fp_denorm_src 0
		.amdhsa_exception_fp_ieee_div_zero 0
		.amdhsa_exception_fp_ieee_overflow 0
		.amdhsa_exception_fp_ieee_underflow 0
		.amdhsa_exception_fp_ieee_inexact 0
		.amdhsa_exception_int_div_zero 0
	.end_amdhsa_kernel
	.section	.text._ZN7rocprim17ROCPRIM_400000_NS6detail17trampoline_kernelINS0_14default_configENS1_22reduce_config_selectorIN6thrust23THRUST_200600_302600_NS5tupleIblNS6_9null_typeES8_S8_S8_S8_S8_S8_S8_EEEEZNS1_11reduce_implILb1ES3_NS6_12zip_iteratorINS7_INS6_11hip_rocprim26transform_input_iterator_tIbNSD_35transform_pair_of_input_iterators_tIbNS6_6detail15normal_iteratorINS6_10device_ptrIlEEEENS6_17counting_iteratorIlNS6_11use_defaultESM_SM_EENS6_8equal_toIlEEEENSG_9not_fun_tINSD_8identityEEEEENSD_19counting_iterator_tIlEES8_S8_S8_S8_S8_S8_S8_S8_EEEEPS9_S9_NSD_9__find_if7functorIS9_EEEE10hipError_tPvRmT1_T2_T3_mT4_P12ihipStream_tbEUlT_E0_NS1_11comp_targetILNS1_3genE2ELNS1_11target_archE906ELNS1_3gpuE6ELNS1_3repE0EEENS1_30default_config_static_selectorELNS0_4arch9wavefront6targetE1EEEvS16_,"axG",@progbits,_ZN7rocprim17ROCPRIM_400000_NS6detail17trampoline_kernelINS0_14default_configENS1_22reduce_config_selectorIN6thrust23THRUST_200600_302600_NS5tupleIblNS6_9null_typeES8_S8_S8_S8_S8_S8_S8_EEEEZNS1_11reduce_implILb1ES3_NS6_12zip_iteratorINS7_INS6_11hip_rocprim26transform_input_iterator_tIbNSD_35transform_pair_of_input_iterators_tIbNS6_6detail15normal_iteratorINS6_10device_ptrIlEEEENS6_17counting_iteratorIlNS6_11use_defaultESM_SM_EENS6_8equal_toIlEEEENSG_9not_fun_tINSD_8identityEEEEENSD_19counting_iterator_tIlEES8_S8_S8_S8_S8_S8_S8_S8_EEEEPS9_S9_NSD_9__find_if7functorIS9_EEEE10hipError_tPvRmT1_T2_T3_mT4_P12ihipStream_tbEUlT_E0_NS1_11comp_targetILNS1_3genE2ELNS1_11target_archE906ELNS1_3gpuE6ELNS1_3repE0EEENS1_30default_config_static_selectorELNS0_4arch9wavefront6targetE1EEEvS16_,comdat
.Lfunc_end1193:
	.size	_ZN7rocprim17ROCPRIM_400000_NS6detail17trampoline_kernelINS0_14default_configENS1_22reduce_config_selectorIN6thrust23THRUST_200600_302600_NS5tupleIblNS6_9null_typeES8_S8_S8_S8_S8_S8_S8_EEEEZNS1_11reduce_implILb1ES3_NS6_12zip_iteratorINS7_INS6_11hip_rocprim26transform_input_iterator_tIbNSD_35transform_pair_of_input_iterators_tIbNS6_6detail15normal_iteratorINS6_10device_ptrIlEEEENS6_17counting_iteratorIlNS6_11use_defaultESM_SM_EENS6_8equal_toIlEEEENSG_9not_fun_tINSD_8identityEEEEENSD_19counting_iterator_tIlEES8_S8_S8_S8_S8_S8_S8_S8_EEEEPS9_S9_NSD_9__find_if7functorIS9_EEEE10hipError_tPvRmT1_T2_T3_mT4_P12ihipStream_tbEUlT_E0_NS1_11comp_targetILNS1_3genE2ELNS1_11target_archE906ELNS1_3gpuE6ELNS1_3repE0EEENS1_30default_config_static_selectorELNS0_4arch9wavefront6targetE1EEEvS16_, .Lfunc_end1193-_ZN7rocprim17ROCPRIM_400000_NS6detail17trampoline_kernelINS0_14default_configENS1_22reduce_config_selectorIN6thrust23THRUST_200600_302600_NS5tupleIblNS6_9null_typeES8_S8_S8_S8_S8_S8_S8_EEEEZNS1_11reduce_implILb1ES3_NS6_12zip_iteratorINS7_INS6_11hip_rocprim26transform_input_iterator_tIbNSD_35transform_pair_of_input_iterators_tIbNS6_6detail15normal_iteratorINS6_10device_ptrIlEEEENS6_17counting_iteratorIlNS6_11use_defaultESM_SM_EENS6_8equal_toIlEEEENSG_9not_fun_tINSD_8identityEEEEENSD_19counting_iterator_tIlEES8_S8_S8_S8_S8_S8_S8_S8_EEEEPS9_S9_NSD_9__find_if7functorIS9_EEEE10hipError_tPvRmT1_T2_T3_mT4_P12ihipStream_tbEUlT_E0_NS1_11comp_targetILNS1_3genE2ELNS1_11target_archE906ELNS1_3gpuE6ELNS1_3repE0EEENS1_30default_config_static_selectorELNS0_4arch9wavefront6targetE1EEEvS16_
                                        ; -- End function
	.section	.AMDGPU.csdata,"",@progbits
; Kernel info:
; codeLenInByte = 0
; NumSgprs: 4
; NumVgprs: 0
; NumAgprs: 0
; TotalNumVgprs: 0
; ScratchSize: 0
; MemoryBound: 0
; FloatMode: 240
; IeeeMode: 1
; LDSByteSize: 0 bytes/workgroup (compile time only)
; SGPRBlocks: 0
; VGPRBlocks: 0
; NumSGPRsForWavesPerEU: 4
; NumVGPRsForWavesPerEU: 1
; AccumOffset: 4
; Occupancy: 8
; WaveLimiterHint : 0
; COMPUTE_PGM_RSRC2:SCRATCH_EN: 0
; COMPUTE_PGM_RSRC2:USER_SGPR: 6
; COMPUTE_PGM_RSRC2:TRAP_HANDLER: 0
; COMPUTE_PGM_RSRC2:TGID_X_EN: 1
; COMPUTE_PGM_RSRC2:TGID_Y_EN: 0
; COMPUTE_PGM_RSRC2:TGID_Z_EN: 0
; COMPUTE_PGM_RSRC2:TIDIG_COMP_CNT: 0
; COMPUTE_PGM_RSRC3_GFX90A:ACCUM_OFFSET: 0
; COMPUTE_PGM_RSRC3_GFX90A:TG_SPLIT: 0
	.section	.text._ZN7rocprim17ROCPRIM_400000_NS6detail17trampoline_kernelINS0_14default_configENS1_22reduce_config_selectorIN6thrust23THRUST_200600_302600_NS5tupleIblNS6_9null_typeES8_S8_S8_S8_S8_S8_S8_EEEEZNS1_11reduce_implILb1ES3_NS6_12zip_iteratorINS7_INS6_11hip_rocprim26transform_input_iterator_tIbNSD_35transform_pair_of_input_iterators_tIbNS6_6detail15normal_iteratorINS6_10device_ptrIlEEEENS6_17counting_iteratorIlNS6_11use_defaultESM_SM_EENS6_8equal_toIlEEEENSG_9not_fun_tINSD_8identityEEEEENSD_19counting_iterator_tIlEES8_S8_S8_S8_S8_S8_S8_S8_EEEEPS9_S9_NSD_9__find_if7functorIS9_EEEE10hipError_tPvRmT1_T2_T3_mT4_P12ihipStream_tbEUlT_E0_NS1_11comp_targetILNS1_3genE10ELNS1_11target_archE1201ELNS1_3gpuE5ELNS1_3repE0EEENS1_30default_config_static_selectorELNS0_4arch9wavefront6targetE1EEEvS16_,"axG",@progbits,_ZN7rocprim17ROCPRIM_400000_NS6detail17trampoline_kernelINS0_14default_configENS1_22reduce_config_selectorIN6thrust23THRUST_200600_302600_NS5tupleIblNS6_9null_typeES8_S8_S8_S8_S8_S8_S8_EEEEZNS1_11reduce_implILb1ES3_NS6_12zip_iteratorINS7_INS6_11hip_rocprim26transform_input_iterator_tIbNSD_35transform_pair_of_input_iterators_tIbNS6_6detail15normal_iteratorINS6_10device_ptrIlEEEENS6_17counting_iteratorIlNS6_11use_defaultESM_SM_EENS6_8equal_toIlEEEENSG_9not_fun_tINSD_8identityEEEEENSD_19counting_iterator_tIlEES8_S8_S8_S8_S8_S8_S8_S8_EEEEPS9_S9_NSD_9__find_if7functorIS9_EEEE10hipError_tPvRmT1_T2_T3_mT4_P12ihipStream_tbEUlT_E0_NS1_11comp_targetILNS1_3genE10ELNS1_11target_archE1201ELNS1_3gpuE5ELNS1_3repE0EEENS1_30default_config_static_selectorELNS0_4arch9wavefront6targetE1EEEvS16_,comdat
	.protected	_ZN7rocprim17ROCPRIM_400000_NS6detail17trampoline_kernelINS0_14default_configENS1_22reduce_config_selectorIN6thrust23THRUST_200600_302600_NS5tupleIblNS6_9null_typeES8_S8_S8_S8_S8_S8_S8_EEEEZNS1_11reduce_implILb1ES3_NS6_12zip_iteratorINS7_INS6_11hip_rocprim26transform_input_iterator_tIbNSD_35transform_pair_of_input_iterators_tIbNS6_6detail15normal_iteratorINS6_10device_ptrIlEEEENS6_17counting_iteratorIlNS6_11use_defaultESM_SM_EENS6_8equal_toIlEEEENSG_9not_fun_tINSD_8identityEEEEENSD_19counting_iterator_tIlEES8_S8_S8_S8_S8_S8_S8_S8_EEEEPS9_S9_NSD_9__find_if7functorIS9_EEEE10hipError_tPvRmT1_T2_T3_mT4_P12ihipStream_tbEUlT_E0_NS1_11comp_targetILNS1_3genE10ELNS1_11target_archE1201ELNS1_3gpuE5ELNS1_3repE0EEENS1_30default_config_static_selectorELNS0_4arch9wavefront6targetE1EEEvS16_ ; -- Begin function _ZN7rocprim17ROCPRIM_400000_NS6detail17trampoline_kernelINS0_14default_configENS1_22reduce_config_selectorIN6thrust23THRUST_200600_302600_NS5tupleIblNS6_9null_typeES8_S8_S8_S8_S8_S8_S8_EEEEZNS1_11reduce_implILb1ES3_NS6_12zip_iteratorINS7_INS6_11hip_rocprim26transform_input_iterator_tIbNSD_35transform_pair_of_input_iterators_tIbNS6_6detail15normal_iteratorINS6_10device_ptrIlEEEENS6_17counting_iteratorIlNS6_11use_defaultESM_SM_EENS6_8equal_toIlEEEENSG_9not_fun_tINSD_8identityEEEEENSD_19counting_iterator_tIlEES8_S8_S8_S8_S8_S8_S8_S8_EEEEPS9_S9_NSD_9__find_if7functorIS9_EEEE10hipError_tPvRmT1_T2_T3_mT4_P12ihipStream_tbEUlT_E0_NS1_11comp_targetILNS1_3genE10ELNS1_11target_archE1201ELNS1_3gpuE5ELNS1_3repE0EEENS1_30default_config_static_selectorELNS0_4arch9wavefront6targetE1EEEvS16_
	.globl	_ZN7rocprim17ROCPRIM_400000_NS6detail17trampoline_kernelINS0_14default_configENS1_22reduce_config_selectorIN6thrust23THRUST_200600_302600_NS5tupleIblNS6_9null_typeES8_S8_S8_S8_S8_S8_S8_EEEEZNS1_11reduce_implILb1ES3_NS6_12zip_iteratorINS7_INS6_11hip_rocprim26transform_input_iterator_tIbNSD_35transform_pair_of_input_iterators_tIbNS6_6detail15normal_iteratorINS6_10device_ptrIlEEEENS6_17counting_iteratorIlNS6_11use_defaultESM_SM_EENS6_8equal_toIlEEEENSG_9not_fun_tINSD_8identityEEEEENSD_19counting_iterator_tIlEES8_S8_S8_S8_S8_S8_S8_S8_EEEEPS9_S9_NSD_9__find_if7functorIS9_EEEE10hipError_tPvRmT1_T2_T3_mT4_P12ihipStream_tbEUlT_E0_NS1_11comp_targetILNS1_3genE10ELNS1_11target_archE1201ELNS1_3gpuE5ELNS1_3repE0EEENS1_30default_config_static_selectorELNS0_4arch9wavefront6targetE1EEEvS16_
	.p2align	8
	.type	_ZN7rocprim17ROCPRIM_400000_NS6detail17trampoline_kernelINS0_14default_configENS1_22reduce_config_selectorIN6thrust23THRUST_200600_302600_NS5tupleIblNS6_9null_typeES8_S8_S8_S8_S8_S8_S8_EEEEZNS1_11reduce_implILb1ES3_NS6_12zip_iteratorINS7_INS6_11hip_rocprim26transform_input_iterator_tIbNSD_35transform_pair_of_input_iterators_tIbNS6_6detail15normal_iteratorINS6_10device_ptrIlEEEENS6_17counting_iteratorIlNS6_11use_defaultESM_SM_EENS6_8equal_toIlEEEENSG_9not_fun_tINSD_8identityEEEEENSD_19counting_iterator_tIlEES8_S8_S8_S8_S8_S8_S8_S8_EEEEPS9_S9_NSD_9__find_if7functorIS9_EEEE10hipError_tPvRmT1_T2_T3_mT4_P12ihipStream_tbEUlT_E0_NS1_11comp_targetILNS1_3genE10ELNS1_11target_archE1201ELNS1_3gpuE5ELNS1_3repE0EEENS1_30default_config_static_selectorELNS0_4arch9wavefront6targetE1EEEvS16_,@function
_ZN7rocprim17ROCPRIM_400000_NS6detail17trampoline_kernelINS0_14default_configENS1_22reduce_config_selectorIN6thrust23THRUST_200600_302600_NS5tupleIblNS6_9null_typeES8_S8_S8_S8_S8_S8_S8_EEEEZNS1_11reduce_implILb1ES3_NS6_12zip_iteratorINS7_INS6_11hip_rocprim26transform_input_iterator_tIbNSD_35transform_pair_of_input_iterators_tIbNS6_6detail15normal_iteratorINS6_10device_ptrIlEEEENS6_17counting_iteratorIlNS6_11use_defaultESM_SM_EENS6_8equal_toIlEEEENSG_9not_fun_tINSD_8identityEEEEENSD_19counting_iterator_tIlEES8_S8_S8_S8_S8_S8_S8_S8_EEEEPS9_S9_NSD_9__find_if7functorIS9_EEEE10hipError_tPvRmT1_T2_T3_mT4_P12ihipStream_tbEUlT_E0_NS1_11comp_targetILNS1_3genE10ELNS1_11target_archE1201ELNS1_3gpuE5ELNS1_3repE0EEENS1_30default_config_static_selectorELNS0_4arch9wavefront6targetE1EEEvS16_: ; @_ZN7rocprim17ROCPRIM_400000_NS6detail17trampoline_kernelINS0_14default_configENS1_22reduce_config_selectorIN6thrust23THRUST_200600_302600_NS5tupleIblNS6_9null_typeES8_S8_S8_S8_S8_S8_S8_EEEEZNS1_11reduce_implILb1ES3_NS6_12zip_iteratorINS7_INS6_11hip_rocprim26transform_input_iterator_tIbNSD_35transform_pair_of_input_iterators_tIbNS6_6detail15normal_iteratorINS6_10device_ptrIlEEEENS6_17counting_iteratorIlNS6_11use_defaultESM_SM_EENS6_8equal_toIlEEEENSG_9not_fun_tINSD_8identityEEEEENSD_19counting_iterator_tIlEES8_S8_S8_S8_S8_S8_S8_S8_EEEEPS9_S9_NSD_9__find_if7functorIS9_EEEE10hipError_tPvRmT1_T2_T3_mT4_P12ihipStream_tbEUlT_E0_NS1_11comp_targetILNS1_3genE10ELNS1_11target_archE1201ELNS1_3gpuE5ELNS1_3repE0EEENS1_30default_config_static_selectorELNS0_4arch9wavefront6targetE1EEEvS16_
; %bb.0:
	.section	.rodata,"a",@progbits
	.p2align	6, 0x0
	.amdhsa_kernel _ZN7rocprim17ROCPRIM_400000_NS6detail17trampoline_kernelINS0_14default_configENS1_22reduce_config_selectorIN6thrust23THRUST_200600_302600_NS5tupleIblNS6_9null_typeES8_S8_S8_S8_S8_S8_S8_EEEEZNS1_11reduce_implILb1ES3_NS6_12zip_iteratorINS7_INS6_11hip_rocprim26transform_input_iterator_tIbNSD_35transform_pair_of_input_iterators_tIbNS6_6detail15normal_iteratorINS6_10device_ptrIlEEEENS6_17counting_iteratorIlNS6_11use_defaultESM_SM_EENS6_8equal_toIlEEEENSG_9not_fun_tINSD_8identityEEEEENSD_19counting_iterator_tIlEES8_S8_S8_S8_S8_S8_S8_S8_EEEEPS9_S9_NSD_9__find_if7functorIS9_EEEE10hipError_tPvRmT1_T2_T3_mT4_P12ihipStream_tbEUlT_E0_NS1_11comp_targetILNS1_3genE10ELNS1_11target_archE1201ELNS1_3gpuE5ELNS1_3repE0EEENS1_30default_config_static_selectorELNS0_4arch9wavefront6targetE1EEEvS16_
		.amdhsa_group_segment_fixed_size 0
		.amdhsa_private_segment_fixed_size 0
		.amdhsa_kernarg_size 104
		.amdhsa_user_sgpr_count 6
		.amdhsa_user_sgpr_private_segment_buffer 1
		.amdhsa_user_sgpr_dispatch_ptr 0
		.amdhsa_user_sgpr_queue_ptr 0
		.amdhsa_user_sgpr_kernarg_segment_ptr 1
		.amdhsa_user_sgpr_dispatch_id 0
		.amdhsa_user_sgpr_flat_scratch_init 0
		.amdhsa_user_sgpr_kernarg_preload_length 0
		.amdhsa_user_sgpr_kernarg_preload_offset 0
		.amdhsa_user_sgpr_private_segment_size 0
		.amdhsa_uses_dynamic_stack 0
		.amdhsa_system_sgpr_private_segment_wavefront_offset 0
		.amdhsa_system_sgpr_workgroup_id_x 1
		.amdhsa_system_sgpr_workgroup_id_y 0
		.amdhsa_system_sgpr_workgroup_id_z 0
		.amdhsa_system_sgpr_workgroup_info 0
		.amdhsa_system_vgpr_workitem_id 0
		.amdhsa_next_free_vgpr 1
		.amdhsa_next_free_sgpr 0
		.amdhsa_accum_offset 4
		.amdhsa_reserve_vcc 0
		.amdhsa_reserve_flat_scratch 0
		.amdhsa_float_round_mode_32 0
		.amdhsa_float_round_mode_16_64 0
		.amdhsa_float_denorm_mode_32 3
		.amdhsa_float_denorm_mode_16_64 3
		.amdhsa_dx10_clamp 1
		.amdhsa_ieee_mode 1
		.amdhsa_fp16_overflow 0
		.amdhsa_tg_split 0
		.amdhsa_exception_fp_ieee_invalid_op 0
		.amdhsa_exception_fp_denorm_src 0
		.amdhsa_exception_fp_ieee_div_zero 0
		.amdhsa_exception_fp_ieee_overflow 0
		.amdhsa_exception_fp_ieee_underflow 0
		.amdhsa_exception_fp_ieee_inexact 0
		.amdhsa_exception_int_div_zero 0
	.end_amdhsa_kernel
	.section	.text._ZN7rocprim17ROCPRIM_400000_NS6detail17trampoline_kernelINS0_14default_configENS1_22reduce_config_selectorIN6thrust23THRUST_200600_302600_NS5tupleIblNS6_9null_typeES8_S8_S8_S8_S8_S8_S8_EEEEZNS1_11reduce_implILb1ES3_NS6_12zip_iteratorINS7_INS6_11hip_rocprim26transform_input_iterator_tIbNSD_35transform_pair_of_input_iterators_tIbNS6_6detail15normal_iteratorINS6_10device_ptrIlEEEENS6_17counting_iteratorIlNS6_11use_defaultESM_SM_EENS6_8equal_toIlEEEENSG_9not_fun_tINSD_8identityEEEEENSD_19counting_iterator_tIlEES8_S8_S8_S8_S8_S8_S8_S8_EEEEPS9_S9_NSD_9__find_if7functorIS9_EEEE10hipError_tPvRmT1_T2_T3_mT4_P12ihipStream_tbEUlT_E0_NS1_11comp_targetILNS1_3genE10ELNS1_11target_archE1201ELNS1_3gpuE5ELNS1_3repE0EEENS1_30default_config_static_selectorELNS0_4arch9wavefront6targetE1EEEvS16_,"axG",@progbits,_ZN7rocprim17ROCPRIM_400000_NS6detail17trampoline_kernelINS0_14default_configENS1_22reduce_config_selectorIN6thrust23THRUST_200600_302600_NS5tupleIblNS6_9null_typeES8_S8_S8_S8_S8_S8_S8_EEEEZNS1_11reduce_implILb1ES3_NS6_12zip_iteratorINS7_INS6_11hip_rocprim26transform_input_iterator_tIbNSD_35transform_pair_of_input_iterators_tIbNS6_6detail15normal_iteratorINS6_10device_ptrIlEEEENS6_17counting_iteratorIlNS6_11use_defaultESM_SM_EENS6_8equal_toIlEEEENSG_9not_fun_tINSD_8identityEEEEENSD_19counting_iterator_tIlEES8_S8_S8_S8_S8_S8_S8_S8_EEEEPS9_S9_NSD_9__find_if7functorIS9_EEEE10hipError_tPvRmT1_T2_T3_mT4_P12ihipStream_tbEUlT_E0_NS1_11comp_targetILNS1_3genE10ELNS1_11target_archE1201ELNS1_3gpuE5ELNS1_3repE0EEENS1_30default_config_static_selectorELNS0_4arch9wavefront6targetE1EEEvS16_,comdat
.Lfunc_end1194:
	.size	_ZN7rocprim17ROCPRIM_400000_NS6detail17trampoline_kernelINS0_14default_configENS1_22reduce_config_selectorIN6thrust23THRUST_200600_302600_NS5tupleIblNS6_9null_typeES8_S8_S8_S8_S8_S8_S8_EEEEZNS1_11reduce_implILb1ES3_NS6_12zip_iteratorINS7_INS6_11hip_rocprim26transform_input_iterator_tIbNSD_35transform_pair_of_input_iterators_tIbNS6_6detail15normal_iteratorINS6_10device_ptrIlEEEENS6_17counting_iteratorIlNS6_11use_defaultESM_SM_EENS6_8equal_toIlEEEENSG_9not_fun_tINSD_8identityEEEEENSD_19counting_iterator_tIlEES8_S8_S8_S8_S8_S8_S8_S8_EEEEPS9_S9_NSD_9__find_if7functorIS9_EEEE10hipError_tPvRmT1_T2_T3_mT4_P12ihipStream_tbEUlT_E0_NS1_11comp_targetILNS1_3genE10ELNS1_11target_archE1201ELNS1_3gpuE5ELNS1_3repE0EEENS1_30default_config_static_selectorELNS0_4arch9wavefront6targetE1EEEvS16_, .Lfunc_end1194-_ZN7rocprim17ROCPRIM_400000_NS6detail17trampoline_kernelINS0_14default_configENS1_22reduce_config_selectorIN6thrust23THRUST_200600_302600_NS5tupleIblNS6_9null_typeES8_S8_S8_S8_S8_S8_S8_EEEEZNS1_11reduce_implILb1ES3_NS6_12zip_iteratorINS7_INS6_11hip_rocprim26transform_input_iterator_tIbNSD_35transform_pair_of_input_iterators_tIbNS6_6detail15normal_iteratorINS6_10device_ptrIlEEEENS6_17counting_iteratorIlNS6_11use_defaultESM_SM_EENS6_8equal_toIlEEEENSG_9not_fun_tINSD_8identityEEEEENSD_19counting_iterator_tIlEES8_S8_S8_S8_S8_S8_S8_S8_EEEEPS9_S9_NSD_9__find_if7functorIS9_EEEE10hipError_tPvRmT1_T2_T3_mT4_P12ihipStream_tbEUlT_E0_NS1_11comp_targetILNS1_3genE10ELNS1_11target_archE1201ELNS1_3gpuE5ELNS1_3repE0EEENS1_30default_config_static_selectorELNS0_4arch9wavefront6targetE1EEEvS16_
                                        ; -- End function
	.section	.AMDGPU.csdata,"",@progbits
; Kernel info:
; codeLenInByte = 0
; NumSgprs: 4
; NumVgprs: 0
; NumAgprs: 0
; TotalNumVgprs: 0
; ScratchSize: 0
; MemoryBound: 0
; FloatMode: 240
; IeeeMode: 1
; LDSByteSize: 0 bytes/workgroup (compile time only)
; SGPRBlocks: 0
; VGPRBlocks: 0
; NumSGPRsForWavesPerEU: 4
; NumVGPRsForWavesPerEU: 1
; AccumOffset: 4
; Occupancy: 8
; WaveLimiterHint : 0
; COMPUTE_PGM_RSRC2:SCRATCH_EN: 0
; COMPUTE_PGM_RSRC2:USER_SGPR: 6
; COMPUTE_PGM_RSRC2:TRAP_HANDLER: 0
; COMPUTE_PGM_RSRC2:TGID_X_EN: 1
; COMPUTE_PGM_RSRC2:TGID_Y_EN: 0
; COMPUTE_PGM_RSRC2:TGID_Z_EN: 0
; COMPUTE_PGM_RSRC2:TIDIG_COMP_CNT: 0
; COMPUTE_PGM_RSRC3_GFX90A:ACCUM_OFFSET: 0
; COMPUTE_PGM_RSRC3_GFX90A:TG_SPLIT: 0
	.section	.text._ZN7rocprim17ROCPRIM_400000_NS6detail17trampoline_kernelINS0_14default_configENS1_22reduce_config_selectorIN6thrust23THRUST_200600_302600_NS5tupleIblNS6_9null_typeES8_S8_S8_S8_S8_S8_S8_EEEEZNS1_11reduce_implILb1ES3_NS6_12zip_iteratorINS7_INS6_11hip_rocprim26transform_input_iterator_tIbNSD_35transform_pair_of_input_iterators_tIbNS6_6detail15normal_iteratorINS6_10device_ptrIlEEEENS6_17counting_iteratorIlNS6_11use_defaultESM_SM_EENS6_8equal_toIlEEEENSG_9not_fun_tINSD_8identityEEEEENSD_19counting_iterator_tIlEES8_S8_S8_S8_S8_S8_S8_S8_EEEEPS9_S9_NSD_9__find_if7functorIS9_EEEE10hipError_tPvRmT1_T2_T3_mT4_P12ihipStream_tbEUlT_E0_NS1_11comp_targetILNS1_3genE10ELNS1_11target_archE1200ELNS1_3gpuE4ELNS1_3repE0EEENS1_30default_config_static_selectorELNS0_4arch9wavefront6targetE1EEEvS16_,"axG",@progbits,_ZN7rocprim17ROCPRIM_400000_NS6detail17trampoline_kernelINS0_14default_configENS1_22reduce_config_selectorIN6thrust23THRUST_200600_302600_NS5tupleIblNS6_9null_typeES8_S8_S8_S8_S8_S8_S8_EEEEZNS1_11reduce_implILb1ES3_NS6_12zip_iteratorINS7_INS6_11hip_rocprim26transform_input_iterator_tIbNSD_35transform_pair_of_input_iterators_tIbNS6_6detail15normal_iteratorINS6_10device_ptrIlEEEENS6_17counting_iteratorIlNS6_11use_defaultESM_SM_EENS6_8equal_toIlEEEENSG_9not_fun_tINSD_8identityEEEEENSD_19counting_iterator_tIlEES8_S8_S8_S8_S8_S8_S8_S8_EEEEPS9_S9_NSD_9__find_if7functorIS9_EEEE10hipError_tPvRmT1_T2_T3_mT4_P12ihipStream_tbEUlT_E0_NS1_11comp_targetILNS1_3genE10ELNS1_11target_archE1200ELNS1_3gpuE4ELNS1_3repE0EEENS1_30default_config_static_selectorELNS0_4arch9wavefront6targetE1EEEvS16_,comdat
	.protected	_ZN7rocprim17ROCPRIM_400000_NS6detail17trampoline_kernelINS0_14default_configENS1_22reduce_config_selectorIN6thrust23THRUST_200600_302600_NS5tupleIblNS6_9null_typeES8_S8_S8_S8_S8_S8_S8_EEEEZNS1_11reduce_implILb1ES3_NS6_12zip_iteratorINS7_INS6_11hip_rocprim26transform_input_iterator_tIbNSD_35transform_pair_of_input_iterators_tIbNS6_6detail15normal_iteratorINS6_10device_ptrIlEEEENS6_17counting_iteratorIlNS6_11use_defaultESM_SM_EENS6_8equal_toIlEEEENSG_9not_fun_tINSD_8identityEEEEENSD_19counting_iterator_tIlEES8_S8_S8_S8_S8_S8_S8_S8_EEEEPS9_S9_NSD_9__find_if7functorIS9_EEEE10hipError_tPvRmT1_T2_T3_mT4_P12ihipStream_tbEUlT_E0_NS1_11comp_targetILNS1_3genE10ELNS1_11target_archE1200ELNS1_3gpuE4ELNS1_3repE0EEENS1_30default_config_static_selectorELNS0_4arch9wavefront6targetE1EEEvS16_ ; -- Begin function _ZN7rocprim17ROCPRIM_400000_NS6detail17trampoline_kernelINS0_14default_configENS1_22reduce_config_selectorIN6thrust23THRUST_200600_302600_NS5tupleIblNS6_9null_typeES8_S8_S8_S8_S8_S8_S8_EEEEZNS1_11reduce_implILb1ES3_NS6_12zip_iteratorINS7_INS6_11hip_rocprim26transform_input_iterator_tIbNSD_35transform_pair_of_input_iterators_tIbNS6_6detail15normal_iteratorINS6_10device_ptrIlEEEENS6_17counting_iteratorIlNS6_11use_defaultESM_SM_EENS6_8equal_toIlEEEENSG_9not_fun_tINSD_8identityEEEEENSD_19counting_iterator_tIlEES8_S8_S8_S8_S8_S8_S8_S8_EEEEPS9_S9_NSD_9__find_if7functorIS9_EEEE10hipError_tPvRmT1_T2_T3_mT4_P12ihipStream_tbEUlT_E0_NS1_11comp_targetILNS1_3genE10ELNS1_11target_archE1200ELNS1_3gpuE4ELNS1_3repE0EEENS1_30default_config_static_selectorELNS0_4arch9wavefront6targetE1EEEvS16_
	.globl	_ZN7rocprim17ROCPRIM_400000_NS6detail17trampoline_kernelINS0_14default_configENS1_22reduce_config_selectorIN6thrust23THRUST_200600_302600_NS5tupleIblNS6_9null_typeES8_S8_S8_S8_S8_S8_S8_EEEEZNS1_11reduce_implILb1ES3_NS6_12zip_iteratorINS7_INS6_11hip_rocprim26transform_input_iterator_tIbNSD_35transform_pair_of_input_iterators_tIbNS6_6detail15normal_iteratorINS6_10device_ptrIlEEEENS6_17counting_iteratorIlNS6_11use_defaultESM_SM_EENS6_8equal_toIlEEEENSG_9not_fun_tINSD_8identityEEEEENSD_19counting_iterator_tIlEES8_S8_S8_S8_S8_S8_S8_S8_EEEEPS9_S9_NSD_9__find_if7functorIS9_EEEE10hipError_tPvRmT1_T2_T3_mT4_P12ihipStream_tbEUlT_E0_NS1_11comp_targetILNS1_3genE10ELNS1_11target_archE1200ELNS1_3gpuE4ELNS1_3repE0EEENS1_30default_config_static_selectorELNS0_4arch9wavefront6targetE1EEEvS16_
	.p2align	8
	.type	_ZN7rocprim17ROCPRIM_400000_NS6detail17trampoline_kernelINS0_14default_configENS1_22reduce_config_selectorIN6thrust23THRUST_200600_302600_NS5tupleIblNS6_9null_typeES8_S8_S8_S8_S8_S8_S8_EEEEZNS1_11reduce_implILb1ES3_NS6_12zip_iteratorINS7_INS6_11hip_rocprim26transform_input_iterator_tIbNSD_35transform_pair_of_input_iterators_tIbNS6_6detail15normal_iteratorINS6_10device_ptrIlEEEENS6_17counting_iteratorIlNS6_11use_defaultESM_SM_EENS6_8equal_toIlEEEENSG_9not_fun_tINSD_8identityEEEEENSD_19counting_iterator_tIlEES8_S8_S8_S8_S8_S8_S8_S8_EEEEPS9_S9_NSD_9__find_if7functorIS9_EEEE10hipError_tPvRmT1_T2_T3_mT4_P12ihipStream_tbEUlT_E0_NS1_11comp_targetILNS1_3genE10ELNS1_11target_archE1200ELNS1_3gpuE4ELNS1_3repE0EEENS1_30default_config_static_selectorELNS0_4arch9wavefront6targetE1EEEvS16_,@function
_ZN7rocprim17ROCPRIM_400000_NS6detail17trampoline_kernelINS0_14default_configENS1_22reduce_config_selectorIN6thrust23THRUST_200600_302600_NS5tupleIblNS6_9null_typeES8_S8_S8_S8_S8_S8_S8_EEEEZNS1_11reduce_implILb1ES3_NS6_12zip_iteratorINS7_INS6_11hip_rocprim26transform_input_iterator_tIbNSD_35transform_pair_of_input_iterators_tIbNS6_6detail15normal_iteratorINS6_10device_ptrIlEEEENS6_17counting_iteratorIlNS6_11use_defaultESM_SM_EENS6_8equal_toIlEEEENSG_9not_fun_tINSD_8identityEEEEENSD_19counting_iterator_tIlEES8_S8_S8_S8_S8_S8_S8_S8_EEEEPS9_S9_NSD_9__find_if7functorIS9_EEEE10hipError_tPvRmT1_T2_T3_mT4_P12ihipStream_tbEUlT_E0_NS1_11comp_targetILNS1_3genE10ELNS1_11target_archE1200ELNS1_3gpuE4ELNS1_3repE0EEENS1_30default_config_static_selectorELNS0_4arch9wavefront6targetE1EEEvS16_: ; @_ZN7rocprim17ROCPRIM_400000_NS6detail17trampoline_kernelINS0_14default_configENS1_22reduce_config_selectorIN6thrust23THRUST_200600_302600_NS5tupleIblNS6_9null_typeES8_S8_S8_S8_S8_S8_S8_EEEEZNS1_11reduce_implILb1ES3_NS6_12zip_iteratorINS7_INS6_11hip_rocprim26transform_input_iterator_tIbNSD_35transform_pair_of_input_iterators_tIbNS6_6detail15normal_iteratorINS6_10device_ptrIlEEEENS6_17counting_iteratorIlNS6_11use_defaultESM_SM_EENS6_8equal_toIlEEEENSG_9not_fun_tINSD_8identityEEEEENSD_19counting_iterator_tIlEES8_S8_S8_S8_S8_S8_S8_S8_EEEEPS9_S9_NSD_9__find_if7functorIS9_EEEE10hipError_tPvRmT1_T2_T3_mT4_P12ihipStream_tbEUlT_E0_NS1_11comp_targetILNS1_3genE10ELNS1_11target_archE1200ELNS1_3gpuE4ELNS1_3repE0EEENS1_30default_config_static_selectorELNS0_4arch9wavefront6targetE1EEEvS16_
; %bb.0:
	.section	.rodata,"a",@progbits
	.p2align	6, 0x0
	.amdhsa_kernel _ZN7rocprim17ROCPRIM_400000_NS6detail17trampoline_kernelINS0_14default_configENS1_22reduce_config_selectorIN6thrust23THRUST_200600_302600_NS5tupleIblNS6_9null_typeES8_S8_S8_S8_S8_S8_S8_EEEEZNS1_11reduce_implILb1ES3_NS6_12zip_iteratorINS7_INS6_11hip_rocprim26transform_input_iterator_tIbNSD_35transform_pair_of_input_iterators_tIbNS6_6detail15normal_iteratorINS6_10device_ptrIlEEEENS6_17counting_iteratorIlNS6_11use_defaultESM_SM_EENS6_8equal_toIlEEEENSG_9not_fun_tINSD_8identityEEEEENSD_19counting_iterator_tIlEES8_S8_S8_S8_S8_S8_S8_S8_EEEEPS9_S9_NSD_9__find_if7functorIS9_EEEE10hipError_tPvRmT1_T2_T3_mT4_P12ihipStream_tbEUlT_E0_NS1_11comp_targetILNS1_3genE10ELNS1_11target_archE1200ELNS1_3gpuE4ELNS1_3repE0EEENS1_30default_config_static_selectorELNS0_4arch9wavefront6targetE1EEEvS16_
		.amdhsa_group_segment_fixed_size 0
		.amdhsa_private_segment_fixed_size 0
		.amdhsa_kernarg_size 104
		.amdhsa_user_sgpr_count 6
		.amdhsa_user_sgpr_private_segment_buffer 1
		.amdhsa_user_sgpr_dispatch_ptr 0
		.amdhsa_user_sgpr_queue_ptr 0
		.amdhsa_user_sgpr_kernarg_segment_ptr 1
		.amdhsa_user_sgpr_dispatch_id 0
		.amdhsa_user_sgpr_flat_scratch_init 0
		.amdhsa_user_sgpr_kernarg_preload_length 0
		.amdhsa_user_sgpr_kernarg_preload_offset 0
		.amdhsa_user_sgpr_private_segment_size 0
		.amdhsa_uses_dynamic_stack 0
		.amdhsa_system_sgpr_private_segment_wavefront_offset 0
		.amdhsa_system_sgpr_workgroup_id_x 1
		.amdhsa_system_sgpr_workgroup_id_y 0
		.amdhsa_system_sgpr_workgroup_id_z 0
		.amdhsa_system_sgpr_workgroup_info 0
		.amdhsa_system_vgpr_workitem_id 0
		.amdhsa_next_free_vgpr 1
		.amdhsa_next_free_sgpr 0
		.amdhsa_accum_offset 4
		.amdhsa_reserve_vcc 0
		.amdhsa_reserve_flat_scratch 0
		.amdhsa_float_round_mode_32 0
		.amdhsa_float_round_mode_16_64 0
		.amdhsa_float_denorm_mode_32 3
		.amdhsa_float_denorm_mode_16_64 3
		.amdhsa_dx10_clamp 1
		.amdhsa_ieee_mode 1
		.amdhsa_fp16_overflow 0
		.amdhsa_tg_split 0
		.amdhsa_exception_fp_ieee_invalid_op 0
		.amdhsa_exception_fp_denorm_src 0
		.amdhsa_exception_fp_ieee_div_zero 0
		.amdhsa_exception_fp_ieee_overflow 0
		.amdhsa_exception_fp_ieee_underflow 0
		.amdhsa_exception_fp_ieee_inexact 0
		.amdhsa_exception_int_div_zero 0
	.end_amdhsa_kernel
	.section	.text._ZN7rocprim17ROCPRIM_400000_NS6detail17trampoline_kernelINS0_14default_configENS1_22reduce_config_selectorIN6thrust23THRUST_200600_302600_NS5tupleIblNS6_9null_typeES8_S8_S8_S8_S8_S8_S8_EEEEZNS1_11reduce_implILb1ES3_NS6_12zip_iteratorINS7_INS6_11hip_rocprim26transform_input_iterator_tIbNSD_35transform_pair_of_input_iterators_tIbNS6_6detail15normal_iteratorINS6_10device_ptrIlEEEENS6_17counting_iteratorIlNS6_11use_defaultESM_SM_EENS6_8equal_toIlEEEENSG_9not_fun_tINSD_8identityEEEEENSD_19counting_iterator_tIlEES8_S8_S8_S8_S8_S8_S8_S8_EEEEPS9_S9_NSD_9__find_if7functorIS9_EEEE10hipError_tPvRmT1_T2_T3_mT4_P12ihipStream_tbEUlT_E0_NS1_11comp_targetILNS1_3genE10ELNS1_11target_archE1200ELNS1_3gpuE4ELNS1_3repE0EEENS1_30default_config_static_selectorELNS0_4arch9wavefront6targetE1EEEvS16_,"axG",@progbits,_ZN7rocprim17ROCPRIM_400000_NS6detail17trampoline_kernelINS0_14default_configENS1_22reduce_config_selectorIN6thrust23THRUST_200600_302600_NS5tupleIblNS6_9null_typeES8_S8_S8_S8_S8_S8_S8_EEEEZNS1_11reduce_implILb1ES3_NS6_12zip_iteratorINS7_INS6_11hip_rocprim26transform_input_iterator_tIbNSD_35transform_pair_of_input_iterators_tIbNS6_6detail15normal_iteratorINS6_10device_ptrIlEEEENS6_17counting_iteratorIlNS6_11use_defaultESM_SM_EENS6_8equal_toIlEEEENSG_9not_fun_tINSD_8identityEEEEENSD_19counting_iterator_tIlEES8_S8_S8_S8_S8_S8_S8_S8_EEEEPS9_S9_NSD_9__find_if7functorIS9_EEEE10hipError_tPvRmT1_T2_T3_mT4_P12ihipStream_tbEUlT_E0_NS1_11comp_targetILNS1_3genE10ELNS1_11target_archE1200ELNS1_3gpuE4ELNS1_3repE0EEENS1_30default_config_static_selectorELNS0_4arch9wavefront6targetE1EEEvS16_,comdat
.Lfunc_end1195:
	.size	_ZN7rocprim17ROCPRIM_400000_NS6detail17trampoline_kernelINS0_14default_configENS1_22reduce_config_selectorIN6thrust23THRUST_200600_302600_NS5tupleIblNS6_9null_typeES8_S8_S8_S8_S8_S8_S8_EEEEZNS1_11reduce_implILb1ES3_NS6_12zip_iteratorINS7_INS6_11hip_rocprim26transform_input_iterator_tIbNSD_35transform_pair_of_input_iterators_tIbNS6_6detail15normal_iteratorINS6_10device_ptrIlEEEENS6_17counting_iteratorIlNS6_11use_defaultESM_SM_EENS6_8equal_toIlEEEENSG_9not_fun_tINSD_8identityEEEEENSD_19counting_iterator_tIlEES8_S8_S8_S8_S8_S8_S8_S8_EEEEPS9_S9_NSD_9__find_if7functorIS9_EEEE10hipError_tPvRmT1_T2_T3_mT4_P12ihipStream_tbEUlT_E0_NS1_11comp_targetILNS1_3genE10ELNS1_11target_archE1200ELNS1_3gpuE4ELNS1_3repE0EEENS1_30default_config_static_selectorELNS0_4arch9wavefront6targetE1EEEvS16_, .Lfunc_end1195-_ZN7rocprim17ROCPRIM_400000_NS6detail17trampoline_kernelINS0_14default_configENS1_22reduce_config_selectorIN6thrust23THRUST_200600_302600_NS5tupleIblNS6_9null_typeES8_S8_S8_S8_S8_S8_S8_EEEEZNS1_11reduce_implILb1ES3_NS6_12zip_iteratorINS7_INS6_11hip_rocprim26transform_input_iterator_tIbNSD_35transform_pair_of_input_iterators_tIbNS6_6detail15normal_iteratorINS6_10device_ptrIlEEEENS6_17counting_iteratorIlNS6_11use_defaultESM_SM_EENS6_8equal_toIlEEEENSG_9not_fun_tINSD_8identityEEEEENSD_19counting_iterator_tIlEES8_S8_S8_S8_S8_S8_S8_S8_EEEEPS9_S9_NSD_9__find_if7functorIS9_EEEE10hipError_tPvRmT1_T2_T3_mT4_P12ihipStream_tbEUlT_E0_NS1_11comp_targetILNS1_3genE10ELNS1_11target_archE1200ELNS1_3gpuE4ELNS1_3repE0EEENS1_30default_config_static_selectorELNS0_4arch9wavefront6targetE1EEEvS16_
                                        ; -- End function
	.section	.AMDGPU.csdata,"",@progbits
; Kernel info:
; codeLenInByte = 0
; NumSgprs: 4
; NumVgprs: 0
; NumAgprs: 0
; TotalNumVgprs: 0
; ScratchSize: 0
; MemoryBound: 0
; FloatMode: 240
; IeeeMode: 1
; LDSByteSize: 0 bytes/workgroup (compile time only)
; SGPRBlocks: 0
; VGPRBlocks: 0
; NumSGPRsForWavesPerEU: 4
; NumVGPRsForWavesPerEU: 1
; AccumOffset: 4
; Occupancy: 8
; WaveLimiterHint : 0
; COMPUTE_PGM_RSRC2:SCRATCH_EN: 0
; COMPUTE_PGM_RSRC2:USER_SGPR: 6
; COMPUTE_PGM_RSRC2:TRAP_HANDLER: 0
; COMPUTE_PGM_RSRC2:TGID_X_EN: 1
; COMPUTE_PGM_RSRC2:TGID_Y_EN: 0
; COMPUTE_PGM_RSRC2:TGID_Z_EN: 0
; COMPUTE_PGM_RSRC2:TIDIG_COMP_CNT: 0
; COMPUTE_PGM_RSRC3_GFX90A:ACCUM_OFFSET: 0
; COMPUTE_PGM_RSRC3_GFX90A:TG_SPLIT: 0
	.section	.text._ZN7rocprim17ROCPRIM_400000_NS6detail17trampoline_kernelINS0_14default_configENS1_22reduce_config_selectorIN6thrust23THRUST_200600_302600_NS5tupleIblNS6_9null_typeES8_S8_S8_S8_S8_S8_S8_EEEEZNS1_11reduce_implILb1ES3_NS6_12zip_iteratorINS7_INS6_11hip_rocprim26transform_input_iterator_tIbNSD_35transform_pair_of_input_iterators_tIbNS6_6detail15normal_iteratorINS6_10device_ptrIlEEEENS6_17counting_iteratorIlNS6_11use_defaultESM_SM_EENS6_8equal_toIlEEEENSG_9not_fun_tINSD_8identityEEEEENSD_19counting_iterator_tIlEES8_S8_S8_S8_S8_S8_S8_S8_EEEEPS9_S9_NSD_9__find_if7functorIS9_EEEE10hipError_tPvRmT1_T2_T3_mT4_P12ihipStream_tbEUlT_E0_NS1_11comp_targetILNS1_3genE9ELNS1_11target_archE1100ELNS1_3gpuE3ELNS1_3repE0EEENS1_30default_config_static_selectorELNS0_4arch9wavefront6targetE1EEEvS16_,"axG",@progbits,_ZN7rocprim17ROCPRIM_400000_NS6detail17trampoline_kernelINS0_14default_configENS1_22reduce_config_selectorIN6thrust23THRUST_200600_302600_NS5tupleIblNS6_9null_typeES8_S8_S8_S8_S8_S8_S8_EEEEZNS1_11reduce_implILb1ES3_NS6_12zip_iteratorINS7_INS6_11hip_rocprim26transform_input_iterator_tIbNSD_35transform_pair_of_input_iterators_tIbNS6_6detail15normal_iteratorINS6_10device_ptrIlEEEENS6_17counting_iteratorIlNS6_11use_defaultESM_SM_EENS6_8equal_toIlEEEENSG_9not_fun_tINSD_8identityEEEEENSD_19counting_iterator_tIlEES8_S8_S8_S8_S8_S8_S8_S8_EEEEPS9_S9_NSD_9__find_if7functorIS9_EEEE10hipError_tPvRmT1_T2_T3_mT4_P12ihipStream_tbEUlT_E0_NS1_11comp_targetILNS1_3genE9ELNS1_11target_archE1100ELNS1_3gpuE3ELNS1_3repE0EEENS1_30default_config_static_selectorELNS0_4arch9wavefront6targetE1EEEvS16_,comdat
	.protected	_ZN7rocprim17ROCPRIM_400000_NS6detail17trampoline_kernelINS0_14default_configENS1_22reduce_config_selectorIN6thrust23THRUST_200600_302600_NS5tupleIblNS6_9null_typeES8_S8_S8_S8_S8_S8_S8_EEEEZNS1_11reduce_implILb1ES3_NS6_12zip_iteratorINS7_INS6_11hip_rocprim26transform_input_iterator_tIbNSD_35transform_pair_of_input_iterators_tIbNS6_6detail15normal_iteratorINS6_10device_ptrIlEEEENS6_17counting_iteratorIlNS6_11use_defaultESM_SM_EENS6_8equal_toIlEEEENSG_9not_fun_tINSD_8identityEEEEENSD_19counting_iterator_tIlEES8_S8_S8_S8_S8_S8_S8_S8_EEEEPS9_S9_NSD_9__find_if7functorIS9_EEEE10hipError_tPvRmT1_T2_T3_mT4_P12ihipStream_tbEUlT_E0_NS1_11comp_targetILNS1_3genE9ELNS1_11target_archE1100ELNS1_3gpuE3ELNS1_3repE0EEENS1_30default_config_static_selectorELNS0_4arch9wavefront6targetE1EEEvS16_ ; -- Begin function _ZN7rocprim17ROCPRIM_400000_NS6detail17trampoline_kernelINS0_14default_configENS1_22reduce_config_selectorIN6thrust23THRUST_200600_302600_NS5tupleIblNS6_9null_typeES8_S8_S8_S8_S8_S8_S8_EEEEZNS1_11reduce_implILb1ES3_NS6_12zip_iteratorINS7_INS6_11hip_rocprim26transform_input_iterator_tIbNSD_35transform_pair_of_input_iterators_tIbNS6_6detail15normal_iteratorINS6_10device_ptrIlEEEENS6_17counting_iteratorIlNS6_11use_defaultESM_SM_EENS6_8equal_toIlEEEENSG_9not_fun_tINSD_8identityEEEEENSD_19counting_iterator_tIlEES8_S8_S8_S8_S8_S8_S8_S8_EEEEPS9_S9_NSD_9__find_if7functorIS9_EEEE10hipError_tPvRmT1_T2_T3_mT4_P12ihipStream_tbEUlT_E0_NS1_11comp_targetILNS1_3genE9ELNS1_11target_archE1100ELNS1_3gpuE3ELNS1_3repE0EEENS1_30default_config_static_selectorELNS0_4arch9wavefront6targetE1EEEvS16_
	.globl	_ZN7rocprim17ROCPRIM_400000_NS6detail17trampoline_kernelINS0_14default_configENS1_22reduce_config_selectorIN6thrust23THRUST_200600_302600_NS5tupleIblNS6_9null_typeES8_S8_S8_S8_S8_S8_S8_EEEEZNS1_11reduce_implILb1ES3_NS6_12zip_iteratorINS7_INS6_11hip_rocprim26transform_input_iterator_tIbNSD_35transform_pair_of_input_iterators_tIbNS6_6detail15normal_iteratorINS6_10device_ptrIlEEEENS6_17counting_iteratorIlNS6_11use_defaultESM_SM_EENS6_8equal_toIlEEEENSG_9not_fun_tINSD_8identityEEEEENSD_19counting_iterator_tIlEES8_S8_S8_S8_S8_S8_S8_S8_EEEEPS9_S9_NSD_9__find_if7functorIS9_EEEE10hipError_tPvRmT1_T2_T3_mT4_P12ihipStream_tbEUlT_E0_NS1_11comp_targetILNS1_3genE9ELNS1_11target_archE1100ELNS1_3gpuE3ELNS1_3repE0EEENS1_30default_config_static_selectorELNS0_4arch9wavefront6targetE1EEEvS16_
	.p2align	8
	.type	_ZN7rocprim17ROCPRIM_400000_NS6detail17trampoline_kernelINS0_14default_configENS1_22reduce_config_selectorIN6thrust23THRUST_200600_302600_NS5tupleIblNS6_9null_typeES8_S8_S8_S8_S8_S8_S8_EEEEZNS1_11reduce_implILb1ES3_NS6_12zip_iteratorINS7_INS6_11hip_rocprim26transform_input_iterator_tIbNSD_35transform_pair_of_input_iterators_tIbNS6_6detail15normal_iteratorINS6_10device_ptrIlEEEENS6_17counting_iteratorIlNS6_11use_defaultESM_SM_EENS6_8equal_toIlEEEENSG_9not_fun_tINSD_8identityEEEEENSD_19counting_iterator_tIlEES8_S8_S8_S8_S8_S8_S8_S8_EEEEPS9_S9_NSD_9__find_if7functorIS9_EEEE10hipError_tPvRmT1_T2_T3_mT4_P12ihipStream_tbEUlT_E0_NS1_11comp_targetILNS1_3genE9ELNS1_11target_archE1100ELNS1_3gpuE3ELNS1_3repE0EEENS1_30default_config_static_selectorELNS0_4arch9wavefront6targetE1EEEvS16_,@function
_ZN7rocprim17ROCPRIM_400000_NS6detail17trampoline_kernelINS0_14default_configENS1_22reduce_config_selectorIN6thrust23THRUST_200600_302600_NS5tupleIblNS6_9null_typeES8_S8_S8_S8_S8_S8_S8_EEEEZNS1_11reduce_implILb1ES3_NS6_12zip_iteratorINS7_INS6_11hip_rocprim26transform_input_iterator_tIbNSD_35transform_pair_of_input_iterators_tIbNS6_6detail15normal_iteratorINS6_10device_ptrIlEEEENS6_17counting_iteratorIlNS6_11use_defaultESM_SM_EENS6_8equal_toIlEEEENSG_9not_fun_tINSD_8identityEEEEENSD_19counting_iterator_tIlEES8_S8_S8_S8_S8_S8_S8_S8_EEEEPS9_S9_NSD_9__find_if7functorIS9_EEEE10hipError_tPvRmT1_T2_T3_mT4_P12ihipStream_tbEUlT_E0_NS1_11comp_targetILNS1_3genE9ELNS1_11target_archE1100ELNS1_3gpuE3ELNS1_3repE0EEENS1_30default_config_static_selectorELNS0_4arch9wavefront6targetE1EEEvS16_: ; @_ZN7rocprim17ROCPRIM_400000_NS6detail17trampoline_kernelINS0_14default_configENS1_22reduce_config_selectorIN6thrust23THRUST_200600_302600_NS5tupleIblNS6_9null_typeES8_S8_S8_S8_S8_S8_S8_EEEEZNS1_11reduce_implILb1ES3_NS6_12zip_iteratorINS7_INS6_11hip_rocprim26transform_input_iterator_tIbNSD_35transform_pair_of_input_iterators_tIbNS6_6detail15normal_iteratorINS6_10device_ptrIlEEEENS6_17counting_iteratorIlNS6_11use_defaultESM_SM_EENS6_8equal_toIlEEEENSG_9not_fun_tINSD_8identityEEEEENSD_19counting_iterator_tIlEES8_S8_S8_S8_S8_S8_S8_S8_EEEEPS9_S9_NSD_9__find_if7functorIS9_EEEE10hipError_tPvRmT1_T2_T3_mT4_P12ihipStream_tbEUlT_E0_NS1_11comp_targetILNS1_3genE9ELNS1_11target_archE1100ELNS1_3gpuE3ELNS1_3repE0EEENS1_30default_config_static_selectorELNS0_4arch9wavefront6targetE1EEEvS16_
; %bb.0:
	.section	.rodata,"a",@progbits
	.p2align	6, 0x0
	.amdhsa_kernel _ZN7rocprim17ROCPRIM_400000_NS6detail17trampoline_kernelINS0_14default_configENS1_22reduce_config_selectorIN6thrust23THRUST_200600_302600_NS5tupleIblNS6_9null_typeES8_S8_S8_S8_S8_S8_S8_EEEEZNS1_11reduce_implILb1ES3_NS6_12zip_iteratorINS7_INS6_11hip_rocprim26transform_input_iterator_tIbNSD_35transform_pair_of_input_iterators_tIbNS6_6detail15normal_iteratorINS6_10device_ptrIlEEEENS6_17counting_iteratorIlNS6_11use_defaultESM_SM_EENS6_8equal_toIlEEEENSG_9not_fun_tINSD_8identityEEEEENSD_19counting_iterator_tIlEES8_S8_S8_S8_S8_S8_S8_S8_EEEEPS9_S9_NSD_9__find_if7functorIS9_EEEE10hipError_tPvRmT1_T2_T3_mT4_P12ihipStream_tbEUlT_E0_NS1_11comp_targetILNS1_3genE9ELNS1_11target_archE1100ELNS1_3gpuE3ELNS1_3repE0EEENS1_30default_config_static_selectorELNS0_4arch9wavefront6targetE1EEEvS16_
		.amdhsa_group_segment_fixed_size 0
		.amdhsa_private_segment_fixed_size 0
		.amdhsa_kernarg_size 104
		.amdhsa_user_sgpr_count 6
		.amdhsa_user_sgpr_private_segment_buffer 1
		.amdhsa_user_sgpr_dispatch_ptr 0
		.amdhsa_user_sgpr_queue_ptr 0
		.amdhsa_user_sgpr_kernarg_segment_ptr 1
		.amdhsa_user_sgpr_dispatch_id 0
		.amdhsa_user_sgpr_flat_scratch_init 0
		.amdhsa_user_sgpr_kernarg_preload_length 0
		.amdhsa_user_sgpr_kernarg_preload_offset 0
		.amdhsa_user_sgpr_private_segment_size 0
		.amdhsa_uses_dynamic_stack 0
		.amdhsa_system_sgpr_private_segment_wavefront_offset 0
		.amdhsa_system_sgpr_workgroup_id_x 1
		.amdhsa_system_sgpr_workgroup_id_y 0
		.amdhsa_system_sgpr_workgroup_id_z 0
		.amdhsa_system_sgpr_workgroup_info 0
		.amdhsa_system_vgpr_workitem_id 0
		.amdhsa_next_free_vgpr 1
		.amdhsa_next_free_sgpr 0
		.amdhsa_accum_offset 4
		.amdhsa_reserve_vcc 0
		.amdhsa_reserve_flat_scratch 0
		.amdhsa_float_round_mode_32 0
		.amdhsa_float_round_mode_16_64 0
		.amdhsa_float_denorm_mode_32 3
		.amdhsa_float_denorm_mode_16_64 3
		.amdhsa_dx10_clamp 1
		.amdhsa_ieee_mode 1
		.amdhsa_fp16_overflow 0
		.amdhsa_tg_split 0
		.amdhsa_exception_fp_ieee_invalid_op 0
		.amdhsa_exception_fp_denorm_src 0
		.amdhsa_exception_fp_ieee_div_zero 0
		.amdhsa_exception_fp_ieee_overflow 0
		.amdhsa_exception_fp_ieee_underflow 0
		.amdhsa_exception_fp_ieee_inexact 0
		.amdhsa_exception_int_div_zero 0
	.end_amdhsa_kernel
	.section	.text._ZN7rocprim17ROCPRIM_400000_NS6detail17trampoline_kernelINS0_14default_configENS1_22reduce_config_selectorIN6thrust23THRUST_200600_302600_NS5tupleIblNS6_9null_typeES8_S8_S8_S8_S8_S8_S8_EEEEZNS1_11reduce_implILb1ES3_NS6_12zip_iteratorINS7_INS6_11hip_rocprim26transform_input_iterator_tIbNSD_35transform_pair_of_input_iterators_tIbNS6_6detail15normal_iteratorINS6_10device_ptrIlEEEENS6_17counting_iteratorIlNS6_11use_defaultESM_SM_EENS6_8equal_toIlEEEENSG_9not_fun_tINSD_8identityEEEEENSD_19counting_iterator_tIlEES8_S8_S8_S8_S8_S8_S8_S8_EEEEPS9_S9_NSD_9__find_if7functorIS9_EEEE10hipError_tPvRmT1_T2_T3_mT4_P12ihipStream_tbEUlT_E0_NS1_11comp_targetILNS1_3genE9ELNS1_11target_archE1100ELNS1_3gpuE3ELNS1_3repE0EEENS1_30default_config_static_selectorELNS0_4arch9wavefront6targetE1EEEvS16_,"axG",@progbits,_ZN7rocprim17ROCPRIM_400000_NS6detail17trampoline_kernelINS0_14default_configENS1_22reduce_config_selectorIN6thrust23THRUST_200600_302600_NS5tupleIblNS6_9null_typeES8_S8_S8_S8_S8_S8_S8_EEEEZNS1_11reduce_implILb1ES3_NS6_12zip_iteratorINS7_INS6_11hip_rocprim26transform_input_iterator_tIbNSD_35transform_pair_of_input_iterators_tIbNS6_6detail15normal_iteratorINS6_10device_ptrIlEEEENS6_17counting_iteratorIlNS6_11use_defaultESM_SM_EENS6_8equal_toIlEEEENSG_9not_fun_tINSD_8identityEEEEENSD_19counting_iterator_tIlEES8_S8_S8_S8_S8_S8_S8_S8_EEEEPS9_S9_NSD_9__find_if7functorIS9_EEEE10hipError_tPvRmT1_T2_T3_mT4_P12ihipStream_tbEUlT_E0_NS1_11comp_targetILNS1_3genE9ELNS1_11target_archE1100ELNS1_3gpuE3ELNS1_3repE0EEENS1_30default_config_static_selectorELNS0_4arch9wavefront6targetE1EEEvS16_,comdat
.Lfunc_end1196:
	.size	_ZN7rocprim17ROCPRIM_400000_NS6detail17trampoline_kernelINS0_14default_configENS1_22reduce_config_selectorIN6thrust23THRUST_200600_302600_NS5tupleIblNS6_9null_typeES8_S8_S8_S8_S8_S8_S8_EEEEZNS1_11reduce_implILb1ES3_NS6_12zip_iteratorINS7_INS6_11hip_rocprim26transform_input_iterator_tIbNSD_35transform_pair_of_input_iterators_tIbNS6_6detail15normal_iteratorINS6_10device_ptrIlEEEENS6_17counting_iteratorIlNS6_11use_defaultESM_SM_EENS6_8equal_toIlEEEENSG_9not_fun_tINSD_8identityEEEEENSD_19counting_iterator_tIlEES8_S8_S8_S8_S8_S8_S8_S8_EEEEPS9_S9_NSD_9__find_if7functorIS9_EEEE10hipError_tPvRmT1_T2_T3_mT4_P12ihipStream_tbEUlT_E0_NS1_11comp_targetILNS1_3genE9ELNS1_11target_archE1100ELNS1_3gpuE3ELNS1_3repE0EEENS1_30default_config_static_selectorELNS0_4arch9wavefront6targetE1EEEvS16_, .Lfunc_end1196-_ZN7rocprim17ROCPRIM_400000_NS6detail17trampoline_kernelINS0_14default_configENS1_22reduce_config_selectorIN6thrust23THRUST_200600_302600_NS5tupleIblNS6_9null_typeES8_S8_S8_S8_S8_S8_S8_EEEEZNS1_11reduce_implILb1ES3_NS6_12zip_iteratorINS7_INS6_11hip_rocprim26transform_input_iterator_tIbNSD_35transform_pair_of_input_iterators_tIbNS6_6detail15normal_iteratorINS6_10device_ptrIlEEEENS6_17counting_iteratorIlNS6_11use_defaultESM_SM_EENS6_8equal_toIlEEEENSG_9not_fun_tINSD_8identityEEEEENSD_19counting_iterator_tIlEES8_S8_S8_S8_S8_S8_S8_S8_EEEEPS9_S9_NSD_9__find_if7functorIS9_EEEE10hipError_tPvRmT1_T2_T3_mT4_P12ihipStream_tbEUlT_E0_NS1_11comp_targetILNS1_3genE9ELNS1_11target_archE1100ELNS1_3gpuE3ELNS1_3repE0EEENS1_30default_config_static_selectorELNS0_4arch9wavefront6targetE1EEEvS16_
                                        ; -- End function
	.section	.AMDGPU.csdata,"",@progbits
; Kernel info:
; codeLenInByte = 0
; NumSgprs: 4
; NumVgprs: 0
; NumAgprs: 0
; TotalNumVgprs: 0
; ScratchSize: 0
; MemoryBound: 0
; FloatMode: 240
; IeeeMode: 1
; LDSByteSize: 0 bytes/workgroup (compile time only)
; SGPRBlocks: 0
; VGPRBlocks: 0
; NumSGPRsForWavesPerEU: 4
; NumVGPRsForWavesPerEU: 1
; AccumOffset: 4
; Occupancy: 8
; WaveLimiterHint : 0
; COMPUTE_PGM_RSRC2:SCRATCH_EN: 0
; COMPUTE_PGM_RSRC2:USER_SGPR: 6
; COMPUTE_PGM_RSRC2:TRAP_HANDLER: 0
; COMPUTE_PGM_RSRC2:TGID_X_EN: 1
; COMPUTE_PGM_RSRC2:TGID_Y_EN: 0
; COMPUTE_PGM_RSRC2:TGID_Z_EN: 0
; COMPUTE_PGM_RSRC2:TIDIG_COMP_CNT: 0
; COMPUTE_PGM_RSRC3_GFX90A:ACCUM_OFFSET: 0
; COMPUTE_PGM_RSRC3_GFX90A:TG_SPLIT: 0
	.section	.text._ZN7rocprim17ROCPRIM_400000_NS6detail17trampoline_kernelINS0_14default_configENS1_22reduce_config_selectorIN6thrust23THRUST_200600_302600_NS5tupleIblNS6_9null_typeES8_S8_S8_S8_S8_S8_S8_EEEEZNS1_11reduce_implILb1ES3_NS6_12zip_iteratorINS7_INS6_11hip_rocprim26transform_input_iterator_tIbNSD_35transform_pair_of_input_iterators_tIbNS6_6detail15normal_iteratorINS6_10device_ptrIlEEEENS6_17counting_iteratorIlNS6_11use_defaultESM_SM_EENS6_8equal_toIlEEEENSG_9not_fun_tINSD_8identityEEEEENSD_19counting_iterator_tIlEES8_S8_S8_S8_S8_S8_S8_S8_EEEEPS9_S9_NSD_9__find_if7functorIS9_EEEE10hipError_tPvRmT1_T2_T3_mT4_P12ihipStream_tbEUlT_E0_NS1_11comp_targetILNS1_3genE8ELNS1_11target_archE1030ELNS1_3gpuE2ELNS1_3repE0EEENS1_30default_config_static_selectorELNS0_4arch9wavefront6targetE1EEEvS16_,"axG",@progbits,_ZN7rocprim17ROCPRIM_400000_NS6detail17trampoline_kernelINS0_14default_configENS1_22reduce_config_selectorIN6thrust23THRUST_200600_302600_NS5tupleIblNS6_9null_typeES8_S8_S8_S8_S8_S8_S8_EEEEZNS1_11reduce_implILb1ES3_NS6_12zip_iteratorINS7_INS6_11hip_rocprim26transform_input_iterator_tIbNSD_35transform_pair_of_input_iterators_tIbNS6_6detail15normal_iteratorINS6_10device_ptrIlEEEENS6_17counting_iteratorIlNS6_11use_defaultESM_SM_EENS6_8equal_toIlEEEENSG_9not_fun_tINSD_8identityEEEEENSD_19counting_iterator_tIlEES8_S8_S8_S8_S8_S8_S8_S8_EEEEPS9_S9_NSD_9__find_if7functorIS9_EEEE10hipError_tPvRmT1_T2_T3_mT4_P12ihipStream_tbEUlT_E0_NS1_11comp_targetILNS1_3genE8ELNS1_11target_archE1030ELNS1_3gpuE2ELNS1_3repE0EEENS1_30default_config_static_selectorELNS0_4arch9wavefront6targetE1EEEvS16_,comdat
	.protected	_ZN7rocprim17ROCPRIM_400000_NS6detail17trampoline_kernelINS0_14default_configENS1_22reduce_config_selectorIN6thrust23THRUST_200600_302600_NS5tupleIblNS6_9null_typeES8_S8_S8_S8_S8_S8_S8_EEEEZNS1_11reduce_implILb1ES3_NS6_12zip_iteratorINS7_INS6_11hip_rocprim26transform_input_iterator_tIbNSD_35transform_pair_of_input_iterators_tIbNS6_6detail15normal_iteratorINS6_10device_ptrIlEEEENS6_17counting_iteratorIlNS6_11use_defaultESM_SM_EENS6_8equal_toIlEEEENSG_9not_fun_tINSD_8identityEEEEENSD_19counting_iterator_tIlEES8_S8_S8_S8_S8_S8_S8_S8_EEEEPS9_S9_NSD_9__find_if7functorIS9_EEEE10hipError_tPvRmT1_T2_T3_mT4_P12ihipStream_tbEUlT_E0_NS1_11comp_targetILNS1_3genE8ELNS1_11target_archE1030ELNS1_3gpuE2ELNS1_3repE0EEENS1_30default_config_static_selectorELNS0_4arch9wavefront6targetE1EEEvS16_ ; -- Begin function _ZN7rocprim17ROCPRIM_400000_NS6detail17trampoline_kernelINS0_14default_configENS1_22reduce_config_selectorIN6thrust23THRUST_200600_302600_NS5tupleIblNS6_9null_typeES8_S8_S8_S8_S8_S8_S8_EEEEZNS1_11reduce_implILb1ES3_NS6_12zip_iteratorINS7_INS6_11hip_rocprim26transform_input_iterator_tIbNSD_35transform_pair_of_input_iterators_tIbNS6_6detail15normal_iteratorINS6_10device_ptrIlEEEENS6_17counting_iteratorIlNS6_11use_defaultESM_SM_EENS6_8equal_toIlEEEENSG_9not_fun_tINSD_8identityEEEEENSD_19counting_iterator_tIlEES8_S8_S8_S8_S8_S8_S8_S8_EEEEPS9_S9_NSD_9__find_if7functorIS9_EEEE10hipError_tPvRmT1_T2_T3_mT4_P12ihipStream_tbEUlT_E0_NS1_11comp_targetILNS1_3genE8ELNS1_11target_archE1030ELNS1_3gpuE2ELNS1_3repE0EEENS1_30default_config_static_selectorELNS0_4arch9wavefront6targetE1EEEvS16_
	.globl	_ZN7rocprim17ROCPRIM_400000_NS6detail17trampoline_kernelINS0_14default_configENS1_22reduce_config_selectorIN6thrust23THRUST_200600_302600_NS5tupleIblNS6_9null_typeES8_S8_S8_S8_S8_S8_S8_EEEEZNS1_11reduce_implILb1ES3_NS6_12zip_iteratorINS7_INS6_11hip_rocprim26transform_input_iterator_tIbNSD_35transform_pair_of_input_iterators_tIbNS6_6detail15normal_iteratorINS6_10device_ptrIlEEEENS6_17counting_iteratorIlNS6_11use_defaultESM_SM_EENS6_8equal_toIlEEEENSG_9not_fun_tINSD_8identityEEEEENSD_19counting_iterator_tIlEES8_S8_S8_S8_S8_S8_S8_S8_EEEEPS9_S9_NSD_9__find_if7functorIS9_EEEE10hipError_tPvRmT1_T2_T3_mT4_P12ihipStream_tbEUlT_E0_NS1_11comp_targetILNS1_3genE8ELNS1_11target_archE1030ELNS1_3gpuE2ELNS1_3repE0EEENS1_30default_config_static_selectorELNS0_4arch9wavefront6targetE1EEEvS16_
	.p2align	8
	.type	_ZN7rocprim17ROCPRIM_400000_NS6detail17trampoline_kernelINS0_14default_configENS1_22reduce_config_selectorIN6thrust23THRUST_200600_302600_NS5tupleIblNS6_9null_typeES8_S8_S8_S8_S8_S8_S8_EEEEZNS1_11reduce_implILb1ES3_NS6_12zip_iteratorINS7_INS6_11hip_rocprim26transform_input_iterator_tIbNSD_35transform_pair_of_input_iterators_tIbNS6_6detail15normal_iteratorINS6_10device_ptrIlEEEENS6_17counting_iteratorIlNS6_11use_defaultESM_SM_EENS6_8equal_toIlEEEENSG_9not_fun_tINSD_8identityEEEEENSD_19counting_iterator_tIlEES8_S8_S8_S8_S8_S8_S8_S8_EEEEPS9_S9_NSD_9__find_if7functorIS9_EEEE10hipError_tPvRmT1_T2_T3_mT4_P12ihipStream_tbEUlT_E0_NS1_11comp_targetILNS1_3genE8ELNS1_11target_archE1030ELNS1_3gpuE2ELNS1_3repE0EEENS1_30default_config_static_selectorELNS0_4arch9wavefront6targetE1EEEvS16_,@function
_ZN7rocprim17ROCPRIM_400000_NS6detail17trampoline_kernelINS0_14default_configENS1_22reduce_config_selectorIN6thrust23THRUST_200600_302600_NS5tupleIblNS6_9null_typeES8_S8_S8_S8_S8_S8_S8_EEEEZNS1_11reduce_implILb1ES3_NS6_12zip_iteratorINS7_INS6_11hip_rocprim26transform_input_iterator_tIbNSD_35transform_pair_of_input_iterators_tIbNS6_6detail15normal_iteratorINS6_10device_ptrIlEEEENS6_17counting_iteratorIlNS6_11use_defaultESM_SM_EENS6_8equal_toIlEEEENSG_9not_fun_tINSD_8identityEEEEENSD_19counting_iterator_tIlEES8_S8_S8_S8_S8_S8_S8_S8_EEEEPS9_S9_NSD_9__find_if7functorIS9_EEEE10hipError_tPvRmT1_T2_T3_mT4_P12ihipStream_tbEUlT_E0_NS1_11comp_targetILNS1_3genE8ELNS1_11target_archE1030ELNS1_3gpuE2ELNS1_3repE0EEENS1_30default_config_static_selectorELNS0_4arch9wavefront6targetE1EEEvS16_: ; @_ZN7rocprim17ROCPRIM_400000_NS6detail17trampoline_kernelINS0_14default_configENS1_22reduce_config_selectorIN6thrust23THRUST_200600_302600_NS5tupleIblNS6_9null_typeES8_S8_S8_S8_S8_S8_S8_EEEEZNS1_11reduce_implILb1ES3_NS6_12zip_iteratorINS7_INS6_11hip_rocprim26transform_input_iterator_tIbNSD_35transform_pair_of_input_iterators_tIbNS6_6detail15normal_iteratorINS6_10device_ptrIlEEEENS6_17counting_iteratorIlNS6_11use_defaultESM_SM_EENS6_8equal_toIlEEEENSG_9not_fun_tINSD_8identityEEEEENSD_19counting_iterator_tIlEES8_S8_S8_S8_S8_S8_S8_S8_EEEEPS9_S9_NSD_9__find_if7functorIS9_EEEE10hipError_tPvRmT1_T2_T3_mT4_P12ihipStream_tbEUlT_E0_NS1_11comp_targetILNS1_3genE8ELNS1_11target_archE1030ELNS1_3gpuE2ELNS1_3repE0EEENS1_30default_config_static_selectorELNS0_4arch9wavefront6targetE1EEEvS16_
; %bb.0:
	.section	.rodata,"a",@progbits
	.p2align	6, 0x0
	.amdhsa_kernel _ZN7rocprim17ROCPRIM_400000_NS6detail17trampoline_kernelINS0_14default_configENS1_22reduce_config_selectorIN6thrust23THRUST_200600_302600_NS5tupleIblNS6_9null_typeES8_S8_S8_S8_S8_S8_S8_EEEEZNS1_11reduce_implILb1ES3_NS6_12zip_iteratorINS7_INS6_11hip_rocprim26transform_input_iterator_tIbNSD_35transform_pair_of_input_iterators_tIbNS6_6detail15normal_iteratorINS6_10device_ptrIlEEEENS6_17counting_iteratorIlNS6_11use_defaultESM_SM_EENS6_8equal_toIlEEEENSG_9not_fun_tINSD_8identityEEEEENSD_19counting_iterator_tIlEES8_S8_S8_S8_S8_S8_S8_S8_EEEEPS9_S9_NSD_9__find_if7functorIS9_EEEE10hipError_tPvRmT1_T2_T3_mT4_P12ihipStream_tbEUlT_E0_NS1_11comp_targetILNS1_3genE8ELNS1_11target_archE1030ELNS1_3gpuE2ELNS1_3repE0EEENS1_30default_config_static_selectorELNS0_4arch9wavefront6targetE1EEEvS16_
		.amdhsa_group_segment_fixed_size 0
		.amdhsa_private_segment_fixed_size 0
		.amdhsa_kernarg_size 104
		.amdhsa_user_sgpr_count 6
		.amdhsa_user_sgpr_private_segment_buffer 1
		.amdhsa_user_sgpr_dispatch_ptr 0
		.amdhsa_user_sgpr_queue_ptr 0
		.amdhsa_user_sgpr_kernarg_segment_ptr 1
		.amdhsa_user_sgpr_dispatch_id 0
		.amdhsa_user_sgpr_flat_scratch_init 0
		.amdhsa_user_sgpr_kernarg_preload_length 0
		.amdhsa_user_sgpr_kernarg_preload_offset 0
		.amdhsa_user_sgpr_private_segment_size 0
		.amdhsa_uses_dynamic_stack 0
		.amdhsa_system_sgpr_private_segment_wavefront_offset 0
		.amdhsa_system_sgpr_workgroup_id_x 1
		.amdhsa_system_sgpr_workgroup_id_y 0
		.amdhsa_system_sgpr_workgroup_id_z 0
		.amdhsa_system_sgpr_workgroup_info 0
		.amdhsa_system_vgpr_workitem_id 0
		.amdhsa_next_free_vgpr 1
		.amdhsa_next_free_sgpr 0
		.amdhsa_accum_offset 4
		.amdhsa_reserve_vcc 0
		.amdhsa_reserve_flat_scratch 0
		.amdhsa_float_round_mode_32 0
		.amdhsa_float_round_mode_16_64 0
		.amdhsa_float_denorm_mode_32 3
		.amdhsa_float_denorm_mode_16_64 3
		.amdhsa_dx10_clamp 1
		.amdhsa_ieee_mode 1
		.amdhsa_fp16_overflow 0
		.amdhsa_tg_split 0
		.amdhsa_exception_fp_ieee_invalid_op 0
		.amdhsa_exception_fp_denorm_src 0
		.amdhsa_exception_fp_ieee_div_zero 0
		.amdhsa_exception_fp_ieee_overflow 0
		.amdhsa_exception_fp_ieee_underflow 0
		.amdhsa_exception_fp_ieee_inexact 0
		.amdhsa_exception_int_div_zero 0
	.end_amdhsa_kernel
	.section	.text._ZN7rocprim17ROCPRIM_400000_NS6detail17trampoline_kernelINS0_14default_configENS1_22reduce_config_selectorIN6thrust23THRUST_200600_302600_NS5tupleIblNS6_9null_typeES8_S8_S8_S8_S8_S8_S8_EEEEZNS1_11reduce_implILb1ES3_NS6_12zip_iteratorINS7_INS6_11hip_rocprim26transform_input_iterator_tIbNSD_35transform_pair_of_input_iterators_tIbNS6_6detail15normal_iteratorINS6_10device_ptrIlEEEENS6_17counting_iteratorIlNS6_11use_defaultESM_SM_EENS6_8equal_toIlEEEENSG_9not_fun_tINSD_8identityEEEEENSD_19counting_iterator_tIlEES8_S8_S8_S8_S8_S8_S8_S8_EEEEPS9_S9_NSD_9__find_if7functorIS9_EEEE10hipError_tPvRmT1_T2_T3_mT4_P12ihipStream_tbEUlT_E0_NS1_11comp_targetILNS1_3genE8ELNS1_11target_archE1030ELNS1_3gpuE2ELNS1_3repE0EEENS1_30default_config_static_selectorELNS0_4arch9wavefront6targetE1EEEvS16_,"axG",@progbits,_ZN7rocprim17ROCPRIM_400000_NS6detail17trampoline_kernelINS0_14default_configENS1_22reduce_config_selectorIN6thrust23THRUST_200600_302600_NS5tupleIblNS6_9null_typeES8_S8_S8_S8_S8_S8_S8_EEEEZNS1_11reduce_implILb1ES3_NS6_12zip_iteratorINS7_INS6_11hip_rocprim26transform_input_iterator_tIbNSD_35transform_pair_of_input_iterators_tIbNS6_6detail15normal_iteratorINS6_10device_ptrIlEEEENS6_17counting_iteratorIlNS6_11use_defaultESM_SM_EENS6_8equal_toIlEEEENSG_9not_fun_tINSD_8identityEEEEENSD_19counting_iterator_tIlEES8_S8_S8_S8_S8_S8_S8_S8_EEEEPS9_S9_NSD_9__find_if7functorIS9_EEEE10hipError_tPvRmT1_T2_T3_mT4_P12ihipStream_tbEUlT_E0_NS1_11comp_targetILNS1_3genE8ELNS1_11target_archE1030ELNS1_3gpuE2ELNS1_3repE0EEENS1_30default_config_static_selectorELNS0_4arch9wavefront6targetE1EEEvS16_,comdat
.Lfunc_end1197:
	.size	_ZN7rocprim17ROCPRIM_400000_NS6detail17trampoline_kernelINS0_14default_configENS1_22reduce_config_selectorIN6thrust23THRUST_200600_302600_NS5tupleIblNS6_9null_typeES8_S8_S8_S8_S8_S8_S8_EEEEZNS1_11reduce_implILb1ES3_NS6_12zip_iteratorINS7_INS6_11hip_rocprim26transform_input_iterator_tIbNSD_35transform_pair_of_input_iterators_tIbNS6_6detail15normal_iteratorINS6_10device_ptrIlEEEENS6_17counting_iteratorIlNS6_11use_defaultESM_SM_EENS6_8equal_toIlEEEENSG_9not_fun_tINSD_8identityEEEEENSD_19counting_iterator_tIlEES8_S8_S8_S8_S8_S8_S8_S8_EEEEPS9_S9_NSD_9__find_if7functorIS9_EEEE10hipError_tPvRmT1_T2_T3_mT4_P12ihipStream_tbEUlT_E0_NS1_11comp_targetILNS1_3genE8ELNS1_11target_archE1030ELNS1_3gpuE2ELNS1_3repE0EEENS1_30default_config_static_selectorELNS0_4arch9wavefront6targetE1EEEvS16_, .Lfunc_end1197-_ZN7rocprim17ROCPRIM_400000_NS6detail17trampoline_kernelINS0_14default_configENS1_22reduce_config_selectorIN6thrust23THRUST_200600_302600_NS5tupleIblNS6_9null_typeES8_S8_S8_S8_S8_S8_S8_EEEEZNS1_11reduce_implILb1ES3_NS6_12zip_iteratorINS7_INS6_11hip_rocprim26transform_input_iterator_tIbNSD_35transform_pair_of_input_iterators_tIbNS6_6detail15normal_iteratorINS6_10device_ptrIlEEEENS6_17counting_iteratorIlNS6_11use_defaultESM_SM_EENS6_8equal_toIlEEEENSG_9not_fun_tINSD_8identityEEEEENSD_19counting_iterator_tIlEES8_S8_S8_S8_S8_S8_S8_S8_EEEEPS9_S9_NSD_9__find_if7functorIS9_EEEE10hipError_tPvRmT1_T2_T3_mT4_P12ihipStream_tbEUlT_E0_NS1_11comp_targetILNS1_3genE8ELNS1_11target_archE1030ELNS1_3gpuE2ELNS1_3repE0EEENS1_30default_config_static_selectorELNS0_4arch9wavefront6targetE1EEEvS16_
                                        ; -- End function
	.section	.AMDGPU.csdata,"",@progbits
; Kernel info:
; codeLenInByte = 0
; NumSgprs: 4
; NumVgprs: 0
; NumAgprs: 0
; TotalNumVgprs: 0
; ScratchSize: 0
; MemoryBound: 0
; FloatMode: 240
; IeeeMode: 1
; LDSByteSize: 0 bytes/workgroup (compile time only)
; SGPRBlocks: 0
; VGPRBlocks: 0
; NumSGPRsForWavesPerEU: 4
; NumVGPRsForWavesPerEU: 1
; AccumOffset: 4
; Occupancy: 8
; WaveLimiterHint : 0
; COMPUTE_PGM_RSRC2:SCRATCH_EN: 0
; COMPUTE_PGM_RSRC2:USER_SGPR: 6
; COMPUTE_PGM_RSRC2:TRAP_HANDLER: 0
; COMPUTE_PGM_RSRC2:TGID_X_EN: 1
; COMPUTE_PGM_RSRC2:TGID_Y_EN: 0
; COMPUTE_PGM_RSRC2:TGID_Z_EN: 0
; COMPUTE_PGM_RSRC2:TIDIG_COMP_CNT: 0
; COMPUTE_PGM_RSRC3_GFX90A:ACCUM_OFFSET: 0
; COMPUTE_PGM_RSRC3_GFX90A:TG_SPLIT: 0
	.section	.text._ZN7rocprim17ROCPRIM_400000_NS6detail17trampoline_kernelINS0_14default_configENS1_22reduce_config_selectorIN6thrust23THRUST_200600_302600_NS5tupleIblNS6_9null_typeES8_S8_S8_S8_S8_S8_S8_EEEEZNS1_11reduce_implILb1ES3_NS6_12zip_iteratorINS7_INS6_11hip_rocprim26transform_input_iterator_tIbNSD_35transform_pair_of_input_iterators_tIbNS6_6detail15normal_iteratorINS6_10device_ptrIlEEEENS6_17counting_iteratorIlNS6_11use_defaultESM_SM_EENS6_8equal_toIlEEEENSG_9not_fun_tINSD_8identityEEEEENSD_19counting_iterator_tIlEES8_S8_S8_S8_S8_S8_S8_S8_EEEEPS9_S9_NSD_9__find_if7functorIS9_EEEE10hipError_tPvRmT1_T2_T3_mT4_P12ihipStream_tbEUlT_E1_NS1_11comp_targetILNS1_3genE0ELNS1_11target_archE4294967295ELNS1_3gpuE0ELNS1_3repE0EEENS1_30default_config_static_selectorELNS0_4arch9wavefront6targetE1EEEvS16_,"axG",@progbits,_ZN7rocprim17ROCPRIM_400000_NS6detail17trampoline_kernelINS0_14default_configENS1_22reduce_config_selectorIN6thrust23THRUST_200600_302600_NS5tupleIblNS6_9null_typeES8_S8_S8_S8_S8_S8_S8_EEEEZNS1_11reduce_implILb1ES3_NS6_12zip_iteratorINS7_INS6_11hip_rocprim26transform_input_iterator_tIbNSD_35transform_pair_of_input_iterators_tIbNS6_6detail15normal_iteratorINS6_10device_ptrIlEEEENS6_17counting_iteratorIlNS6_11use_defaultESM_SM_EENS6_8equal_toIlEEEENSG_9not_fun_tINSD_8identityEEEEENSD_19counting_iterator_tIlEES8_S8_S8_S8_S8_S8_S8_S8_EEEEPS9_S9_NSD_9__find_if7functorIS9_EEEE10hipError_tPvRmT1_T2_T3_mT4_P12ihipStream_tbEUlT_E1_NS1_11comp_targetILNS1_3genE0ELNS1_11target_archE4294967295ELNS1_3gpuE0ELNS1_3repE0EEENS1_30default_config_static_selectorELNS0_4arch9wavefront6targetE1EEEvS16_,comdat
	.protected	_ZN7rocprim17ROCPRIM_400000_NS6detail17trampoline_kernelINS0_14default_configENS1_22reduce_config_selectorIN6thrust23THRUST_200600_302600_NS5tupleIblNS6_9null_typeES8_S8_S8_S8_S8_S8_S8_EEEEZNS1_11reduce_implILb1ES3_NS6_12zip_iteratorINS7_INS6_11hip_rocprim26transform_input_iterator_tIbNSD_35transform_pair_of_input_iterators_tIbNS6_6detail15normal_iteratorINS6_10device_ptrIlEEEENS6_17counting_iteratorIlNS6_11use_defaultESM_SM_EENS6_8equal_toIlEEEENSG_9not_fun_tINSD_8identityEEEEENSD_19counting_iterator_tIlEES8_S8_S8_S8_S8_S8_S8_S8_EEEEPS9_S9_NSD_9__find_if7functorIS9_EEEE10hipError_tPvRmT1_T2_T3_mT4_P12ihipStream_tbEUlT_E1_NS1_11comp_targetILNS1_3genE0ELNS1_11target_archE4294967295ELNS1_3gpuE0ELNS1_3repE0EEENS1_30default_config_static_selectorELNS0_4arch9wavefront6targetE1EEEvS16_ ; -- Begin function _ZN7rocprim17ROCPRIM_400000_NS6detail17trampoline_kernelINS0_14default_configENS1_22reduce_config_selectorIN6thrust23THRUST_200600_302600_NS5tupleIblNS6_9null_typeES8_S8_S8_S8_S8_S8_S8_EEEEZNS1_11reduce_implILb1ES3_NS6_12zip_iteratorINS7_INS6_11hip_rocprim26transform_input_iterator_tIbNSD_35transform_pair_of_input_iterators_tIbNS6_6detail15normal_iteratorINS6_10device_ptrIlEEEENS6_17counting_iteratorIlNS6_11use_defaultESM_SM_EENS6_8equal_toIlEEEENSG_9not_fun_tINSD_8identityEEEEENSD_19counting_iterator_tIlEES8_S8_S8_S8_S8_S8_S8_S8_EEEEPS9_S9_NSD_9__find_if7functorIS9_EEEE10hipError_tPvRmT1_T2_T3_mT4_P12ihipStream_tbEUlT_E1_NS1_11comp_targetILNS1_3genE0ELNS1_11target_archE4294967295ELNS1_3gpuE0ELNS1_3repE0EEENS1_30default_config_static_selectorELNS0_4arch9wavefront6targetE1EEEvS16_
	.globl	_ZN7rocprim17ROCPRIM_400000_NS6detail17trampoline_kernelINS0_14default_configENS1_22reduce_config_selectorIN6thrust23THRUST_200600_302600_NS5tupleIblNS6_9null_typeES8_S8_S8_S8_S8_S8_S8_EEEEZNS1_11reduce_implILb1ES3_NS6_12zip_iteratorINS7_INS6_11hip_rocprim26transform_input_iterator_tIbNSD_35transform_pair_of_input_iterators_tIbNS6_6detail15normal_iteratorINS6_10device_ptrIlEEEENS6_17counting_iteratorIlNS6_11use_defaultESM_SM_EENS6_8equal_toIlEEEENSG_9not_fun_tINSD_8identityEEEEENSD_19counting_iterator_tIlEES8_S8_S8_S8_S8_S8_S8_S8_EEEEPS9_S9_NSD_9__find_if7functorIS9_EEEE10hipError_tPvRmT1_T2_T3_mT4_P12ihipStream_tbEUlT_E1_NS1_11comp_targetILNS1_3genE0ELNS1_11target_archE4294967295ELNS1_3gpuE0ELNS1_3repE0EEENS1_30default_config_static_selectorELNS0_4arch9wavefront6targetE1EEEvS16_
	.p2align	8
	.type	_ZN7rocprim17ROCPRIM_400000_NS6detail17trampoline_kernelINS0_14default_configENS1_22reduce_config_selectorIN6thrust23THRUST_200600_302600_NS5tupleIblNS6_9null_typeES8_S8_S8_S8_S8_S8_S8_EEEEZNS1_11reduce_implILb1ES3_NS6_12zip_iteratorINS7_INS6_11hip_rocprim26transform_input_iterator_tIbNSD_35transform_pair_of_input_iterators_tIbNS6_6detail15normal_iteratorINS6_10device_ptrIlEEEENS6_17counting_iteratorIlNS6_11use_defaultESM_SM_EENS6_8equal_toIlEEEENSG_9not_fun_tINSD_8identityEEEEENSD_19counting_iterator_tIlEES8_S8_S8_S8_S8_S8_S8_S8_EEEEPS9_S9_NSD_9__find_if7functorIS9_EEEE10hipError_tPvRmT1_T2_T3_mT4_P12ihipStream_tbEUlT_E1_NS1_11comp_targetILNS1_3genE0ELNS1_11target_archE4294967295ELNS1_3gpuE0ELNS1_3repE0EEENS1_30default_config_static_selectorELNS0_4arch9wavefront6targetE1EEEvS16_,@function
_ZN7rocprim17ROCPRIM_400000_NS6detail17trampoline_kernelINS0_14default_configENS1_22reduce_config_selectorIN6thrust23THRUST_200600_302600_NS5tupleIblNS6_9null_typeES8_S8_S8_S8_S8_S8_S8_EEEEZNS1_11reduce_implILb1ES3_NS6_12zip_iteratorINS7_INS6_11hip_rocprim26transform_input_iterator_tIbNSD_35transform_pair_of_input_iterators_tIbNS6_6detail15normal_iteratorINS6_10device_ptrIlEEEENS6_17counting_iteratorIlNS6_11use_defaultESM_SM_EENS6_8equal_toIlEEEENSG_9not_fun_tINSD_8identityEEEEENSD_19counting_iterator_tIlEES8_S8_S8_S8_S8_S8_S8_S8_EEEEPS9_S9_NSD_9__find_if7functorIS9_EEEE10hipError_tPvRmT1_T2_T3_mT4_P12ihipStream_tbEUlT_E1_NS1_11comp_targetILNS1_3genE0ELNS1_11target_archE4294967295ELNS1_3gpuE0ELNS1_3repE0EEENS1_30default_config_static_selectorELNS0_4arch9wavefront6targetE1EEEvS16_: ; @_ZN7rocprim17ROCPRIM_400000_NS6detail17trampoline_kernelINS0_14default_configENS1_22reduce_config_selectorIN6thrust23THRUST_200600_302600_NS5tupleIblNS6_9null_typeES8_S8_S8_S8_S8_S8_S8_EEEEZNS1_11reduce_implILb1ES3_NS6_12zip_iteratorINS7_INS6_11hip_rocprim26transform_input_iterator_tIbNSD_35transform_pair_of_input_iterators_tIbNS6_6detail15normal_iteratorINS6_10device_ptrIlEEEENS6_17counting_iteratorIlNS6_11use_defaultESM_SM_EENS6_8equal_toIlEEEENSG_9not_fun_tINSD_8identityEEEEENSD_19counting_iterator_tIlEES8_S8_S8_S8_S8_S8_S8_S8_EEEEPS9_S9_NSD_9__find_if7functorIS9_EEEE10hipError_tPvRmT1_T2_T3_mT4_P12ihipStream_tbEUlT_E1_NS1_11comp_targetILNS1_3genE0ELNS1_11target_archE4294967295ELNS1_3gpuE0ELNS1_3repE0EEENS1_30default_config_static_selectorELNS0_4arch9wavefront6targetE1EEEvS16_
; %bb.0:
	.section	.rodata,"a",@progbits
	.p2align	6, 0x0
	.amdhsa_kernel _ZN7rocprim17ROCPRIM_400000_NS6detail17trampoline_kernelINS0_14default_configENS1_22reduce_config_selectorIN6thrust23THRUST_200600_302600_NS5tupleIblNS6_9null_typeES8_S8_S8_S8_S8_S8_S8_EEEEZNS1_11reduce_implILb1ES3_NS6_12zip_iteratorINS7_INS6_11hip_rocprim26transform_input_iterator_tIbNSD_35transform_pair_of_input_iterators_tIbNS6_6detail15normal_iteratorINS6_10device_ptrIlEEEENS6_17counting_iteratorIlNS6_11use_defaultESM_SM_EENS6_8equal_toIlEEEENSG_9not_fun_tINSD_8identityEEEEENSD_19counting_iterator_tIlEES8_S8_S8_S8_S8_S8_S8_S8_EEEEPS9_S9_NSD_9__find_if7functorIS9_EEEE10hipError_tPvRmT1_T2_T3_mT4_P12ihipStream_tbEUlT_E1_NS1_11comp_targetILNS1_3genE0ELNS1_11target_archE4294967295ELNS1_3gpuE0ELNS1_3repE0EEENS1_30default_config_static_selectorELNS0_4arch9wavefront6targetE1EEEvS16_
		.amdhsa_group_segment_fixed_size 0
		.amdhsa_private_segment_fixed_size 0
		.amdhsa_kernarg_size 88
		.amdhsa_user_sgpr_count 6
		.amdhsa_user_sgpr_private_segment_buffer 1
		.amdhsa_user_sgpr_dispatch_ptr 0
		.amdhsa_user_sgpr_queue_ptr 0
		.amdhsa_user_sgpr_kernarg_segment_ptr 1
		.amdhsa_user_sgpr_dispatch_id 0
		.amdhsa_user_sgpr_flat_scratch_init 0
		.amdhsa_user_sgpr_kernarg_preload_length 0
		.amdhsa_user_sgpr_kernarg_preload_offset 0
		.amdhsa_user_sgpr_private_segment_size 0
		.amdhsa_uses_dynamic_stack 0
		.amdhsa_system_sgpr_private_segment_wavefront_offset 0
		.amdhsa_system_sgpr_workgroup_id_x 1
		.amdhsa_system_sgpr_workgroup_id_y 0
		.amdhsa_system_sgpr_workgroup_id_z 0
		.amdhsa_system_sgpr_workgroup_info 0
		.amdhsa_system_vgpr_workitem_id 0
		.amdhsa_next_free_vgpr 1
		.amdhsa_next_free_sgpr 0
		.amdhsa_accum_offset 4
		.amdhsa_reserve_vcc 0
		.amdhsa_reserve_flat_scratch 0
		.amdhsa_float_round_mode_32 0
		.amdhsa_float_round_mode_16_64 0
		.amdhsa_float_denorm_mode_32 3
		.amdhsa_float_denorm_mode_16_64 3
		.amdhsa_dx10_clamp 1
		.amdhsa_ieee_mode 1
		.amdhsa_fp16_overflow 0
		.amdhsa_tg_split 0
		.amdhsa_exception_fp_ieee_invalid_op 0
		.amdhsa_exception_fp_denorm_src 0
		.amdhsa_exception_fp_ieee_div_zero 0
		.amdhsa_exception_fp_ieee_overflow 0
		.amdhsa_exception_fp_ieee_underflow 0
		.amdhsa_exception_fp_ieee_inexact 0
		.amdhsa_exception_int_div_zero 0
	.end_amdhsa_kernel
	.section	.text._ZN7rocprim17ROCPRIM_400000_NS6detail17trampoline_kernelINS0_14default_configENS1_22reduce_config_selectorIN6thrust23THRUST_200600_302600_NS5tupleIblNS6_9null_typeES8_S8_S8_S8_S8_S8_S8_EEEEZNS1_11reduce_implILb1ES3_NS6_12zip_iteratorINS7_INS6_11hip_rocprim26transform_input_iterator_tIbNSD_35transform_pair_of_input_iterators_tIbNS6_6detail15normal_iteratorINS6_10device_ptrIlEEEENS6_17counting_iteratorIlNS6_11use_defaultESM_SM_EENS6_8equal_toIlEEEENSG_9not_fun_tINSD_8identityEEEEENSD_19counting_iterator_tIlEES8_S8_S8_S8_S8_S8_S8_S8_EEEEPS9_S9_NSD_9__find_if7functorIS9_EEEE10hipError_tPvRmT1_T2_T3_mT4_P12ihipStream_tbEUlT_E1_NS1_11comp_targetILNS1_3genE0ELNS1_11target_archE4294967295ELNS1_3gpuE0ELNS1_3repE0EEENS1_30default_config_static_selectorELNS0_4arch9wavefront6targetE1EEEvS16_,"axG",@progbits,_ZN7rocprim17ROCPRIM_400000_NS6detail17trampoline_kernelINS0_14default_configENS1_22reduce_config_selectorIN6thrust23THRUST_200600_302600_NS5tupleIblNS6_9null_typeES8_S8_S8_S8_S8_S8_S8_EEEEZNS1_11reduce_implILb1ES3_NS6_12zip_iteratorINS7_INS6_11hip_rocprim26transform_input_iterator_tIbNSD_35transform_pair_of_input_iterators_tIbNS6_6detail15normal_iteratorINS6_10device_ptrIlEEEENS6_17counting_iteratorIlNS6_11use_defaultESM_SM_EENS6_8equal_toIlEEEENSG_9not_fun_tINSD_8identityEEEEENSD_19counting_iterator_tIlEES8_S8_S8_S8_S8_S8_S8_S8_EEEEPS9_S9_NSD_9__find_if7functorIS9_EEEE10hipError_tPvRmT1_T2_T3_mT4_P12ihipStream_tbEUlT_E1_NS1_11comp_targetILNS1_3genE0ELNS1_11target_archE4294967295ELNS1_3gpuE0ELNS1_3repE0EEENS1_30default_config_static_selectorELNS0_4arch9wavefront6targetE1EEEvS16_,comdat
.Lfunc_end1198:
	.size	_ZN7rocprim17ROCPRIM_400000_NS6detail17trampoline_kernelINS0_14default_configENS1_22reduce_config_selectorIN6thrust23THRUST_200600_302600_NS5tupleIblNS6_9null_typeES8_S8_S8_S8_S8_S8_S8_EEEEZNS1_11reduce_implILb1ES3_NS6_12zip_iteratorINS7_INS6_11hip_rocprim26transform_input_iterator_tIbNSD_35transform_pair_of_input_iterators_tIbNS6_6detail15normal_iteratorINS6_10device_ptrIlEEEENS6_17counting_iteratorIlNS6_11use_defaultESM_SM_EENS6_8equal_toIlEEEENSG_9not_fun_tINSD_8identityEEEEENSD_19counting_iterator_tIlEES8_S8_S8_S8_S8_S8_S8_S8_EEEEPS9_S9_NSD_9__find_if7functorIS9_EEEE10hipError_tPvRmT1_T2_T3_mT4_P12ihipStream_tbEUlT_E1_NS1_11comp_targetILNS1_3genE0ELNS1_11target_archE4294967295ELNS1_3gpuE0ELNS1_3repE0EEENS1_30default_config_static_selectorELNS0_4arch9wavefront6targetE1EEEvS16_, .Lfunc_end1198-_ZN7rocprim17ROCPRIM_400000_NS6detail17trampoline_kernelINS0_14default_configENS1_22reduce_config_selectorIN6thrust23THRUST_200600_302600_NS5tupleIblNS6_9null_typeES8_S8_S8_S8_S8_S8_S8_EEEEZNS1_11reduce_implILb1ES3_NS6_12zip_iteratorINS7_INS6_11hip_rocprim26transform_input_iterator_tIbNSD_35transform_pair_of_input_iterators_tIbNS6_6detail15normal_iteratorINS6_10device_ptrIlEEEENS6_17counting_iteratorIlNS6_11use_defaultESM_SM_EENS6_8equal_toIlEEEENSG_9not_fun_tINSD_8identityEEEEENSD_19counting_iterator_tIlEES8_S8_S8_S8_S8_S8_S8_S8_EEEEPS9_S9_NSD_9__find_if7functorIS9_EEEE10hipError_tPvRmT1_T2_T3_mT4_P12ihipStream_tbEUlT_E1_NS1_11comp_targetILNS1_3genE0ELNS1_11target_archE4294967295ELNS1_3gpuE0ELNS1_3repE0EEENS1_30default_config_static_selectorELNS0_4arch9wavefront6targetE1EEEvS16_
                                        ; -- End function
	.section	.AMDGPU.csdata,"",@progbits
; Kernel info:
; codeLenInByte = 0
; NumSgprs: 4
; NumVgprs: 0
; NumAgprs: 0
; TotalNumVgprs: 0
; ScratchSize: 0
; MemoryBound: 0
; FloatMode: 240
; IeeeMode: 1
; LDSByteSize: 0 bytes/workgroup (compile time only)
; SGPRBlocks: 0
; VGPRBlocks: 0
; NumSGPRsForWavesPerEU: 4
; NumVGPRsForWavesPerEU: 1
; AccumOffset: 4
; Occupancy: 8
; WaveLimiterHint : 0
; COMPUTE_PGM_RSRC2:SCRATCH_EN: 0
; COMPUTE_PGM_RSRC2:USER_SGPR: 6
; COMPUTE_PGM_RSRC2:TRAP_HANDLER: 0
; COMPUTE_PGM_RSRC2:TGID_X_EN: 1
; COMPUTE_PGM_RSRC2:TGID_Y_EN: 0
; COMPUTE_PGM_RSRC2:TGID_Z_EN: 0
; COMPUTE_PGM_RSRC2:TIDIG_COMP_CNT: 0
; COMPUTE_PGM_RSRC3_GFX90A:ACCUM_OFFSET: 0
; COMPUTE_PGM_RSRC3_GFX90A:TG_SPLIT: 0
	.section	.text._ZN7rocprim17ROCPRIM_400000_NS6detail17trampoline_kernelINS0_14default_configENS1_22reduce_config_selectorIN6thrust23THRUST_200600_302600_NS5tupleIblNS6_9null_typeES8_S8_S8_S8_S8_S8_S8_EEEEZNS1_11reduce_implILb1ES3_NS6_12zip_iteratorINS7_INS6_11hip_rocprim26transform_input_iterator_tIbNSD_35transform_pair_of_input_iterators_tIbNS6_6detail15normal_iteratorINS6_10device_ptrIlEEEENS6_17counting_iteratorIlNS6_11use_defaultESM_SM_EENS6_8equal_toIlEEEENSG_9not_fun_tINSD_8identityEEEEENSD_19counting_iterator_tIlEES8_S8_S8_S8_S8_S8_S8_S8_EEEEPS9_S9_NSD_9__find_if7functorIS9_EEEE10hipError_tPvRmT1_T2_T3_mT4_P12ihipStream_tbEUlT_E1_NS1_11comp_targetILNS1_3genE5ELNS1_11target_archE942ELNS1_3gpuE9ELNS1_3repE0EEENS1_30default_config_static_selectorELNS0_4arch9wavefront6targetE1EEEvS16_,"axG",@progbits,_ZN7rocprim17ROCPRIM_400000_NS6detail17trampoline_kernelINS0_14default_configENS1_22reduce_config_selectorIN6thrust23THRUST_200600_302600_NS5tupleIblNS6_9null_typeES8_S8_S8_S8_S8_S8_S8_EEEEZNS1_11reduce_implILb1ES3_NS6_12zip_iteratorINS7_INS6_11hip_rocprim26transform_input_iterator_tIbNSD_35transform_pair_of_input_iterators_tIbNS6_6detail15normal_iteratorINS6_10device_ptrIlEEEENS6_17counting_iteratorIlNS6_11use_defaultESM_SM_EENS6_8equal_toIlEEEENSG_9not_fun_tINSD_8identityEEEEENSD_19counting_iterator_tIlEES8_S8_S8_S8_S8_S8_S8_S8_EEEEPS9_S9_NSD_9__find_if7functorIS9_EEEE10hipError_tPvRmT1_T2_T3_mT4_P12ihipStream_tbEUlT_E1_NS1_11comp_targetILNS1_3genE5ELNS1_11target_archE942ELNS1_3gpuE9ELNS1_3repE0EEENS1_30default_config_static_selectorELNS0_4arch9wavefront6targetE1EEEvS16_,comdat
	.protected	_ZN7rocprim17ROCPRIM_400000_NS6detail17trampoline_kernelINS0_14default_configENS1_22reduce_config_selectorIN6thrust23THRUST_200600_302600_NS5tupleIblNS6_9null_typeES8_S8_S8_S8_S8_S8_S8_EEEEZNS1_11reduce_implILb1ES3_NS6_12zip_iteratorINS7_INS6_11hip_rocprim26transform_input_iterator_tIbNSD_35transform_pair_of_input_iterators_tIbNS6_6detail15normal_iteratorINS6_10device_ptrIlEEEENS6_17counting_iteratorIlNS6_11use_defaultESM_SM_EENS6_8equal_toIlEEEENSG_9not_fun_tINSD_8identityEEEEENSD_19counting_iterator_tIlEES8_S8_S8_S8_S8_S8_S8_S8_EEEEPS9_S9_NSD_9__find_if7functorIS9_EEEE10hipError_tPvRmT1_T2_T3_mT4_P12ihipStream_tbEUlT_E1_NS1_11comp_targetILNS1_3genE5ELNS1_11target_archE942ELNS1_3gpuE9ELNS1_3repE0EEENS1_30default_config_static_selectorELNS0_4arch9wavefront6targetE1EEEvS16_ ; -- Begin function _ZN7rocprim17ROCPRIM_400000_NS6detail17trampoline_kernelINS0_14default_configENS1_22reduce_config_selectorIN6thrust23THRUST_200600_302600_NS5tupleIblNS6_9null_typeES8_S8_S8_S8_S8_S8_S8_EEEEZNS1_11reduce_implILb1ES3_NS6_12zip_iteratorINS7_INS6_11hip_rocprim26transform_input_iterator_tIbNSD_35transform_pair_of_input_iterators_tIbNS6_6detail15normal_iteratorINS6_10device_ptrIlEEEENS6_17counting_iteratorIlNS6_11use_defaultESM_SM_EENS6_8equal_toIlEEEENSG_9not_fun_tINSD_8identityEEEEENSD_19counting_iterator_tIlEES8_S8_S8_S8_S8_S8_S8_S8_EEEEPS9_S9_NSD_9__find_if7functorIS9_EEEE10hipError_tPvRmT1_T2_T3_mT4_P12ihipStream_tbEUlT_E1_NS1_11comp_targetILNS1_3genE5ELNS1_11target_archE942ELNS1_3gpuE9ELNS1_3repE0EEENS1_30default_config_static_selectorELNS0_4arch9wavefront6targetE1EEEvS16_
	.globl	_ZN7rocprim17ROCPRIM_400000_NS6detail17trampoline_kernelINS0_14default_configENS1_22reduce_config_selectorIN6thrust23THRUST_200600_302600_NS5tupleIblNS6_9null_typeES8_S8_S8_S8_S8_S8_S8_EEEEZNS1_11reduce_implILb1ES3_NS6_12zip_iteratorINS7_INS6_11hip_rocprim26transform_input_iterator_tIbNSD_35transform_pair_of_input_iterators_tIbNS6_6detail15normal_iteratorINS6_10device_ptrIlEEEENS6_17counting_iteratorIlNS6_11use_defaultESM_SM_EENS6_8equal_toIlEEEENSG_9not_fun_tINSD_8identityEEEEENSD_19counting_iterator_tIlEES8_S8_S8_S8_S8_S8_S8_S8_EEEEPS9_S9_NSD_9__find_if7functorIS9_EEEE10hipError_tPvRmT1_T2_T3_mT4_P12ihipStream_tbEUlT_E1_NS1_11comp_targetILNS1_3genE5ELNS1_11target_archE942ELNS1_3gpuE9ELNS1_3repE0EEENS1_30default_config_static_selectorELNS0_4arch9wavefront6targetE1EEEvS16_
	.p2align	8
	.type	_ZN7rocprim17ROCPRIM_400000_NS6detail17trampoline_kernelINS0_14default_configENS1_22reduce_config_selectorIN6thrust23THRUST_200600_302600_NS5tupleIblNS6_9null_typeES8_S8_S8_S8_S8_S8_S8_EEEEZNS1_11reduce_implILb1ES3_NS6_12zip_iteratorINS7_INS6_11hip_rocprim26transform_input_iterator_tIbNSD_35transform_pair_of_input_iterators_tIbNS6_6detail15normal_iteratorINS6_10device_ptrIlEEEENS6_17counting_iteratorIlNS6_11use_defaultESM_SM_EENS6_8equal_toIlEEEENSG_9not_fun_tINSD_8identityEEEEENSD_19counting_iterator_tIlEES8_S8_S8_S8_S8_S8_S8_S8_EEEEPS9_S9_NSD_9__find_if7functorIS9_EEEE10hipError_tPvRmT1_T2_T3_mT4_P12ihipStream_tbEUlT_E1_NS1_11comp_targetILNS1_3genE5ELNS1_11target_archE942ELNS1_3gpuE9ELNS1_3repE0EEENS1_30default_config_static_selectorELNS0_4arch9wavefront6targetE1EEEvS16_,@function
_ZN7rocprim17ROCPRIM_400000_NS6detail17trampoline_kernelINS0_14default_configENS1_22reduce_config_selectorIN6thrust23THRUST_200600_302600_NS5tupleIblNS6_9null_typeES8_S8_S8_S8_S8_S8_S8_EEEEZNS1_11reduce_implILb1ES3_NS6_12zip_iteratorINS7_INS6_11hip_rocprim26transform_input_iterator_tIbNSD_35transform_pair_of_input_iterators_tIbNS6_6detail15normal_iteratorINS6_10device_ptrIlEEEENS6_17counting_iteratorIlNS6_11use_defaultESM_SM_EENS6_8equal_toIlEEEENSG_9not_fun_tINSD_8identityEEEEENSD_19counting_iterator_tIlEES8_S8_S8_S8_S8_S8_S8_S8_EEEEPS9_S9_NSD_9__find_if7functorIS9_EEEE10hipError_tPvRmT1_T2_T3_mT4_P12ihipStream_tbEUlT_E1_NS1_11comp_targetILNS1_3genE5ELNS1_11target_archE942ELNS1_3gpuE9ELNS1_3repE0EEENS1_30default_config_static_selectorELNS0_4arch9wavefront6targetE1EEEvS16_: ; @_ZN7rocprim17ROCPRIM_400000_NS6detail17trampoline_kernelINS0_14default_configENS1_22reduce_config_selectorIN6thrust23THRUST_200600_302600_NS5tupleIblNS6_9null_typeES8_S8_S8_S8_S8_S8_S8_EEEEZNS1_11reduce_implILb1ES3_NS6_12zip_iteratorINS7_INS6_11hip_rocprim26transform_input_iterator_tIbNSD_35transform_pair_of_input_iterators_tIbNS6_6detail15normal_iteratorINS6_10device_ptrIlEEEENS6_17counting_iteratorIlNS6_11use_defaultESM_SM_EENS6_8equal_toIlEEEENSG_9not_fun_tINSD_8identityEEEEENSD_19counting_iterator_tIlEES8_S8_S8_S8_S8_S8_S8_S8_EEEEPS9_S9_NSD_9__find_if7functorIS9_EEEE10hipError_tPvRmT1_T2_T3_mT4_P12ihipStream_tbEUlT_E1_NS1_11comp_targetILNS1_3genE5ELNS1_11target_archE942ELNS1_3gpuE9ELNS1_3repE0EEENS1_30default_config_static_selectorELNS0_4arch9wavefront6targetE1EEEvS16_
; %bb.0:
	.section	.rodata,"a",@progbits
	.p2align	6, 0x0
	.amdhsa_kernel _ZN7rocprim17ROCPRIM_400000_NS6detail17trampoline_kernelINS0_14default_configENS1_22reduce_config_selectorIN6thrust23THRUST_200600_302600_NS5tupleIblNS6_9null_typeES8_S8_S8_S8_S8_S8_S8_EEEEZNS1_11reduce_implILb1ES3_NS6_12zip_iteratorINS7_INS6_11hip_rocprim26transform_input_iterator_tIbNSD_35transform_pair_of_input_iterators_tIbNS6_6detail15normal_iteratorINS6_10device_ptrIlEEEENS6_17counting_iteratorIlNS6_11use_defaultESM_SM_EENS6_8equal_toIlEEEENSG_9not_fun_tINSD_8identityEEEEENSD_19counting_iterator_tIlEES8_S8_S8_S8_S8_S8_S8_S8_EEEEPS9_S9_NSD_9__find_if7functorIS9_EEEE10hipError_tPvRmT1_T2_T3_mT4_P12ihipStream_tbEUlT_E1_NS1_11comp_targetILNS1_3genE5ELNS1_11target_archE942ELNS1_3gpuE9ELNS1_3repE0EEENS1_30default_config_static_selectorELNS0_4arch9wavefront6targetE1EEEvS16_
		.amdhsa_group_segment_fixed_size 0
		.amdhsa_private_segment_fixed_size 0
		.amdhsa_kernarg_size 88
		.amdhsa_user_sgpr_count 6
		.amdhsa_user_sgpr_private_segment_buffer 1
		.amdhsa_user_sgpr_dispatch_ptr 0
		.amdhsa_user_sgpr_queue_ptr 0
		.amdhsa_user_sgpr_kernarg_segment_ptr 1
		.amdhsa_user_sgpr_dispatch_id 0
		.amdhsa_user_sgpr_flat_scratch_init 0
		.amdhsa_user_sgpr_kernarg_preload_length 0
		.amdhsa_user_sgpr_kernarg_preload_offset 0
		.amdhsa_user_sgpr_private_segment_size 0
		.amdhsa_uses_dynamic_stack 0
		.amdhsa_system_sgpr_private_segment_wavefront_offset 0
		.amdhsa_system_sgpr_workgroup_id_x 1
		.amdhsa_system_sgpr_workgroup_id_y 0
		.amdhsa_system_sgpr_workgroup_id_z 0
		.amdhsa_system_sgpr_workgroup_info 0
		.amdhsa_system_vgpr_workitem_id 0
		.amdhsa_next_free_vgpr 1
		.amdhsa_next_free_sgpr 0
		.amdhsa_accum_offset 4
		.amdhsa_reserve_vcc 0
		.amdhsa_reserve_flat_scratch 0
		.amdhsa_float_round_mode_32 0
		.amdhsa_float_round_mode_16_64 0
		.amdhsa_float_denorm_mode_32 3
		.amdhsa_float_denorm_mode_16_64 3
		.amdhsa_dx10_clamp 1
		.amdhsa_ieee_mode 1
		.amdhsa_fp16_overflow 0
		.amdhsa_tg_split 0
		.amdhsa_exception_fp_ieee_invalid_op 0
		.amdhsa_exception_fp_denorm_src 0
		.amdhsa_exception_fp_ieee_div_zero 0
		.amdhsa_exception_fp_ieee_overflow 0
		.amdhsa_exception_fp_ieee_underflow 0
		.amdhsa_exception_fp_ieee_inexact 0
		.amdhsa_exception_int_div_zero 0
	.end_amdhsa_kernel
	.section	.text._ZN7rocprim17ROCPRIM_400000_NS6detail17trampoline_kernelINS0_14default_configENS1_22reduce_config_selectorIN6thrust23THRUST_200600_302600_NS5tupleIblNS6_9null_typeES8_S8_S8_S8_S8_S8_S8_EEEEZNS1_11reduce_implILb1ES3_NS6_12zip_iteratorINS7_INS6_11hip_rocprim26transform_input_iterator_tIbNSD_35transform_pair_of_input_iterators_tIbNS6_6detail15normal_iteratorINS6_10device_ptrIlEEEENS6_17counting_iteratorIlNS6_11use_defaultESM_SM_EENS6_8equal_toIlEEEENSG_9not_fun_tINSD_8identityEEEEENSD_19counting_iterator_tIlEES8_S8_S8_S8_S8_S8_S8_S8_EEEEPS9_S9_NSD_9__find_if7functorIS9_EEEE10hipError_tPvRmT1_T2_T3_mT4_P12ihipStream_tbEUlT_E1_NS1_11comp_targetILNS1_3genE5ELNS1_11target_archE942ELNS1_3gpuE9ELNS1_3repE0EEENS1_30default_config_static_selectorELNS0_4arch9wavefront6targetE1EEEvS16_,"axG",@progbits,_ZN7rocprim17ROCPRIM_400000_NS6detail17trampoline_kernelINS0_14default_configENS1_22reduce_config_selectorIN6thrust23THRUST_200600_302600_NS5tupleIblNS6_9null_typeES8_S8_S8_S8_S8_S8_S8_EEEEZNS1_11reduce_implILb1ES3_NS6_12zip_iteratorINS7_INS6_11hip_rocprim26transform_input_iterator_tIbNSD_35transform_pair_of_input_iterators_tIbNS6_6detail15normal_iteratorINS6_10device_ptrIlEEEENS6_17counting_iteratorIlNS6_11use_defaultESM_SM_EENS6_8equal_toIlEEEENSG_9not_fun_tINSD_8identityEEEEENSD_19counting_iterator_tIlEES8_S8_S8_S8_S8_S8_S8_S8_EEEEPS9_S9_NSD_9__find_if7functorIS9_EEEE10hipError_tPvRmT1_T2_T3_mT4_P12ihipStream_tbEUlT_E1_NS1_11comp_targetILNS1_3genE5ELNS1_11target_archE942ELNS1_3gpuE9ELNS1_3repE0EEENS1_30default_config_static_selectorELNS0_4arch9wavefront6targetE1EEEvS16_,comdat
.Lfunc_end1199:
	.size	_ZN7rocprim17ROCPRIM_400000_NS6detail17trampoline_kernelINS0_14default_configENS1_22reduce_config_selectorIN6thrust23THRUST_200600_302600_NS5tupleIblNS6_9null_typeES8_S8_S8_S8_S8_S8_S8_EEEEZNS1_11reduce_implILb1ES3_NS6_12zip_iteratorINS7_INS6_11hip_rocprim26transform_input_iterator_tIbNSD_35transform_pair_of_input_iterators_tIbNS6_6detail15normal_iteratorINS6_10device_ptrIlEEEENS6_17counting_iteratorIlNS6_11use_defaultESM_SM_EENS6_8equal_toIlEEEENSG_9not_fun_tINSD_8identityEEEEENSD_19counting_iterator_tIlEES8_S8_S8_S8_S8_S8_S8_S8_EEEEPS9_S9_NSD_9__find_if7functorIS9_EEEE10hipError_tPvRmT1_T2_T3_mT4_P12ihipStream_tbEUlT_E1_NS1_11comp_targetILNS1_3genE5ELNS1_11target_archE942ELNS1_3gpuE9ELNS1_3repE0EEENS1_30default_config_static_selectorELNS0_4arch9wavefront6targetE1EEEvS16_, .Lfunc_end1199-_ZN7rocprim17ROCPRIM_400000_NS6detail17trampoline_kernelINS0_14default_configENS1_22reduce_config_selectorIN6thrust23THRUST_200600_302600_NS5tupleIblNS6_9null_typeES8_S8_S8_S8_S8_S8_S8_EEEEZNS1_11reduce_implILb1ES3_NS6_12zip_iteratorINS7_INS6_11hip_rocprim26transform_input_iterator_tIbNSD_35transform_pair_of_input_iterators_tIbNS6_6detail15normal_iteratorINS6_10device_ptrIlEEEENS6_17counting_iteratorIlNS6_11use_defaultESM_SM_EENS6_8equal_toIlEEEENSG_9not_fun_tINSD_8identityEEEEENSD_19counting_iterator_tIlEES8_S8_S8_S8_S8_S8_S8_S8_EEEEPS9_S9_NSD_9__find_if7functorIS9_EEEE10hipError_tPvRmT1_T2_T3_mT4_P12ihipStream_tbEUlT_E1_NS1_11comp_targetILNS1_3genE5ELNS1_11target_archE942ELNS1_3gpuE9ELNS1_3repE0EEENS1_30default_config_static_selectorELNS0_4arch9wavefront6targetE1EEEvS16_
                                        ; -- End function
	.section	.AMDGPU.csdata,"",@progbits
; Kernel info:
; codeLenInByte = 0
; NumSgprs: 4
; NumVgprs: 0
; NumAgprs: 0
; TotalNumVgprs: 0
; ScratchSize: 0
; MemoryBound: 0
; FloatMode: 240
; IeeeMode: 1
; LDSByteSize: 0 bytes/workgroup (compile time only)
; SGPRBlocks: 0
; VGPRBlocks: 0
; NumSGPRsForWavesPerEU: 4
; NumVGPRsForWavesPerEU: 1
; AccumOffset: 4
; Occupancy: 8
; WaveLimiterHint : 0
; COMPUTE_PGM_RSRC2:SCRATCH_EN: 0
; COMPUTE_PGM_RSRC2:USER_SGPR: 6
; COMPUTE_PGM_RSRC2:TRAP_HANDLER: 0
; COMPUTE_PGM_RSRC2:TGID_X_EN: 1
; COMPUTE_PGM_RSRC2:TGID_Y_EN: 0
; COMPUTE_PGM_RSRC2:TGID_Z_EN: 0
; COMPUTE_PGM_RSRC2:TIDIG_COMP_CNT: 0
; COMPUTE_PGM_RSRC3_GFX90A:ACCUM_OFFSET: 0
; COMPUTE_PGM_RSRC3_GFX90A:TG_SPLIT: 0
	.section	.text._ZN7rocprim17ROCPRIM_400000_NS6detail17trampoline_kernelINS0_14default_configENS1_22reduce_config_selectorIN6thrust23THRUST_200600_302600_NS5tupleIblNS6_9null_typeES8_S8_S8_S8_S8_S8_S8_EEEEZNS1_11reduce_implILb1ES3_NS6_12zip_iteratorINS7_INS6_11hip_rocprim26transform_input_iterator_tIbNSD_35transform_pair_of_input_iterators_tIbNS6_6detail15normal_iteratorINS6_10device_ptrIlEEEENS6_17counting_iteratorIlNS6_11use_defaultESM_SM_EENS6_8equal_toIlEEEENSG_9not_fun_tINSD_8identityEEEEENSD_19counting_iterator_tIlEES8_S8_S8_S8_S8_S8_S8_S8_EEEEPS9_S9_NSD_9__find_if7functorIS9_EEEE10hipError_tPvRmT1_T2_T3_mT4_P12ihipStream_tbEUlT_E1_NS1_11comp_targetILNS1_3genE4ELNS1_11target_archE910ELNS1_3gpuE8ELNS1_3repE0EEENS1_30default_config_static_selectorELNS0_4arch9wavefront6targetE1EEEvS16_,"axG",@progbits,_ZN7rocprim17ROCPRIM_400000_NS6detail17trampoline_kernelINS0_14default_configENS1_22reduce_config_selectorIN6thrust23THRUST_200600_302600_NS5tupleIblNS6_9null_typeES8_S8_S8_S8_S8_S8_S8_EEEEZNS1_11reduce_implILb1ES3_NS6_12zip_iteratorINS7_INS6_11hip_rocprim26transform_input_iterator_tIbNSD_35transform_pair_of_input_iterators_tIbNS6_6detail15normal_iteratorINS6_10device_ptrIlEEEENS6_17counting_iteratorIlNS6_11use_defaultESM_SM_EENS6_8equal_toIlEEEENSG_9not_fun_tINSD_8identityEEEEENSD_19counting_iterator_tIlEES8_S8_S8_S8_S8_S8_S8_S8_EEEEPS9_S9_NSD_9__find_if7functorIS9_EEEE10hipError_tPvRmT1_T2_T3_mT4_P12ihipStream_tbEUlT_E1_NS1_11comp_targetILNS1_3genE4ELNS1_11target_archE910ELNS1_3gpuE8ELNS1_3repE0EEENS1_30default_config_static_selectorELNS0_4arch9wavefront6targetE1EEEvS16_,comdat
	.protected	_ZN7rocprim17ROCPRIM_400000_NS6detail17trampoline_kernelINS0_14default_configENS1_22reduce_config_selectorIN6thrust23THRUST_200600_302600_NS5tupleIblNS6_9null_typeES8_S8_S8_S8_S8_S8_S8_EEEEZNS1_11reduce_implILb1ES3_NS6_12zip_iteratorINS7_INS6_11hip_rocprim26transform_input_iterator_tIbNSD_35transform_pair_of_input_iterators_tIbNS6_6detail15normal_iteratorINS6_10device_ptrIlEEEENS6_17counting_iteratorIlNS6_11use_defaultESM_SM_EENS6_8equal_toIlEEEENSG_9not_fun_tINSD_8identityEEEEENSD_19counting_iterator_tIlEES8_S8_S8_S8_S8_S8_S8_S8_EEEEPS9_S9_NSD_9__find_if7functorIS9_EEEE10hipError_tPvRmT1_T2_T3_mT4_P12ihipStream_tbEUlT_E1_NS1_11comp_targetILNS1_3genE4ELNS1_11target_archE910ELNS1_3gpuE8ELNS1_3repE0EEENS1_30default_config_static_selectorELNS0_4arch9wavefront6targetE1EEEvS16_ ; -- Begin function _ZN7rocprim17ROCPRIM_400000_NS6detail17trampoline_kernelINS0_14default_configENS1_22reduce_config_selectorIN6thrust23THRUST_200600_302600_NS5tupleIblNS6_9null_typeES8_S8_S8_S8_S8_S8_S8_EEEEZNS1_11reduce_implILb1ES3_NS6_12zip_iteratorINS7_INS6_11hip_rocprim26transform_input_iterator_tIbNSD_35transform_pair_of_input_iterators_tIbNS6_6detail15normal_iteratorINS6_10device_ptrIlEEEENS6_17counting_iteratorIlNS6_11use_defaultESM_SM_EENS6_8equal_toIlEEEENSG_9not_fun_tINSD_8identityEEEEENSD_19counting_iterator_tIlEES8_S8_S8_S8_S8_S8_S8_S8_EEEEPS9_S9_NSD_9__find_if7functorIS9_EEEE10hipError_tPvRmT1_T2_T3_mT4_P12ihipStream_tbEUlT_E1_NS1_11comp_targetILNS1_3genE4ELNS1_11target_archE910ELNS1_3gpuE8ELNS1_3repE0EEENS1_30default_config_static_selectorELNS0_4arch9wavefront6targetE1EEEvS16_
	.globl	_ZN7rocprim17ROCPRIM_400000_NS6detail17trampoline_kernelINS0_14default_configENS1_22reduce_config_selectorIN6thrust23THRUST_200600_302600_NS5tupleIblNS6_9null_typeES8_S8_S8_S8_S8_S8_S8_EEEEZNS1_11reduce_implILb1ES3_NS6_12zip_iteratorINS7_INS6_11hip_rocprim26transform_input_iterator_tIbNSD_35transform_pair_of_input_iterators_tIbNS6_6detail15normal_iteratorINS6_10device_ptrIlEEEENS6_17counting_iteratorIlNS6_11use_defaultESM_SM_EENS6_8equal_toIlEEEENSG_9not_fun_tINSD_8identityEEEEENSD_19counting_iterator_tIlEES8_S8_S8_S8_S8_S8_S8_S8_EEEEPS9_S9_NSD_9__find_if7functorIS9_EEEE10hipError_tPvRmT1_T2_T3_mT4_P12ihipStream_tbEUlT_E1_NS1_11comp_targetILNS1_3genE4ELNS1_11target_archE910ELNS1_3gpuE8ELNS1_3repE0EEENS1_30default_config_static_selectorELNS0_4arch9wavefront6targetE1EEEvS16_
	.p2align	8
	.type	_ZN7rocprim17ROCPRIM_400000_NS6detail17trampoline_kernelINS0_14default_configENS1_22reduce_config_selectorIN6thrust23THRUST_200600_302600_NS5tupleIblNS6_9null_typeES8_S8_S8_S8_S8_S8_S8_EEEEZNS1_11reduce_implILb1ES3_NS6_12zip_iteratorINS7_INS6_11hip_rocprim26transform_input_iterator_tIbNSD_35transform_pair_of_input_iterators_tIbNS6_6detail15normal_iteratorINS6_10device_ptrIlEEEENS6_17counting_iteratorIlNS6_11use_defaultESM_SM_EENS6_8equal_toIlEEEENSG_9not_fun_tINSD_8identityEEEEENSD_19counting_iterator_tIlEES8_S8_S8_S8_S8_S8_S8_S8_EEEEPS9_S9_NSD_9__find_if7functorIS9_EEEE10hipError_tPvRmT1_T2_T3_mT4_P12ihipStream_tbEUlT_E1_NS1_11comp_targetILNS1_3genE4ELNS1_11target_archE910ELNS1_3gpuE8ELNS1_3repE0EEENS1_30default_config_static_selectorELNS0_4arch9wavefront6targetE1EEEvS16_,@function
_ZN7rocprim17ROCPRIM_400000_NS6detail17trampoline_kernelINS0_14default_configENS1_22reduce_config_selectorIN6thrust23THRUST_200600_302600_NS5tupleIblNS6_9null_typeES8_S8_S8_S8_S8_S8_S8_EEEEZNS1_11reduce_implILb1ES3_NS6_12zip_iteratorINS7_INS6_11hip_rocprim26transform_input_iterator_tIbNSD_35transform_pair_of_input_iterators_tIbNS6_6detail15normal_iteratorINS6_10device_ptrIlEEEENS6_17counting_iteratorIlNS6_11use_defaultESM_SM_EENS6_8equal_toIlEEEENSG_9not_fun_tINSD_8identityEEEEENSD_19counting_iterator_tIlEES8_S8_S8_S8_S8_S8_S8_S8_EEEEPS9_S9_NSD_9__find_if7functorIS9_EEEE10hipError_tPvRmT1_T2_T3_mT4_P12ihipStream_tbEUlT_E1_NS1_11comp_targetILNS1_3genE4ELNS1_11target_archE910ELNS1_3gpuE8ELNS1_3repE0EEENS1_30default_config_static_selectorELNS0_4arch9wavefront6targetE1EEEvS16_: ; @_ZN7rocprim17ROCPRIM_400000_NS6detail17trampoline_kernelINS0_14default_configENS1_22reduce_config_selectorIN6thrust23THRUST_200600_302600_NS5tupleIblNS6_9null_typeES8_S8_S8_S8_S8_S8_S8_EEEEZNS1_11reduce_implILb1ES3_NS6_12zip_iteratorINS7_INS6_11hip_rocprim26transform_input_iterator_tIbNSD_35transform_pair_of_input_iterators_tIbNS6_6detail15normal_iteratorINS6_10device_ptrIlEEEENS6_17counting_iteratorIlNS6_11use_defaultESM_SM_EENS6_8equal_toIlEEEENSG_9not_fun_tINSD_8identityEEEEENSD_19counting_iterator_tIlEES8_S8_S8_S8_S8_S8_S8_S8_EEEEPS9_S9_NSD_9__find_if7functorIS9_EEEE10hipError_tPvRmT1_T2_T3_mT4_P12ihipStream_tbEUlT_E1_NS1_11comp_targetILNS1_3genE4ELNS1_11target_archE910ELNS1_3gpuE8ELNS1_3repE0EEENS1_30default_config_static_selectorELNS0_4arch9wavefront6targetE1EEEvS16_
; %bb.0:
	s_load_dword s34, s[4:5], 0x4
	s_load_dwordx4 s[24:27], s[4:5], 0x8
	s_load_dwordx4 s[20:23], s[4:5], 0x28
	s_load_dword s33, s[4:5], 0x40
	s_load_dwordx2 s[18:19], s[4:5], 0x48
	s_waitcnt lgkmcnt(0)
	s_cmp_lt_i32 s34, 4
	s_cbranch_scc1 .LBB1200_21
; %bb.1:
	s_cmp_gt_i32 s34, 7
	s_cbranch_scc0 .LBB1200_22
; %bb.2:
	s_cmp_eq_u32 s34, 8
	s_mov_b64 s[28:29], 0
	s_cbranch_scc0 .LBB1200_23
; %bb.3:
	s_mov_b32 s7, 0
	s_lshl_b32 s14, s6, 11
	s_mov_b32 s15, s7
	s_lshr_b64 s[0:1], s[22:23], 11
	s_lshl_b64 s[2:3], s[14:15], 3
	s_add_u32 s16, s24, s2
	s_addc_u32 s17, s25, s3
	s_cmp_lg_u64 s[0:1], s[6:7]
	s_cbranch_scc0 .LBB1200_44
; %bb.4:
	v_lshlrev_b32_e32 v1, 3, v0
	v_mov_b32_e32 v2, s17
	v_add_co_u32_e32 v18, vcc, s16, v1
	v_addc_co_u32_e32 v19, vcc, 0, v2, vcc
	s_movk_i32 s0, 0x2000
	v_add_co_u32_e32 v2, vcc, s0, v18
	v_addc_co_u32_e32 v3, vcc, 0, v19, vcc
	s_movk_i32 s0, 0x3000
	global_load_dwordx2 v[4:5], v[2:3], off offset:-4096
	global_load_dwordx2 v[6:7], v[2:3], off
	global_load_dwordx2 v[8:9], v[2:3], off offset:2048
	v_add_co_u32_e32 v2, vcc, s0, v18
	v_addc_co_u32_e32 v3, vcc, 0, v19, vcc
	s_movk_i32 s0, 0x1000
	global_load_dwordx2 v[10:11], v[2:3], off
	global_load_dwordx2 v[12:13], v[2:3], off offset:2048
	global_load_dwordx2 v[14:15], v1, s[16:17] offset:2048
	global_load_dwordx2 v[16:17], v1, s[16:17]
	v_add_co_u32_e32 v2, vcc, s0, v18
	v_addc_co_u32_e32 v3, vcc, 0, v19, vcc
	global_load_dwordx2 v[2:3], v[2:3], off offset:2048
	v_or_b32_e32 v1, s14, v0
	v_mov_b32_e32 v19, s15
	v_mov_b32_e32 v20, s27
	v_add_co_u32_e32 v18, vcc, s26, v1
	v_addc_co_u32_e32 v19, vcc, v20, v19, vcc
	v_mov_b32_e32 v21, s15
	v_mov_b32_e32 v22, s21
	v_add_co_u32_e32 v1, vcc, s20, v1
	s_movk_i32 s0, 0x100
	v_addc_co_u32_e32 v36, vcc, v22, v21, vcc
	v_add_co_u32_e32 v20, vcc, s0, v18
	s_movk_i32 s1, 0x200
	v_addc_co_u32_e32 v21, vcc, 0, v19, vcc
	;; [unrolled: 3-line block ×7, first 2 shown]
	v_add_co_u32_e32 v32, vcc, s10, v18
	v_mov_b32_e32 v34, 0x200
	v_mov_b32_e32 v35, 0x100
	v_addc_co_u32_e32 v33, vcc, 0, v19, vcc
	s_waitcnt vmcnt(7)
	v_cmp_ne_u64_e32 vcc, v[4:5], v[22:23]
	s_waitcnt vmcnt(6)
	v_cmp_ne_u64_e64 s[0:1], v[6:7], v[26:27]
	v_mov_b32_e32 v5, 0x400
	v_mov_b32_e32 v6, 0x300
	s_waitcnt vmcnt(4)
	v_cmp_ne_u64_e64 s[2:3], v[10:11], v[30:31]
	s_waitcnt vmcnt(3)
	v_cmp_ne_u64_e64 s[8:9], v[12:13], v[32:33]
	;; [unrolled: 2-line block ×3, first 2 shown]
	v_cndmask_b32_e64 v4, v34, v35, s[10:11]
	s_waitcnt vmcnt(1)
	v_cmp_ne_u64_e64 s[12:13], v[16:17], v[18:19]
	v_cndmask_b32_e64 v4, v4, 0, s[12:13]
	s_or_b64 s[12:13], s[12:13], s[10:11]
	s_or_b64 vcc, s[12:13], vcc
	s_waitcnt vmcnt(0)
	v_cmp_ne_u64_e64 s[10:11], v[2:3], v[24:25]
	v_cndmask_b32_e64 v2, v5, v6, s[10:11]
	v_cndmask_b32_e32 v2, v2, v4, vcc
	s_or_b64 s[10:11], vcc, s[10:11]
	v_mov_b32_e32 v3, 0x600
	v_mov_b32_e32 v4, 0x500
	v_cmp_ne_u64_e32 vcc, v[8:9], v[28:29]
	v_cndmask_b32_e32 v3, v3, v4, vcc
	s_or_b64 s[0:1], s[10:11], s[0:1]
	v_cndmask_b32_e64 v2, v3, v2, s[0:1]
	s_or_b64 s[0:1], s[0:1], vcc
	v_mov_b32_e32 v3, 0x700
	s_or_b64 vcc, s[0:1], s[2:3]
	v_cndmask_b32_e32 v2, v3, v2, vcc
	v_add_co_u32_e64 v2, s[0:1], v1, v2
	v_addc_co_u32_e64 v3, s[0:1], 0, v36, s[0:1]
	s_or_b64 s[0:1], vcc, s[8:9]
	v_cndmask_b32_e64 v1, 0, 1, s[0:1]
	v_mov_b32_dpp v4, v2 quad_perm:[1,0,3,2] row_mask:0xf bank_mask:0xf bound_ctrl:1
	v_mov_b32_dpp v5, v3 quad_perm:[1,0,3,2] row_mask:0xf bank_mask:0xf bound_ctrl:1
	;; [unrolled: 1-line block ×3, first 2 shown]
	v_and_b32_e32 v7, 1, v6
	v_cmp_eq_u32_e32 vcc, 1, v7
	s_and_saveexec_b64 s[2:3], vcc
; %bb.5:
	v_cmp_lt_i64_e32 vcc, v[2:3], v[4:5]
	v_cndmask_b32_e64 v6, v6, 1, s[0:1]
	s_and_b64 vcc, s[0:1], vcc
	v_cndmask_b32_e32 v2, v4, v2, vcc
	v_and_b32_e32 v4, 1, v6
	v_cndmask_b32_e32 v3, v5, v3, vcc
	v_cmp_eq_u32_e32 vcc, 1, v4
	s_andn2_b64 s[0:1], s[0:1], exec
	s_and_b64 s[8:9], vcc, exec
	v_and_b32_e32 v1, 0xff, v6
	s_or_b64 s[0:1], s[0:1], s[8:9]
; %bb.6:
	s_or_b64 exec, exec, s[2:3]
	v_mov_b32_dpp v6, v1 quad_perm:[2,3,0,1] row_mask:0xf bank_mask:0xf bound_ctrl:1
	v_and_b32_e32 v7, 1, v6
	v_mov_b32_dpp v4, v2 quad_perm:[2,3,0,1] row_mask:0xf bank_mask:0xf bound_ctrl:1
	v_mov_b32_dpp v5, v3 quad_perm:[2,3,0,1] row_mask:0xf bank_mask:0xf bound_ctrl:1
	v_cmp_eq_u32_e32 vcc, 1, v7
	s_and_saveexec_b64 s[2:3], vcc
; %bb.7:
	v_cmp_lt_i64_e32 vcc, v[2:3], v[4:5]
	v_cndmask_b32_e64 v6, v6, 1, s[0:1]
	s_and_b64 vcc, s[0:1], vcc
	v_cndmask_b32_e32 v2, v4, v2, vcc
	v_and_b32_e32 v4, 1, v6
	v_cndmask_b32_e32 v3, v5, v3, vcc
	v_cmp_eq_u32_e32 vcc, 1, v4
	s_andn2_b64 s[0:1], s[0:1], exec
	s_and_b64 s[8:9], vcc, exec
	v_and_b32_e32 v1, 0xff, v6
	s_or_b64 s[0:1], s[0:1], s[8:9]
; %bb.8:
	s_or_b64 exec, exec, s[2:3]
	v_mov_b32_dpp v6, v1 row_ror:4 row_mask:0xf bank_mask:0xf bound_ctrl:1
	v_and_b32_e32 v7, 1, v6
	v_mov_b32_dpp v4, v2 row_ror:4 row_mask:0xf bank_mask:0xf bound_ctrl:1
	v_mov_b32_dpp v5, v3 row_ror:4 row_mask:0xf bank_mask:0xf bound_ctrl:1
	v_cmp_eq_u32_e32 vcc, 1, v7
	s_and_saveexec_b64 s[2:3], vcc
; %bb.9:
	v_cmp_lt_i64_e32 vcc, v[2:3], v[4:5]
	v_cndmask_b32_e64 v6, v6, 1, s[0:1]
	s_and_b64 vcc, s[0:1], vcc
	v_cndmask_b32_e32 v2, v4, v2, vcc
	v_and_b32_e32 v4, 1, v6
	v_cndmask_b32_e32 v3, v5, v3, vcc
	v_cmp_eq_u32_e32 vcc, 1, v4
	s_andn2_b64 s[0:1], s[0:1], exec
	s_and_b64 s[8:9], vcc, exec
	v_and_b32_e32 v1, 0xff, v6
	s_or_b64 s[0:1], s[0:1], s[8:9]
; %bb.10:
	s_or_b64 exec, exec, s[2:3]
	v_mov_b32_dpp v6, v1 row_ror:8 row_mask:0xf bank_mask:0xf bound_ctrl:1
	v_and_b32_e32 v7, 1, v6
	v_mov_b32_dpp v4, v2 row_ror:8 row_mask:0xf bank_mask:0xf bound_ctrl:1
	v_mov_b32_dpp v5, v3 row_ror:8 row_mask:0xf bank_mask:0xf bound_ctrl:1
	v_cmp_eq_u32_e32 vcc, 1, v7
	s_and_saveexec_b64 s[2:3], vcc
; %bb.11:
	v_cmp_lt_i64_e32 vcc, v[2:3], v[4:5]
	v_cndmask_b32_e64 v6, v6, 1, s[0:1]
	s_and_b64 vcc, s[0:1], vcc
	v_cndmask_b32_e32 v2, v4, v2, vcc
	v_and_b32_e32 v4, 1, v6
	v_cndmask_b32_e32 v3, v5, v3, vcc
	v_cmp_eq_u32_e32 vcc, 1, v4
	s_andn2_b64 s[0:1], s[0:1], exec
	s_and_b64 s[8:9], vcc, exec
	v_and_b32_e32 v1, 0xff, v6
	s_or_b64 s[0:1], s[0:1], s[8:9]
; %bb.12:
	s_or_b64 exec, exec, s[2:3]
	v_mov_b32_dpp v6, v1 row_bcast:15 row_mask:0xf bank_mask:0xf bound_ctrl:1
	v_and_b32_e32 v7, 1, v6
	v_mov_b32_dpp v4, v2 row_bcast:15 row_mask:0xf bank_mask:0xf bound_ctrl:1
	v_mov_b32_dpp v5, v3 row_bcast:15 row_mask:0xf bank_mask:0xf bound_ctrl:1
	v_cmp_eq_u32_e32 vcc, 1, v7
	s_and_saveexec_b64 s[2:3], vcc
; %bb.13:
	v_cmp_lt_i64_e32 vcc, v[2:3], v[4:5]
	v_cndmask_b32_e64 v6, v6, 1, s[0:1]
	s_and_b64 vcc, s[0:1], vcc
	v_cndmask_b32_e32 v2, v4, v2, vcc
	v_and_b32_e32 v4, 1, v6
	v_cndmask_b32_e32 v3, v5, v3, vcc
	v_cmp_eq_u32_e32 vcc, 1, v4
	s_andn2_b64 s[0:1], s[0:1], exec
	s_and_b64 s[8:9], vcc, exec
	v_and_b32_e32 v1, 0xff, v6
	s_or_b64 s[0:1], s[0:1], s[8:9]
; %bb.14:
	s_or_b64 exec, exec, s[2:3]
	v_mov_b32_dpp v6, v1 row_bcast:31 row_mask:0xf bank_mask:0xf bound_ctrl:1
	v_and_b32_e32 v7, 1, v6
	v_mov_b32_dpp v4, v2 row_bcast:31 row_mask:0xf bank_mask:0xf bound_ctrl:1
	v_mov_b32_dpp v5, v3 row_bcast:31 row_mask:0xf bank_mask:0xf bound_ctrl:1
	v_cmp_eq_u32_e32 vcc, 1, v7
	s_and_saveexec_b64 s[2:3], vcc
; %bb.15:
	v_cmp_lt_i64_e32 vcc, v[2:3], v[4:5]
	v_and_b32_e32 v1, 0xff, v6
	s_and_b64 vcc, s[0:1], vcc
	v_cndmask_b32_e32 v2, v4, v2, vcc
	v_cndmask_b32_e32 v3, v5, v3, vcc
	v_cndmask_b32_e64 v1, v1, 1, s[0:1]
; %bb.16:
	s_or_b64 exec, exec, s[2:3]
	v_mbcnt_lo_u32_b32 v4, -1, 0
	v_mbcnt_hi_u32_b32 v4, -1, v4
	v_bfrev_b32_e32 v5, 0.5
	v_lshl_or_b32 v5, v4, 2, v5
	ds_bpermute_b32 v7, v5, v1
	ds_bpermute_b32 v2, v5, v2
	;; [unrolled: 1-line block ×3, first 2 shown]
	v_cmp_eq_u32_e32 vcc, 0, v4
	s_and_saveexec_b64 s[0:1], vcc
	s_cbranch_execz .LBB1200_18
; %bb.17:
	v_lshrrev_b32_e32 v1, 2, v0
	v_and_b32_e32 v1, 48, v1
	s_waitcnt lgkmcnt(2)
	ds_write_b8 v1, v7 offset:192
	s_waitcnt lgkmcnt(1)
	ds_write_b64 v1, v[2:3] offset:200
.LBB1200_18:
	s_or_b64 exec, exec, s[0:1]
	v_cmp_gt_u32_e32 vcc, 64, v0
	s_waitcnt lgkmcnt(0)
	s_barrier
	s_and_saveexec_b64 s[2:3], vcc
	s_cbranch_execz .LBB1200_20
; %bb.19:
	v_and_b32_e32 v1, 3, v4
	v_lshlrev_b32_e32 v2, 4, v1
	ds_read_u8 v5, v2 offset:192
	ds_read_b64 v[2:3], v2 offset:200
	v_cmp_ne_u32_e32 vcc, 3, v1
	v_addc_co_u32_e32 v6, vcc, 0, v4, vcc
	s_waitcnt lgkmcnt(1)
	v_and_b32_e32 v7, 0xff, v5
	v_lshlrev_b32_e32 v8, 2, v6
	ds_bpermute_b32 v9, v8, v7
	s_waitcnt lgkmcnt(1)
	ds_bpermute_b32 v6, v8, v2
	ds_bpermute_b32 v7, v8, v3
	v_and_b32_e32 v8, 1, v5
	s_waitcnt lgkmcnt(2)
	v_and_b32_e32 v10, 1, v9
	v_cmp_eq_u32_e64 s[0:1], 1, v10
	s_waitcnt lgkmcnt(0)
	v_cmp_lt_i64_e32 vcc, v[6:7], v[2:3]
	s_and_b64 vcc, s[0:1], vcc
	v_cndmask_b32_e64 v5, v5, 1, s[0:1]
	v_cndmask_b32_e32 v2, v2, v6, vcc
	v_cndmask_b32_e32 v3, v3, v7, vcc
	v_cmp_eq_u32_e32 vcc, 1, v8
	v_cndmask_b32_e32 v8, v9, v5, vcc
	v_cndmask_b32_e32 v3, v7, v3, vcc
	;; [unrolled: 1-line block ×3, first 2 shown]
	v_cmp_gt_u32_e32 vcc, 2, v1
	v_cndmask_b32_e64 v1, 0, 1, vcc
	v_lshlrev_b32_e32 v1, 1, v1
	v_and_b32_e32 v5, 0xff, v8
	v_add_lshl_u32 v1, v1, v4, 2
	ds_bpermute_b32 v6, v1, v5
	ds_bpermute_b32 v4, v1, v2
	;; [unrolled: 1-line block ×3, first 2 shown]
	v_and_b32_e32 v1, 1, v8
	s_waitcnt lgkmcnt(2)
	v_and_b32_e32 v7, 1, v6
	v_cmp_eq_u32_e64 s[0:1], 1, v7
	s_waitcnt lgkmcnt(0)
	v_cmp_lt_i64_e32 vcc, v[4:5], v[2:3]
	s_and_b64 vcc, s[0:1], vcc
	v_cndmask_b32_e64 v7, v8, 1, s[0:1]
	v_cndmask_b32_e32 v2, v2, v4, vcc
	v_cndmask_b32_e32 v3, v3, v5, vcc
	v_cmp_eq_u32_e32 vcc, 1, v1
	v_cndmask_b32_e32 v1, v6, v7, vcc
	v_cndmask_b32_e32 v3, v5, v3, vcc
	;; [unrolled: 1-line block ×3, first 2 shown]
	v_and_b32_e32 v7, 0xff, v1
.LBB1200_20:
	s_or_b64 exec, exec, s[2:3]
	s_branch .LBB1200_89
.LBB1200_21:
	s_mov_b64 s[10:11], 0
                                        ; implicit-def: $vgpr4_vgpr5
                                        ; implicit-def: $vgpr1
	s_cbranch_execnz .LBB1200_133
	s_branch .LBB1200_208
.LBB1200_22:
	s_mov_b64 s[28:29], -1
.LBB1200_23:
	s_mov_b64 s[10:11], 0
                                        ; implicit-def: $vgpr4_vgpr5
                                        ; implicit-def: $vgpr1
	s_and_b64 vcc, exec, s[28:29]
	s_cbranch_vccz .LBB1200_94
.LBB1200_24:
	s_cmp_eq_u32 s34, 4
	s_cbranch_scc0 .LBB1200_43
; %bb.25:
	s_mov_b32 s7, 0
	s_lshl_b32 s12, s6, 10
	s_mov_b32 s13, s7
	s_lshr_b64 s[0:1], s[22:23], 10
	s_lshl_b64 s[2:3], s[12:13], 3
	s_add_u32 s8, s24, s2
	s_addc_u32 s9, s25, s3
	s_cmp_lg_u64 s[0:1], s[6:7]
	s_cbranch_scc0 .LBB1200_95
; %bb.26:
	v_lshlrev_b32_e32 v1, 3, v0
	v_mov_b32_e32 v2, s9
	s_waitcnt lgkmcnt(2)
	v_add_co_u32_e32 v6, vcc, s8, v1
	v_addc_co_u32_e32 v7, vcc, 0, v2, vcc
	s_movk_i32 s0, 0x1000
	global_load_dwordx2 v[2:3], v1, s[8:9]
	s_waitcnt lgkmcnt(0)
	global_load_dwordx2 v[4:5], v1, s[8:9] offset:2048
	v_add_co_u32_e32 v6, vcc, s0, v6
	v_addc_co_u32_e32 v7, vcc, 0, v7, vcc
	global_load_dwordx2 v[8:9], v[6:7], off
	global_load_dwordx2 v[10:11], v[6:7], off offset:2048
	v_or_b32_e32 v1, s12, v0
	v_mov_b32_e32 v7, s13
	v_mov_b32_e32 v12, s27
	v_add_co_u32_e32 v6, vcc, s26, v1
	v_addc_co_u32_e32 v7, vcc, v12, v7, vcc
	v_mov_b32_e32 v13, s13
	v_mov_b32_e32 v14, s21
	v_add_co_u32_e32 v1, vcc, s20, v1
	s_movk_i32 s0, 0x100
	v_addc_co_u32_e32 v21, vcc, v14, v13, vcc
	v_add_co_u32_e32 v12, vcc, s0, v6
	s_movk_i32 s1, 0x200
	v_addc_co_u32_e32 v13, vcc, 0, v7, vcc
	v_add_co_u32_e32 v14, vcc, s1, v6
	s_movk_i32 s2, 0x300
	v_addc_co_u32_e32 v15, vcc, 0, v7, vcc
	v_add_co_u32_e32 v16, vcc, s2, v6
	v_addc_co_u32_e32 v17, vcc, 0, v7, vcc
	v_mov_b32_e32 v18, 0x200
	v_mov_b32_e32 v19, 0x100
	;; [unrolled: 1-line block ×3, first 2 shown]
	s_waitcnt vmcnt(3)
	v_cmp_ne_u64_e64 s[0:1], v[2:3], v[6:7]
	s_waitcnt vmcnt(2)
	v_cmp_ne_u64_e32 vcc, v[4:5], v[12:13]
	v_cndmask_b32_e32 v4, v18, v19, vcc
	s_or_b64 s[2:3], s[0:1], vcc
	v_cndmask_b32_e64 v2, v4, 0, s[0:1]
	s_waitcnt vmcnt(1)
	v_cmp_ne_u64_e32 vcc, v[8:9], v[14:15]
	s_waitcnt vmcnt(0)
	v_cmp_ne_u64_e64 s[0:1], v[10:11], v[16:17]
	s_or_b64 vcc, s[2:3], vcc
	v_cndmask_b32_e32 v2, v20, v2, vcc
	s_or_b64 s[0:1], vcc, s[0:1]
	v_add_co_u32_e64 v2, s[2:3], v1, v2
	v_cndmask_b32_e64 v1, 0, 1, s[0:1]
	v_addc_co_u32_e64 v3, s[2:3], 0, v21, s[2:3]
	s_nop 0
	v_mov_b32_dpp v6, v1 quad_perm:[1,0,3,2] row_mask:0xf bank_mask:0xf bound_ctrl:1
	v_and_b32_e32 v7, 1, v6
	v_mov_b32_dpp v4, v2 quad_perm:[1,0,3,2] row_mask:0xf bank_mask:0xf bound_ctrl:1
	v_mov_b32_dpp v5, v3 quad_perm:[1,0,3,2] row_mask:0xf bank_mask:0xf bound_ctrl:1
	v_cmp_eq_u32_e32 vcc, 1, v7
	s_and_saveexec_b64 s[2:3], vcc
; %bb.27:
	v_cmp_lt_i64_e32 vcc, v[2:3], v[4:5]
	v_cndmask_b32_e64 v6, v6, 1, s[0:1]
	s_and_b64 vcc, s[0:1], vcc
	v_cndmask_b32_e32 v2, v4, v2, vcc
	v_and_b32_e32 v4, 1, v6
	v_cndmask_b32_e32 v3, v5, v3, vcc
	v_cmp_eq_u32_e32 vcc, 1, v4
	s_andn2_b64 s[0:1], s[0:1], exec
	s_and_b64 s[14:15], vcc, exec
	v_and_b32_e32 v1, 0xff, v6
	s_or_b64 s[0:1], s[0:1], s[14:15]
; %bb.28:
	s_or_b64 exec, exec, s[2:3]
	v_mov_b32_dpp v6, v1 quad_perm:[2,3,0,1] row_mask:0xf bank_mask:0xf bound_ctrl:1
	v_and_b32_e32 v7, 1, v6
	v_mov_b32_dpp v4, v2 quad_perm:[2,3,0,1] row_mask:0xf bank_mask:0xf bound_ctrl:1
	v_mov_b32_dpp v5, v3 quad_perm:[2,3,0,1] row_mask:0xf bank_mask:0xf bound_ctrl:1
	v_cmp_eq_u32_e32 vcc, 1, v7
	s_and_saveexec_b64 s[2:3], vcc
; %bb.29:
	v_cmp_lt_i64_e32 vcc, v[2:3], v[4:5]
	v_cndmask_b32_e64 v6, v6, 1, s[0:1]
	s_and_b64 vcc, s[0:1], vcc
	v_cndmask_b32_e32 v2, v4, v2, vcc
	v_and_b32_e32 v4, 1, v6
	v_cndmask_b32_e32 v3, v5, v3, vcc
	v_cmp_eq_u32_e32 vcc, 1, v4
	s_andn2_b64 s[0:1], s[0:1], exec
	s_and_b64 s[14:15], vcc, exec
	v_and_b32_e32 v1, 0xff, v6
	s_or_b64 s[0:1], s[0:1], s[14:15]
; %bb.30:
	s_or_b64 exec, exec, s[2:3]
	v_mov_b32_dpp v6, v1 row_ror:4 row_mask:0xf bank_mask:0xf bound_ctrl:1
	v_and_b32_e32 v7, 1, v6
	v_mov_b32_dpp v4, v2 row_ror:4 row_mask:0xf bank_mask:0xf bound_ctrl:1
	v_mov_b32_dpp v5, v3 row_ror:4 row_mask:0xf bank_mask:0xf bound_ctrl:1
	v_cmp_eq_u32_e32 vcc, 1, v7
	s_and_saveexec_b64 s[2:3], vcc
; %bb.31:
	v_cmp_lt_i64_e32 vcc, v[2:3], v[4:5]
	v_cndmask_b32_e64 v6, v6, 1, s[0:1]
	s_and_b64 vcc, s[0:1], vcc
	v_cndmask_b32_e32 v2, v4, v2, vcc
	v_and_b32_e32 v4, 1, v6
	v_cndmask_b32_e32 v3, v5, v3, vcc
	v_cmp_eq_u32_e32 vcc, 1, v4
	s_andn2_b64 s[0:1], s[0:1], exec
	s_and_b64 s[14:15], vcc, exec
	v_and_b32_e32 v1, 0xff, v6
	s_or_b64 s[0:1], s[0:1], s[14:15]
; %bb.32:
	s_or_b64 exec, exec, s[2:3]
	v_mov_b32_dpp v6, v1 row_ror:8 row_mask:0xf bank_mask:0xf bound_ctrl:1
	v_and_b32_e32 v7, 1, v6
	v_mov_b32_dpp v4, v2 row_ror:8 row_mask:0xf bank_mask:0xf bound_ctrl:1
	v_mov_b32_dpp v5, v3 row_ror:8 row_mask:0xf bank_mask:0xf bound_ctrl:1
	v_cmp_eq_u32_e32 vcc, 1, v7
	s_and_saveexec_b64 s[2:3], vcc
; %bb.33:
	v_cmp_lt_i64_e32 vcc, v[2:3], v[4:5]
	v_cndmask_b32_e64 v6, v6, 1, s[0:1]
	s_and_b64 vcc, s[0:1], vcc
	v_cndmask_b32_e32 v2, v4, v2, vcc
	v_and_b32_e32 v4, 1, v6
	v_cndmask_b32_e32 v3, v5, v3, vcc
	v_cmp_eq_u32_e32 vcc, 1, v4
	s_andn2_b64 s[0:1], s[0:1], exec
	s_and_b64 s[14:15], vcc, exec
	v_and_b32_e32 v1, 0xff, v6
	s_or_b64 s[0:1], s[0:1], s[14:15]
; %bb.34:
	s_or_b64 exec, exec, s[2:3]
	v_mov_b32_dpp v6, v1 row_bcast:15 row_mask:0xf bank_mask:0xf bound_ctrl:1
	v_and_b32_e32 v7, 1, v6
	v_mov_b32_dpp v4, v2 row_bcast:15 row_mask:0xf bank_mask:0xf bound_ctrl:1
	v_mov_b32_dpp v5, v3 row_bcast:15 row_mask:0xf bank_mask:0xf bound_ctrl:1
	v_cmp_eq_u32_e32 vcc, 1, v7
	s_and_saveexec_b64 s[2:3], vcc
; %bb.35:
	v_cmp_lt_i64_e32 vcc, v[2:3], v[4:5]
	v_cndmask_b32_e64 v6, v6, 1, s[0:1]
	s_and_b64 vcc, s[0:1], vcc
	v_cndmask_b32_e32 v2, v4, v2, vcc
	v_and_b32_e32 v4, 1, v6
	v_cndmask_b32_e32 v3, v5, v3, vcc
	v_cmp_eq_u32_e32 vcc, 1, v4
	s_andn2_b64 s[0:1], s[0:1], exec
	s_and_b64 s[14:15], vcc, exec
	v_and_b32_e32 v1, 0xff, v6
	s_or_b64 s[0:1], s[0:1], s[14:15]
; %bb.36:
	s_or_b64 exec, exec, s[2:3]
	v_mov_b32_dpp v6, v1 row_bcast:31 row_mask:0xf bank_mask:0xf bound_ctrl:1
	v_and_b32_e32 v7, 1, v6
	v_mov_b32_dpp v4, v2 row_bcast:31 row_mask:0xf bank_mask:0xf bound_ctrl:1
	v_mov_b32_dpp v5, v3 row_bcast:31 row_mask:0xf bank_mask:0xf bound_ctrl:1
	v_cmp_eq_u32_e32 vcc, 1, v7
	s_and_saveexec_b64 s[2:3], vcc
; %bb.37:
	v_cmp_lt_i64_e32 vcc, v[2:3], v[4:5]
	v_and_b32_e32 v1, 0xff, v6
	s_and_b64 vcc, s[0:1], vcc
	v_cndmask_b32_e32 v2, v4, v2, vcc
	v_cndmask_b32_e32 v3, v5, v3, vcc
	v_cndmask_b32_e64 v1, v1, 1, s[0:1]
; %bb.38:
	s_or_b64 exec, exec, s[2:3]
	v_mbcnt_lo_u32_b32 v4, -1, 0
	v_mbcnt_hi_u32_b32 v4, -1, v4
	v_bfrev_b32_e32 v5, 0.5
	v_lshl_or_b32 v5, v4, 2, v5
	ds_bpermute_b32 v6, v5, v1
	ds_bpermute_b32 v2, v5, v2
	;; [unrolled: 1-line block ×3, first 2 shown]
	v_cmp_eq_u32_e32 vcc, 0, v4
	s_and_saveexec_b64 s[0:1], vcc
	s_cbranch_execz .LBB1200_40
; %bb.39:
	v_lshrrev_b32_e32 v1, 2, v0
	v_and_b32_e32 v1, 48, v1
	s_waitcnt lgkmcnt(2)
	ds_write_b8 v1, v6 offset:128
	s_waitcnt lgkmcnt(1)
	ds_write_b64 v1, v[2:3] offset:136
.LBB1200_40:
	s_or_b64 exec, exec, s[0:1]
	v_cmp_gt_u32_e32 vcc, 64, v0
	s_waitcnt lgkmcnt(0)
	s_barrier
	s_and_saveexec_b64 s[2:3], vcc
	s_cbranch_execz .LBB1200_42
; %bb.41:
	v_and_b32_e32 v1, 3, v4
	v_lshlrev_b32_e32 v2, 4, v1
	ds_read_u8 v5, v2 offset:128
	ds_read_b64 v[2:3], v2 offset:136
	v_cmp_ne_u32_e32 vcc, 3, v1
	v_addc_co_u32_e32 v6, vcc, 0, v4, vcc
	s_waitcnt lgkmcnt(1)
	v_and_b32_e32 v7, 0xff, v5
	v_lshlrev_b32_e32 v8, 2, v6
	ds_bpermute_b32 v9, v8, v7
	s_waitcnt lgkmcnt(1)
	ds_bpermute_b32 v6, v8, v2
	ds_bpermute_b32 v7, v8, v3
	v_and_b32_e32 v8, 1, v5
	s_waitcnt lgkmcnt(2)
	v_and_b32_e32 v10, 1, v9
	v_cmp_eq_u32_e64 s[0:1], 1, v10
	s_waitcnt lgkmcnt(0)
	v_cmp_lt_i64_e32 vcc, v[6:7], v[2:3]
	s_and_b64 vcc, s[0:1], vcc
	v_cndmask_b32_e64 v5, v5, 1, s[0:1]
	v_cndmask_b32_e32 v2, v2, v6, vcc
	v_cndmask_b32_e32 v3, v3, v7, vcc
	v_cmp_eq_u32_e32 vcc, 1, v8
	v_cndmask_b32_e32 v8, v9, v5, vcc
	v_cndmask_b32_e32 v3, v7, v3, vcc
	;; [unrolled: 1-line block ×3, first 2 shown]
	v_cmp_gt_u32_e32 vcc, 2, v1
	v_cndmask_b32_e64 v1, 0, 1, vcc
	v_lshlrev_b32_e32 v1, 1, v1
	v_and_b32_e32 v5, 0xff, v8
	v_add_lshl_u32 v1, v1, v4, 2
	ds_bpermute_b32 v6, v1, v5
	ds_bpermute_b32 v4, v1, v2
	;; [unrolled: 1-line block ×3, first 2 shown]
	v_and_b32_e32 v1, 1, v8
	s_waitcnt lgkmcnt(2)
	v_and_b32_e32 v7, 1, v6
	v_cmp_eq_u32_e64 s[0:1], 1, v7
	s_waitcnt lgkmcnt(0)
	v_cmp_lt_i64_e32 vcc, v[4:5], v[2:3]
	s_and_b64 vcc, s[0:1], vcc
	v_cndmask_b32_e64 v7, v8, 1, s[0:1]
	v_cndmask_b32_e32 v2, v2, v4, vcc
	v_cndmask_b32_e32 v3, v3, v5, vcc
	v_cmp_eq_u32_e32 vcc, 1, v1
	v_cndmask_b32_e32 v1, v6, v7, vcc
	v_cndmask_b32_e32 v3, v5, v3, vcc
	;; [unrolled: 1-line block ×3, first 2 shown]
	v_and_b32_e32 v6, 0xff, v1
.LBB1200_42:
	s_or_b64 exec, exec, s[2:3]
	s_branch .LBB1200_128
.LBB1200_43:
                                        ; implicit-def: $vgpr4_vgpr5
                                        ; implicit-def: $vgpr1
	s_branch .LBB1200_208
.LBB1200_44:
                                        ; implicit-def: $vgpr2_vgpr3
                                        ; implicit-def: $vgpr7
	s_cbranch_execz .LBB1200_89
; %bb.45:
	s_sub_i32 s35, s22, s14
	s_add_u32 s36, s26, s14
	s_addc_u32 s37, s27, 0
	s_add_u32 s38, s20, s14
	v_pk_mov_b32 v[4:5], 0, 0
	s_addc_u32 s39, s21, 0
	v_cmp_gt_u32_e32 vcc, s35, v0
	v_mov_b32_e32 v18, 0
	v_pk_mov_b32 v[2:3], v[4:5], v[4:5] op_sel:[0,1]
	v_mov_b32_e32 v1, 0
	s_and_saveexec_b64 s[0:1], vcc
	s_cbranch_execz .LBB1200_47
; %bb.46:
	v_lshlrev_b32_e32 v1, 3, v0
	global_load_dwordx2 v[6:7], v1, s[16:17]
	v_mov_b32_e32 v1, s39
	v_add_co_u32_e32 v2, vcc, s38, v0
	v_addc_co_u32_e32 v3, vcc, 0, v1, vcc
	v_mov_b32_e32 v9, s37
	v_add_co_u32_e32 v8, vcc, s36, v0
	v_addc_co_u32_e32 v9, vcc, 0, v9, vcc
	s_waitcnt vmcnt(0)
	v_cmp_ne_u64_e32 vcc, v[6:7], v[8:9]
	v_cndmask_b32_e64 v1, 0, 1, vcc
.LBB1200_47:
	s_or_b64 exec, exec, s[0:1]
	v_or_b32_e32 v6, 0x100, v0
	v_cmp_gt_u32_e32 vcc, s35, v6
	s_and_saveexec_b64 s[2:3], vcc
	s_cbranch_execz .LBB1200_49
; %bb.48:
	v_lshlrev_b32_e32 v4, 3, v0
	global_load_dwordx2 v[8:9], v4, s[16:17] offset:2048
	v_mov_b32_e32 v5, s39
	v_add_co_u32_e64 v4, s[0:1], s38, v6
	v_addc_co_u32_e64 v5, s[0:1], 0, v5, s[0:1]
	v_mov_b32_e32 v7, s37
	v_add_co_u32_e64 v6, s[0:1], s36, v6
	v_addc_co_u32_e64 v7, s[0:1], 0, v7, s[0:1]
	s_waitcnt vmcnt(0)
	v_cmp_ne_u64_e64 s[0:1], v[8:9], v[6:7]
	v_cndmask_b32_e64 v18, 0, 1, s[0:1]
.LBB1200_49:
	s_or_b64 exec, exec, s[2:3]
	v_or_b32_e32 v8, 0x200, v0
	v_pk_mov_b32 v[6:7], 0, 0
	v_cmp_gt_u32_e64 s[0:1], s35, v8
	v_mov_b32_e32 v19, 0
	v_pk_mov_b32 v[12:13], v[6:7], v[6:7] op_sel:[0,1]
	v_mov_b32_e32 v22, 0
	s_and_saveexec_b64 s[8:9], s[0:1]
	s_cbranch_execz .LBB1200_51
; %bb.50:
	v_lshlrev_b32_e32 v9, 3, v8
	global_load_dwordx2 v[10:11], v9, s[16:17]
	v_mov_b32_e32 v9, s39
	v_add_co_u32_e64 v12, s[2:3], s38, v8
	v_addc_co_u32_e64 v13, s[2:3], 0, v9, s[2:3]
	v_mov_b32_e32 v14, s37
	v_add_co_u32_e64 v8, s[2:3], s36, v8
	v_addc_co_u32_e64 v9, s[2:3], 0, v14, s[2:3]
	s_waitcnt vmcnt(0)
	v_cmp_ne_u64_e64 s[2:3], v[10:11], v[8:9]
	v_cndmask_b32_e64 v22, 0, 1, s[2:3]
.LBB1200_51:
	s_or_b64 exec, exec, s[8:9]
	v_or_b32_e32 v8, 0x300, v0
	v_cmp_gt_u32_e64 s[2:3], s35, v8
	s_and_saveexec_b64 s[10:11], s[2:3]
	s_cbranch_execz .LBB1200_53
; %bb.52:
	v_lshlrev_b32_e32 v6, 3, v8
	global_load_dwordx2 v[10:11], v6, s[16:17]
	v_mov_b32_e32 v7, s39
	v_add_co_u32_e64 v6, s[8:9], s38, v8
	v_addc_co_u32_e64 v7, s[8:9], 0, v7, s[8:9]
	v_mov_b32_e32 v9, s37
	v_add_co_u32_e64 v8, s[8:9], s36, v8
	v_addc_co_u32_e64 v9, s[8:9], 0, v9, s[8:9]
	s_waitcnt vmcnt(0)
	v_cmp_ne_u64_e64 s[8:9], v[10:11], v[8:9]
	v_cndmask_b32_e64 v19, 0, 1, s[8:9]
.LBB1200_53:
	s_or_b64 exec, exec, s[10:11]
	v_or_b32_e32 v10, 0x400, v0
	v_pk_mov_b32 v[8:9], 0, 0
	v_cmp_gt_u32_e64 s[8:9], s35, v10
	v_mov_b32_e32 v20, 0
	v_pk_mov_b32 v[14:15], v[8:9], v[8:9] op_sel:[0,1]
	v_mov_b32_e32 v23, 0
	s_and_saveexec_b64 s[12:13], s[8:9]
	s_cbranch_execz .LBB1200_55
; %bb.54:
	v_lshlrev_b32_e32 v11, 3, v10
	global_load_dwordx2 v[16:17], v11, s[16:17]
	v_mov_b32_e32 v11, s39
	v_add_co_u32_e64 v14, s[10:11], s38, v10
	v_addc_co_u32_e64 v15, s[10:11], 0, v11, s[10:11]
	v_mov_b32_e32 v21, s37
	v_add_co_u32_e64 v10, s[10:11], s36, v10
	v_addc_co_u32_e64 v11, s[10:11], 0, v21, s[10:11]
	s_waitcnt vmcnt(0)
	v_cmp_ne_u64_e64 s[10:11], v[16:17], v[10:11]
	v_cndmask_b32_e64 v23, 0, 1, s[10:11]
.LBB1200_55:
	s_or_b64 exec, exec, s[12:13]
	v_or_b32_e32 v10, 0x500, v0
	v_cmp_gt_u32_e64 s[10:11], s35, v10
	s_and_saveexec_b64 s[14:15], s[10:11]
	s_cbranch_execz .LBB1200_57
; %bb.56:
	v_lshlrev_b32_e32 v8, 3, v10
	global_load_dwordx2 v[16:17], v8, s[16:17]
	v_mov_b32_e32 v9, s39
	v_add_co_u32_e64 v8, s[12:13], s38, v10
	v_addc_co_u32_e64 v9, s[12:13], 0, v9, s[12:13]
	v_mov_b32_e32 v11, s37
	v_add_co_u32_e64 v10, s[12:13], s36, v10
	v_addc_co_u32_e64 v11, s[12:13], 0, v11, s[12:13]
	s_waitcnt vmcnt(0)
	v_cmp_ne_u64_e64 s[12:13], v[16:17], v[10:11]
	v_cndmask_b32_e64 v20, 0, 1, s[12:13]
.LBB1200_57:
	s_or_b64 exec, exec, s[14:15]
	v_or_b32_e32 v25, 0x600, v0
	v_pk_mov_b32 v[10:11], 0, 0
	v_cmp_gt_u32_e64 s[12:13], s35, v25
	v_mov_b32_e32 v21, 0
	v_mov_b32_e32 v24, 0
	v_pk_mov_b32 v[16:17], v[10:11], v[10:11] op_sel:[0,1]
	s_and_saveexec_b64 s[30:31], s[12:13]
	s_cbranch_execz .LBB1200_59
; %bb.58:
	v_lshlrev_b32_e32 v16, 3, v25
	global_load_dwordx2 v[26:27], v16, s[16:17]
	v_mov_b32_e32 v17, s39
	v_add_co_u32_e64 v16, s[14:15], s38, v25
	v_addc_co_u32_e64 v17, s[14:15], 0, v17, s[14:15]
	v_mov_b32_e32 v28, s37
	v_add_co_u32_e64 v24, s[14:15], s36, v25
	v_addc_co_u32_e64 v25, s[14:15], 0, v28, s[14:15]
	s_waitcnt vmcnt(0)
	v_cmp_ne_u64_e64 s[14:15], v[26:27], v[24:25]
	v_cndmask_b32_e64 v24, 0, 1, s[14:15]
.LBB1200_59:
	s_or_b64 exec, exec, s[30:31]
	v_or_b32_e32 v25, 0x700, v0
	v_cmp_gt_u32_e64 s[14:15], s35, v25
	s_and_saveexec_b64 s[30:31], s[14:15]
	s_cbranch_execnz .LBB1200_240
; %bb.60:
	s_or_b64 exec, exec, s[30:31]
	s_and_saveexec_b64 s[30:31], vcc
	s_cbranch_execnz .LBB1200_241
.LBB1200_61:
	s_or_b64 exec, exec, s[30:31]
	s_and_saveexec_b64 s[16:17], s[0:1]
	s_cbranch_execnz .LBB1200_242
.LBB1200_62:
	s_or_b64 exec, exec, s[16:17]
	s_and_saveexec_b64 s[16:17], s[2:3]
	s_cbranch_execnz .LBB1200_243
.LBB1200_63:
	s_or_b64 exec, exec, s[16:17]
	s_and_saveexec_b64 s[2:3], s[8:9]
	s_cbranch_execnz .LBB1200_244
.LBB1200_64:
	s_or_b64 exec, exec, s[2:3]
	s_and_saveexec_b64 s[2:3], s[10:11]
	s_cbranch_execnz .LBB1200_245
.LBB1200_65:
	s_or_b64 exec, exec, s[2:3]
	s_and_saveexec_b64 s[2:3], s[12:13]
	s_cbranch_execnz .LBB1200_246
.LBB1200_66:
	s_or_b64 exec, exec, s[2:3]
	s_and_saveexec_b64 s[2:3], s[14:15]
	s_cbranch_execz .LBB1200_68
.LBB1200_67:
	v_and_b32_e32 v5, 1, v21
	v_cmp_lt_i64_e32 vcc, v[10:11], v[2:3]
	v_cmp_eq_u32_e64 s[0:1], 1, v5
	v_and_b32_e32 v4, 1, v1
	s_and_b64 vcc, s[0:1], vcc
	v_cndmask_b32_e64 v1, v1, 1, s[0:1]
	v_cndmask_b32_e32 v2, v2, v10, vcc
	v_cndmask_b32_e32 v3, v3, v11, vcc
	v_cmp_eq_u32_e32 vcc, 1, v4
	v_cndmask_b32_e32 v1, v21, v1, vcc
	v_cndmask_b32_e32 v3, v11, v3, vcc
	;; [unrolled: 1-line block ×3, first 2 shown]
.LBB1200_68:
	s_or_b64 exec, exec, s[2:3]
	v_mbcnt_lo_u32_b32 v4, -1, 0
	v_mbcnt_hi_u32_b32 v6, -1, v4
	v_and_b32_e32 v8, 63, v6
	v_cmp_ne_u32_e32 vcc, 63, v8
	v_addc_co_u32_e32 v4, vcc, 0, v6, vcc
	v_and_b32_e32 v7, 0xffff, v1
	v_lshlrev_b32_e32 v5, 2, v4
	ds_bpermute_b32 v11, v5, v7
	ds_bpermute_b32 v4, v5, v2
	;; [unrolled: 1-line block ×3, first 2 shown]
	s_min_u32 s8, s35, 0x100
	v_and_b32_e32 v9, 0xc0, v0
	v_sub_u32_e64 v10, s8, v9 clamp
	v_add_u32_e32 v9, 1, v8
	v_cmp_lt_u32_e32 vcc, v9, v10
	v_mov_b32_e32 v9, v7
	s_and_saveexec_b64 s[0:1], vcc
	s_xor_b64 s[2:3], exec, s[0:1]
	s_cbranch_execz .LBB1200_70
; %bb.69:
	s_waitcnt lgkmcnt(2)
	v_and_b32_e32 v9, 1, v11
	s_waitcnt lgkmcnt(0)
	v_cmp_lt_i64_e32 vcc, v[4:5], v[2:3]
	v_cmp_eq_u32_e64 s[0:1], 1, v9
	v_and_b32_e32 v1, 1, v1
	s_and_b64 vcc, s[0:1], vcc
	v_cndmask_b32_e64 v7, v7, 1, s[0:1]
	v_cndmask_b32_e32 v2, v2, v4, vcc
	v_cndmask_b32_e32 v3, v3, v5, vcc
	v_cmp_eq_u32_e32 vcc, 1, v1
	v_cndmask_b32_e32 v9, v11, v7, vcc
	v_cndmask_b32_e32 v3, v5, v3, vcc
	;; [unrolled: 1-line block ×3, first 2 shown]
	v_and_b32_e32 v7, 0xff, v9
.LBB1200_70:
	s_or_b64 exec, exec, s[2:3]
	v_cmp_gt_u32_e32 vcc, 62, v8
	v_cndmask_b32_e64 v1, 0, 1, vcc
	v_lshlrev_b32_e32 v1, 1, v1
	s_waitcnt lgkmcnt(0)
	v_add_lshl_u32 v5, v1, v6, 2
	ds_bpermute_b32 v1, v5, v7
	ds_bpermute_b32 v4, v5, v2
	ds_bpermute_b32 v5, v5, v3
	v_add_u32_e32 v11, 2, v8
	v_cmp_lt_u32_e32 vcc, v11, v10
	s_and_saveexec_b64 s[2:3], vcc
	s_cbranch_execz .LBB1200_72
; %bb.71:
	s_waitcnt lgkmcnt(2)
	v_and_b32_e32 v11, 1, v1
	s_waitcnt lgkmcnt(0)
	v_cmp_lt_i64_e32 vcc, v[4:5], v[2:3]
	v_cmp_eq_u32_e64 s[0:1], 1, v11
	v_and_b32_e32 v7, 1, v9
	s_and_b64 vcc, s[0:1], vcc
	v_cndmask_b32_e64 v9, v9, 1, s[0:1]
	v_cndmask_b32_e32 v2, v2, v4, vcc
	v_cndmask_b32_e32 v3, v3, v5, vcc
	v_cmp_eq_u32_e32 vcc, 1, v7
	v_cndmask_b32_e32 v9, v1, v9, vcc
	v_cndmask_b32_e32 v3, v5, v3, vcc
	v_cndmask_b32_e32 v2, v4, v2, vcc
	v_and_b32_e32 v7, 0xff, v9
.LBB1200_72:
	s_or_b64 exec, exec, s[2:3]
	v_cmp_gt_u32_e32 vcc, 60, v8
	s_waitcnt lgkmcnt(2)
	v_cndmask_b32_e64 v1, 0, 1, vcc
	v_lshlrev_b32_e32 v1, 2, v1
	s_waitcnt lgkmcnt(0)
	v_add_lshl_u32 v5, v1, v6, 2
	ds_bpermute_b32 v1, v5, v7
	ds_bpermute_b32 v4, v5, v2
	ds_bpermute_b32 v5, v5, v3
	v_add_u32_e32 v11, 4, v8
	v_cmp_lt_u32_e32 vcc, v11, v10
	s_and_saveexec_b64 s[2:3], vcc
	s_cbranch_execz .LBB1200_74
; %bb.73:
	s_waitcnt lgkmcnt(2)
	v_and_b32_e32 v11, 1, v1
	s_waitcnt lgkmcnt(0)
	v_cmp_lt_i64_e32 vcc, v[4:5], v[2:3]
	v_cmp_eq_u32_e64 s[0:1], 1, v11
	v_and_b32_e32 v7, 1, v9
	s_and_b64 vcc, s[0:1], vcc
	v_cndmask_b32_e64 v9, v9, 1, s[0:1]
	v_cndmask_b32_e32 v2, v2, v4, vcc
	v_cndmask_b32_e32 v3, v3, v5, vcc
	v_cmp_eq_u32_e32 vcc, 1, v7
	v_cndmask_b32_e32 v9, v1, v9, vcc
	v_cndmask_b32_e32 v3, v5, v3, vcc
	v_cndmask_b32_e32 v2, v4, v2, vcc
	v_and_b32_e32 v7, 0xff, v9
.LBB1200_74:
	s_or_b64 exec, exec, s[2:3]
	v_cmp_gt_u32_e32 vcc, 56, v8
	s_waitcnt lgkmcnt(2)
	;; [unrolled: 31-line block ×4, first 2 shown]
	v_cndmask_b32_e64 v1, 0, 1, vcc
	v_lshlrev_b32_e32 v1, 5, v1
	s_waitcnt lgkmcnt(0)
	v_add_lshl_u32 v5, v1, v6, 2
	ds_bpermute_b32 v1, v5, v7
	ds_bpermute_b32 v4, v5, v2
	;; [unrolled: 1-line block ×3, first 2 shown]
	v_add_u32_e32 v8, 32, v8
	v_cmp_lt_u32_e32 vcc, v8, v10
	s_and_saveexec_b64 s[2:3], vcc
	s_cbranch_execz .LBB1200_80
; %bb.79:
	s_waitcnt lgkmcnt(2)
	v_and_b32_e32 v8, 1, v1
	s_waitcnt lgkmcnt(0)
	v_cmp_lt_i64_e32 vcc, v[4:5], v[2:3]
	v_cmp_eq_u32_e64 s[0:1], 1, v8
	v_and_b32_e32 v7, 1, v9
	s_and_b64 vcc, s[0:1], vcc
	v_cndmask_b32_e64 v8, v9, 1, s[0:1]
	v_cndmask_b32_e32 v2, v2, v4, vcc
	v_cndmask_b32_e32 v3, v3, v5, vcc
	v_cmp_eq_u32_e32 vcc, 1, v7
	v_cndmask_b32_e32 v9, v1, v8, vcc
	v_cndmask_b32_e32 v3, v5, v3, vcc
	;; [unrolled: 1-line block ×3, first 2 shown]
	v_and_b32_e32 v7, 0xff, v9
.LBB1200_80:
	s_or_b64 exec, exec, s[2:3]
	v_cmp_eq_u32_e32 vcc, 0, v6
	s_and_saveexec_b64 s[0:1], vcc
	s_cbranch_execz .LBB1200_82
; %bb.81:
	s_waitcnt lgkmcnt(2)
	v_lshrrev_b32_e32 v1, 2, v0
	v_and_b32_e32 v1, 48, v1
	ds_write_b8 v1, v9 offset:256
	ds_write_b64 v1, v[2:3] offset:264
.LBB1200_82:
	s_or_b64 exec, exec, s[0:1]
	v_cmp_gt_u32_e32 vcc, 4, v0
	s_waitcnt lgkmcnt(0)
	s_barrier
	s_and_saveexec_b64 s[2:3], vcc
	s_cbranch_execz .LBB1200_88
; %bb.83:
	v_lshlrev_b32_e32 v2, 4, v6
	ds_read_u8 v1, v2 offset:256
	ds_read_b64 v[2:3], v2 offset:264
	v_and_b32_e32 v8, 3, v6
	v_cmp_ne_u32_e32 vcc, 3, v8
	v_addc_co_u32_e32 v4, vcc, 0, v6, vcc
	s_waitcnt lgkmcnt(1)
	v_and_b32_e32 v7, 0xff, v1
	v_lshlrev_b32_e32 v5, 2, v4
	ds_bpermute_b32 v9, v5, v7
	s_waitcnt lgkmcnt(1)
	ds_bpermute_b32 v4, v5, v2
	ds_bpermute_b32 v5, v5, v3
	s_add_i32 s8, s8, 63
	s_lshr_b32 s10, s8, 6
	v_add_u32_e32 v10, 1, v8
	v_cmp_gt_u32_e32 vcc, s10, v10
	s_and_saveexec_b64 s[8:9], vcc
	s_cbranch_execz .LBB1200_85
; %bb.84:
	s_waitcnt lgkmcnt(2)
	v_and_b32_e32 v10, 1, v9
	s_waitcnt lgkmcnt(0)
	v_cmp_lt_i64_e32 vcc, v[4:5], v[2:3]
	v_cmp_eq_u32_e64 s[0:1], 1, v10
	v_and_b32_e32 v7, 1, v1
	s_and_b64 vcc, s[0:1], vcc
	v_cndmask_b32_e64 v1, v1, 1, s[0:1]
	v_cndmask_b32_e32 v2, v2, v4, vcc
	v_cndmask_b32_e32 v3, v3, v5, vcc
	v_cmp_eq_u32_e32 vcc, 1, v7
	v_cndmask_b32_e32 v1, v9, v1, vcc
	v_cndmask_b32_e32 v3, v5, v3, vcc
	;; [unrolled: 1-line block ×3, first 2 shown]
	v_and_b32_e32 v7, 0xff, v1
.LBB1200_85:
	s_or_b64 exec, exec, s[8:9]
	v_cmp_gt_u32_e32 vcc, 2, v8
	s_waitcnt lgkmcnt(1)
	v_cndmask_b32_e64 v4, 0, 1, vcc
	v_lshlrev_b32_e32 v4, 1, v4
	s_waitcnt lgkmcnt(0)
	v_add_lshl_u32 v5, v4, v6, 2
	ds_bpermute_b32 v6, v5, v7
	ds_bpermute_b32 v4, v5, v2
	;; [unrolled: 1-line block ×3, first 2 shown]
	v_add_u32_e32 v8, 2, v8
	v_cmp_gt_u32_e32 vcc, s10, v8
	s_and_saveexec_b64 s[8:9], vcc
	s_cbranch_execz .LBB1200_87
; %bb.86:
	s_waitcnt lgkmcnt(2)
	v_and_b32_e32 v8, 1, v6
	s_waitcnt lgkmcnt(0)
	v_cmp_lt_i64_e32 vcc, v[4:5], v[2:3]
	v_cmp_eq_u32_e64 s[0:1], 1, v8
	v_and_b32_e32 v7, 1, v1
	s_and_b64 vcc, s[0:1], vcc
	v_cndmask_b32_e64 v1, v1, 1, s[0:1]
	v_cndmask_b32_e32 v2, v2, v4, vcc
	v_cndmask_b32_e32 v3, v3, v5, vcc
	v_cmp_eq_u32_e32 vcc, 1, v7
	v_cndmask_b32_e32 v1, v6, v1, vcc
	v_cndmask_b32_e32 v3, v5, v3, vcc
	;; [unrolled: 1-line block ×3, first 2 shown]
	v_and_b32_e32 v7, 0xff, v1
.LBB1200_87:
	s_or_b64 exec, exec, s[8:9]
.LBB1200_88:
	s_or_b64 exec, exec, s[2:3]
.LBB1200_89:
	v_cmp_eq_u32_e32 vcc, 0, v0
	s_mov_b64 s[10:11], 0
                                        ; implicit-def: $vgpr4_vgpr5
                                        ; implicit-def: $vgpr1
	s_and_saveexec_b64 s[0:1], vcc
	s_xor_b64 s[8:9], exec, s[0:1]
	s_cbranch_execz .LBB1200_93
; %bb.90:
	s_cmp_eq_u64 s[22:23], 0
	s_waitcnt lgkmcnt(0)
	v_pk_mov_b32 v[4:5], s[18:19], s[18:19] op_sel:[0,1]
	v_mov_b32_e32 v1, s33
	s_cbranch_scc1 .LBB1200_92
; %bb.91:
	v_and_b32_e32 v1, 1, v7
	s_bitcmp1_b32 s33, 0
	v_mov_b32_e32 v4, s33
	v_cmp_eq_u32_e32 vcc, 1, v1
	v_cmp_gt_i64_e64 s[2:3], s[18:19], v[2:3]
	v_cndmask_b32_e64 v1, v4, 1, vcc
	s_cselect_b64 s[0:1], -1, 0
	v_mov_b32_e32 v4, s18
	s_and_b64 vcc, vcc, s[2:3]
	v_mov_b32_e32 v5, s19
	v_cndmask_b32_e32 v4, v4, v2, vcc
	v_cndmask_b32_e32 v5, v5, v3, vcc
	v_cndmask_b32_e64 v1, v7, v1, s[0:1]
	v_cndmask_b32_e64 v5, v3, v5, s[0:1]
	;; [unrolled: 1-line block ×3, first 2 shown]
.LBB1200_92:
	s_mov_b64 s[10:11], exec
.LBB1200_93:
	s_or_b64 exec, exec, s[8:9]
	s_and_b64 vcc, exec, s[28:29]
	s_cbranch_vccnz .LBB1200_24
.LBB1200_94:
	s_branch .LBB1200_208
.LBB1200_95:
                                        ; implicit-def: $vgpr2_vgpr3
                                        ; implicit-def: $vgpr6
	s_cbranch_execz .LBB1200_128
; %bb.96:
	s_sub_i32 s14, s22, s12
	s_add_u32 s15, s26, s12
	s_addc_u32 s16, s27, 0
	s_add_u32 s17, s20, s12
	s_waitcnt lgkmcnt(0)
	v_pk_mov_b32 v[4:5], 0, 0
	s_addc_u32 s28, s21, 0
	v_cmp_gt_u32_e32 vcc, s14, v0
	v_mov_b32_e32 v1, 0
	v_pk_mov_b32 v[2:3], v[4:5], v[4:5] op_sel:[0,1]
	v_mov_b32_e32 v10, 0
	s_and_saveexec_b64 s[0:1], vcc
	s_cbranch_execz .LBB1200_98
; %bb.97:
	v_lshlrev_b32_e32 v2, 3, v0
	global_load_dwordx2 v[6:7], v2, s[8:9]
	v_mov_b32_e32 v3, s28
	v_add_co_u32_e32 v2, vcc, s17, v0
	v_addc_co_u32_e32 v3, vcc, 0, v3, vcc
	v_mov_b32_e32 v9, s16
	v_add_co_u32_e32 v8, vcc, s15, v0
	v_addc_co_u32_e32 v9, vcc, 0, v9, vcc
	s_waitcnt vmcnt(0)
	v_cmp_ne_u64_e32 vcc, v[6:7], v[8:9]
	v_cndmask_b32_e64 v10, 0, 1, vcc
.LBB1200_98:
	s_or_b64 exec, exec, s[0:1]
	v_or_b32_e32 v6, 0x100, v0
	v_cmp_gt_u32_e32 vcc, s14, v6
	s_and_saveexec_b64 s[2:3], vcc
	s_cbranch_execz .LBB1200_100
; %bb.99:
	v_lshlrev_b32_e32 v1, 3, v0
	global_load_dwordx2 v[8:9], v1, s[8:9] offset:2048
	v_mov_b32_e32 v1, s28
	v_add_co_u32_e64 v4, s[0:1], s17, v6
	v_addc_co_u32_e64 v5, s[0:1], 0, v1, s[0:1]
	v_mov_b32_e32 v7, s16
	v_add_co_u32_e64 v6, s[0:1], s15, v6
	v_addc_co_u32_e64 v7, s[0:1], 0, v7, s[0:1]
	s_waitcnt vmcnt(0)
	v_cmp_ne_u64_e64 s[0:1], v[8:9], v[6:7]
	v_cndmask_b32_e64 v1, 0, 1, s[0:1]
.LBB1200_100:
	s_or_b64 exec, exec, s[2:3]
	v_or_b32_e32 v13, 0x200, v0
	v_pk_mov_b32 v[6:7], 0, 0
	v_cmp_gt_u32_e64 s[0:1], s14, v13
	v_mov_b32_e32 v11, 0
	v_pk_mov_b32 v[8:9], v[6:7], v[6:7] op_sel:[0,1]
	v_mov_b32_e32 v12, 0
	s_and_saveexec_b64 s[12:13], s[0:1]
	s_cbranch_execz .LBB1200_102
; %bb.101:
	v_lshlrev_b32_e32 v8, 3, v13
	global_load_dwordx2 v[14:15], v8, s[8:9]
	v_mov_b32_e32 v9, s28
	v_add_co_u32_e64 v8, s[2:3], s17, v13
	v_addc_co_u32_e64 v9, s[2:3], 0, v9, s[2:3]
	v_mov_b32_e32 v16, s16
	v_add_co_u32_e64 v12, s[2:3], s15, v13
	v_addc_co_u32_e64 v13, s[2:3], 0, v16, s[2:3]
	s_waitcnt vmcnt(0)
	v_cmp_ne_u64_e64 s[2:3], v[14:15], v[12:13]
	v_cndmask_b32_e64 v12, 0, 1, s[2:3]
.LBB1200_102:
	s_or_b64 exec, exec, s[12:13]
	v_or_b32_e32 v13, 0x300, v0
	v_cmp_gt_u32_e64 s[2:3], s14, v13
	s_and_saveexec_b64 s[12:13], s[2:3]
	s_cbranch_execnz .LBB1200_247
; %bb.103:
	s_or_b64 exec, exec, s[12:13]
	s_and_saveexec_b64 s[12:13], vcc
	s_cbranch_execnz .LBB1200_248
.LBB1200_104:
	s_or_b64 exec, exec, s[12:13]
	s_and_saveexec_b64 s[8:9], s[0:1]
	s_cbranch_execnz .LBB1200_249
.LBB1200_105:
	s_or_b64 exec, exec, s[8:9]
	s_and_saveexec_b64 s[8:9], s[2:3]
	s_cbranch_execz .LBB1200_107
.LBB1200_106:
	v_and_b32_e32 v4, 1, v11
	v_cmp_lt_i64_e32 vcc, v[6:7], v[2:3]
	v_cmp_eq_u32_e64 s[0:1], 1, v4
	v_and_b32_e32 v1, 1, v10
	s_and_b64 vcc, s[0:1], vcc
	v_cndmask_b32_e64 v4, v10, 1, s[0:1]
	v_cndmask_b32_e32 v2, v2, v6, vcc
	v_cndmask_b32_e32 v3, v3, v7, vcc
	v_cmp_eq_u32_e32 vcc, 1, v1
	v_cndmask_b32_e32 v10, v11, v4, vcc
	v_cndmask_b32_e32 v3, v7, v3, vcc
	;; [unrolled: 1-line block ×3, first 2 shown]
.LBB1200_107:
	s_or_b64 exec, exec, s[8:9]
	v_mbcnt_lo_u32_b32 v1, -1, 0
	v_mbcnt_hi_u32_b32 v1, -1, v1
	v_and_b32_e32 v7, 63, v1
	v_cmp_ne_u32_e32 vcc, 63, v7
	v_addc_co_u32_e32 v4, vcc, 0, v1, vcc
	v_and_b32_e32 v6, 0xffff, v10
	v_lshlrev_b32_e32 v5, 2, v4
	ds_bpermute_b32 v11, v5, v6
	ds_bpermute_b32 v4, v5, v2
	;; [unrolled: 1-line block ×3, first 2 shown]
	s_min_u32 s8, s14, 0x100
	v_and_b32_e32 v8, 0xc0, v0
	v_sub_u32_e64 v9, s8, v8 clamp
	v_add_u32_e32 v8, 1, v7
	v_cmp_lt_u32_e32 vcc, v8, v9
	v_mov_b32_e32 v8, v6
	s_and_saveexec_b64 s[0:1], vcc
	s_xor_b64 s[2:3], exec, s[0:1]
	s_cbranch_execz .LBB1200_109
; %bb.108:
	v_and_b32_e32 v8, 1, v10
	s_waitcnt lgkmcnt(2)
	v_and_b32_e32 v10, 1, v11
	s_waitcnt lgkmcnt(0)
	v_cmp_lt_i64_e32 vcc, v[4:5], v[2:3]
	v_cmp_eq_u32_e64 s[0:1], 1, v10
	s_and_b64 vcc, s[0:1], vcc
	v_cndmask_b32_e64 v6, v6, 1, s[0:1]
	v_cndmask_b32_e32 v2, v2, v4, vcc
	v_cndmask_b32_e32 v3, v3, v5, vcc
	v_cmp_eq_u32_e32 vcc, 1, v8
	v_cndmask_b32_e32 v8, v11, v6, vcc
	v_cndmask_b32_e32 v3, v5, v3, vcc
	;; [unrolled: 1-line block ×3, first 2 shown]
	v_and_b32_e32 v6, 0xff, v8
.LBB1200_109:
	s_or_b64 exec, exec, s[2:3]
	v_cmp_gt_u32_e32 vcc, 62, v7
	s_waitcnt lgkmcnt(1)
	v_cndmask_b32_e64 v4, 0, 1, vcc
	v_lshlrev_b32_e32 v4, 1, v4
	s_waitcnt lgkmcnt(0)
	v_add_lshl_u32 v5, v4, v1, 2
	ds_bpermute_b32 v10, v5, v6
	ds_bpermute_b32 v4, v5, v2
	ds_bpermute_b32 v5, v5, v3
	v_add_u32_e32 v11, 2, v7
	v_cmp_lt_u32_e32 vcc, v11, v9
	s_and_saveexec_b64 s[2:3], vcc
	s_cbranch_execz .LBB1200_111
; %bb.110:
	s_waitcnt lgkmcnt(2)
	v_and_b32_e32 v11, 1, v10
	s_waitcnt lgkmcnt(0)
	v_cmp_lt_i64_e32 vcc, v[4:5], v[2:3]
	v_cmp_eq_u32_e64 s[0:1], 1, v11
	v_and_b32_e32 v6, 1, v8
	s_and_b64 vcc, s[0:1], vcc
	v_cndmask_b32_e64 v8, v8, 1, s[0:1]
	v_cndmask_b32_e32 v2, v2, v4, vcc
	v_cndmask_b32_e32 v3, v3, v5, vcc
	v_cmp_eq_u32_e32 vcc, 1, v6
	v_cndmask_b32_e32 v8, v10, v8, vcc
	v_cndmask_b32_e32 v3, v5, v3, vcc
	v_cndmask_b32_e32 v2, v4, v2, vcc
	v_and_b32_e32 v6, 0xff, v8
.LBB1200_111:
	s_or_b64 exec, exec, s[2:3]
	v_cmp_gt_u32_e32 vcc, 60, v7
	s_waitcnt lgkmcnt(1)
	v_cndmask_b32_e64 v4, 0, 1, vcc
	v_lshlrev_b32_e32 v4, 2, v4
	s_waitcnt lgkmcnt(0)
	v_add_lshl_u32 v5, v4, v1, 2
	ds_bpermute_b32 v10, v5, v6
	ds_bpermute_b32 v4, v5, v2
	ds_bpermute_b32 v5, v5, v3
	v_add_u32_e32 v11, 4, v7
	v_cmp_lt_u32_e32 vcc, v11, v9
	s_and_saveexec_b64 s[2:3], vcc
	s_cbranch_execz .LBB1200_113
; %bb.112:
	s_waitcnt lgkmcnt(2)
	v_and_b32_e32 v11, 1, v10
	s_waitcnt lgkmcnt(0)
	v_cmp_lt_i64_e32 vcc, v[4:5], v[2:3]
	v_cmp_eq_u32_e64 s[0:1], 1, v11
	v_and_b32_e32 v6, 1, v8
	s_and_b64 vcc, s[0:1], vcc
	v_cndmask_b32_e64 v8, v8, 1, s[0:1]
	v_cndmask_b32_e32 v2, v2, v4, vcc
	v_cndmask_b32_e32 v3, v3, v5, vcc
	v_cmp_eq_u32_e32 vcc, 1, v6
	v_cndmask_b32_e32 v8, v10, v8, vcc
	v_cndmask_b32_e32 v3, v5, v3, vcc
	v_cndmask_b32_e32 v2, v4, v2, vcc
	v_and_b32_e32 v6, 0xff, v8
.LBB1200_113:
	;; [unrolled: 31-line block ×5, first 2 shown]
	s_or_b64 exec, exec, s[2:3]
	v_cmp_eq_u32_e32 vcc, 0, v1
	s_and_saveexec_b64 s[0:1], vcc
	s_cbranch_execz .LBB1200_121
; %bb.120:
	s_waitcnt lgkmcnt(1)
	v_lshrrev_b32_e32 v4, 2, v0
	v_and_b32_e32 v4, 48, v4
	ds_write_b8 v4, v8 offset:256
	ds_write_b64 v4, v[2:3] offset:264
.LBB1200_121:
	s_or_b64 exec, exec, s[0:1]
	v_cmp_gt_u32_e32 vcc, 4, v0
	s_waitcnt lgkmcnt(0)
	s_barrier
	s_and_saveexec_b64 s[2:3], vcc
	s_cbranch_execz .LBB1200_127
; %bb.122:
	v_lshlrev_b32_e32 v2, 4, v1
	ds_read_u8 v7, v2 offset:256
	ds_read_b64 v[2:3], v2 offset:264
	v_and_b32_e32 v8, 3, v1
	v_cmp_ne_u32_e32 vcc, 3, v8
	v_addc_co_u32_e32 v4, vcc, 0, v1, vcc
	s_waitcnt lgkmcnt(1)
	v_and_b32_e32 v6, 0xff, v7
	v_lshlrev_b32_e32 v5, 2, v4
	ds_bpermute_b32 v9, v5, v6
	s_waitcnt lgkmcnt(1)
	ds_bpermute_b32 v4, v5, v2
	ds_bpermute_b32 v5, v5, v3
	s_add_i32 s8, s8, 63
	s_lshr_b32 s12, s8, 6
	v_add_u32_e32 v10, 1, v8
	v_cmp_gt_u32_e32 vcc, s12, v10
	s_and_saveexec_b64 s[8:9], vcc
	s_cbranch_execz .LBB1200_124
; %bb.123:
	s_waitcnt lgkmcnt(2)
	v_and_b32_e32 v10, 1, v9
	s_waitcnt lgkmcnt(0)
	v_cmp_lt_i64_e32 vcc, v[4:5], v[2:3]
	v_cmp_eq_u32_e64 s[0:1], 1, v10
	v_and_b32_e32 v6, 1, v7
	s_and_b64 vcc, s[0:1], vcc
	v_cndmask_b32_e64 v7, v7, 1, s[0:1]
	v_cndmask_b32_e32 v2, v2, v4, vcc
	v_cndmask_b32_e32 v3, v3, v5, vcc
	v_cmp_eq_u32_e32 vcc, 1, v6
	v_cndmask_b32_e32 v7, v9, v7, vcc
	v_cndmask_b32_e32 v3, v5, v3, vcc
	;; [unrolled: 1-line block ×3, first 2 shown]
	v_and_b32_e32 v6, 0xff, v7
.LBB1200_124:
	s_or_b64 exec, exec, s[8:9]
	v_cmp_gt_u32_e32 vcc, 2, v8
	s_waitcnt lgkmcnt(1)
	v_cndmask_b32_e64 v4, 0, 1, vcc
	v_lshlrev_b32_e32 v4, 1, v4
	s_waitcnt lgkmcnt(0)
	v_add_lshl_u32 v5, v4, v1, 2
	ds_bpermute_b32 v1, v5, v6
	ds_bpermute_b32 v4, v5, v2
	;; [unrolled: 1-line block ×3, first 2 shown]
	v_add_u32_e32 v8, 2, v8
	v_cmp_gt_u32_e32 vcc, s12, v8
	s_and_saveexec_b64 s[8:9], vcc
	s_cbranch_execz .LBB1200_126
; %bb.125:
	s_waitcnt lgkmcnt(2)
	v_and_b32_e32 v8, 1, v1
	s_waitcnt lgkmcnt(0)
	v_cmp_lt_i64_e32 vcc, v[4:5], v[2:3]
	v_cmp_eq_u32_e64 s[0:1], 1, v8
	v_and_b32_e32 v6, 1, v7
	s_and_b64 vcc, s[0:1], vcc
	v_cndmask_b32_e64 v7, v7, 1, s[0:1]
	v_cndmask_b32_e32 v2, v2, v4, vcc
	v_cndmask_b32_e32 v3, v3, v5, vcc
	v_cmp_eq_u32_e32 vcc, 1, v6
	v_cndmask_b32_e32 v1, v1, v7, vcc
	v_cndmask_b32_e32 v3, v5, v3, vcc
	;; [unrolled: 1-line block ×3, first 2 shown]
	v_and_b32_e32 v6, 0xff, v1
.LBB1200_126:
	s_or_b64 exec, exec, s[8:9]
.LBB1200_127:
	s_or_b64 exec, exec, s[2:3]
.LBB1200_128:
	v_cmp_eq_u32_e32 vcc, 0, v0
                                        ; implicit-def: $vgpr4_vgpr5
                                        ; implicit-def: $vgpr1
	s_and_saveexec_b64 s[0:1], vcc
	s_xor_b64 s[8:9], exec, s[0:1]
	s_cbranch_execz .LBB1200_132
; %bb.129:
	s_cmp_eq_u64 s[22:23], 0
	s_waitcnt lgkmcnt(0)
	v_pk_mov_b32 v[4:5], s[18:19], s[18:19] op_sel:[0,1]
	v_mov_b32_e32 v1, s33
	s_cbranch_scc1 .LBB1200_131
; %bb.130:
	v_and_b32_e32 v1, 1, v6
	s_bitcmp1_b32 s33, 0
	v_mov_b32_e32 v4, s33
	v_cmp_eq_u32_e32 vcc, 1, v1
	v_cmp_gt_i64_e64 s[2:3], s[18:19], v[2:3]
	v_cndmask_b32_e64 v1, v4, 1, vcc
	s_cselect_b64 s[0:1], -1, 0
	v_mov_b32_e32 v4, s18
	s_and_b64 vcc, vcc, s[2:3]
	v_mov_b32_e32 v5, s19
	v_cndmask_b32_e32 v4, v4, v2, vcc
	v_cndmask_b32_e32 v5, v5, v3, vcc
	v_cndmask_b32_e64 v1, v6, v1, s[0:1]
	v_cndmask_b32_e64 v5, v3, v5, s[0:1]
	;; [unrolled: 1-line block ×3, first 2 shown]
.LBB1200_131:
	s_or_b64 s[10:11], s[10:11], exec
.LBB1200_132:
	s_or_b64 exec, exec, s[8:9]
	s_branch .LBB1200_208
.LBB1200_133:
	s_cmp_gt_i32 s34, 1
	s_cbranch_scc0 .LBB1200_153
; %bb.134:
	s_cmp_eq_u32 s34, 2
	s_cbranch_scc0 .LBB1200_154
; %bb.135:
	s_mov_b32 s7, 0
	s_lshl_b32 s8, s6, 9
	s_mov_b32 s9, s7
	s_lshr_b64 s[0:1], s[22:23], 9
	s_lshl_b64 s[2:3], s[8:9], 3
	s_add_u32 s2, s24, s2
	s_addc_u32 s3, s25, s3
	s_cmp_lg_u64 s[0:1], s[6:7]
	s_cbranch_scc0 .LBB1200_155
; %bb.136:
	s_waitcnt lgkmcnt(2)
	v_lshlrev_b32_e32 v1, 3, v0
	global_load_dwordx2 v[2:3], v1, s[2:3] offset:2048
	s_waitcnt lgkmcnt(0)
	global_load_dwordx2 v[4:5], v1, s[2:3]
	v_mov_b32_e32 v1, s9
	v_add_co_u32_e32 v9, vcc, s8, v0
	v_addc_co_u32_e32 v1, vcc, 0, v1, vcc
	v_mov_b32_e32 v7, s27
	v_add_co_u32_e32 v6, vcc, s26, v9
	v_addc_co_u32_e32 v7, vcc, v7, v1, vcc
	;; [unrolled: 3-line block ×3, first 2 shown]
	v_add_co_u32_e32 v8, vcc, 0x100, v6
	v_addc_co_u32_e32 v9, vcc, 0, v7, vcc
	v_add_co_u32_e32 v11, vcc, 0x100, v10
	v_addc_co_u32_e32 v12, vcc, 0, v1, vcc
	s_waitcnt vmcnt(1)
	v_cmp_ne_u64_e32 vcc, v[2:3], v[8:9]
	s_waitcnt vmcnt(0)
	v_cmp_ne_u64_e64 s[0:1], v[4:5], v[6:7]
	v_cndmask_b32_e64 v3, v12, v1, s[0:1]
	v_cndmask_b32_e64 v2, v11, v10, s[0:1]
	s_or_b64 s[0:1], s[0:1], vcc
	v_cndmask_b32_e64 v1, 0, 1, s[0:1]
	v_mov_b32_dpp v4, v2 quad_perm:[1,0,3,2] row_mask:0xf bank_mask:0xf bound_ctrl:1
	v_mov_b32_dpp v5, v3 quad_perm:[1,0,3,2] row_mask:0xf bank_mask:0xf bound_ctrl:1
	;; [unrolled: 1-line block ×3, first 2 shown]
	v_and_b32_e32 v7, 1, v6
	v_cmp_eq_u32_e32 vcc, 1, v7
	s_and_saveexec_b64 s[12:13], vcc
; %bb.137:
	v_cmp_lt_i64_e32 vcc, v[2:3], v[4:5]
	v_cndmask_b32_e64 v6, v6, 1, s[0:1]
	s_and_b64 vcc, s[0:1], vcc
	v_cndmask_b32_e32 v2, v4, v2, vcc
	v_and_b32_e32 v4, 1, v6
	v_cndmask_b32_e32 v3, v5, v3, vcc
	v_cmp_eq_u32_e32 vcc, 1, v4
	s_andn2_b64 s[0:1], s[0:1], exec
	s_and_b64 s[14:15], vcc, exec
	v_and_b32_e32 v1, 0xff, v6
	s_or_b64 s[0:1], s[0:1], s[14:15]
; %bb.138:
	s_or_b64 exec, exec, s[12:13]
	v_mov_b32_dpp v6, v1 quad_perm:[2,3,0,1] row_mask:0xf bank_mask:0xf bound_ctrl:1
	v_and_b32_e32 v7, 1, v6
	v_mov_b32_dpp v4, v2 quad_perm:[2,3,0,1] row_mask:0xf bank_mask:0xf bound_ctrl:1
	v_mov_b32_dpp v5, v3 quad_perm:[2,3,0,1] row_mask:0xf bank_mask:0xf bound_ctrl:1
	v_cmp_eq_u32_e32 vcc, 1, v7
	s_and_saveexec_b64 s[12:13], vcc
; %bb.139:
	v_cmp_lt_i64_e32 vcc, v[2:3], v[4:5]
	v_cndmask_b32_e64 v6, v6, 1, s[0:1]
	s_and_b64 vcc, s[0:1], vcc
	v_cndmask_b32_e32 v2, v4, v2, vcc
	v_and_b32_e32 v4, 1, v6
	v_cndmask_b32_e32 v3, v5, v3, vcc
	v_cmp_eq_u32_e32 vcc, 1, v4
	s_andn2_b64 s[0:1], s[0:1], exec
	s_and_b64 s[14:15], vcc, exec
	v_and_b32_e32 v1, 0xff, v6
	s_or_b64 s[0:1], s[0:1], s[14:15]
; %bb.140:
	s_or_b64 exec, exec, s[12:13]
	v_mov_b32_dpp v6, v1 row_ror:4 row_mask:0xf bank_mask:0xf bound_ctrl:1
	v_and_b32_e32 v7, 1, v6
	v_mov_b32_dpp v4, v2 row_ror:4 row_mask:0xf bank_mask:0xf bound_ctrl:1
	v_mov_b32_dpp v5, v3 row_ror:4 row_mask:0xf bank_mask:0xf bound_ctrl:1
	v_cmp_eq_u32_e32 vcc, 1, v7
	s_and_saveexec_b64 s[12:13], vcc
; %bb.141:
	v_cmp_lt_i64_e32 vcc, v[2:3], v[4:5]
	v_cndmask_b32_e64 v6, v6, 1, s[0:1]
	s_and_b64 vcc, s[0:1], vcc
	v_cndmask_b32_e32 v2, v4, v2, vcc
	v_and_b32_e32 v4, 1, v6
	v_cndmask_b32_e32 v3, v5, v3, vcc
	v_cmp_eq_u32_e32 vcc, 1, v4
	s_andn2_b64 s[0:1], s[0:1], exec
	s_and_b64 s[14:15], vcc, exec
	v_and_b32_e32 v1, 0xff, v6
	s_or_b64 s[0:1], s[0:1], s[14:15]
; %bb.142:
	s_or_b64 exec, exec, s[12:13]
	v_mov_b32_dpp v6, v1 row_ror:8 row_mask:0xf bank_mask:0xf bound_ctrl:1
	v_and_b32_e32 v7, 1, v6
	v_mov_b32_dpp v4, v2 row_ror:8 row_mask:0xf bank_mask:0xf bound_ctrl:1
	v_mov_b32_dpp v5, v3 row_ror:8 row_mask:0xf bank_mask:0xf bound_ctrl:1
	v_cmp_eq_u32_e32 vcc, 1, v7
	s_and_saveexec_b64 s[12:13], vcc
; %bb.143:
	v_cmp_lt_i64_e32 vcc, v[2:3], v[4:5]
	v_cndmask_b32_e64 v6, v6, 1, s[0:1]
	s_and_b64 vcc, s[0:1], vcc
	v_cndmask_b32_e32 v2, v4, v2, vcc
	v_and_b32_e32 v4, 1, v6
	v_cndmask_b32_e32 v3, v5, v3, vcc
	v_cmp_eq_u32_e32 vcc, 1, v4
	s_andn2_b64 s[0:1], s[0:1], exec
	s_and_b64 s[14:15], vcc, exec
	v_and_b32_e32 v1, 0xff, v6
	s_or_b64 s[0:1], s[0:1], s[14:15]
; %bb.144:
	s_or_b64 exec, exec, s[12:13]
	v_mov_b32_dpp v6, v1 row_bcast:15 row_mask:0xf bank_mask:0xf bound_ctrl:1
	v_and_b32_e32 v7, 1, v6
	v_mov_b32_dpp v4, v2 row_bcast:15 row_mask:0xf bank_mask:0xf bound_ctrl:1
	v_mov_b32_dpp v5, v3 row_bcast:15 row_mask:0xf bank_mask:0xf bound_ctrl:1
	v_cmp_eq_u32_e32 vcc, 1, v7
	s_and_saveexec_b64 s[12:13], vcc
; %bb.145:
	v_cmp_lt_i64_e32 vcc, v[2:3], v[4:5]
	v_cndmask_b32_e64 v6, v6, 1, s[0:1]
	s_and_b64 vcc, s[0:1], vcc
	v_cndmask_b32_e32 v2, v4, v2, vcc
	v_and_b32_e32 v4, 1, v6
	v_cndmask_b32_e32 v3, v5, v3, vcc
	v_cmp_eq_u32_e32 vcc, 1, v4
	s_andn2_b64 s[0:1], s[0:1], exec
	s_and_b64 s[14:15], vcc, exec
	v_and_b32_e32 v1, 0xff, v6
	s_or_b64 s[0:1], s[0:1], s[14:15]
; %bb.146:
	s_or_b64 exec, exec, s[12:13]
	v_mov_b32_dpp v6, v1 row_bcast:31 row_mask:0xf bank_mask:0xf bound_ctrl:1
	v_and_b32_e32 v7, 1, v6
	v_mov_b32_dpp v4, v2 row_bcast:31 row_mask:0xf bank_mask:0xf bound_ctrl:1
	v_mov_b32_dpp v5, v3 row_bcast:31 row_mask:0xf bank_mask:0xf bound_ctrl:1
	v_cmp_eq_u32_e32 vcc, 1, v7
	s_and_saveexec_b64 s[12:13], vcc
; %bb.147:
	v_cmp_lt_i64_e32 vcc, v[2:3], v[4:5]
	v_and_b32_e32 v1, 0xff, v6
	s_and_b64 vcc, s[0:1], vcc
	v_cndmask_b32_e32 v2, v4, v2, vcc
	v_cndmask_b32_e32 v3, v5, v3, vcc
	v_cndmask_b32_e64 v1, v1, 1, s[0:1]
; %bb.148:
	s_or_b64 exec, exec, s[12:13]
	v_mbcnt_lo_u32_b32 v4, -1, 0
	v_mbcnt_hi_u32_b32 v4, -1, v4
	v_bfrev_b32_e32 v5, 0.5
	v_lshl_or_b32 v5, v4, 2, v5
	ds_bpermute_b32 v6, v5, v1
	ds_bpermute_b32 v2, v5, v2
	;; [unrolled: 1-line block ×3, first 2 shown]
	v_cmp_eq_u32_e32 vcc, 0, v4
	s_and_saveexec_b64 s[0:1], vcc
	s_cbranch_execz .LBB1200_150
; %bb.149:
	v_lshrrev_b32_e32 v1, 2, v0
	v_and_b32_e32 v1, 48, v1
	s_waitcnt lgkmcnt(2)
	ds_write_b8 v1, v6 offset:64
	s_waitcnt lgkmcnt(1)
	ds_write_b64 v1, v[2:3] offset:72
.LBB1200_150:
	s_or_b64 exec, exec, s[0:1]
	v_cmp_gt_u32_e32 vcc, 64, v0
	s_waitcnt lgkmcnt(0)
	s_barrier
	s_and_saveexec_b64 s[12:13], vcc
	s_cbranch_execz .LBB1200_152
; %bb.151:
	v_and_b32_e32 v1, 3, v4
	v_lshlrev_b32_e32 v2, 4, v1
	ds_read_u8 v5, v2 offset:64
	ds_read_b64 v[2:3], v2 offset:72
	v_cmp_ne_u32_e32 vcc, 3, v1
	v_addc_co_u32_e32 v6, vcc, 0, v4, vcc
	s_waitcnt lgkmcnt(1)
	v_and_b32_e32 v7, 0xff, v5
	v_lshlrev_b32_e32 v8, 2, v6
	ds_bpermute_b32 v9, v8, v7
	s_waitcnt lgkmcnt(1)
	ds_bpermute_b32 v6, v8, v2
	ds_bpermute_b32 v7, v8, v3
	v_and_b32_e32 v8, 1, v5
	s_waitcnt lgkmcnt(2)
	v_and_b32_e32 v10, 1, v9
	v_cmp_eq_u32_e64 s[0:1], 1, v10
	s_waitcnt lgkmcnt(0)
	v_cmp_lt_i64_e32 vcc, v[6:7], v[2:3]
	s_and_b64 vcc, s[0:1], vcc
	v_cndmask_b32_e64 v5, v5, 1, s[0:1]
	v_cndmask_b32_e32 v2, v2, v6, vcc
	v_cndmask_b32_e32 v3, v3, v7, vcc
	v_cmp_eq_u32_e32 vcc, 1, v8
	v_cndmask_b32_e32 v8, v9, v5, vcc
	v_cndmask_b32_e32 v3, v7, v3, vcc
	;; [unrolled: 1-line block ×3, first 2 shown]
	v_cmp_gt_u32_e32 vcc, 2, v1
	v_cndmask_b32_e64 v1, 0, 1, vcc
	v_lshlrev_b32_e32 v1, 1, v1
	v_and_b32_e32 v5, 0xff, v8
	v_add_lshl_u32 v1, v1, v4, 2
	ds_bpermute_b32 v6, v1, v5
	ds_bpermute_b32 v4, v1, v2
	;; [unrolled: 1-line block ×3, first 2 shown]
	v_and_b32_e32 v1, 1, v8
	s_waitcnt lgkmcnt(2)
	v_and_b32_e32 v7, 1, v6
	v_cmp_eq_u32_e64 s[0:1], 1, v7
	s_waitcnt lgkmcnt(0)
	v_cmp_lt_i64_e32 vcc, v[4:5], v[2:3]
	s_and_b64 vcc, s[0:1], vcc
	v_cndmask_b32_e64 v7, v8, 1, s[0:1]
	v_cndmask_b32_e32 v2, v2, v4, vcc
	v_cndmask_b32_e32 v3, v3, v5, vcc
	v_cmp_eq_u32_e32 vcc, 1, v1
	v_cndmask_b32_e32 v1, v6, v7, vcc
	v_cndmask_b32_e32 v3, v5, v3, vcc
	;; [unrolled: 1-line block ×3, first 2 shown]
	v_and_b32_e32 v6, 0xff, v1
.LBB1200_152:
	s_or_b64 exec, exec, s[12:13]
	s_branch .LBB1200_183
.LBB1200_153:
                                        ; implicit-def: $vgpr4_vgpr5
                                        ; implicit-def: $vgpr1
	s_cbranch_execnz .LBB1200_188
	s_branch .LBB1200_208
.LBB1200_154:
                                        ; implicit-def: $vgpr4_vgpr5
                                        ; implicit-def: $vgpr1
	s_branch .LBB1200_208
.LBB1200_155:
                                        ; implicit-def: $vgpr2_vgpr3
                                        ; implicit-def: $vgpr6
	s_cbranch_execz .LBB1200_183
; %bb.156:
	s_sub_i32 s12, s22, s8
	s_add_u32 s13, s26, s8
	s_addc_u32 s14, s27, 0
	s_add_u32 s15, s20, s8
	s_waitcnt lgkmcnt(0)
	v_pk_mov_b32 v[4:5], 0, 0
	s_addc_u32 s16, s21, 0
	v_cmp_gt_u32_e32 vcc, s12, v0
	v_mov_b32_e32 v1, 0
	v_pk_mov_b32 v[2:3], v[4:5], v[4:5] op_sel:[0,1]
	v_mov_b32_e32 v7, 0
	s_and_saveexec_b64 s[0:1], vcc
	s_cbranch_execz .LBB1200_158
; %bb.157:
	v_lshlrev_b32_e32 v2, 3, v0
	global_load_dwordx2 v[6:7], v2, s[2:3]
	v_mov_b32_e32 v3, s16
	v_add_co_u32_e32 v2, vcc, s15, v0
	v_addc_co_u32_e32 v3, vcc, 0, v3, vcc
	v_mov_b32_e32 v9, s14
	v_add_co_u32_e32 v8, vcc, s13, v0
	v_addc_co_u32_e32 v9, vcc, 0, v9, vcc
	s_waitcnt vmcnt(0)
	v_cmp_ne_u64_e32 vcc, v[6:7], v[8:9]
	v_cndmask_b32_e64 v7, 0, 1, vcc
.LBB1200_158:
	s_or_b64 exec, exec, s[0:1]
	v_or_b32_e32 v6, 0x100, v0
	v_cmp_gt_u32_e32 vcc, s12, v6
	s_and_saveexec_b64 s[8:9], vcc
	s_cbranch_execz .LBB1200_160
; %bb.159:
	v_lshlrev_b32_e32 v1, 3, v0
	global_load_dwordx2 v[8:9], v1, s[2:3] offset:2048
	v_mov_b32_e32 v1, s16
	v_add_co_u32_e64 v4, s[0:1], s15, v6
	v_addc_co_u32_e64 v5, s[0:1], 0, v1, s[0:1]
	v_mov_b32_e32 v11, s14
	v_add_co_u32_e64 v10, s[0:1], s13, v6
	v_addc_co_u32_e64 v11, s[0:1], 0, v11, s[0:1]
	s_waitcnt vmcnt(0)
	v_cmp_ne_u64_e64 s[0:1], v[8:9], v[10:11]
	v_cndmask_b32_e64 v1, 0, 1, s[0:1]
.LBB1200_160:
	s_or_b64 exec, exec, s[8:9]
	s_and_saveexec_b64 s[2:3], vcc
	s_cbranch_execz .LBB1200_162
; %bb.161:
	v_and_b32_e32 v8, 1, v1
	v_cmp_lt_i64_e32 vcc, v[4:5], v[2:3]
	v_cmp_eq_u32_e64 s[0:1], 1, v8
	v_and_b32_e32 v6, 1, v7
	s_and_b64 vcc, s[0:1], vcc
	v_cndmask_b32_e64 v7, v7, 1, s[0:1]
	v_cndmask_b32_e32 v2, v2, v4, vcc
	v_cndmask_b32_e32 v3, v3, v5, vcc
	v_cmp_eq_u32_e32 vcc, 1, v6
	v_cndmask_b32_e32 v7, v1, v7, vcc
	v_cndmask_b32_e32 v3, v5, v3, vcc
	;; [unrolled: 1-line block ×3, first 2 shown]
.LBB1200_162:
	s_or_b64 exec, exec, s[2:3]
	v_mbcnt_lo_u32_b32 v1, -1, 0
	v_mbcnt_hi_u32_b32 v1, -1, v1
	v_and_b32_e32 v8, 63, v1
	v_cmp_ne_u32_e32 vcc, 63, v8
	v_addc_co_u32_e32 v4, vcc, 0, v1, vcc
	v_and_b32_e32 v6, 0xffff, v7
	v_lshlrev_b32_e32 v5, 2, v4
	ds_bpermute_b32 v10, v5, v6
	ds_bpermute_b32 v4, v5, v2
	;; [unrolled: 1-line block ×3, first 2 shown]
	s_min_u32 s8, s12, 0x100
	v_and_b32_e32 v9, 0xc0, v0
	v_sub_u32_e64 v9, s8, v9 clamp
	v_add_u32_e32 v11, 1, v8
	v_cmp_lt_u32_e32 vcc, v11, v9
	s_and_saveexec_b64 s[2:3], vcc
	s_cbranch_execz .LBB1200_164
; %bb.163:
	s_waitcnt lgkmcnt(2)
	v_and_b32_e32 v11, 1, v10
	s_waitcnt lgkmcnt(0)
	v_cmp_lt_i64_e32 vcc, v[4:5], v[2:3]
	v_cmp_eq_u32_e64 s[0:1], 1, v11
	v_and_b32_e32 v6, 1, v7
	s_and_b64 vcc, s[0:1], vcc
	v_cndmask_b32_e64 v7, v7, 1, s[0:1]
	v_cndmask_b32_e32 v2, v2, v4, vcc
	v_cndmask_b32_e32 v3, v3, v5, vcc
	v_cmp_eq_u32_e32 vcc, 1, v6
	v_cndmask_b32_e32 v7, v10, v7, vcc
	v_cndmask_b32_e32 v3, v5, v3, vcc
	v_cndmask_b32_e32 v2, v4, v2, vcc
	v_and_b32_e32 v6, 0xff, v7
.LBB1200_164:
	s_or_b64 exec, exec, s[2:3]
	v_cmp_gt_u32_e32 vcc, 62, v8
	s_waitcnt lgkmcnt(1)
	v_cndmask_b32_e64 v4, 0, 1, vcc
	v_lshlrev_b32_e32 v4, 1, v4
	s_waitcnt lgkmcnt(0)
	v_add_lshl_u32 v5, v4, v1, 2
	ds_bpermute_b32 v10, v5, v6
	ds_bpermute_b32 v4, v5, v2
	ds_bpermute_b32 v5, v5, v3
	v_add_u32_e32 v11, 2, v8
	v_cmp_lt_u32_e32 vcc, v11, v9
	s_and_saveexec_b64 s[2:3], vcc
	s_cbranch_execz .LBB1200_166
; %bb.165:
	s_waitcnt lgkmcnt(2)
	v_and_b32_e32 v11, 1, v10
	s_waitcnt lgkmcnt(0)
	v_cmp_lt_i64_e32 vcc, v[4:5], v[2:3]
	v_cmp_eq_u32_e64 s[0:1], 1, v11
	v_and_b32_e32 v6, 1, v7
	s_and_b64 vcc, s[0:1], vcc
	v_cndmask_b32_e64 v7, v7, 1, s[0:1]
	v_cndmask_b32_e32 v2, v2, v4, vcc
	v_cndmask_b32_e32 v3, v3, v5, vcc
	v_cmp_eq_u32_e32 vcc, 1, v6
	v_cndmask_b32_e32 v7, v10, v7, vcc
	v_cndmask_b32_e32 v3, v5, v3, vcc
	v_cndmask_b32_e32 v2, v4, v2, vcc
	v_and_b32_e32 v6, 0xff, v7
.LBB1200_166:
	s_or_b64 exec, exec, s[2:3]
	v_cmp_gt_u32_e32 vcc, 60, v8
	s_waitcnt lgkmcnt(1)
	v_cndmask_b32_e64 v4, 0, 1, vcc
	v_lshlrev_b32_e32 v4, 2, v4
	s_waitcnt lgkmcnt(0)
	v_add_lshl_u32 v5, v4, v1, 2
	ds_bpermute_b32 v10, v5, v6
	ds_bpermute_b32 v4, v5, v2
	ds_bpermute_b32 v5, v5, v3
	;; [unrolled: 31-line block ×5, first 2 shown]
	v_add_u32_e32 v8, 32, v8
	v_cmp_lt_u32_e32 vcc, v8, v9
	s_and_saveexec_b64 s[2:3], vcc
	s_cbranch_execz .LBB1200_174
; %bb.173:
	s_waitcnt lgkmcnt(2)
	v_and_b32_e32 v8, 1, v10
	s_waitcnt lgkmcnt(0)
	v_cmp_lt_i64_e32 vcc, v[4:5], v[2:3]
	v_cmp_eq_u32_e64 s[0:1], 1, v8
	v_and_b32_e32 v6, 1, v7
	s_and_b64 vcc, s[0:1], vcc
	v_cndmask_b32_e64 v7, v7, 1, s[0:1]
	v_cndmask_b32_e32 v2, v2, v4, vcc
	v_cndmask_b32_e32 v3, v3, v5, vcc
	v_cmp_eq_u32_e32 vcc, 1, v6
	v_cndmask_b32_e32 v7, v10, v7, vcc
	v_cndmask_b32_e32 v3, v5, v3, vcc
	;; [unrolled: 1-line block ×3, first 2 shown]
	v_and_b32_e32 v6, 0xff, v7
.LBB1200_174:
	s_or_b64 exec, exec, s[2:3]
	v_cmp_eq_u32_e32 vcc, 0, v1
	s_and_saveexec_b64 s[0:1], vcc
	s_cbranch_execz .LBB1200_176
; %bb.175:
	s_waitcnt lgkmcnt(1)
	v_lshrrev_b32_e32 v4, 2, v0
	v_and_b32_e32 v4, 48, v4
	ds_write_b8 v4, v7 offset:256
	ds_write_b64 v4, v[2:3] offset:264
.LBB1200_176:
	s_or_b64 exec, exec, s[0:1]
	v_cmp_gt_u32_e32 vcc, 4, v0
	s_waitcnt lgkmcnt(0)
	s_barrier
	s_and_saveexec_b64 s[2:3], vcc
	s_cbranch_execz .LBB1200_182
; %bb.177:
	v_lshlrev_b32_e32 v2, 4, v1
	ds_read_u8 v7, v2 offset:256
	ds_read_b64 v[2:3], v2 offset:264
	v_and_b32_e32 v8, 3, v1
	v_cmp_ne_u32_e32 vcc, 3, v8
	v_addc_co_u32_e32 v4, vcc, 0, v1, vcc
	s_waitcnt lgkmcnt(1)
	v_and_b32_e32 v6, 0xff, v7
	v_lshlrev_b32_e32 v5, 2, v4
	ds_bpermute_b32 v9, v5, v6
	s_waitcnt lgkmcnt(1)
	ds_bpermute_b32 v4, v5, v2
	ds_bpermute_b32 v5, v5, v3
	s_add_i32 s8, s8, 63
	s_lshr_b32 s12, s8, 6
	v_add_u32_e32 v10, 1, v8
	v_cmp_gt_u32_e32 vcc, s12, v10
	s_and_saveexec_b64 s[8:9], vcc
	s_cbranch_execz .LBB1200_179
; %bb.178:
	s_waitcnt lgkmcnt(2)
	v_and_b32_e32 v10, 1, v9
	s_waitcnt lgkmcnt(0)
	v_cmp_lt_i64_e32 vcc, v[4:5], v[2:3]
	v_cmp_eq_u32_e64 s[0:1], 1, v10
	v_and_b32_e32 v6, 1, v7
	s_and_b64 vcc, s[0:1], vcc
	v_cndmask_b32_e64 v7, v7, 1, s[0:1]
	v_cndmask_b32_e32 v2, v2, v4, vcc
	v_cndmask_b32_e32 v3, v3, v5, vcc
	v_cmp_eq_u32_e32 vcc, 1, v6
	v_cndmask_b32_e32 v7, v9, v7, vcc
	v_cndmask_b32_e32 v3, v5, v3, vcc
	v_cndmask_b32_e32 v2, v4, v2, vcc
	v_and_b32_e32 v6, 0xff, v7
.LBB1200_179:
	s_or_b64 exec, exec, s[8:9]
	v_cmp_gt_u32_e32 vcc, 2, v8
	s_waitcnt lgkmcnt(1)
	v_cndmask_b32_e64 v4, 0, 1, vcc
	v_lshlrev_b32_e32 v4, 1, v4
	s_waitcnt lgkmcnt(0)
	v_add_lshl_u32 v5, v4, v1, 2
	ds_bpermute_b32 v1, v5, v6
	ds_bpermute_b32 v4, v5, v2
	;; [unrolled: 1-line block ×3, first 2 shown]
	v_add_u32_e32 v8, 2, v8
	v_cmp_gt_u32_e32 vcc, s12, v8
	s_and_saveexec_b64 s[8:9], vcc
	s_cbranch_execz .LBB1200_181
; %bb.180:
	s_waitcnt lgkmcnt(2)
	v_and_b32_e32 v8, 1, v1
	s_waitcnt lgkmcnt(0)
	v_cmp_lt_i64_e32 vcc, v[4:5], v[2:3]
	v_cmp_eq_u32_e64 s[0:1], 1, v8
	v_and_b32_e32 v6, 1, v7
	s_and_b64 vcc, s[0:1], vcc
	v_cndmask_b32_e64 v7, v7, 1, s[0:1]
	v_cndmask_b32_e32 v2, v2, v4, vcc
	v_cndmask_b32_e32 v3, v3, v5, vcc
	v_cmp_eq_u32_e32 vcc, 1, v6
	v_cndmask_b32_e32 v1, v1, v7, vcc
	v_cndmask_b32_e32 v3, v5, v3, vcc
	;; [unrolled: 1-line block ×3, first 2 shown]
	v_and_b32_e32 v6, 0xff, v1
.LBB1200_181:
	s_or_b64 exec, exec, s[8:9]
.LBB1200_182:
	s_or_b64 exec, exec, s[2:3]
.LBB1200_183:
	v_cmp_eq_u32_e32 vcc, 0, v0
                                        ; implicit-def: $vgpr4_vgpr5
                                        ; implicit-def: $vgpr1
	s_and_saveexec_b64 s[0:1], vcc
	s_xor_b64 s[8:9], exec, s[0:1]
	s_cbranch_execz .LBB1200_187
; %bb.184:
	s_cmp_eq_u64 s[22:23], 0
	s_waitcnt lgkmcnt(0)
	v_pk_mov_b32 v[4:5], s[18:19], s[18:19] op_sel:[0,1]
	v_mov_b32_e32 v1, s33
	s_cbranch_scc1 .LBB1200_186
; %bb.185:
	v_and_b32_e32 v1, 1, v6
	s_bitcmp1_b32 s33, 0
	v_mov_b32_e32 v4, s33
	v_cmp_eq_u32_e32 vcc, 1, v1
	v_cmp_gt_i64_e64 s[2:3], s[18:19], v[2:3]
	v_cndmask_b32_e64 v1, v4, 1, vcc
	s_cselect_b64 s[0:1], -1, 0
	v_mov_b32_e32 v4, s18
	s_and_b64 vcc, vcc, s[2:3]
	v_mov_b32_e32 v5, s19
	v_cndmask_b32_e32 v4, v4, v2, vcc
	v_cndmask_b32_e32 v5, v5, v3, vcc
	v_cndmask_b32_e64 v1, v6, v1, s[0:1]
	v_cndmask_b32_e64 v5, v3, v5, s[0:1]
	;; [unrolled: 1-line block ×3, first 2 shown]
.LBB1200_186:
	s_or_b64 s[10:11], s[10:11], exec
.LBB1200_187:
	s_or_b64 exec, exec, s[8:9]
	s_branch .LBB1200_208
.LBB1200_188:
	s_cmp_eq_u32 s34, 1
	s_cbranch_scc0 .LBB1200_207
; %bb.189:
	s_mov_b32 s3, 0
	s_lshl_b32 s2, s6, 8
	s_mov_b32 s7, s3
	s_lshr_b64 s[0:1], s[22:23], 8
	s_cmp_lg_u64 s[0:1], s[6:7]
	s_cbranch_scc0 .LBB1200_211
; %bb.190:
	s_lshl_b64 s[0:1], s[2:3], 3
	s_add_u32 s0, s24, s0
	s_addc_u32 s1, s25, s1
	s_waitcnt lgkmcnt(2)
	v_lshlrev_b32_e32 v1, 3, v0
	global_load_dwordx2 v[6:7], v1, s[0:1]
	v_mov_b32_e32 v1, s3
	s_waitcnt lgkmcnt(1)
	v_add_co_u32_e32 v4, vcc, s2, v0
	v_addc_co_u32_e32 v1, vcc, 0, v1, vcc
	v_mov_b32_e32 v2, s27
	v_add_co_u32_e32 v8, vcc, s26, v4
	v_addc_co_u32_e32 v9, vcc, v2, v1, vcc
	v_mov_b32_e32 v3, s21
	v_add_co_u32_e32 v2, vcc, s20, v4
	v_addc_co_u32_e32 v3, vcc, v3, v1, vcc
	s_nop 0
	v_mov_b32_dpp v4, v2 quad_perm:[1,0,3,2] row_mask:0xf bank_mask:0xf bound_ctrl:1
	s_waitcnt lgkmcnt(0)
	v_mov_b32_dpp v5, v3 quad_perm:[1,0,3,2] row_mask:0xf bank_mask:0xf bound_ctrl:1
	s_waitcnt vmcnt(0)
	v_cmp_ne_u64_e32 vcc, v[6:7], v[8:9]
	v_cndmask_b32_e64 v1, 0, 1, vcc
	v_cndmask_b32_e64 v6, 0, 1, vcc
	s_nop 0
	v_mov_b32_dpp v1, v1 quad_perm:[1,0,3,2] row_mask:0xf bank_mask:0xf bound_ctrl:1
	v_and_b32_e32 v7, 1, v1
	v_cmp_eq_u32_e64 s[0:1], 1, v7
	s_and_saveexec_b64 s[8:9], s[0:1]
; %bb.191:
	v_cmp_lt_i64_e64 s[0:1], v[2:3], v[4:5]
	v_cndmask_b32_e64 v6, v1, 1, vcc
	s_and_b64 vcc, vcc, s[0:1]
	v_cndmask_b32_e32 v3, v5, v3, vcc
	v_cndmask_b32_e32 v2, v4, v2, vcc
; %bb.192:
	s_or_b64 exec, exec, s[8:9]
	v_and_b32_e32 v1, 0xff, v6
	v_and_b32_e32 v6, 1, v6
	v_mov_b32_dpp v4, v2 quad_perm:[2,3,0,1] row_mask:0xf bank_mask:0xf bound_ctrl:1
	v_mov_b32_dpp v7, v1 quad_perm:[2,3,0,1] row_mask:0xf bank_mask:0xf bound_ctrl:1
	v_and_b32_e32 v8, 1, v7
	v_mov_b32_dpp v5, v3 quad_perm:[2,3,0,1] row_mask:0xf bank_mask:0xf bound_ctrl:1
	v_cmp_eq_u32_e32 vcc, 1, v8
	v_cmp_eq_u32_e64 s[0:1], 1, v6
	s_and_saveexec_b64 s[8:9], vcc
; %bb.193:
	v_cmp_lt_i64_e32 vcc, v[2:3], v[4:5]
	v_cndmask_b32_e64 v6, v7, 1, s[0:1]
	s_and_b64 vcc, s[0:1], vcc
	v_cndmask_b32_e32 v2, v4, v2, vcc
	v_and_b32_e32 v4, 1, v6
	v_cndmask_b32_e32 v3, v5, v3, vcc
	v_cmp_eq_u32_e32 vcc, 1, v4
	s_andn2_b64 s[0:1], s[0:1], exec
	s_and_b64 s[12:13], vcc, exec
	v_and_b32_e32 v1, 0xff, v6
	s_or_b64 s[0:1], s[0:1], s[12:13]
; %bb.194:
	s_or_b64 exec, exec, s[8:9]
	v_mov_b32_dpp v6, v1 row_ror:4 row_mask:0xf bank_mask:0xf bound_ctrl:1
	v_and_b32_e32 v7, 1, v6
	v_mov_b32_dpp v4, v2 row_ror:4 row_mask:0xf bank_mask:0xf bound_ctrl:1
	v_mov_b32_dpp v5, v3 row_ror:4 row_mask:0xf bank_mask:0xf bound_ctrl:1
	v_cmp_eq_u32_e32 vcc, 1, v7
	s_and_saveexec_b64 s[8:9], vcc
; %bb.195:
	v_cmp_lt_i64_e32 vcc, v[2:3], v[4:5]
	v_cndmask_b32_e64 v6, v6, 1, s[0:1]
	s_and_b64 vcc, s[0:1], vcc
	v_cndmask_b32_e32 v2, v4, v2, vcc
	v_and_b32_e32 v4, 1, v6
	v_cndmask_b32_e32 v3, v5, v3, vcc
	v_cmp_eq_u32_e32 vcc, 1, v4
	s_andn2_b64 s[0:1], s[0:1], exec
	s_and_b64 s[12:13], vcc, exec
	v_and_b32_e32 v1, 0xff, v6
	s_or_b64 s[0:1], s[0:1], s[12:13]
; %bb.196:
	s_or_b64 exec, exec, s[8:9]
	v_mov_b32_dpp v6, v1 row_ror:8 row_mask:0xf bank_mask:0xf bound_ctrl:1
	v_and_b32_e32 v7, 1, v6
	v_mov_b32_dpp v4, v2 row_ror:8 row_mask:0xf bank_mask:0xf bound_ctrl:1
	v_mov_b32_dpp v5, v3 row_ror:8 row_mask:0xf bank_mask:0xf bound_ctrl:1
	v_cmp_eq_u32_e32 vcc, 1, v7
	s_and_saveexec_b64 s[8:9], vcc
; %bb.197:
	v_cmp_lt_i64_e32 vcc, v[2:3], v[4:5]
	v_cndmask_b32_e64 v6, v6, 1, s[0:1]
	s_and_b64 vcc, s[0:1], vcc
	v_cndmask_b32_e32 v2, v4, v2, vcc
	v_and_b32_e32 v4, 1, v6
	v_cndmask_b32_e32 v3, v5, v3, vcc
	v_cmp_eq_u32_e32 vcc, 1, v4
	s_andn2_b64 s[0:1], s[0:1], exec
	s_and_b64 s[12:13], vcc, exec
	v_and_b32_e32 v1, 0xff, v6
	s_or_b64 s[0:1], s[0:1], s[12:13]
; %bb.198:
	s_or_b64 exec, exec, s[8:9]
	v_mov_b32_dpp v6, v1 row_bcast:15 row_mask:0xf bank_mask:0xf bound_ctrl:1
	v_and_b32_e32 v7, 1, v6
	v_mov_b32_dpp v4, v2 row_bcast:15 row_mask:0xf bank_mask:0xf bound_ctrl:1
	v_mov_b32_dpp v5, v3 row_bcast:15 row_mask:0xf bank_mask:0xf bound_ctrl:1
	v_cmp_eq_u32_e32 vcc, 1, v7
	s_and_saveexec_b64 s[8:9], vcc
; %bb.199:
	v_cmp_lt_i64_e32 vcc, v[2:3], v[4:5]
	v_cndmask_b32_e64 v6, v6, 1, s[0:1]
	s_and_b64 vcc, s[0:1], vcc
	v_cndmask_b32_e32 v2, v4, v2, vcc
	v_and_b32_e32 v4, 1, v6
	v_cndmask_b32_e32 v3, v5, v3, vcc
	v_cmp_eq_u32_e32 vcc, 1, v4
	s_andn2_b64 s[0:1], s[0:1], exec
	s_and_b64 s[12:13], vcc, exec
	v_and_b32_e32 v1, 0xff, v6
	s_or_b64 s[0:1], s[0:1], s[12:13]
; %bb.200:
	s_or_b64 exec, exec, s[8:9]
	v_mov_b32_dpp v6, v1 row_bcast:31 row_mask:0xf bank_mask:0xf bound_ctrl:1
	v_and_b32_e32 v7, 1, v6
	v_mov_b32_dpp v4, v2 row_bcast:31 row_mask:0xf bank_mask:0xf bound_ctrl:1
	v_mov_b32_dpp v5, v3 row_bcast:31 row_mask:0xf bank_mask:0xf bound_ctrl:1
	v_cmp_eq_u32_e32 vcc, 1, v7
	s_and_saveexec_b64 s[8:9], vcc
; %bb.201:
	v_cmp_lt_i64_e32 vcc, v[2:3], v[4:5]
	v_and_b32_e32 v1, 0xff, v6
	s_and_b64 vcc, s[0:1], vcc
	v_cndmask_b32_e32 v2, v4, v2, vcc
	v_cndmask_b32_e32 v3, v5, v3, vcc
	v_cndmask_b32_e64 v1, v1, 1, s[0:1]
; %bb.202:
	s_or_b64 exec, exec, s[8:9]
	v_mbcnt_lo_u32_b32 v4, -1, 0
	v_mbcnt_hi_u32_b32 v4, -1, v4
	v_bfrev_b32_e32 v5, 0.5
	v_lshl_or_b32 v5, v4, 2, v5
	ds_bpermute_b32 v6, v5, v1
	ds_bpermute_b32 v2, v5, v2
	;; [unrolled: 1-line block ×3, first 2 shown]
	v_cmp_eq_u32_e32 vcc, 0, v4
	s_and_saveexec_b64 s[0:1], vcc
	s_cbranch_execz .LBB1200_204
; %bb.203:
	v_lshrrev_b32_e32 v1, 2, v0
	v_and_b32_e32 v1, 48, v1
	s_waitcnt lgkmcnt(2)
	ds_write_b8 v1, v6
	s_waitcnt lgkmcnt(1)
	ds_write_b64 v1, v[2:3] offset:8
.LBB1200_204:
	s_or_b64 exec, exec, s[0:1]
	v_cmp_gt_u32_e32 vcc, 64, v0
	s_waitcnt lgkmcnt(0)
	s_barrier
	s_and_saveexec_b64 s[8:9], vcc
	s_cbranch_execz .LBB1200_206
; %bb.205:
	v_and_b32_e32 v1, 3, v4
	v_lshlrev_b32_e32 v2, 4, v1
	ds_read_u8 v5, v2
	ds_read_b64 v[2:3], v2 offset:8
	v_cmp_ne_u32_e32 vcc, 3, v1
	v_addc_co_u32_e32 v6, vcc, 0, v4, vcc
	s_waitcnt lgkmcnt(1)
	v_and_b32_e32 v7, 0xff, v5
	v_lshlrev_b32_e32 v8, 2, v6
	ds_bpermute_b32 v9, v8, v7
	s_waitcnt lgkmcnt(1)
	ds_bpermute_b32 v6, v8, v2
	ds_bpermute_b32 v7, v8, v3
	v_and_b32_e32 v8, 1, v5
	s_waitcnt lgkmcnt(2)
	v_and_b32_e32 v10, 1, v9
	v_cmp_eq_u32_e64 s[0:1], 1, v10
	s_waitcnt lgkmcnt(0)
	v_cmp_lt_i64_e32 vcc, v[6:7], v[2:3]
	s_and_b64 vcc, s[0:1], vcc
	v_cndmask_b32_e64 v5, v5, 1, s[0:1]
	v_cndmask_b32_e32 v2, v2, v6, vcc
	v_cndmask_b32_e32 v3, v3, v7, vcc
	v_cmp_eq_u32_e32 vcc, 1, v8
	v_cndmask_b32_e32 v8, v9, v5, vcc
	v_cndmask_b32_e32 v3, v7, v3, vcc
	;; [unrolled: 1-line block ×3, first 2 shown]
	v_cmp_gt_u32_e32 vcc, 2, v1
	v_cndmask_b32_e64 v1, 0, 1, vcc
	v_lshlrev_b32_e32 v1, 1, v1
	v_and_b32_e32 v5, 0xff, v8
	v_add_lshl_u32 v1, v1, v4, 2
	ds_bpermute_b32 v6, v1, v5
	ds_bpermute_b32 v4, v1, v2
	;; [unrolled: 1-line block ×3, first 2 shown]
	v_and_b32_e32 v1, 1, v8
	s_waitcnt lgkmcnt(2)
	v_and_b32_e32 v7, 1, v6
	v_cmp_eq_u32_e64 s[0:1], 1, v7
	s_waitcnt lgkmcnt(0)
	v_cmp_lt_i64_e32 vcc, v[4:5], v[2:3]
	s_and_b64 vcc, s[0:1], vcc
	v_cndmask_b32_e64 v7, v8, 1, s[0:1]
	v_cndmask_b32_e32 v2, v2, v4, vcc
	v_cndmask_b32_e32 v3, v3, v5, vcc
	v_cmp_eq_u32_e32 vcc, 1, v1
	v_cndmask_b32_e32 v1, v6, v7, vcc
	v_cndmask_b32_e32 v3, v5, v3, vcc
	;; [unrolled: 1-line block ×3, first 2 shown]
	v_and_b32_e32 v6, 0xff, v1
.LBB1200_206:
	s_or_b64 exec, exec, s[8:9]
	s_branch .LBB1200_235
.LBB1200_207:
                                        ; implicit-def: $vgpr4_vgpr5
                                        ; implicit-def: $vgpr1
                                        ; implicit-def: $sgpr6_sgpr7
.LBB1200_208:
	s_and_saveexec_b64 s[0:1], s[10:11]
	s_cbranch_execz .LBB1200_210
.LBB1200_209:
	s_load_dwordx2 s[0:1], s[4:5], 0x38
	s_lshl_b64 s[2:3], s[6:7], 4
	v_mov_b32_e32 v0, 0
	s_waitcnt lgkmcnt(0)
	s_add_u32 s0, s0, s2
	s_addc_u32 s1, s1, s3
	global_store_byte v0, v1, s[0:1]
	global_store_dwordx2 v0, v[4:5], s[0:1] offset:8
.LBB1200_210:
	s_endpgm
.LBB1200_211:
                                        ; implicit-def: $vgpr2_vgpr3
                                        ; implicit-def: $vgpr6
	s_cbranch_execz .LBB1200_235
; %bb.212:
	s_sub_i32 s8, s22, s2
	v_cmp_gt_u32_e32 vcc, s8, v0
	v_pk_mov_b32 v[2:3], 0, 0
	v_mov_b32_e32 v7, 0
	s_and_saveexec_b64 s[0:1], vcc
	s_cbranch_execz .LBB1200_214
; %bb.213:
	s_lshl_b64 s[12:13], s[2:3], 3
	s_add_u32 s12, s24, s12
	s_addc_u32 s13, s25, s13
	s_waitcnt lgkmcnt(2)
	v_lshlrev_b32_e32 v1, 3, v0
	s_waitcnt lgkmcnt(0)
	global_load_dwordx2 v[4:5], v1, s[12:13]
	v_mov_b32_e32 v1, s3
	v_add_co_u32_e32 v8, vcc, s2, v0
	v_addc_co_u32_e32 v1, vcc, 0, v1, vcc
	v_mov_b32_e32 v2, s27
	v_add_co_u32_e32 v6, vcc, s26, v8
	v_addc_co_u32_e32 v7, vcc, v2, v1, vcc
	;; [unrolled: 3-line block ×3, first 2 shown]
	s_waitcnt vmcnt(0)
	v_cmp_ne_u64_e32 vcc, v[4:5], v[6:7]
	v_cndmask_b32_e64 v7, 0, 1, vcc
.LBB1200_214:
	s_or_b64 exec, exec, s[0:1]
	s_waitcnt lgkmcnt(2)
	v_mbcnt_lo_u32_b32 v1, -1, 0
	v_mbcnt_hi_u32_b32 v1, -1, v1
	v_and_b32_e32 v8, 63, v1
	v_cmp_ne_u32_e32 vcc, 63, v8
	s_waitcnt lgkmcnt(1)
	v_addc_co_u32_e32 v4, vcc, 0, v1, vcc
	v_and_b32_e32 v6, 0xffff, v7
	s_waitcnt lgkmcnt(0)
	v_lshlrev_b32_e32 v5, 2, v4
	ds_bpermute_b32 v10, v5, v6
	ds_bpermute_b32 v4, v5, v2
	;; [unrolled: 1-line block ×3, first 2 shown]
	s_min_u32 s8, s8, 0x100
	v_and_b32_e32 v9, 0xc0, v0
	v_sub_u32_e64 v9, s8, v9 clamp
	v_add_u32_e32 v11, 1, v8
	v_cmp_lt_u32_e32 vcc, v11, v9
	s_and_saveexec_b64 s[2:3], vcc
	s_cbranch_execz .LBB1200_216
; %bb.215:
	s_waitcnt lgkmcnt(2)
	v_and_b32_e32 v11, 1, v10
	s_waitcnt lgkmcnt(0)
	v_cmp_lt_i64_e32 vcc, v[4:5], v[2:3]
	v_cmp_eq_u32_e64 s[0:1], 1, v11
	v_and_b32_e32 v6, 1, v7
	s_and_b64 vcc, s[0:1], vcc
	v_cndmask_b32_e64 v7, v7, 1, s[0:1]
	v_cndmask_b32_e32 v2, v2, v4, vcc
	v_cndmask_b32_e32 v3, v3, v5, vcc
	v_cmp_eq_u32_e32 vcc, 1, v6
	v_cndmask_b32_e32 v7, v10, v7, vcc
	v_cndmask_b32_e32 v3, v5, v3, vcc
	v_cndmask_b32_e32 v2, v4, v2, vcc
	v_and_b32_e32 v6, 0xff, v7
.LBB1200_216:
	s_or_b64 exec, exec, s[2:3]
	v_cmp_gt_u32_e32 vcc, 62, v8
	s_waitcnt lgkmcnt(1)
	v_cndmask_b32_e64 v4, 0, 1, vcc
	v_lshlrev_b32_e32 v4, 1, v4
	s_waitcnt lgkmcnt(0)
	v_add_lshl_u32 v5, v4, v1, 2
	ds_bpermute_b32 v10, v5, v6
	ds_bpermute_b32 v4, v5, v2
	ds_bpermute_b32 v5, v5, v3
	v_add_u32_e32 v11, 2, v8
	v_cmp_lt_u32_e32 vcc, v11, v9
	s_and_saveexec_b64 s[2:3], vcc
	s_cbranch_execz .LBB1200_218
; %bb.217:
	s_waitcnt lgkmcnt(2)
	v_and_b32_e32 v11, 1, v10
	s_waitcnt lgkmcnt(0)
	v_cmp_lt_i64_e32 vcc, v[4:5], v[2:3]
	v_cmp_eq_u32_e64 s[0:1], 1, v11
	v_and_b32_e32 v6, 1, v7
	s_and_b64 vcc, s[0:1], vcc
	v_cndmask_b32_e64 v7, v7, 1, s[0:1]
	v_cndmask_b32_e32 v2, v2, v4, vcc
	v_cndmask_b32_e32 v3, v3, v5, vcc
	v_cmp_eq_u32_e32 vcc, 1, v6
	v_cndmask_b32_e32 v7, v10, v7, vcc
	v_cndmask_b32_e32 v3, v5, v3, vcc
	v_cndmask_b32_e32 v2, v4, v2, vcc
	v_and_b32_e32 v6, 0xff, v7
.LBB1200_218:
	s_or_b64 exec, exec, s[2:3]
	v_cmp_gt_u32_e32 vcc, 60, v8
	s_waitcnt lgkmcnt(1)
	v_cndmask_b32_e64 v4, 0, 1, vcc
	v_lshlrev_b32_e32 v4, 2, v4
	s_waitcnt lgkmcnt(0)
	v_add_lshl_u32 v5, v4, v1, 2
	ds_bpermute_b32 v10, v5, v6
	ds_bpermute_b32 v4, v5, v2
	ds_bpermute_b32 v5, v5, v3
	;; [unrolled: 31-line block ×5, first 2 shown]
	v_add_u32_e32 v8, 32, v8
	v_cmp_lt_u32_e32 vcc, v8, v9
	s_and_saveexec_b64 s[2:3], vcc
	s_cbranch_execz .LBB1200_226
; %bb.225:
	s_waitcnt lgkmcnt(2)
	v_and_b32_e32 v8, 1, v10
	s_waitcnt lgkmcnt(0)
	v_cmp_lt_i64_e32 vcc, v[4:5], v[2:3]
	v_cmp_eq_u32_e64 s[0:1], 1, v8
	v_and_b32_e32 v6, 1, v7
	s_and_b64 vcc, s[0:1], vcc
	v_cndmask_b32_e64 v7, v7, 1, s[0:1]
	v_cndmask_b32_e32 v2, v2, v4, vcc
	v_cndmask_b32_e32 v3, v3, v5, vcc
	v_cmp_eq_u32_e32 vcc, 1, v6
	v_cndmask_b32_e32 v7, v10, v7, vcc
	v_cndmask_b32_e32 v3, v5, v3, vcc
	;; [unrolled: 1-line block ×3, first 2 shown]
	v_and_b32_e32 v6, 0xff, v7
.LBB1200_226:
	s_or_b64 exec, exec, s[2:3]
	v_cmp_eq_u32_e32 vcc, 0, v1
	s_and_saveexec_b64 s[0:1], vcc
	s_cbranch_execz .LBB1200_228
; %bb.227:
	s_waitcnt lgkmcnt(1)
	v_lshrrev_b32_e32 v4, 2, v0
	v_and_b32_e32 v4, 48, v4
	ds_write_b8 v4, v7 offset:256
	ds_write_b64 v4, v[2:3] offset:264
.LBB1200_228:
	s_or_b64 exec, exec, s[0:1]
	v_cmp_gt_u32_e32 vcc, 4, v0
	s_waitcnt lgkmcnt(0)
	s_barrier
	s_and_saveexec_b64 s[2:3], vcc
	s_cbranch_execz .LBB1200_234
; %bb.229:
	v_lshlrev_b32_e32 v2, 4, v1
	ds_read_u8 v7, v2 offset:256
	ds_read_b64 v[2:3], v2 offset:264
	v_and_b32_e32 v8, 3, v1
	v_cmp_ne_u32_e32 vcc, 3, v8
	v_addc_co_u32_e32 v4, vcc, 0, v1, vcc
	s_waitcnt lgkmcnt(1)
	v_and_b32_e32 v6, 0xff, v7
	v_lshlrev_b32_e32 v5, 2, v4
	ds_bpermute_b32 v9, v5, v6
	s_waitcnt lgkmcnt(1)
	ds_bpermute_b32 v4, v5, v2
	ds_bpermute_b32 v5, v5, v3
	s_add_i32 s8, s8, 63
	s_lshr_b32 s12, s8, 6
	v_add_u32_e32 v10, 1, v8
	v_cmp_gt_u32_e32 vcc, s12, v10
	s_and_saveexec_b64 s[8:9], vcc
	s_cbranch_execz .LBB1200_231
; %bb.230:
	s_waitcnt lgkmcnt(2)
	v_and_b32_e32 v10, 1, v9
	s_waitcnt lgkmcnt(0)
	v_cmp_lt_i64_e32 vcc, v[4:5], v[2:3]
	v_cmp_eq_u32_e64 s[0:1], 1, v10
	v_and_b32_e32 v6, 1, v7
	s_and_b64 vcc, s[0:1], vcc
	v_cndmask_b32_e64 v7, v7, 1, s[0:1]
	v_cndmask_b32_e32 v2, v2, v4, vcc
	v_cndmask_b32_e32 v3, v3, v5, vcc
	v_cmp_eq_u32_e32 vcc, 1, v6
	v_cndmask_b32_e32 v7, v9, v7, vcc
	v_cndmask_b32_e32 v3, v5, v3, vcc
	;; [unrolled: 1-line block ×3, first 2 shown]
	v_and_b32_e32 v6, 0xff, v7
.LBB1200_231:
	s_or_b64 exec, exec, s[8:9]
	v_cmp_gt_u32_e32 vcc, 2, v8
	s_waitcnt lgkmcnt(1)
	v_cndmask_b32_e64 v4, 0, 1, vcc
	v_lshlrev_b32_e32 v4, 1, v4
	s_waitcnt lgkmcnt(0)
	v_add_lshl_u32 v5, v4, v1, 2
	ds_bpermute_b32 v1, v5, v6
	ds_bpermute_b32 v4, v5, v2
	;; [unrolled: 1-line block ×3, first 2 shown]
	v_add_u32_e32 v8, 2, v8
	v_cmp_gt_u32_e32 vcc, s12, v8
	s_and_saveexec_b64 s[8:9], vcc
	s_cbranch_execz .LBB1200_233
; %bb.232:
	s_waitcnt lgkmcnt(2)
	v_and_b32_e32 v8, 1, v1
	s_waitcnt lgkmcnt(0)
	v_cmp_lt_i64_e32 vcc, v[4:5], v[2:3]
	v_cmp_eq_u32_e64 s[0:1], 1, v8
	v_and_b32_e32 v6, 1, v7
	s_and_b64 vcc, s[0:1], vcc
	v_cndmask_b32_e64 v7, v7, 1, s[0:1]
	v_cndmask_b32_e32 v2, v2, v4, vcc
	v_cndmask_b32_e32 v3, v3, v5, vcc
	v_cmp_eq_u32_e32 vcc, 1, v6
	v_cndmask_b32_e32 v1, v1, v7, vcc
	v_cndmask_b32_e32 v3, v5, v3, vcc
	;; [unrolled: 1-line block ×3, first 2 shown]
	v_and_b32_e32 v6, 0xff, v1
.LBB1200_233:
	s_or_b64 exec, exec, s[8:9]
.LBB1200_234:
	s_or_b64 exec, exec, s[2:3]
.LBB1200_235:
	v_cmp_eq_u32_e32 vcc, 0, v0
                                        ; implicit-def: $vgpr4_vgpr5
                                        ; implicit-def: $vgpr1
	s_and_saveexec_b64 s[8:9], vcc
	s_cbranch_execz .LBB1200_239
; %bb.236:
	s_cmp_eq_u64 s[22:23], 0
	s_waitcnt lgkmcnt(0)
	v_pk_mov_b32 v[4:5], s[18:19], s[18:19] op_sel:[0,1]
	v_mov_b32_e32 v1, s33
	s_cbranch_scc1 .LBB1200_238
; %bb.237:
	v_and_b32_e32 v0, 1, v6
	s_bitcmp1_b32 s33, 0
	v_mov_b32_e32 v1, s33
	v_cmp_eq_u32_e32 vcc, 1, v0
	v_cmp_gt_i64_e64 s[2:3], s[18:19], v[2:3]
	v_cndmask_b32_e64 v0, v1, 1, vcc
	s_cselect_b64 s[0:1], -1, 0
	v_mov_b32_e32 v1, s18
	s_and_b64 vcc, vcc, s[2:3]
	v_cndmask_b32_e32 v4, v1, v2, vcc
	v_mov_b32_e32 v1, s19
	v_cndmask_b32_e32 v5, v1, v3, vcc
	v_cndmask_b32_e64 v1, v6, v0, s[0:1]
	v_cndmask_b32_e64 v5, v3, v5, s[0:1]
	;; [unrolled: 1-line block ×3, first 2 shown]
.LBB1200_238:
	s_or_b64 s[10:11], s[10:11], exec
.LBB1200_239:
	s_or_b64 exec, exec, s[8:9]
	s_and_saveexec_b64 s[0:1], s[10:11]
	s_cbranch_execnz .LBB1200_209
	s_branch .LBB1200_210
.LBB1200_240:
	v_lshlrev_b32_e32 v10, 3, v25
	global_load_dwordx2 v[26:27], v10, s[16:17]
	v_mov_b32_e32 v11, s39
	v_add_co_u32_e64 v10, s[16:17], s38, v25
	v_addc_co_u32_e64 v11, s[16:17], 0, v11, s[16:17]
	v_mov_b32_e32 v21, s37
	v_add_co_u32_e64 v28, s[16:17], s36, v25
	v_addc_co_u32_e64 v29, s[16:17], 0, v21, s[16:17]
	s_waitcnt vmcnt(0)
	v_cmp_ne_u64_e64 s[16:17], v[26:27], v[28:29]
	v_cndmask_b32_e64 v21, 0, 1, s[16:17]
	s_or_b64 exec, exec, s[30:31]
	s_and_saveexec_b64 s[30:31], vcc
	s_cbranch_execz .LBB1200_61
.LBB1200_241:
	v_and_b32_e32 v26, 1, v18
	v_cmp_lt_i64_e32 vcc, v[4:5], v[2:3]
	v_cmp_eq_u32_e64 s[16:17], 1, v26
	v_and_b32_e32 v25, 1, v1
	s_and_b64 vcc, s[16:17], vcc
	v_cndmask_b32_e64 v1, v1, 1, s[16:17]
	v_cndmask_b32_e32 v2, v2, v4, vcc
	v_cndmask_b32_e32 v3, v3, v5, vcc
	v_cmp_eq_u32_e32 vcc, 1, v25
	v_cndmask_b32_e32 v1, v18, v1, vcc
	v_cndmask_b32_e32 v3, v5, v3, vcc
	;; [unrolled: 1-line block ×3, first 2 shown]
	s_or_b64 exec, exec, s[30:31]
	s_and_saveexec_b64 s[16:17], s[0:1]
	s_cbranch_execz .LBB1200_62
.LBB1200_242:
	v_and_b32_e32 v5, 1, v22
	v_cmp_lt_i64_e32 vcc, v[12:13], v[2:3]
	v_cmp_eq_u32_e64 s[0:1], 1, v5
	v_and_b32_e32 v4, 1, v1
	s_and_b64 vcc, s[0:1], vcc
	v_cndmask_b32_e64 v1, v1, 1, s[0:1]
	v_cndmask_b32_e32 v2, v2, v12, vcc
	v_cndmask_b32_e32 v3, v3, v13, vcc
	v_cmp_eq_u32_e32 vcc, 1, v4
	v_cndmask_b32_e32 v1, v22, v1, vcc
	v_cndmask_b32_e32 v3, v13, v3, vcc
	;; [unrolled: 1-line block ×3, first 2 shown]
	s_or_b64 exec, exec, s[16:17]
	s_and_saveexec_b64 s[16:17], s[2:3]
	s_cbranch_execz .LBB1200_63
.LBB1200_243:
	v_and_b32_e32 v5, 1, v19
	v_cmp_lt_i64_e32 vcc, v[6:7], v[2:3]
	v_cmp_eq_u32_e64 s[0:1], 1, v5
	v_and_b32_e32 v4, 1, v1
	s_and_b64 vcc, s[0:1], vcc
	v_cndmask_b32_e64 v1, v1, 1, s[0:1]
	v_cndmask_b32_e32 v2, v2, v6, vcc
	v_cndmask_b32_e32 v3, v3, v7, vcc
	v_cmp_eq_u32_e32 vcc, 1, v4
	v_cndmask_b32_e32 v1, v19, v1, vcc
	v_cndmask_b32_e32 v3, v7, v3, vcc
	;; [unrolled: 1-line block ×3, first 2 shown]
	s_or_b64 exec, exec, s[16:17]
	s_and_saveexec_b64 s[2:3], s[8:9]
	s_cbranch_execz .LBB1200_64
.LBB1200_244:
	v_and_b32_e32 v5, 1, v23
	v_cmp_lt_i64_e32 vcc, v[14:15], v[2:3]
	v_cmp_eq_u32_e64 s[0:1], 1, v5
	v_and_b32_e32 v4, 1, v1
	s_and_b64 vcc, s[0:1], vcc
	v_cndmask_b32_e64 v1, v1, 1, s[0:1]
	v_cndmask_b32_e32 v2, v2, v14, vcc
	v_cndmask_b32_e32 v3, v3, v15, vcc
	v_cmp_eq_u32_e32 vcc, 1, v4
	v_cndmask_b32_e32 v1, v23, v1, vcc
	v_cndmask_b32_e32 v3, v15, v3, vcc
	;; [unrolled: 1-line block ×3, first 2 shown]
	s_or_b64 exec, exec, s[2:3]
	s_and_saveexec_b64 s[2:3], s[10:11]
	s_cbranch_execz .LBB1200_65
.LBB1200_245:
	v_and_b32_e32 v5, 1, v20
	v_cmp_lt_i64_e32 vcc, v[8:9], v[2:3]
	v_cmp_eq_u32_e64 s[0:1], 1, v5
	v_and_b32_e32 v4, 1, v1
	s_and_b64 vcc, s[0:1], vcc
	v_cndmask_b32_e64 v1, v1, 1, s[0:1]
	v_cndmask_b32_e32 v2, v2, v8, vcc
	v_cndmask_b32_e32 v3, v3, v9, vcc
	v_cmp_eq_u32_e32 vcc, 1, v4
	v_cndmask_b32_e32 v1, v20, v1, vcc
	v_cndmask_b32_e32 v3, v9, v3, vcc
	;; [unrolled: 1-line block ×3, first 2 shown]
	s_or_b64 exec, exec, s[2:3]
	s_and_saveexec_b64 s[2:3], s[12:13]
	s_cbranch_execz .LBB1200_66
.LBB1200_246:
	v_and_b32_e32 v5, 1, v24
	v_cmp_lt_i64_e32 vcc, v[16:17], v[2:3]
	v_cmp_eq_u32_e64 s[0:1], 1, v5
	v_and_b32_e32 v4, 1, v1
	s_and_b64 vcc, s[0:1], vcc
	v_cndmask_b32_e64 v1, v1, 1, s[0:1]
	v_cndmask_b32_e32 v2, v2, v16, vcc
	v_cndmask_b32_e32 v3, v3, v17, vcc
	v_cmp_eq_u32_e32 vcc, 1, v4
	v_cndmask_b32_e32 v1, v24, v1, vcc
	v_cndmask_b32_e32 v3, v17, v3, vcc
	;; [unrolled: 1-line block ×3, first 2 shown]
	s_or_b64 exec, exec, s[2:3]
	s_and_saveexec_b64 s[2:3], s[14:15]
	s_cbranch_execnz .LBB1200_67
	s_branch .LBB1200_68
.LBB1200_247:
	v_lshlrev_b32_e32 v6, 3, v13
	global_load_dwordx2 v[14:15], v6, s[8:9]
	v_mov_b32_e32 v7, s28
	v_add_co_u32_e64 v6, s[8:9], s17, v13
	v_addc_co_u32_e64 v7, s[8:9], 0, v7, s[8:9]
	v_mov_b32_e32 v11, s16
	v_add_co_u32_e64 v16, s[8:9], s15, v13
	v_addc_co_u32_e64 v17, s[8:9], 0, v11, s[8:9]
	s_waitcnt vmcnt(0)
	v_cmp_ne_u64_e64 s[8:9], v[14:15], v[16:17]
	v_cndmask_b32_e64 v11, 0, 1, s[8:9]
	s_or_b64 exec, exec, s[12:13]
	s_and_saveexec_b64 s[12:13], vcc
	s_cbranch_execz .LBB1200_104
.LBB1200_248:
	v_and_b32_e32 v14, 1, v1
	v_cmp_lt_i64_e32 vcc, v[4:5], v[2:3]
	v_cmp_eq_u32_e64 s[8:9], 1, v14
	v_and_b32_e32 v13, 1, v10
	s_and_b64 vcc, s[8:9], vcc
	v_cndmask_b32_e64 v10, v10, 1, s[8:9]
	v_cndmask_b32_e32 v2, v2, v4, vcc
	v_cndmask_b32_e32 v3, v3, v5, vcc
	v_cmp_eq_u32_e32 vcc, 1, v13
	v_cndmask_b32_e32 v10, v1, v10, vcc
	v_cndmask_b32_e32 v3, v5, v3, vcc
	;; [unrolled: 1-line block ×3, first 2 shown]
	s_or_b64 exec, exec, s[12:13]
	s_and_saveexec_b64 s[8:9], s[0:1]
	s_cbranch_execz .LBB1200_105
.LBB1200_249:
	v_and_b32_e32 v4, 1, v12
	v_cmp_lt_i64_e32 vcc, v[8:9], v[2:3]
	v_cmp_eq_u32_e64 s[0:1], 1, v4
	v_and_b32_e32 v1, 1, v10
	s_and_b64 vcc, s[0:1], vcc
	v_cndmask_b32_e64 v4, v10, 1, s[0:1]
	v_cndmask_b32_e32 v2, v2, v8, vcc
	v_cndmask_b32_e32 v3, v3, v9, vcc
	v_cmp_eq_u32_e32 vcc, 1, v1
	v_cndmask_b32_e32 v10, v12, v4, vcc
	v_cndmask_b32_e32 v3, v9, v3, vcc
	;; [unrolled: 1-line block ×3, first 2 shown]
	s_or_b64 exec, exec, s[8:9]
	s_and_saveexec_b64 s[8:9], s[2:3]
	s_cbranch_execnz .LBB1200_106
	s_branch .LBB1200_107
	.section	.rodata,"a",@progbits
	.p2align	6, 0x0
	.amdhsa_kernel _ZN7rocprim17ROCPRIM_400000_NS6detail17trampoline_kernelINS0_14default_configENS1_22reduce_config_selectorIN6thrust23THRUST_200600_302600_NS5tupleIblNS6_9null_typeES8_S8_S8_S8_S8_S8_S8_EEEEZNS1_11reduce_implILb1ES3_NS6_12zip_iteratorINS7_INS6_11hip_rocprim26transform_input_iterator_tIbNSD_35transform_pair_of_input_iterators_tIbNS6_6detail15normal_iteratorINS6_10device_ptrIlEEEENS6_17counting_iteratorIlNS6_11use_defaultESM_SM_EENS6_8equal_toIlEEEENSG_9not_fun_tINSD_8identityEEEEENSD_19counting_iterator_tIlEES8_S8_S8_S8_S8_S8_S8_S8_EEEEPS9_S9_NSD_9__find_if7functorIS9_EEEE10hipError_tPvRmT1_T2_T3_mT4_P12ihipStream_tbEUlT_E1_NS1_11comp_targetILNS1_3genE4ELNS1_11target_archE910ELNS1_3gpuE8ELNS1_3repE0EEENS1_30default_config_static_selectorELNS0_4arch9wavefront6targetE1EEEvS16_
		.amdhsa_group_segment_fixed_size 320
		.amdhsa_private_segment_fixed_size 0
		.amdhsa_kernarg_size 88
		.amdhsa_user_sgpr_count 6
		.amdhsa_user_sgpr_private_segment_buffer 1
		.amdhsa_user_sgpr_dispatch_ptr 0
		.amdhsa_user_sgpr_queue_ptr 0
		.amdhsa_user_sgpr_kernarg_segment_ptr 1
		.amdhsa_user_sgpr_dispatch_id 0
		.amdhsa_user_sgpr_flat_scratch_init 0
		.amdhsa_user_sgpr_kernarg_preload_length 0
		.amdhsa_user_sgpr_kernarg_preload_offset 0
		.amdhsa_user_sgpr_private_segment_size 0
		.amdhsa_uses_dynamic_stack 0
		.amdhsa_system_sgpr_private_segment_wavefront_offset 0
		.amdhsa_system_sgpr_workgroup_id_x 1
		.amdhsa_system_sgpr_workgroup_id_y 0
		.amdhsa_system_sgpr_workgroup_id_z 0
		.amdhsa_system_sgpr_workgroup_info 0
		.amdhsa_system_vgpr_workitem_id 0
		.amdhsa_next_free_vgpr 37
		.amdhsa_next_free_sgpr 40
		.amdhsa_accum_offset 40
		.amdhsa_reserve_vcc 1
		.amdhsa_reserve_flat_scratch 0
		.amdhsa_float_round_mode_32 0
		.amdhsa_float_round_mode_16_64 0
		.amdhsa_float_denorm_mode_32 3
		.amdhsa_float_denorm_mode_16_64 3
		.amdhsa_dx10_clamp 1
		.amdhsa_ieee_mode 1
		.amdhsa_fp16_overflow 0
		.amdhsa_tg_split 0
		.amdhsa_exception_fp_ieee_invalid_op 0
		.amdhsa_exception_fp_denorm_src 0
		.amdhsa_exception_fp_ieee_div_zero 0
		.amdhsa_exception_fp_ieee_overflow 0
		.amdhsa_exception_fp_ieee_underflow 0
		.amdhsa_exception_fp_ieee_inexact 0
		.amdhsa_exception_int_div_zero 0
	.end_amdhsa_kernel
	.section	.text._ZN7rocprim17ROCPRIM_400000_NS6detail17trampoline_kernelINS0_14default_configENS1_22reduce_config_selectorIN6thrust23THRUST_200600_302600_NS5tupleIblNS6_9null_typeES8_S8_S8_S8_S8_S8_S8_EEEEZNS1_11reduce_implILb1ES3_NS6_12zip_iteratorINS7_INS6_11hip_rocprim26transform_input_iterator_tIbNSD_35transform_pair_of_input_iterators_tIbNS6_6detail15normal_iteratorINS6_10device_ptrIlEEEENS6_17counting_iteratorIlNS6_11use_defaultESM_SM_EENS6_8equal_toIlEEEENSG_9not_fun_tINSD_8identityEEEEENSD_19counting_iterator_tIlEES8_S8_S8_S8_S8_S8_S8_S8_EEEEPS9_S9_NSD_9__find_if7functorIS9_EEEE10hipError_tPvRmT1_T2_T3_mT4_P12ihipStream_tbEUlT_E1_NS1_11comp_targetILNS1_3genE4ELNS1_11target_archE910ELNS1_3gpuE8ELNS1_3repE0EEENS1_30default_config_static_selectorELNS0_4arch9wavefront6targetE1EEEvS16_,"axG",@progbits,_ZN7rocprim17ROCPRIM_400000_NS6detail17trampoline_kernelINS0_14default_configENS1_22reduce_config_selectorIN6thrust23THRUST_200600_302600_NS5tupleIblNS6_9null_typeES8_S8_S8_S8_S8_S8_S8_EEEEZNS1_11reduce_implILb1ES3_NS6_12zip_iteratorINS7_INS6_11hip_rocprim26transform_input_iterator_tIbNSD_35transform_pair_of_input_iterators_tIbNS6_6detail15normal_iteratorINS6_10device_ptrIlEEEENS6_17counting_iteratorIlNS6_11use_defaultESM_SM_EENS6_8equal_toIlEEEENSG_9not_fun_tINSD_8identityEEEEENSD_19counting_iterator_tIlEES8_S8_S8_S8_S8_S8_S8_S8_EEEEPS9_S9_NSD_9__find_if7functorIS9_EEEE10hipError_tPvRmT1_T2_T3_mT4_P12ihipStream_tbEUlT_E1_NS1_11comp_targetILNS1_3genE4ELNS1_11target_archE910ELNS1_3gpuE8ELNS1_3repE0EEENS1_30default_config_static_selectorELNS0_4arch9wavefront6targetE1EEEvS16_,comdat
.Lfunc_end1200:
	.size	_ZN7rocprim17ROCPRIM_400000_NS6detail17trampoline_kernelINS0_14default_configENS1_22reduce_config_selectorIN6thrust23THRUST_200600_302600_NS5tupleIblNS6_9null_typeES8_S8_S8_S8_S8_S8_S8_EEEEZNS1_11reduce_implILb1ES3_NS6_12zip_iteratorINS7_INS6_11hip_rocprim26transform_input_iterator_tIbNSD_35transform_pair_of_input_iterators_tIbNS6_6detail15normal_iteratorINS6_10device_ptrIlEEEENS6_17counting_iteratorIlNS6_11use_defaultESM_SM_EENS6_8equal_toIlEEEENSG_9not_fun_tINSD_8identityEEEEENSD_19counting_iterator_tIlEES8_S8_S8_S8_S8_S8_S8_S8_EEEEPS9_S9_NSD_9__find_if7functorIS9_EEEE10hipError_tPvRmT1_T2_T3_mT4_P12ihipStream_tbEUlT_E1_NS1_11comp_targetILNS1_3genE4ELNS1_11target_archE910ELNS1_3gpuE8ELNS1_3repE0EEENS1_30default_config_static_selectorELNS0_4arch9wavefront6targetE1EEEvS16_, .Lfunc_end1200-_ZN7rocprim17ROCPRIM_400000_NS6detail17trampoline_kernelINS0_14default_configENS1_22reduce_config_selectorIN6thrust23THRUST_200600_302600_NS5tupleIblNS6_9null_typeES8_S8_S8_S8_S8_S8_S8_EEEEZNS1_11reduce_implILb1ES3_NS6_12zip_iteratorINS7_INS6_11hip_rocprim26transform_input_iterator_tIbNSD_35transform_pair_of_input_iterators_tIbNS6_6detail15normal_iteratorINS6_10device_ptrIlEEEENS6_17counting_iteratorIlNS6_11use_defaultESM_SM_EENS6_8equal_toIlEEEENSG_9not_fun_tINSD_8identityEEEEENSD_19counting_iterator_tIlEES8_S8_S8_S8_S8_S8_S8_S8_EEEEPS9_S9_NSD_9__find_if7functorIS9_EEEE10hipError_tPvRmT1_T2_T3_mT4_P12ihipStream_tbEUlT_E1_NS1_11comp_targetILNS1_3genE4ELNS1_11target_archE910ELNS1_3gpuE8ELNS1_3repE0EEENS1_30default_config_static_selectorELNS0_4arch9wavefront6targetE1EEEvS16_
                                        ; -- End function
	.section	.AMDGPU.csdata,"",@progbits
; Kernel info:
; codeLenInByte = 13372
; NumSgprs: 44
; NumVgprs: 37
; NumAgprs: 0
; TotalNumVgprs: 37
; ScratchSize: 0
; MemoryBound: 0
; FloatMode: 240
; IeeeMode: 1
; LDSByteSize: 320 bytes/workgroup (compile time only)
; SGPRBlocks: 5
; VGPRBlocks: 4
; NumSGPRsForWavesPerEU: 44
; NumVGPRsForWavesPerEU: 37
; AccumOffset: 40
; Occupancy: 8
; WaveLimiterHint : 1
; COMPUTE_PGM_RSRC2:SCRATCH_EN: 0
; COMPUTE_PGM_RSRC2:USER_SGPR: 6
; COMPUTE_PGM_RSRC2:TRAP_HANDLER: 0
; COMPUTE_PGM_RSRC2:TGID_X_EN: 1
; COMPUTE_PGM_RSRC2:TGID_Y_EN: 0
; COMPUTE_PGM_RSRC2:TGID_Z_EN: 0
; COMPUTE_PGM_RSRC2:TIDIG_COMP_CNT: 0
; COMPUTE_PGM_RSRC3_GFX90A:ACCUM_OFFSET: 9
; COMPUTE_PGM_RSRC3_GFX90A:TG_SPLIT: 0
	.section	.text._ZN7rocprim17ROCPRIM_400000_NS6detail17trampoline_kernelINS0_14default_configENS1_22reduce_config_selectorIN6thrust23THRUST_200600_302600_NS5tupleIblNS6_9null_typeES8_S8_S8_S8_S8_S8_S8_EEEEZNS1_11reduce_implILb1ES3_NS6_12zip_iteratorINS7_INS6_11hip_rocprim26transform_input_iterator_tIbNSD_35transform_pair_of_input_iterators_tIbNS6_6detail15normal_iteratorINS6_10device_ptrIlEEEENS6_17counting_iteratorIlNS6_11use_defaultESM_SM_EENS6_8equal_toIlEEEENSG_9not_fun_tINSD_8identityEEEEENSD_19counting_iterator_tIlEES8_S8_S8_S8_S8_S8_S8_S8_EEEEPS9_S9_NSD_9__find_if7functorIS9_EEEE10hipError_tPvRmT1_T2_T3_mT4_P12ihipStream_tbEUlT_E1_NS1_11comp_targetILNS1_3genE3ELNS1_11target_archE908ELNS1_3gpuE7ELNS1_3repE0EEENS1_30default_config_static_selectorELNS0_4arch9wavefront6targetE1EEEvS16_,"axG",@progbits,_ZN7rocprim17ROCPRIM_400000_NS6detail17trampoline_kernelINS0_14default_configENS1_22reduce_config_selectorIN6thrust23THRUST_200600_302600_NS5tupleIblNS6_9null_typeES8_S8_S8_S8_S8_S8_S8_EEEEZNS1_11reduce_implILb1ES3_NS6_12zip_iteratorINS7_INS6_11hip_rocprim26transform_input_iterator_tIbNSD_35transform_pair_of_input_iterators_tIbNS6_6detail15normal_iteratorINS6_10device_ptrIlEEEENS6_17counting_iteratorIlNS6_11use_defaultESM_SM_EENS6_8equal_toIlEEEENSG_9not_fun_tINSD_8identityEEEEENSD_19counting_iterator_tIlEES8_S8_S8_S8_S8_S8_S8_S8_EEEEPS9_S9_NSD_9__find_if7functorIS9_EEEE10hipError_tPvRmT1_T2_T3_mT4_P12ihipStream_tbEUlT_E1_NS1_11comp_targetILNS1_3genE3ELNS1_11target_archE908ELNS1_3gpuE7ELNS1_3repE0EEENS1_30default_config_static_selectorELNS0_4arch9wavefront6targetE1EEEvS16_,comdat
	.protected	_ZN7rocprim17ROCPRIM_400000_NS6detail17trampoline_kernelINS0_14default_configENS1_22reduce_config_selectorIN6thrust23THRUST_200600_302600_NS5tupleIblNS6_9null_typeES8_S8_S8_S8_S8_S8_S8_EEEEZNS1_11reduce_implILb1ES3_NS6_12zip_iteratorINS7_INS6_11hip_rocprim26transform_input_iterator_tIbNSD_35transform_pair_of_input_iterators_tIbNS6_6detail15normal_iteratorINS6_10device_ptrIlEEEENS6_17counting_iteratorIlNS6_11use_defaultESM_SM_EENS6_8equal_toIlEEEENSG_9not_fun_tINSD_8identityEEEEENSD_19counting_iterator_tIlEES8_S8_S8_S8_S8_S8_S8_S8_EEEEPS9_S9_NSD_9__find_if7functorIS9_EEEE10hipError_tPvRmT1_T2_T3_mT4_P12ihipStream_tbEUlT_E1_NS1_11comp_targetILNS1_3genE3ELNS1_11target_archE908ELNS1_3gpuE7ELNS1_3repE0EEENS1_30default_config_static_selectorELNS0_4arch9wavefront6targetE1EEEvS16_ ; -- Begin function _ZN7rocprim17ROCPRIM_400000_NS6detail17trampoline_kernelINS0_14default_configENS1_22reduce_config_selectorIN6thrust23THRUST_200600_302600_NS5tupleIblNS6_9null_typeES8_S8_S8_S8_S8_S8_S8_EEEEZNS1_11reduce_implILb1ES3_NS6_12zip_iteratorINS7_INS6_11hip_rocprim26transform_input_iterator_tIbNSD_35transform_pair_of_input_iterators_tIbNS6_6detail15normal_iteratorINS6_10device_ptrIlEEEENS6_17counting_iteratorIlNS6_11use_defaultESM_SM_EENS6_8equal_toIlEEEENSG_9not_fun_tINSD_8identityEEEEENSD_19counting_iterator_tIlEES8_S8_S8_S8_S8_S8_S8_S8_EEEEPS9_S9_NSD_9__find_if7functorIS9_EEEE10hipError_tPvRmT1_T2_T3_mT4_P12ihipStream_tbEUlT_E1_NS1_11comp_targetILNS1_3genE3ELNS1_11target_archE908ELNS1_3gpuE7ELNS1_3repE0EEENS1_30default_config_static_selectorELNS0_4arch9wavefront6targetE1EEEvS16_
	.globl	_ZN7rocprim17ROCPRIM_400000_NS6detail17trampoline_kernelINS0_14default_configENS1_22reduce_config_selectorIN6thrust23THRUST_200600_302600_NS5tupleIblNS6_9null_typeES8_S8_S8_S8_S8_S8_S8_EEEEZNS1_11reduce_implILb1ES3_NS6_12zip_iteratorINS7_INS6_11hip_rocprim26transform_input_iterator_tIbNSD_35transform_pair_of_input_iterators_tIbNS6_6detail15normal_iteratorINS6_10device_ptrIlEEEENS6_17counting_iteratorIlNS6_11use_defaultESM_SM_EENS6_8equal_toIlEEEENSG_9not_fun_tINSD_8identityEEEEENSD_19counting_iterator_tIlEES8_S8_S8_S8_S8_S8_S8_S8_EEEEPS9_S9_NSD_9__find_if7functorIS9_EEEE10hipError_tPvRmT1_T2_T3_mT4_P12ihipStream_tbEUlT_E1_NS1_11comp_targetILNS1_3genE3ELNS1_11target_archE908ELNS1_3gpuE7ELNS1_3repE0EEENS1_30default_config_static_selectorELNS0_4arch9wavefront6targetE1EEEvS16_
	.p2align	8
	.type	_ZN7rocprim17ROCPRIM_400000_NS6detail17trampoline_kernelINS0_14default_configENS1_22reduce_config_selectorIN6thrust23THRUST_200600_302600_NS5tupleIblNS6_9null_typeES8_S8_S8_S8_S8_S8_S8_EEEEZNS1_11reduce_implILb1ES3_NS6_12zip_iteratorINS7_INS6_11hip_rocprim26transform_input_iterator_tIbNSD_35transform_pair_of_input_iterators_tIbNS6_6detail15normal_iteratorINS6_10device_ptrIlEEEENS6_17counting_iteratorIlNS6_11use_defaultESM_SM_EENS6_8equal_toIlEEEENSG_9not_fun_tINSD_8identityEEEEENSD_19counting_iterator_tIlEES8_S8_S8_S8_S8_S8_S8_S8_EEEEPS9_S9_NSD_9__find_if7functorIS9_EEEE10hipError_tPvRmT1_T2_T3_mT4_P12ihipStream_tbEUlT_E1_NS1_11comp_targetILNS1_3genE3ELNS1_11target_archE908ELNS1_3gpuE7ELNS1_3repE0EEENS1_30default_config_static_selectorELNS0_4arch9wavefront6targetE1EEEvS16_,@function
_ZN7rocprim17ROCPRIM_400000_NS6detail17trampoline_kernelINS0_14default_configENS1_22reduce_config_selectorIN6thrust23THRUST_200600_302600_NS5tupleIblNS6_9null_typeES8_S8_S8_S8_S8_S8_S8_EEEEZNS1_11reduce_implILb1ES3_NS6_12zip_iteratorINS7_INS6_11hip_rocprim26transform_input_iterator_tIbNSD_35transform_pair_of_input_iterators_tIbNS6_6detail15normal_iteratorINS6_10device_ptrIlEEEENS6_17counting_iteratorIlNS6_11use_defaultESM_SM_EENS6_8equal_toIlEEEENSG_9not_fun_tINSD_8identityEEEEENSD_19counting_iterator_tIlEES8_S8_S8_S8_S8_S8_S8_S8_EEEEPS9_S9_NSD_9__find_if7functorIS9_EEEE10hipError_tPvRmT1_T2_T3_mT4_P12ihipStream_tbEUlT_E1_NS1_11comp_targetILNS1_3genE3ELNS1_11target_archE908ELNS1_3gpuE7ELNS1_3repE0EEENS1_30default_config_static_selectorELNS0_4arch9wavefront6targetE1EEEvS16_: ; @_ZN7rocprim17ROCPRIM_400000_NS6detail17trampoline_kernelINS0_14default_configENS1_22reduce_config_selectorIN6thrust23THRUST_200600_302600_NS5tupleIblNS6_9null_typeES8_S8_S8_S8_S8_S8_S8_EEEEZNS1_11reduce_implILb1ES3_NS6_12zip_iteratorINS7_INS6_11hip_rocprim26transform_input_iterator_tIbNSD_35transform_pair_of_input_iterators_tIbNS6_6detail15normal_iteratorINS6_10device_ptrIlEEEENS6_17counting_iteratorIlNS6_11use_defaultESM_SM_EENS6_8equal_toIlEEEENSG_9not_fun_tINSD_8identityEEEEENSD_19counting_iterator_tIlEES8_S8_S8_S8_S8_S8_S8_S8_EEEEPS9_S9_NSD_9__find_if7functorIS9_EEEE10hipError_tPvRmT1_T2_T3_mT4_P12ihipStream_tbEUlT_E1_NS1_11comp_targetILNS1_3genE3ELNS1_11target_archE908ELNS1_3gpuE7ELNS1_3repE0EEENS1_30default_config_static_selectorELNS0_4arch9wavefront6targetE1EEEvS16_
; %bb.0:
	.section	.rodata,"a",@progbits
	.p2align	6, 0x0
	.amdhsa_kernel _ZN7rocprim17ROCPRIM_400000_NS6detail17trampoline_kernelINS0_14default_configENS1_22reduce_config_selectorIN6thrust23THRUST_200600_302600_NS5tupleIblNS6_9null_typeES8_S8_S8_S8_S8_S8_S8_EEEEZNS1_11reduce_implILb1ES3_NS6_12zip_iteratorINS7_INS6_11hip_rocprim26transform_input_iterator_tIbNSD_35transform_pair_of_input_iterators_tIbNS6_6detail15normal_iteratorINS6_10device_ptrIlEEEENS6_17counting_iteratorIlNS6_11use_defaultESM_SM_EENS6_8equal_toIlEEEENSG_9not_fun_tINSD_8identityEEEEENSD_19counting_iterator_tIlEES8_S8_S8_S8_S8_S8_S8_S8_EEEEPS9_S9_NSD_9__find_if7functorIS9_EEEE10hipError_tPvRmT1_T2_T3_mT4_P12ihipStream_tbEUlT_E1_NS1_11comp_targetILNS1_3genE3ELNS1_11target_archE908ELNS1_3gpuE7ELNS1_3repE0EEENS1_30default_config_static_selectorELNS0_4arch9wavefront6targetE1EEEvS16_
		.amdhsa_group_segment_fixed_size 0
		.amdhsa_private_segment_fixed_size 0
		.amdhsa_kernarg_size 88
		.amdhsa_user_sgpr_count 6
		.amdhsa_user_sgpr_private_segment_buffer 1
		.amdhsa_user_sgpr_dispatch_ptr 0
		.amdhsa_user_sgpr_queue_ptr 0
		.amdhsa_user_sgpr_kernarg_segment_ptr 1
		.amdhsa_user_sgpr_dispatch_id 0
		.amdhsa_user_sgpr_flat_scratch_init 0
		.amdhsa_user_sgpr_kernarg_preload_length 0
		.amdhsa_user_sgpr_kernarg_preload_offset 0
		.amdhsa_user_sgpr_private_segment_size 0
		.amdhsa_uses_dynamic_stack 0
		.amdhsa_system_sgpr_private_segment_wavefront_offset 0
		.amdhsa_system_sgpr_workgroup_id_x 1
		.amdhsa_system_sgpr_workgroup_id_y 0
		.amdhsa_system_sgpr_workgroup_id_z 0
		.amdhsa_system_sgpr_workgroup_info 0
		.amdhsa_system_vgpr_workitem_id 0
		.amdhsa_next_free_vgpr 1
		.amdhsa_next_free_sgpr 0
		.amdhsa_accum_offset 4
		.amdhsa_reserve_vcc 0
		.amdhsa_reserve_flat_scratch 0
		.amdhsa_float_round_mode_32 0
		.amdhsa_float_round_mode_16_64 0
		.amdhsa_float_denorm_mode_32 3
		.amdhsa_float_denorm_mode_16_64 3
		.amdhsa_dx10_clamp 1
		.amdhsa_ieee_mode 1
		.amdhsa_fp16_overflow 0
		.amdhsa_tg_split 0
		.amdhsa_exception_fp_ieee_invalid_op 0
		.amdhsa_exception_fp_denorm_src 0
		.amdhsa_exception_fp_ieee_div_zero 0
		.amdhsa_exception_fp_ieee_overflow 0
		.amdhsa_exception_fp_ieee_underflow 0
		.amdhsa_exception_fp_ieee_inexact 0
		.amdhsa_exception_int_div_zero 0
	.end_amdhsa_kernel
	.section	.text._ZN7rocprim17ROCPRIM_400000_NS6detail17trampoline_kernelINS0_14default_configENS1_22reduce_config_selectorIN6thrust23THRUST_200600_302600_NS5tupleIblNS6_9null_typeES8_S8_S8_S8_S8_S8_S8_EEEEZNS1_11reduce_implILb1ES3_NS6_12zip_iteratorINS7_INS6_11hip_rocprim26transform_input_iterator_tIbNSD_35transform_pair_of_input_iterators_tIbNS6_6detail15normal_iteratorINS6_10device_ptrIlEEEENS6_17counting_iteratorIlNS6_11use_defaultESM_SM_EENS6_8equal_toIlEEEENSG_9not_fun_tINSD_8identityEEEEENSD_19counting_iterator_tIlEES8_S8_S8_S8_S8_S8_S8_S8_EEEEPS9_S9_NSD_9__find_if7functorIS9_EEEE10hipError_tPvRmT1_T2_T3_mT4_P12ihipStream_tbEUlT_E1_NS1_11comp_targetILNS1_3genE3ELNS1_11target_archE908ELNS1_3gpuE7ELNS1_3repE0EEENS1_30default_config_static_selectorELNS0_4arch9wavefront6targetE1EEEvS16_,"axG",@progbits,_ZN7rocprim17ROCPRIM_400000_NS6detail17trampoline_kernelINS0_14default_configENS1_22reduce_config_selectorIN6thrust23THRUST_200600_302600_NS5tupleIblNS6_9null_typeES8_S8_S8_S8_S8_S8_S8_EEEEZNS1_11reduce_implILb1ES3_NS6_12zip_iteratorINS7_INS6_11hip_rocprim26transform_input_iterator_tIbNSD_35transform_pair_of_input_iterators_tIbNS6_6detail15normal_iteratorINS6_10device_ptrIlEEEENS6_17counting_iteratorIlNS6_11use_defaultESM_SM_EENS6_8equal_toIlEEEENSG_9not_fun_tINSD_8identityEEEEENSD_19counting_iterator_tIlEES8_S8_S8_S8_S8_S8_S8_S8_EEEEPS9_S9_NSD_9__find_if7functorIS9_EEEE10hipError_tPvRmT1_T2_T3_mT4_P12ihipStream_tbEUlT_E1_NS1_11comp_targetILNS1_3genE3ELNS1_11target_archE908ELNS1_3gpuE7ELNS1_3repE0EEENS1_30default_config_static_selectorELNS0_4arch9wavefront6targetE1EEEvS16_,comdat
.Lfunc_end1201:
	.size	_ZN7rocprim17ROCPRIM_400000_NS6detail17trampoline_kernelINS0_14default_configENS1_22reduce_config_selectorIN6thrust23THRUST_200600_302600_NS5tupleIblNS6_9null_typeES8_S8_S8_S8_S8_S8_S8_EEEEZNS1_11reduce_implILb1ES3_NS6_12zip_iteratorINS7_INS6_11hip_rocprim26transform_input_iterator_tIbNSD_35transform_pair_of_input_iterators_tIbNS6_6detail15normal_iteratorINS6_10device_ptrIlEEEENS6_17counting_iteratorIlNS6_11use_defaultESM_SM_EENS6_8equal_toIlEEEENSG_9not_fun_tINSD_8identityEEEEENSD_19counting_iterator_tIlEES8_S8_S8_S8_S8_S8_S8_S8_EEEEPS9_S9_NSD_9__find_if7functorIS9_EEEE10hipError_tPvRmT1_T2_T3_mT4_P12ihipStream_tbEUlT_E1_NS1_11comp_targetILNS1_3genE3ELNS1_11target_archE908ELNS1_3gpuE7ELNS1_3repE0EEENS1_30default_config_static_selectorELNS0_4arch9wavefront6targetE1EEEvS16_, .Lfunc_end1201-_ZN7rocprim17ROCPRIM_400000_NS6detail17trampoline_kernelINS0_14default_configENS1_22reduce_config_selectorIN6thrust23THRUST_200600_302600_NS5tupleIblNS6_9null_typeES8_S8_S8_S8_S8_S8_S8_EEEEZNS1_11reduce_implILb1ES3_NS6_12zip_iteratorINS7_INS6_11hip_rocprim26transform_input_iterator_tIbNSD_35transform_pair_of_input_iterators_tIbNS6_6detail15normal_iteratorINS6_10device_ptrIlEEEENS6_17counting_iteratorIlNS6_11use_defaultESM_SM_EENS6_8equal_toIlEEEENSG_9not_fun_tINSD_8identityEEEEENSD_19counting_iterator_tIlEES8_S8_S8_S8_S8_S8_S8_S8_EEEEPS9_S9_NSD_9__find_if7functorIS9_EEEE10hipError_tPvRmT1_T2_T3_mT4_P12ihipStream_tbEUlT_E1_NS1_11comp_targetILNS1_3genE3ELNS1_11target_archE908ELNS1_3gpuE7ELNS1_3repE0EEENS1_30default_config_static_selectorELNS0_4arch9wavefront6targetE1EEEvS16_
                                        ; -- End function
	.section	.AMDGPU.csdata,"",@progbits
; Kernel info:
; codeLenInByte = 0
; NumSgprs: 4
; NumVgprs: 0
; NumAgprs: 0
; TotalNumVgprs: 0
; ScratchSize: 0
; MemoryBound: 0
; FloatMode: 240
; IeeeMode: 1
; LDSByteSize: 0 bytes/workgroup (compile time only)
; SGPRBlocks: 0
; VGPRBlocks: 0
; NumSGPRsForWavesPerEU: 4
; NumVGPRsForWavesPerEU: 1
; AccumOffset: 4
; Occupancy: 8
; WaveLimiterHint : 0
; COMPUTE_PGM_RSRC2:SCRATCH_EN: 0
; COMPUTE_PGM_RSRC2:USER_SGPR: 6
; COMPUTE_PGM_RSRC2:TRAP_HANDLER: 0
; COMPUTE_PGM_RSRC2:TGID_X_EN: 1
; COMPUTE_PGM_RSRC2:TGID_Y_EN: 0
; COMPUTE_PGM_RSRC2:TGID_Z_EN: 0
; COMPUTE_PGM_RSRC2:TIDIG_COMP_CNT: 0
; COMPUTE_PGM_RSRC3_GFX90A:ACCUM_OFFSET: 0
; COMPUTE_PGM_RSRC3_GFX90A:TG_SPLIT: 0
	.section	.text._ZN7rocprim17ROCPRIM_400000_NS6detail17trampoline_kernelINS0_14default_configENS1_22reduce_config_selectorIN6thrust23THRUST_200600_302600_NS5tupleIblNS6_9null_typeES8_S8_S8_S8_S8_S8_S8_EEEEZNS1_11reduce_implILb1ES3_NS6_12zip_iteratorINS7_INS6_11hip_rocprim26transform_input_iterator_tIbNSD_35transform_pair_of_input_iterators_tIbNS6_6detail15normal_iteratorINS6_10device_ptrIlEEEENS6_17counting_iteratorIlNS6_11use_defaultESM_SM_EENS6_8equal_toIlEEEENSG_9not_fun_tINSD_8identityEEEEENSD_19counting_iterator_tIlEES8_S8_S8_S8_S8_S8_S8_S8_EEEEPS9_S9_NSD_9__find_if7functorIS9_EEEE10hipError_tPvRmT1_T2_T3_mT4_P12ihipStream_tbEUlT_E1_NS1_11comp_targetILNS1_3genE2ELNS1_11target_archE906ELNS1_3gpuE6ELNS1_3repE0EEENS1_30default_config_static_selectorELNS0_4arch9wavefront6targetE1EEEvS16_,"axG",@progbits,_ZN7rocprim17ROCPRIM_400000_NS6detail17trampoline_kernelINS0_14default_configENS1_22reduce_config_selectorIN6thrust23THRUST_200600_302600_NS5tupleIblNS6_9null_typeES8_S8_S8_S8_S8_S8_S8_EEEEZNS1_11reduce_implILb1ES3_NS6_12zip_iteratorINS7_INS6_11hip_rocprim26transform_input_iterator_tIbNSD_35transform_pair_of_input_iterators_tIbNS6_6detail15normal_iteratorINS6_10device_ptrIlEEEENS6_17counting_iteratorIlNS6_11use_defaultESM_SM_EENS6_8equal_toIlEEEENSG_9not_fun_tINSD_8identityEEEEENSD_19counting_iterator_tIlEES8_S8_S8_S8_S8_S8_S8_S8_EEEEPS9_S9_NSD_9__find_if7functorIS9_EEEE10hipError_tPvRmT1_T2_T3_mT4_P12ihipStream_tbEUlT_E1_NS1_11comp_targetILNS1_3genE2ELNS1_11target_archE906ELNS1_3gpuE6ELNS1_3repE0EEENS1_30default_config_static_selectorELNS0_4arch9wavefront6targetE1EEEvS16_,comdat
	.protected	_ZN7rocprim17ROCPRIM_400000_NS6detail17trampoline_kernelINS0_14default_configENS1_22reduce_config_selectorIN6thrust23THRUST_200600_302600_NS5tupleIblNS6_9null_typeES8_S8_S8_S8_S8_S8_S8_EEEEZNS1_11reduce_implILb1ES3_NS6_12zip_iteratorINS7_INS6_11hip_rocprim26transform_input_iterator_tIbNSD_35transform_pair_of_input_iterators_tIbNS6_6detail15normal_iteratorINS6_10device_ptrIlEEEENS6_17counting_iteratorIlNS6_11use_defaultESM_SM_EENS6_8equal_toIlEEEENSG_9not_fun_tINSD_8identityEEEEENSD_19counting_iterator_tIlEES8_S8_S8_S8_S8_S8_S8_S8_EEEEPS9_S9_NSD_9__find_if7functorIS9_EEEE10hipError_tPvRmT1_T2_T3_mT4_P12ihipStream_tbEUlT_E1_NS1_11comp_targetILNS1_3genE2ELNS1_11target_archE906ELNS1_3gpuE6ELNS1_3repE0EEENS1_30default_config_static_selectorELNS0_4arch9wavefront6targetE1EEEvS16_ ; -- Begin function _ZN7rocprim17ROCPRIM_400000_NS6detail17trampoline_kernelINS0_14default_configENS1_22reduce_config_selectorIN6thrust23THRUST_200600_302600_NS5tupleIblNS6_9null_typeES8_S8_S8_S8_S8_S8_S8_EEEEZNS1_11reduce_implILb1ES3_NS6_12zip_iteratorINS7_INS6_11hip_rocprim26transform_input_iterator_tIbNSD_35transform_pair_of_input_iterators_tIbNS6_6detail15normal_iteratorINS6_10device_ptrIlEEEENS6_17counting_iteratorIlNS6_11use_defaultESM_SM_EENS6_8equal_toIlEEEENSG_9not_fun_tINSD_8identityEEEEENSD_19counting_iterator_tIlEES8_S8_S8_S8_S8_S8_S8_S8_EEEEPS9_S9_NSD_9__find_if7functorIS9_EEEE10hipError_tPvRmT1_T2_T3_mT4_P12ihipStream_tbEUlT_E1_NS1_11comp_targetILNS1_3genE2ELNS1_11target_archE906ELNS1_3gpuE6ELNS1_3repE0EEENS1_30default_config_static_selectorELNS0_4arch9wavefront6targetE1EEEvS16_
	.globl	_ZN7rocprim17ROCPRIM_400000_NS6detail17trampoline_kernelINS0_14default_configENS1_22reduce_config_selectorIN6thrust23THRUST_200600_302600_NS5tupleIblNS6_9null_typeES8_S8_S8_S8_S8_S8_S8_EEEEZNS1_11reduce_implILb1ES3_NS6_12zip_iteratorINS7_INS6_11hip_rocprim26transform_input_iterator_tIbNSD_35transform_pair_of_input_iterators_tIbNS6_6detail15normal_iteratorINS6_10device_ptrIlEEEENS6_17counting_iteratorIlNS6_11use_defaultESM_SM_EENS6_8equal_toIlEEEENSG_9not_fun_tINSD_8identityEEEEENSD_19counting_iterator_tIlEES8_S8_S8_S8_S8_S8_S8_S8_EEEEPS9_S9_NSD_9__find_if7functorIS9_EEEE10hipError_tPvRmT1_T2_T3_mT4_P12ihipStream_tbEUlT_E1_NS1_11comp_targetILNS1_3genE2ELNS1_11target_archE906ELNS1_3gpuE6ELNS1_3repE0EEENS1_30default_config_static_selectorELNS0_4arch9wavefront6targetE1EEEvS16_
	.p2align	8
	.type	_ZN7rocprim17ROCPRIM_400000_NS6detail17trampoline_kernelINS0_14default_configENS1_22reduce_config_selectorIN6thrust23THRUST_200600_302600_NS5tupleIblNS6_9null_typeES8_S8_S8_S8_S8_S8_S8_EEEEZNS1_11reduce_implILb1ES3_NS6_12zip_iteratorINS7_INS6_11hip_rocprim26transform_input_iterator_tIbNSD_35transform_pair_of_input_iterators_tIbNS6_6detail15normal_iteratorINS6_10device_ptrIlEEEENS6_17counting_iteratorIlNS6_11use_defaultESM_SM_EENS6_8equal_toIlEEEENSG_9not_fun_tINSD_8identityEEEEENSD_19counting_iterator_tIlEES8_S8_S8_S8_S8_S8_S8_S8_EEEEPS9_S9_NSD_9__find_if7functorIS9_EEEE10hipError_tPvRmT1_T2_T3_mT4_P12ihipStream_tbEUlT_E1_NS1_11comp_targetILNS1_3genE2ELNS1_11target_archE906ELNS1_3gpuE6ELNS1_3repE0EEENS1_30default_config_static_selectorELNS0_4arch9wavefront6targetE1EEEvS16_,@function
_ZN7rocprim17ROCPRIM_400000_NS6detail17trampoline_kernelINS0_14default_configENS1_22reduce_config_selectorIN6thrust23THRUST_200600_302600_NS5tupleIblNS6_9null_typeES8_S8_S8_S8_S8_S8_S8_EEEEZNS1_11reduce_implILb1ES3_NS6_12zip_iteratorINS7_INS6_11hip_rocprim26transform_input_iterator_tIbNSD_35transform_pair_of_input_iterators_tIbNS6_6detail15normal_iteratorINS6_10device_ptrIlEEEENS6_17counting_iteratorIlNS6_11use_defaultESM_SM_EENS6_8equal_toIlEEEENSG_9not_fun_tINSD_8identityEEEEENSD_19counting_iterator_tIlEES8_S8_S8_S8_S8_S8_S8_S8_EEEEPS9_S9_NSD_9__find_if7functorIS9_EEEE10hipError_tPvRmT1_T2_T3_mT4_P12ihipStream_tbEUlT_E1_NS1_11comp_targetILNS1_3genE2ELNS1_11target_archE906ELNS1_3gpuE6ELNS1_3repE0EEENS1_30default_config_static_selectorELNS0_4arch9wavefront6targetE1EEEvS16_: ; @_ZN7rocprim17ROCPRIM_400000_NS6detail17trampoline_kernelINS0_14default_configENS1_22reduce_config_selectorIN6thrust23THRUST_200600_302600_NS5tupleIblNS6_9null_typeES8_S8_S8_S8_S8_S8_S8_EEEEZNS1_11reduce_implILb1ES3_NS6_12zip_iteratorINS7_INS6_11hip_rocprim26transform_input_iterator_tIbNSD_35transform_pair_of_input_iterators_tIbNS6_6detail15normal_iteratorINS6_10device_ptrIlEEEENS6_17counting_iteratorIlNS6_11use_defaultESM_SM_EENS6_8equal_toIlEEEENSG_9not_fun_tINSD_8identityEEEEENSD_19counting_iterator_tIlEES8_S8_S8_S8_S8_S8_S8_S8_EEEEPS9_S9_NSD_9__find_if7functorIS9_EEEE10hipError_tPvRmT1_T2_T3_mT4_P12ihipStream_tbEUlT_E1_NS1_11comp_targetILNS1_3genE2ELNS1_11target_archE906ELNS1_3gpuE6ELNS1_3repE0EEENS1_30default_config_static_selectorELNS0_4arch9wavefront6targetE1EEEvS16_
; %bb.0:
	.section	.rodata,"a",@progbits
	.p2align	6, 0x0
	.amdhsa_kernel _ZN7rocprim17ROCPRIM_400000_NS6detail17trampoline_kernelINS0_14default_configENS1_22reduce_config_selectorIN6thrust23THRUST_200600_302600_NS5tupleIblNS6_9null_typeES8_S8_S8_S8_S8_S8_S8_EEEEZNS1_11reduce_implILb1ES3_NS6_12zip_iteratorINS7_INS6_11hip_rocprim26transform_input_iterator_tIbNSD_35transform_pair_of_input_iterators_tIbNS6_6detail15normal_iteratorINS6_10device_ptrIlEEEENS6_17counting_iteratorIlNS6_11use_defaultESM_SM_EENS6_8equal_toIlEEEENSG_9not_fun_tINSD_8identityEEEEENSD_19counting_iterator_tIlEES8_S8_S8_S8_S8_S8_S8_S8_EEEEPS9_S9_NSD_9__find_if7functorIS9_EEEE10hipError_tPvRmT1_T2_T3_mT4_P12ihipStream_tbEUlT_E1_NS1_11comp_targetILNS1_3genE2ELNS1_11target_archE906ELNS1_3gpuE6ELNS1_3repE0EEENS1_30default_config_static_selectorELNS0_4arch9wavefront6targetE1EEEvS16_
		.amdhsa_group_segment_fixed_size 0
		.amdhsa_private_segment_fixed_size 0
		.amdhsa_kernarg_size 88
		.amdhsa_user_sgpr_count 6
		.amdhsa_user_sgpr_private_segment_buffer 1
		.amdhsa_user_sgpr_dispatch_ptr 0
		.amdhsa_user_sgpr_queue_ptr 0
		.amdhsa_user_sgpr_kernarg_segment_ptr 1
		.amdhsa_user_sgpr_dispatch_id 0
		.amdhsa_user_sgpr_flat_scratch_init 0
		.amdhsa_user_sgpr_kernarg_preload_length 0
		.amdhsa_user_sgpr_kernarg_preload_offset 0
		.amdhsa_user_sgpr_private_segment_size 0
		.amdhsa_uses_dynamic_stack 0
		.amdhsa_system_sgpr_private_segment_wavefront_offset 0
		.amdhsa_system_sgpr_workgroup_id_x 1
		.amdhsa_system_sgpr_workgroup_id_y 0
		.amdhsa_system_sgpr_workgroup_id_z 0
		.amdhsa_system_sgpr_workgroup_info 0
		.amdhsa_system_vgpr_workitem_id 0
		.amdhsa_next_free_vgpr 1
		.amdhsa_next_free_sgpr 0
		.amdhsa_accum_offset 4
		.amdhsa_reserve_vcc 0
		.amdhsa_reserve_flat_scratch 0
		.amdhsa_float_round_mode_32 0
		.amdhsa_float_round_mode_16_64 0
		.amdhsa_float_denorm_mode_32 3
		.amdhsa_float_denorm_mode_16_64 3
		.amdhsa_dx10_clamp 1
		.amdhsa_ieee_mode 1
		.amdhsa_fp16_overflow 0
		.amdhsa_tg_split 0
		.amdhsa_exception_fp_ieee_invalid_op 0
		.amdhsa_exception_fp_denorm_src 0
		.amdhsa_exception_fp_ieee_div_zero 0
		.amdhsa_exception_fp_ieee_overflow 0
		.amdhsa_exception_fp_ieee_underflow 0
		.amdhsa_exception_fp_ieee_inexact 0
		.amdhsa_exception_int_div_zero 0
	.end_amdhsa_kernel
	.section	.text._ZN7rocprim17ROCPRIM_400000_NS6detail17trampoline_kernelINS0_14default_configENS1_22reduce_config_selectorIN6thrust23THRUST_200600_302600_NS5tupleIblNS6_9null_typeES8_S8_S8_S8_S8_S8_S8_EEEEZNS1_11reduce_implILb1ES3_NS6_12zip_iteratorINS7_INS6_11hip_rocprim26transform_input_iterator_tIbNSD_35transform_pair_of_input_iterators_tIbNS6_6detail15normal_iteratorINS6_10device_ptrIlEEEENS6_17counting_iteratorIlNS6_11use_defaultESM_SM_EENS6_8equal_toIlEEEENSG_9not_fun_tINSD_8identityEEEEENSD_19counting_iterator_tIlEES8_S8_S8_S8_S8_S8_S8_S8_EEEEPS9_S9_NSD_9__find_if7functorIS9_EEEE10hipError_tPvRmT1_T2_T3_mT4_P12ihipStream_tbEUlT_E1_NS1_11comp_targetILNS1_3genE2ELNS1_11target_archE906ELNS1_3gpuE6ELNS1_3repE0EEENS1_30default_config_static_selectorELNS0_4arch9wavefront6targetE1EEEvS16_,"axG",@progbits,_ZN7rocprim17ROCPRIM_400000_NS6detail17trampoline_kernelINS0_14default_configENS1_22reduce_config_selectorIN6thrust23THRUST_200600_302600_NS5tupleIblNS6_9null_typeES8_S8_S8_S8_S8_S8_S8_EEEEZNS1_11reduce_implILb1ES3_NS6_12zip_iteratorINS7_INS6_11hip_rocprim26transform_input_iterator_tIbNSD_35transform_pair_of_input_iterators_tIbNS6_6detail15normal_iteratorINS6_10device_ptrIlEEEENS6_17counting_iteratorIlNS6_11use_defaultESM_SM_EENS6_8equal_toIlEEEENSG_9not_fun_tINSD_8identityEEEEENSD_19counting_iterator_tIlEES8_S8_S8_S8_S8_S8_S8_S8_EEEEPS9_S9_NSD_9__find_if7functorIS9_EEEE10hipError_tPvRmT1_T2_T3_mT4_P12ihipStream_tbEUlT_E1_NS1_11comp_targetILNS1_3genE2ELNS1_11target_archE906ELNS1_3gpuE6ELNS1_3repE0EEENS1_30default_config_static_selectorELNS0_4arch9wavefront6targetE1EEEvS16_,comdat
.Lfunc_end1202:
	.size	_ZN7rocprim17ROCPRIM_400000_NS6detail17trampoline_kernelINS0_14default_configENS1_22reduce_config_selectorIN6thrust23THRUST_200600_302600_NS5tupleIblNS6_9null_typeES8_S8_S8_S8_S8_S8_S8_EEEEZNS1_11reduce_implILb1ES3_NS6_12zip_iteratorINS7_INS6_11hip_rocprim26transform_input_iterator_tIbNSD_35transform_pair_of_input_iterators_tIbNS6_6detail15normal_iteratorINS6_10device_ptrIlEEEENS6_17counting_iteratorIlNS6_11use_defaultESM_SM_EENS6_8equal_toIlEEEENSG_9not_fun_tINSD_8identityEEEEENSD_19counting_iterator_tIlEES8_S8_S8_S8_S8_S8_S8_S8_EEEEPS9_S9_NSD_9__find_if7functorIS9_EEEE10hipError_tPvRmT1_T2_T3_mT4_P12ihipStream_tbEUlT_E1_NS1_11comp_targetILNS1_3genE2ELNS1_11target_archE906ELNS1_3gpuE6ELNS1_3repE0EEENS1_30default_config_static_selectorELNS0_4arch9wavefront6targetE1EEEvS16_, .Lfunc_end1202-_ZN7rocprim17ROCPRIM_400000_NS6detail17trampoline_kernelINS0_14default_configENS1_22reduce_config_selectorIN6thrust23THRUST_200600_302600_NS5tupleIblNS6_9null_typeES8_S8_S8_S8_S8_S8_S8_EEEEZNS1_11reduce_implILb1ES3_NS6_12zip_iteratorINS7_INS6_11hip_rocprim26transform_input_iterator_tIbNSD_35transform_pair_of_input_iterators_tIbNS6_6detail15normal_iteratorINS6_10device_ptrIlEEEENS6_17counting_iteratorIlNS6_11use_defaultESM_SM_EENS6_8equal_toIlEEEENSG_9not_fun_tINSD_8identityEEEEENSD_19counting_iterator_tIlEES8_S8_S8_S8_S8_S8_S8_S8_EEEEPS9_S9_NSD_9__find_if7functorIS9_EEEE10hipError_tPvRmT1_T2_T3_mT4_P12ihipStream_tbEUlT_E1_NS1_11comp_targetILNS1_3genE2ELNS1_11target_archE906ELNS1_3gpuE6ELNS1_3repE0EEENS1_30default_config_static_selectorELNS0_4arch9wavefront6targetE1EEEvS16_
                                        ; -- End function
	.section	.AMDGPU.csdata,"",@progbits
; Kernel info:
; codeLenInByte = 0
; NumSgprs: 4
; NumVgprs: 0
; NumAgprs: 0
; TotalNumVgprs: 0
; ScratchSize: 0
; MemoryBound: 0
; FloatMode: 240
; IeeeMode: 1
; LDSByteSize: 0 bytes/workgroup (compile time only)
; SGPRBlocks: 0
; VGPRBlocks: 0
; NumSGPRsForWavesPerEU: 4
; NumVGPRsForWavesPerEU: 1
; AccumOffset: 4
; Occupancy: 8
; WaveLimiterHint : 0
; COMPUTE_PGM_RSRC2:SCRATCH_EN: 0
; COMPUTE_PGM_RSRC2:USER_SGPR: 6
; COMPUTE_PGM_RSRC2:TRAP_HANDLER: 0
; COMPUTE_PGM_RSRC2:TGID_X_EN: 1
; COMPUTE_PGM_RSRC2:TGID_Y_EN: 0
; COMPUTE_PGM_RSRC2:TGID_Z_EN: 0
; COMPUTE_PGM_RSRC2:TIDIG_COMP_CNT: 0
; COMPUTE_PGM_RSRC3_GFX90A:ACCUM_OFFSET: 0
; COMPUTE_PGM_RSRC3_GFX90A:TG_SPLIT: 0
	.section	.text._ZN7rocprim17ROCPRIM_400000_NS6detail17trampoline_kernelINS0_14default_configENS1_22reduce_config_selectorIN6thrust23THRUST_200600_302600_NS5tupleIblNS6_9null_typeES8_S8_S8_S8_S8_S8_S8_EEEEZNS1_11reduce_implILb1ES3_NS6_12zip_iteratorINS7_INS6_11hip_rocprim26transform_input_iterator_tIbNSD_35transform_pair_of_input_iterators_tIbNS6_6detail15normal_iteratorINS6_10device_ptrIlEEEENS6_17counting_iteratorIlNS6_11use_defaultESM_SM_EENS6_8equal_toIlEEEENSG_9not_fun_tINSD_8identityEEEEENSD_19counting_iterator_tIlEES8_S8_S8_S8_S8_S8_S8_S8_EEEEPS9_S9_NSD_9__find_if7functorIS9_EEEE10hipError_tPvRmT1_T2_T3_mT4_P12ihipStream_tbEUlT_E1_NS1_11comp_targetILNS1_3genE10ELNS1_11target_archE1201ELNS1_3gpuE5ELNS1_3repE0EEENS1_30default_config_static_selectorELNS0_4arch9wavefront6targetE1EEEvS16_,"axG",@progbits,_ZN7rocprim17ROCPRIM_400000_NS6detail17trampoline_kernelINS0_14default_configENS1_22reduce_config_selectorIN6thrust23THRUST_200600_302600_NS5tupleIblNS6_9null_typeES8_S8_S8_S8_S8_S8_S8_EEEEZNS1_11reduce_implILb1ES3_NS6_12zip_iteratorINS7_INS6_11hip_rocprim26transform_input_iterator_tIbNSD_35transform_pair_of_input_iterators_tIbNS6_6detail15normal_iteratorINS6_10device_ptrIlEEEENS6_17counting_iteratorIlNS6_11use_defaultESM_SM_EENS6_8equal_toIlEEEENSG_9not_fun_tINSD_8identityEEEEENSD_19counting_iterator_tIlEES8_S8_S8_S8_S8_S8_S8_S8_EEEEPS9_S9_NSD_9__find_if7functorIS9_EEEE10hipError_tPvRmT1_T2_T3_mT4_P12ihipStream_tbEUlT_E1_NS1_11comp_targetILNS1_3genE10ELNS1_11target_archE1201ELNS1_3gpuE5ELNS1_3repE0EEENS1_30default_config_static_selectorELNS0_4arch9wavefront6targetE1EEEvS16_,comdat
	.protected	_ZN7rocprim17ROCPRIM_400000_NS6detail17trampoline_kernelINS0_14default_configENS1_22reduce_config_selectorIN6thrust23THRUST_200600_302600_NS5tupleIblNS6_9null_typeES8_S8_S8_S8_S8_S8_S8_EEEEZNS1_11reduce_implILb1ES3_NS6_12zip_iteratorINS7_INS6_11hip_rocprim26transform_input_iterator_tIbNSD_35transform_pair_of_input_iterators_tIbNS6_6detail15normal_iteratorINS6_10device_ptrIlEEEENS6_17counting_iteratorIlNS6_11use_defaultESM_SM_EENS6_8equal_toIlEEEENSG_9not_fun_tINSD_8identityEEEEENSD_19counting_iterator_tIlEES8_S8_S8_S8_S8_S8_S8_S8_EEEEPS9_S9_NSD_9__find_if7functorIS9_EEEE10hipError_tPvRmT1_T2_T3_mT4_P12ihipStream_tbEUlT_E1_NS1_11comp_targetILNS1_3genE10ELNS1_11target_archE1201ELNS1_3gpuE5ELNS1_3repE0EEENS1_30default_config_static_selectorELNS0_4arch9wavefront6targetE1EEEvS16_ ; -- Begin function _ZN7rocprim17ROCPRIM_400000_NS6detail17trampoline_kernelINS0_14default_configENS1_22reduce_config_selectorIN6thrust23THRUST_200600_302600_NS5tupleIblNS6_9null_typeES8_S8_S8_S8_S8_S8_S8_EEEEZNS1_11reduce_implILb1ES3_NS6_12zip_iteratorINS7_INS6_11hip_rocprim26transform_input_iterator_tIbNSD_35transform_pair_of_input_iterators_tIbNS6_6detail15normal_iteratorINS6_10device_ptrIlEEEENS6_17counting_iteratorIlNS6_11use_defaultESM_SM_EENS6_8equal_toIlEEEENSG_9not_fun_tINSD_8identityEEEEENSD_19counting_iterator_tIlEES8_S8_S8_S8_S8_S8_S8_S8_EEEEPS9_S9_NSD_9__find_if7functorIS9_EEEE10hipError_tPvRmT1_T2_T3_mT4_P12ihipStream_tbEUlT_E1_NS1_11comp_targetILNS1_3genE10ELNS1_11target_archE1201ELNS1_3gpuE5ELNS1_3repE0EEENS1_30default_config_static_selectorELNS0_4arch9wavefront6targetE1EEEvS16_
	.globl	_ZN7rocprim17ROCPRIM_400000_NS6detail17trampoline_kernelINS0_14default_configENS1_22reduce_config_selectorIN6thrust23THRUST_200600_302600_NS5tupleIblNS6_9null_typeES8_S8_S8_S8_S8_S8_S8_EEEEZNS1_11reduce_implILb1ES3_NS6_12zip_iteratorINS7_INS6_11hip_rocprim26transform_input_iterator_tIbNSD_35transform_pair_of_input_iterators_tIbNS6_6detail15normal_iteratorINS6_10device_ptrIlEEEENS6_17counting_iteratorIlNS6_11use_defaultESM_SM_EENS6_8equal_toIlEEEENSG_9not_fun_tINSD_8identityEEEEENSD_19counting_iterator_tIlEES8_S8_S8_S8_S8_S8_S8_S8_EEEEPS9_S9_NSD_9__find_if7functorIS9_EEEE10hipError_tPvRmT1_T2_T3_mT4_P12ihipStream_tbEUlT_E1_NS1_11comp_targetILNS1_3genE10ELNS1_11target_archE1201ELNS1_3gpuE5ELNS1_3repE0EEENS1_30default_config_static_selectorELNS0_4arch9wavefront6targetE1EEEvS16_
	.p2align	8
	.type	_ZN7rocprim17ROCPRIM_400000_NS6detail17trampoline_kernelINS0_14default_configENS1_22reduce_config_selectorIN6thrust23THRUST_200600_302600_NS5tupleIblNS6_9null_typeES8_S8_S8_S8_S8_S8_S8_EEEEZNS1_11reduce_implILb1ES3_NS6_12zip_iteratorINS7_INS6_11hip_rocprim26transform_input_iterator_tIbNSD_35transform_pair_of_input_iterators_tIbNS6_6detail15normal_iteratorINS6_10device_ptrIlEEEENS6_17counting_iteratorIlNS6_11use_defaultESM_SM_EENS6_8equal_toIlEEEENSG_9not_fun_tINSD_8identityEEEEENSD_19counting_iterator_tIlEES8_S8_S8_S8_S8_S8_S8_S8_EEEEPS9_S9_NSD_9__find_if7functorIS9_EEEE10hipError_tPvRmT1_T2_T3_mT4_P12ihipStream_tbEUlT_E1_NS1_11comp_targetILNS1_3genE10ELNS1_11target_archE1201ELNS1_3gpuE5ELNS1_3repE0EEENS1_30default_config_static_selectorELNS0_4arch9wavefront6targetE1EEEvS16_,@function
_ZN7rocprim17ROCPRIM_400000_NS6detail17trampoline_kernelINS0_14default_configENS1_22reduce_config_selectorIN6thrust23THRUST_200600_302600_NS5tupleIblNS6_9null_typeES8_S8_S8_S8_S8_S8_S8_EEEEZNS1_11reduce_implILb1ES3_NS6_12zip_iteratorINS7_INS6_11hip_rocprim26transform_input_iterator_tIbNSD_35transform_pair_of_input_iterators_tIbNS6_6detail15normal_iteratorINS6_10device_ptrIlEEEENS6_17counting_iteratorIlNS6_11use_defaultESM_SM_EENS6_8equal_toIlEEEENSG_9not_fun_tINSD_8identityEEEEENSD_19counting_iterator_tIlEES8_S8_S8_S8_S8_S8_S8_S8_EEEEPS9_S9_NSD_9__find_if7functorIS9_EEEE10hipError_tPvRmT1_T2_T3_mT4_P12ihipStream_tbEUlT_E1_NS1_11comp_targetILNS1_3genE10ELNS1_11target_archE1201ELNS1_3gpuE5ELNS1_3repE0EEENS1_30default_config_static_selectorELNS0_4arch9wavefront6targetE1EEEvS16_: ; @_ZN7rocprim17ROCPRIM_400000_NS6detail17trampoline_kernelINS0_14default_configENS1_22reduce_config_selectorIN6thrust23THRUST_200600_302600_NS5tupleIblNS6_9null_typeES8_S8_S8_S8_S8_S8_S8_EEEEZNS1_11reduce_implILb1ES3_NS6_12zip_iteratorINS7_INS6_11hip_rocprim26transform_input_iterator_tIbNSD_35transform_pair_of_input_iterators_tIbNS6_6detail15normal_iteratorINS6_10device_ptrIlEEEENS6_17counting_iteratorIlNS6_11use_defaultESM_SM_EENS6_8equal_toIlEEEENSG_9not_fun_tINSD_8identityEEEEENSD_19counting_iterator_tIlEES8_S8_S8_S8_S8_S8_S8_S8_EEEEPS9_S9_NSD_9__find_if7functorIS9_EEEE10hipError_tPvRmT1_T2_T3_mT4_P12ihipStream_tbEUlT_E1_NS1_11comp_targetILNS1_3genE10ELNS1_11target_archE1201ELNS1_3gpuE5ELNS1_3repE0EEENS1_30default_config_static_selectorELNS0_4arch9wavefront6targetE1EEEvS16_
; %bb.0:
	.section	.rodata,"a",@progbits
	.p2align	6, 0x0
	.amdhsa_kernel _ZN7rocprim17ROCPRIM_400000_NS6detail17trampoline_kernelINS0_14default_configENS1_22reduce_config_selectorIN6thrust23THRUST_200600_302600_NS5tupleIblNS6_9null_typeES8_S8_S8_S8_S8_S8_S8_EEEEZNS1_11reduce_implILb1ES3_NS6_12zip_iteratorINS7_INS6_11hip_rocprim26transform_input_iterator_tIbNSD_35transform_pair_of_input_iterators_tIbNS6_6detail15normal_iteratorINS6_10device_ptrIlEEEENS6_17counting_iteratorIlNS6_11use_defaultESM_SM_EENS6_8equal_toIlEEEENSG_9not_fun_tINSD_8identityEEEEENSD_19counting_iterator_tIlEES8_S8_S8_S8_S8_S8_S8_S8_EEEEPS9_S9_NSD_9__find_if7functorIS9_EEEE10hipError_tPvRmT1_T2_T3_mT4_P12ihipStream_tbEUlT_E1_NS1_11comp_targetILNS1_3genE10ELNS1_11target_archE1201ELNS1_3gpuE5ELNS1_3repE0EEENS1_30default_config_static_selectorELNS0_4arch9wavefront6targetE1EEEvS16_
		.amdhsa_group_segment_fixed_size 0
		.amdhsa_private_segment_fixed_size 0
		.amdhsa_kernarg_size 88
		.amdhsa_user_sgpr_count 6
		.amdhsa_user_sgpr_private_segment_buffer 1
		.amdhsa_user_sgpr_dispatch_ptr 0
		.amdhsa_user_sgpr_queue_ptr 0
		.amdhsa_user_sgpr_kernarg_segment_ptr 1
		.amdhsa_user_sgpr_dispatch_id 0
		.amdhsa_user_sgpr_flat_scratch_init 0
		.amdhsa_user_sgpr_kernarg_preload_length 0
		.amdhsa_user_sgpr_kernarg_preload_offset 0
		.amdhsa_user_sgpr_private_segment_size 0
		.amdhsa_uses_dynamic_stack 0
		.amdhsa_system_sgpr_private_segment_wavefront_offset 0
		.amdhsa_system_sgpr_workgroup_id_x 1
		.amdhsa_system_sgpr_workgroup_id_y 0
		.amdhsa_system_sgpr_workgroup_id_z 0
		.amdhsa_system_sgpr_workgroup_info 0
		.amdhsa_system_vgpr_workitem_id 0
		.amdhsa_next_free_vgpr 1
		.amdhsa_next_free_sgpr 0
		.amdhsa_accum_offset 4
		.amdhsa_reserve_vcc 0
		.amdhsa_reserve_flat_scratch 0
		.amdhsa_float_round_mode_32 0
		.amdhsa_float_round_mode_16_64 0
		.amdhsa_float_denorm_mode_32 3
		.amdhsa_float_denorm_mode_16_64 3
		.amdhsa_dx10_clamp 1
		.amdhsa_ieee_mode 1
		.amdhsa_fp16_overflow 0
		.amdhsa_tg_split 0
		.amdhsa_exception_fp_ieee_invalid_op 0
		.amdhsa_exception_fp_denorm_src 0
		.amdhsa_exception_fp_ieee_div_zero 0
		.amdhsa_exception_fp_ieee_overflow 0
		.amdhsa_exception_fp_ieee_underflow 0
		.amdhsa_exception_fp_ieee_inexact 0
		.amdhsa_exception_int_div_zero 0
	.end_amdhsa_kernel
	.section	.text._ZN7rocprim17ROCPRIM_400000_NS6detail17trampoline_kernelINS0_14default_configENS1_22reduce_config_selectorIN6thrust23THRUST_200600_302600_NS5tupleIblNS6_9null_typeES8_S8_S8_S8_S8_S8_S8_EEEEZNS1_11reduce_implILb1ES3_NS6_12zip_iteratorINS7_INS6_11hip_rocprim26transform_input_iterator_tIbNSD_35transform_pair_of_input_iterators_tIbNS6_6detail15normal_iteratorINS6_10device_ptrIlEEEENS6_17counting_iteratorIlNS6_11use_defaultESM_SM_EENS6_8equal_toIlEEEENSG_9not_fun_tINSD_8identityEEEEENSD_19counting_iterator_tIlEES8_S8_S8_S8_S8_S8_S8_S8_EEEEPS9_S9_NSD_9__find_if7functorIS9_EEEE10hipError_tPvRmT1_T2_T3_mT4_P12ihipStream_tbEUlT_E1_NS1_11comp_targetILNS1_3genE10ELNS1_11target_archE1201ELNS1_3gpuE5ELNS1_3repE0EEENS1_30default_config_static_selectorELNS0_4arch9wavefront6targetE1EEEvS16_,"axG",@progbits,_ZN7rocprim17ROCPRIM_400000_NS6detail17trampoline_kernelINS0_14default_configENS1_22reduce_config_selectorIN6thrust23THRUST_200600_302600_NS5tupleIblNS6_9null_typeES8_S8_S8_S8_S8_S8_S8_EEEEZNS1_11reduce_implILb1ES3_NS6_12zip_iteratorINS7_INS6_11hip_rocprim26transform_input_iterator_tIbNSD_35transform_pair_of_input_iterators_tIbNS6_6detail15normal_iteratorINS6_10device_ptrIlEEEENS6_17counting_iteratorIlNS6_11use_defaultESM_SM_EENS6_8equal_toIlEEEENSG_9not_fun_tINSD_8identityEEEEENSD_19counting_iterator_tIlEES8_S8_S8_S8_S8_S8_S8_S8_EEEEPS9_S9_NSD_9__find_if7functorIS9_EEEE10hipError_tPvRmT1_T2_T3_mT4_P12ihipStream_tbEUlT_E1_NS1_11comp_targetILNS1_3genE10ELNS1_11target_archE1201ELNS1_3gpuE5ELNS1_3repE0EEENS1_30default_config_static_selectorELNS0_4arch9wavefront6targetE1EEEvS16_,comdat
.Lfunc_end1203:
	.size	_ZN7rocprim17ROCPRIM_400000_NS6detail17trampoline_kernelINS0_14default_configENS1_22reduce_config_selectorIN6thrust23THRUST_200600_302600_NS5tupleIblNS6_9null_typeES8_S8_S8_S8_S8_S8_S8_EEEEZNS1_11reduce_implILb1ES3_NS6_12zip_iteratorINS7_INS6_11hip_rocprim26transform_input_iterator_tIbNSD_35transform_pair_of_input_iterators_tIbNS6_6detail15normal_iteratorINS6_10device_ptrIlEEEENS6_17counting_iteratorIlNS6_11use_defaultESM_SM_EENS6_8equal_toIlEEEENSG_9not_fun_tINSD_8identityEEEEENSD_19counting_iterator_tIlEES8_S8_S8_S8_S8_S8_S8_S8_EEEEPS9_S9_NSD_9__find_if7functorIS9_EEEE10hipError_tPvRmT1_T2_T3_mT4_P12ihipStream_tbEUlT_E1_NS1_11comp_targetILNS1_3genE10ELNS1_11target_archE1201ELNS1_3gpuE5ELNS1_3repE0EEENS1_30default_config_static_selectorELNS0_4arch9wavefront6targetE1EEEvS16_, .Lfunc_end1203-_ZN7rocprim17ROCPRIM_400000_NS6detail17trampoline_kernelINS0_14default_configENS1_22reduce_config_selectorIN6thrust23THRUST_200600_302600_NS5tupleIblNS6_9null_typeES8_S8_S8_S8_S8_S8_S8_EEEEZNS1_11reduce_implILb1ES3_NS6_12zip_iteratorINS7_INS6_11hip_rocprim26transform_input_iterator_tIbNSD_35transform_pair_of_input_iterators_tIbNS6_6detail15normal_iteratorINS6_10device_ptrIlEEEENS6_17counting_iteratorIlNS6_11use_defaultESM_SM_EENS6_8equal_toIlEEEENSG_9not_fun_tINSD_8identityEEEEENSD_19counting_iterator_tIlEES8_S8_S8_S8_S8_S8_S8_S8_EEEEPS9_S9_NSD_9__find_if7functorIS9_EEEE10hipError_tPvRmT1_T2_T3_mT4_P12ihipStream_tbEUlT_E1_NS1_11comp_targetILNS1_3genE10ELNS1_11target_archE1201ELNS1_3gpuE5ELNS1_3repE0EEENS1_30default_config_static_selectorELNS0_4arch9wavefront6targetE1EEEvS16_
                                        ; -- End function
	.section	.AMDGPU.csdata,"",@progbits
; Kernel info:
; codeLenInByte = 0
; NumSgprs: 4
; NumVgprs: 0
; NumAgprs: 0
; TotalNumVgprs: 0
; ScratchSize: 0
; MemoryBound: 0
; FloatMode: 240
; IeeeMode: 1
; LDSByteSize: 0 bytes/workgroup (compile time only)
; SGPRBlocks: 0
; VGPRBlocks: 0
; NumSGPRsForWavesPerEU: 4
; NumVGPRsForWavesPerEU: 1
; AccumOffset: 4
; Occupancy: 8
; WaveLimiterHint : 0
; COMPUTE_PGM_RSRC2:SCRATCH_EN: 0
; COMPUTE_PGM_RSRC2:USER_SGPR: 6
; COMPUTE_PGM_RSRC2:TRAP_HANDLER: 0
; COMPUTE_PGM_RSRC2:TGID_X_EN: 1
; COMPUTE_PGM_RSRC2:TGID_Y_EN: 0
; COMPUTE_PGM_RSRC2:TGID_Z_EN: 0
; COMPUTE_PGM_RSRC2:TIDIG_COMP_CNT: 0
; COMPUTE_PGM_RSRC3_GFX90A:ACCUM_OFFSET: 0
; COMPUTE_PGM_RSRC3_GFX90A:TG_SPLIT: 0
	.section	.text._ZN7rocprim17ROCPRIM_400000_NS6detail17trampoline_kernelINS0_14default_configENS1_22reduce_config_selectorIN6thrust23THRUST_200600_302600_NS5tupleIblNS6_9null_typeES8_S8_S8_S8_S8_S8_S8_EEEEZNS1_11reduce_implILb1ES3_NS6_12zip_iteratorINS7_INS6_11hip_rocprim26transform_input_iterator_tIbNSD_35transform_pair_of_input_iterators_tIbNS6_6detail15normal_iteratorINS6_10device_ptrIlEEEENS6_17counting_iteratorIlNS6_11use_defaultESM_SM_EENS6_8equal_toIlEEEENSG_9not_fun_tINSD_8identityEEEEENSD_19counting_iterator_tIlEES8_S8_S8_S8_S8_S8_S8_S8_EEEEPS9_S9_NSD_9__find_if7functorIS9_EEEE10hipError_tPvRmT1_T2_T3_mT4_P12ihipStream_tbEUlT_E1_NS1_11comp_targetILNS1_3genE10ELNS1_11target_archE1200ELNS1_3gpuE4ELNS1_3repE0EEENS1_30default_config_static_selectorELNS0_4arch9wavefront6targetE1EEEvS16_,"axG",@progbits,_ZN7rocprim17ROCPRIM_400000_NS6detail17trampoline_kernelINS0_14default_configENS1_22reduce_config_selectorIN6thrust23THRUST_200600_302600_NS5tupleIblNS6_9null_typeES8_S8_S8_S8_S8_S8_S8_EEEEZNS1_11reduce_implILb1ES3_NS6_12zip_iteratorINS7_INS6_11hip_rocprim26transform_input_iterator_tIbNSD_35transform_pair_of_input_iterators_tIbNS6_6detail15normal_iteratorINS6_10device_ptrIlEEEENS6_17counting_iteratorIlNS6_11use_defaultESM_SM_EENS6_8equal_toIlEEEENSG_9not_fun_tINSD_8identityEEEEENSD_19counting_iterator_tIlEES8_S8_S8_S8_S8_S8_S8_S8_EEEEPS9_S9_NSD_9__find_if7functorIS9_EEEE10hipError_tPvRmT1_T2_T3_mT4_P12ihipStream_tbEUlT_E1_NS1_11comp_targetILNS1_3genE10ELNS1_11target_archE1200ELNS1_3gpuE4ELNS1_3repE0EEENS1_30default_config_static_selectorELNS0_4arch9wavefront6targetE1EEEvS16_,comdat
	.protected	_ZN7rocprim17ROCPRIM_400000_NS6detail17trampoline_kernelINS0_14default_configENS1_22reduce_config_selectorIN6thrust23THRUST_200600_302600_NS5tupleIblNS6_9null_typeES8_S8_S8_S8_S8_S8_S8_EEEEZNS1_11reduce_implILb1ES3_NS6_12zip_iteratorINS7_INS6_11hip_rocprim26transform_input_iterator_tIbNSD_35transform_pair_of_input_iterators_tIbNS6_6detail15normal_iteratorINS6_10device_ptrIlEEEENS6_17counting_iteratorIlNS6_11use_defaultESM_SM_EENS6_8equal_toIlEEEENSG_9not_fun_tINSD_8identityEEEEENSD_19counting_iterator_tIlEES8_S8_S8_S8_S8_S8_S8_S8_EEEEPS9_S9_NSD_9__find_if7functorIS9_EEEE10hipError_tPvRmT1_T2_T3_mT4_P12ihipStream_tbEUlT_E1_NS1_11comp_targetILNS1_3genE10ELNS1_11target_archE1200ELNS1_3gpuE4ELNS1_3repE0EEENS1_30default_config_static_selectorELNS0_4arch9wavefront6targetE1EEEvS16_ ; -- Begin function _ZN7rocprim17ROCPRIM_400000_NS6detail17trampoline_kernelINS0_14default_configENS1_22reduce_config_selectorIN6thrust23THRUST_200600_302600_NS5tupleIblNS6_9null_typeES8_S8_S8_S8_S8_S8_S8_EEEEZNS1_11reduce_implILb1ES3_NS6_12zip_iteratorINS7_INS6_11hip_rocprim26transform_input_iterator_tIbNSD_35transform_pair_of_input_iterators_tIbNS6_6detail15normal_iteratorINS6_10device_ptrIlEEEENS6_17counting_iteratorIlNS6_11use_defaultESM_SM_EENS6_8equal_toIlEEEENSG_9not_fun_tINSD_8identityEEEEENSD_19counting_iterator_tIlEES8_S8_S8_S8_S8_S8_S8_S8_EEEEPS9_S9_NSD_9__find_if7functorIS9_EEEE10hipError_tPvRmT1_T2_T3_mT4_P12ihipStream_tbEUlT_E1_NS1_11comp_targetILNS1_3genE10ELNS1_11target_archE1200ELNS1_3gpuE4ELNS1_3repE0EEENS1_30default_config_static_selectorELNS0_4arch9wavefront6targetE1EEEvS16_
	.globl	_ZN7rocprim17ROCPRIM_400000_NS6detail17trampoline_kernelINS0_14default_configENS1_22reduce_config_selectorIN6thrust23THRUST_200600_302600_NS5tupleIblNS6_9null_typeES8_S8_S8_S8_S8_S8_S8_EEEEZNS1_11reduce_implILb1ES3_NS6_12zip_iteratorINS7_INS6_11hip_rocprim26transform_input_iterator_tIbNSD_35transform_pair_of_input_iterators_tIbNS6_6detail15normal_iteratorINS6_10device_ptrIlEEEENS6_17counting_iteratorIlNS6_11use_defaultESM_SM_EENS6_8equal_toIlEEEENSG_9not_fun_tINSD_8identityEEEEENSD_19counting_iterator_tIlEES8_S8_S8_S8_S8_S8_S8_S8_EEEEPS9_S9_NSD_9__find_if7functorIS9_EEEE10hipError_tPvRmT1_T2_T3_mT4_P12ihipStream_tbEUlT_E1_NS1_11comp_targetILNS1_3genE10ELNS1_11target_archE1200ELNS1_3gpuE4ELNS1_3repE0EEENS1_30default_config_static_selectorELNS0_4arch9wavefront6targetE1EEEvS16_
	.p2align	8
	.type	_ZN7rocprim17ROCPRIM_400000_NS6detail17trampoline_kernelINS0_14default_configENS1_22reduce_config_selectorIN6thrust23THRUST_200600_302600_NS5tupleIblNS6_9null_typeES8_S8_S8_S8_S8_S8_S8_EEEEZNS1_11reduce_implILb1ES3_NS6_12zip_iteratorINS7_INS6_11hip_rocprim26transform_input_iterator_tIbNSD_35transform_pair_of_input_iterators_tIbNS6_6detail15normal_iteratorINS6_10device_ptrIlEEEENS6_17counting_iteratorIlNS6_11use_defaultESM_SM_EENS6_8equal_toIlEEEENSG_9not_fun_tINSD_8identityEEEEENSD_19counting_iterator_tIlEES8_S8_S8_S8_S8_S8_S8_S8_EEEEPS9_S9_NSD_9__find_if7functorIS9_EEEE10hipError_tPvRmT1_T2_T3_mT4_P12ihipStream_tbEUlT_E1_NS1_11comp_targetILNS1_3genE10ELNS1_11target_archE1200ELNS1_3gpuE4ELNS1_3repE0EEENS1_30default_config_static_selectorELNS0_4arch9wavefront6targetE1EEEvS16_,@function
_ZN7rocprim17ROCPRIM_400000_NS6detail17trampoline_kernelINS0_14default_configENS1_22reduce_config_selectorIN6thrust23THRUST_200600_302600_NS5tupleIblNS6_9null_typeES8_S8_S8_S8_S8_S8_S8_EEEEZNS1_11reduce_implILb1ES3_NS6_12zip_iteratorINS7_INS6_11hip_rocprim26transform_input_iterator_tIbNSD_35transform_pair_of_input_iterators_tIbNS6_6detail15normal_iteratorINS6_10device_ptrIlEEEENS6_17counting_iteratorIlNS6_11use_defaultESM_SM_EENS6_8equal_toIlEEEENSG_9not_fun_tINSD_8identityEEEEENSD_19counting_iterator_tIlEES8_S8_S8_S8_S8_S8_S8_S8_EEEEPS9_S9_NSD_9__find_if7functorIS9_EEEE10hipError_tPvRmT1_T2_T3_mT4_P12ihipStream_tbEUlT_E1_NS1_11comp_targetILNS1_3genE10ELNS1_11target_archE1200ELNS1_3gpuE4ELNS1_3repE0EEENS1_30default_config_static_selectorELNS0_4arch9wavefront6targetE1EEEvS16_: ; @_ZN7rocprim17ROCPRIM_400000_NS6detail17trampoline_kernelINS0_14default_configENS1_22reduce_config_selectorIN6thrust23THRUST_200600_302600_NS5tupleIblNS6_9null_typeES8_S8_S8_S8_S8_S8_S8_EEEEZNS1_11reduce_implILb1ES3_NS6_12zip_iteratorINS7_INS6_11hip_rocprim26transform_input_iterator_tIbNSD_35transform_pair_of_input_iterators_tIbNS6_6detail15normal_iteratorINS6_10device_ptrIlEEEENS6_17counting_iteratorIlNS6_11use_defaultESM_SM_EENS6_8equal_toIlEEEENSG_9not_fun_tINSD_8identityEEEEENSD_19counting_iterator_tIlEES8_S8_S8_S8_S8_S8_S8_S8_EEEEPS9_S9_NSD_9__find_if7functorIS9_EEEE10hipError_tPvRmT1_T2_T3_mT4_P12ihipStream_tbEUlT_E1_NS1_11comp_targetILNS1_3genE10ELNS1_11target_archE1200ELNS1_3gpuE4ELNS1_3repE0EEENS1_30default_config_static_selectorELNS0_4arch9wavefront6targetE1EEEvS16_
; %bb.0:
	.section	.rodata,"a",@progbits
	.p2align	6, 0x0
	.amdhsa_kernel _ZN7rocprim17ROCPRIM_400000_NS6detail17trampoline_kernelINS0_14default_configENS1_22reduce_config_selectorIN6thrust23THRUST_200600_302600_NS5tupleIblNS6_9null_typeES8_S8_S8_S8_S8_S8_S8_EEEEZNS1_11reduce_implILb1ES3_NS6_12zip_iteratorINS7_INS6_11hip_rocprim26transform_input_iterator_tIbNSD_35transform_pair_of_input_iterators_tIbNS6_6detail15normal_iteratorINS6_10device_ptrIlEEEENS6_17counting_iteratorIlNS6_11use_defaultESM_SM_EENS6_8equal_toIlEEEENSG_9not_fun_tINSD_8identityEEEEENSD_19counting_iterator_tIlEES8_S8_S8_S8_S8_S8_S8_S8_EEEEPS9_S9_NSD_9__find_if7functorIS9_EEEE10hipError_tPvRmT1_T2_T3_mT4_P12ihipStream_tbEUlT_E1_NS1_11comp_targetILNS1_3genE10ELNS1_11target_archE1200ELNS1_3gpuE4ELNS1_3repE0EEENS1_30default_config_static_selectorELNS0_4arch9wavefront6targetE1EEEvS16_
		.amdhsa_group_segment_fixed_size 0
		.amdhsa_private_segment_fixed_size 0
		.amdhsa_kernarg_size 88
		.amdhsa_user_sgpr_count 6
		.amdhsa_user_sgpr_private_segment_buffer 1
		.amdhsa_user_sgpr_dispatch_ptr 0
		.amdhsa_user_sgpr_queue_ptr 0
		.amdhsa_user_sgpr_kernarg_segment_ptr 1
		.amdhsa_user_sgpr_dispatch_id 0
		.amdhsa_user_sgpr_flat_scratch_init 0
		.amdhsa_user_sgpr_kernarg_preload_length 0
		.amdhsa_user_sgpr_kernarg_preload_offset 0
		.amdhsa_user_sgpr_private_segment_size 0
		.amdhsa_uses_dynamic_stack 0
		.amdhsa_system_sgpr_private_segment_wavefront_offset 0
		.amdhsa_system_sgpr_workgroup_id_x 1
		.amdhsa_system_sgpr_workgroup_id_y 0
		.amdhsa_system_sgpr_workgroup_id_z 0
		.amdhsa_system_sgpr_workgroup_info 0
		.amdhsa_system_vgpr_workitem_id 0
		.amdhsa_next_free_vgpr 1
		.amdhsa_next_free_sgpr 0
		.amdhsa_accum_offset 4
		.amdhsa_reserve_vcc 0
		.amdhsa_reserve_flat_scratch 0
		.amdhsa_float_round_mode_32 0
		.amdhsa_float_round_mode_16_64 0
		.amdhsa_float_denorm_mode_32 3
		.amdhsa_float_denorm_mode_16_64 3
		.amdhsa_dx10_clamp 1
		.amdhsa_ieee_mode 1
		.amdhsa_fp16_overflow 0
		.amdhsa_tg_split 0
		.amdhsa_exception_fp_ieee_invalid_op 0
		.amdhsa_exception_fp_denorm_src 0
		.amdhsa_exception_fp_ieee_div_zero 0
		.amdhsa_exception_fp_ieee_overflow 0
		.amdhsa_exception_fp_ieee_underflow 0
		.amdhsa_exception_fp_ieee_inexact 0
		.amdhsa_exception_int_div_zero 0
	.end_amdhsa_kernel
	.section	.text._ZN7rocprim17ROCPRIM_400000_NS6detail17trampoline_kernelINS0_14default_configENS1_22reduce_config_selectorIN6thrust23THRUST_200600_302600_NS5tupleIblNS6_9null_typeES8_S8_S8_S8_S8_S8_S8_EEEEZNS1_11reduce_implILb1ES3_NS6_12zip_iteratorINS7_INS6_11hip_rocprim26transform_input_iterator_tIbNSD_35transform_pair_of_input_iterators_tIbNS6_6detail15normal_iteratorINS6_10device_ptrIlEEEENS6_17counting_iteratorIlNS6_11use_defaultESM_SM_EENS6_8equal_toIlEEEENSG_9not_fun_tINSD_8identityEEEEENSD_19counting_iterator_tIlEES8_S8_S8_S8_S8_S8_S8_S8_EEEEPS9_S9_NSD_9__find_if7functorIS9_EEEE10hipError_tPvRmT1_T2_T3_mT4_P12ihipStream_tbEUlT_E1_NS1_11comp_targetILNS1_3genE10ELNS1_11target_archE1200ELNS1_3gpuE4ELNS1_3repE0EEENS1_30default_config_static_selectorELNS0_4arch9wavefront6targetE1EEEvS16_,"axG",@progbits,_ZN7rocprim17ROCPRIM_400000_NS6detail17trampoline_kernelINS0_14default_configENS1_22reduce_config_selectorIN6thrust23THRUST_200600_302600_NS5tupleIblNS6_9null_typeES8_S8_S8_S8_S8_S8_S8_EEEEZNS1_11reduce_implILb1ES3_NS6_12zip_iteratorINS7_INS6_11hip_rocprim26transform_input_iterator_tIbNSD_35transform_pair_of_input_iterators_tIbNS6_6detail15normal_iteratorINS6_10device_ptrIlEEEENS6_17counting_iteratorIlNS6_11use_defaultESM_SM_EENS6_8equal_toIlEEEENSG_9not_fun_tINSD_8identityEEEEENSD_19counting_iterator_tIlEES8_S8_S8_S8_S8_S8_S8_S8_EEEEPS9_S9_NSD_9__find_if7functorIS9_EEEE10hipError_tPvRmT1_T2_T3_mT4_P12ihipStream_tbEUlT_E1_NS1_11comp_targetILNS1_3genE10ELNS1_11target_archE1200ELNS1_3gpuE4ELNS1_3repE0EEENS1_30default_config_static_selectorELNS0_4arch9wavefront6targetE1EEEvS16_,comdat
.Lfunc_end1204:
	.size	_ZN7rocprim17ROCPRIM_400000_NS6detail17trampoline_kernelINS0_14default_configENS1_22reduce_config_selectorIN6thrust23THRUST_200600_302600_NS5tupleIblNS6_9null_typeES8_S8_S8_S8_S8_S8_S8_EEEEZNS1_11reduce_implILb1ES3_NS6_12zip_iteratorINS7_INS6_11hip_rocprim26transform_input_iterator_tIbNSD_35transform_pair_of_input_iterators_tIbNS6_6detail15normal_iteratorINS6_10device_ptrIlEEEENS6_17counting_iteratorIlNS6_11use_defaultESM_SM_EENS6_8equal_toIlEEEENSG_9not_fun_tINSD_8identityEEEEENSD_19counting_iterator_tIlEES8_S8_S8_S8_S8_S8_S8_S8_EEEEPS9_S9_NSD_9__find_if7functorIS9_EEEE10hipError_tPvRmT1_T2_T3_mT4_P12ihipStream_tbEUlT_E1_NS1_11comp_targetILNS1_3genE10ELNS1_11target_archE1200ELNS1_3gpuE4ELNS1_3repE0EEENS1_30default_config_static_selectorELNS0_4arch9wavefront6targetE1EEEvS16_, .Lfunc_end1204-_ZN7rocprim17ROCPRIM_400000_NS6detail17trampoline_kernelINS0_14default_configENS1_22reduce_config_selectorIN6thrust23THRUST_200600_302600_NS5tupleIblNS6_9null_typeES8_S8_S8_S8_S8_S8_S8_EEEEZNS1_11reduce_implILb1ES3_NS6_12zip_iteratorINS7_INS6_11hip_rocprim26transform_input_iterator_tIbNSD_35transform_pair_of_input_iterators_tIbNS6_6detail15normal_iteratorINS6_10device_ptrIlEEEENS6_17counting_iteratorIlNS6_11use_defaultESM_SM_EENS6_8equal_toIlEEEENSG_9not_fun_tINSD_8identityEEEEENSD_19counting_iterator_tIlEES8_S8_S8_S8_S8_S8_S8_S8_EEEEPS9_S9_NSD_9__find_if7functorIS9_EEEE10hipError_tPvRmT1_T2_T3_mT4_P12ihipStream_tbEUlT_E1_NS1_11comp_targetILNS1_3genE10ELNS1_11target_archE1200ELNS1_3gpuE4ELNS1_3repE0EEENS1_30default_config_static_selectorELNS0_4arch9wavefront6targetE1EEEvS16_
                                        ; -- End function
	.section	.AMDGPU.csdata,"",@progbits
; Kernel info:
; codeLenInByte = 0
; NumSgprs: 4
; NumVgprs: 0
; NumAgprs: 0
; TotalNumVgprs: 0
; ScratchSize: 0
; MemoryBound: 0
; FloatMode: 240
; IeeeMode: 1
; LDSByteSize: 0 bytes/workgroup (compile time only)
; SGPRBlocks: 0
; VGPRBlocks: 0
; NumSGPRsForWavesPerEU: 4
; NumVGPRsForWavesPerEU: 1
; AccumOffset: 4
; Occupancy: 8
; WaveLimiterHint : 0
; COMPUTE_PGM_RSRC2:SCRATCH_EN: 0
; COMPUTE_PGM_RSRC2:USER_SGPR: 6
; COMPUTE_PGM_RSRC2:TRAP_HANDLER: 0
; COMPUTE_PGM_RSRC2:TGID_X_EN: 1
; COMPUTE_PGM_RSRC2:TGID_Y_EN: 0
; COMPUTE_PGM_RSRC2:TGID_Z_EN: 0
; COMPUTE_PGM_RSRC2:TIDIG_COMP_CNT: 0
; COMPUTE_PGM_RSRC3_GFX90A:ACCUM_OFFSET: 0
; COMPUTE_PGM_RSRC3_GFX90A:TG_SPLIT: 0
	.section	.text._ZN7rocprim17ROCPRIM_400000_NS6detail17trampoline_kernelINS0_14default_configENS1_22reduce_config_selectorIN6thrust23THRUST_200600_302600_NS5tupleIblNS6_9null_typeES8_S8_S8_S8_S8_S8_S8_EEEEZNS1_11reduce_implILb1ES3_NS6_12zip_iteratorINS7_INS6_11hip_rocprim26transform_input_iterator_tIbNSD_35transform_pair_of_input_iterators_tIbNS6_6detail15normal_iteratorINS6_10device_ptrIlEEEENS6_17counting_iteratorIlNS6_11use_defaultESM_SM_EENS6_8equal_toIlEEEENSG_9not_fun_tINSD_8identityEEEEENSD_19counting_iterator_tIlEES8_S8_S8_S8_S8_S8_S8_S8_EEEEPS9_S9_NSD_9__find_if7functorIS9_EEEE10hipError_tPvRmT1_T2_T3_mT4_P12ihipStream_tbEUlT_E1_NS1_11comp_targetILNS1_3genE9ELNS1_11target_archE1100ELNS1_3gpuE3ELNS1_3repE0EEENS1_30default_config_static_selectorELNS0_4arch9wavefront6targetE1EEEvS16_,"axG",@progbits,_ZN7rocprim17ROCPRIM_400000_NS6detail17trampoline_kernelINS0_14default_configENS1_22reduce_config_selectorIN6thrust23THRUST_200600_302600_NS5tupleIblNS6_9null_typeES8_S8_S8_S8_S8_S8_S8_EEEEZNS1_11reduce_implILb1ES3_NS6_12zip_iteratorINS7_INS6_11hip_rocprim26transform_input_iterator_tIbNSD_35transform_pair_of_input_iterators_tIbNS6_6detail15normal_iteratorINS6_10device_ptrIlEEEENS6_17counting_iteratorIlNS6_11use_defaultESM_SM_EENS6_8equal_toIlEEEENSG_9not_fun_tINSD_8identityEEEEENSD_19counting_iterator_tIlEES8_S8_S8_S8_S8_S8_S8_S8_EEEEPS9_S9_NSD_9__find_if7functorIS9_EEEE10hipError_tPvRmT1_T2_T3_mT4_P12ihipStream_tbEUlT_E1_NS1_11comp_targetILNS1_3genE9ELNS1_11target_archE1100ELNS1_3gpuE3ELNS1_3repE0EEENS1_30default_config_static_selectorELNS0_4arch9wavefront6targetE1EEEvS16_,comdat
	.protected	_ZN7rocprim17ROCPRIM_400000_NS6detail17trampoline_kernelINS0_14default_configENS1_22reduce_config_selectorIN6thrust23THRUST_200600_302600_NS5tupleIblNS6_9null_typeES8_S8_S8_S8_S8_S8_S8_EEEEZNS1_11reduce_implILb1ES3_NS6_12zip_iteratorINS7_INS6_11hip_rocprim26transform_input_iterator_tIbNSD_35transform_pair_of_input_iterators_tIbNS6_6detail15normal_iteratorINS6_10device_ptrIlEEEENS6_17counting_iteratorIlNS6_11use_defaultESM_SM_EENS6_8equal_toIlEEEENSG_9not_fun_tINSD_8identityEEEEENSD_19counting_iterator_tIlEES8_S8_S8_S8_S8_S8_S8_S8_EEEEPS9_S9_NSD_9__find_if7functorIS9_EEEE10hipError_tPvRmT1_T2_T3_mT4_P12ihipStream_tbEUlT_E1_NS1_11comp_targetILNS1_3genE9ELNS1_11target_archE1100ELNS1_3gpuE3ELNS1_3repE0EEENS1_30default_config_static_selectorELNS0_4arch9wavefront6targetE1EEEvS16_ ; -- Begin function _ZN7rocprim17ROCPRIM_400000_NS6detail17trampoline_kernelINS0_14default_configENS1_22reduce_config_selectorIN6thrust23THRUST_200600_302600_NS5tupleIblNS6_9null_typeES8_S8_S8_S8_S8_S8_S8_EEEEZNS1_11reduce_implILb1ES3_NS6_12zip_iteratorINS7_INS6_11hip_rocprim26transform_input_iterator_tIbNSD_35transform_pair_of_input_iterators_tIbNS6_6detail15normal_iteratorINS6_10device_ptrIlEEEENS6_17counting_iteratorIlNS6_11use_defaultESM_SM_EENS6_8equal_toIlEEEENSG_9not_fun_tINSD_8identityEEEEENSD_19counting_iterator_tIlEES8_S8_S8_S8_S8_S8_S8_S8_EEEEPS9_S9_NSD_9__find_if7functorIS9_EEEE10hipError_tPvRmT1_T2_T3_mT4_P12ihipStream_tbEUlT_E1_NS1_11comp_targetILNS1_3genE9ELNS1_11target_archE1100ELNS1_3gpuE3ELNS1_3repE0EEENS1_30default_config_static_selectorELNS0_4arch9wavefront6targetE1EEEvS16_
	.globl	_ZN7rocprim17ROCPRIM_400000_NS6detail17trampoline_kernelINS0_14default_configENS1_22reduce_config_selectorIN6thrust23THRUST_200600_302600_NS5tupleIblNS6_9null_typeES8_S8_S8_S8_S8_S8_S8_EEEEZNS1_11reduce_implILb1ES3_NS6_12zip_iteratorINS7_INS6_11hip_rocprim26transform_input_iterator_tIbNSD_35transform_pair_of_input_iterators_tIbNS6_6detail15normal_iteratorINS6_10device_ptrIlEEEENS6_17counting_iteratorIlNS6_11use_defaultESM_SM_EENS6_8equal_toIlEEEENSG_9not_fun_tINSD_8identityEEEEENSD_19counting_iterator_tIlEES8_S8_S8_S8_S8_S8_S8_S8_EEEEPS9_S9_NSD_9__find_if7functorIS9_EEEE10hipError_tPvRmT1_T2_T3_mT4_P12ihipStream_tbEUlT_E1_NS1_11comp_targetILNS1_3genE9ELNS1_11target_archE1100ELNS1_3gpuE3ELNS1_3repE0EEENS1_30default_config_static_selectorELNS0_4arch9wavefront6targetE1EEEvS16_
	.p2align	8
	.type	_ZN7rocprim17ROCPRIM_400000_NS6detail17trampoline_kernelINS0_14default_configENS1_22reduce_config_selectorIN6thrust23THRUST_200600_302600_NS5tupleIblNS6_9null_typeES8_S8_S8_S8_S8_S8_S8_EEEEZNS1_11reduce_implILb1ES3_NS6_12zip_iteratorINS7_INS6_11hip_rocprim26transform_input_iterator_tIbNSD_35transform_pair_of_input_iterators_tIbNS6_6detail15normal_iteratorINS6_10device_ptrIlEEEENS6_17counting_iteratorIlNS6_11use_defaultESM_SM_EENS6_8equal_toIlEEEENSG_9not_fun_tINSD_8identityEEEEENSD_19counting_iterator_tIlEES8_S8_S8_S8_S8_S8_S8_S8_EEEEPS9_S9_NSD_9__find_if7functorIS9_EEEE10hipError_tPvRmT1_T2_T3_mT4_P12ihipStream_tbEUlT_E1_NS1_11comp_targetILNS1_3genE9ELNS1_11target_archE1100ELNS1_3gpuE3ELNS1_3repE0EEENS1_30default_config_static_selectorELNS0_4arch9wavefront6targetE1EEEvS16_,@function
_ZN7rocprim17ROCPRIM_400000_NS6detail17trampoline_kernelINS0_14default_configENS1_22reduce_config_selectorIN6thrust23THRUST_200600_302600_NS5tupleIblNS6_9null_typeES8_S8_S8_S8_S8_S8_S8_EEEEZNS1_11reduce_implILb1ES3_NS6_12zip_iteratorINS7_INS6_11hip_rocprim26transform_input_iterator_tIbNSD_35transform_pair_of_input_iterators_tIbNS6_6detail15normal_iteratorINS6_10device_ptrIlEEEENS6_17counting_iteratorIlNS6_11use_defaultESM_SM_EENS6_8equal_toIlEEEENSG_9not_fun_tINSD_8identityEEEEENSD_19counting_iterator_tIlEES8_S8_S8_S8_S8_S8_S8_S8_EEEEPS9_S9_NSD_9__find_if7functorIS9_EEEE10hipError_tPvRmT1_T2_T3_mT4_P12ihipStream_tbEUlT_E1_NS1_11comp_targetILNS1_3genE9ELNS1_11target_archE1100ELNS1_3gpuE3ELNS1_3repE0EEENS1_30default_config_static_selectorELNS0_4arch9wavefront6targetE1EEEvS16_: ; @_ZN7rocprim17ROCPRIM_400000_NS6detail17trampoline_kernelINS0_14default_configENS1_22reduce_config_selectorIN6thrust23THRUST_200600_302600_NS5tupleIblNS6_9null_typeES8_S8_S8_S8_S8_S8_S8_EEEEZNS1_11reduce_implILb1ES3_NS6_12zip_iteratorINS7_INS6_11hip_rocprim26transform_input_iterator_tIbNSD_35transform_pair_of_input_iterators_tIbNS6_6detail15normal_iteratorINS6_10device_ptrIlEEEENS6_17counting_iteratorIlNS6_11use_defaultESM_SM_EENS6_8equal_toIlEEEENSG_9not_fun_tINSD_8identityEEEEENSD_19counting_iterator_tIlEES8_S8_S8_S8_S8_S8_S8_S8_EEEEPS9_S9_NSD_9__find_if7functorIS9_EEEE10hipError_tPvRmT1_T2_T3_mT4_P12ihipStream_tbEUlT_E1_NS1_11comp_targetILNS1_3genE9ELNS1_11target_archE1100ELNS1_3gpuE3ELNS1_3repE0EEENS1_30default_config_static_selectorELNS0_4arch9wavefront6targetE1EEEvS16_
; %bb.0:
	.section	.rodata,"a",@progbits
	.p2align	6, 0x0
	.amdhsa_kernel _ZN7rocprim17ROCPRIM_400000_NS6detail17trampoline_kernelINS0_14default_configENS1_22reduce_config_selectorIN6thrust23THRUST_200600_302600_NS5tupleIblNS6_9null_typeES8_S8_S8_S8_S8_S8_S8_EEEEZNS1_11reduce_implILb1ES3_NS6_12zip_iteratorINS7_INS6_11hip_rocprim26transform_input_iterator_tIbNSD_35transform_pair_of_input_iterators_tIbNS6_6detail15normal_iteratorINS6_10device_ptrIlEEEENS6_17counting_iteratorIlNS6_11use_defaultESM_SM_EENS6_8equal_toIlEEEENSG_9not_fun_tINSD_8identityEEEEENSD_19counting_iterator_tIlEES8_S8_S8_S8_S8_S8_S8_S8_EEEEPS9_S9_NSD_9__find_if7functorIS9_EEEE10hipError_tPvRmT1_T2_T3_mT4_P12ihipStream_tbEUlT_E1_NS1_11comp_targetILNS1_3genE9ELNS1_11target_archE1100ELNS1_3gpuE3ELNS1_3repE0EEENS1_30default_config_static_selectorELNS0_4arch9wavefront6targetE1EEEvS16_
		.amdhsa_group_segment_fixed_size 0
		.amdhsa_private_segment_fixed_size 0
		.amdhsa_kernarg_size 88
		.amdhsa_user_sgpr_count 6
		.amdhsa_user_sgpr_private_segment_buffer 1
		.amdhsa_user_sgpr_dispatch_ptr 0
		.amdhsa_user_sgpr_queue_ptr 0
		.amdhsa_user_sgpr_kernarg_segment_ptr 1
		.amdhsa_user_sgpr_dispatch_id 0
		.amdhsa_user_sgpr_flat_scratch_init 0
		.amdhsa_user_sgpr_kernarg_preload_length 0
		.amdhsa_user_sgpr_kernarg_preload_offset 0
		.amdhsa_user_sgpr_private_segment_size 0
		.amdhsa_uses_dynamic_stack 0
		.amdhsa_system_sgpr_private_segment_wavefront_offset 0
		.amdhsa_system_sgpr_workgroup_id_x 1
		.amdhsa_system_sgpr_workgroup_id_y 0
		.amdhsa_system_sgpr_workgroup_id_z 0
		.amdhsa_system_sgpr_workgroup_info 0
		.amdhsa_system_vgpr_workitem_id 0
		.amdhsa_next_free_vgpr 1
		.amdhsa_next_free_sgpr 0
		.amdhsa_accum_offset 4
		.amdhsa_reserve_vcc 0
		.amdhsa_reserve_flat_scratch 0
		.amdhsa_float_round_mode_32 0
		.amdhsa_float_round_mode_16_64 0
		.amdhsa_float_denorm_mode_32 3
		.amdhsa_float_denorm_mode_16_64 3
		.amdhsa_dx10_clamp 1
		.amdhsa_ieee_mode 1
		.amdhsa_fp16_overflow 0
		.amdhsa_tg_split 0
		.amdhsa_exception_fp_ieee_invalid_op 0
		.amdhsa_exception_fp_denorm_src 0
		.amdhsa_exception_fp_ieee_div_zero 0
		.amdhsa_exception_fp_ieee_overflow 0
		.amdhsa_exception_fp_ieee_underflow 0
		.amdhsa_exception_fp_ieee_inexact 0
		.amdhsa_exception_int_div_zero 0
	.end_amdhsa_kernel
	.section	.text._ZN7rocprim17ROCPRIM_400000_NS6detail17trampoline_kernelINS0_14default_configENS1_22reduce_config_selectorIN6thrust23THRUST_200600_302600_NS5tupleIblNS6_9null_typeES8_S8_S8_S8_S8_S8_S8_EEEEZNS1_11reduce_implILb1ES3_NS6_12zip_iteratorINS7_INS6_11hip_rocprim26transform_input_iterator_tIbNSD_35transform_pair_of_input_iterators_tIbNS6_6detail15normal_iteratorINS6_10device_ptrIlEEEENS6_17counting_iteratorIlNS6_11use_defaultESM_SM_EENS6_8equal_toIlEEEENSG_9not_fun_tINSD_8identityEEEEENSD_19counting_iterator_tIlEES8_S8_S8_S8_S8_S8_S8_S8_EEEEPS9_S9_NSD_9__find_if7functorIS9_EEEE10hipError_tPvRmT1_T2_T3_mT4_P12ihipStream_tbEUlT_E1_NS1_11comp_targetILNS1_3genE9ELNS1_11target_archE1100ELNS1_3gpuE3ELNS1_3repE0EEENS1_30default_config_static_selectorELNS0_4arch9wavefront6targetE1EEEvS16_,"axG",@progbits,_ZN7rocprim17ROCPRIM_400000_NS6detail17trampoline_kernelINS0_14default_configENS1_22reduce_config_selectorIN6thrust23THRUST_200600_302600_NS5tupleIblNS6_9null_typeES8_S8_S8_S8_S8_S8_S8_EEEEZNS1_11reduce_implILb1ES3_NS6_12zip_iteratorINS7_INS6_11hip_rocprim26transform_input_iterator_tIbNSD_35transform_pair_of_input_iterators_tIbNS6_6detail15normal_iteratorINS6_10device_ptrIlEEEENS6_17counting_iteratorIlNS6_11use_defaultESM_SM_EENS6_8equal_toIlEEEENSG_9not_fun_tINSD_8identityEEEEENSD_19counting_iterator_tIlEES8_S8_S8_S8_S8_S8_S8_S8_EEEEPS9_S9_NSD_9__find_if7functorIS9_EEEE10hipError_tPvRmT1_T2_T3_mT4_P12ihipStream_tbEUlT_E1_NS1_11comp_targetILNS1_3genE9ELNS1_11target_archE1100ELNS1_3gpuE3ELNS1_3repE0EEENS1_30default_config_static_selectorELNS0_4arch9wavefront6targetE1EEEvS16_,comdat
.Lfunc_end1205:
	.size	_ZN7rocprim17ROCPRIM_400000_NS6detail17trampoline_kernelINS0_14default_configENS1_22reduce_config_selectorIN6thrust23THRUST_200600_302600_NS5tupleIblNS6_9null_typeES8_S8_S8_S8_S8_S8_S8_EEEEZNS1_11reduce_implILb1ES3_NS6_12zip_iteratorINS7_INS6_11hip_rocprim26transform_input_iterator_tIbNSD_35transform_pair_of_input_iterators_tIbNS6_6detail15normal_iteratorINS6_10device_ptrIlEEEENS6_17counting_iteratorIlNS6_11use_defaultESM_SM_EENS6_8equal_toIlEEEENSG_9not_fun_tINSD_8identityEEEEENSD_19counting_iterator_tIlEES8_S8_S8_S8_S8_S8_S8_S8_EEEEPS9_S9_NSD_9__find_if7functorIS9_EEEE10hipError_tPvRmT1_T2_T3_mT4_P12ihipStream_tbEUlT_E1_NS1_11comp_targetILNS1_3genE9ELNS1_11target_archE1100ELNS1_3gpuE3ELNS1_3repE0EEENS1_30default_config_static_selectorELNS0_4arch9wavefront6targetE1EEEvS16_, .Lfunc_end1205-_ZN7rocprim17ROCPRIM_400000_NS6detail17trampoline_kernelINS0_14default_configENS1_22reduce_config_selectorIN6thrust23THRUST_200600_302600_NS5tupleIblNS6_9null_typeES8_S8_S8_S8_S8_S8_S8_EEEEZNS1_11reduce_implILb1ES3_NS6_12zip_iteratorINS7_INS6_11hip_rocprim26transform_input_iterator_tIbNSD_35transform_pair_of_input_iterators_tIbNS6_6detail15normal_iteratorINS6_10device_ptrIlEEEENS6_17counting_iteratorIlNS6_11use_defaultESM_SM_EENS6_8equal_toIlEEEENSG_9not_fun_tINSD_8identityEEEEENSD_19counting_iterator_tIlEES8_S8_S8_S8_S8_S8_S8_S8_EEEEPS9_S9_NSD_9__find_if7functorIS9_EEEE10hipError_tPvRmT1_T2_T3_mT4_P12ihipStream_tbEUlT_E1_NS1_11comp_targetILNS1_3genE9ELNS1_11target_archE1100ELNS1_3gpuE3ELNS1_3repE0EEENS1_30default_config_static_selectorELNS0_4arch9wavefront6targetE1EEEvS16_
                                        ; -- End function
	.section	.AMDGPU.csdata,"",@progbits
; Kernel info:
; codeLenInByte = 0
; NumSgprs: 4
; NumVgprs: 0
; NumAgprs: 0
; TotalNumVgprs: 0
; ScratchSize: 0
; MemoryBound: 0
; FloatMode: 240
; IeeeMode: 1
; LDSByteSize: 0 bytes/workgroup (compile time only)
; SGPRBlocks: 0
; VGPRBlocks: 0
; NumSGPRsForWavesPerEU: 4
; NumVGPRsForWavesPerEU: 1
; AccumOffset: 4
; Occupancy: 8
; WaveLimiterHint : 0
; COMPUTE_PGM_RSRC2:SCRATCH_EN: 0
; COMPUTE_PGM_RSRC2:USER_SGPR: 6
; COMPUTE_PGM_RSRC2:TRAP_HANDLER: 0
; COMPUTE_PGM_RSRC2:TGID_X_EN: 1
; COMPUTE_PGM_RSRC2:TGID_Y_EN: 0
; COMPUTE_PGM_RSRC2:TGID_Z_EN: 0
; COMPUTE_PGM_RSRC2:TIDIG_COMP_CNT: 0
; COMPUTE_PGM_RSRC3_GFX90A:ACCUM_OFFSET: 0
; COMPUTE_PGM_RSRC3_GFX90A:TG_SPLIT: 0
	.section	.text._ZN7rocprim17ROCPRIM_400000_NS6detail17trampoline_kernelINS0_14default_configENS1_22reduce_config_selectorIN6thrust23THRUST_200600_302600_NS5tupleIblNS6_9null_typeES8_S8_S8_S8_S8_S8_S8_EEEEZNS1_11reduce_implILb1ES3_NS6_12zip_iteratorINS7_INS6_11hip_rocprim26transform_input_iterator_tIbNSD_35transform_pair_of_input_iterators_tIbNS6_6detail15normal_iteratorINS6_10device_ptrIlEEEENS6_17counting_iteratorIlNS6_11use_defaultESM_SM_EENS6_8equal_toIlEEEENSG_9not_fun_tINSD_8identityEEEEENSD_19counting_iterator_tIlEES8_S8_S8_S8_S8_S8_S8_S8_EEEEPS9_S9_NSD_9__find_if7functorIS9_EEEE10hipError_tPvRmT1_T2_T3_mT4_P12ihipStream_tbEUlT_E1_NS1_11comp_targetILNS1_3genE8ELNS1_11target_archE1030ELNS1_3gpuE2ELNS1_3repE0EEENS1_30default_config_static_selectorELNS0_4arch9wavefront6targetE1EEEvS16_,"axG",@progbits,_ZN7rocprim17ROCPRIM_400000_NS6detail17trampoline_kernelINS0_14default_configENS1_22reduce_config_selectorIN6thrust23THRUST_200600_302600_NS5tupleIblNS6_9null_typeES8_S8_S8_S8_S8_S8_S8_EEEEZNS1_11reduce_implILb1ES3_NS6_12zip_iteratorINS7_INS6_11hip_rocprim26transform_input_iterator_tIbNSD_35transform_pair_of_input_iterators_tIbNS6_6detail15normal_iteratorINS6_10device_ptrIlEEEENS6_17counting_iteratorIlNS6_11use_defaultESM_SM_EENS6_8equal_toIlEEEENSG_9not_fun_tINSD_8identityEEEEENSD_19counting_iterator_tIlEES8_S8_S8_S8_S8_S8_S8_S8_EEEEPS9_S9_NSD_9__find_if7functorIS9_EEEE10hipError_tPvRmT1_T2_T3_mT4_P12ihipStream_tbEUlT_E1_NS1_11comp_targetILNS1_3genE8ELNS1_11target_archE1030ELNS1_3gpuE2ELNS1_3repE0EEENS1_30default_config_static_selectorELNS0_4arch9wavefront6targetE1EEEvS16_,comdat
	.protected	_ZN7rocprim17ROCPRIM_400000_NS6detail17trampoline_kernelINS0_14default_configENS1_22reduce_config_selectorIN6thrust23THRUST_200600_302600_NS5tupleIblNS6_9null_typeES8_S8_S8_S8_S8_S8_S8_EEEEZNS1_11reduce_implILb1ES3_NS6_12zip_iteratorINS7_INS6_11hip_rocprim26transform_input_iterator_tIbNSD_35transform_pair_of_input_iterators_tIbNS6_6detail15normal_iteratorINS6_10device_ptrIlEEEENS6_17counting_iteratorIlNS6_11use_defaultESM_SM_EENS6_8equal_toIlEEEENSG_9not_fun_tINSD_8identityEEEEENSD_19counting_iterator_tIlEES8_S8_S8_S8_S8_S8_S8_S8_EEEEPS9_S9_NSD_9__find_if7functorIS9_EEEE10hipError_tPvRmT1_T2_T3_mT4_P12ihipStream_tbEUlT_E1_NS1_11comp_targetILNS1_3genE8ELNS1_11target_archE1030ELNS1_3gpuE2ELNS1_3repE0EEENS1_30default_config_static_selectorELNS0_4arch9wavefront6targetE1EEEvS16_ ; -- Begin function _ZN7rocprim17ROCPRIM_400000_NS6detail17trampoline_kernelINS0_14default_configENS1_22reduce_config_selectorIN6thrust23THRUST_200600_302600_NS5tupleIblNS6_9null_typeES8_S8_S8_S8_S8_S8_S8_EEEEZNS1_11reduce_implILb1ES3_NS6_12zip_iteratorINS7_INS6_11hip_rocprim26transform_input_iterator_tIbNSD_35transform_pair_of_input_iterators_tIbNS6_6detail15normal_iteratorINS6_10device_ptrIlEEEENS6_17counting_iteratorIlNS6_11use_defaultESM_SM_EENS6_8equal_toIlEEEENSG_9not_fun_tINSD_8identityEEEEENSD_19counting_iterator_tIlEES8_S8_S8_S8_S8_S8_S8_S8_EEEEPS9_S9_NSD_9__find_if7functorIS9_EEEE10hipError_tPvRmT1_T2_T3_mT4_P12ihipStream_tbEUlT_E1_NS1_11comp_targetILNS1_3genE8ELNS1_11target_archE1030ELNS1_3gpuE2ELNS1_3repE0EEENS1_30default_config_static_selectorELNS0_4arch9wavefront6targetE1EEEvS16_
	.globl	_ZN7rocprim17ROCPRIM_400000_NS6detail17trampoline_kernelINS0_14default_configENS1_22reduce_config_selectorIN6thrust23THRUST_200600_302600_NS5tupleIblNS6_9null_typeES8_S8_S8_S8_S8_S8_S8_EEEEZNS1_11reduce_implILb1ES3_NS6_12zip_iteratorINS7_INS6_11hip_rocprim26transform_input_iterator_tIbNSD_35transform_pair_of_input_iterators_tIbNS6_6detail15normal_iteratorINS6_10device_ptrIlEEEENS6_17counting_iteratorIlNS6_11use_defaultESM_SM_EENS6_8equal_toIlEEEENSG_9not_fun_tINSD_8identityEEEEENSD_19counting_iterator_tIlEES8_S8_S8_S8_S8_S8_S8_S8_EEEEPS9_S9_NSD_9__find_if7functorIS9_EEEE10hipError_tPvRmT1_T2_T3_mT4_P12ihipStream_tbEUlT_E1_NS1_11comp_targetILNS1_3genE8ELNS1_11target_archE1030ELNS1_3gpuE2ELNS1_3repE0EEENS1_30default_config_static_selectorELNS0_4arch9wavefront6targetE1EEEvS16_
	.p2align	8
	.type	_ZN7rocprim17ROCPRIM_400000_NS6detail17trampoline_kernelINS0_14default_configENS1_22reduce_config_selectorIN6thrust23THRUST_200600_302600_NS5tupleIblNS6_9null_typeES8_S8_S8_S8_S8_S8_S8_EEEEZNS1_11reduce_implILb1ES3_NS6_12zip_iteratorINS7_INS6_11hip_rocprim26transform_input_iterator_tIbNSD_35transform_pair_of_input_iterators_tIbNS6_6detail15normal_iteratorINS6_10device_ptrIlEEEENS6_17counting_iteratorIlNS6_11use_defaultESM_SM_EENS6_8equal_toIlEEEENSG_9not_fun_tINSD_8identityEEEEENSD_19counting_iterator_tIlEES8_S8_S8_S8_S8_S8_S8_S8_EEEEPS9_S9_NSD_9__find_if7functorIS9_EEEE10hipError_tPvRmT1_T2_T3_mT4_P12ihipStream_tbEUlT_E1_NS1_11comp_targetILNS1_3genE8ELNS1_11target_archE1030ELNS1_3gpuE2ELNS1_3repE0EEENS1_30default_config_static_selectorELNS0_4arch9wavefront6targetE1EEEvS16_,@function
_ZN7rocprim17ROCPRIM_400000_NS6detail17trampoline_kernelINS0_14default_configENS1_22reduce_config_selectorIN6thrust23THRUST_200600_302600_NS5tupleIblNS6_9null_typeES8_S8_S8_S8_S8_S8_S8_EEEEZNS1_11reduce_implILb1ES3_NS6_12zip_iteratorINS7_INS6_11hip_rocprim26transform_input_iterator_tIbNSD_35transform_pair_of_input_iterators_tIbNS6_6detail15normal_iteratorINS6_10device_ptrIlEEEENS6_17counting_iteratorIlNS6_11use_defaultESM_SM_EENS6_8equal_toIlEEEENSG_9not_fun_tINSD_8identityEEEEENSD_19counting_iterator_tIlEES8_S8_S8_S8_S8_S8_S8_S8_EEEEPS9_S9_NSD_9__find_if7functorIS9_EEEE10hipError_tPvRmT1_T2_T3_mT4_P12ihipStream_tbEUlT_E1_NS1_11comp_targetILNS1_3genE8ELNS1_11target_archE1030ELNS1_3gpuE2ELNS1_3repE0EEENS1_30default_config_static_selectorELNS0_4arch9wavefront6targetE1EEEvS16_: ; @_ZN7rocprim17ROCPRIM_400000_NS6detail17trampoline_kernelINS0_14default_configENS1_22reduce_config_selectorIN6thrust23THRUST_200600_302600_NS5tupleIblNS6_9null_typeES8_S8_S8_S8_S8_S8_S8_EEEEZNS1_11reduce_implILb1ES3_NS6_12zip_iteratorINS7_INS6_11hip_rocprim26transform_input_iterator_tIbNSD_35transform_pair_of_input_iterators_tIbNS6_6detail15normal_iteratorINS6_10device_ptrIlEEEENS6_17counting_iteratorIlNS6_11use_defaultESM_SM_EENS6_8equal_toIlEEEENSG_9not_fun_tINSD_8identityEEEEENSD_19counting_iterator_tIlEES8_S8_S8_S8_S8_S8_S8_S8_EEEEPS9_S9_NSD_9__find_if7functorIS9_EEEE10hipError_tPvRmT1_T2_T3_mT4_P12ihipStream_tbEUlT_E1_NS1_11comp_targetILNS1_3genE8ELNS1_11target_archE1030ELNS1_3gpuE2ELNS1_3repE0EEENS1_30default_config_static_selectorELNS0_4arch9wavefront6targetE1EEEvS16_
; %bb.0:
	.section	.rodata,"a",@progbits
	.p2align	6, 0x0
	.amdhsa_kernel _ZN7rocprim17ROCPRIM_400000_NS6detail17trampoline_kernelINS0_14default_configENS1_22reduce_config_selectorIN6thrust23THRUST_200600_302600_NS5tupleIblNS6_9null_typeES8_S8_S8_S8_S8_S8_S8_EEEEZNS1_11reduce_implILb1ES3_NS6_12zip_iteratorINS7_INS6_11hip_rocprim26transform_input_iterator_tIbNSD_35transform_pair_of_input_iterators_tIbNS6_6detail15normal_iteratorINS6_10device_ptrIlEEEENS6_17counting_iteratorIlNS6_11use_defaultESM_SM_EENS6_8equal_toIlEEEENSG_9not_fun_tINSD_8identityEEEEENSD_19counting_iterator_tIlEES8_S8_S8_S8_S8_S8_S8_S8_EEEEPS9_S9_NSD_9__find_if7functorIS9_EEEE10hipError_tPvRmT1_T2_T3_mT4_P12ihipStream_tbEUlT_E1_NS1_11comp_targetILNS1_3genE8ELNS1_11target_archE1030ELNS1_3gpuE2ELNS1_3repE0EEENS1_30default_config_static_selectorELNS0_4arch9wavefront6targetE1EEEvS16_
		.amdhsa_group_segment_fixed_size 0
		.amdhsa_private_segment_fixed_size 0
		.amdhsa_kernarg_size 88
		.amdhsa_user_sgpr_count 6
		.amdhsa_user_sgpr_private_segment_buffer 1
		.amdhsa_user_sgpr_dispatch_ptr 0
		.amdhsa_user_sgpr_queue_ptr 0
		.amdhsa_user_sgpr_kernarg_segment_ptr 1
		.amdhsa_user_sgpr_dispatch_id 0
		.amdhsa_user_sgpr_flat_scratch_init 0
		.amdhsa_user_sgpr_kernarg_preload_length 0
		.amdhsa_user_sgpr_kernarg_preload_offset 0
		.amdhsa_user_sgpr_private_segment_size 0
		.amdhsa_uses_dynamic_stack 0
		.amdhsa_system_sgpr_private_segment_wavefront_offset 0
		.amdhsa_system_sgpr_workgroup_id_x 1
		.amdhsa_system_sgpr_workgroup_id_y 0
		.amdhsa_system_sgpr_workgroup_id_z 0
		.amdhsa_system_sgpr_workgroup_info 0
		.amdhsa_system_vgpr_workitem_id 0
		.amdhsa_next_free_vgpr 1
		.amdhsa_next_free_sgpr 0
		.amdhsa_accum_offset 4
		.amdhsa_reserve_vcc 0
		.amdhsa_reserve_flat_scratch 0
		.amdhsa_float_round_mode_32 0
		.amdhsa_float_round_mode_16_64 0
		.amdhsa_float_denorm_mode_32 3
		.amdhsa_float_denorm_mode_16_64 3
		.amdhsa_dx10_clamp 1
		.amdhsa_ieee_mode 1
		.amdhsa_fp16_overflow 0
		.amdhsa_tg_split 0
		.amdhsa_exception_fp_ieee_invalid_op 0
		.amdhsa_exception_fp_denorm_src 0
		.amdhsa_exception_fp_ieee_div_zero 0
		.amdhsa_exception_fp_ieee_overflow 0
		.amdhsa_exception_fp_ieee_underflow 0
		.amdhsa_exception_fp_ieee_inexact 0
		.amdhsa_exception_int_div_zero 0
	.end_amdhsa_kernel
	.section	.text._ZN7rocprim17ROCPRIM_400000_NS6detail17trampoline_kernelINS0_14default_configENS1_22reduce_config_selectorIN6thrust23THRUST_200600_302600_NS5tupleIblNS6_9null_typeES8_S8_S8_S8_S8_S8_S8_EEEEZNS1_11reduce_implILb1ES3_NS6_12zip_iteratorINS7_INS6_11hip_rocprim26transform_input_iterator_tIbNSD_35transform_pair_of_input_iterators_tIbNS6_6detail15normal_iteratorINS6_10device_ptrIlEEEENS6_17counting_iteratorIlNS6_11use_defaultESM_SM_EENS6_8equal_toIlEEEENSG_9not_fun_tINSD_8identityEEEEENSD_19counting_iterator_tIlEES8_S8_S8_S8_S8_S8_S8_S8_EEEEPS9_S9_NSD_9__find_if7functorIS9_EEEE10hipError_tPvRmT1_T2_T3_mT4_P12ihipStream_tbEUlT_E1_NS1_11comp_targetILNS1_3genE8ELNS1_11target_archE1030ELNS1_3gpuE2ELNS1_3repE0EEENS1_30default_config_static_selectorELNS0_4arch9wavefront6targetE1EEEvS16_,"axG",@progbits,_ZN7rocprim17ROCPRIM_400000_NS6detail17trampoline_kernelINS0_14default_configENS1_22reduce_config_selectorIN6thrust23THRUST_200600_302600_NS5tupleIblNS6_9null_typeES8_S8_S8_S8_S8_S8_S8_EEEEZNS1_11reduce_implILb1ES3_NS6_12zip_iteratorINS7_INS6_11hip_rocprim26transform_input_iterator_tIbNSD_35transform_pair_of_input_iterators_tIbNS6_6detail15normal_iteratorINS6_10device_ptrIlEEEENS6_17counting_iteratorIlNS6_11use_defaultESM_SM_EENS6_8equal_toIlEEEENSG_9not_fun_tINSD_8identityEEEEENSD_19counting_iterator_tIlEES8_S8_S8_S8_S8_S8_S8_S8_EEEEPS9_S9_NSD_9__find_if7functorIS9_EEEE10hipError_tPvRmT1_T2_T3_mT4_P12ihipStream_tbEUlT_E1_NS1_11comp_targetILNS1_3genE8ELNS1_11target_archE1030ELNS1_3gpuE2ELNS1_3repE0EEENS1_30default_config_static_selectorELNS0_4arch9wavefront6targetE1EEEvS16_,comdat
.Lfunc_end1206:
	.size	_ZN7rocprim17ROCPRIM_400000_NS6detail17trampoline_kernelINS0_14default_configENS1_22reduce_config_selectorIN6thrust23THRUST_200600_302600_NS5tupleIblNS6_9null_typeES8_S8_S8_S8_S8_S8_S8_EEEEZNS1_11reduce_implILb1ES3_NS6_12zip_iteratorINS7_INS6_11hip_rocprim26transform_input_iterator_tIbNSD_35transform_pair_of_input_iterators_tIbNS6_6detail15normal_iteratorINS6_10device_ptrIlEEEENS6_17counting_iteratorIlNS6_11use_defaultESM_SM_EENS6_8equal_toIlEEEENSG_9not_fun_tINSD_8identityEEEEENSD_19counting_iterator_tIlEES8_S8_S8_S8_S8_S8_S8_S8_EEEEPS9_S9_NSD_9__find_if7functorIS9_EEEE10hipError_tPvRmT1_T2_T3_mT4_P12ihipStream_tbEUlT_E1_NS1_11comp_targetILNS1_3genE8ELNS1_11target_archE1030ELNS1_3gpuE2ELNS1_3repE0EEENS1_30default_config_static_selectorELNS0_4arch9wavefront6targetE1EEEvS16_, .Lfunc_end1206-_ZN7rocprim17ROCPRIM_400000_NS6detail17trampoline_kernelINS0_14default_configENS1_22reduce_config_selectorIN6thrust23THRUST_200600_302600_NS5tupleIblNS6_9null_typeES8_S8_S8_S8_S8_S8_S8_EEEEZNS1_11reduce_implILb1ES3_NS6_12zip_iteratorINS7_INS6_11hip_rocprim26transform_input_iterator_tIbNSD_35transform_pair_of_input_iterators_tIbNS6_6detail15normal_iteratorINS6_10device_ptrIlEEEENS6_17counting_iteratorIlNS6_11use_defaultESM_SM_EENS6_8equal_toIlEEEENSG_9not_fun_tINSD_8identityEEEEENSD_19counting_iterator_tIlEES8_S8_S8_S8_S8_S8_S8_S8_EEEEPS9_S9_NSD_9__find_if7functorIS9_EEEE10hipError_tPvRmT1_T2_T3_mT4_P12ihipStream_tbEUlT_E1_NS1_11comp_targetILNS1_3genE8ELNS1_11target_archE1030ELNS1_3gpuE2ELNS1_3repE0EEENS1_30default_config_static_selectorELNS0_4arch9wavefront6targetE1EEEvS16_
                                        ; -- End function
	.section	.AMDGPU.csdata,"",@progbits
; Kernel info:
; codeLenInByte = 0
; NumSgprs: 4
; NumVgprs: 0
; NumAgprs: 0
; TotalNumVgprs: 0
; ScratchSize: 0
; MemoryBound: 0
; FloatMode: 240
; IeeeMode: 1
; LDSByteSize: 0 bytes/workgroup (compile time only)
; SGPRBlocks: 0
; VGPRBlocks: 0
; NumSGPRsForWavesPerEU: 4
; NumVGPRsForWavesPerEU: 1
; AccumOffset: 4
; Occupancy: 8
; WaveLimiterHint : 0
; COMPUTE_PGM_RSRC2:SCRATCH_EN: 0
; COMPUTE_PGM_RSRC2:USER_SGPR: 6
; COMPUTE_PGM_RSRC2:TRAP_HANDLER: 0
; COMPUTE_PGM_RSRC2:TGID_X_EN: 1
; COMPUTE_PGM_RSRC2:TGID_Y_EN: 0
; COMPUTE_PGM_RSRC2:TGID_Z_EN: 0
; COMPUTE_PGM_RSRC2:TIDIG_COMP_CNT: 0
; COMPUTE_PGM_RSRC3_GFX90A:ACCUM_OFFSET: 0
; COMPUTE_PGM_RSRC3_GFX90A:TG_SPLIT: 0
	.section	.text._ZN6thrust23THRUST_200600_302600_NS11hip_rocprim14__parallel_for6kernelILj256ENS1_10for_each_fINS0_7pointerINS0_5tupleIblNS0_9null_typeES7_S7_S7_S7_S7_S7_S7_EENS1_3tagENS0_11use_defaultESA_EENS0_6detail16wrapped_functionINSC_23allocator_traits_detail24construct1_via_allocatorINSC_18no_throw_allocatorINSC_19temporary_allocatorIS8_S9_EEEEEEvEEEEmLj1EEEvT0_T1_SO_,"axG",@progbits,_ZN6thrust23THRUST_200600_302600_NS11hip_rocprim14__parallel_for6kernelILj256ENS1_10for_each_fINS0_7pointerINS0_5tupleIblNS0_9null_typeES7_S7_S7_S7_S7_S7_S7_EENS1_3tagENS0_11use_defaultESA_EENS0_6detail16wrapped_functionINSC_23allocator_traits_detail24construct1_via_allocatorINSC_18no_throw_allocatorINSC_19temporary_allocatorIS8_S9_EEEEEEvEEEEmLj1EEEvT0_T1_SO_,comdat
	.protected	_ZN6thrust23THRUST_200600_302600_NS11hip_rocprim14__parallel_for6kernelILj256ENS1_10for_each_fINS0_7pointerINS0_5tupleIblNS0_9null_typeES7_S7_S7_S7_S7_S7_S7_EENS1_3tagENS0_11use_defaultESA_EENS0_6detail16wrapped_functionINSC_23allocator_traits_detail24construct1_via_allocatorINSC_18no_throw_allocatorINSC_19temporary_allocatorIS8_S9_EEEEEEvEEEEmLj1EEEvT0_T1_SO_ ; -- Begin function _ZN6thrust23THRUST_200600_302600_NS11hip_rocprim14__parallel_for6kernelILj256ENS1_10for_each_fINS0_7pointerINS0_5tupleIblNS0_9null_typeES7_S7_S7_S7_S7_S7_S7_EENS1_3tagENS0_11use_defaultESA_EENS0_6detail16wrapped_functionINSC_23allocator_traits_detail24construct1_via_allocatorINSC_18no_throw_allocatorINSC_19temporary_allocatorIS8_S9_EEEEEEvEEEEmLj1EEEvT0_T1_SO_
	.globl	_ZN6thrust23THRUST_200600_302600_NS11hip_rocprim14__parallel_for6kernelILj256ENS1_10for_each_fINS0_7pointerINS0_5tupleIblNS0_9null_typeES7_S7_S7_S7_S7_S7_S7_EENS1_3tagENS0_11use_defaultESA_EENS0_6detail16wrapped_functionINSC_23allocator_traits_detail24construct1_via_allocatorINSC_18no_throw_allocatorINSC_19temporary_allocatorIS8_S9_EEEEEEvEEEEmLj1EEEvT0_T1_SO_
	.p2align	8
	.type	_ZN6thrust23THRUST_200600_302600_NS11hip_rocprim14__parallel_for6kernelILj256ENS1_10for_each_fINS0_7pointerINS0_5tupleIblNS0_9null_typeES7_S7_S7_S7_S7_S7_S7_EENS1_3tagENS0_11use_defaultESA_EENS0_6detail16wrapped_functionINSC_23allocator_traits_detail24construct1_via_allocatorINSC_18no_throw_allocatorINSC_19temporary_allocatorIS8_S9_EEEEEEvEEEEmLj1EEEvT0_T1_SO_,@function
_ZN6thrust23THRUST_200600_302600_NS11hip_rocprim14__parallel_for6kernelILj256ENS1_10for_each_fINS0_7pointerINS0_5tupleIblNS0_9null_typeES7_S7_S7_S7_S7_S7_S7_EENS1_3tagENS0_11use_defaultESA_EENS0_6detail16wrapped_functionINSC_23allocator_traits_detail24construct1_via_allocatorINSC_18no_throw_allocatorINSC_19temporary_allocatorIS8_S9_EEEEEEvEEEEmLj1EEEvT0_T1_SO_: ; @_ZN6thrust23THRUST_200600_302600_NS11hip_rocprim14__parallel_for6kernelILj256ENS1_10for_each_fINS0_7pointerINS0_5tupleIblNS0_9null_typeES7_S7_S7_S7_S7_S7_S7_EENS1_3tagENS0_11use_defaultESA_EENS0_6detail16wrapped_functionINSC_23allocator_traits_detail24construct1_via_allocatorINSC_18no_throw_allocatorINSC_19temporary_allocatorIS8_S9_EEEEEEvEEEEmLj1EEEvT0_T1_SO_
; %bb.0:
	s_load_dwordx4 s[8:11], s[4:5], 0x10
	s_load_dwordx2 s[0:1], s[4:5], 0x0
	s_lshl_b32 s2, s6, 8
	v_mov_b32_e32 v2, 0x100
	v_mov_b32_e32 v3, 0
	s_waitcnt lgkmcnt(0)
	s_add_u32 s4, s2, s10
	s_addc_u32 s5, 0, s11
	s_sub_u32 s2, s8, s4
	s_subb_u32 s3, s9, s5
	v_cmp_lt_u64_e32 vcc, s[2:3], v[2:3]
	s_cbranch_vccz .LBB1207_4
; %bb.1:
	v_cmp_gt_u32_e32 vcc, s2, v0
	s_mov_b64 s[6:7], 0
	s_mov_b64 s[2:3], 0
                                        ; implicit-def: $vgpr2_vgpr3
	s_and_saveexec_b64 s[8:9], vcc
	s_xor_b64 s[8:9], exec, s[8:9]
; %bb.2:
	s_lshl_b64 s[10:11], s[4:5], 4
	s_add_u32 s10, s0, s10
	s_addc_u32 s11, s1, s11
	v_lshlrev_b32_e32 v1, 4, v0
	v_mov_b32_e32 v3, s11
	v_add_co_u32_e32 v2, vcc, s10, v1
	s_mov_b64 s[2:3], exec
	v_addc_co_u32_e32 v3, vcc, 0, v3, vcc
; %bb.3:
	s_or_b64 exec, exec, s[8:9]
	s_and_b64 vcc, exec, s[6:7]
	s_cbranch_vccnz .LBB1207_5
	s_branch .LBB1207_6
.LBB1207_4:
	s_mov_b64 s[2:3], 0
                                        ; implicit-def: $vgpr2_vgpr3
	s_cbranch_execz .LBB1207_6
.LBB1207_5:
	s_lshl_b64 s[4:5], s[4:5], 4
	s_add_u32 s0, s0, s4
	s_addc_u32 s1, s1, s5
	v_lshlrev_b32_e32 v0, 4, v0
	v_mov_b32_e32 v1, s1
	v_add_co_u32_e32 v2, vcc, s0, v0
	v_addc_co_u32_e32 v3, vcc, 0, v1, vcc
	s_or_b64 s[2:3], s[2:3], exec
.LBB1207_6:
	s_and_saveexec_b64 s[0:1], s[2:3]
	s_cbranch_execnz .LBB1207_8
; %bb.7:
	s_endpgm
.LBB1207_8:
	v_mov_b32_e32 v0, 0
	v_mov_b32_e32 v1, v0
	flat_store_byte v[2:3], v0
	flat_store_dwordx2 v[2:3], v[0:1] offset:8
	s_endpgm
	.section	.rodata,"a",@progbits
	.p2align	6, 0x0
	.amdhsa_kernel _ZN6thrust23THRUST_200600_302600_NS11hip_rocprim14__parallel_for6kernelILj256ENS1_10for_each_fINS0_7pointerINS0_5tupleIblNS0_9null_typeES7_S7_S7_S7_S7_S7_S7_EENS1_3tagENS0_11use_defaultESA_EENS0_6detail16wrapped_functionINSC_23allocator_traits_detail24construct1_via_allocatorINSC_18no_throw_allocatorINSC_19temporary_allocatorIS8_S9_EEEEEEvEEEEmLj1EEEvT0_T1_SO_
		.amdhsa_group_segment_fixed_size 0
		.amdhsa_private_segment_fixed_size 0
		.amdhsa_kernarg_size 32
		.amdhsa_user_sgpr_count 6
		.amdhsa_user_sgpr_private_segment_buffer 1
		.amdhsa_user_sgpr_dispatch_ptr 0
		.amdhsa_user_sgpr_queue_ptr 0
		.amdhsa_user_sgpr_kernarg_segment_ptr 1
		.amdhsa_user_sgpr_dispatch_id 0
		.amdhsa_user_sgpr_flat_scratch_init 0
		.amdhsa_user_sgpr_kernarg_preload_length 0
		.amdhsa_user_sgpr_kernarg_preload_offset 0
		.amdhsa_user_sgpr_private_segment_size 0
		.amdhsa_uses_dynamic_stack 0
		.amdhsa_system_sgpr_private_segment_wavefront_offset 0
		.amdhsa_system_sgpr_workgroup_id_x 1
		.amdhsa_system_sgpr_workgroup_id_y 0
		.amdhsa_system_sgpr_workgroup_id_z 0
		.amdhsa_system_sgpr_workgroup_info 0
		.amdhsa_system_vgpr_workitem_id 0
		.amdhsa_next_free_vgpr 4
		.amdhsa_next_free_sgpr 12
		.amdhsa_accum_offset 4
		.amdhsa_reserve_vcc 1
		.amdhsa_reserve_flat_scratch 0
		.amdhsa_float_round_mode_32 0
		.amdhsa_float_round_mode_16_64 0
		.amdhsa_float_denorm_mode_32 3
		.amdhsa_float_denorm_mode_16_64 3
		.amdhsa_dx10_clamp 1
		.amdhsa_ieee_mode 1
		.amdhsa_fp16_overflow 0
		.amdhsa_tg_split 0
		.amdhsa_exception_fp_ieee_invalid_op 0
		.amdhsa_exception_fp_denorm_src 0
		.amdhsa_exception_fp_ieee_div_zero 0
		.amdhsa_exception_fp_ieee_overflow 0
		.amdhsa_exception_fp_ieee_underflow 0
		.amdhsa_exception_fp_ieee_inexact 0
		.amdhsa_exception_int_div_zero 0
	.end_amdhsa_kernel
	.section	.text._ZN6thrust23THRUST_200600_302600_NS11hip_rocprim14__parallel_for6kernelILj256ENS1_10for_each_fINS0_7pointerINS0_5tupleIblNS0_9null_typeES7_S7_S7_S7_S7_S7_S7_EENS1_3tagENS0_11use_defaultESA_EENS0_6detail16wrapped_functionINSC_23allocator_traits_detail24construct1_via_allocatorINSC_18no_throw_allocatorINSC_19temporary_allocatorIS8_S9_EEEEEEvEEEEmLj1EEEvT0_T1_SO_,"axG",@progbits,_ZN6thrust23THRUST_200600_302600_NS11hip_rocprim14__parallel_for6kernelILj256ENS1_10for_each_fINS0_7pointerINS0_5tupleIblNS0_9null_typeES7_S7_S7_S7_S7_S7_S7_EENS1_3tagENS0_11use_defaultESA_EENS0_6detail16wrapped_functionINSC_23allocator_traits_detail24construct1_via_allocatorINSC_18no_throw_allocatorINSC_19temporary_allocatorIS8_S9_EEEEEEvEEEEmLj1EEEvT0_T1_SO_,comdat
.Lfunc_end1207:
	.size	_ZN6thrust23THRUST_200600_302600_NS11hip_rocprim14__parallel_for6kernelILj256ENS1_10for_each_fINS0_7pointerINS0_5tupleIblNS0_9null_typeES7_S7_S7_S7_S7_S7_S7_EENS1_3tagENS0_11use_defaultESA_EENS0_6detail16wrapped_functionINSC_23allocator_traits_detail24construct1_via_allocatorINSC_18no_throw_allocatorINSC_19temporary_allocatorIS8_S9_EEEEEEvEEEEmLj1EEEvT0_T1_SO_, .Lfunc_end1207-_ZN6thrust23THRUST_200600_302600_NS11hip_rocprim14__parallel_for6kernelILj256ENS1_10for_each_fINS0_7pointerINS0_5tupleIblNS0_9null_typeES7_S7_S7_S7_S7_S7_S7_EENS1_3tagENS0_11use_defaultESA_EENS0_6detail16wrapped_functionINSC_23allocator_traits_detail24construct1_via_allocatorINSC_18no_throw_allocatorINSC_19temporary_allocatorIS8_S9_EEEEEEvEEEEmLj1EEEvT0_T1_SO_
                                        ; -- End function
	.section	.AMDGPU.csdata,"",@progbits
; Kernel info:
; codeLenInByte = 208
; NumSgprs: 16
; NumVgprs: 4
; NumAgprs: 0
; TotalNumVgprs: 4
; ScratchSize: 0
; MemoryBound: 0
; FloatMode: 240
; IeeeMode: 1
; LDSByteSize: 0 bytes/workgroup (compile time only)
; SGPRBlocks: 1
; VGPRBlocks: 0
; NumSGPRsForWavesPerEU: 16
; NumVGPRsForWavesPerEU: 4
; AccumOffset: 4
; Occupancy: 8
; WaveLimiterHint : 0
; COMPUTE_PGM_RSRC2:SCRATCH_EN: 0
; COMPUTE_PGM_RSRC2:USER_SGPR: 6
; COMPUTE_PGM_RSRC2:TRAP_HANDLER: 0
; COMPUTE_PGM_RSRC2:TGID_X_EN: 1
; COMPUTE_PGM_RSRC2:TGID_Y_EN: 0
; COMPUTE_PGM_RSRC2:TGID_Z_EN: 0
; COMPUTE_PGM_RSRC2:TIDIG_COMP_CNT: 0
; COMPUTE_PGM_RSRC3_GFX90A:ACCUM_OFFSET: 0
; COMPUTE_PGM_RSRC3_GFX90A:TG_SPLIT: 0
	.section	.text._ZN6thrust23THRUST_200600_302600_NS11hip_rocprim14__parallel_for6kernelILj256ENS1_10for_each_fINS0_7pointerINS0_5tupleIblNS0_9null_typeES7_S7_S7_S7_S7_S7_S7_EENS1_3tagENS0_11use_defaultESA_EENS0_6detail16wrapped_functionINSC_23allocator_traits_detail5gozerEvEEEElLj1EEEvT0_T1_SJ_,"axG",@progbits,_ZN6thrust23THRUST_200600_302600_NS11hip_rocprim14__parallel_for6kernelILj256ENS1_10for_each_fINS0_7pointerINS0_5tupleIblNS0_9null_typeES7_S7_S7_S7_S7_S7_S7_EENS1_3tagENS0_11use_defaultESA_EENS0_6detail16wrapped_functionINSC_23allocator_traits_detail5gozerEvEEEElLj1EEEvT0_T1_SJ_,comdat
	.protected	_ZN6thrust23THRUST_200600_302600_NS11hip_rocprim14__parallel_for6kernelILj256ENS1_10for_each_fINS0_7pointerINS0_5tupleIblNS0_9null_typeES7_S7_S7_S7_S7_S7_S7_EENS1_3tagENS0_11use_defaultESA_EENS0_6detail16wrapped_functionINSC_23allocator_traits_detail5gozerEvEEEElLj1EEEvT0_T1_SJ_ ; -- Begin function _ZN6thrust23THRUST_200600_302600_NS11hip_rocprim14__parallel_for6kernelILj256ENS1_10for_each_fINS0_7pointerINS0_5tupleIblNS0_9null_typeES7_S7_S7_S7_S7_S7_S7_EENS1_3tagENS0_11use_defaultESA_EENS0_6detail16wrapped_functionINSC_23allocator_traits_detail5gozerEvEEEElLj1EEEvT0_T1_SJ_
	.globl	_ZN6thrust23THRUST_200600_302600_NS11hip_rocprim14__parallel_for6kernelILj256ENS1_10for_each_fINS0_7pointerINS0_5tupleIblNS0_9null_typeES7_S7_S7_S7_S7_S7_S7_EENS1_3tagENS0_11use_defaultESA_EENS0_6detail16wrapped_functionINSC_23allocator_traits_detail5gozerEvEEEElLj1EEEvT0_T1_SJ_
	.p2align	8
	.type	_ZN6thrust23THRUST_200600_302600_NS11hip_rocprim14__parallel_for6kernelILj256ENS1_10for_each_fINS0_7pointerINS0_5tupleIblNS0_9null_typeES7_S7_S7_S7_S7_S7_S7_EENS1_3tagENS0_11use_defaultESA_EENS0_6detail16wrapped_functionINSC_23allocator_traits_detail5gozerEvEEEElLj1EEEvT0_T1_SJ_,@function
_ZN6thrust23THRUST_200600_302600_NS11hip_rocprim14__parallel_for6kernelILj256ENS1_10for_each_fINS0_7pointerINS0_5tupleIblNS0_9null_typeES7_S7_S7_S7_S7_S7_S7_EENS1_3tagENS0_11use_defaultESA_EENS0_6detail16wrapped_functionINSC_23allocator_traits_detail5gozerEvEEEElLj1EEEvT0_T1_SJ_: ; @_ZN6thrust23THRUST_200600_302600_NS11hip_rocprim14__parallel_for6kernelILj256ENS1_10for_each_fINS0_7pointerINS0_5tupleIblNS0_9null_typeES7_S7_S7_S7_S7_S7_S7_EENS1_3tagENS0_11use_defaultESA_EENS0_6detail16wrapped_functionINSC_23allocator_traits_detail5gozerEvEEEElLj1EEEvT0_T1_SJ_
; %bb.0:
	s_endpgm
	.section	.rodata,"a",@progbits
	.p2align	6, 0x0
	.amdhsa_kernel _ZN6thrust23THRUST_200600_302600_NS11hip_rocprim14__parallel_for6kernelILj256ENS1_10for_each_fINS0_7pointerINS0_5tupleIblNS0_9null_typeES7_S7_S7_S7_S7_S7_S7_EENS1_3tagENS0_11use_defaultESA_EENS0_6detail16wrapped_functionINSC_23allocator_traits_detail5gozerEvEEEElLj1EEEvT0_T1_SJ_
		.amdhsa_group_segment_fixed_size 0
		.amdhsa_private_segment_fixed_size 0
		.amdhsa_kernarg_size 32
		.amdhsa_user_sgpr_count 6
		.amdhsa_user_sgpr_private_segment_buffer 1
		.amdhsa_user_sgpr_dispatch_ptr 0
		.amdhsa_user_sgpr_queue_ptr 0
		.amdhsa_user_sgpr_kernarg_segment_ptr 1
		.amdhsa_user_sgpr_dispatch_id 0
		.amdhsa_user_sgpr_flat_scratch_init 0
		.amdhsa_user_sgpr_kernarg_preload_length 0
		.amdhsa_user_sgpr_kernarg_preload_offset 0
		.amdhsa_user_sgpr_private_segment_size 0
		.amdhsa_uses_dynamic_stack 0
		.amdhsa_system_sgpr_private_segment_wavefront_offset 0
		.amdhsa_system_sgpr_workgroup_id_x 1
		.amdhsa_system_sgpr_workgroup_id_y 0
		.amdhsa_system_sgpr_workgroup_id_z 0
		.amdhsa_system_sgpr_workgroup_info 0
		.amdhsa_system_vgpr_workitem_id 0
		.amdhsa_next_free_vgpr 1
		.amdhsa_next_free_sgpr 0
		.amdhsa_accum_offset 4
		.amdhsa_reserve_vcc 0
		.amdhsa_reserve_flat_scratch 0
		.amdhsa_float_round_mode_32 0
		.amdhsa_float_round_mode_16_64 0
		.amdhsa_float_denorm_mode_32 3
		.amdhsa_float_denorm_mode_16_64 3
		.amdhsa_dx10_clamp 1
		.amdhsa_ieee_mode 1
		.amdhsa_fp16_overflow 0
		.amdhsa_tg_split 0
		.amdhsa_exception_fp_ieee_invalid_op 0
		.amdhsa_exception_fp_denorm_src 0
		.amdhsa_exception_fp_ieee_div_zero 0
		.amdhsa_exception_fp_ieee_overflow 0
		.amdhsa_exception_fp_ieee_underflow 0
		.amdhsa_exception_fp_ieee_inexact 0
		.amdhsa_exception_int_div_zero 0
	.end_amdhsa_kernel
	.section	.text._ZN6thrust23THRUST_200600_302600_NS11hip_rocprim14__parallel_for6kernelILj256ENS1_10for_each_fINS0_7pointerINS0_5tupleIblNS0_9null_typeES7_S7_S7_S7_S7_S7_S7_EENS1_3tagENS0_11use_defaultESA_EENS0_6detail16wrapped_functionINSC_23allocator_traits_detail5gozerEvEEEElLj1EEEvT0_T1_SJ_,"axG",@progbits,_ZN6thrust23THRUST_200600_302600_NS11hip_rocprim14__parallel_for6kernelILj256ENS1_10for_each_fINS0_7pointerINS0_5tupleIblNS0_9null_typeES7_S7_S7_S7_S7_S7_S7_EENS1_3tagENS0_11use_defaultESA_EENS0_6detail16wrapped_functionINSC_23allocator_traits_detail5gozerEvEEEElLj1EEEvT0_T1_SJ_,comdat
.Lfunc_end1208:
	.size	_ZN6thrust23THRUST_200600_302600_NS11hip_rocprim14__parallel_for6kernelILj256ENS1_10for_each_fINS0_7pointerINS0_5tupleIblNS0_9null_typeES7_S7_S7_S7_S7_S7_S7_EENS1_3tagENS0_11use_defaultESA_EENS0_6detail16wrapped_functionINSC_23allocator_traits_detail5gozerEvEEEElLj1EEEvT0_T1_SJ_, .Lfunc_end1208-_ZN6thrust23THRUST_200600_302600_NS11hip_rocprim14__parallel_for6kernelILj256ENS1_10for_each_fINS0_7pointerINS0_5tupleIblNS0_9null_typeES7_S7_S7_S7_S7_S7_S7_EENS1_3tagENS0_11use_defaultESA_EENS0_6detail16wrapped_functionINSC_23allocator_traits_detail5gozerEvEEEElLj1EEEvT0_T1_SJ_
                                        ; -- End function
	.section	.AMDGPU.csdata,"",@progbits
; Kernel info:
; codeLenInByte = 4
; NumSgprs: 4
; NumVgprs: 0
; NumAgprs: 0
; TotalNumVgprs: 0
; ScratchSize: 0
; MemoryBound: 0
; FloatMode: 240
; IeeeMode: 1
; LDSByteSize: 0 bytes/workgroup (compile time only)
; SGPRBlocks: 0
; VGPRBlocks: 0
; NumSGPRsForWavesPerEU: 4
; NumVGPRsForWavesPerEU: 1
; AccumOffset: 4
; Occupancy: 8
; WaveLimiterHint : 0
; COMPUTE_PGM_RSRC2:SCRATCH_EN: 0
; COMPUTE_PGM_RSRC2:USER_SGPR: 6
; COMPUTE_PGM_RSRC2:TRAP_HANDLER: 0
; COMPUTE_PGM_RSRC2:TGID_X_EN: 1
; COMPUTE_PGM_RSRC2:TGID_Y_EN: 0
; COMPUTE_PGM_RSRC2:TGID_Z_EN: 0
; COMPUTE_PGM_RSRC2:TIDIG_COMP_CNT: 0
; COMPUTE_PGM_RSRC3_GFX90A:ACCUM_OFFSET: 0
; COMPUTE_PGM_RSRC3_GFX90A:TG_SPLIT: 0
	.section	.text._ZN6thrust23THRUST_200600_302600_NS11hip_rocprim14__parallel_for6kernelILj256ENS1_20__uninitialized_copy7functorIPNS0_5tupleIblNS0_9null_typeES7_S7_S7_S7_S7_S7_S7_EENS0_7pointerIS8_NS1_3tagENS0_11use_defaultESC_EEEEmLj1EEEvT0_T1_SG_,"axG",@progbits,_ZN6thrust23THRUST_200600_302600_NS11hip_rocprim14__parallel_for6kernelILj256ENS1_20__uninitialized_copy7functorIPNS0_5tupleIblNS0_9null_typeES7_S7_S7_S7_S7_S7_S7_EENS0_7pointerIS8_NS1_3tagENS0_11use_defaultESC_EEEEmLj1EEEvT0_T1_SG_,comdat
	.protected	_ZN6thrust23THRUST_200600_302600_NS11hip_rocprim14__parallel_for6kernelILj256ENS1_20__uninitialized_copy7functorIPNS0_5tupleIblNS0_9null_typeES7_S7_S7_S7_S7_S7_S7_EENS0_7pointerIS8_NS1_3tagENS0_11use_defaultESC_EEEEmLj1EEEvT0_T1_SG_ ; -- Begin function _ZN6thrust23THRUST_200600_302600_NS11hip_rocprim14__parallel_for6kernelILj256ENS1_20__uninitialized_copy7functorIPNS0_5tupleIblNS0_9null_typeES7_S7_S7_S7_S7_S7_S7_EENS0_7pointerIS8_NS1_3tagENS0_11use_defaultESC_EEEEmLj1EEEvT0_T1_SG_
	.globl	_ZN6thrust23THRUST_200600_302600_NS11hip_rocprim14__parallel_for6kernelILj256ENS1_20__uninitialized_copy7functorIPNS0_5tupleIblNS0_9null_typeES7_S7_S7_S7_S7_S7_S7_EENS0_7pointerIS8_NS1_3tagENS0_11use_defaultESC_EEEEmLj1EEEvT0_T1_SG_
	.p2align	8
	.type	_ZN6thrust23THRUST_200600_302600_NS11hip_rocprim14__parallel_for6kernelILj256ENS1_20__uninitialized_copy7functorIPNS0_5tupleIblNS0_9null_typeES7_S7_S7_S7_S7_S7_S7_EENS0_7pointerIS8_NS1_3tagENS0_11use_defaultESC_EEEEmLj1EEEvT0_T1_SG_,@function
_ZN6thrust23THRUST_200600_302600_NS11hip_rocprim14__parallel_for6kernelILj256ENS1_20__uninitialized_copy7functorIPNS0_5tupleIblNS0_9null_typeES7_S7_S7_S7_S7_S7_S7_EENS0_7pointerIS8_NS1_3tagENS0_11use_defaultESC_EEEEmLj1EEEvT0_T1_SG_: ; @_ZN6thrust23THRUST_200600_302600_NS11hip_rocprim14__parallel_for6kernelILj256ENS1_20__uninitialized_copy7functorIPNS0_5tupleIblNS0_9null_typeES7_S7_S7_S7_S7_S7_S7_EENS0_7pointerIS8_NS1_3tagENS0_11use_defaultESC_EEEEmLj1EEEvT0_T1_SG_
; %bb.0:
	s_load_dwordx8 s[8:15], s[4:5], 0x0
	s_lshl_b32 s0, s6, 8
	v_mov_b32_e32 v2, 0x100
	v_mov_b32_e32 v3, 0
	s_waitcnt lgkmcnt(0)
	s_add_u32 s4, s0, s14
	s_addc_u32 s5, 0, s15
	s_sub_u32 s2, s12, s4
	s_subb_u32 s3, s13, s5
	v_cmp_lt_u64_e32 vcc, s[2:3], v[2:3]
	s_mov_b64 s[0:1], -1
	s_cbranch_vccnz .LBB1209_3
; %bb.1:
	s_andn2_b64 vcc, exec, s[0:1]
	s_cbranch_vccz .LBB1209_6
.LBB1209_2:
	s_endpgm
.LBB1209_3:
	v_cmp_gt_u32_e32 vcc, s2, v0
	s_and_saveexec_b64 s[0:1], vcc
	s_cbranch_execz .LBB1209_5
; %bb.4:
	v_mov_b32_e32 v1, s5
	v_add_co_u32_e32 v2, vcc, s4, v0
	v_addc_co_u32_e32 v3, vcc, 0, v1, vcc
	v_lshlrev_b64 v[6:7], 4, v[2:3]
	v_mov_b32_e32 v1, s9
	v_add_co_u32_e32 v2, vcc, s8, v6
	v_addc_co_u32_e32 v3, vcc, v1, v7, vcc
	global_load_dwordx4 v[2:5], v[2:3], off
	v_mov_b32_e32 v1, s11
	v_add_co_u32_e32 v6, vcc, s10, v6
	v_addc_co_u32_e32 v7, vcc, v1, v7, vcc
	s_waitcnt vmcnt(0)
	flat_store_dwordx4 v[6:7], v[2:5]
.LBB1209_5:
	s_or_b64 exec, exec, s[0:1]
	s_cbranch_execnz .LBB1209_2
.LBB1209_6:
	v_mov_b32_e32 v1, s5
	v_add_co_u32_e32 v0, vcc, s4, v0
	v_addc_co_u32_e32 v1, vcc, 0, v1, vcc
	v_lshlrev_b64 v[4:5], 4, v[0:1]
	v_mov_b32_e32 v1, s9
	v_add_co_u32_e32 v0, vcc, s8, v4
	v_addc_co_u32_e32 v1, vcc, v1, v5, vcc
	global_load_dwordx4 v[0:3], v[0:1], off
	v_mov_b32_e32 v6, s11
	v_add_co_u32_e32 v4, vcc, s10, v4
	v_addc_co_u32_e32 v5, vcc, v6, v5, vcc
	s_waitcnt vmcnt(0)
	flat_store_dwordx4 v[4:5], v[0:3]
	s_endpgm
	.section	.rodata,"a",@progbits
	.p2align	6, 0x0
	.amdhsa_kernel _ZN6thrust23THRUST_200600_302600_NS11hip_rocprim14__parallel_for6kernelILj256ENS1_20__uninitialized_copy7functorIPNS0_5tupleIblNS0_9null_typeES7_S7_S7_S7_S7_S7_S7_EENS0_7pointerIS8_NS1_3tagENS0_11use_defaultESC_EEEEmLj1EEEvT0_T1_SG_
		.amdhsa_group_segment_fixed_size 0
		.amdhsa_private_segment_fixed_size 0
		.amdhsa_kernarg_size 32
		.amdhsa_user_sgpr_count 6
		.amdhsa_user_sgpr_private_segment_buffer 1
		.amdhsa_user_sgpr_dispatch_ptr 0
		.amdhsa_user_sgpr_queue_ptr 0
		.amdhsa_user_sgpr_kernarg_segment_ptr 1
		.amdhsa_user_sgpr_dispatch_id 0
		.amdhsa_user_sgpr_flat_scratch_init 0
		.amdhsa_user_sgpr_kernarg_preload_length 0
		.amdhsa_user_sgpr_kernarg_preload_offset 0
		.amdhsa_user_sgpr_private_segment_size 0
		.amdhsa_uses_dynamic_stack 0
		.amdhsa_system_sgpr_private_segment_wavefront_offset 0
		.amdhsa_system_sgpr_workgroup_id_x 1
		.amdhsa_system_sgpr_workgroup_id_y 0
		.amdhsa_system_sgpr_workgroup_id_z 0
		.amdhsa_system_sgpr_workgroup_info 0
		.amdhsa_system_vgpr_workitem_id 0
		.amdhsa_next_free_vgpr 8
		.amdhsa_next_free_sgpr 16
		.amdhsa_accum_offset 8
		.amdhsa_reserve_vcc 1
		.amdhsa_reserve_flat_scratch 0
		.amdhsa_float_round_mode_32 0
		.amdhsa_float_round_mode_16_64 0
		.amdhsa_float_denorm_mode_32 3
		.amdhsa_float_denorm_mode_16_64 3
		.amdhsa_dx10_clamp 1
		.amdhsa_ieee_mode 1
		.amdhsa_fp16_overflow 0
		.amdhsa_tg_split 0
		.amdhsa_exception_fp_ieee_invalid_op 0
		.amdhsa_exception_fp_denorm_src 0
		.amdhsa_exception_fp_ieee_div_zero 0
		.amdhsa_exception_fp_ieee_overflow 0
		.amdhsa_exception_fp_ieee_underflow 0
		.amdhsa_exception_fp_ieee_inexact 0
		.amdhsa_exception_int_div_zero 0
	.end_amdhsa_kernel
	.section	.text._ZN6thrust23THRUST_200600_302600_NS11hip_rocprim14__parallel_for6kernelILj256ENS1_20__uninitialized_copy7functorIPNS0_5tupleIblNS0_9null_typeES7_S7_S7_S7_S7_S7_S7_EENS0_7pointerIS8_NS1_3tagENS0_11use_defaultESC_EEEEmLj1EEEvT0_T1_SG_,"axG",@progbits,_ZN6thrust23THRUST_200600_302600_NS11hip_rocprim14__parallel_for6kernelILj256ENS1_20__uninitialized_copy7functorIPNS0_5tupleIblNS0_9null_typeES7_S7_S7_S7_S7_S7_S7_EENS0_7pointerIS8_NS1_3tagENS0_11use_defaultESC_EEEEmLj1EEEvT0_T1_SG_,comdat
.Lfunc_end1209:
	.size	_ZN6thrust23THRUST_200600_302600_NS11hip_rocprim14__parallel_for6kernelILj256ENS1_20__uninitialized_copy7functorIPNS0_5tupleIblNS0_9null_typeES7_S7_S7_S7_S7_S7_S7_EENS0_7pointerIS8_NS1_3tagENS0_11use_defaultESC_EEEEmLj1EEEvT0_T1_SG_, .Lfunc_end1209-_ZN6thrust23THRUST_200600_302600_NS11hip_rocprim14__parallel_for6kernelILj256ENS1_20__uninitialized_copy7functorIPNS0_5tupleIblNS0_9null_typeES7_S7_S7_S7_S7_S7_S7_EENS0_7pointerIS8_NS1_3tagENS0_11use_defaultESC_EEEEmLj1EEEvT0_T1_SG_
                                        ; -- End function
	.section	.AMDGPU.csdata,"",@progbits
; Kernel info:
; codeLenInByte = 220
; NumSgprs: 20
; NumVgprs: 8
; NumAgprs: 0
; TotalNumVgprs: 8
; ScratchSize: 0
; MemoryBound: 0
; FloatMode: 240
; IeeeMode: 1
; LDSByteSize: 0 bytes/workgroup (compile time only)
; SGPRBlocks: 2
; VGPRBlocks: 0
; NumSGPRsForWavesPerEU: 20
; NumVGPRsForWavesPerEU: 8
; AccumOffset: 8
; Occupancy: 8
; WaveLimiterHint : 0
; COMPUTE_PGM_RSRC2:SCRATCH_EN: 0
; COMPUTE_PGM_RSRC2:USER_SGPR: 6
; COMPUTE_PGM_RSRC2:TRAP_HANDLER: 0
; COMPUTE_PGM_RSRC2:TGID_X_EN: 1
; COMPUTE_PGM_RSRC2:TGID_Y_EN: 0
; COMPUTE_PGM_RSRC2:TGID_Z_EN: 0
; COMPUTE_PGM_RSRC2:TIDIG_COMP_CNT: 0
; COMPUTE_PGM_RSRC3_GFX90A:ACCUM_OFFSET: 1
; COMPUTE_PGM_RSRC3_GFX90A:TG_SPLIT: 0
	.text
	.p2alignl 6, 3212836864
	.fill 256, 4, 3212836864
	.type	__hip_cuid_bcd1df43673bbbba,@object ; @__hip_cuid_bcd1df43673bbbba
	.section	.bss,"aw",@nobits
	.globl	__hip_cuid_bcd1df43673bbbba
__hip_cuid_bcd1df43673bbbba:
	.byte	0                               ; 0x0
	.size	__hip_cuid_bcd1df43673bbbba, 1

	.ident	"AMD clang version 19.0.0git (https://github.com/RadeonOpenCompute/llvm-project roc-6.4.0 25133 c7fe45cf4b819c5991fe208aaa96edf142730f1d)"
	.section	".note.GNU-stack","",@progbits
	.addrsig
	.addrsig_sym __hip_cuid_bcd1df43673bbbba
	.amdgpu_metadata
---
amdhsa.kernels:
  - .agpr_count:     0
    .args:
      - .offset:         0
        .size:           4
        .value_kind:     by_value
      - .address_space:  global
        .offset:         8
        .size:           8
        .value_kind:     global_buffer
      - .address_space:  global
        .offset:         16
        .size:           8
        .value_kind:     global_buffer
      - .address_space:  global
        .offset:         24
        .size:           8
        .value_kind:     global_buffer
      - .address_space:  global
        .offset:         32
        .size:           8
        .value_kind:     global_buffer
      - .address_space:  global
        .offset:         40
        .size:           8
        .value_kind:     global_buffer
    .group_segment_fixed_size: 0
    .kernarg_segment_align: 8
    .kernarg_segment_size: 48
    .language:       OpenCL C
    .language_version:
      - 2
      - 0
    .max_flat_workgroup_size: 256
    .name:           _Z17ReduceByKeyKerneliPiS_S_S_S_
    .private_segment_fixed_size: 0
    .sgpr_count:     28
    .sgpr_spill_count: 0
    .symbol:         _Z17ReduceByKeyKerneliPiS_S_S_S_.kd
    .uniform_work_group_size: 1
    .uses_dynamic_stack: false
    .vgpr_count:     8
    .vgpr_spill_count: 0
    .wavefront_size: 64
  - .agpr_count:     0
    .args:
      - .offset:         0
        .size:           16
        .value_kind:     by_value
      - .offset:         16
        .size:           8
        .value_kind:     by_value
      - .offset:         24
        .size:           8
        .value_kind:     by_value
    .group_segment_fixed_size: 0
    .kernarg_segment_align: 8
    .kernarg_segment_size: 32
    .language:       OpenCL C
    .language_version:
      - 2
      - 0
    .max_flat_workgroup_size: 256
    .name:           _ZN6thrust23THRUST_200600_302600_NS11hip_rocprim14__parallel_for6kernelILj256ENS1_20__uninitialized_fill7functorINS0_10device_ptrIdEEdEEmLj1EEEvT0_T1_SA_
    .private_segment_fixed_size: 0
    .sgpr_count:     20
    .sgpr_spill_count: 0
    .symbol:         _ZN6thrust23THRUST_200600_302600_NS11hip_rocprim14__parallel_for6kernelILj256ENS1_20__uninitialized_fill7functorINS0_10device_ptrIdEEdEEmLj1EEEvT0_T1_SA_.kd
    .uniform_work_group_size: 1
    .uses_dynamic_stack: false
    .vgpr_count:     5
    .vgpr_spill_count: 0
    .wavefront_size: 64
  - .agpr_count:     0
    .args:
      - .offset:         0
        .size:           48
        .value_kind:     by_value
    .group_segment_fixed_size: 0
    .kernarg_segment_align: 8
    .kernarg_segment_size: 48
    .language:       OpenCL C
    .language_version:
      - 2
      - 0
    .max_flat_workgroup_size: 128
    .name:           _ZN7rocprim17ROCPRIM_400000_NS6detail17trampoline_kernelINS0_14default_configENS1_25transform_config_selectorImLb0EEEZNS1_14transform_implILb0ES3_S5_NS0_17constant_iteratorImlEEPmNS0_8identityImEEEE10hipError_tT2_T3_mT4_P12ihipStream_tbEUlT_E_NS1_11comp_targetILNS1_3genE0ELNS1_11target_archE4294967295ELNS1_3gpuE0ELNS1_3repE0EEENS1_30default_config_static_selectorELNS0_4arch9wavefront6targetE1EEEvT1_
    .private_segment_fixed_size: 0
    .sgpr_count:     4
    .sgpr_spill_count: 0
    .symbol:         _ZN7rocprim17ROCPRIM_400000_NS6detail17trampoline_kernelINS0_14default_configENS1_25transform_config_selectorImLb0EEEZNS1_14transform_implILb0ES3_S5_NS0_17constant_iteratorImlEEPmNS0_8identityImEEEE10hipError_tT2_T3_mT4_P12ihipStream_tbEUlT_E_NS1_11comp_targetILNS1_3genE0ELNS1_11target_archE4294967295ELNS1_3gpuE0ELNS1_3repE0EEENS1_30default_config_static_selectorELNS0_4arch9wavefront6targetE1EEEvT1_.kd
    .uniform_work_group_size: 1
    .uses_dynamic_stack: false
    .vgpr_count:     0
    .vgpr_spill_count: 0
    .wavefront_size: 64
  - .agpr_count:     0
    .args:
      - .offset:         0
        .size:           48
        .value_kind:     by_value
    .group_segment_fixed_size: 0
    .kernarg_segment_align: 8
    .kernarg_segment_size: 48
    .language:       OpenCL C
    .language_version:
      - 2
      - 0
    .max_flat_workgroup_size: 512
    .name:           _ZN7rocprim17ROCPRIM_400000_NS6detail17trampoline_kernelINS0_14default_configENS1_25transform_config_selectorImLb0EEEZNS1_14transform_implILb0ES3_S5_NS0_17constant_iteratorImlEEPmNS0_8identityImEEEE10hipError_tT2_T3_mT4_P12ihipStream_tbEUlT_E_NS1_11comp_targetILNS1_3genE5ELNS1_11target_archE942ELNS1_3gpuE9ELNS1_3repE0EEENS1_30default_config_static_selectorELNS0_4arch9wavefront6targetE1EEEvT1_
    .private_segment_fixed_size: 0
    .sgpr_count:     4
    .sgpr_spill_count: 0
    .symbol:         _ZN7rocprim17ROCPRIM_400000_NS6detail17trampoline_kernelINS0_14default_configENS1_25transform_config_selectorImLb0EEEZNS1_14transform_implILb0ES3_S5_NS0_17constant_iteratorImlEEPmNS0_8identityImEEEE10hipError_tT2_T3_mT4_P12ihipStream_tbEUlT_E_NS1_11comp_targetILNS1_3genE5ELNS1_11target_archE942ELNS1_3gpuE9ELNS1_3repE0EEENS1_30default_config_static_selectorELNS0_4arch9wavefront6targetE1EEEvT1_.kd
    .uniform_work_group_size: 1
    .uses_dynamic_stack: false
    .vgpr_count:     0
    .vgpr_spill_count: 0
    .wavefront_size: 64
  - .agpr_count:     0
    .args:
      - .offset:         0
        .size:           48
        .value_kind:     by_value
      - .offset:         48
        .size:           4
        .value_kind:     hidden_block_count_x
      - .offset:         52
        .size:           4
        .value_kind:     hidden_block_count_y
      - .offset:         56
        .size:           4
        .value_kind:     hidden_block_count_z
      - .offset:         60
        .size:           2
        .value_kind:     hidden_group_size_x
      - .offset:         62
        .size:           2
        .value_kind:     hidden_group_size_y
      - .offset:         64
        .size:           2
        .value_kind:     hidden_group_size_z
      - .offset:         66
        .size:           2
        .value_kind:     hidden_remainder_x
      - .offset:         68
        .size:           2
        .value_kind:     hidden_remainder_y
      - .offset:         70
        .size:           2
        .value_kind:     hidden_remainder_z
      - .offset:         88
        .size:           8
        .value_kind:     hidden_global_offset_x
      - .offset:         96
        .size:           8
        .value_kind:     hidden_global_offset_y
      - .offset:         104
        .size:           8
        .value_kind:     hidden_global_offset_z
      - .offset:         112
        .size:           2
        .value_kind:     hidden_grid_dims
    .group_segment_fixed_size: 0
    .kernarg_segment_align: 8
    .kernarg_segment_size: 304
    .language:       OpenCL C
    .language_version:
      - 2
      - 0
    .max_flat_workgroup_size: 256
    .name:           _ZN7rocprim17ROCPRIM_400000_NS6detail17trampoline_kernelINS0_14default_configENS1_25transform_config_selectorImLb0EEEZNS1_14transform_implILb0ES3_S5_NS0_17constant_iteratorImlEEPmNS0_8identityImEEEE10hipError_tT2_T3_mT4_P12ihipStream_tbEUlT_E_NS1_11comp_targetILNS1_3genE4ELNS1_11target_archE910ELNS1_3gpuE8ELNS1_3repE0EEENS1_30default_config_static_selectorELNS0_4arch9wavefront6targetE1EEEvT1_
    .private_segment_fixed_size: 0
    .sgpr_count:     18
    .sgpr_spill_count: 0
    .symbol:         _ZN7rocprim17ROCPRIM_400000_NS6detail17trampoline_kernelINS0_14default_configENS1_25transform_config_selectorImLb0EEEZNS1_14transform_implILb0ES3_S5_NS0_17constant_iteratorImlEEPmNS0_8identityImEEEE10hipError_tT2_T3_mT4_P12ihipStream_tbEUlT_E_NS1_11comp_targetILNS1_3genE4ELNS1_11target_archE910ELNS1_3gpuE8ELNS1_3repE0EEENS1_30default_config_static_selectorELNS0_4arch9wavefront6targetE1EEEvT1_.kd
    .uniform_work_group_size: 1
    .uses_dynamic_stack: false
    .vgpr_count:     9
    .vgpr_spill_count: 0
    .wavefront_size: 64
  - .agpr_count:     0
    .args:
      - .offset:         0
        .size:           48
        .value_kind:     by_value
    .group_segment_fixed_size: 0
    .kernarg_segment_align: 8
    .kernarg_segment_size: 48
    .language:       OpenCL C
    .language_version:
      - 2
      - 0
    .max_flat_workgroup_size: 128
    .name:           _ZN7rocprim17ROCPRIM_400000_NS6detail17trampoline_kernelINS0_14default_configENS1_25transform_config_selectorImLb0EEEZNS1_14transform_implILb0ES3_S5_NS0_17constant_iteratorImlEEPmNS0_8identityImEEEE10hipError_tT2_T3_mT4_P12ihipStream_tbEUlT_E_NS1_11comp_targetILNS1_3genE3ELNS1_11target_archE908ELNS1_3gpuE7ELNS1_3repE0EEENS1_30default_config_static_selectorELNS0_4arch9wavefront6targetE1EEEvT1_
    .private_segment_fixed_size: 0
    .sgpr_count:     4
    .sgpr_spill_count: 0
    .symbol:         _ZN7rocprim17ROCPRIM_400000_NS6detail17trampoline_kernelINS0_14default_configENS1_25transform_config_selectorImLb0EEEZNS1_14transform_implILb0ES3_S5_NS0_17constant_iteratorImlEEPmNS0_8identityImEEEE10hipError_tT2_T3_mT4_P12ihipStream_tbEUlT_E_NS1_11comp_targetILNS1_3genE3ELNS1_11target_archE908ELNS1_3gpuE7ELNS1_3repE0EEENS1_30default_config_static_selectorELNS0_4arch9wavefront6targetE1EEEvT1_.kd
    .uniform_work_group_size: 1
    .uses_dynamic_stack: false
    .vgpr_count:     0
    .vgpr_spill_count: 0
    .wavefront_size: 64
  - .agpr_count:     0
    .args:
      - .offset:         0
        .size:           48
        .value_kind:     by_value
    .group_segment_fixed_size: 0
    .kernarg_segment_align: 8
    .kernarg_segment_size: 48
    .language:       OpenCL C
    .language_version:
      - 2
      - 0
    .max_flat_workgroup_size: 512
    .name:           _ZN7rocprim17ROCPRIM_400000_NS6detail17trampoline_kernelINS0_14default_configENS1_25transform_config_selectorImLb0EEEZNS1_14transform_implILb0ES3_S5_NS0_17constant_iteratorImlEEPmNS0_8identityImEEEE10hipError_tT2_T3_mT4_P12ihipStream_tbEUlT_E_NS1_11comp_targetILNS1_3genE2ELNS1_11target_archE906ELNS1_3gpuE6ELNS1_3repE0EEENS1_30default_config_static_selectorELNS0_4arch9wavefront6targetE1EEEvT1_
    .private_segment_fixed_size: 0
    .sgpr_count:     4
    .sgpr_spill_count: 0
    .symbol:         _ZN7rocprim17ROCPRIM_400000_NS6detail17trampoline_kernelINS0_14default_configENS1_25transform_config_selectorImLb0EEEZNS1_14transform_implILb0ES3_S5_NS0_17constant_iteratorImlEEPmNS0_8identityImEEEE10hipError_tT2_T3_mT4_P12ihipStream_tbEUlT_E_NS1_11comp_targetILNS1_3genE2ELNS1_11target_archE906ELNS1_3gpuE6ELNS1_3repE0EEENS1_30default_config_static_selectorELNS0_4arch9wavefront6targetE1EEEvT1_.kd
    .uniform_work_group_size: 1
    .uses_dynamic_stack: false
    .vgpr_count:     0
    .vgpr_spill_count: 0
    .wavefront_size: 64
  - .agpr_count:     0
    .args:
      - .offset:         0
        .size:           48
        .value_kind:     by_value
    .group_segment_fixed_size: 0
    .kernarg_segment_align: 8
    .kernarg_segment_size: 48
    .language:       OpenCL C
    .language_version:
      - 2
      - 0
    .max_flat_workgroup_size: 1024
    .name:           _ZN7rocprim17ROCPRIM_400000_NS6detail17trampoline_kernelINS0_14default_configENS1_25transform_config_selectorImLb0EEEZNS1_14transform_implILb0ES3_S5_NS0_17constant_iteratorImlEEPmNS0_8identityImEEEE10hipError_tT2_T3_mT4_P12ihipStream_tbEUlT_E_NS1_11comp_targetILNS1_3genE10ELNS1_11target_archE1201ELNS1_3gpuE5ELNS1_3repE0EEENS1_30default_config_static_selectorELNS0_4arch9wavefront6targetE1EEEvT1_
    .private_segment_fixed_size: 0
    .sgpr_count:     4
    .sgpr_spill_count: 0
    .symbol:         _ZN7rocprim17ROCPRIM_400000_NS6detail17trampoline_kernelINS0_14default_configENS1_25transform_config_selectorImLb0EEEZNS1_14transform_implILb0ES3_S5_NS0_17constant_iteratorImlEEPmNS0_8identityImEEEE10hipError_tT2_T3_mT4_P12ihipStream_tbEUlT_E_NS1_11comp_targetILNS1_3genE10ELNS1_11target_archE1201ELNS1_3gpuE5ELNS1_3repE0EEENS1_30default_config_static_selectorELNS0_4arch9wavefront6targetE1EEEvT1_.kd
    .uniform_work_group_size: 1
    .uses_dynamic_stack: false
    .vgpr_count:     0
    .vgpr_spill_count: 0
    .wavefront_size: 64
  - .agpr_count:     0
    .args:
      - .offset:         0
        .size:           48
        .value_kind:     by_value
    .group_segment_fixed_size: 0
    .kernarg_segment_align: 8
    .kernarg_segment_size: 48
    .language:       OpenCL C
    .language_version:
      - 2
      - 0
    .max_flat_workgroup_size: 512
    .name:           _ZN7rocprim17ROCPRIM_400000_NS6detail17trampoline_kernelINS0_14default_configENS1_25transform_config_selectorImLb0EEEZNS1_14transform_implILb0ES3_S5_NS0_17constant_iteratorImlEEPmNS0_8identityImEEEE10hipError_tT2_T3_mT4_P12ihipStream_tbEUlT_E_NS1_11comp_targetILNS1_3genE10ELNS1_11target_archE1200ELNS1_3gpuE4ELNS1_3repE0EEENS1_30default_config_static_selectorELNS0_4arch9wavefront6targetE1EEEvT1_
    .private_segment_fixed_size: 0
    .sgpr_count:     4
    .sgpr_spill_count: 0
    .symbol:         _ZN7rocprim17ROCPRIM_400000_NS6detail17trampoline_kernelINS0_14default_configENS1_25transform_config_selectorImLb0EEEZNS1_14transform_implILb0ES3_S5_NS0_17constant_iteratorImlEEPmNS0_8identityImEEEE10hipError_tT2_T3_mT4_P12ihipStream_tbEUlT_E_NS1_11comp_targetILNS1_3genE10ELNS1_11target_archE1200ELNS1_3gpuE4ELNS1_3repE0EEENS1_30default_config_static_selectorELNS0_4arch9wavefront6targetE1EEEvT1_.kd
    .uniform_work_group_size: 1
    .uses_dynamic_stack: false
    .vgpr_count:     0
    .vgpr_spill_count: 0
    .wavefront_size: 64
  - .agpr_count:     0
    .args:
      - .offset:         0
        .size:           48
        .value_kind:     by_value
    .group_segment_fixed_size: 0
    .kernarg_segment_align: 8
    .kernarg_segment_size: 48
    .language:       OpenCL C
    .language_version:
      - 2
      - 0
    .max_flat_workgroup_size: 512
    .name:           _ZN7rocprim17ROCPRIM_400000_NS6detail17trampoline_kernelINS0_14default_configENS1_25transform_config_selectorImLb0EEEZNS1_14transform_implILb0ES3_S5_NS0_17constant_iteratorImlEEPmNS0_8identityImEEEE10hipError_tT2_T3_mT4_P12ihipStream_tbEUlT_E_NS1_11comp_targetILNS1_3genE9ELNS1_11target_archE1100ELNS1_3gpuE3ELNS1_3repE0EEENS1_30default_config_static_selectorELNS0_4arch9wavefront6targetE1EEEvT1_
    .private_segment_fixed_size: 0
    .sgpr_count:     4
    .sgpr_spill_count: 0
    .symbol:         _ZN7rocprim17ROCPRIM_400000_NS6detail17trampoline_kernelINS0_14default_configENS1_25transform_config_selectorImLb0EEEZNS1_14transform_implILb0ES3_S5_NS0_17constant_iteratorImlEEPmNS0_8identityImEEEE10hipError_tT2_T3_mT4_P12ihipStream_tbEUlT_E_NS1_11comp_targetILNS1_3genE9ELNS1_11target_archE1100ELNS1_3gpuE3ELNS1_3repE0EEENS1_30default_config_static_selectorELNS0_4arch9wavefront6targetE1EEEvT1_.kd
    .uniform_work_group_size: 1
    .uses_dynamic_stack: false
    .vgpr_count:     0
    .vgpr_spill_count: 0
    .wavefront_size: 64
  - .agpr_count:     0
    .args:
      - .offset:         0
        .size:           48
        .value_kind:     by_value
    .group_segment_fixed_size: 0
    .kernarg_segment_align: 8
    .kernarg_segment_size: 48
    .language:       OpenCL C
    .language_version:
      - 2
      - 0
    .max_flat_workgroup_size: 512
    .name:           _ZN7rocprim17ROCPRIM_400000_NS6detail17trampoline_kernelINS0_14default_configENS1_25transform_config_selectorImLb0EEEZNS1_14transform_implILb0ES3_S5_NS0_17constant_iteratorImlEEPmNS0_8identityImEEEE10hipError_tT2_T3_mT4_P12ihipStream_tbEUlT_E_NS1_11comp_targetILNS1_3genE8ELNS1_11target_archE1030ELNS1_3gpuE2ELNS1_3repE0EEENS1_30default_config_static_selectorELNS0_4arch9wavefront6targetE1EEEvT1_
    .private_segment_fixed_size: 0
    .sgpr_count:     4
    .sgpr_spill_count: 0
    .symbol:         _ZN7rocprim17ROCPRIM_400000_NS6detail17trampoline_kernelINS0_14default_configENS1_25transform_config_selectorImLb0EEEZNS1_14transform_implILb0ES3_S5_NS0_17constant_iteratorImlEEPmNS0_8identityImEEEE10hipError_tT2_T3_mT4_P12ihipStream_tbEUlT_E_NS1_11comp_targetILNS1_3genE8ELNS1_11target_archE1030ELNS1_3gpuE2ELNS1_3repE0EEENS1_30default_config_static_selectorELNS0_4arch9wavefront6targetE1EEEvT1_.kd
    .uniform_work_group_size: 1
    .uses_dynamic_stack: false
    .vgpr_count:     0
    .vgpr_spill_count: 0
    .wavefront_size: 64
  - .agpr_count:     0
    .args:
      - .offset:         0
        .size:           24
        .value_kind:     by_value
      - .offset:         24
        .size:           4
        .value_kind:     by_value
      - .offset:         28
        .size:           1
        .value_kind:     by_value
      - .offset:         32
        .size:           4
        .value_kind:     by_value
      - .address_space:  global
        .offset:         40
        .size:           8
        .value_kind:     global_buffer
      - .address_space:  global
        .offset:         48
        .size:           8
        .value_kind:     global_buffer
      - .offset:         56
        .size:           1
        .value_kind:     by_value
      - .offset:         64
        .size:           4
        .value_kind:     hidden_block_count_x
      - .offset:         68
        .size:           4
        .value_kind:     hidden_block_count_y
      - .offset:         72
        .size:           4
        .value_kind:     hidden_block_count_z
      - .offset:         76
        .size:           2
        .value_kind:     hidden_group_size_x
      - .offset:         78
        .size:           2
        .value_kind:     hidden_group_size_y
      - .offset:         80
        .size:           2
        .value_kind:     hidden_group_size_z
      - .offset:         82
        .size:           2
        .value_kind:     hidden_remainder_x
      - .offset:         84
        .size:           2
        .value_kind:     hidden_remainder_y
      - .offset:         86
        .size:           2
        .value_kind:     hidden_remainder_z
      - .offset:         104
        .size:           8
        .value_kind:     hidden_global_offset_x
      - .offset:         112
        .size:           8
        .value_kind:     hidden_global_offset_y
      - .offset:         120
        .size:           8
        .value_kind:     hidden_global_offset_z
      - .offset:         128
        .size:           2
        .value_kind:     hidden_grid_dims
    .group_segment_fixed_size: 0
    .kernarg_segment_align: 8
    .kernarg_segment_size: 320
    .language:       OpenCL C
    .language_version:
      - 2
      - 0
    .max_flat_workgroup_size: 256
    .name:           _ZN7rocprim17ROCPRIM_400000_NS6detail25reduce_by_key_init_kernelINS1_19lookback_scan_stateINS0_5tupleIJjdEEELb0ELb0EEEdNS1_16block_id_wrapperIjLb0EEEEEvT_jbjPmPT0_T1_
    .private_segment_fixed_size: 0
    .sgpr_count:     22
    .sgpr_spill_count: 0
    .symbol:         _ZN7rocprim17ROCPRIM_400000_NS6detail25reduce_by_key_init_kernelINS1_19lookback_scan_stateINS0_5tupleIJjdEEELb0ELb0EEEdNS1_16block_id_wrapperIjLb0EEEEEvT_jbjPmPT0_T1_.kd
    .uniform_work_group_size: 1
    .uses_dynamic_stack: false
    .vgpr_count:     7
    .vgpr_spill_count: 0
    .wavefront_size: 64
  - .agpr_count:     0
    .args:
      - .offset:         0
        .size:           136
        .value_kind:     by_value
    .group_segment_fixed_size: 0
    .kernarg_segment_align: 8
    .kernarg_segment_size: 136
    .language:       OpenCL C
    .language_version:
      - 2
      - 0
    .max_flat_workgroup_size: 256
    .name:           _ZN7rocprim17ROCPRIM_400000_NS6detail17trampoline_kernelINS0_14default_configENS1_29reduce_by_key_config_selectorIddN6thrust23THRUST_200600_302600_NS4plusIdEEEEZZNS1_33reduce_by_key_impl_wrapped_configILNS1_25lookback_scan_determinismE0ES3_S9_NS6_6detail15normal_iteratorINS6_10device_ptrIdEEEESG_SG_SG_PmS8_NS6_8equal_toIdEEEE10hipError_tPvRmT2_T3_mT4_T5_T6_T7_T8_P12ihipStream_tbENKUlT_T0_E_clISt17integral_constantIbLb0EES11_EEDaSW_SX_EUlSW_E_NS1_11comp_targetILNS1_3genE0ELNS1_11target_archE4294967295ELNS1_3gpuE0ELNS1_3repE0EEENS1_30default_config_static_selectorELNS0_4arch9wavefront6targetE1EEEvT1_
    .private_segment_fixed_size: 0
    .sgpr_count:     4
    .sgpr_spill_count: 0
    .symbol:         _ZN7rocprim17ROCPRIM_400000_NS6detail17trampoline_kernelINS0_14default_configENS1_29reduce_by_key_config_selectorIddN6thrust23THRUST_200600_302600_NS4plusIdEEEEZZNS1_33reduce_by_key_impl_wrapped_configILNS1_25lookback_scan_determinismE0ES3_S9_NS6_6detail15normal_iteratorINS6_10device_ptrIdEEEESG_SG_SG_PmS8_NS6_8equal_toIdEEEE10hipError_tPvRmT2_T3_mT4_T5_T6_T7_T8_P12ihipStream_tbENKUlT_T0_E_clISt17integral_constantIbLb0EES11_EEDaSW_SX_EUlSW_E_NS1_11comp_targetILNS1_3genE0ELNS1_11target_archE4294967295ELNS1_3gpuE0ELNS1_3repE0EEENS1_30default_config_static_selectorELNS0_4arch9wavefront6targetE1EEEvT1_.kd
    .uniform_work_group_size: 1
    .uses_dynamic_stack: false
    .vgpr_count:     0
    .vgpr_spill_count: 0
    .wavefront_size: 64
  - .agpr_count:     0
    .args:
      - .offset:         0
        .size:           136
        .value_kind:     by_value
    .group_segment_fixed_size: 0
    .kernarg_segment_align: 8
    .kernarg_segment_size: 136
    .language:       OpenCL C
    .language_version:
      - 2
      - 0
    .max_flat_workgroup_size: 256
    .name:           _ZN7rocprim17ROCPRIM_400000_NS6detail17trampoline_kernelINS0_14default_configENS1_29reduce_by_key_config_selectorIddN6thrust23THRUST_200600_302600_NS4plusIdEEEEZZNS1_33reduce_by_key_impl_wrapped_configILNS1_25lookback_scan_determinismE0ES3_S9_NS6_6detail15normal_iteratorINS6_10device_ptrIdEEEESG_SG_SG_PmS8_NS6_8equal_toIdEEEE10hipError_tPvRmT2_T3_mT4_T5_T6_T7_T8_P12ihipStream_tbENKUlT_T0_E_clISt17integral_constantIbLb0EES11_EEDaSW_SX_EUlSW_E_NS1_11comp_targetILNS1_3genE5ELNS1_11target_archE942ELNS1_3gpuE9ELNS1_3repE0EEENS1_30default_config_static_selectorELNS0_4arch9wavefront6targetE1EEEvT1_
    .private_segment_fixed_size: 0
    .sgpr_count:     4
    .sgpr_spill_count: 0
    .symbol:         _ZN7rocprim17ROCPRIM_400000_NS6detail17trampoline_kernelINS0_14default_configENS1_29reduce_by_key_config_selectorIddN6thrust23THRUST_200600_302600_NS4plusIdEEEEZZNS1_33reduce_by_key_impl_wrapped_configILNS1_25lookback_scan_determinismE0ES3_S9_NS6_6detail15normal_iteratorINS6_10device_ptrIdEEEESG_SG_SG_PmS8_NS6_8equal_toIdEEEE10hipError_tPvRmT2_T3_mT4_T5_T6_T7_T8_P12ihipStream_tbENKUlT_T0_E_clISt17integral_constantIbLb0EES11_EEDaSW_SX_EUlSW_E_NS1_11comp_targetILNS1_3genE5ELNS1_11target_archE942ELNS1_3gpuE9ELNS1_3repE0EEENS1_30default_config_static_selectorELNS0_4arch9wavefront6targetE1EEEvT1_.kd
    .uniform_work_group_size: 1
    .uses_dynamic_stack: false
    .vgpr_count:     0
    .vgpr_spill_count: 0
    .wavefront_size: 64
  - .agpr_count:     0
    .args:
      - .offset:         0
        .size:           136
        .value_kind:     by_value
    .group_segment_fixed_size: 30720
    .kernarg_segment_align: 8
    .kernarg_segment_size: 136
    .language:       OpenCL C
    .language_version:
      - 2
      - 0
    .max_flat_workgroup_size: 256
    .name:           _ZN7rocprim17ROCPRIM_400000_NS6detail17trampoline_kernelINS0_14default_configENS1_29reduce_by_key_config_selectorIddN6thrust23THRUST_200600_302600_NS4plusIdEEEEZZNS1_33reduce_by_key_impl_wrapped_configILNS1_25lookback_scan_determinismE0ES3_S9_NS6_6detail15normal_iteratorINS6_10device_ptrIdEEEESG_SG_SG_PmS8_NS6_8equal_toIdEEEE10hipError_tPvRmT2_T3_mT4_T5_T6_T7_T8_P12ihipStream_tbENKUlT_T0_E_clISt17integral_constantIbLb0EES11_EEDaSW_SX_EUlSW_E_NS1_11comp_targetILNS1_3genE4ELNS1_11target_archE910ELNS1_3gpuE8ELNS1_3repE0EEENS1_30default_config_static_selectorELNS0_4arch9wavefront6targetE1EEEvT1_
    .private_segment_fixed_size: 0
    .sgpr_count:     69
    .sgpr_spill_count: 0
    .symbol:         _ZN7rocprim17ROCPRIM_400000_NS6detail17trampoline_kernelINS0_14default_configENS1_29reduce_by_key_config_selectorIddN6thrust23THRUST_200600_302600_NS4plusIdEEEEZZNS1_33reduce_by_key_impl_wrapped_configILNS1_25lookback_scan_determinismE0ES3_S9_NS6_6detail15normal_iteratorINS6_10device_ptrIdEEEESG_SG_SG_PmS8_NS6_8equal_toIdEEEE10hipError_tPvRmT2_T3_mT4_T5_T6_T7_T8_P12ihipStream_tbENKUlT_T0_E_clISt17integral_constantIbLb0EES11_EEDaSW_SX_EUlSW_E_NS1_11comp_targetILNS1_3genE4ELNS1_11target_archE910ELNS1_3gpuE8ELNS1_3repE0EEENS1_30default_config_static_selectorELNS0_4arch9wavefront6targetE1EEEvT1_.kd
    .uniform_work_group_size: 1
    .uses_dynamic_stack: false
    .vgpr_count:     120
    .vgpr_spill_count: 0
    .wavefront_size: 64
  - .agpr_count:     0
    .args:
      - .offset:         0
        .size:           136
        .value_kind:     by_value
    .group_segment_fixed_size: 0
    .kernarg_segment_align: 8
    .kernarg_segment_size: 136
    .language:       OpenCL C
    .language_version:
      - 2
      - 0
    .max_flat_workgroup_size: 256
    .name:           _ZN7rocprim17ROCPRIM_400000_NS6detail17trampoline_kernelINS0_14default_configENS1_29reduce_by_key_config_selectorIddN6thrust23THRUST_200600_302600_NS4plusIdEEEEZZNS1_33reduce_by_key_impl_wrapped_configILNS1_25lookback_scan_determinismE0ES3_S9_NS6_6detail15normal_iteratorINS6_10device_ptrIdEEEESG_SG_SG_PmS8_NS6_8equal_toIdEEEE10hipError_tPvRmT2_T3_mT4_T5_T6_T7_T8_P12ihipStream_tbENKUlT_T0_E_clISt17integral_constantIbLb0EES11_EEDaSW_SX_EUlSW_E_NS1_11comp_targetILNS1_3genE3ELNS1_11target_archE908ELNS1_3gpuE7ELNS1_3repE0EEENS1_30default_config_static_selectorELNS0_4arch9wavefront6targetE1EEEvT1_
    .private_segment_fixed_size: 0
    .sgpr_count:     4
    .sgpr_spill_count: 0
    .symbol:         _ZN7rocprim17ROCPRIM_400000_NS6detail17trampoline_kernelINS0_14default_configENS1_29reduce_by_key_config_selectorIddN6thrust23THRUST_200600_302600_NS4plusIdEEEEZZNS1_33reduce_by_key_impl_wrapped_configILNS1_25lookback_scan_determinismE0ES3_S9_NS6_6detail15normal_iteratorINS6_10device_ptrIdEEEESG_SG_SG_PmS8_NS6_8equal_toIdEEEE10hipError_tPvRmT2_T3_mT4_T5_T6_T7_T8_P12ihipStream_tbENKUlT_T0_E_clISt17integral_constantIbLb0EES11_EEDaSW_SX_EUlSW_E_NS1_11comp_targetILNS1_3genE3ELNS1_11target_archE908ELNS1_3gpuE7ELNS1_3repE0EEENS1_30default_config_static_selectorELNS0_4arch9wavefront6targetE1EEEvT1_.kd
    .uniform_work_group_size: 1
    .uses_dynamic_stack: false
    .vgpr_count:     0
    .vgpr_spill_count: 0
    .wavefront_size: 64
  - .agpr_count:     0
    .args:
      - .offset:         0
        .size:           136
        .value_kind:     by_value
    .group_segment_fixed_size: 0
    .kernarg_segment_align: 8
    .kernarg_segment_size: 136
    .language:       OpenCL C
    .language_version:
      - 2
      - 0
    .max_flat_workgroup_size: 256
    .name:           _ZN7rocprim17ROCPRIM_400000_NS6detail17trampoline_kernelINS0_14default_configENS1_29reduce_by_key_config_selectorIddN6thrust23THRUST_200600_302600_NS4plusIdEEEEZZNS1_33reduce_by_key_impl_wrapped_configILNS1_25lookback_scan_determinismE0ES3_S9_NS6_6detail15normal_iteratorINS6_10device_ptrIdEEEESG_SG_SG_PmS8_NS6_8equal_toIdEEEE10hipError_tPvRmT2_T3_mT4_T5_T6_T7_T8_P12ihipStream_tbENKUlT_T0_E_clISt17integral_constantIbLb0EES11_EEDaSW_SX_EUlSW_E_NS1_11comp_targetILNS1_3genE2ELNS1_11target_archE906ELNS1_3gpuE6ELNS1_3repE0EEENS1_30default_config_static_selectorELNS0_4arch9wavefront6targetE1EEEvT1_
    .private_segment_fixed_size: 0
    .sgpr_count:     4
    .sgpr_spill_count: 0
    .symbol:         _ZN7rocprim17ROCPRIM_400000_NS6detail17trampoline_kernelINS0_14default_configENS1_29reduce_by_key_config_selectorIddN6thrust23THRUST_200600_302600_NS4plusIdEEEEZZNS1_33reduce_by_key_impl_wrapped_configILNS1_25lookback_scan_determinismE0ES3_S9_NS6_6detail15normal_iteratorINS6_10device_ptrIdEEEESG_SG_SG_PmS8_NS6_8equal_toIdEEEE10hipError_tPvRmT2_T3_mT4_T5_T6_T7_T8_P12ihipStream_tbENKUlT_T0_E_clISt17integral_constantIbLb0EES11_EEDaSW_SX_EUlSW_E_NS1_11comp_targetILNS1_3genE2ELNS1_11target_archE906ELNS1_3gpuE6ELNS1_3repE0EEENS1_30default_config_static_selectorELNS0_4arch9wavefront6targetE1EEEvT1_.kd
    .uniform_work_group_size: 1
    .uses_dynamic_stack: false
    .vgpr_count:     0
    .vgpr_spill_count: 0
    .wavefront_size: 64
  - .agpr_count:     0
    .args:
      - .offset:         0
        .size:           136
        .value_kind:     by_value
    .group_segment_fixed_size: 0
    .kernarg_segment_align: 8
    .kernarg_segment_size: 136
    .language:       OpenCL C
    .language_version:
      - 2
      - 0
    .max_flat_workgroup_size: 256
    .name:           _ZN7rocprim17ROCPRIM_400000_NS6detail17trampoline_kernelINS0_14default_configENS1_29reduce_by_key_config_selectorIddN6thrust23THRUST_200600_302600_NS4plusIdEEEEZZNS1_33reduce_by_key_impl_wrapped_configILNS1_25lookback_scan_determinismE0ES3_S9_NS6_6detail15normal_iteratorINS6_10device_ptrIdEEEESG_SG_SG_PmS8_NS6_8equal_toIdEEEE10hipError_tPvRmT2_T3_mT4_T5_T6_T7_T8_P12ihipStream_tbENKUlT_T0_E_clISt17integral_constantIbLb0EES11_EEDaSW_SX_EUlSW_E_NS1_11comp_targetILNS1_3genE10ELNS1_11target_archE1201ELNS1_3gpuE5ELNS1_3repE0EEENS1_30default_config_static_selectorELNS0_4arch9wavefront6targetE1EEEvT1_
    .private_segment_fixed_size: 0
    .sgpr_count:     4
    .sgpr_spill_count: 0
    .symbol:         _ZN7rocprim17ROCPRIM_400000_NS6detail17trampoline_kernelINS0_14default_configENS1_29reduce_by_key_config_selectorIddN6thrust23THRUST_200600_302600_NS4plusIdEEEEZZNS1_33reduce_by_key_impl_wrapped_configILNS1_25lookback_scan_determinismE0ES3_S9_NS6_6detail15normal_iteratorINS6_10device_ptrIdEEEESG_SG_SG_PmS8_NS6_8equal_toIdEEEE10hipError_tPvRmT2_T3_mT4_T5_T6_T7_T8_P12ihipStream_tbENKUlT_T0_E_clISt17integral_constantIbLb0EES11_EEDaSW_SX_EUlSW_E_NS1_11comp_targetILNS1_3genE10ELNS1_11target_archE1201ELNS1_3gpuE5ELNS1_3repE0EEENS1_30default_config_static_selectorELNS0_4arch9wavefront6targetE1EEEvT1_.kd
    .uniform_work_group_size: 1
    .uses_dynamic_stack: false
    .vgpr_count:     0
    .vgpr_spill_count: 0
    .wavefront_size: 64
  - .agpr_count:     0
    .args:
      - .offset:         0
        .size:           136
        .value_kind:     by_value
    .group_segment_fixed_size: 0
    .kernarg_segment_align: 8
    .kernarg_segment_size: 136
    .language:       OpenCL C
    .language_version:
      - 2
      - 0
    .max_flat_workgroup_size: 256
    .name:           _ZN7rocprim17ROCPRIM_400000_NS6detail17trampoline_kernelINS0_14default_configENS1_29reduce_by_key_config_selectorIddN6thrust23THRUST_200600_302600_NS4plusIdEEEEZZNS1_33reduce_by_key_impl_wrapped_configILNS1_25lookback_scan_determinismE0ES3_S9_NS6_6detail15normal_iteratorINS6_10device_ptrIdEEEESG_SG_SG_PmS8_NS6_8equal_toIdEEEE10hipError_tPvRmT2_T3_mT4_T5_T6_T7_T8_P12ihipStream_tbENKUlT_T0_E_clISt17integral_constantIbLb0EES11_EEDaSW_SX_EUlSW_E_NS1_11comp_targetILNS1_3genE10ELNS1_11target_archE1200ELNS1_3gpuE4ELNS1_3repE0EEENS1_30default_config_static_selectorELNS0_4arch9wavefront6targetE1EEEvT1_
    .private_segment_fixed_size: 0
    .sgpr_count:     4
    .sgpr_spill_count: 0
    .symbol:         _ZN7rocprim17ROCPRIM_400000_NS6detail17trampoline_kernelINS0_14default_configENS1_29reduce_by_key_config_selectorIddN6thrust23THRUST_200600_302600_NS4plusIdEEEEZZNS1_33reduce_by_key_impl_wrapped_configILNS1_25lookback_scan_determinismE0ES3_S9_NS6_6detail15normal_iteratorINS6_10device_ptrIdEEEESG_SG_SG_PmS8_NS6_8equal_toIdEEEE10hipError_tPvRmT2_T3_mT4_T5_T6_T7_T8_P12ihipStream_tbENKUlT_T0_E_clISt17integral_constantIbLb0EES11_EEDaSW_SX_EUlSW_E_NS1_11comp_targetILNS1_3genE10ELNS1_11target_archE1200ELNS1_3gpuE4ELNS1_3repE0EEENS1_30default_config_static_selectorELNS0_4arch9wavefront6targetE1EEEvT1_.kd
    .uniform_work_group_size: 1
    .uses_dynamic_stack: false
    .vgpr_count:     0
    .vgpr_spill_count: 0
    .wavefront_size: 64
  - .agpr_count:     0
    .args:
      - .offset:         0
        .size:           136
        .value_kind:     by_value
    .group_segment_fixed_size: 0
    .kernarg_segment_align: 8
    .kernarg_segment_size: 136
    .language:       OpenCL C
    .language_version:
      - 2
      - 0
    .max_flat_workgroup_size: 256
    .name:           _ZN7rocprim17ROCPRIM_400000_NS6detail17trampoline_kernelINS0_14default_configENS1_29reduce_by_key_config_selectorIddN6thrust23THRUST_200600_302600_NS4plusIdEEEEZZNS1_33reduce_by_key_impl_wrapped_configILNS1_25lookback_scan_determinismE0ES3_S9_NS6_6detail15normal_iteratorINS6_10device_ptrIdEEEESG_SG_SG_PmS8_NS6_8equal_toIdEEEE10hipError_tPvRmT2_T3_mT4_T5_T6_T7_T8_P12ihipStream_tbENKUlT_T0_E_clISt17integral_constantIbLb0EES11_EEDaSW_SX_EUlSW_E_NS1_11comp_targetILNS1_3genE9ELNS1_11target_archE1100ELNS1_3gpuE3ELNS1_3repE0EEENS1_30default_config_static_selectorELNS0_4arch9wavefront6targetE1EEEvT1_
    .private_segment_fixed_size: 0
    .sgpr_count:     4
    .sgpr_spill_count: 0
    .symbol:         _ZN7rocprim17ROCPRIM_400000_NS6detail17trampoline_kernelINS0_14default_configENS1_29reduce_by_key_config_selectorIddN6thrust23THRUST_200600_302600_NS4plusIdEEEEZZNS1_33reduce_by_key_impl_wrapped_configILNS1_25lookback_scan_determinismE0ES3_S9_NS6_6detail15normal_iteratorINS6_10device_ptrIdEEEESG_SG_SG_PmS8_NS6_8equal_toIdEEEE10hipError_tPvRmT2_T3_mT4_T5_T6_T7_T8_P12ihipStream_tbENKUlT_T0_E_clISt17integral_constantIbLb0EES11_EEDaSW_SX_EUlSW_E_NS1_11comp_targetILNS1_3genE9ELNS1_11target_archE1100ELNS1_3gpuE3ELNS1_3repE0EEENS1_30default_config_static_selectorELNS0_4arch9wavefront6targetE1EEEvT1_.kd
    .uniform_work_group_size: 1
    .uses_dynamic_stack: false
    .vgpr_count:     0
    .vgpr_spill_count: 0
    .wavefront_size: 64
  - .agpr_count:     0
    .args:
      - .offset:         0
        .size:           136
        .value_kind:     by_value
    .group_segment_fixed_size: 0
    .kernarg_segment_align: 8
    .kernarg_segment_size: 136
    .language:       OpenCL C
    .language_version:
      - 2
      - 0
    .max_flat_workgroup_size: 256
    .name:           _ZN7rocprim17ROCPRIM_400000_NS6detail17trampoline_kernelINS0_14default_configENS1_29reduce_by_key_config_selectorIddN6thrust23THRUST_200600_302600_NS4plusIdEEEEZZNS1_33reduce_by_key_impl_wrapped_configILNS1_25lookback_scan_determinismE0ES3_S9_NS6_6detail15normal_iteratorINS6_10device_ptrIdEEEESG_SG_SG_PmS8_NS6_8equal_toIdEEEE10hipError_tPvRmT2_T3_mT4_T5_T6_T7_T8_P12ihipStream_tbENKUlT_T0_E_clISt17integral_constantIbLb0EES11_EEDaSW_SX_EUlSW_E_NS1_11comp_targetILNS1_3genE8ELNS1_11target_archE1030ELNS1_3gpuE2ELNS1_3repE0EEENS1_30default_config_static_selectorELNS0_4arch9wavefront6targetE1EEEvT1_
    .private_segment_fixed_size: 0
    .sgpr_count:     4
    .sgpr_spill_count: 0
    .symbol:         _ZN7rocprim17ROCPRIM_400000_NS6detail17trampoline_kernelINS0_14default_configENS1_29reduce_by_key_config_selectorIddN6thrust23THRUST_200600_302600_NS4plusIdEEEEZZNS1_33reduce_by_key_impl_wrapped_configILNS1_25lookback_scan_determinismE0ES3_S9_NS6_6detail15normal_iteratorINS6_10device_ptrIdEEEESG_SG_SG_PmS8_NS6_8equal_toIdEEEE10hipError_tPvRmT2_T3_mT4_T5_T6_T7_T8_P12ihipStream_tbENKUlT_T0_E_clISt17integral_constantIbLb0EES11_EEDaSW_SX_EUlSW_E_NS1_11comp_targetILNS1_3genE8ELNS1_11target_archE1030ELNS1_3gpuE2ELNS1_3repE0EEENS1_30default_config_static_selectorELNS0_4arch9wavefront6targetE1EEEvT1_.kd
    .uniform_work_group_size: 1
    .uses_dynamic_stack: false
    .vgpr_count:     0
    .vgpr_spill_count: 0
    .wavefront_size: 64
  - .agpr_count:     0
    .args:
      - .offset:         0
        .size:           24
        .value_kind:     by_value
      - .offset:         24
        .size:           4
        .value_kind:     by_value
      - .offset:         28
        .size:           1
        .value_kind:     by_value
      - .offset:         32
        .size:           4
        .value_kind:     by_value
      - .address_space:  global
        .offset:         40
        .size:           8
        .value_kind:     global_buffer
      - .address_space:  global
        .offset:         48
        .size:           8
        .value_kind:     global_buffer
      - .address_space:  global
        .offset:         56
        .size:           8
        .value_kind:     global_buffer
      - .offset:         64
        .size:           4
        .value_kind:     hidden_block_count_x
      - .offset:         68
        .size:           4
        .value_kind:     hidden_block_count_y
      - .offset:         72
        .size:           4
        .value_kind:     hidden_block_count_z
      - .offset:         76
        .size:           2
        .value_kind:     hidden_group_size_x
      - .offset:         78
        .size:           2
        .value_kind:     hidden_group_size_y
      - .offset:         80
        .size:           2
        .value_kind:     hidden_group_size_z
      - .offset:         82
        .size:           2
        .value_kind:     hidden_remainder_x
      - .offset:         84
        .size:           2
        .value_kind:     hidden_remainder_y
      - .offset:         86
        .size:           2
        .value_kind:     hidden_remainder_z
      - .offset:         104
        .size:           8
        .value_kind:     hidden_global_offset_x
      - .offset:         112
        .size:           8
        .value_kind:     hidden_global_offset_y
      - .offset:         120
        .size:           8
        .value_kind:     hidden_global_offset_z
      - .offset:         128
        .size:           2
        .value_kind:     hidden_grid_dims
    .group_segment_fixed_size: 0
    .kernarg_segment_align: 8
    .kernarg_segment_size: 320
    .language:       OpenCL C
    .language_version:
      - 2
      - 0
    .max_flat_workgroup_size: 256
    .name:           _ZN7rocprim17ROCPRIM_400000_NS6detail25reduce_by_key_init_kernelINS1_19lookback_scan_stateINS0_5tupleIJjdEEELb1ELb0EEEdNS1_16block_id_wrapperIjLb1EEEEEvT_jbjPmPT0_T1_
    .private_segment_fixed_size: 0
    .sgpr_count:     26
    .sgpr_spill_count: 0
    .symbol:         _ZN7rocprim17ROCPRIM_400000_NS6detail25reduce_by_key_init_kernelINS1_19lookback_scan_stateINS0_5tupleIJjdEEELb1ELb0EEEdNS1_16block_id_wrapperIjLb1EEEEEvT_jbjPmPT0_T1_.kd
    .uniform_work_group_size: 1
    .uses_dynamic_stack: false
    .vgpr_count:     7
    .vgpr_spill_count: 0
    .wavefront_size: 64
  - .agpr_count:     0
    .args:
      - .offset:         0
        .size:           136
        .value_kind:     by_value
    .group_segment_fixed_size: 0
    .kernarg_segment_align: 8
    .kernarg_segment_size: 136
    .language:       OpenCL C
    .language_version:
      - 2
      - 0
    .max_flat_workgroup_size: 256
    .name:           _ZN7rocprim17ROCPRIM_400000_NS6detail17trampoline_kernelINS0_14default_configENS1_29reduce_by_key_config_selectorIddN6thrust23THRUST_200600_302600_NS4plusIdEEEEZZNS1_33reduce_by_key_impl_wrapped_configILNS1_25lookback_scan_determinismE0ES3_S9_NS6_6detail15normal_iteratorINS6_10device_ptrIdEEEESG_SG_SG_PmS8_NS6_8equal_toIdEEEE10hipError_tPvRmT2_T3_mT4_T5_T6_T7_T8_P12ihipStream_tbENKUlT_T0_E_clISt17integral_constantIbLb1EES11_EEDaSW_SX_EUlSW_E_NS1_11comp_targetILNS1_3genE0ELNS1_11target_archE4294967295ELNS1_3gpuE0ELNS1_3repE0EEENS1_30default_config_static_selectorELNS0_4arch9wavefront6targetE1EEEvT1_
    .private_segment_fixed_size: 0
    .sgpr_count:     4
    .sgpr_spill_count: 0
    .symbol:         _ZN7rocprim17ROCPRIM_400000_NS6detail17trampoline_kernelINS0_14default_configENS1_29reduce_by_key_config_selectorIddN6thrust23THRUST_200600_302600_NS4plusIdEEEEZZNS1_33reduce_by_key_impl_wrapped_configILNS1_25lookback_scan_determinismE0ES3_S9_NS6_6detail15normal_iteratorINS6_10device_ptrIdEEEESG_SG_SG_PmS8_NS6_8equal_toIdEEEE10hipError_tPvRmT2_T3_mT4_T5_T6_T7_T8_P12ihipStream_tbENKUlT_T0_E_clISt17integral_constantIbLb1EES11_EEDaSW_SX_EUlSW_E_NS1_11comp_targetILNS1_3genE0ELNS1_11target_archE4294967295ELNS1_3gpuE0ELNS1_3repE0EEENS1_30default_config_static_selectorELNS0_4arch9wavefront6targetE1EEEvT1_.kd
    .uniform_work_group_size: 1
    .uses_dynamic_stack: false
    .vgpr_count:     0
    .vgpr_spill_count: 0
    .wavefront_size: 64
  - .agpr_count:     0
    .args:
      - .offset:         0
        .size:           136
        .value_kind:     by_value
    .group_segment_fixed_size: 0
    .kernarg_segment_align: 8
    .kernarg_segment_size: 136
    .language:       OpenCL C
    .language_version:
      - 2
      - 0
    .max_flat_workgroup_size: 256
    .name:           _ZN7rocprim17ROCPRIM_400000_NS6detail17trampoline_kernelINS0_14default_configENS1_29reduce_by_key_config_selectorIddN6thrust23THRUST_200600_302600_NS4plusIdEEEEZZNS1_33reduce_by_key_impl_wrapped_configILNS1_25lookback_scan_determinismE0ES3_S9_NS6_6detail15normal_iteratorINS6_10device_ptrIdEEEESG_SG_SG_PmS8_NS6_8equal_toIdEEEE10hipError_tPvRmT2_T3_mT4_T5_T6_T7_T8_P12ihipStream_tbENKUlT_T0_E_clISt17integral_constantIbLb1EES11_EEDaSW_SX_EUlSW_E_NS1_11comp_targetILNS1_3genE5ELNS1_11target_archE942ELNS1_3gpuE9ELNS1_3repE0EEENS1_30default_config_static_selectorELNS0_4arch9wavefront6targetE1EEEvT1_
    .private_segment_fixed_size: 0
    .sgpr_count:     4
    .sgpr_spill_count: 0
    .symbol:         _ZN7rocprim17ROCPRIM_400000_NS6detail17trampoline_kernelINS0_14default_configENS1_29reduce_by_key_config_selectorIddN6thrust23THRUST_200600_302600_NS4plusIdEEEEZZNS1_33reduce_by_key_impl_wrapped_configILNS1_25lookback_scan_determinismE0ES3_S9_NS6_6detail15normal_iteratorINS6_10device_ptrIdEEEESG_SG_SG_PmS8_NS6_8equal_toIdEEEE10hipError_tPvRmT2_T3_mT4_T5_T6_T7_T8_P12ihipStream_tbENKUlT_T0_E_clISt17integral_constantIbLb1EES11_EEDaSW_SX_EUlSW_E_NS1_11comp_targetILNS1_3genE5ELNS1_11target_archE942ELNS1_3gpuE9ELNS1_3repE0EEENS1_30default_config_static_selectorELNS0_4arch9wavefront6targetE1EEEvT1_.kd
    .uniform_work_group_size: 1
    .uses_dynamic_stack: false
    .vgpr_count:     0
    .vgpr_spill_count: 0
    .wavefront_size: 64
  - .agpr_count:     0
    .args:
      - .offset:         0
        .size:           136
        .value_kind:     by_value
    .group_segment_fixed_size: 30720
    .kernarg_segment_align: 8
    .kernarg_segment_size: 136
    .language:       OpenCL C
    .language_version:
      - 2
      - 0
    .max_flat_workgroup_size: 256
    .name:           _ZN7rocprim17ROCPRIM_400000_NS6detail17trampoline_kernelINS0_14default_configENS1_29reduce_by_key_config_selectorIddN6thrust23THRUST_200600_302600_NS4plusIdEEEEZZNS1_33reduce_by_key_impl_wrapped_configILNS1_25lookback_scan_determinismE0ES3_S9_NS6_6detail15normal_iteratorINS6_10device_ptrIdEEEESG_SG_SG_PmS8_NS6_8equal_toIdEEEE10hipError_tPvRmT2_T3_mT4_T5_T6_T7_T8_P12ihipStream_tbENKUlT_T0_E_clISt17integral_constantIbLb1EES11_EEDaSW_SX_EUlSW_E_NS1_11comp_targetILNS1_3genE4ELNS1_11target_archE910ELNS1_3gpuE8ELNS1_3repE0EEENS1_30default_config_static_selectorELNS0_4arch9wavefront6targetE1EEEvT1_
    .private_segment_fixed_size: 0
    .sgpr_count:     70
    .sgpr_spill_count: 0
    .symbol:         _ZN7rocprim17ROCPRIM_400000_NS6detail17trampoline_kernelINS0_14default_configENS1_29reduce_by_key_config_selectorIddN6thrust23THRUST_200600_302600_NS4plusIdEEEEZZNS1_33reduce_by_key_impl_wrapped_configILNS1_25lookback_scan_determinismE0ES3_S9_NS6_6detail15normal_iteratorINS6_10device_ptrIdEEEESG_SG_SG_PmS8_NS6_8equal_toIdEEEE10hipError_tPvRmT2_T3_mT4_T5_T6_T7_T8_P12ihipStream_tbENKUlT_T0_E_clISt17integral_constantIbLb1EES11_EEDaSW_SX_EUlSW_E_NS1_11comp_targetILNS1_3genE4ELNS1_11target_archE910ELNS1_3gpuE8ELNS1_3repE0EEENS1_30default_config_static_selectorELNS0_4arch9wavefront6targetE1EEEvT1_.kd
    .uniform_work_group_size: 1
    .uses_dynamic_stack: false
    .vgpr_count:     120
    .vgpr_spill_count: 0
    .wavefront_size: 64
  - .agpr_count:     0
    .args:
      - .offset:         0
        .size:           136
        .value_kind:     by_value
    .group_segment_fixed_size: 0
    .kernarg_segment_align: 8
    .kernarg_segment_size: 136
    .language:       OpenCL C
    .language_version:
      - 2
      - 0
    .max_flat_workgroup_size: 256
    .name:           _ZN7rocprim17ROCPRIM_400000_NS6detail17trampoline_kernelINS0_14default_configENS1_29reduce_by_key_config_selectorIddN6thrust23THRUST_200600_302600_NS4plusIdEEEEZZNS1_33reduce_by_key_impl_wrapped_configILNS1_25lookback_scan_determinismE0ES3_S9_NS6_6detail15normal_iteratorINS6_10device_ptrIdEEEESG_SG_SG_PmS8_NS6_8equal_toIdEEEE10hipError_tPvRmT2_T3_mT4_T5_T6_T7_T8_P12ihipStream_tbENKUlT_T0_E_clISt17integral_constantIbLb1EES11_EEDaSW_SX_EUlSW_E_NS1_11comp_targetILNS1_3genE3ELNS1_11target_archE908ELNS1_3gpuE7ELNS1_3repE0EEENS1_30default_config_static_selectorELNS0_4arch9wavefront6targetE1EEEvT1_
    .private_segment_fixed_size: 0
    .sgpr_count:     4
    .sgpr_spill_count: 0
    .symbol:         _ZN7rocprim17ROCPRIM_400000_NS6detail17trampoline_kernelINS0_14default_configENS1_29reduce_by_key_config_selectorIddN6thrust23THRUST_200600_302600_NS4plusIdEEEEZZNS1_33reduce_by_key_impl_wrapped_configILNS1_25lookback_scan_determinismE0ES3_S9_NS6_6detail15normal_iteratorINS6_10device_ptrIdEEEESG_SG_SG_PmS8_NS6_8equal_toIdEEEE10hipError_tPvRmT2_T3_mT4_T5_T6_T7_T8_P12ihipStream_tbENKUlT_T0_E_clISt17integral_constantIbLb1EES11_EEDaSW_SX_EUlSW_E_NS1_11comp_targetILNS1_3genE3ELNS1_11target_archE908ELNS1_3gpuE7ELNS1_3repE0EEENS1_30default_config_static_selectorELNS0_4arch9wavefront6targetE1EEEvT1_.kd
    .uniform_work_group_size: 1
    .uses_dynamic_stack: false
    .vgpr_count:     0
    .vgpr_spill_count: 0
    .wavefront_size: 64
  - .agpr_count:     0
    .args:
      - .offset:         0
        .size:           136
        .value_kind:     by_value
    .group_segment_fixed_size: 0
    .kernarg_segment_align: 8
    .kernarg_segment_size: 136
    .language:       OpenCL C
    .language_version:
      - 2
      - 0
    .max_flat_workgroup_size: 256
    .name:           _ZN7rocprim17ROCPRIM_400000_NS6detail17trampoline_kernelINS0_14default_configENS1_29reduce_by_key_config_selectorIddN6thrust23THRUST_200600_302600_NS4plusIdEEEEZZNS1_33reduce_by_key_impl_wrapped_configILNS1_25lookback_scan_determinismE0ES3_S9_NS6_6detail15normal_iteratorINS6_10device_ptrIdEEEESG_SG_SG_PmS8_NS6_8equal_toIdEEEE10hipError_tPvRmT2_T3_mT4_T5_T6_T7_T8_P12ihipStream_tbENKUlT_T0_E_clISt17integral_constantIbLb1EES11_EEDaSW_SX_EUlSW_E_NS1_11comp_targetILNS1_3genE2ELNS1_11target_archE906ELNS1_3gpuE6ELNS1_3repE0EEENS1_30default_config_static_selectorELNS0_4arch9wavefront6targetE1EEEvT1_
    .private_segment_fixed_size: 0
    .sgpr_count:     4
    .sgpr_spill_count: 0
    .symbol:         _ZN7rocprim17ROCPRIM_400000_NS6detail17trampoline_kernelINS0_14default_configENS1_29reduce_by_key_config_selectorIddN6thrust23THRUST_200600_302600_NS4plusIdEEEEZZNS1_33reduce_by_key_impl_wrapped_configILNS1_25lookback_scan_determinismE0ES3_S9_NS6_6detail15normal_iteratorINS6_10device_ptrIdEEEESG_SG_SG_PmS8_NS6_8equal_toIdEEEE10hipError_tPvRmT2_T3_mT4_T5_T6_T7_T8_P12ihipStream_tbENKUlT_T0_E_clISt17integral_constantIbLb1EES11_EEDaSW_SX_EUlSW_E_NS1_11comp_targetILNS1_3genE2ELNS1_11target_archE906ELNS1_3gpuE6ELNS1_3repE0EEENS1_30default_config_static_selectorELNS0_4arch9wavefront6targetE1EEEvT1_.kd
    .uniform_work_group_size: 1
    .uses_dynamic_stack: false
    .vgpr_count:     0
    .vgpr_spill_count: 0
    .wavefront_size: 64
  - .agpr_count:     0
    .args:
      - .offset:         0
        .size:           136
        .value_kind:     by_value
    .group_segment_fixed_size: 0
    .kernarg_segment_align: 8
    .kernarg_segment_size: 136
    .language:       OpenCL C
    .language_version:
      - 2
      - 0
    .max_flat_workgroup_size: 256
    .name:           _ZN7rocprim17ROCPRIM_400000_NS6detail17trampoline_kernelINS0_14default_configENS1_29reduce_by_key_config_selectorIddN6thrust23THRUST_200600_302600_NS4plusIdEEEEZZNS1_33reduce_by_key_impl_wrapped_configILNS1_25lookback_scan_determinismE0ES3_S9_NS6_6detail15normal_iteratorINS6_10device_ptrIdEEEESG_SG_SG_PmS8_NS6_8equal_toIdEEEE10hipError_tPvRmT2_T3_mT4_T5_T6_T7_T8_P12ihipStream_tbENKUlT_T0_E_clISt17integral_constantIbLb1EES11_EEDaSW_SX_EUlSW_E_NS1_11comp_targetILNS1_3genE10ELNS1_11target_archE1201ELNS1_3gpuE5ELNS1_3repE0EEENS1_30default_config_static_selectorELNS0_4arch9wavefront6targetE1EEEvT1_
    .private_segment_fixed_size: 0
    .sgpr_count:     4
    .sgpr_spill_count: 0
    .symbol:         _ZN7rocprim17ROCPRIM_400000_NS6detail17trampoline_kernelINS0_14default_configENS1_29reduce_by_key_config_selectorIddN6thrust23THRUST_200600_302600_NS4plusIdEEEEZZNS1_33reduce_by_key_impl_wrapped_configILNS1_25lookback_scan_determinismE0ES3_S9_NS6_6detail15normal_iteratorINS6_10device_ptrIdEEEESG_SG_SG_PmS8_NS6_8equal_toIdEEEE10hipError_tPvRmT2_T3_mT4_T5_T6_T7_T8_P12ihipStream_tbENKUlT_T0_E_clISt17integral_constantIbLb1EES11_EEDaSW_SX_EUlSW_E_NS1_11comp_targetILNS1_3genE10ELNS1_11target_archE1201ELNS1_3gpuE5ELNS1_3repE0EEENS1_30default_config_static_selectorELNS0_4arch9wavefront6targetE1EEEvT1_.kd
    .uniform_work_group_size: 1
    .uses_dynamic_stack: false
    .vgpr_count:     0
    .vgpr_spill_count: 0
    .wavefront_size: 64
  - .agpr_count:     0
    .args:
      - .offset:         0
        .size:           136
        .value_kind:     by_value
    .group_segment_fixed_size: 0
    .kernarg_segment_align: 8
    .kernarg_segment_size: 136
    .language:       OpenCL C
    .language_version:
      - 2
      - 0
    .max_flat_workgroup_size: 256
    .name:           _ZN7rocprim17ROCPRIM_400000_NS6detail17trampoline_kernelINS0_14default_configENS1_29reduce_by_key_config_selectorIddN6thrust23THRUST_200600_302600_NS4plusIdEEEEZZNS1_33reduce_by_key_impl_wrapped_configILNS1_25lookback_scan_determinismE0ES3_S9_NS6_6detail15normal_iteratorINS6_10device_ptrIdEEEESG_SG_SG_PmS8_NS6_8equal_toIdEEEE10hipError_tPvRmT2_T3_mT4_T5_T6_T7_T8_P12ihipStream_tbENKUlT_T0_E_clISt17integral_constantIbLb1EES11_EEDaSW_SX_EUlSW_E_NS1_11comp_targetILNS1_3genE10ELNS1_11target_archE1200ELNS1_3gpuE4ELNS1_3repE0EEENS1_30default_config_static_selectorELNS0_4arch9wavefront6targetE1EEEvT1_
    .private_segment_fixed_size: 0
    .sgpr_count:     4
    .sgpr_spill_count: 0
    .symbol:         _ZN7rocprim17ROCPRIM_400000_NS6detail17trampoline_kernelINS0_14default_configENS1_29reduce_by_key_config_selectorIddN6thrust23THRUST_200600_302600_NS4plusIdEEEEZZNS1_33reduce_by_key_impl_wrapped_configILNS1_25lookback_scan_determinismE0ES3_S9_NS6_6detail15normal_iteratorINS6_10device_ptrIdEEEESG_SG_SG_PmS8_NS6_8equal_toIdEEEE10hipError_tPvRmT2_T3_mT4_T5_T6_T7_T8_P12ihipStream_tbENKUlT_T0_E_clISt17integral_constantIbLb1EES11_EEDaSW_SX_EUlSW_E_NS1_11comp_targetILNS1_3genE10ELNS1_11target_archE1200ELNS1_3gpuE4ELNS1_3repE0EEENS1_30default_config_static_selectorELNS0_4arch9wavefront6targetE1EEEvT1_.kd
    .uniform_work_group_size: 1
    .uses_dynamic_stack: false
    .vgpr_count:     0
    .vgpr_spill_count: 0
    .wavefront_size: 64
  - .agpr_count:     0
    .args:
      - .offset:         0
        .size:           136
        .value_kind:     by_value
    .group_segment_fixed_size: 0
    .kernarg_segment_align: 8
    .kernarg_segment_size: 136
    .language:       OpenCL C
    .language_version:
      - 2
      - 0
    .max_flat_workgroup_size: 256
    .name:           _ZN7rocprim17ROCPRIM_400000_NS6detail17trampoline_kernelINS0_14default_configENS1_29reduce_by_key_config_selectorIddN6thrust23THRUST_200600_302600_NS4plusIdEEEEZZNS1_33reduce_by_key_impl_wrapped_configILNS1_25lookback_scan_determinismE0ES3_S9_NS6_6detail15normal_iteratorINS6_10device_ptrIdEEEESG_SG_SG_PmS8_NS6_8equal_toIdEEEE10hipError_tPvRmT2_T3_mT4_T5_T6_T7_T8_P12ihipStream_tbENKUlT_T0_E_clISt17integral_constantIbLb1EES11_EEDaSW_SX_EUlSW_E_NS1_11comp_targetILNS1_3genE9ELNS1_11target_archE1100ELNS1_3gpuE3ELNS1_3repE0EEENS1_30default_config_static_selectorELNS0_4arch9wavefront6targetE1EEEvT1_
    .private_segment_fixed_size: 0
    .sgpr_count:     4
    .sgpr_spill_count: 0
    .symbol:         _ZN7rocprim17ROCPRIM_400000_NS6detail17trampoline_kernelINS0_14default_configENS1_29reduce_by_key_config_selectorIddN6thrust23THRUST_200600_302600_NS4plusIdEEEEZZNS1_33reduce_by_key_impl_wrapped_configILNS1_25lookback_scan_determinismE0ES3_S9_NS6_6detail15normal_iteratorINS6_10device_ptrIdEEEESG_SG_SG_PmS8_NS6_8equal_toIdEEEE10hipError_tPvRmT2_T3_mT4_T5_T6_T7_T8_P12ihipStream_tbENKUlT_T0_E_clISt17integral_constantIbLb1EES11_EEDaSW_SX_EUlSW_E_NS1_11comp_targetILNS1_3genE9ELNS1_11target_archE1100ELNS1_3gpuE3ELNS1_3repE0EEENS1_30default_config_static_selectorELNS0_4arch9wavefront6targetE1EEEvT1_.kd
    .uniform_work_group_size: 1
    .uses_dynamic_stack: false
    .vgpr_count:     0
    .vgpr_spill_count: 0
    .wavefront_size: 64
  - .agpr_count:     0
    .args:
      - .offset:         0
        .size:           136
        .value_kind:     by_value
    .group_segment_fixed_size: 0
    .kernarg_segment_align: 8
    .kernarg_segment_size: 136
    .language:       OpenCL C
    .language_version:
      - 2
      - 0
    .max_flat_workgroup_size: 256
    .name:           _ZN7rocprim17ROCPRIM_400000_NS6detail17trampoline_kernelINS0_14default_configENS1_29reduce_by_key_config_selectorIddN6thrust23THRUST_200600_302600_NS4plusIdEEEEZZNS1_33reduce_by_key_impl_wrapped_configILNS1_25lookback_scan_determinismE0ES3_S9_NS6_6detail15normal_iteratorINS6_10device_ptrIdEEEESG_SG_SG_PmS8_NS6_8equal_toIdEEEE10hipError_tPvRmT2_T3_mT4_T5_T6_T7_T8_P12ihipStream_tbENKUlT_T0_E_clISt17integral_constantIbLb1EES11_EEDaSW_SX_EUlSW_E_NS1_11comp_targetILNS1_3genE8ELNS1_11target_archE1030ELNS1_3gpuE2ELNS1_3repE0EEENS1_30default_config_static_selectorELNS0_4arch9wavefront6targetE1EEEvT1_
    .private_segment_fixed_size: 0
    .sgpr_count:     4
    .sgpr_spill_count: 0
    .symbol:         _ZN7rocprim17ROCPRIM_400000_NS6detail17trampoline_kernelINS0_14default_configENS1_29reduce_by_key_config_selectorIddN6thrust23THRUST_200600_302600_NS4plusIdEEEEZZNS1_33reduce_by_key_impl_wrapped_configILNS1_25lookback_scan_determinismE0ES3_S9_NS6_6detail15normal_iteratorINS6_10device_ptrIdEEEESG_SG_SG_PmS8_NS6_8equal_toIdEEEE10hipError_tPvRmT2_T3_mT4_T5_T6_T7_T8_P12ihipStream_tbENKUlT_T0_E_clISt17integral_constantIbLb1EES11_EEDaSW_SX_EUlSW_E_NS1_11comp_targetILNS1_3genE8ELNS1_11target_archE1030ELNS1_3gpuE2ELNS1_3repE0EEENS1_30default_config_static_selectorELNS0_4arch9wavefront6targetE1EEEvT1_.kd
    .uniform_work_group_size: 1
    .uses_dynamic_stack: false
    .vgpr_count:     0
    .vgpr_spill_count: 0
    .wavefront_size: 64
  - .agpr_count:     0
    .args:
      - .offset:         0
        .size:           24
        .value_kind:     by_value
      - .offset:         24
        .size:           4
        .value_kind:     by_value
      - .offset:         28
        .size:           1
        .value_kind:     by_value
      - .offset:         32
        .size:           4
        .value_kind:     by_value
      - .address_space:  global
        .offset:         40
        .size:           8
        .value_kind:     global_buffer
      - .address_space:  global
        .offset:         48
        .size:           8
        .value_kind:     global_buffer
      - .offset:         56
        .size:           1
        .value_kind:     by_value
      - .offset:         64
        .size:           4
        .value_kind:     hidden_block_count_x
      - .offset:         68
        .size:           4
        .value_kind:     hidden_block_count_y
      - .offset:         72
        .size:           4
        .value_kind:     hidden_block_count_z
      - .offset:         76
        .size:           2
        .value_kind:     hidden_group_size_x
      - .offset:         78
        .size:           2
        .value_kind:     hidden_group_size_y
      - .offset:         80
        .size:           2
        .value_kind:     hidden_group_size_z
      - .offset:         82
        .size:           2
        .value_kind:     hidden_remainder_x
      - .offset:         84
        .size:           2
        .value_kind:     hidden_remainder_y
      - .offset:         86
        .size:           2
        .value_kind:     hidden_remainder_z
      - .offset:         104
        .size:           8
        .value_kind:     hidden_global_offset_x
      - .offset:         112
        .size:           8
        .value_kind:     hidden_global_offset_y
      - .offset:         120
        .size:           8
        .value_kind:     hidden_global_offset_z
      - .offset:         128
        .size:           2
        .value_kind:     hidden_grid_dims
    .group_segment_fixed_size: 0
    .kernarg_segment_align: 8
    .kernarg_segment_size: 320
    .language:       OpenCL C
    .language_version:
      - 2
      - 0
    .max_flat_workgroup_size: 256
    .name:           _ZN7rocprim17ROCPRIM_400000_NS6detail25reduce_by_key_init_kernelINS1_19lookback_scan_stateINS0_5tupleIJjdEEELb1ELb0EEEdNS1_16block_id_wrapperIjLb0EEEEEvT_jbjPmPT0_T1_
    .private_segment_fixed_size: 0
    .sgpr_count:     24
    .sgpr_spill_count: 0
    .symbol:         _ZN7rocprim17ROCPRIM_400000_NS6detail25reduce_by_key_init_kernelINS1_19lookback_scan_stateINS0_5tupleIJjdEEELb1ELb0EEEdNS1_16block_id_wrapperIjLb0EEEEEvT_jbjPmPT0_T1_.kd
    .uniform_work_group_size: 1
    .uses_dynamic_stack: false
    .vgpr_count:     7
    .vgpr_spill_count: 0
    .wavefront_size: 64
  - .agpr_count:     0
    .args:
      - .offset:         0
        .size:           136
        .value_kind:     by_value
    .group_segment_fixed_size: 0
    .kernarg_segment_align: 8
    .kernarg_segment_size: 136
    .language:       OpenCL C
    .language_version:
      - 2
      - 0
    .max_flat_workgroup_size: 256
    .name:           _ZN7rocprim17ROCPRIM_400000_NS6detail17trampoline_kernelINS0_14default_configENS1_29reduce_by_key_config_selectorIddN6thrust23THRUST_200600_302600_NS4plusIdEEEEZZNS1_33reduce_by_key_impl_wrapped_configILNS1_25lookback_scan_determinismE0ES3_S9_NS6_6detail15normal_iteratorINS6_10device_ptrIdEEEESG_SG_SG_PmS8_NS6_8equal_toIdEEEE10hipError_tPvRmT2_T3_mT4_T5_T6_T7_T8_P12ihipStream_tbENKUlT_T0_E_clISt17integral_constantIbLb1EES10_IbLb0EEEEDaSW_SX_EUlSW_E_NS1_11comp_targetILNS1_3genE0ELNS1_11target_archE4294967295ELNS1_3gpuE0ELNS1_3repE0EEENS1_30default_config_static_selectorELNS0_4arch9wavefront6targetE1EEEvT1_
    .private_segment_fixed_size: 0
    .sgpr_count:     4
    .sgpr_spill_count: 0
    .symbol:         _ZN7rocprim17ROCPRIM_400000_NS6detail17trampoline_kernelINS0_14default_configENS1_29reduce_by_key_config_selectorIddN6thrust23THRUST_200600_302600_NS4plusIdEEEEZZNS1_33reduce_by_key_impl_wrapped_configILNS1_25lookback_scan_determinismE0ES3_S9_NS6_6detail15normal_iteratorINS6_10device_ptrIdEEEESG_SG_SG_PmS8_NS6_8equal_toIdEEEE10hipError_tPvRmT2_T3_mT4_T5_T6_T7_T8_P12ihipStream_tbENKUlT_T0_E_clISt17integral_constantIbLb1EES10_IbLb0EEEEDaSW_SX_EUlSW_E_NS1_11comp_targetILNS1_3genE0ELNS1_11target_archE4294967295ELNS1_3gpuE0ELNS1_3repE0EEENS1_30default_config_static_selectorELNS0_4arch9wavefront6targetE1EEEvT1_.kd
    .uniform_work_group_size: 1
    .uses_dynamic_stack: false
    .vgpr_count:     0
    .vgpr_spill_count: 0
    .wavefront_size: 64
  - .agpr_count:     0
    .args:
      - .offset:         0
        .size:           136
        .value_kind:     by_value
    .group_segment_fixed_size: 0
    .kernarg_segment_align: 8
    .kernarg_segment_size: 136
    .language:       OpenCL C
    .language_version:
      - 2
      - 0
    .max_flat_workgroup_size: 256
    .name:           _ZN7rocprim17ROCPRIM_400000_NS6detail17trampoline_kernelINS0_14default_configENS1_29reduce_by_key_config_selectorIddN6thrust23THRUST_200600_302600_NS4plusIdEEEEZZNS1_33reduce_by_key_impl_wrapped_configILNS1_25lookback_scan_determinismE0ES3_S9_NS6_6detail15normal_iteratorINS6_10device_ptrIdEEEESG_SG_SG_PmS8_NS6_8equal_toIdEEEE10hipError_tPvRmT2_T3_mT4_T5_T6_T7_T8_P12ihipStream_tbENKUlT_T0_E_clISt17integral_constantIbLb1EES10_IbLb0EEEEDaSW_SX_EUlSW_E_NS1_11comp_targetILNS1_3genE5ELNS1_11target_archE942ELNS1_3gpuE9ELNS1_3repE0EEENS1_30default_config_static_selectorELNS0_4arch9wavefront6targetE1EEEvT1_
    .private_segment_fixed_size: 0
    .sgpr_count:     4
    .sgpr_spill_count: 0
    .symbol:         _ZN7rocprim17ROCPRIM_400000_NS6detail17trampoline_kernelINS0_14default_configENS1_29reduce_by_key_config_selectorIddN6thrust23THRUST_200600_302600_NS4plusIdEEEEZZNS1_33reduce_by_key_impl_wrapped_configILNS1_25lookback_scan_determinismE0ES3_S9_NS6_6detail15normal_iteratorINS6_10device_ptrIdEEEESG_SG_SG_PmS8_NS6_8equal_toIdEEEE10hipError_tPvRmT2_T3_mT4_T5_T6_T7_T8_P12ihipStream_tbENKUlT_T0_E_clISt17integral_constantIbLb1EES10_IbLb0EEEEDaSW_SX_EUlSW_E_NS1_11comp_targetILNS1_3genE5ELNS1_11target_archE942ELNS1_3gpuE9ELNS1_3repE0EEENS1_30default_config_static_selectorELNS0_4arch9wavefront6targetE1EEEvT1_.kd
    .uniform_work_group_size: 1
    .uses_dynamic_stack: false
    .vgpr_count:     0
    .vgpr_spill_count: 0
    .wavefront_size: 64
  - .agpr_count:     0
    .args:
      - .offset:         0
        .size:           136
        .value_kind:     by_value
    .group_segment_fixed_size: 30720
    .kernarg_segment_align: 8
    .kernarg_segment_size: 136
    .language:       OpenCL C
    .language_version:
      - 2
      - 0
    .max_flat_workgroup_size: 256
    .name:           _ZN7rocprim17ROCPRIM_400000_NS6detail17trampoline_kernelINS0_14default_configENS1_29reduce_by_key_config_selectorIddN6thrust23THRUST_200600_302600_NS4plusIdEEEEZZNS1_33reduce_by_key_impl_wrapped_configILNS1_25lookback_scan_determinismE0ES3_S9_NS6_6detail15normal_iteratorINS6_10device_ptrIdEEEESG_SG_SG_PmS8_NS6_8equal_toIdEEEE10hipError_tPvRmT2_T3_mT4_T5_T6_T7_T8_P12ihipStream_tbENKUlT_T0_E_clISt17integral_constantIbLb1EES10_IbLb0EEEEDaSW_SX_EUlSW_E_NS1_11comp_targetILNS1_3genE4ELNS1_11target_archE910ELNS1_3gpuE8ELNS1_3repE0EEENS1_30default_config_static_selectorELNS0_4arch9wavefront6targetE1EEEvT1_
    .private_segment_fixed_size: 0
    .sgpr_count:     69
    .sgpr_spill_count: 0
    .symbol:         _ZN7rocprim17ROCPRIM_400000_NS6detail17trampoline_kernelINS0_14default_configENS1_29reduce_by_key_config_selectorIddN6thrust23THRUST_200600_302600_NS4plusIdEEEEZZNS1_33reduce_by_key_impl_wrapped_configILNS1_25lookback_scan_determinismE0ES3_S9_NS6_6detail15normal_iteratorINS6_10device_ptrIdEEEESG_SG_SG_PmS8_NS6_8equal_toIdEEEE10hipError_tPvRmT2_T3_mT4_T5_T6_T7_T8_P12ihipStream_tbENKUlT_T0_E_clISt17integral_constantIbLb1EES10_IbLb0EEEEDaSW_SX_EUlSW_E_NS1_11comp_targetILNS1_3genE4ELNS1_11target_archE910ELNS1_3gpuE8ELNS1_3repE0EEENS1_30default_config_static_selectorELNS0_4arch9wavefront6targetE1EEEvT1_.kd
    .uniform_work_group_size: 1
    .uses_dynamic_stack: false
    .vgpr_count:     120
    .vgpr_spill_count: 0
    .wavefront_size: 64
  - .agpr_count:     0
    .args:
      - .offset:         0
        .size:           136
        .value_kind:     by_value
    .group_segment_fixed_size: 0
    .kernarg_segment_align: 8
    .kernarg_segment_size: 136
    .language:       OpenCL C
    .language_version:
      - 2
      - 0
    .max_flat_workgroup_size: 256
    .name:           _ZN7rocprim17ROCPRIM_400000_NS6detail17trampoline_kernelINS0_14default_configENS1_29reduce_by_key_config_selectorIddN6thrust23THRUST_200600_302600_NS4plusIdEEEEZZNS1_33reduce_by_key_impl_wrapped_configILNS1_25lookback_scan_determinismE0ES3_S9_NS6_6detail15normal_iteratorINS6_10device_ptrIdEEEESG_SG_SG_PmS8_NS6_8equal_toIdEEEE10hipError_tPvRmT2_T3_mT4_T5_T6_T7_T8_P12ihipStream_tbENKUlT_T0_E_clISt17integral_constantIbLb1EES10_IbLb0EEEEDaSW_SX_EUlSW_E_NS1_11comp_targetILNS1_3genE3ELNS1_11target_archE908ELNS1_3gpuE7ELNS1_3repE0EEENS1_30default_config_static_selectorELNS0_4arch9wavefront6targetE1EEEvT1_
    .private_segment_fixed_size: 0
    .sgpr_count:     4
    .sgpr_spill_count: 0
    .symbol:         _ZN7rocprim17ROCPRIM_400000_NS6detail17trampoline_kernelINS0_14default_configENS1_29reduce_by_key_config_selectorIddN6thrust23THRUST_200600_302600_NS4plusIdEEEEZZNS1_33reduce_by_key_impl_wrapped_configILNS1_25lookback_scan_determinismE0ES3_S9_NS6_6detail15normal_iteratorINS6_10device_ptrIdEEEESG_SG_SG_PmS8_NS6_8equal_toIdEEEE10hipError_tPvRmT2_T3_mT4_T5_T6_T7_T8_P12ihipStream_tbENKUlT_T0_E_clISt17integral_constantIbLb1EES10_IbLb0EEEEDaSW_SX_EUlSW_E_NS1_11comp_targetILNS1_3genE3ELNS1_11target_archE908ELNS1_3gpuE7ELNS1_3repE0EEENS1_30default_config_static_selectorELNS0_4arch9wavefront6targetE1EEEvT1_.kd
    .uniform_work_group_size: 1
    .uses_dynamic_stack: false
    .vgpr_count:     0
    .vgpr_spill_count: 0
    .wavefront_size: 64
  - .agpr_count:     0
    .args:
      - .offset:         0
        .size:           136
        .value_kind:     by_value
    .group_segment_fixed_size: 0
    .kernarg_segment_align: 8
    .kernarg_segment_size: 136
    .language:       OpenCL C
    .language_version:
      - 2
      - 0
    .max_flat_workgroup_size: 256
    .name:           _ZN7rocprim17ROCPRIM_400000_NS6detail17trampoline_kernelINS0_14default_configENS1_29reduce_by_key_config_selectorIddN6thrust23THRUST_200600_302600_NS4plusIdEEEEZZNS1_33reduce_by_key_impl_wrapped_configILNS1_25lookback_scan_determinismE0ES3_S9_NS6_6detail15normal_iteratorINS6_10device_ptrIdEEEESG_SG_SG_PmS8_NS6_8equal_toIdEEEE10hipError_tPvRmT2_T3_mT4_T5_T6_T7_T8_P12ihipStream_tbENKUlT_T0_E_clISt17integral_constantIbLb1EES10_IbLb0EEEEDaSW_SX_EUlSW_E_NS1_11comp_targetILNS1_3genE2ELNS1_11target_archE906ELNS1_3gpuE6ELNS1_3repE0EEENS1_30default_config_static_selectorELNS0_4arch9wavefront6targetE1EEEvT1_
    .private_segment_fixed_size: 0
    .sgpr_count:     4
    .sgpr_spill_count: 0
    .symbol:         _ZN7rocprim17ROCPRIM_400000_NS6detail17trampoline_kernelINS0_14default_configENS1_29reduce_by_key_config_selectorIddN6thrust23THRUST_200600_302600_NS4plusIdEEEEZZNS1_33reduce_by_key_impl_wrapped_configILNS1_25lookback_scan_determinismE0ES3_S9_NS6_6detail15normal_iteratorINS6_10device_ptrIdEEEESG_SG_SG_PmS8_NS6_8equal_toIdEEEE10hipError_tPvRmT2_T3_mT4_T5_T6_T7_T8_P12ihipStream_tbENKUlT_T0_E_clISt17integral_constantIbLb1EES10_IbLb0EEEEDaSW_SX_EUlSW_E_NS1_11comp_targetILNS1_3genE2ELNS1_11target_archE906ELNS1_3gpuE6ELNS1_3repE0EEENS1_30default_config_static_selectorELNS0_4arch9wavefront6targetE1EEEvT1_.kd
    .uniform_work_group_size: 1
    .uses_dynamic_stack: false
    .vgpr_count:     0
    .vgpr_spill_count: 0
    .wavefront_size: 64
  - .agpr_count:     0
    .args:
      - .offset:         0
        .size:           136
        .value_kind:     by_value
    .group_segment_fixed_size: 0
    .kernarg_segment_align: 8
    .kernarg_segment_size: 136
    .language:       OpenCL C
    .language_version:
      - 2
      - 0
    .max_flat_workgroup_size: 256
    .name:           _ZN7rocprim17ROCPRIM_400000_NS6detail17trampoline_kernelINS0_14default_configENS1_29reduce_by_key_config_selectorIddN6thrust23THRUST_200600_302600_NS4plusIdEEEEZZNS1_33reduce_by_key_impl_wrapped_configILNS1_25lookback_scan_determinismE0ES3_S9_NS6_6detail15normal_iteratorINS6_10device_ptrIdEEEESG_SG_SG_PmS8_NS6_8equal_toIdEEEE10hipError_tPvRmT2_T3_mT4_T5_T6_T7_T8_P12ihipStream_tbENKUlT_T0_E_clISt17integral_constantIbLb1EES10_IbLb0EEEEDaSW_SX_EUlSW_E_NS1_11comp_targetILNS1_3genE10ELNS1_11target_archE1201ELNS1_3gpuE5ELNS1_3repE0EEENS1_30default_config_static_selectorELNS0_4arch9wavefront6targetE1EEEvT1_
    .private_segment_fixed_size: 0
    .sgpr_count:     4
    .sgpr_spill_count: 0
    .symbol:         _ZN7rocprim17ROCPRIM_400000_NS6detail17trampoline_kernelINS0_14default_configENS1_29reduce_by_key_config_selectorIddN6thrust23THRUST_200600_302600_NS4plusIdEEEEZZNS1_33reduce_by_key_impl_wrapped_configILNS1_25lookback_scan_determinismE0ES3_S9_NS6_6detail15normal_iteratorINS6_10device_ptrIdEEEESG_SG_SG_PmS8_NS6_8equal_toIdEEEE10hipError_tPvRmT2_T3_mT4_T5_T6_T7_T8_P12ihipStream_tbENKUlT_T0_E_clISt17integral_constantIbLb1EES10_IbLb0EEEEDaSW_SX_EUlSW_E_NS1_11comp_targetILNS1_3genE10ELNS1_11target_archE1201ELNS1_3gpuE5ELNS1_3repE0EEENS1_30default_config_static_selectorELNS0_4arch9wavefront6targetE1EEEvT1_.kd
    .uniform_work_group_size: 1
    .uses_dynamic_stack: false
    .vgpr_count:     0
    .vgpr_spill_count: 0
    .wavefront_size: 64
  - .agpr_count:     0
    .args:
      - .offset:         0
        .size:           136
        .value_kind:     by_value
    .group_segment_fixed_size: 0
    .kernarg_segment_align: 8
    .kernarg_segment_size: 136
    .language:       OpenCL C
    .language_version:
      - 2
      - 0
    .max_flat_workgroup_size: 256
    .name:           _ZN7rocprim17ROCPRIM_400000_NS6detail17trampoline_kernelINS0_14default_configENS1_29reduce_by_key_config_selectorIddN6thrust23THRUST_200600_302600_NS4plusIdEEEEZZNS1_33reduce_by_key_impl_wrapped_configILNS1_25lookback_scan_determinismE0ES3_S9_NS6_6detail15normal_iteratorINS6_10device_ptrIdEEEESG_SG_SG_PmS8_NS6_8equal_toIdEEEE10hipError_tPvRmT2_T3_mT4_T5_T6_T7_T8_P12ihipStream_tbENKUlT_T0_E_clISt17integral_constantIbLb1EES10_IbLb0EEEEDaSW_SX_EUlSW_E_NS1_11comp_targetILNS1_3genE10ELNS1_11target_archE1200ELNS1_3gpuE4ELNS1_3repE0EEENS1_30default_config_static_selectorELNS0_4arch9wavefront6targetE1EEEvT1_
    .private_segment_fixed_size: 0
    .sgpr_count:     4
    .sgpr_spill_count: 0
    .symbol:         _ZN7rocprim17ROCPRIM_400000_NS6detail17trampoline_kernelINS0_14default_configENS1_29reduce_by_key_config_selectorIddN6thrust23THRUST_200600_302600_NS4plusIdEEEEZZNS1_33reduce_by_key_impl_wrapped_configILNS1_25lookback_scan_determinismE0ES3_S9_NS6_6detail15normal_iteratorINS6_10device_ptrIdEEEESG_SG_SG_PmS8_NS6_8equal_toIdEEEE10hipError_tPvRmT2_T3_mT4_T5_T6_T7_T8_P12ihipStream_tbENKUlT_T0_E_clISt17integral_constantIbLb1EES10_IbLb0EEEEDaSW_SX_EUlSW_E_NS1_11comp_targetILNS1_3genE10ELNS1_11target_archE1200ELNS1_3gpuE4ELNS1_3repE0EEENS1_30default_config_static_selectorELNS0_4arch9wavefront6targetE1EEEvT1_.kd
    .uniform_work_group_size: 1
    .uses_dynamic_stack: false
    .vgpr_count:     0
    .vgpr_spill_count: 0
    .wavefront_size: 64
  - .agpr_count:     0
    .args:
      - .offset:         0
        .size:           136
        .value_kind:     by_value
    .group_segment_fixed_size: 0
    .kernarg_segment_align: 8
    .kernarg_segment_size: 136
    .language:       OpenCL C
    .language_version:
      - 2
      - 0
    .max_flat_workgroup_size: 256
    .name:           _ZN7rocprim17ROCPRIM_400000_NS6detail17trampoline_kernelINS0_14default_configENS1_29reduce_by_key_config_selectorIddN6thrust23THRUST_200600_302600_NS4plusIdEEEEZZNS1_33reduce_by_key_impl_wrapped_configILNS1_25lookback_scan_determinismE0ES3_S9_NS6_6detail15normal_iteratorINS6_10device_ptrIdEEEESG_SG_SG_PmS8_NS6_8equal_toIdEEEE10hipError_tPvRmT2_T3_mT4_T5_T6_T7_T8_P12ihipStream_tbENKUlT_T0_E_clISt17integral_constantIbLb1EES10_IbLb0EEEEDaSW_SX_EUlSW_E_NS1_11comp_targetILNS1_3genE9ELNS1_11target_archE1100ELNS1_3gpuE3ELNS1_3repE0EEENS1_30default_config_static_selectorELNS0_4arch9wavefront6targetE1EEEvT1_
    .private_segment_fixed_size: 0
    .sgpr_count:     4
    .sgpr_spill_count: 0
    .symbol:         _ZN7rocprim17ROCPRIM_400000_NS6detail17trampoline_kernelINS0_14default_configENS1_29reduce_by_key_config_selectorIddN6thrust23THRUST_200600_302600_NS4plusIdEEEEZZNS1_33reduce_by_key_impl_wrapped_configILNS1_25lookback_scan_determinismE0ES3_S9_NS6_6detail15normal_iteratorINS6_10device_ptrIdEEEESG_SG_SG_PmS8_NS6_8equal_toIdEEEE10hipError_tPvRmT2_T3_mT4_T5_T6_T7_T8_P12ihipStream_tbENKUlT_T0_E_clISt17integral_constantIbLb1EES10_IbLb0EEEEDaSW_SX_EUlSW_E_NS1_11comp_targetILNS1_3genE9ELNS1_11target_archE1100ELNS1_3gpuE3ELNS1_3repE0EEENS1_30default_config_static_selectorELNS0_4arch9wavefront6targetE1EEEvT1_.kd
    .uniform_work_group_size: 1
    .uses_dynamic_stack: false
    .vgpr_count:     0
    .vgpr_spill_count: 0
    .wavefront_size: 64
  - .agpr_count:     0
    .args:
      - .offset:         0
        .size:           136
        .value_kind:     by_value
    .group_segment_fixed_size: 0
    .kernarg_segment_align: 8
    .kernarg_segment_size: 136
    .language:       OpenCL C
    .language_version:
      - 2
      - 0
    .max_flat_workgroup_size: 256
    .name:           _ZN7rocprim17ROCPRIM_400000_NS6detail17trampoline_kernelINS0_14default_configENS1_29reduce_by_key_config_selectorIddN6thrust23THRUST_200600_302600_NS4plusIdEEEEZZNS1_33reduce_by_key_impl_wrapped_configILNS1_25lookback_scan_determinismE0ES3_S9_NS6_6detail15normal_iteratorINS6_10device_ptrIdEEEESG_SG_SG_PmS8_NS6_8equal_toIdEEEE10hipError_tPvRmT2_T3_mT4_T5_T6_T7_T8_P12ihipStream_tbENKUlT_T0_E_clISt17integral_constantIbLb1EES10_IbLb0EEEEDaSW_SX_EUlSW_E_NS1_11comp_targetILNS1_3genE8ELNS1_11target_archE1030ELNS1_3gpuE2ELNS1_3repE0EEENS1_30default_config_static_selectorELNS0_4arch9wavefront6targetE1EEEvT1_
    .private_segment_fixed_size: 0
    .sgpr_count:     4
    .sgpr_spill_count: 0
    .symbol:         _ZN7rocprim17ROCPRIM_400000_NS6detail17trampoline_kernelINS0_14default_configENS1_29reduce_by_key_config_selectorIddN6thrust23THRUST_200600_302600_NS4plusIdEEEEZZNS1_33reduce_by_key_impl_wrapped_configILNS1_25lookback_scan_determinismE0ES3_S9_NS6_6detail15normal_iteratorINS6_10device_ptrIdEEEESG_SG_SG_PmS8_NS6_8equal_toIdEEEE10hipError_tPvRmT2_T3_mT4_T5_T6_T7_T8_P12ihipStream_tbENKUlT_T0_E_clISt17integral_constantIbLb1EES10_IbLb0EEEEDaSW_SX_EUlSW_E_NS1_11comp_targetILNS1_3genE8ELNS1_11target_archE1030ELNS1_3gpuE2ELNS1_3repE0EEENS1_30default_config_static_selectorELNS0_4arch9wavefront6targetE1EEEvT1_.kd
    .uniform_work_group_size: 1
    .uses_dynamic_stack: false
    .vgpr_count:     0
    .vgpr_spill_count: 0
    .wavefront_size: 64
  - .agpr_count:     0
    .args:
      - .offset:         0
        .size:           24
        .value_kind:     by_value
      - .offset:         24
        .size:           4
        .value_kind:     by_value
      - .offset:         28
        .size:           1
        .value_kind:     by_value
      - .offset:         32
        .size:           4
        .value_kind:     by_value
      - .address_space:  global
        .offset:         40
        .size:           8
        .value_kind:     global_buffer
      - .address_space:  global
        .offset:         48
        .size:           8
        .value_kind:     global_buffer
      - .address_space:  global
        .offset:         56
        .size:           8
        .value_kind:     global_buffer
      - .offset:         64
        .size:           4
        .value_kind:     hidden_block_count_x
      - .offset:         68
        .size:           4
        .value_kind:     hidden_block_count_y
      - .offset:         72
        .size:           4
        .value_kind:     hidden_block_count_z
      - .offset:         76
        .size:           2
        .value_kind:     hidden_group_size_x
      - .offset:         78
        .size:           2
        .value_kind:     hidden_group_size_y
      - .offset:         80
        .size:           2
        .value_kind:     hidden_group_size_z
      - .offset:         82
        .size:           2
        .value_kind:     hidden_remainder_x
      - .offset:         84
        .size:           2
        .value_kind:     hidden_remainder_y
      - .offset:         86
        .size:           2
        .value_kind:     hidden_remainder_z
      - .offset:         104
        .size:           8
        .value_kind:     hidden_global_offset_x
      - .offset:         112
        .size:           8
        .value_kind:     hidden_global_offset_y
      - .offset:         120
        .size:           8
        .value_kind:     hidden_global_offset_z
      - .offset:         128
        .size:           2
        .value_kind:     hidden_grid_dims
    .group_segment_fixed_size: 0
    .kernarg_segment_align: 8
    .kernarg_segment_size: 320
    .language:       OpenCL C
    .language_version:
      - 2
      - 0
    .max_flat_workgroup_size: 256
    .name:           _ZN7rocprim17ROCPRIM_400000_NS6detail25reduce_by_key_init_kernelINS1_19lookback_scan_stateINS0_5tupleIJjdEEELb0ELb0EEEdNS1_16block_id_wrapperIjLb1EEEEEvT_jbjPmPT0_T1_
    .private_segment_fixed_size: 0
    .sgpr_count:     24
    .sgpr_spill_count: 0
    .symbol:         _ZN7rocprim17ROCPRIM_400000_NS6detail25reduce_by_key_init_kernelINS1_19lookback_scan_stateINS0_5tupleIJjdEEELb0ELb0EEEdNS1_16block_id_wrapperIjLb1EEEEEvT_jbjPmPT0_T1_.kd
    .uniform_work_group_size: 1
    .uses_dynamic_stack: false
    .vgpr_count:     7
    .vgpr_spill_count: 0
    .wavefront_size: 64
  - .agpr_count:     0
    .args:
      - .offset:         0
        .size:           136
        .value_kind:     by_value
    .group_segment_fixed_size: 0
    .kernarg_segment_align: 8
    .kernarg_segment_size: 136
    .language:       OpenCL C
    .language_version:
      - 2
      - 0
    .max_flat_workgroup_size: 256
    .name:           _ZN7rocprim17ROCPRIM_400000_NS6detail17trampoline_kernelINS0_14default_configENS1_29reduce_by_key_config_selectorIddN6thrust23THRUST_200600_302600_NS4plusIdEEEEZZNS1_33reduce_by_key_impl_wrapped_configILNS1_25lookback_scan_determinismE0ES3_S9_NS6_6detail15normal_iteratorINS6_10device_ptrIdEEEESG_SG_SG_PmS8_NS6_8equal_toIdEEEE10hipError_tPvRmT2_T3_mT4_T5_T6_T7_T8_P12ihipStream_tbENKUlT_T0_E_clISt17integral_constantIbLb0EES10_IbLb1EEEEDaSW_SX_EUlSW_E_NS1_11comp_targetILNS1_3genE0ELNS1_11target_archE4294967295ELNS1_3gpuE0ELNS1_3repE0EEENS1_30default_config_static_selectorELNS0_4arch9wavefront6targetE1EEEvT1_
    .private_segment_fixed_size: 0
    .sgpr_count:     4
    .sgpr_spill_count: 0
    .symbol:         _ZN7rocprim17ROCPRIM_400000_NS6detail17trampoline_kernelINS0_14default_configENS1_29reduce_by_key_config_selectorIddN6thrust23THRUST_200600_302600_NS4plusIdEEEEZZNS1_33reduce_by_key_impl_wrapped_configILNS1_25lookback_scan_determinismE0ES3_S9_NS6_6detail15normal_iteratorINS6_10device_ptrIdEEEESG_SG_SG_PmS8_NS6_8equal_toIdEEEE10hipError_tPvRmT2_T3_mT4_T5_T6_T7_T8_P12ihipStream_tbENKUlT_T0_E_clISt17integral_constantIbLb0EES10_IbLb1EEEEDaSW_SX_EUlSW_E_NS1_11comp_targetILNS1_3genE0ELNS1_11target_archE4294967295ELNS1_3gpuE0ELNS1_3repE0EEENS1_30default_config_static_selectorELNS0_4arch9wavefront6targetE1EEEvT1_.kd
    .uniform_work_group_size: 1
    .uses_dynamic_stack: false
    .vgpr_count:     0
    .vgpr_spill_count: 0
    .wavefront_size: 64
  - .agpr_count:     0
    .args:
      - .offset:         0
        .size:           136
        .value_kind:     by_value
    .group_segment_fixed_size: 0
    .kernarg_segment_align: 8
    .kernarg_segment_size: 136
    .language:       OpenCL C
    .language_version:
      - 2
      - 0
    .max_flat_workgroup_size: 256
    .name:           _ZN7rocprim17ROCPRIM_400000_NS6detail17trampoline_kernelINS0_14default_configENS1_29reduce_by_key_config_selectorIddN6thrust23THRUST_200600_302600_NS4plusIdEEEEZZNS1_33reduce_by_key_impl_wrapped_configILNS1_25lookback_scan_determinismE0ES3_S9_NS6_6detail15normal_iteratorINS6_10device_ptrIdEEEESG_SG_SG_PmS8_NS6_8equal_toIdEEEE10hipError_tPvRmT2_T3_mT4_T5_T6_T7_T8_P12ihipStream_tbENKUlT_T0_E_clISt17integral_constantIbLb0EES10_IbLb1EEEEDaSW_SX_EUlSW_E_NS1_11comp_targetILNS1_3genE5ELNS1_11target_archE942ELNS1_3gpuE9ELNS1_3repE0EEENS1_30default_config_static_selectorELNS0_4arch9wavefront6targetE1EEEvT1_
    .private_segment_fixed_size: 0
    .sgpr_count:     4
    .sgpr_spill_count: 0
    .symbol:         _ZN7rocprim17ROCPRIM_400000_NS6detail17trampoline_kernelINS0_14default_configENS1_29reduce_by_key_config_selectorIddN6thrust23THRUST_200600_302600_NS4plusIdEEEEZZNS1_33reduce_by_key_impl_wrapped_configILNS1_25lookback_scan_determinismE0ES3_S9_NS6_6detail15normal_iteratorINS6_10device_ptrIdEEEESG_SG_SG_PmS8_NS6_8equal_toIdEEEE10hipError_tPvRmT2_T3_mT4_T5_T6_T7_T8_P12ihipStream_tbENKUlT_T0_E_clISt17integral_constantIbLb0EES10_IbLb1EEEEDaSW_SX_EUlSW_E_NS1_11comp_targetILNS1_3genE5ELNS1_11target_archE942ELNS1_3gpuE9ELNS1_3repE0EEENS1_30default_config_static_selectorELNS0_4arch9wavefront6targetE1EEEvT1_.kd
    .uniform_work_group_size: 1
    .uses_dynamic_stack: false
    .vgpr_count:     0
    .vgpr_spill_count: 0
    .wavefront_size: 64
  - .agpr_count:     0
    .args:
      - .offset:         0
        .size:           136
        .value_kind:     by_value
    .group_segment_fixed_size: 30720
    .kernarg_segment_align: 8
    .kernarg_segment_size: 136
    .language:       OpenCL C
    .language_version:
      - 2
      - 0
    .max_flat_workgroup_size: 256
    .name:           _ZN7rocprim17ROCPRIM_400000_NS6detail17trampoline_kernelINS0_14default_configENS1_29reduce_by_key_config_selectorIddN6thrust23THRUST_200600_302600_NS4plusIdEEEEZZNS1_33reduce_by_key_impl_wrapped_configILNS1_25lookback_scan_determinismE0ES3_S9_NS6_6detail15normal_iteratorINS6_10device_ptrIdEEEESG_SG_SG_PmS8_NS6_8equal_toIdEEEE10hipError_tPvRmT2_T3_mT4_T5_T6_T7_T8_P12ihipStream_tbENKUlT_T0_E_clISt17integral_constantIbLb0EES10_IbLb1EEEEDaSW_SX_EUlSW_E_NS1_11comp_targetILNS1_3genE4ELNS1_11target_archE910ELNS1_3gpuE8ELNS1_3repE0EEENS1_30default_config_static_selectorELNS0_4arch9wavefront6targetE1EEEvT1_
    .private_segment_fixed_size: 0
    .sgpr_count:     70
    .sgpr_spill_count: 0
    .symbol:         _ZN7rocprim17ROCPRIM_400000_NS6detail17trampoline_kernelINS0_14default_configENS1_29reduce_by_key_config_selectorIddN6thrust23THRUST_200600_302600_NS4plusIdEEEEZZNS1_33reduce_by_key_impl_wrapped_configILNS1_25lookback_scan_determinismE0ES3_S9_NS6_6detail15normal_iteratorINS6_10device_ptrIdEEEESG_SG_SG_PmS8_NS6_8equal_toIdEEEE10hipError_tPvRmT2_T3_mT4_T5_T6_T7_T8_P12ihipStream_tbENKUlT_T0_E_clISt17integral_constantIbLb0EES10_IbLb1EEEEDaSW_SX_EUlSW_E_NS1_11comp_targetILNS1_3genE4ELNS1_11target_archE910ELNS1_3gpuE8ELNS1_3repE0EEENS1_30default_config_static_selectorELNS0_4arch9wavefront6targetE1EEEvT1_.kd
    .uniform_work_group_size: 1
    .uses_dynamic_stack: false
    .vgpr_count:     120
    .vgpr_spill_count: 0
    .wavefront_size: 64
  - .agpr_count:     0
    .args:
      - .offset:         0
        .size:           136
        .value_kind:     by_value
    .group_segment_fixed_size: 0
    .kernarg_segment_align: 8
    .kernarg_segment_size: 136
    .language:       OpenCL C
    .language_version:
      - 2
      - 0
    .max_flat_workgroup_size: 256
    .name:           _ZN7rocprim17ROCPRIM_400000_NS6detail17trampoline_kernelINS0_14default_configENS1_29reduce_by_key_config_selectorIddN6thrust23THRUST_200600_302600_NS4plusIdEEEEZZNS1_33reduce_by_key_impl_wrapped_configILNS1_25lookback_scan_determinismE0ES3_S9_NS6_6detail15normal_iteratorINS6_10device_ptrIdEEEESG_SG_SG_PmS8_NS6_8equal_toIdEEEE10hipError_tPvRmT2_T3_mT4_T5_T6_T7_T8_P12ihipStream_tbENKUlT_T0_E_clISt17integral_constantIbLb0EES10_IbLb1EEEEDaSW_SX_EUlSW_E_NS1_11comp_targetILNS1_3genE3ELNS1_11target_archE908ELNS1_3gpuE7ELNS1_3repE0EEENS1_30default_config_static_selectorELNS0_4arch9wavefront6targetE1EEEvT1_
    .private_segment_fixed_size: 0
    .sgpr_count:     4
    .sgpr_spill_count: 0
    .symbol:         _ZN7rocprim17ROCPRIM_400000_NS6detail17trampoline_kernelINS0_14default_configENS1_29reduce_by_key_config_selectorIddN6thrust23THRUST_200600_302600_NS4plusIdEEEEZZNS1_33reduce_by_key_impl_wrapped_configILNS1_25lookback_scan_determinismE0ES3_S9_NS6_6detail15normal_iteratorINS6_10device_ptrIdEEEESG_SG_SG_PmS8_NS6_8equal_toIdEEEE10hipError_tPvRmT2_T3_mT4_T5_T6_T7_T8_P12ihipStream_tbENKUlT_T0_E_clISt17integral_constantIbLb0EES10_IbLb1EEEEDaSW_SX_EUlSW_E_NS1_11comp_targetILNS1_3genE3ELNS1_11target_archE908ELNS1_3gpuE7ELNS1_3repE0EEENS1_30default_config_static_selectorELNS0_4arch9wavefront6targetE1EEEvT1_.kd
    .uniform_work_group_size: 1
    .uses_dynamic_stack: false
    .vgpr_count:     0
    .vgpr_spill_count: 0
    .wavefront_size: 64
  - .agpr_count:     0
    .args:
      - .offset:         0
        .size:           136
        .value_kind:     by_value
    .group_segment_fixed_size: 0
    .kernarg_segment_align: 8
    .kernarg_segment_size: 136
    .language:       OpenCL C
    .language_version:
      - 2
      - 0
    .max_flat_workgroup_size: 256
    .name:           _ZN7rocprim17ROCPRIM_400000_NS6detail17trampoline_kernelINS0_14default_configENS1_29reduce_by_key_config_selectorIddN6thrust23THRUST_200600_302600_NS4plusIdEEEEZZNS1_33reduce_by_key_impl_wrapped_configILNS1_25lookback_scan_determinismE0ES3_S9_NS6_6detail15normal_iteratorINS6_10device_ptrIdEEEESG_SG_SG_PmS8_NS6_8equal_toIdEEEE10hipError_tPvRmT2_T3_mT4_T5_T6_T7_T8_P12ihipStream_tbENKUlT_T0_E_clISt17integral_constantIbLb0EES10_IbLb1EEEEDaSW_SX_EUlSW_E_NS1_11comp_targetILNS1_3genE2ELNS1_11target_archE906ELNS1_3gpuE6ELNS1_3repE0EEENS1_30default_config_static_selectorELNS0_4arch9wavefront6targetE1EEEvT1_
    .private_segment_fixed_size: 0
    .sgpr_count:     4
    .sgpr_spill_count: 0
    .symbol:         _ZN7rocprim17ROCPRIM_400000_NS6detail17trampoline_kernelINS0_14default_configENS1_29reduce_by_key_config_selectorIddN6thrust23THRUST_200600_302600_NS4plusIdEEEEZZNS1_33reduce_by_key_impl_wrapped_configILNS1_25lookback_scan_determinismE0ES3_S9_NS6_6detail15normal_iteratorINS6_10device_ptrIdEEEESG_SG_SG_PmS8_NS6_8equal_toIdEEEE10hipError_tPvRmT2_T3_mT4_T5_T6_T7_T8_P12ihipStream_tbENKUlT_T0_E_clISt17integral_constantIbLb0EES10_IbLb1EEEEDaSW_SX_EUlSW_E_NS1_11comp_targetILNS1_3genE2ELNS1_11target_archE906ELNS1_3gpuE6ELNS1_3repE0EEENS1_30default_config_static_selectorELNS0_4arch9wavefront6targetE1EEEvT1_.kd
    .uniform_work_group_size: 1
    .uses_dynamic_stack: false
    .vgpr_count:     0
    .vgpr_spill_count: 0
    .wavefront_size: 64
  - .agpr_count:     0
    .args:
      - .offset:         0
        .size:           136
        .value_kind:     by_value
    .group_segment_fixed_size: 0
    .kernarg_segment_align: 8
    .kernarg_segment_size: 136
    .language:       OpenCL C
    .language_version:
      - 2
      - 0
    .max_flat_workgroup_size: 256
    .name:           _ZN7rocprim17ROCPRIM_400000_NS6detail17trampoline_kernelINS0_14default_configENS1_29reduce_by_key_config_selectorIddN6thrust23THRUST_200600_302600_NS4plusIdEEEEZZNS1_33reduce_by_key_impl_wrapped_configILNS1_25lookback_scan_determinismE0ES3_S9_NS6_6detail15normal_iteratorINS6_10device_ptrIdEEEESG_SG_SG_PmS8_NS6_8equal_toIdEEEE10hipError_tPvRmT2_T3_mT4_T5_T6_T7_T8_P12ihipStream_tbENKUlT_T0_E_clISt17integral_constantIbLb0EES10_IbLb1EEEEDaSW_SX_EUlSW_E_NS1_11comp_targetILNS1_3genE10ELNS1_11target_archE1201ELNS1_3gpuE5ELNS1_3repE0EEENS1_30default_config_static_selectorELNS0_4arch9wavefront6targetE1EEEvT1_
    .private_segment_fixed_size: 0
    .sgpr_count:     4
    .sgpr_spill_count: 0
    .symbol:         _ZN7rocprim17ROCPRIM_400000_NS6detail17trampoline_kernelINS0_14default_configENS1_29reduce_by_key_config_selectorIddN6thrust23THRUST_200600_302600_NS4plusIdEEEEZZNS1_33reduce_by_key_impl_wrapped_configILNS1_25lookback_scan_determinismE0ES3_S9_NS6_6detail15normal_iteratorINS6_10device_ptrIdEEEESG_SG_SG_PmS8_NS6_8equal_toIdEEEE10hipError_tPvRmT2_T3_mT4_T5_T6_T7_T8_P12ihipStream_tbENKUlT_T0_E_clISt17integral_constantIbLb0EES10_IbLb1EEEEDaSW_SX_EUlSW_E_NS1_11comp_targetILNS1_3genE10ELNS1_11target_archE1201ELNS1_3gpuE5ELNS1_3repE0EEENS1_30default_config_static_selectorELNS0_4arch9wavefront6targetE1EEEvT1_.kd
    .uniform_work_group_size: 1
    .uses_dynamic_stack: false
    .vgpr_count:     0
    .vgpr_spill_count: 0
    .wavefront_size: 64
  - .agpr_count:     0
    .args:
      - .offset:         0
        .size:           136
        .value_kind:     by_value
    .group_segment_fixed_size: 0
    .kernarg_segment_align: 8
    .kernarg_segment_size: 136
    .language:       OpenCL C
    .language_version:
      - 2
      - 0
    .max_flat_workgroup_size: 256
    .name:           _ZN7rocprim17ROCPRIM_400000_NS6detail17trampoline_kernelINS0_14default_configENS1_29reduce_by_key_config_selectorIddN6thrust23THRUST_200600_302600_NS4plusIdEEEEZZNS1_33reduce_by_key_impl_wrapped_configILNS1_25lookback_scan_determinismE0ES3_S9_NS6_6detail15normal_iteratorINS6_10device_ptrIdEEEESG_SG_SG_PmS8_NS6_8equal_toIdEEEE10hipError_tPvRmT2_T3_mT4_T5_T6_T7_T8_P12ihipStream_tbENKUlT_T0_E_clISt17integral_constantIbLb0EES10_IbLb1EEEEDaSW_SX_EUlSW_E_NS1_11comp_targetILNS1_3genE10ELNS1_11target_archE1200ELNS1_3gpuE4ELNS1_3repE0EEENS1_30default_config_static_selectorELNS0_4arch9wavefront6targetE1EEEvT1_
    .private_segment_fixed_size: 0
    .sgpr_count:     4
    .sgpr_spill_count: 0
    .symbol:         _ZN7rocprim17ROCPRIM_400000_NS6detail17trampoline_kernelINS0_14default_configENS1_29reduce_by_key_config_selectorIddN6thrust23THRUST_200600_302600_NS4plusIdEEEEZZNS1_33reduce_by_key_impl_wrapped_configILNS1_25lookback_scan_determinismE0ES3_S9_NS6_6detail15normal_iteratorINS6_10device_ptrIdEEEESG_SG_SG_PmS8_NS6_8equal_toIdEEEE10hipError_tPvRmT2_T3_mT4_T5_T6_T7_T8_P12ihipStream_tbENKUlT_T0_E_clISt17integral_constantIbLb0EES10_IbLb1EEEEDaSW_SX_EUlSW_E_NS1_11comp_targetILNS1_3genE10ELNS1_11target_archE1200ELNS1_3gpuE4ELNS1_3repE0EEENS1_30default_config_static_selectorELNS0_4arch9wavefront6targetE1EEEvT1_.kd
    .uniform_work_group_size: 1
    .uses_dynamic_stack: false
    .vgpr_count:     0
    .vgpr_spill_count: 0
    .wavefront_size: 64
  - .agpr_count:     0
    .args:
      - .offset:         0
        .size:           136
        .value_kind:     by_value
    .group_segment_fixed_size: 0
    .kernarg_segment_align: 8
    .kernarg_segment_size: 136
    .language:       OpenCL C
    .language_version:
      - 2
      - 0
    .max_flat_workgroup_size: 256
    .name:           _ZN7rocprim17ROCPRIM_400000_NS6detail17trampoline_kernelINS0_14default_configENS1_29reduce_by_key_config_selectorIddN6thrust23THRUST_200600_302600_NS4plusIdEEEEZZNS1_33reduce_by_key_impl_wrapped_configILNS1_25lookback_scan_determinismE0ES3_S9_NS6_6detail15normal_iteratorINS6_10device_ptrIdEEEESG_SG_SG_PmS8_NS6_8equal_toIdEEEE10hipError_tPvRmT2_T3_mT4_T5_T6_T7_T8_P12ihipStream_tbENKUlT_T0_E_clISt17integral_constantIbLb0EES10_IbLb1EEEEDaSW_SX_EUlSW_E_NS1_11comp_targetILNS1_3genE9ELNS1_11target_archE1100ELNS1_3gpuE3ELNS1_3repE0EEENS1_30default_config_static_selectorELNS0_4arch9wavefront6targetE1EEEvT1_
    .private_segment_fixed_size: 0
    .sgpr_count:     4
    .sgpr_spill_count: 0
    .symbol:         _ZN7rocprim17ROCPRIM_400000_NS6detail17trampoline_kernelINS0_14default_configENS1_29reduce_by_key_config_selectorIddN6thrust23THRUST_200600_302600_NS4plusIdEEEEZZNS1_33reduce_by_key_impl_wrapped_configILNS1_25lookback_scan_determinismE0ES3_S9_NS6_6detail15normal_iteratorINS6_10device_ptrIdEEEESG_SG_SG_PmS8_NS6_8equal_toIdEEEE10hipError_tPvRmT2_T3_mT4_T5_T6_T7_T8_P12ihipStream_tbENKUlT_T0_E_clISt17integral_constantIbLb0EES10_IbLb1EEEEDaSW_SX_EUlSW_E_NS1_11comp_targetILNS1_3genE9ELNS1_11target_archE1100ELNS1_3gpuE3ELNS1_3repE0EEENS1_30default_config_static_selectorELNS0_4arch9wavefront6targetE1EEEvT1_.kd
    .uniform_work_group_size: 1
    .uses_dynamic_stack: false
    .vgpr_count:     0
    .vgpr_spill_count: 0
    .wavefront_size: 64
  - .agpr_count:     0
    .args:
      - .offset:         0
        .size:           136
        .value_kind:     by_value
    .group_segment_fixed_size: 0
    .kernarg_segment_align: 8
    .kernarg_segment_size: 136
    .language:       OpenCL C
    .language_version:
      - 2
      - 0
    .max_flat_workgroup_size: 256
    .name:           _ZN7rocprim17ROCPRIM_400000_NS6detail17trampoline_kernelINS0_14default_configENS1_29reduce_by_key_config_selectorIddN6thrust23THRUST_200600_302600_NS4plusIdEEEEZZNS1_33reduce_by_key_impl_wrapped_configILNS1_25lookback_scan_determinismE0ES3_S9_NS6_6detail15normal_iteratorINS6_10device_ptrIdEEEESG_SG_SG_PmS8_NS6_8equal_toIdEEEE10hipError_tPvRmT2_T3_mT4_T5_T6_T7_T8_P12ihipStream_tbENKUlT_T0_E_clISt17integral_constantIbLb0EES10_IbLb1EEEEDaSW_SX_EUlSW_E_NS1_11comp_targetILNS1_3genE8ELNS1_11target_archE1030ELNS1_3gpuE2ELNS1_3repE0EEENS1_30default_config_static_selectorELNS0_4arch9wavefront6targetE1EEEvT1_
    .private_segment_fixed_size: 0
    .sgpr_count:     4
    .sgpr_spill_count: 0
    .symbol:         _ZN7rocprim17ROCPRIM_400000_NS6detail17trampoline_kernelINS0_14default_configENS1_29reduce_by_key_config_selectorIddN6thrust23THRUST_200600_302600_NS4plusIdEEEEZZNS1_33reduce_by_key_impl_wrapped_configILNS1_25lookback_scan_determinismE0ES3_S9_NS6_6detail15normal_iteratorINS6_10device_ptrIdEEEESG_SG_SG_PmS8_NS6_8equal_toIdEEEE10hipError_tPvRmT2_T3_mT4_T5_T6_T7_T8_P12ihipStream_tbENKUlT_T0_E_clISt17integral_constantIbLb0EES10_IbLb1EEEEDaSW_SX_EUlSW_E_NS1_11comp_targetILNS1_3genE8ELNS1_11target_archE1030ELNS1_3gpuE2ELNS1_3repE0EEENS1_30default_config_static_selectorELNS0_4arch9wavefront6targetE1EEEvT1_.kd
    .uniform_work_group_size: 1
    .uses_dynamic_stack: false
    .vgpr_count:     0
    .vgpr_spill_count: 0
    .wavefront_size: 64
  - .agpr_count:     0
    .args:
      - .offset:         0
        .size:           136
        .value_kind:     by_value
    .group_segment_fixed_size: 0
    .kernarg_segment_align: 8
    .kernarg_segment_size: 136
    .language:       OpenCL C
    .language_version:
      - 2
      - 0
    .max_flat_workgroup_size: 256
    .name:           _ZN7rocprim17ROCPRIM_400000_NS6detail17trampoline_kernelINS0_14default_configENS1_29reduce_by_key_config_selectorIddN6thrust23THRUST_200600_302600_NS4plusIdEEEEZZNS1_33reduce_by_key_impl_wrapped_configILNS1_25lookback_scan_determinismE0ES3_S9_NS6_6detail15normal_iteratorINS6_10device_ptrIdEEEESG_SG_SG_PmS8_22is_equal_div_10_reduceIdEEE10hipError_tPvRmT2_T3_mT4_T5_T6_T7_T8_P12ihipStream_tbENKUlT_T0_E_clISt17integral_constantIbLb0EES11_EEDaSW_SX_EUlSW_E_NS1_11comp_targetILNS1_3genE0ELNS1_11target_archE4294967295ELNS1_3gpuE0ELNS1_3repE0EEENS1_30default_config_static_selectorELNS0_4arch9wavefront6targetE1EEEvT1_
    .private_segment_fixed_size: 0
    .sgpr_count:     4
    .sgpr_spill_count: 0
    .symbol:         _ZN7rocprim17ROCPRIM_400000_NS6detail17trampoline_kernelINS0_14default_configENS1_29reduce_by_key_config_selectorIddN6thrust23THRUST_200600_302600_NS4plusIdEEEEZZNS1_33reduce_by_key_impl_wrapped_configILNS1_25lookback_scan_determinismE0ES3_S9_NS6_6detail15normal_iteratorINS6_10device_ptrIdEEEESG_SG_SG_PmS8_22is_equal_div_10_reduceIdEEE10hipError_tPvRmT2_T3_mT4_T5_T6_T7_T8_P12ihipStream_tbENKUlT_T0_E_clISt17integral_constantIbLb0EES11_EEDaSW_SX_EUlSW_E_NS1_11comp_targetILNS1_3genE0ELNS1_11target_archE4294967295ELNS1_3gpuE0ELNS1_3repE0EEENS1_30default_config_static_selectorELNS0_4arch9wavefront6targetE1EEEvT1_.kd
    .uniform_work_group_size: 1
    .uses_dynamic_stack: false
    .vgpr_count:     0
    .vgpr_spill_count: 0
    .wavefront_size: 64
  - .agpr_count:     0
    .args:
      - .offset:         0
        .size:           136
        .value_kind:     by_value
    .group_segment_fixed_size: 0
    .kernarg_segment_align: 8
    .kernarg_segment_size: 136
    .language:       OpenCL C
    .language_version:
      - 2
      - 0
    .max_flat_workgroup_size: 256
    .name:           _ZN7rocprim17ROCPRIM_400000_NS6detail17trampoline_kernelINS0_14default_configENS1_29reduce_by_key_config_selectorIddN6thrust23THRUST_200600_302600_NS4plusIdEEEEZZNS1_33reduce_by_key_impl_wrapped_configILNS1_25lookback_scan_determinismE0ES3_S9_NS6_6detail15normal_iteratorINS6_10device_ptrIdEEEESG_SG_SG_PmS8_22is_equal_div_10_reduceIdEEE10hipError_tPvRmT2_T3_mT4_T5_T6_T7_T8_P12ihipStream_tbENKUlT_T0_E_clISt17integral_constantIbLb0EES11_EEDaSW_SX_EUlSW_E_NS1_11comp_targetILNS1_3genE5ELNS1_11target_archE942ELNS1_3gpuE9ELNS1_3repE0EEENS1_30default_config_static_selectorELNS0_4arch9wavefront6targetE1EEEvT1_
    .private_segment_fixed_size: 0
    .sgpr_count:     4
    .sgpr_spill_count: 0
    .symbol:         _ZN7rocprim17ROCPRIM_400000_NS6detail17trampoline_kernelINS0_14default_configENS1_29reduce_by_key_config_selectorIddN6thrust23THRUST_200600_302600_NS4plusIdEEEEZZNS1_33reduce_by_key_impl_wrapped_configILNS1_25lookback_scan_determinismE0ES3_S9_NS6_6detail15normal_iteratorINS6_10device_ptrIdEEEESG_SG_SG_PmS8_22is_equal_div_10_reduceIdEEE10hipError_tPvRmT2_T3_mT4_T5_T6_T7_T8_P12ihipStream_tbENKUlT_T0_E_clISt17integral_constantIbLb0EES11_EEDaSW_SX_EUlSW_E_NS1_11comp_targetILNS1_3genE5ELNS1_11target_archE942ELNS1_3gpuE9ELNS1_3repE0EEENS1_30default_config_static_selectorELNS0_4arch9wavefront6targetE1EEEvT1_.kd
    .uniform_work_group_size: 1
    .uses_dynamic_stack: false
    .vgpr_count:     0
    .vgpr_spill_count: 0
    .wavefront_size: 64
  - .agpr_count:     0
    .args:
      - .offset:         0
        .size:           136
        .value_kind:     by_value
    .group_segment_fixed_size: 30720
    .kernarg_segment_align: 8
    .kernarg_segment_size: 136
    .language:       OpenCL C
    .language_version:
      - 2
      - 0
    .max_flat_workgroup_size: 256
    .name:           _ZN7rocprim17ROCPRIM_400000_NS6detail17trampoline_kernelINS0_14default_configENS1_29reduce_by_key_config_selectorIddN6thrust23THRUST_200600_302600_NS4plusIdEEEEZZNS1_33reduce_by_key_impl_wrapped_configILNS1_25lookback_scan_determinismE0ES3_S9_NS6_6detail15normal_iteratorINS6_10device_ptrIdEEEESG_SG_SG_PmS8_22is_equal_div_10_reduceIdEEE10hipError_tPvRmT2_T3_mT4_T5_T6_T7_T8_P12ihipStream_tbENKUlT_T0_E_clISt17integral_constantIbLb0EES11_EEDaSW_SX_EUlSW_E_NS1_11comp_targetILNS1_3genE4ELNS1_11target_archE910ELNS1_3gpuE8ELNS1_3repE0EEENS1_30default_config_static_selectorELNS0_4arch9wavefront6targetE1EEEvT1_
    .private_segment_fixed_size: 0
    .sgpr_count:     69
    .sgpr_spill_count: 0
    .symbol:         _ZN7rocprim17ROCPRIM_400000_NS6detail17trampoline_kernelINS0_14default_configENS1_29reduce_by_key_config_selectorIddN6thrust23THRUST_200600_302600_NS4plusIdEEEEZZNS1_33reduce_by_key_impl_wrapped_configILNS1_25lookback_scan_determinismE0ES3_S9_NS6_6detail15normal_iteratorINS6_10device_ptrIdEEEESG_SG_SG_PmS8_22is_equal_div_10_reduceIdEEE10hipError_tPvRmT2_T3_mT4_T5_T6_T7_T8_P12ihipStream_tbENKUlT_T0_E_clISt17integral_constantIbLb0EES11_EEDaSW_SX_EUlSW_E_NS1_11comp_targetILNS1_3genE4ELNS1_11target_archE910ELNS1_3gpuE8ELNS1_3repE0EEENS1_30default_config_static_selectorELNS0_4arch9wavefront6targetE1EEEvT1_.kd
    .uniform_work_group_size: 1
    .uses_dynamic_stack: false
    .vgpr_count:     120
    .vgpr_spill_count: 0
    .wavefront_size: 64
  - .agpr_count:     0
    .args:
      - .offset:         0
        .size:           136
        .value_kind:     by_value
    .group_segment_fixed_size: 0
    .kernarg_segment_align: 8
    .kernarg_segment_size: 136
    .language:       OpenCL C
    .language_version:
      - 2
      - 0
    .max_flat_workgroup_size: 256
    .name:           _ZN7rocprim17ROCPRIM_400000_NS6detail17trampoline_kernelINS0_14default_configENS1_29reduce_by_key_config_selectorIddN6thrust23THRUST_200600_302600_NS4plusIdEEEEZZNS1_33reduce_by_key_impl_wrapped_configILNS1_25lookback_scan_determinismE0ES3_S9_NS6_6detail15normal_iteratorINS6_10device_ptrIdEEEESG_SG_SG_PmS8_22is_equal_div_10_reduceIdEEE10hipError_tPvRmT2_T3_mT4_T5_T6_T7_T8_P12ihipStream_tbENKUlT_T0_E_clISt17integral_constantIbLb0EES11_EEDaSW_SX_EUlSW_E_NS1_11comp_targetILNS1_3genE3ELNS1_11target_archE908ELNS1_3gpuE7ELNS1_3repE0EEENS1_30default_config_static_selectorELNS0_4arch9wavefront6targetE1EEEvT1_
    .private_segment_fixed_size: 0
    .sgpr_count:     4
    .sgpr_spill_count: 0
    .symbol:         _ZN7rocprim17ROCPRIM_400000_NS6detail17trampoline_kernelINS0_14default_configENS1_29reduce_by_key_config_selectorIddN6thrust23THRUST_200600_302600_NS4plusIdEEEEZZNS1_33reduce_by_key_impl_wrapped_configILNS1_25lookback_scan_determinismE0ES3_S9_NS6_6detail15normal_iteratorINS6_10device_ptrIdEEEESG_SG_SG_PmS8_22is_equal_div_10_reduceIdEEE10hipError_tPvRmT2_T3_mT4_T5_T6_T7_T8_P12ihipStream_tbENKUlT_T0_E_clISt17integral_constantIbLb0EES11_EEDaSW_SX_EUlSW_E_NS1_11comp_targetILNS1_3genE3ELNS1_11target_archE908ELNS1_3gpuE7ELNS1_3repE0EEENS1_30default_config_static_selectorELNS0_4arch9wavefront6targetE1EEEvT1_.kd
    .uniform_work_group_size: 1
    .uses_dynamic_stack: false
    .vgpr_count:     0
    .vgpr_spill_count: 0
    .wavefront_size: 64
  - .agpr_count:     0
    .args:
      - .offset:         0
        .size:           136
        .value_kind:     by_value
    .group_segment_fixed_size: 0
    .kernarg_segment_align: 8
    .kernarg_segment_size: 136
    .language:       OpenCL C
    .language_version:
      - 2
      - 0
    .max_flat_workgroup_size: 256
    .name:           _ZN7rocprim17ROCPRIM_400000_NS6detail17trampoline_kernelINS0_14default_configENS1_29reduce_by_key_config_selectorIddN6thrust23THRUST_200600_302600_NS4plusIdEEEEZZNS1_33reduce_by_key_impl_wrapped_configILNS1_25lookback_scan_determinismE0ES3_S9_NS6_6detail15normal_iteratorINS6_10device_ptrIdEEEESG_SG_SG_PmS8_22is_equal_div_10_reduceIdEEE10hipError_tPvRmT2_T3_mT4_T5_T6_T7_T8_P12ihipStream_tbENKUlT_T0_E_clISt17integral_constantIbLb0EES11_EEDaSW_SX_EUlSW_E_NS1_11comp_targetILNS1_3genE2ELNS1_11target_archE906ELNS1_3gpuE6ELNS1_3repE0EEENS1_30default_config_static_selectorELNS0_4arch9wavefront6targetE1EEEvT1_
    .private_segment_fixed_size: 0
    .sgpr_count:     4
    .sgpr_spill_count: 0
    .symbol:         _ZN7rocprim17ROCPRIM_400000_NS6detail17trampoline_kernelINS0_14default_configENS1_29reduce_by_key_config_selectorIddN6thrust23THRUST_200600_302600_NS4plusIdEEEEZZNS1_33reduce_by_key_impl_wrapped_configILNS1_25lookback_scan_determinismE0ES3_S9_NS6_6detail15normal_iteratorINS6_10device_ptrIdEEEESG_SG_SG_PmS8_22is_equal_div_10_reduceIdEEE10hipError_tPvRmT2_T3_mT4_T5_T6_T7_T8_P12ihipStream_tbENKUlT_T0_E_clISt17integral_constantIbLb0EES11_EEDaSW_SX_EUlSW_E_NS1_11comp_targetILNS1_3genE2ELNS1_11target_archE906ELNS1_3gpuE6ELNS1_3repE0EEENS1_30default_config_static_selectorELNS0_4arch9wavefront6targetE1EEEvT1_.kd
    .uniform_work_group_size: 1
    .uses_dynamic_stack: false
    .vgpr_count:     0
    .vgpr_spill_count: 0
    .wavefront_size: 64
  - .agpr_count:     0
    .args:
      - .offset:         0
        .size:           136
        .value_kind:     by_value
    .group_segment_fixed_size: 0
    .kernarg_segment_align: 8
    .kernarg_segment_size: 136
    .language:       OpenCL C
    .language_version:
      - 2
      - 0
    .max_flat_workgroup_size: 256
    .name:           _ZN7rocprim17ROCPRIM_400000_NS6detail17trampoline_kernelINS0_14default_configENS1_29reduce_by_key_config_selectorIddN6thrust23THRUST_200600_302600_NS4plusIdEEEEZZNS1_33reduce_by_key_impl_wrapped_configILNS1_25lookback_scan_determinismE0ES3_S9_NS6_6detail15normal_iteratorINS6_10device_ptrIdEEEESG_SG_SG_PmS8_22is_equal_div_10_reduceIdEEE10hipError_tPvRmT2_T3_mT4_T5_T6_T7_T8_P12ihipStream_tbENKUlT_T0_E_clISt17integral_constantIbLb0EES11_EEDaSW_SX_EUlSW_E_NS1_11comp_targetILNS1_3genE10ELNS1_11target_archE1201ELNS1_3gpuE5ELNS1_3repE0EEENS1_30default_config_static_selectorELNS0_4arch9wavefront6targetE1EEEvT1_
    .private_segment_fixed_size: 0
    .sgpr_count:     4
    .sgpr_spill_count: 0
    .symbol:         _ZN7rocprim17ROCPRIM_400000_NS6detail17trampoline_kernelINS0_14default_configENS1_29reduce_by_key_config_selectorIddN6thrust23THRUST_200600_302600_NS4plusIdEEEEZZNS1_33reduce_by_key_impl_wrapped_configILNS1_25lookback_scan_determinismE0ES3_S9_NS6_6detail15normal_iteratorINS6_10device_ptrIdEEEESG_SG_SG_PmS8_22is_equal_div_10_reduceIdEEE10hipError_tPvRmT2_T3_mT4_T5_T6_T7_T8_P12ihipStream_tbENKUlT_T0_E_clISt17integral_constantIbLb0EES11_EEDaSW_SX_EUlSW_E_NS1_11comp_targetILNS1_3genE10ELNS1_11target_archE1201ELNS1_3gpuE5ELNS1_3repE0EEENS1_30default_config_static_selectorELNS0_4arch9wavefront6targetE1EEEvT1_.kd
    .uniform_work_group_size: 1
    .uses_dynamic_stack: false
    .vgpr_count:     0
    .vgpr_spill_count: 0
    .wavefront_size: 64
  - .agpr_count:     0
    .args:
      - .offset:         0
        .size:           136
        .value_kind:     by_value
    .group_segment_fixed_size: 0
    .kernarg_segment_align: 8
    .kernarg_segment_size: 136
    .language:       OpenCL C
    .language_version:
      - 2
      - 0
    .max_flat_workgroup_size: 256
    .name:           _ZN7rocprim17ROCPRIM_400000_NS6detail17trampoline_kernelINS0_14default_configENS1_29reduce_by_key_config_selectorIddN6thrust23THRUST_200600_302600_NS4plusIdEEEEZZNS1_33reduce_by_key_impl_wrapped_configILNS1_25lookback_scan_determinismE0ES3_S9_NS6_6detail15normal_iteratorINS6_10device_ptrIdEEEESG_SG_SG_PmS8_22is_equal_div_10_reduceIdEEE10hipError_tPvRmT2_T3_mT4_T5_T6_T7_T8_P12ihipStream_tbENKUlT_T0_E_clISt17integral_constantIbLb0EES11_EEDaSW_SX_EUlSW_E_NS1_11comp_targetILNS1_3genE10ELNS1_11target_archE1200ELNS1_3gpuE4ELNS1_3repE0EEENS1_30default_config_static_selectorELNS0_4arch9wavefront6targetE1EEEvT1_
    .private_segment_fixed_size: 0
    .sgpr_count:     4
    .sgpr_spill_count: 0
    .symbol:         _ZN7rocprim17ROCPRIM_400000_NS6detail17trampoline_kernelINS0_14default_configENS1_29reduce_by_key_config_selectorIddN6thrust23THRUST_200600_302600_NS4plusIdEEEEZZNS1_33reduce_by_key_impl_wrapped_configILNS1_25lookback_scan_determinismE0ES3_S9_NS6_6detail15normal_iteratorINS6_10device_ptrIdEEEESG_SG_SG_PmS8_22is_equal_div_10_reduceIdEEE10hipError_tPvRmT2_T3_mT4_T5_T6_T7_T8_P12ihipStream_tbENKUlT_T0_E_clISt17integral_constantIbLb0EES11_EEDaSW_SX_EUlSW_E_NS1_11comp_targetILNS1_3genE10ELNS1_11target_archE1200ELNS1_3gpuE4ELNS1_3repE0EEENS1_30default_config_static_selectorELNS0_4arch9wavefront6targetE1EEEvT1_.kd
    .uniform_work_group_size: 1
    .uses_dynamic_stack: false
    .vgpr_count:     0
    .vgpr_spill_count: 0
    .wavefront_size: 64
  - .agpr_count:     0
    .args:
      - .offset:         0
        .size:           136
        .value_kind:     by_value
    .group_segment_fixed_size: 0
    .kernarg_segment_align: 8
    .kernarg_segment_size: 136
    .language:       OpenCL C
    .language_version:
      - 2
      - 0
    .max_flat_workgroup_size: 256
    .name:           _ZN7rocprim17ROCPRIM_400000_NS6detail17trampoline_kernelINS0_14default_configENS1_29reduce_by_key_config_selectorIddN6thrust23THRUST_200600_302600_NS4plusIdEEEEZZNS1_33reduce_by_key_impl_wrapped_configILNS1_25lookback_scan_determinismE0ES3_S9_NS6_6detail15normal_iteratorINS6_10device_ptrIdEEEESG_SG_SG_PmS8_22is_equal_div_10_reduceIdEEE10hipError_tPvRmT2_T3_mT4_T5_T6_T7_T8_P12ihipStream_tbENKUlT_T0_E_clISt17integral_constantIbLb0EES11_EEDaSW_SX_EUlSW_E_NS1_11comp_targetILNS1_3genE9ELNS1_11target_archE1100ELNS1_3gpuE3ELNS1_3repE0EEENS1_30default_config_static_selectorELNS0_4arch9wavefront6targetE1EEEvT1_
    .private_segment_fixed_size: 0
    .sgpr_count:     4
    .sgpr_spill_count: 0
    .symbol:         _ZN7rocprim17ROCPRIM_400000_NS6detail17trampoline_kernelINS0_14default_configENS1_29reduce_by_key_config_selectorIddN6thrust23THRUST_200600_302600_NS4plusIdEEEEZZNS1_33reduce_by_key_impl_wrapped_configILNS1_25lookback_scan_determinismE0ES3_S9_NS6_6detail15normal_iteratorINS6_10device_ptrIdEEEESG_SG_SG_PmS8_22is_equal_div_10_reduceIdEEE10hipError_tPvRmT2_T3_mT4_T5_T6_T7_T8_P12ihipStream_tbENKUlT_T0_E_clISt17integral_constantIbLb0EES11_EEDaSW_SX_EUlSW_E_NS1_11comp_targetILNS1_3genE9ELNS1_11target_archE1100ELNS1_3gpuE3ELNS1_3repE0EEENS1_30default_config_static_selectorELNS0_4arch9wavefront6targetE1EEEvT1_.kd
    .uniform_work_group_size: 1
    .uses_dynamic_stack: false
    .vgpr_count:     0
    .vgpr_spill_count: 0
    .wavefront_size: 64
  - .agpr_count:     0
    .args:
      - .offset:         0
        .size:           136
        .value_kind:     by_value
    .group_segment_fixed_size: 0
    .kernarg_segment_align: 8
    .kernarg_segment_size: 136
    .language:       OpenCL C
    .language_version:
      - 2
      - 0
    .max_flat_workgroup_size: 256
    .name:           _ZN7rocprim17ROCPRIM_400000_NS6detail17trampoline_kernelINS0_14default_configENS1_29reduce_by_key_config_selectorIddN6thrust23THRUST_200600_302600_NS4plusIdEEEEZZNS1_33reduce_by_key_impl_wrapped_configILNS1_25lookback_scan_determinismE0ES3_S9_NS6_6detail15normal_iteratorINS6_10device_ptrIdEEEESG_SG_SG_PmS8_22is_equal_div_10_reduceIdEEE10hipError_tPvRmT2_T3_mT4_T5_T6_T7_T8_P12ihipStream_tbENKUlT_T0_E_clISt17integral_constantIbLb0EES11_EEDaSW_SX_EUlSW_E_NS1_11comp_targetILNS1_3genE8ELNS1_11target_archE1030ELNS1_3gpuE2ELNS1_3repE0EEENS1_30default_config_static_selectorELNS0_4arch9wavefront6targetE1EEEvT1_
    .private_segment_fixed_size: 0
    .sgpr_count:     4
    .sgpr_spill_count: 0
    .symbol:         _ZN7rocprim17ROCPRIM_400000_NS6detail17trampoline_kernelINS0_14default_configENS1_29reduce_by_key_config_selectorIddN6thrust23THRUST_200600_302600_NS4plusIdEEEEZZNS1_33reduce_by_key_impl_wrapped_configILNS1_25lookback_scan_determinismE0ES3_S9_NS6_6detail15normal_iteratorINS6_10device_ptrIdEEEESG_SG_SG_PmS8_22is_equal_div_10_reduceIdEEE10hipError_tPvRmT2_T3_mT4_T5_T6_T7_T8_P12ihipStream_tbENKUlT_T0_E_clISt17integral_constantIbLb0EES11_EEDaSW_SX_EUlSW_E_NS1_11comp_targetILNS1_3genE8ELNS1_11target_archE1030ELNS1_3gpuE2ELNS1_3repE0EEENS1_30default_config_static_selectorELNS0_4arch9wavefront6targetE1EEEvT1_.kd
    .uniform_work_group_size: 1
    .uses_dynamic_stack: false
    .vgpr_count:     0
    .vgpr_spill_count: 0
    .wavefront_size: 64
  - .agpr_count:     0
    .args:
      - .offset:         0
        .size:           136
        .value_kind:     by_value
    .group_segment_fixed_size: 0
    .kernarg_segment_align: 8
    .kernarg_segment_size: 136
    .language:       OpenCL C
    .language_version:
      - 2
      - 0
    .max_flat_workgroup_size: 256
    .name:           _ZN7rocprim17ROCPRIM_400000_NS6detail17trampoline_kernelINS0_14default_configENS1_29reduce_by_key_config_selectorIddN6thrust23THRUST_200600_302600_NS4plusIdEEEEZZNS1_33reduce_by_key_impl_wrapped_configILNS1_25lookback_scan_determinismE0ES3_S9_NS6_6detail15normal_iteratorINS6_10device_ptrIdEEEESG_SG_SG_PmS8_22is_equal_div_10_reduceIdEEE10hipError_tPvRmT2_T3_mT4_T5_T6_T7_T8_P12ihipStream_tbENKUlT_T0_E_clISt17integral_constantIbLb1EES11_EEDaSW_SX_EUlSW_E_NS1_11comp_targetILNS1_3genE0ELNS1_11target_archE4294967295ELNS1_3gpuE0ELNS1_3repE0EEENS1_30default_config_static_selectorELNS0_4arch9wavefront6targetE1EEEvT1_
    .private_segment_fixed_size: 0
    .sgpr_count:     4
    .sgpr_spill_count: 0
    .symbol:         _ZN7rocprim17ROCPRIM_400000_NS6detail17trampoline_kernelINS0_14default_configENS1_29reduce_by_key_config_selectorIddN6thrust23THRUST_200600_302600_NS4plusIdEEEEZZNS1_33reduce_by_key_impl_wrapped_configILNS1_25lookback_scan_determinismE0ES3_S9_NS6_6detail15normal_iteratorINS6_10device_ptrIdEEEESG_SG_SG_PmS8_22is_equal_div_10_reduceIdEEE10hipError_tPvRmT2_T3_mT4_T5_T6_T7_T8_P12ihipStream_tbENKUlT_T0_E_clISt17integral_constantIbLb1EES11_EEDaSW_SX_EUlSW_E_NS1_11comp_targetILNS1_3genE0ELNS1_11target_archE4294967295ELNS1_3gpuE0ELNS1_3repE0EEENS1_30default_config_static_selectorELNS0_4arch9wavefront6targetE1EEEvT1_.kd
    .uniform_work_group_size: 1
    .uses_dynamic_stack: false
    .vgpr_count:     0
    .vgpr_spill_count: 0
    .wavefront_size: 64
  - .agpr_count:     0
    .args:
      - .offset:         0
        .size:           136
        .value_kind:     by_value
    .group_segment_fixed_size: 0
    .kernarg_segment_align: 8
    .kernarg_segment_size: 136
    .language:       OpenCL C
    .language_version:
      - 2
      - 0
    .max_flat_workgroup_size: 256
    .name:           _ZN7rocprim17ROCPRIM_400000_NS6detail17trampoline_kernelINS0_14default_configENS1_29reduce_by_key_config_selectorIddN6thrust23THRUST_200600_302600_NS4plusIdEEEEZZNS1_33reduce_by_key_impl_wrapped_configILNS1_25lookback_scan_determinismE0ES3_S9_NS6_6detail15normal_iteratorINS6_10device_ptrIdEEEESG_SG_SG_PmS8_22is_equal_div_10_reduceIdEEE10hipError_tPvRmT2_T3_mT4_T5_T6_T7_T8_P12ihipStream_tbENKUlT_T0_E_clISt17integral_constantIbLb1EES11_EEDaSW_SX_EUlSW_E_NS1_11comp_targetILNS1_3genE5ELNS1_11target_archE942ELNS1_3gpuE9ELNS1_3repE0EEENS1_30default_config_static_selectorELNS0_4arch9wavefront6targetE1EEEvT1_
    .private_segment_fixed_size: 0
    .sgpr_count:     4
    .sgpr_spill_count: 0
    .symbol:         _ZN7rocprim17ROCPRIM_400000_NS6detail17trampoline_kernelINS0_14default_configENS1_29reduce_by_key_config_selectorIddN6thrust23THRUST_200600_302600_NS4plusIdEEEEZZNS1_33reduce_by_key_impl_wrapped_configILNS1_25lookback_scan_determinismE0ES3_S9_NS6_6detail15normal_iteratorINS6_10device_ptrIdEEEESG_SG_SG_PmS8_22is_equal_div_10_reduceIdEEE10hipError_tPvRmT2_T3_mT4_T5_T6_T7_T8_P12ihipStream_tbENKUlT_T0_E_clISt17integral_constantIbLb1EES11_EEDaSW_SX_EUlSW_E_NS1_11comp_targetILNS1_3genE5ELNS1_11target_archE942ELNS1_3gpuE9ELNS1_3repE0EEENS1_30default_config_static_selectorELNS0_4arch9wavefront6targetE1EEEvT1_.kd
    .uniform_work_group_size: 1
    .uses_dynamic_stack: false
    .vgpr_count:     0
    .vgpr_spill_count: 0
    .wavefront_size: 64
  - .agpr_count:     0
    .args:
      - .offset:         0
        .size:           136
        .value_kind:     by_value
    .group_segment_fixed_size: 30720
    .kernarg_segment_align: 8
    .kernarg_segment_size: 136
    .language:       OpenCL C
    .language_version:
      - 2
      - 0
    .max_flat_workgroup_size: 256
    .name:           _ZN7rocprim17ROCPRIM_400000_NS6detail17trampoline_kernelINS0_14default_configENS1_29reduce_by_key_config_selectorIddN6thrust23THRUST_200600_302600_NS4plusIdEEEEZZNS1_33reduce_by_key_impl_wrapped_configILNS1_25lookback_scan_determinismE0ES3_S9_NS6_6detail15normal_iteratorINS6_10device_ptrIdEEEESG_SG_SG_PmS8_22is_equal_div_10_reduceIdEEE10hipError_tPvRmT2_T3_mT4_T5_T6_T7_T8_P12ihipStream_tbENKUlT_T0_E_clISt17integral_constantIbLb1EES11_EEDaSW_SX_EUlSW_E_NS1_11comp_targetILNS1_3genE4ELNS1_11target_archE910ELNS1_3gpuE8ELNS1_3repE0EEENS1_30default_config_static_selectorELNS0_4arch9wavefront6targetE1EEEvT1_
    .private_segment_fixed_size: 0
    .sgpr_count:     70
    .sgpr_spill_count: 0
    .symbol:         _ZN7rocprim17ROCPRIM_400000_NS6detail17trampoline_kernelINS0_14default_configENS1_29reduce_by_key_config_selectorIddN6thrust23THRUST_200600_302600_NS4plusIdEEEEZZNS1_33reduce_by_key_impl_wrapped_configILNS1_25lookback_scan_determinismE0ES3_S9_NS6_6detail15normal_iteratorINS6_10device_ptrIdEEEESG_SG_SG_PmS8_22is_equal_div_10_reduceIdEEE10hipError_tPvRmT2_T3_mT4_T5_T6_T7_T8_P12ihipStream_tbENKUlT_T0_E_clISt17integral_constantIbLb1EES11_EEDaSW_SX_EUlSW_E_NS1_11comp_targetILNS1_3genE4ELNS1_11target_archE910ELNS1_3gpuE8ELNS1_3repE0EEENS1_30default_config_static_selectorELNS0_4arch9wavefront6targetE1EEEvT1_.kd
    .uniform_work_group_size: 1
    .uses_dynamic_stack: false
    .vgpr_count:     120
    .vgpr_spill_count: 0
    .wavefront_size: 64
  - .agpr_count:     0
    .args:
      - .offset:         0
        .size:           136
        .value_kind:     by_value
    .group_segment_fixed_size: 0
    .kernarg_segment_align: 8
    .kernarg_segment_size: 136
    .language:       OpenCL C
    .language_version:
      - 2
      - 0
    .max_flat_workgroup_size: 256
    .name:           _ZN7rocprim17ROCPRIM_400000_NS6detail17trampoline_kernelINS0_14default_configENS1_29reduce_by_key_config_selectorIddN6thrust23THRUST_200600_302600_NS4plusIdEEEEZZNS1_33reduce_by_key_impl_wrapped_configILNS1_25lookback_scan_determinismE0ES3_S9_NS6_6detail15normal_iteratorINS6_10device_ptrIdEEEESG_SG_SG_PmS8_22is_equal_div_10_reduceIdEEE10hipError_tPvRmT2_T3_mT4_T5_T6_T7_T8_P12ihipStream_tbENKUlT_T0_E_clISt17integral_constantIbLb1EES11_EEDaSW_SX_EUlSW_E_NS1_11comp_targetILNS1_3genE3ELNS1_11target_archE908ELNS1_3gpuE7ELNS1_3repE0EEENS1_30default_config_static_selectorELNS0_4arch9wavefront6targetE1EEEvT1_
    .private_segment_fixed_size: 0
    .sgpr_count:     4
    .sgpr_spill_count: 0
    .symbol:         _ZN7rocprim17ROCPRIM_400000_NS6detail17trampoline_kernelINS0_14default_configENS1_29reduce_by_key_config_selectorIddN6thrust23THRUST_200600_302600_NS4plusIdEEEEZZNS1_33reduce_by_key_impl_wrapped_configILNS1_25lookback_scan_determinismE0ES3_S9_NS6_6detail15normal_iteratorINS6_10device_ptrIdEEEESG_SG_SG_PmS8_22is_equal_div_10_reduceIdEEE10hipError_tPvRmT2_T3_mT4_T5_T6_T7_T8_P12ihipStream_tbENKUlT_T0_E_clISt17integral_constantIbLb1EES11_EEDaSW_SX_EUlSW_E_NS1_11comp_targetILNS1_3genE3ELNS1_11target_archE908ELNS1_3gpuE7ELNS1_3repE0EEENS1_30default_config_static_selectorELNS0_4arch9wavefront6targetE1EEEvT1_.kd
    .uniform_work_group_size: 1
    .uses_dynamic_stack: false
    .vgpr_count:     0
    .vgpr_spill_count: 0
    .wavefront_size: 64
  - .agpr_count:     0
    .args:
      - .offset:         0
        .size:           136
        .value_kind:     by_value
    .group_segment_fixed_size: 0
    .kernarg_segment_align: 8
    .kernarg_segment_size: 136
    .language:       OpenCL C
    .language_version:
      - 2
      - 0
    .max_flat_workgroup_size: 256
    .name:           _ZN7rocprim17ROCPRIM_400000_NS6detail17trampoline_kernelINS0_14default_configENS1_29reduce_by_key_config_selectorIddN6thrust23THRUST_200600_302600_NS4plusIdEEEEZZNS1_33reduce_by_key_impl_wrapped_configILNS1_25lookback_scan_determinismE0ES3_S9_NS6_6detail15normal_iteratorINS6_10device_ptrIdEEEESG_SG_SG_PmS8_22is_equal_div_10_reduceIdEEE10hipError_tPvRmT2_T3_mT4_T5_T6_T7_T8_P12ihipStream_tbENKUlT_T0_E_clISt17integral_constantIbLb1EES11_EEDaSW_SX_EUlSW_E_NS1_11comp_targetILNS1_3genE2ELNS1_11target_archE906ELNS1_3gpuE6ELNS1_3repE0EEENS1_30default_config_static_selectorELNS0_4arch9wavefront6targetE1EEEvT1_
    .private_segment_fixed_size: 0
    .sgpr_count:     4
    .sgpr_spill_count: 0
    .symbol:         _ZN7rocprim17ROCPRIM_400000_NS6detail17trampoline_kernelINS0_14default_configENS1_29reduce_by_key_config_selectorIddN6thrust23THRUST_200600_302600_NS4plusIdEEEEZZNS1_33reduce_by_key_impl_wrapped_configILNS1_25lookback_scan_determinismE0ES3_S9_NS6_6detail15normal_iteratorINS6_10device_ptrIdEEEESG_SG_SG_PmS8_22is_equal_div_10_reduceIdEEE10hipError_tPvRmT2_T3_mT4_T5_T6_T7_T8_P12ihipStream_tbENKUlT_T0_E_clISt17integral_constantIbLb1EES11_EEDaSW_SX_EUlSW_E_NS1_11comp_targetILNS1_3genE2ELNS1_11target_archE906ELNS1_3gpuE6ELNS1_3repE0EEENS1_30default_config_static_selectorELNS0_4arch9wavefront6targetE1EEEvT1_.kd
    .uniform_work_group_size: 1
    .uses_dynamic_stack: false
    .vgpr_count:     0
    .vgpr_spill_count: 0
    .wavefront_size: 64
  - .agpr_count:     0
    .args:
      - .offset:         0
        .size:           136
        .value_kind:     by_value
    .group_segment_fixed_size: 0
    .kernarg_segment_align: 8
    .kernarg_segment_size: 136
    .language:       OpenCL C
    .language_version:
      - 2
      - 0
    .max_flat_workgroup_size: 256
    .name:           _ZN7rocprim17ROCPRIM_400000_NS6detail17trampoline_kernelINS0_14default_configENS1_29reduce_by_key_config_selectorIddN6thrust23THRUST_200600_302600_NS4plusIdEEEEZZNS1_33reduce_by_key_impl_wrapped_configILNS1_25lookback_scan_determinismE0ES3_S9_NS6_6detail15normal_iteratorINS6_10device_ptrIdEEEESG_SG_SG_PmS8_22is_equal_div_10_reduceIdEEE10hipError_tPvRmT2_T3_mT4_T5_T6_T7_T8_P12ihipStream_tbENKUlT_T0_E_clISt17integral_constantIbLb1EES11_EEDaSW_SX_EUlSW_E_NS1_11comp_targetILNS1_3genE10ELNS1_11target_archE1201ELNS1_3gpuE5ELNS1_3repE0EEENS1_30default_config_static_selectorELNS0_4arch9wavefront6targetE1EEEvT1_
    .private_segment_fixed_size: 0
    .sgpr_count:     4
    .sgpr_spill_count: 0
    .symbol:         _ZN7rocprim17ROCPRIM_400000_NS6detail17trampoline_kernelINS0_14default_configENS1_29reduce_by_key_config_selectorIddN6thrust23THRUST_200600_302600_NS4plusIdEEEEZZNS1_33reduce_by_key_impl_wrapped_configILNS1_25lookback_scan_determinismE0ES3_S9_NS6_6detail15normal_iteratorINS6_10device_ptrIdEEEESG_SG_SG_PmS8_22is_equal_div_10_reduceIdEEE10hipError_tPvRmT2_T3_mT4_T5_T6_T7_T8_P12ihipStream_tbENKUlT_T0_E_clISt17integral_constantIbLb1EES11_EEDaSW_SX_EUlSW_E_NS1_11comp_targetILNS1_3genE10ELNS1_11target_archE1201ELNS1_3gpuE5ELNS1_3repE0EEENS1_30default_config_static_selectorELNS0_4arch9wavefront6targetE1EEEvT1_.kd
    .uniform_work_group_size: 1
    .uses_dynamic_stack: false
    .vgpr_count:     0
    .vgpr_spill_count: 0
    .wavefront_size: 64
  - .agpr_count:     0
    .args:
      - .offset:         0
        .size:           136
        .value_kind:     by_value
    .group_segment_fixed_size: 0
    .kernarg_segment_align: 8
    .kernarg_segment_size: 136
    .language:       OpenCL C
    .language_version:
      - 2
      - 0
    .max_flat_workgroup_size: 256
    .name:           _ZN7rocprim17ROCPRIM_400000_NS6detail17trampoline_kernelINS0_14default_configENS1_29reduce_by_key_config_selectorIddN6thrust23THRUST_200600_302600_NS4plusIdEEEEZZNS1_33reduce_by_key_impl_wrapped_configILNS1_25lookback_scan_determinismE0ES3_S9_NS6_6detail15normal_iteratorINS6_10device_ptrIdEEEESG_SG_SG_PmS8_22is_equal_div_10_reduceIdEEE10hipError_tPvRmT2_T3_mT4_T5_T6_T7_T8_P12ihipStream_tbENKUlT_T0_E_clISt17integral_constantIbLb1EES11_EEDaSW_SX_EUlSW_E_NS1_11comp_targetILNS1_3genE10ELNS1_11target_archE1200ELNS1_3gpuE4ELNS1_3repE0EEENS1_30default_config_static_selectorELNS0_4arch9wavefront6targetE1EEEvT1_
    .private_segment_fixed_size: 0
    .sgpr_count:     4
    .sgpr_spill_count: 0
    .symbol:         _ZN7rocprim17ROCPRIM_400000_NS6detail17trampoline_kernelINS0_14default_configENS1_29reduce_by_key_config_selectorIddN6thrust23THRUST_200600_302600_NS4plusIdEEEEZZNS1_33reduce_by_key_impl_wrapped_configILNS1_25lookback_scan_determinismE0ES3_S9_NS6_6detail15normal_iteratorINS6_10device_ptrIdEEEESG_SG_SG_PmS8_22is_equal_div_10_reduceIdEEE10hipError_tPvRmT2_T3_mT4_T5_T6_T7_T8_P12ihipStream_tbENKUlT_T0_E_clISt17integral_constantIbLb1EES11_EEDaSW_SX_EUlSW_E_NS1_11comp_targetILNS1_3genE10ELNS1_11target_archE1200ELNS1_3gpuE4ELNS1_3repE0EEENS1_30default_config_static_selectorELNS0_4arch9wavefront6targetE1EEEvT1_.kd
    .uniform_work_group_size: 1
    .uses_dynamic_stack: false
    .vgpr_count:     0
    .vgpr_spill_count: 0
    .wavefront_size: 64
  - .agpr_count:     0
    .args:
      - .offset:         0
        .size:           136
        .value_kind:     by_value
    .group_segment_fixed_size: 0
    .kernarg_segment_align: 8
    .kernarg_segment_size: 136
    .language:       OpenCL C
    .language_version:
      - 2
      - 0
    .max_flat_workgroup_size: 256
    .name:           _ZN7rocprim17ROCPRIM_400000_NS6detail17trampoline_kernelINS0_14default_configENS1_29reduce_by_key_config_selectorIddN6thrust23THRUST_200600_302600_NS4plusIdEEEEZZNS1_33reduce_by_key_impl_wrapped_configILNS1_25lookback_scan_determinismE0ES3_S9_NS6_6detail15normal_iteratorINS6_10device_ptrIdEEEESG_SG_SG_PmS8_22is_equal_div_10_reduceIdEEE10hipError_tPvRmT2_T3_mT4_T5_T6_T7_T8_P12ihipStream_tbENKUlT_T0_E_clISt17integral_constantIbLb1EES11_EEDaSW_SX_EUlSW_E_NS1_11comp_targetILNS1_3genE9ELNS1_11target_archE1100ELNS1_3gpuE3ELNS1_3repE0EEENS1_30default_config_static_selectorELNS0_4arch9wavefront6targetE1EEEvT1_
    .private_segment_fixed_size: 0
    .sgpr_count:     4
    .sgpr_spill_count: 0
    .symbol:         _ZN7rocprim17ROCPRIM_400000_NS6detail17trampoline_kernelINS0_14default_configENS1_29reduce_by_key_config_selectorIddN6thrust23THRUST_200600_302600_NS4plusIdEEEEZZNS1_33reduce_by_key_impl_wrapped_configILNS1_25lookback_scan_determinismE0ES3_S9_NS6_6detail15normal_iteratorINS6_10device_ptrIdEEEESG_SG_SG_PmS8_22is_equal_div_10_reduceIdEEE10hipError_tPvRmT2_T3_mT4_T5_T6_T7_T8_P12ihipStream_tbENKUlT_T0_E_clISt17integral_constantIbLb1EES11_EEDaSW_SX_EUlSW_E_NS1_11comp_targetILNS1_3genE9ELNS1_11target_archE1100ELNS1_3gpuE3ELNS1_3repE0EEENS1_30default_config_static_selectorELNS0_4arch9wavefront6targetE1EEEvT1_.kd
    .uniform_work_group_size: 1
    .uses_dynamic_stack: false
    .vgpr_count:     0
    .vgpr_spill_count: 0
    .wavefront_size: 64
  - .agpr_count:     0
    .args:
      - .offset:         0
        .size:           136
        .value_kind:     by_value
    .group_segment_fixed_size: 0
    .kernarg_segment_align: 8
    .kernarg_segment_size: 136
    .language:       OpenCL C
    .language_version:
      - 2
      - 0
    .max_flat_workgroup_size: 256
    .name:           _ZN7rocprim17ROCPRIM_400000_NS6detail17trampoline_kernelINS0_14default_configENS1_29reduce_by_key_config_selectorIddN6thrust23THRUST_200600_302600_NS4plusIdEEEEZZNS1_33reduce_by_key_impl_wrapped_configILNS1_25lookback_scan_determinismE0ES3_S9_NS6_6detail15normal_iteratorINS6_10device_ptrIdEEEESG_SG_SG_PmS8_22is_equal_div_10_reduceIdEEE10hipError_tPvRmT2_T3_mT4_T5_T6_T7_T8_P12ihipStream_tbENKUlT_T0_E_clISt17integral_constantIbLb1EES11_EEDaSW_SX_EUlSW_E_NS1_11comp_targetILNS1_3genE8ELNS1_11target_archE1030ELNS1_3gpuE2ELNS1_3repE0EEENS1_30default_config_static_selectorELNS0_4arch9wavefront6targetE1EEEvT1_
    .private_segment_fixed_size: 0
    .sgpr_count:     4
    .sgpr_spill_count: 0
    .symbol:         _ZN7rocprim17ROCPRIM_400000_NS6detail17trampoline_kernelINS0_14default_configENS1_29reduce_by_key_config_selectorIddN6thrust23THRUST_200600_302600_NS4plusIdEEEEZZNS1_33reduce_by_key_impl_wrapped_configILNS1_25lookback_scan_determinismE0ES3_S9_NS6_6detail15normal_iteratorINS6_10device_ptrIdEEEESG_SG_SG_PmS8_22is_equal_div_10_reduceIdEEE10hipError_tPvRmT2_T3_mT4_T5_T6_T7_T8_P12ihipStream_tbENKUlT_T0_E_clISt17integral_constantIbLb1EES11_EEDaSW_SX_EUlSW_E_NS1_11comp_targetILNS1_3genE8ELNS1_11target_archE1030ELNS1_3gpuE2ELNS1_3repE0EEENS1_30default_config_static_selectorELNS0_4arch9wavefront6targetE1EEEvT1_.kd
    .uniform_work_group_size: 1
    .uses_dynamic_stack: false
    .vgpr_count:     0
    .vgpr_spill_count: 0
    .wavefront_size: 64
  - .agpr_count:     0
    .args:
      - .offset:         0
        .size:           136
        .value_kind:     by_value
    .group_segment_fixed_size: 0
    .kernarg_segment_align: 8
    .kernarg_segment_size: 136
    .language:       OpenCL C
    .language_version:
      - 2
      - 0
    .max_flat_workgroup_size: 256
    .name:           _ZN7rocprim17ROCPRIM_400000_NS6detail17trampoline_kernelINS0_14default_configENS1_29reduce_by_key_config_selectorIddN6thrust23THRUST_200600_302600_NS4plusIdEEEEZZNS1_33reduce_by_key_impl_wrapped_configILNS1_25lookback_scan_determinismE0ES3_S9_NS6_6detail15normal_iteratorINS6_10device_ptrIdEEEESG_SG_SG_PmS8_22is_equal_div_10_reduceIdEEE10hipError_tPvRmT2_T3_mT4_T5_T6_T7_T8_P12ihipStream_tbENKUlT_T0_E_clISt17integral_constantIbLb1EES10_IbLb0EEEEDaSW_SX_EUlSW_E_NS1_11comp_targetILNS1_3genE0ELNS1_11target_archE4294967295ELNS1_3gpuE0ELNS1_3repE0EEENS1_30default_config_static_selectorELNS0_4arch9wavefront6targetE1EEEvT1_
    .private_segment_fixed_size: 0
    .sgpr_count:     4
    .sgpr_spill_count: 0
    .symbol:         _ZN7rocprim17ROCPRIM_400000_NS6detail17trampoline_kernelINS0_14default_configENS1_29reduce_by_key_config_selectorIddN6thrust23THRUST_200600_302600_NS4plusIdEEEEZZNS1_33reduce_by_key_impl_wrapped_configILNS1_25lookback_scan_determinismE0ES3_S9_NS6_6detail15normal_iteratorINS6_10device_ptrIdEEEESG_SG_SG_PmS8_22is_equal_div_10_reduceIdEEE10hipError_tPvRmT2_T3_mT4_T5_T6_T7_T8_P12ihipStream_tbENKUlT_T0_E_clISt17integral_constantIbLb1EES10_IbLb0EEEEDaSW_SX_EUlSW_E_NS1_11comp_targetILNS1_3genE0ELNS1_11target_archE4294967295ELNS1_3gpuE0ELNS1_3repE0EEENS1_30default_config_static_selectorELNS0_4arch9wavefront6targetE1EEEvT1_.kd
    .uniform_work_group_size: 1
    .uses_dynamic_stack: false
    .vgpr_count:     0
    .vgpr_spill_count: 0
    .wavefront_size: 64
  - .agpr_count:     0
    .args:
      - .offset:         0
        .size:           136
        .value_kind:     by_value
    .group_segment_fixed_size: 0
    .kernarg_segment_align: 8
    .kernarg_segment_size: 136
    .language:       OpenCL C
    .language_version:
      - 2
      - 0
    .max_flat_workgroup_size: 256
    .name:           _ZN7rocprim17ROCPRIM_400000_NS6detail17trampoline_kernelINS0_14default_configENS1_29reduce_by_key_config_selectorIddN6thrust23THRUST_200600_302600_NS4plusIdEEEEZZNS1_33reduce_by_key_impl_wrapped_configILNS1_25lookback_scan_determinismE0ES3_S9_NS6_6detail15normal_iteratorINS6_10device_ptrIdEEEESG_SG_SG_PmS8_22is_equal_div_10_reduceIdEEE10hipError_tPvRmT2_T3_mT4_T5_T6_T7_T8_P12ihipStream_tbENKUlT_T0_E_clISt17integral_constantIbLb1EES10_IbLb0EEEEDaSW_SX_EUlSW_E_NS1_11comp_targetILNS1_3genE5ELNS1_11target_archE942ELNS1_3gpuE9ELNS1_3repE0EEENS1_30default_config_static_selectorELNS0_4arch9wavefront6targetE1EEEvT1_
    .private_segment_fixed_size: 0
    .sgpr_count:     4
    .sgpr_spill_count: 0
    .symbol:         _ZN7rocprim17ROCPRIM_400000_NS6detail17trampoline_kernelINS0_14default_configENS1_29reduce_by_key_config_selectorIddN6thrust23THRUST_200600_302600_NS4plusIdEEEEZZNS1_33reduce_by_key_impl_wrapped_configILNS1_25lookback_scan_determinismE0ES3_S9_NS6_6detail15normal_iteratorINS6_10device_ptrIdEEEESG_SG_SG_PmS8_22is_equal_div_10_reduceIdEEE10hipError_tPvRmT2_T3_mT4_T5_T6_T7_T8_P12ihipStream_tbENKUlT_T0_E_clISt17integral_constantIbLb1EES10_IbLb0EEEEDaSW_SX_EUlSW_E_NS1_11comp_targetILNS1_3genE5ELNS1_11target_archE942ELNS1_3gpuE9ELNS1_3repE0EEENS1_30default_config_static_selectorELNS0_4arch9wavefront6targetE1EEEvT1_.kd
    .uniform_work_group_size: 1
    .uses_dynamic_stack: false
    .vgpr_count:     0
    .vgpr_spill_count: 0
    .wavefront_size: 64
  - .agpr_count:     0
    .args:
      - .offset:         0
        .size:           136
        .value_kind:     by_value
    .group_segment_fixed_size: 30720
    .kernarg_segment_align: 8
    .kernarg_segment_size: 136
    .language:       OpenCL C
    .language_version:
      - 2
      - 0
    .max_flat_workgroup_size: 256
    .name:           _ZN7rocprim17ROCPRIM_400000_NS6detail17trampoline_kernelINS0_14default_configENS1_29reduce_by_key_config_selectorIddN6thrust23THRUST_200600_302600_NS4plusIdEEEEZZNS1_33reduce_by_key_impl_wrapped_configILNS1_25lookback_scan_determinismE0ES3_S9_NS6_6detail15normal_iteratorINS6_10device_ptrIdEEEESG_SG_SG_PmS8_22is_equal_div_10_reduceIdEEE10hipError_tPvRmT2_T3_mT4_T5_T6_T7_T8_P12ihipStream_tbENKUlT_T0_E_clISt17integral_constantIbLb1EES10_IbLb0EEEEDaSW_SX_EUlSW_E_NS1_11comp_targetILNS1_3genE4ELNS1_11target_archE910ELNS1_3gpuE8ELNS1_3repE0EEENS1_30default_config_static_selectorELNS0_4arch9wavefront6targetE1EEEvT1_
    .private_segment_fixed_size: 0
    .sgpr_count:     69
    .sgpr_spill_count: 0
    .symbol:         _ZN7rocprim17ROCPRIM_400000_NS6detail17trampoline_kernelINS0_14default_configENS1_29reduce_by_key_config_selectorIddN6thrust23THRUST_200600_302600_NS4plusIdEEEEZZNS1_33reduce_by_key_impl_wrapped_configILNS1_25lookback_scan_determinismE0ES3_S9_NS6_6detail15normal_iteratorINS6_10device_ptrIdEEEESG_SG_SG_PmS8_22is_equal_div_10_reduceIdEEE10hipError_tPvRmT2_T3_mT4_T5_T6_T7_T8_P12ihipStream_tbENKUlT_T0_E_clISt17integral_constantIbLb1EES10_IbLb0EEEEDaSW_SX_EUlSW_E_NS1_11comp_targetILNS1_3genE4ELNS1_11target_archE910ELNS1_3gpuE8ELNS1_3repE0EEENS1_30default_config_static_selectorELNS0_4arch9wavefront6targetE1EEEvT1_.kd
    .uniform_work_group_size: 1
    .uses_dynamic_stack: false
    .vgpr_count:     120
    .vgpr_spill_count: 0
    .wavefront_size: 64
  - .agpr_count:     0
    .args:
      - .offset:         0
        .size:           136
        .value_kind:     by_value
    .group_segment_fixed_size: 0
    .kernarg_segment_align: 8
    .kernarg_segment_size: 136
    .language:       OpenCL C
    .language_version:
      - 2
      - 0
    .max_flat_workgroup_size: 256
    .name:           _ZN7rocprim17ROCPRIM_400000_NS6detail17trampoline_kernelINS0_14default_configENS1_29reduce_by_key_config_selectorIddN6thrust23THRUST_200600_302600_NS4plusIdEEEEZZNS1_33reduce_by_key_impl_wrapped_configILNS1_25lookback_scan_determinismE0ES3_S9_NS6_6detail15normal_iteratorINS6_10device_ptrIdEEEESG_SG_SG_PmS8_22is_equal_div_10_reduceIdEEE10hipError_tPvRmT2_T3_mT4_T5_T6_T7_T8_P12ihipStream_tbENKUlT_T0_E_clISt17integral_constantIbLb1EES10_IbLb0EEEEDaSW_SX_EUlSW_E_NS1_11comp_targetILNS1_3genE3ELNS1_11target_archE908ELNS1_3gpuE7ELNS1_3repE0EEENS1_30default_config_static_selectorELNS0_4arch9wavefront6targetE1EEEvT1_
    .private_segment_fixed_size: 0
    .sgpr_count:     4
    .sgpr_spill_count: 0
    .symbol:         _ZN7rocprim17ROCPRIM_400000_NS6detail17trampoline_kernelINS0_14default_configENS1_29reduce_by_key_config_selectorIddN6thrust23THRUST_200600_302600_NS4plusIdEEEEZZNS1_33reduce_by_key_impl_wrapped_configILNS1_25lookback_scan_determinismE0ES3_S9_NS6_6detail15normal_iteratorINS6_10device_ptrIdEEEESG_SG_SG_PmS8_22is_equal_div_10_reduceIdEEE10hipError_tPvRmT2_T3_mT4_T5_T6_T7_T8_P12ihipStream_tbENKUlT_T0_E_clISt17integral_constantIbLb1EES10_IbLb0EEEEDaSW_SX_EUlSW_E_NS1_11comp_targetILNS1_3genE3ELNS1_11target_archE908ELNS1_3gpuE7ELNS1_3repE0EEENS1_30default_config_static_selectorELNS0_4arch9wavefront6targetE1EEEvT1_.kd
    .uniform_work_group_size: 1
    .uses_dynamic_stack: false
    .vgpr_count:     0
    .vgpr_spill_count: 0
    .wavefront_size: 64
  - .agpr_count:     0
    .args:
      - .offset:         0
        .size:           136
        .value_kind:     by_value
    .group_segment_fixed_size: 0
    .kernarg_segment_align: 8
    .kernarg_segment_size: 136
    .language:       OpenCL C
    .language_version:
      - 2
      - 0
    .max_flat_workgroup_size: 256
    .name:           _ZN7rocprim17ROCPRIM_400000_NS6detail17trampoline_kernelINS0_14default_configENS1_29reduce_by_key_config_selectorIddN6thrust23THRUST_200600_302600_NS4plusIdEEEEZZNS1_33reduce_by_key_impl_wrapped_configILNS1_25lookback_scan_determinismE0ES3_S9_NS6_6detail15normal_iteratorINS6_10device_ptrIdEEEESG_SG_SG_PmS8_22is_equal_div_10_reduceIdEEE10hipError_tPvRmT2_T3_mT4_T5_T6_T7_T8_P12ihipStream_tbENKUlT_T0_E_clISt17integral_constantIbLb1EES10_IbLb0EEEEDaSW_SX_EUlSW_E_NS1_11comp_targetILNS1_3genE2ELNS1_11target_archE906ELNS1_3gpuE6ELNS1_3repE0EEENS1_30default_config_static_selectorELNS0_4arch9wavefront6targetE1EEEvT1_
    .private_segment_fixed_size: 0
    .sgpr_count:     4
    .sgpr_spill_count: 0
    .symbol:         _ZN7rocprim17ROCPRIM_400000_NS6detail17trampoline_kernelINS0_14default_configENS1_29reduce_by_key_config_selectorIddN6thrust23THRUST_200600_302600_NS4plusIdEEEEZZNS1_33reduce_by_key_impl_wrapped_configILNS1_25lookback_scan_determinismE0ES3_S9_NS6_6detail15normal_iteratorINS6_10device_ptrIdEEEESG_SG_SG_PmS8_22is_equal_div_10_reduceIdEEE10hipError_tPvRmT2_T3_mT4_T5_T6_T7_T8_P12ihipStream_tbENKUlT_T0_E_clISt17integral_constantIbLb1EES10_IbLb0EEEEDaSW_SX_EUlSW_E_NS1_11comp_targetILNS1_3genE2ELNS1_11target_archE906ELNS1_3gpuE6ELNS1_3repE0EEENS1_30default_config_static_selectorELNS0_4arch9wavefront6targetE1EEEvT1_.kd
    .uniform_work_group_size: 1
    .uses_dynamic_stack: false
    .vgpr_count:     0
    .vgpr_spill_count: 0
    .wavefront_size: 64
  - .agpr_count:     0
    .args:
      - .offset:         0
        .size:           136
        .value_kind:     by_value
    .group_segment_fixed_size: 0
    .kernarg_segment_align: 8
    .kernarg_segment_size: 136
    .language:       OpenCL C
    .language_version:
      - 2
      - 0
    .max_flat_workgroup_size: 256
    .name:           _ZN7rocprim17ROCPRIM_400000_NS6detail17trampoline_kernelINS0_14default_configENS1_29reduce_by_key_config_selectorIddN6thrust23THRUST_200600_302600_NS4plusIdEEEEZZNS1_33reduce_by_key_impl_wrapped_configILNS1_25lookback_scan_determinismE0ES3_S9_NS6_6detail15normal_iteratorINS6_10device_ptrIdEEEESG_SG_SG_PmS8_22is_equal_div_10_reduceIdEEE10hipError_tPvRmT2_T3_mT4_T5_T6_T7_T8_P12ihipStream_tbENKUlT_T0_E_clISt17integral_constantIbLb1EES10_IbLb0EEEEDaSW_SX_EUlSW_E_NS1_11comp_targetILNS1_3genE10ELNS1_11target_archE1201ELNS1_3gpuE5ELNS1_3repE0EEENS1_30default_config_static_selectorELNS0_4arch9wavefront6targetE1EEEvT1_
    .private_segment_fixed_size: 0
    .sgpr_count:     4
    .sgpr_spill_count: 0
    .symbol:         _ZN7rocprim17ROCPRIM_400000_NS6detail17trampoline_kernelINS0_14default_configENS1_29reduce_by_key_config_selectorIddN6thrust23THRUST_200600_302600_NS4plusIdEEEEZZNS1_33reduce_by_key_impl_wrapped_configILNS1_25lookback_scan_determinismE0ES3_S9_NS6_6detail15normal_iteratorINS6_10device_ptrIdEEEESG_SG_SG_PmS8_22is_equal_div_10_reduceIdEEE10hipError_tPvRmT2_T3_mT4_T5_T6_T7_T8_P12ihipStream_tbENKUlT_T0_E_clISt17integral_constantIbLb1EES10_IbLb0EEEEDaSW_SX_EUlSW_E_NS1_11comp_targetILNS1_3genE10ELNS1_11target_archE1201ELNS1_3gpuE5ELNS1_3repE0EEENS1_30default_config_static_selectorELNS0_4arch9wavefront6targetE1EEEvT1_.kd
    .uniform_work_group_size: 1
    .uses_dynamic_stack: false
    .vgpr_count:     0
    .vgpr_spill_count: 0
    .wavefront_size: 64
  - .agpr_count:     0
    .args:
      - .offset:         0
        .size:           136
        .value_kind:     by_value
    .group_segment_fixed_size: 0
    .kernarg_segment_align: 8
    .kernarg_segment_size: 136
    .language:       OpenCL C
    .language_version:
      - 2
      - 0
    .max_flat_workgroup_size: 256
    .name:           _ZN7rocprim17ROCPRIM_400000_NS6detail17trampoline_kernelINS0_14default_configENS1_29reduce_by_key_config_selectorIddN6thrust23THRUST_200600_302600_NS4plusIdEEEEZZNS1_33reduce_by_key_impl_wrapped_configILNS1_25lookback_scan_determinismE0ES3_S9_NS6_6detail15normal_iteratorINS6_10device_ptrIdEEEESG_SG_SG_PmS8_22is_equal_div_10_reduceIdEEE10hipError_tPvRmT2_T3_mT4_T5_T6_T7_T8_P12ihipStream_tbENKUlT_T0_E_clISt17integral_constantIbLb1EES10_IbLb0EEEEDaSW_SX_EUlSW_E_NS1_11comp_targetILNS1_3genE10ELNS1_11target_archE1200ELNS1_3gpuE4ELNS1_3repE0EEENS1_30default_config_static_selectorELNS0_4arch9wavefront6targetE1EEEvT1_
    .private_segment_fixed_size: 0
    .sgpr_count:     4
    .sgpr_spill_count: 0
    .symbol:         _ZN7rocprim17ROCPRIM_400000_NS6detail17trampoline_kernelINS0_14default_configENS1_29reduce_by_key_config_selectorIddN6thrust23THRUST_200600_302600_NS4plusIdEEEEZZNS1_33reduce_by_key_impl_wrapped_configILNS1_25lookback_scan_determinismE0ES3_S9_NS6_6detail15normal_iteratorINS6_10device_ptrIdEEEESG_SG_SG_PmS8_22is_equal_div_10_reduceIdEEE10hipError_tPvRmT2_T3_mT4_T5_T6_T7_T8_P12ihipStream_tbENKUlT_T0_E_clISt17integral_constantIbLb1EES10_IbLb0EEEEDaSW_SX_EUlSW_E_NS1_11comp_targetILNS1_3genE10ELNS1_11target_archE1200ELNS1_3gpuE4ELNS1_3repE0EEENS1_30default_config_static_selectorELNS0_4arch9wavefront6targetE1EEEvT1_.kd
    .uniform_work_group_size: 1
    .uses_dynamic_stack: false
    .vgpr_count:     0
    .vgpr_spill_count: 0
    .wavefront_size: 64
  - .agpr_count:     0
    .args:
      - .offset:         0
        .size:           136
        .value_kind:     by_value
    .group_segment_fixed_size: 0
    .kernarg_segment_align: 8
    .kernarg_segment_size: 136
    .language:       OpenCL C
    .language_version:
      - 2
      - 0
    .max_flat_workgroup_size: 256
    .name:           _ZN7rocprim17ROCPRIM_400000_NS6detail17trampoline_kernelINS0_14default_configENS1_29reduce_by_key_config_selectorIddN6thrust23THRUST_200600_302600_NS4plusIdEEEEZZNS1_33reduce_by_key_impl_wrapped_configILNS1_25lookback_scan_determinismE0ES3_S9_NS6_6detail15normal_iteratorINS6_10device_ptrIdEEEESG_SG_SG_PmS8_22is_equal_div_10_reduceIdEEE10hipError_tPvRmT2_T3_mT4_T5_T6_T7_T8_P12ihipStream_tbENKUlT_T0_E_clISt17integral_constantIbLb1EES10_IbLb0EEEEDaSW_SX_EUlSW_E_NS1_11comp_targetILNS1_3genE9ELNS1_11target_archE1100ELNS1_3gpuE3ELNS1_3repE0EEENS1_30default_config_static_selectorELNS0_4arch9wavefront6targetE1EEEvT1_
    .private_segment_fixed_size: 0
    .sgpr_count:     4
    .sgpr_spill_count: 0
    .symbol:         _ZN7rocprim17ROCPRIM_400000_NS6detail17trampoline_kernelINS0_14default_configENS1_29reduce_by_key_config_selectorIddN6thrust23THRUST_200600_302600_NS4plusIdEEEEZZNS1_33reduce_by_key_impl_wrapped_configILNS1_25lookback_scan_determinismE0ES3_S9_NS6_6detail15normal_iteratorINS6_10device_ptrIdEEEESG_SG_SG_PmS8_22is_equal_div_10_reduceIdEEE10hipError_tPvRmT2_T3_mT4_T5_T6_T7_T8_P12ihipStream_tbENKUlT_T0_E_clISt17integral_constantIbLb1EES10_IbLb0EEEEDaSW_SX_EUlSW_E_NS1_11comp_targetILNS1_3genE9ELNS1_11target_archE1100ELNS1_3gpuE3ELNS1_3repE0EEENS1_30default_config_static_selectorELNS0_4arch9wavefront6targetE1EEEvT1_.kd
    .uniform_work_group_size: 1
    .uses_dynamic_stack: false
    .vgpr_count:     0
    .vgpr_spill_count: 0
    .wavefront_size: 64
  - .agpr_count:     0
    .args:
      - .offset:         0
        .size:           136
        .value_kind:     by_value
    .group_segment_fixed_size: 0
    .kernarg_segment_align: 8
    .kernarg_segment_size: 136
    .language:       OpenCL C
    .language_version:
      - 2
      - 0
    .max_flat_workgroup_size: 256
    .name:           _ZN7rocprim17ROCPRIM_400000_NS6detail17trampoline_kernelINS0_14default_configENS1_29reduce_by_key_config_selectorIddN6thrust23THRUST_200600_302600_NS4plusIdEEEEZZNS1_33reduce_by_key_impl_wrapped_configILNS1_25lookback_scan_determinismE0ES3_S9_NS6_6detail15normal_iteratorINS6_10device_ptrIdEEEESG_SG_SG_PmS8_22is_equal_div_10_reduceIdEEE10hipError_tPvRmT2_T3_mT4_T5_T6_T7_T8_P12ihipStream_tbENKUlT_T0_E_clISt17integral_constantIbLb1EES10_IbLb0EEEEDaSW_SX_EUlSW_E_NS1_11comp_targetILNS1_3genE8ELNS1_11target_archE1030ELNS1_3gpuE2ELNS1_3repE0EEENS1_30default_config_static_selectorELNS0_4arch9wavefront6targetE1EEEvT1_
    .private_segment_fixed_size: 0
    .sgpr_count:     4
    .sgpr_spill_count: 0
    .symbol:         _ZN7rocprim17ROCPRIM_400000_NS6detail17trampoline_kernelINS0_14default_configENS1_29reduce_by_key_config_selectorIddN6thrust23THRUST_200600_302600_NS4plusIdEEEEZZNS1_33reduce_by_key_impl_wrapped_configILNS1_25lookback_scan_determinismE0ES3_S9_NS6_6detail15normal_iteratorINS6_10device_ptrIdEEEESG_SG_SG_PmS8_22is_equal_div_10_reduceIdEEE10hipError_tPvRmT2_T3_mT4_T5_T6_T7_T8_P12ihipStream_tbENKUlT_T0_E_clISt17integral_constantIbLb1EES10_IbLb0EEEEDaSW_SX_EUlSW_E_NS1_11comp_targetILNS1_3genE8ELNS1_11target_archE1030ELNS1_3gpuE2ELNS1_3repE0EEENS1_30default_config_static_selectorELNS0_4arch9wavefront6targetE1EEEvT1_.kd
    .uniform_work_group_size: 1
    .uses_dynamic_stack: false
    .vgpr_count:     0
    .vgpr_spill_count: 0
    .wavefront_size: 64
  - .agpr_count:     0
    .args:
      - .offset:         0
        .size:           136
        .value_kind:     by_value
    .group_segment_fixed_size: 0
    .kernarg_segment_align: 8
    .kernarg_segment_size: 136
    .language:       OpenCL C
    .language_version:
      - 2
      - 0
    .max_flat_workgroup_size: 256
    .name:           _ZN7rocprim17ROCPRIM_400000_NS6detail17trampoline_kernelINS0_14default_configENS1_29reduce_by_key_config_selectorIddN6thrust23THRUST_200600_302600_NS4plusIdEEEEZZNS1_33reduce_by_key_impl_wrapped_configILNS1_25lookback_scan_determinismE0ES3_S9_NS6_6detail15normal_iteratorINS6_10device_ptrIdEEEESG_SG_SG_PmS8_22is_equal_div_10_reduceIdEEE10hipError_tPvRmT2_T3_mT4_T5_T6_T7_T8_P12ihipStream_tbENKUlT_T0_E_clISt17integral_constantIbLb0EES10_IbLb1EEEEDaSW_SX_EUlSW_E_NS1_11comp_targetILNS1_3genE0ELNS1_11target_archE4294967295ELNS1_3gpuE0ELNS1_3repE0EEENS1_30default_config_static_selectorELNS0_4arch9wavefront6targetE1EEEvT1_
    .private_segment_fixed_size: 0
    .sgpr_count:     4
    .sgpr_spill_count: 0
    .symbol:         _ZN7rocprim17ROCPRIM_400000_NS6detail17trampoline_kernelINS0_14default_configENS1_29reduce_by_key_config_selectorIddN6thrust23THRUST_200600_302600_NS4plusIdEEEEZZNS1_33reduce_by_key_impl_wrapped_configILNS1_25lookback_scan_determinismE0ES3_S9_NS6_6detail15normal_iteratorINS6_10device_ptrIdEEEESG_SG_SG_PmS8_22is_equal_div_10_reduceIdEEE10hipError_tPvRmT2_T3_mT4_T5_T6_T7_T8_P12ihipStream_tbENKUlT_T0_E_clISt17integral_constantIbLb0EES10_IbLb1EEEEDaSW_SX_EUlSW_E_NS1_11comp_targetILNS1_3genE0ELNS1_11target_archE4294967295ELNS1_3gpuE0ELNS1_3repE0EEENS1_30default_config_static_selectorELNS0_4arch9wavefront6targetE1EEEvT1_.kd
    .uniform_work_group_size: 1
    .uses_dynamic_stack: false
    .vgpr_count:     0
    .vgpr_spill_count: 0
    .wavefront_size: 64
  - .agpr_count:     0
    .args:
      - .offset:         0
        .size:           136
        .value_kind:     by_value
    .group_segment_fixed_size: 0
    .kernarg_segment_align: 8
    .kernarg_segment_size: 136
    .language:       OpenCL C
    .language_version:
      - 2
      - 0
    .max_flat_workgroup_size: 256
    .name:           _ZN7rocprim17ROCPRIM_400000_NS6detail17trampoline_kernelINS0_14default_configENS1_29reduce_by_key_config_selectorIddN6thrust23THRUST_200600_302600_NS4plusIdEEEEZZNS1_33reduce_by_key_impl_wrapped_configILNS1_25lookback_scan_determinismE0ES3_S9_NS6_6detail15normal_iteratorINS6_10device_ptrIdEEEESG_SG_SG_PmS8_22is_equal_div_10_reduceIdEEE10hipError_tPvRmT2_T3_mT4_T5_T6_T7_T8_P12ihipStream_tbENKUlT_T0_E_clISt17integral_constantIbLb0EES10_IbLb1EEEEDaSW_SX_EUlSW_E_NS1_11comp_targetILNS1_3genE5ELNS1_11target_archE942ELNS1_3gpuE9ELNS1_3repE0EEENS1_30default_config_static_selectorELNS0_4arch9wavefront6targetE1EEEvT1_
    .private_segment_fixed_size: 0
    .sgpr_count:     4
    .sgpr_spill_count: 0
    .symbol:         _ZN7rocprim17ROCPRIM_400000_NS6detail17trampoline_kernelINS0_14default_configENS1_29reduce_by_key_config_selectorIddN6thrust23THRUST_200600_302600_NS4plusIdEEEEZZNS1_33reduce_by_key_impl_wrapped_configILNS1_25lookback_scan_determinismE0ES3_S9_NS6_6detail15normal_iteratorINS6_10device_ptrIdEEEESG_SG_SG_PmS8_22is_equal_div_10_reduceIdEEE10hipError_tPvRmT2_T3_mT4_T5_T6_T7_T8_P12ihipStream_tbENKUlT_T0_E_clISt17integral_constantIbLb0EES10_IbLb1EEEEDaSW_SX_EUlSW_E_NS1_11comp_targetILNS1_3genE5ELNS1_11target_archE942ELNS1_3gpuE9ELNS1_3repE0EEENS1_30default_config_static_selectorELNS0_4arch9wavefront6targetE1EEEvT1_.kd
    .uniform_work_group_size: 1
    .uses_dynamic_stack: false
    .vgpr_count:     0
    .vgpr_spill_count: 0
    .wavefront_size: 64
  - .agpr_count:     0
    .args:
      - .offset:         0
        .size:           136
        .value_kind:     by_value
    .group_segment_fixed_size: 30720
    .kernarg_segment_align: 8
    .kernarg_segment_size: 136
    .language:       OpenCL C
    .language_version:
      - 2
      - 0
    .max_flat_workgroup_size: 256
    .name:           _ZN7rocprim17ROCPRIM_400000_NS6detail17trampoline_kernelINS0_14default_configENS1_29reduce_by_key_config_selectorIddN6thrust23THRUST_200600_302600_NS4plusIdEEEEZZNS1_33reduce_by_key_impl_wrapped_configILNS1_25lookback_scan_determinismE0ES3_S9_NS6_6detail15normal_iteratorINS6_10device_ptrIdEEEESG_SG_SG_PmS8_22is_equal_div_10_reduceIdEEE10hipError_tPvRmT2_T3_mT4_T5_T6_T7_T8_P12ihipStream_tbENKUlT_T0_E_clISt17integral_constantIbLb0EES10_IbLb1EEEEDaSW_SX_EUlSW_E_NS1_11comp_targetILNS1_3genE4ELNS1_11target_archE910ELNS1_3gpuE8ELNS1_3repE0EEENS1_30default_config_static_selectorELNS0_4arch9wavefront6targetE1EEEvT1_
    .private_segment_fixed_size: 0
    .sgpr_count:     70
    .sgpr_spill_count: 0
    .symbol:         _ZN7rocprim17ROCPRIM_400000_NS6detail17trampoline_kernelINS0_14default_configENS1_29reduce_by_key_config_selectorIddN6thrust23THRUST_200600_302600_NS4plusIdEEEEZZNS1_33reduce_by_key_impl_wrapped_configILNS1_25lookback_scan_determinismE0ES3_S9_NS6_6detail15normal_iteratorINS6_10device_ptrIdEEEESG_SG_SG_PmS8_22is_equal_div_10_reduceIdEEE10hipError_tPvRmT2_T3_mT4_T5_T6_T7_T8_P12ihipStream_tbENKUlT_T0_E_clISt17integral_constantIbLb0EES10_IbLb1EEEEDaSW_SX_EUlSW_E_NS1_11comp_targetILNS1_3genE4ELNS1_11target_archE910ELNS1_3gpuE8ELNS1_3repE0EEENS1_30default_config_static_selectorELNS0_4arch9wavefront6targetE1EEEvT1_.kd
    .uniform_work_group_size: 1
    .uses_dynamic_stack: false
    .vgpr_count:     120
    .vgpr_spill_count: 0
    .wavefront_size: 64
  - .agpr_count:     0
    .args:
      - .offset:         0
        .size:           136
        .value_kind:     by_value
    .group_segment_fixed_size: 0
    .kernarg_segment_align: 8
    .kernarg_segment_size: 136
    .language:       OpenCL C
    .language_version:
      - 2
      - 0
    .max_flat_workgroup_size: 256
    .name:           _ZN7rocprim17ROCPRIM_400000_NS6detail17trampoline_kernelINS0_14default_configENS1_29reduce_by_key_config_selectorIddN6thrust23THRUST_200600_302600_NS4plusIdEEEEZZNS1_33reduce_by_key_impl_wrapped_configILNS1_25lookback_scan_determinismE0ES3_S9_NS6_6detail15normal_iteratorINS6_10device_ptrIdEEEESG_SG_SG_PmS8_22is_equal_div_10_reduceIdEEE10hipError_tPvRmT2_T3_mT4_T5_T6_T7_T8_P12ihipStream_tbENKUlT_T0_E_clISt17integral_constantIbLb0EES10_IbLb1EEEEDaSW_SX_EUlSW_E_NS1_11comp_targetILNS1_3genE3ELNS1_11target_archE908ELNS1_3gpuE7ELNS1_3repE0EEENS1_30default_config_static_selectorELNS0_4arch9wavefront6targetE1EEEvT1_
    .private_segment_fixed_size: 0
    .sgpr_count:     4
    .sgpr_spill_count: 0
    .symbol:         _ZN7rocprim17ROCPRIM_400000_NS6detail17trampoline_kernelINS0_14default_configENS1_29reduce_by_key_config_selectorIddN6thrust23THRUST_200600_302600_NS4plusIdEEEEZZNS1_33reduce_by_key_impl_wrapped_configILNS1_25lookback_scan_determinismE0ES3_S9_NS6_6detail15normal_iteratorINS6_10device_ptrIdEEEESG_SG_SG_PmS8_22is_equal_div_10_reduceIdEEE10hipError_tPvRmT2_T3_mT4_T5_T6_T7_T8_P12ihipStream_tbENKUlT_T0_E_clISt17integral_constantIbLb0EES10_IbLb1EEEEDaSW_SX_EUlSW_E_NS1_11comp_targetILNS1_3genE3ELNS1_11target_archE908ELNS1_3gpuE7ELNS1_3repE0EEENS1_30default_config_static_selectorELNS0_4arch9wavefront6targetE1EEEvT1_.kd
    .uniform_work_group_size: 1
    .uses_dynamic_stack: false
    .vgpr_count:     0
    .vgpr_spill_count: 0
    .wavefront_size: 64
  - .agpr_count:     0
    .args:
      - .offset:         0
        .size:           136
        .value_kind:     by_value
    .group_segment_fixed_size: 0
    .kernarg_segment_align: 8
    .kernarg_segment_size: 136
    .language:       OpenCL C
    .language_version:
      - 2
      - 0
    .max_flat_workgroup_size: 256
    .name:           _ZN7rocprim17ROCPRIM_400000_NS6detail17trampoline_kernelINS0_14default_configENS1_29reduce_by_key_config_selectorIddN6thrust23THRUST_200600_302600_NS4plusIdEEEEZZNS1_33reduce_by_key_impl_wrapped_configILNS1_25lookback_scan_determinismE0ES3_S9_NS6_6detail15normal_iteratorINS6_10device_ptrIdEEEESG_SG_SG_PmS8_22is_equal_div_10_reduceIdEEE10hipError_tPvRmT2_T3_mT4_T5_T6_T7_T8_P12ihipStream_tbENKUlT_T0_E_clISt17integral_constantIbLb0EES10_IbLb1EEEEDaSW_SX_EUlSW_E_NS1_11comp_targetILNS1_3genE2ELNS1_11target_archE906ELNS1_3gpuE6ELNS1_3repE0EEENS1_30default_config_static_selectorELNS0_4arch9wavefront6targetE1EEEvT1_
    .private_segment_fixed_size: 0
    .sgpr_count:     4
    .sgpr_spill_count: 0
    .symbol:         _ZN7rocprim17ROCPRIM_400000_NS6detail17trampoline_kernelINS0_14default_configENS1_29reduce_by_key_config_selectorIddN6thrust23THRUST_200600_302600_NS4plusIdEEEEZZNS1_33reduce_by_key_impl_wrapped_configILNS1_25lookback_scan_determinismE0ES3_S9_NS6_6detail15normal_iteratorINS6_10device_ptrIdEEEESG_SG_SG_PmS8_22is_equal_div_10_reduceIdEEE10hipError_tPvRmT2_T3_mT4_T5_T6_T7_T8_P12ihipStream_tbENKUlT_T0_E_clISt17integral_constantIbLb0EES10_IbLb1EEEEDaSW_SX_EUlSW_E_NS1_11comp_targetILNS1_3genE2ELNS1_11target_archE906ELNS1_3gpuE6ELNS1_3repE0EEENS1_30default_config_static_selectorELNS0_4arch9wavefront6targetE1EEEvT1_.kd
    .uniform_work_group_size: 1
    .uses_dynamic_stack: false
    .vgpr_count:     0
    .vgpr_spill_count: 0
    .wavefront_size: 64
  - .agpr_count:     0
    .args:
      - .offset:         0
        .size:           136
        .value_kind:     by_value
    .group_segment_fixed_size: 0
    .kernarg_segment_align: 8
    .kernarg_segment_size: 136
    .language:       OpenCL C
    .language_version:
      - 2
      - 0
    .max_flat_workgroup_size: 256
    .name:           _ZN7rocprim17ROCPRIM_400000_NS6detail17trampoline_kernelINS0_14default_configENS1_29reduce_by_key_config_selectorIddN6thrust23THRUST_200600_302600_NS4plusIdEEEEZZNS1_33reduce_by_key_impl_wrapped_configILNS1_25lookback_scan_determinismE0ES3_S9_NS6_6detail15normal_iteratorINS6_10device_ptrIdEEEESG_SG_SG_PmS8_22is_equal_div_10_reduceIdEEE10hipError_tPvRmT2_T3_mT4_T5_T6_T7_T8_P12ihipStream_tbENKUlT_T0_E_clISt17integral_constantIbLb0EES10_IbLb1EEEEDaSW_SX_EUlSW_E_NS1_11comp_targetILNS1_3genE10ELNS1_11target_archE1201ELNS1_3gpuE5ELNS1_3repE0EEENS1_30default_config_static_selectorELNS0_4arch9wavefront6targetE1EEEvT1_
    .private_segment_fixed_size: 0
    .sgpr_count:     4
    .sgpr_spill_count: 0
    .symbol:         _ZN7rocprim17ROCPRIM_400000_NS6detail17trampoline_kernelINS0_14default_configENS1_29reduce_by_key_config_selectorIddN6thrust23THRUST_200600_302600_NS4plusIdEEEEZZNS1_33reduce_by_key_impl_wrapped_configILNS1_25lookback_scan_determinismE0ES3_S9_NS6_6detail15normal_iteratorINS6_10device_ptrIdEEEESG_SG_SG_PmS8_22is_equal_div_10_reduceIdEEE10hipError_tPvRmT2_T3_mT4_T5_T6_T7_T8_P12ihipStream_tbENKUlT_T0_E_clISt17integral_constantIbLb0EES10_IbLb1EEEEDaSW_SX_EUlSW_E_NS1_11comp_targetILNS1_3genE10ELNS1_11target_archE1201ELNS1_3gpuE5ELNS1_3repE0EEENS1_30default_config_static_selectorELNS0_4arch9wavefront6targetE1EEEvT1_.kd
    .uniform_work_group_size: 1
    .uses_dynamic_stack: false
    .vgpr_count:     0
    .vgpr_spill_count: 0
    .wavefront_size: 64
  - .agpr_count:     0
    .args:
      - .offset:         0
        .size:           136
        .value_kind:     by_value
    .group_segment_fixed_size: 0
    .kernarg_segment_align: 8
    .kernarg_segment_size: 136
    .language:       OpenCL C
    .language_version:
      - 2
      - 0
    .max_flat_workgroup_size: 256
    .name:           _ZN7rocprim17ROCPRIM_400000_NS6detail17trampoline_kernelINS0_14default_configENS1_29reduce_by_key_config_selectorIddN6thrust23THRUST_200600_302600_NS4plusIdEEEEZZNS1_33reduce_by_key_impl_wrapped_configILNS1_25lookback_scan_determinismE0ES3_S9_NS6_6detail15normal_iteratorINS6_10device_ptrIdEEEESG_SG_SG_PmS8_22is_equal_div_10_reduceIdEEE10hipError_tPvRmT2_T3_mT4_T5_T6_T7_T8_P12ihipStream_tbENKUlT_T0_E_clISt17integral_constantIbLb0EES10_IbLb1EEEEDaSW_SX_EUlSW_E_NS1_11comp_targetILNS1_3genE10ELNS1_11target_archE1200ELNS1_3gpuE4ELNS1_3repE0EEENS1_30default_config_static_selectorELNS0_4arch9wavefront6targetE1EEEvT1_
    .private_segment_fixed_size: 0
    .sgpr_count:     4
    .sgpr_spill_count: 0
    .symbol:         _ZN7rocprim17ROCPRIM_400000_NS6detail17trampoline_kernelINS0_14default_configENS1_29reduce_by_key_config_selectorIddN6thrust23THRUST_200600_302600_NS4plusIdEEEEZZNS1_33reduce_by_key_impl_wrapped_configILNS1_25lookback_scan_determinismE0ES3_S9_NS6_6detail15normal_iteratorINS6_10device_ptrIdEEEESG_SG_SG_PmS8_22is_equal_div_10_reduceIdEEE10hipError_tPvRmT2_T3_mT4_T5_T6_T7_T8_P12ihipStream_tbENKUlT_T0_E_clISt17integral_constantIbLb0EES10_IbLb1EEEEDaSW_SX_EUlSW_E_NS1_11comp_targetILNS1_3genE10ELNS1_11target_archE1200ELNS1_3gpuE4ELNS1_3repE0EEENS1_30default_config_static_selectorELNS0_4arch9wavefront6targetE1EEEvT1_.kd
    .uniform_work_group_size: 1
    .uses_dynamic_stack: false
    .vgpr_count:     0
    .vgpr_spill_count: 0
    .wavefront_size: 64
  - .agpr_count:     0
    .args:
      - .offset:         0
        .size:           136
        .value_kind:     by_value
    .group_segment_fixed_size: 0
    .kernarg_segment_align: 8
    .kernarg_segment_size: 136
    .language:       OpenCL C
    .language_version:
      - 2
      - 0
    .max_flat_workgroup_size: 256
    .name:           _ZN7rocprim17ROCPRIM_400000_NS6detail17trampoline_kernelINS0_14default_configENS1_29reduce_by_key_config_selectorIddN6thrust23THRUST_200600_302600_NS4plusIdEEEEZZNS1_33reduce_by_key_impl_wrapped_configILNS1_25lookback_scan_determinismE0ES3_S9_NS6_6detail15normal_iteratorINS6_10device_ptrIdEEEESG_SG_SG_PmS8_22is_equal_div_10_reduceIdEEE10hipError_tPvRmT2_T3_mT4_T5_T6_T7_T8_P12ihipStream_tbENKUlT_T0_E_clISt17integral_constantIbLb0EES10_IbLb1EEEEDaSW_SX_EUlSW_E_NS1_11comp_targetILNS1_3genE9ELNS1_11target_archE1100ELNS1_3gpuE3ELNS1_3repE0EEENS1_30default_config_static_selectorELNS0_4arch9wavefront6targetE1EEEvT1_
    .private_segment_fixed_size: 0
    .sgpr_count:     4
    .sgpr_spill_count: 0
    .symbol:         _ZN7rocprim17ROCPRIM_400000_NS6detail17trampoline_kernelINS0_14default_configENS1_29reduce_by_key_config_selectorIddN6thrust23THRUST_200600_302600_NS4plusIdEEEEZZNS1_33reduce_by_key_impl_wrapped_configILNS1_25lookback_scan_determinismE0ES3_S9_NS6_6detail15normal_iteratorINS6_10device_ptrIdEEEESG_SG_SG_PmS8_22is_equal_div_10_reduceIdEEE10hipError_tPvRmT2_T3_mT4_T5_T6_T7_T8_P12ihipStream_tbENKUlT_T0_E_clISt17integral_constantIbLb0EES10_IbLb1EEEEDaSW_SX_EUlSW_E_NS1_11comp_targetILNS1_3genE9ELNS1_11target_archE1100ELNS1_3gpuE3ELNS1_3repE0EEENS1_30default_config_static_selectorELNS0_4arch9wavefront6targetE1EEEvT1_.kd
    .uniform_work_group_size: 1
    .uses_dynamic_stack: false
    .vgpr_count:     0
    .vgpr_spill_count: 0
    .wavefront_size: 64
  - .agpr_count:     0
    .args:
      - .offset:         0
        .size:           136
        .value_kind:     by_value
    .group_segment_fixed_size: 0
    .kernarg_segment_align: 8
    .kernarg_segment_size: 136
    .language:       OpenCL C
    .language_version:
      - 2
      - 0
    .max_flat_workgroup_size: 256
    .name:           _ZN7rocprim17ROCPRIM_400000_NS6detail17trampoline_kernelINS0_14default_configENS1_29reduce_by_key_config_selectorIddN6thrust23THRUST_200600_302600_NS4plusIdEEEEZZNS1_33reduce_by_key_impl_wrapped_configILNS1_25lookback_scan_determinismE0ES3_S9_NS6_6detail15normal_iteratorINS6_10device_ptrIdEEEESG_SG_SG_PmS8_22is_equal_div_10_reduceIdEEE10hipError_tPvRmT2_T3_mT4_T5_T6_T7_T8_P12ihipStream_tbENKUlT_T0_E_clISt17integral_constantIbLb0EES10_IbLb1EEEEDaSW_SX_EUlSW_E_NS1_11comp_targetILNS1_3genE8ELNS1_11target_archE1030ELNS1_3gpuE2ELNS1_3repE0EEENS1_30default_config_static_selectorELNS0_4arch9wavefront6targetE1EEEvT1_
    .private_segment_fixed_size: 0
    .sgpr_count:     4
    .sgpr_spill_count: 0
    .symbol:         _ZN7rocprim17ROCPRIM_400000_NS6detail17trampoline_kernelINS0_14default_configENS1_29reduce_by_key_config_selectorIddN6thrust23THRUST_200600_302600_NS4plusIdEEEEZZNS1_33reduce_by_key_impl_wrapped_configILNS1_25lookback_scan_determinismE0ES3_S9_NS6_6detail15normal_iteratorINS6_10device_ptrIdEEEESG_SG_SG_PmS8_22is_equal_div_10_reduceIdEEE10hipError_tPvRmT2_T3_mT4_T5_T6_T7_T8_P12ihipStream_tbENKUlT_T0_E_clISt17integral_constantIbLb0EES10_IbLb1EEEEDaSW_SX_EUlSW_E_NS1_11comp_targetILNS1_3genE8ELNS1_11target_archE1030ELNS1_3gpuE2ELNS1_3repE0EEENS1_30default_config_static_selectorELNS0_4arch9wavefront6targetE1EEEvT1_.kd
    .uniform_work_group_size: 1
    .uses_dynamic_stack: false
    .vgpr_count:     0
    .vgpr_spill_count: 0
    .wavefront_size: 64
  - .agpr_count:     0
    .args:
      - .offset:         0
        .size:           16
        .value_kind:     by_value
      - .offset:         16
        .size:           8
        .value_kind:     by_value
      - .offset:         24
        .size:           8
        .value_kind:     by_value
    .group_segment_fixed_size: 0
    .kernarg_segment_align: 8
    .kernarg_segment_size: 32
    .language:       OpenCL C
    .language_version:
      - 2
      - 0
    .max_flat_workgroup_size: 256
    .name:           _ZN6thrust23THRUST_200600_302600_NS11hip_rocprim14__parallel_for6kernelILj256ENS1_20__uninitialized_fill7functorINS0_10device_ptrIfEEfEEmLj1EEEvT0_T1_SA_
    .private_segment_fixed_size: 0
    .sgpr_count:     16
    .sgpr_spill_count: 0
    .symbol:         _ZN6thrust23THRUST_200600_302600_NS11hip_rocprim14__parallel_for6kernelILj256ENS1_20__uninitialized_fill7functorINS0_10device_ptrIfEEfEEmLj1EEEvT0_T1_SA_.kd
    .uniform_work_group_size: 1
    .uses_dynamic_stack: false
    .vgpr_count:     4
    .vgpr_spill_count: 0
    .wavefront_size: 64
  - .agpr_count:     0
    .args:
      - .address_space:  global
        .offset:         0
        .size:           8
        .value_kind:     global_buffer
      - .offset:         8
        .size:           4
        .value_kind:     by_value
      - .offset:         12
        .size:           1
        .value_kind:     by_value
      - .offset:         16
        .size:           4
        .value_kind:     by_value
      - .address_space:  global
        .offset:         24
        .size:           8
        .value_kind:     global_buffer
      - .address_space:  global
        .offset:         32
        .size:           8
        .value_kind:     global_buffer
      - .offset:         40
        .size:           1
        .value_kind:     by_value
      - .offset:         48
        .size:           4
        .value_kind:     hidden_block_count_x
      - .offset:         52
        .size:           4
        .value_kind:     hidden_block_count_y
      - .offset:         56
        .size:           4
        .value_kind:     hidden_block_count_z
      - .offset:         60
        .size:           2
        .value_kind:     hidden_group_size_x
      - .offset:         62
        .size:           2
        .value_kind:     hidden_group_size_y
      - .offset:         64
        .size:           2
        .value_kind:     hidden_group_size_z
      - .offset:         66
        .size:           2
        .value_kind:     hidden_remainder_x
      - .offset:         68
        .size:           2
        .value_kind:     hidden_remainder_y
      - .offset:         70
        .size:           2
        .value_kind:     hidden_remainder_z
      - .offset:         88
        .size:           8
        .value_kind:     hidden_global_offset_x
      - .offset:         96
        .size:           8
        .value_kind:     hidden_global_offset_y
      - .offset:         104
        .size:           8
        .value_kind:     hidden_global_offset_z
      - .offset:         112
        .size:           2
        .value_kind:     hidden_grid_dims
    .group_segment_fixed_size: 0
    .kernarg_segment_align: 8
    .kernarg_segment_size: 304
    .language:       OpenCL C
    .language_version:
      - 2
      - 0
    .max_flat_workgroup_size: 256
    .name:           _ZN7rocprim17ROCPRIM_400000_NS6detail25reduce_by_key_init_kernelINS1_19lookback_scan_stateINS0_5tupleIJjfEEELb0ELb1EEEfNS1_16block_id_wrapperIjLb0EEEEEvT_jbjPmPT0_T1_
    .private_segment_fixed_size: 0
    .sgpr_count:     20
    .sgpr_spill_count: 0
    .symbol:         _ZN7rocprim17ROCPRIM_400000_NS6detail25reduce_by_key_init_kernelINS1_19lookback_scan_stateINS0_5tupleIJjfEEELb0ELb1EEEfNS1_16block_id_wrapperIjLb0EEEEEvT_jbjPmPT0_T1_.kd
    .uniform_work_group_size: 1
    .uses_dynamic_stack: false
    .vgpr_count:     14
    .vgpr_spill_count: 0
    .wavefront_size: 64
  - .agpr_count:     0
    .args:
      - .offset:         0
        .size:           120
        .value_kind:     by_value
    .group_segment_fixed_size: 0
    .kernarg_segment_align: 8
    .kernarg_segment_size: 120
    .language:       OpenCL C
    .language_version:
      - 2
      - 0
    .max_flat_workgroup_size: 256
    .name:           _ZN7rocprim17ROCPRIM_400000_NS6detail17trampoline_kernelINS0_14default_configENS1_29reduce_by_key_config_selectorIffN6thrust23THRUST_200600_302600_NS4plusIfEEEEZZNS1_33reduce_by_key_impl_wrapped_configILNS1_25lookback_scan_determinismE1ES3_S9_NS6_6detail15normal_iteratorINS6_10device_ptrIfEEEESG_SG_SG_PmS8_NS6_8equal_toIfEEEE10hipError_tPvRmT2_T3_mT4_T5_T6_T7_T8_P12ihipStream_tbENKUlT_T0_E_clISt17integral_constantIbLb0EES11_EEDaSW_SX_EUlSW_E_NS1_11comp_targetILNS1_3genE0ELNS1_11target_archE4294967295ELNS1_3gpuE0ELNS1_3repE0EEENS1_30default_config_static_selectorELNS0_4arch9wavefront6targetE1EEEvT1_
    .private_segment_fixed_size: 0
    .sgpr_count:     4
    .sgpr_spill_count: 0
    .symbol:         _ZN7rocprim17ROCPRIM_400000_NS6detail17trampoline_kernelINS0_14default_configENS1_29reduce_by_key_config_selectorIffN6thrust23THRUST_200600_302600_NS4plusIfEEEEZZNS1_33reduce_by_key_impl_wrapped_configILNS1_25lookback_scan_determinismE1ES3_S9_NS6_6detail15normal_iteratorINS6_10device_ptrIfEEEESG_SG_SG_PmS8_NS6_8equal_toIfEEEE10hipError_tPvRmT2_T3_mT4_T5_T6_T7_T8_P12ihipStream_tbENKUlT_T0_E_clISt17integral_constantIbLb0EES11_EEDaSW_SX_EUlSW_E_NS1_11comp_targetILNS1_3genE0ELNS1_11target_archE4294967295ELNS1_3gpuE0ELNS1_3repE0EEENS1_30default_config_static_selectorELNS0_4arch9wavefront6targetE1EEEvT1_.kd
    .uniform_work_group_size: 1
    .uses_dynamic_stack: false
    .vgpr_count:     0
    .vgpr_spill_count: 0
    .wavefront_size: 64
  - .agpr_count:     0
    .args:
      - .offset:         0
        .size:           120
        .value_kind:     by_value
    .group_segment_fixed_size: 0
    .kernarg_segment_align: 8
    .kernarg_segment_size: 120
    .language:       OpenCL C
    .language_version:
      - 2
      - 0
    .max_flat_workgroup_size: 256
    .name:           _ZN7rocprim17ROCPRIM_400000_NS6detail17trampoline_kernelINS0_14default_configENS1_29reduce_by_key_config_selectorIffN6thrust23THRUST_200600_302600_NS4plusIfEEEEZZNS1_33reduce_by_key_impl_wrapped_configILNS1_25lookback_scan_determinismE1ES3_S9_NS6_6detail15normal_iteratorINS6_10device_ptrIfEEEESG_SG_SG_PmS8_NS6_8equal_toIfEEEE10hipError_tPvRmT2_T3_mT4_T5_T6_T7_T8_P12ihipStream_tbENKUlT_T0_E_clISt17integral_constantIbLb0EES11_EEDaSW_SX_EUlSW_E_NS1_11comp_targetILNS1_3genE5ELNS1_11target_archE942ELNS1_3gpuE9ELNS1_3repE0EEENS1_30default_config_static_selectorELNS0_4arch9wavefront6targetE1EEEvT1_
    .private_segment_fixed_size: 0
    .sgpr_count:     4
    .sgpr_spill_count: 0
    .symbol:         _ZN7rocprim17ROCPRIM_400000_NS6detail17trampoline_kernelINS0_14default_configENS1_29reduce_by_key_config_selectorIffN6thrust23THRUST_200600_302600_NS4plusIfEEEEZZNS1_33reduce_by_key_impl_wrapped_configILNS1_25lookback_scan_determinismE1ES3_S9_NS6_6detail15normal_iteratorINS6_10device_ptrIfEEEESG_SG_SG_PmS8_NS6_8equal_toIfEEEE10hipError_tPvRmT2_T3_mT4_T5_T6_T7_T8_P12ihipStream_tbENKUlT_T0_E_clISt17integral_constantIbLb0EES11_EEDaSW_SX_EUlSW_E_NS1_11comp_targetILNS1_3genE5ELNS1_11target_archE942ELNS1_3gpuE9ELNS1_3repE0EEENS1_30default_config_static_selectorELNS0_4arch9wavefront6targetE1EEEvT1_.kd
    .uniform_work_group_size: 1
    .uses_dynamic_stack: false
    .vgpr_count:     0
    .vgpr_spill_count: 0
    .wavefront_size: 64
  - .agpr_count:     0
    .args:
      - .offset:         0
        .size:           120
        .value_kind:     by_value
    .group_segment_fixed_size: 15360
    .kernarg_segment_align: 8
    .kernarg_segment_size: 120
    .language:       OpenCL C
    .language_version:
      - 2
      - 0
    .max_flat_workgroup_size: 256
    .name:           _ZN7rocprim17ROCPRIM_400000_NS6detail17trampoline_kernelINS0_14default_configENS1_29reduce_by_key_config_selectorIffN6thrust23THRUST_200600_302600_NS4plusIfEEEEZZNS1_33reduce_by_key_impl_wrapped_configILNS1_25lookback_scan_determinismE1ES3_S9_NS6_6detail15normal_iteratorINS6_10device_ptrIfEEEESG_SG_SG_PmS8_NS6_8equal_toIfEEEE10hipError_tPvRmT2_T3_mT4_T5_T6_T7_T8_P12ihipStream_tbENKUlT_T0_E_clISt17integral_constantIbLb0EES11_EEDaSW_SX_EUlSW_E_NS1_11comp_targetILNS1_3genE4ELNS1_11target_archE910ELNS1_3gpuE8ELNS1_3repE0EEENS1_30default_config_static_selectorELNS0_4arch9wavefront6targetE1EEEvT1_
    .private_segment_fixed_size: 48
    .sgpr_count:     80
    .sgpr_spill_count: 0
    .symbol:         _ZN7rocprim17ROCPRIM_400000_NS6detail17trampoline_kernelINS0_14default_configENS1_29reduce_by_key_config_selectorIffN6thrust23THRUST_200600_302600_NS4plusIfEEEEZZNS1_33reduce_by_key_impl_wrapped_configILNS1_25lookback_scan_determinismE1ES3_S9_NS6_6detail15normal_iteratorINS6_10device_ptrIfEEEESG_SG_SG_PmS8_NS6_8equal_toIfEEEE10hipError_tPvRmT2_T3_mT4_T5_T6_T7_T8_P12ihipStream_tbENKUlT_T0_E_clISt17integral_constantIbLb0EES11_EEDaSW_SX_EUlSW_E_NS1_11comp_targetILNS1_3genE4ELNS1_11target_archE910ELNS1_3gpuE8ELNS1_3repE0EEENS1_30default_config_static_selectorELNS0_4arch9wavefront6targetE1EEEvT1_.kd
    .uniform_work_group_size: 1
    .uses_dynamic_stack: false
    .vgpr_count:     108
    .vgpr_spill_count: 0
    .wavefront_size: 64
  - .agpr_count:     0
    .args:
      - .offset:         0
        .size:           120
        .value_kind:     by_value
    .group_segment_fixed_size: 0
    .kernarg_segment_align: 8
    .kernarg_segment_size: 120
    .language:       OpenCL C
    .language_version:
      - 2
      - 0
    .max_flat_workgroup_size: 256
    .name:           _ZN7rocprim17ROCPRIM_400000_NS6detail17trampoline_kernelINS0_14default_configENS1_29reduce_by_key_config_selectorIffN6thrust23THRUST_200600_302600_NS4plusIfEEEEZZNS1_33reduce_by_key_impl_wrapped_configILNS1_25lookback_scan_determinismE1ES3_S9_NS6_6detail15normal_iteratorINS6_10device_ptrIfEEEESG_SG_SG_PmS8_NS6_8equal_toIfEEEE10hipError_tPvRmT2_T3_mT4_T5_T6_T7_T8_P12ihipStream_tbENKUlT_T0_E_clISt17integral_constantIbLb0EES11_EEDaSW_SX_EUlSW_E_NS1_11comp_targetILNS1_3genE3ELNS1_11target_archE908ELNS1_3gpuE7ELNS1_3repE0EEENS1_30default_config_static_selectorELNS0_4arch9wavefront6targetE1EEEvT1_
    .private_segment_fixed_size: 0
    .sgpr_count:     4
    .sgpr_spill_count: 0
    .symbol:         _ZN7rocprim17ROCPRIM_400000_NS6detail17trampoline_kernelINS0_14default_configENS1_29reduce_by_key_config_selectorIffN6thrust23THRUST_200600_302600_NS4plusIfEEEEZZNS1_33reduce_by_key_impl_wrapped_configILNS1_25lookback_scan_determinismE1ES3_S9_NS6_6detail15normal_iteratorINS6_10device_ptrIfEEEESG_SG_SG_PmS8_NS6_8equal_toIfEEEE10hipError_tPvRmT2_T3_mT4_T5_T6_T7_T8_P12ihipStream_tbENKUlT_T0_E_clISt17integral_constantIbLb0EES11_EEDaSW_SX_EUlSW_E_NS1_11comp_targetILNS1_3genE3ELNS1_11target_archE908ELNS1_3gpuE7ELNS1_3repE0EEENS1_30default_config_static_selectorELNS0_4arch9wavefront6targetE1EEEvT1_.kd
    .uniform_work_group_size: 1
    .uses_dynamic_stack: false
    .vgpr_count:     0
    .vgpr_spill_count: 0
    .wavefront_size: 64
  - .agpr_count:     0
    .args:
      - .offset:         0
        .size:           120
        .value_kind:     by_value
    .group_segment_fixed_size: 0
    .kernarg_segment_align: 8
    .kernarg_segment_size: 120
    .language:       OpenCL C
    .language_version:
      - 2
      - 0
    .max_flat_workgroup_size: 256
    .name:           _ZN7rocprim17ROCPRIM_400000_NS6detail17trampoline_kernelINS0_14default_configENS1_29reduce_by_key_config_selectorIffN6thrust23THRUST_200600_302600_NS4plusIfEEEEZZNS1_33reduce_by_key_impl_wrapped_configILNS1_25lookback_scan_determinismE1ES3_S9_NS6_6detail15normal_iteratorINS6_10device_ptrIfEEEESG_SG_SG_PmS8_NS6_8equal_toIfEEEE10hipError_tPvRmT2_T3_mT4_T5_T6_T7_T8_P12ihipStream_tbENKUlT_T0_E_clISt17integral_constantIbLb0EES11_EEDaSW_SX_EUlSW_E_NS1_11comp_targetILNS1_3genE2ELNS1_11target_archE906ELNS1_3gpuE6ELNS1_3repE0EEENS1_30default_config_static_selectorELNS0_4arch9wavefront6targetE1EEEvT1_
    .private_segment_fixed_size: 0
    .sgpr_count:     4
    .sgpr_spill_count: 0
    .symbol:         _ZN7rocprim17ROCPRIM_400000_NS6detail17trampoline_kernelINS0_14default_configENS1_29reduce_by_key_config_selectorIffN6thrust23THRUST_200600_302600_NS4plusIfEEEEZZNS1_33reduce_by_key_impl_wrapped_configILNS1_25lookback_scan_determinismE1ES3_S9_NS6_6detail15normal_iteratorINS6_10device_ptrIfEEEESG_SG_SG_PmS8_NS6_8equal_toIfEEEE10hipError_tPvRmT2_T3_mT4_T5_T6_T7_T8_P12ihipStream_tbENKUlT_T0_E_clISt17integral_constantIbLb0EES11_EEDaSW_SX_EUlSW_E_NS1_11comp_targetILNS1_3genE2ELNS1_11target_archE906ELNS1_3gpuE6ELNS1_3repE0EEENS1_30default_config_static_selectorELNS0_4arch9wavefront6targetE1EEEvT1_.kd
    .uniform_work_group_size: 1
    .uses_dynamic_stack: false
    .vgpr_count:     0
    .vgpr_spill_count: 0
    .wavefront_size: 64
  - .agpr_count:     0
    .args:
      - .offset:         0
        .size:           120
        .value_kind:     by_value
    .group_segment_fixed_size: 0
    .kernarg_segment_align: 8
    .kernarg_segment_size: 120
    .language:       OpenCL C
    .language_version:
      - 2
      - 0
    .max_flat_workgroup_size: 256
    .name:           _ZN7rocprim17ROCPRIM_400000_NS6detail17trampoline_kernelINS0_14default_configENS1_29reduce_by_key_config_selectorIffN6thrust23THRUST_200600_302600_NS4plusIfEEEEZZNS1_33reduce_by_key_impl_wrapped_configILNS1_25lookback_scan_determinismE1ES3_S9_NS6_6detail15normal_iteratorINS6_10device_ptrIfEEEESG_SG_SG_PmS8_NS6_8equal_toIfEEEE10hipError_tPvRmT2_T3_mT4_T5_T6_T7_T8_P12ihipStream_tbENKUlT_T0_E_clISt17integral_constantIbLb0EES11_EEDaSW_SX_EUlSW_E_NS1_11comp_targetILNS1_3genE10ELNS1_11target_archE1201ELNS1_3gpuE5ELNS1_3repE0EEENS1_30default_config_static_selectorELNS0_4arch9wavefront6targetE1EEEvT1_
    .private_segment_fixed_size: 0
    .sgpr_count:     4
    .sgpr_spill_count: 0
    .symbol:         _ZN7rocprim17ROCPRIM_400000_NS6detail17trampoline_kernelINS0_14default_configENS1_29reduce_by_key_config_selectorIffN6thrust23THRUST_200600_302600_NS4plusIfEEEEZZNS1_33reduce_by_key_impl_wrapped_configILNS1_25lookback_scan_determinismE1ES3_S9_NS6_6detail15normal_iteratorINS6_10device_ptrIfEEEESG_SG_SG_PmS8_NS6_8equal_toIfEEEE10hipError_tPvRmT2_T3_mT4_T5_T6_T7_T8_P12ihipStream_tbENKUlT_T0_E_clISt17integral_constantIbLb0EES11_EEDaSW_SX_EUlSW_E_NS1_11comp_targetILNS1_3genE10ELNS1_11target_archE1201ELNS1_3gpuE5ELNS1_3repE0EEENS1_30default_config_static_selectorELNS0_4arch9wavefront6targetE1EEEvT1_.kd
    .uniform_work_group_size: 1
    .uses_dynamic_stack: false
    .vgpr_count:     0
    .vgpr_spill_count: 0
    .wavefront_size: 64
  - .agpr_count:     0
    .args:
      - .offset:         0
        .size:           120
        .value_kind:     by_value
    .group_segment_fixed_size: 0
    .kernarg_segment_align: 8
    .kernarg_segment_size: 120
    .language:       OpenCL C
    .language_version:
      - 2
      - 0
    .max_flat_workgroup_size: 256
    .name:           _ZN7rocprim17ROCPRIM_400000_NS6detail17trampoline_kernelINS0_14default_configENS1_29reduce_by_key_config_selectorIffN6thrust23THRUST_200600_302600_NS4plusIfEEEEZZNS1_33reduce_by_key_impl_wrapped_configILNS1_25lookback_scan_determinismE1ES3_S9_NS6_6detail15normal_iteratorINS6_10device_ptrIfEEEESG_SG_SG_PmS8_NS6_8equal_toIfEEEE10hipError_tPvRmT2_T3_mT4_T5_T6_T7_T8_P12ihipStream_tbENKUlT_T0_E_clISt17integral_constantIbLb0EES11_EEDaSW_SX_EUlSW_E_NS1_11comp_targetILNS1_3genE10ELNS1_11target_archE1200ELNS1_3gpuE4ELNS1_3repE0EEENS1_30default_config_static_selectorELNS0_4arch9wavefront6targetE1EEEvT1_
    .private_segment_fixed_size: 0
    .sgpr_count:     4
    .sgpr_spill_count: 0
    .symbol:         _ZN7rocprim17ROCPRIM_400000_NS6detail17trampoline_kernelINS0_14default_configENS1_29reduce_by_key_config_selectorIffN6thrust23THRUST_200600_302600_NS4plusIfEEEEZZNS1_33reduce_by_key_impl_wrapped_configILNS1_25lookback_scan_determinismE1ES3_S9_NS6_6detail15normal_iteratorINS6_10device_ptrIfEEEESG_SG_SG_PmS8_NS6_8equal_toIfEEEE10hipError_tPvRmT2_T3_mT4_T5_T6_T7_T8_P12ihipStream_tbENKUlT_T0_E_clISt17integral_constantIbLb0EES11_EEDaSW_SX_EUlSW_E_NS1_11comp_targetILNS1_3genE10ELNS1_11target_archE1200ELNS1_3gpuE4ELNS1_3repE0EEENS1_30default_config_static_selectorELNS0_4arch9wavefront6targetE1EEEvT1_.kd
    .uniform_work_group_size: 1
    .uses_dynamic_stack: false
    .vgpr_count:     0
    .vgpr_spill_count: 0
    .wavefront_size: 64
  - .agpr_count:     0
    .args:
      - .offset:         0
        .size:           120
        .value_kind:     by_value
    .group_segment_fixed_size: 0
    .kernarg_segment_align: 8
    .kernarg_segment_size: 120
    .language:       OpenCL C
    .language_version:
      - 2
      - 0
    .max_flat_workgroup_size: 256
    .name:           _ZN7rocprim17ROCPRIM_400000_NS6detail17trampoline_kernelINS0_14default_configENS1_29reduce_by_key_config_selectorIffN6thrust23THRUST_200600_302600_NS4plusIfEEEEZZNS1_33reduce_by_key_impl_wrapped_configILNS1_25lookback_scan_determinismE1ES3_S9_NS6_6detail15normal_iteratorINS6_10device_ptrIfEEEESG_SG_SG_PmS8_NS6_8equal_toIfEEEE10hipError_tPvRmT2_T3_mT4_T5_T6_T7_T8_P12ihipStream_tbENKUlT_T0_E_clISt17integral_constantIbLb0EES11_EEDaSW_SX_EUlSW_E_NS1_11comp_targetILNS1_3genE9ELNS1_11target_archE1100ELNS1_3gpuE3ELNS1_3repE0EEENS1_30default_config_static_selectorELNS0_4arch9wavefront6targetE1EEEvT1_
    .private_segment_fixed_size: 0
    .sgpr_count:     4
    .sgpr_spill_count: 0
    .symbol:         _ZN7rocprim17ROCPRIM_400000_NS6detail17trampoline_kernelINS0_14default_configENS1_29reduce_by_key_config_selectorIffN6thrust23THRUST_200600_302600_NS4plusIfEEEEZZNS1_33reduce_by_key_impl_wrapped_configILNS1_25lookback_scan_determinismE1ES3_S9_NS6_6detail15normal_iteratorINS6_10device_ptrIfEEEESG_SG_SG_PmS8_NS6_8equal_toIfEEEE10hipError_tPvRmT2_T3_mT4_T5_T6_T7_T8_P12ihipStream_tbENKUlT_T0_E_clISt17integral_constantIbLb0EES11_EEDaSW_SX_EUlSW_E_NS1_11comp_targetILNS1_3genE9ELNS1_11target_archE1100ELNS1_3gpuE3ELNS1_3repE0EEENS1_30default_config_static_selectorELNS0_4arch9wavefront6targetE1EEEvT1_.kd
    .uniform_work_group_size: 1
    .uses_dynamic_stack: false
    .vgpr_count:     0
    .vgpr_spill_count: 0
    .wavefront_size: 64
  - .agpr_count:     0
    .args:
      - .offset:         0
        .size:           120
        .value_kind:     by_value
    .group_segment_fixed_size: 0
    .kernarg_segment_align: 8
    .kernarg_segment_size: 120
    .language:       OpenCL C
    .language_version:
      - 2
      - 0
    .max_flat_workgroup_size: 256
    .name:           _ZN7rocprim17ROCPRIM_400000_NS6detail17trampoline_kernelINS0_14default_configENS1_29reduce_by_key_config_selectorIffN6thrust23THRUST_200600_302600_NS4plusIfEEEEZZNS1_33reduce_by_key_impl_wrapped_configILNS1_25lookback_scan_determinismE1ES3_S9_NS6_6detail15normal_iteratorINS6_10device_ptrIfEEEESG_SG_SG_PmS8_NS6_8equal_toIfEEEE10hipError_tPvRmT2_T3_mT4_T5_T6_T7_T8_P12ihipStream_tbENKUlT_T0_E_clISt17integral_constantIbLb0EES11_EEDaSW_SX_EUlSW_E_NS1_11comp_targetILNS1_3genE8ELNS1_11target_archE1030ELNS1_3gpuE2ELNS1_3repE0EEENS1_30default_config_static_selectorELNS0_4arch9wavefront6targetE1EEEvT1_
    .private_segment_fixed_size: 0
    .sgpr_count:     4
    .sgpr_spill_count: 0
    .symbol:         _ZN7rocprim17ROCPRIM_400000_NS6detail17trampoline_kernelINS0_14default_configENS1_29reduce_by_key_config_selectorIffN6thrust23THRUST_200600_302600_NS4plusIfEEEEZZNS1_33reduce_by_key_impl_wrapped_configILNS1_25lookback_scan_determinismE1ES3_S9_NS6_6detail15normal_iteratorINS6_10device_ptrIfEEEESG_SG_SG_PmS8_NS6_8equal_toIfEEEE10hipError_tPvRmT2_T3_mT4_T5_T6_T7_T8_P12ihipStream_tbENKUlT_T0_E_clISt17integral_constantIbLb0EES11_EEDaSW_SX_EUlSW_E_NS1_11comp_targetILNS1_3genE8ELNS1_11target_archE1030ELNS1_3gpuE2ELNS1_3repE0EEENS1_30default_config_static_selectorELNS0_4arch9wavefront6targetE1EEEvT1_.kd
    .uniform_work_group_size: 1
    .uses_dynamic_stack: false
    .vgpr_count:     0
    .vgpr_spill_count: 0
    .wavefront_size: 64
  - .agpr_count:     0
    .args:
      - .address_space:  global
        .offset:         0
        .size:           8
        .value_kind:     global_buffer
      - .offset:         8
        .size:           4
        .value_kind:     by_value
      - .offset:         12
        .size:           1
        .value_kind:     by_value
      - .offset:         16
        .size:           4
        .value_kind:     by_value
      - .address_space:  global
        .offset:         24
        .size:           8
        .value_kind:     global_buffer
      - .address_space:  global
        .offset:         32
        .size:           8
        .value_kind:     global_buffer
      - .address_space:  global
        .offset:         40
        .size:           8
        .value_kind:     global_buffer
      - .offset:         48
        .size:           4
        .value_kind:     hidden_block_count_x
      - .offset:         52
        .size:           4
        .value_kind:     hidden_block_count_y
      - .offset:         56
        .size:           4
        .value_kind:     hidden_block_count_z
      - .offset:         60
        .size:           2
        .value_kind:     hidden_group_size_x
      - .offset:         62
        .size:           2
        .value_kind:     hidden_group_size_y
      - .offset:         64
        .size:           2
        .value_kind:     hidden_group_size_z
      - .offset:         66
        .size:           2
        .value_kind:     hidden_remainder_x
      - .offset:         68
        .size:           2
        .value_kind:     hidden_remainder_y
      - .offset:         70
        .size:           2
        .value_kind:     hidden_remainder_z
      - .offset:         88
        .size:           8
        .value_kind:     hidden_global_offset_x
      - .offset:         96
        .size:           8
        .value_kind:     hidden_global_offset_y
      - .offset:         104
        .size:           8
        .value_kind:     hidden_global_offset_z
      - .offset:         112
        .size:           2
        .value_kind:     hidden_grid_dims
    .group_segment_fixed_size: 0
    .kernarg_segment_align: 8
    .kernarg_segment_size: 304
    .language:       OpenCL C
    .language_version:
      - 2
      - 0
    .max_flat_workgroup_size: 256
    .name:           _ZN7rocprim17ROCPRIM_400000_NS6detail25reduce_by_key_init_kernelINS1_19lookback_scan_stateINS0_5tupleIJjfEEELb1ELb1EEEfNS1_16block_id_wrapperIjLb1EEEEEvT_jbjPmPT0_T1_
    .private_segment_fixed_size: 0
    .sgpr_count:     22
    .sgpr_spill_count: 0
    .symbol:         _ZN7rocprim17ROCPRIM_400000_NS6detail25reduce_by_key_init_kernelINS1_19lookback_scan_stateINS0_5tupleIJjfEEELb1ELb1EEEfNS1_16block_id_wrapperIjLb1EEEEEvT_jbjPmPT0_T1_.kd
    .uniform_work_group_size: 1
    .uses_dynamic_stack: false
    .vgpr_count:     14
    .vgpr_spill_count: 0
    .wavefront_size: 64
  - .agpr_count:     0
    .args:
      - .offset:         0
        .size:           120
        .value_kind:     by_value
    .group_segment_fixed_size: 0
    .kernarg_segment_align: 8
    .kernarg_segment_size: 120
    .language:       OpenCL C
    .language_version:
      - 2
      - 0
    .max_flat_workgroup_size: 256
    .name:           _ZN7rocprim17ROCPRIM_400000_NS6detail17trampoline_kernelINS0_14default_configENS1_29reduce_by_key_config_selectorIffN6thrust23THRUST_200600_302600_NS4plusIfEEEEZZNS1_33reduce_by_key_impl_wrapped_configILNS1_25lookback_scan_determinismE1ES3_S9_NS6_6detail15normal_iteratorINS6_10device_ptrIfEEEESG_SG_SG_PmS8_NS6_8equal_toIfEEEE10hipError_tPvRmT2_T3_mT4_T5_T6_T7_T8_P12ihipStream_tbENKUlT_T0_E_clISt17integral_constantIbLb1EES11_EEDaSW_SX_EUlSW_E_NS1_11comp_targetILNS1_3genE0ELNS1_11target_archE4294967295ELNS1_3gpuE0ELNS1_3repE0EEENS1_30default_config_static_selectorELNS0_4arch9wavefront6targetE1EEEvT1_
    .private_segment_fixed_size: 0
    .sgpr_count:     4
    .sgpr_spill_count: 0
    .symbol:         _ZN7rocprim17ROCPRIM_400000_NS6detail17trampoline_kernelINS0_14default_configENS1_29reduce_by_key_config_selectorIffN6thrust23THRUST_200600_302600_NS4plusIfEEEEZZNS1_33reduce_by_key_impl_wrapped_configILNS1_25lookback_scan_determinismE1ES3_S9_NS6_6detail15normal_iteratorINS6_10device_ptrIfEEEESG_SG_SG_PmS8_NS6_8equal_toIfEEEE10hipError_tPvRmT2_T3_mT4_T5_T6_T7_T8_P12ihipStream_tbENKUlT_T0_E_clISt17integral_constantIbLb1EES11_EEDaSW_SX_EUlSW_E_NS1_11comp_targetILNS1_3genE0ELNS1_11target_archE4294967295ELNS1_3gpuE0ELNS1_3repE0EEENS1_30default_config_static_selectorELNS0_4arch9wavefront6targetE1EEEvT1_.kd
    .uniform_work_group_size: 1
    .uses_dynamic_stack: false
    .vgpr_count:     0
    .vgpr_spill_count: 0
    .wavefront_size: 64
  - .agpr_count:     0
    .args:
      - .offset:         0
        .size:           120
        .value_kind:     by_value
    .group_segment_fixed_size: 0
    .kernarg_segment_align: 8
    .kernarg_segment_size: 120
    .language:       OpenCL C
    .language_version:
      - 2
      - 0
    .max_flat_workgroup_size: 256
    .name:           _ZN7rocprim17ROCPRIM_400000_NS6detail17trampoline_kernelINS0_14default_configENS1_29reduce_by_key_config_selectorIffN6thrust23THRUST_200600_302600_NS4plusIfEEEEZZNS1_33reduce_by_key_impl_wrapped_configILNS1_25lookback_scan_determinismE1ES3_S9_NS6_6detail15normal_iteratorINS6_10device_ptrIfEEEESG_SG_SG_PmS8_NS6_8equal_toIfEEEE10hipError_tPvRmT2_T3_mT4_T5_T6_T7_T8_P12ihipStream_tbENKUlT_T0_E_clISt17integral_constantIbLb1EES11_EEDaSW_SX_EUlSW_E_NS1_11comp_targetILNS1_3genE5ELNS1_11target_archE942ELNS1_3gpuE9ELNS1_3repE0EEENS1_30default_config_static_selectorELNS0_4arch9wavefront6targetE1EEEvT1_
    .private_segment_fixed_size: 0
    .sgpr_count:     4
    .sgpr_spill_count: 0
    .symbol:         _ZN7rocprim17ROCPRIM_400000_NS6detail17trampoline_kernelINS0_14default_configENS1_29reduce_by_key_config_selectorIffN6thrust23THRUST_200600_302600_NS4plusIfEEEEZZNS1_33reduce_by_key_impl_wrapped_configILNS1_25lookback_scan_determinismE1ES3_S9_NS6_6detail15normal_iteratorINS6_10device_ptrIfEEEESG_SG_SG_PmS8_NS6_8equal_toIfEEEE10hipError_tPvRmT2_T3_mT4_T5_T6_T7_T8_P12ihipStream_tbENKUlT_T0_E_clISt17integral_constantIbLb1EES11_EEDaSW_SX_EUlSW_E_NS1_11comp_targetILNS1_3genE5ELNS1_11target_archE942ELNS1_3gpuE9ELNS1_3repE0EEENS1_30default_config_static_selectorELNS0_4arch9wavefront6targetE1EEEvT1_.kd
    .uniform_work_group_size: 1
    .uses_dynamic_stack: false
    .vgpr_count:     0
    .vgpr_spill_count: 0
    .wavefront_size: 64
  - .agpr_count:     0
    .args:
      - .offset:         0
        .size:           120
        .value_kind:     by_value
    .group_segment_fixed_size: 15360
    .kernarg_segment_align: 8
    .kernarg_segment_size: 120
    .language:       OpenCL C
    .language_version:
      - 2
      - 0
    .max_flat_workgroup_size: 256
    .name:           _ZN7rocprim17ROCPRIM_400000_NS6detail17trampoline_kernelINS0_14default_configENS1_29reduce_by_key_config_selectorIffN6thrust23THRUST_200600_302600_NS4plusIfEEEEZZNS1_33reduce_by_key_impl_wrapped_configILNS1_25lookback_scan_determinismE1ES3_S9_NS6_6detail15normal_iteratorINS6_10device_ptrIfEEEESG_SG_SG_PmS8_NS6_8equal_toIfEEEE10hipError_tPvRmT2_T3_mT4_T5_T6_T7_T8_P12ihipStream_tbENKUlT_T0_E_clISt17integral_constantIbLb1EES11_EEDaSW_SX_EUlSW_E_NS1_11comp_targetILNS1_3genE4ELNS1_11target_archE910ELNS1_3gpuE8ELNS1_3repE0EEENS1_30default_config_static_selectorELNS0_4arch9wavefront6targetE1EEEvT1_
    .private_segment_fixed_size: 48
    .sgpr_count:     82
    .sgpr_spill_count: 0
    .symbol:         _ZN7rocprim17ROCPRIM_400000_NS6detail17trampoline_kernelINS0_14default_configENS1_29reduce_by_key_config_selectorIffN6thrust23THRUST_200600_302600_NS4plusIfEEEEZZNS1_33reduce_by_key_impl_wrapped_configILNS1_25lookback_scan_determinismE1ES3_S9_NS6_6detail15normal_iteratorINS6_10device_ptrIfEEEESG_SG_SG_PmS8_NS6_8equal_toIfEEEE10hipError_tPvRmT2_T3_mT4_T5_T6_T7_T8_P12ihipStream_tbENKUlT_T0_E_clISt17integral_constantIbLb1EES11_EEDaSW_SX_EUlSW_E_NS1_11comp_targetILNS1_3genE4ELNS1_11target_archE910ELNS1_3gpuE8ELNS1_3repE0EEENS1_30default_config_static_selectorELNS0_4arch9wavefront6targetE1EEEvT1_.kd
    .uniform_work_group_size: 1
    .uses_dynamic_stack: false
    .vgpr_count:     108
    .vgpr_spill_count: 0
    .wavefront_size: 64
  - .agpr_count:     0
    .args:
      - .offset:         0
        .size:           120
        .value_kind:     by_value
    .group_segment_fixed_size: 0
    .kernarg_segment_align: 8
    .kernarg_segment_size: 120
    .language:       OpenCL C
    .language_version:
      - 2
      - 0
    .max_flat_workgroup_size: 256
    .name:           _ZN7rocprim17ROCPRIM_400000_NS6detail17trampoline_kernelINS0_14default_configENS1_29reduce_by_key_config_selectorIffN6thrust23THRUST_200600_302600_NS4plusIfEEEEZZNS1_33reduce_by_key_impl_wrapped_configILNS1_25lookback_scan_determinismE1ES3_S9_NS6_6detail15normal_iteratorINS6_10device_ptrIfEEEESG_SG_SG_PmS8_NS6_8equal_toIfEEEE10hipError_tPvRmT2_T3_mT4_T5_T6_T7_T8_P12ihipStream_tbENKUlT_T0_E_clISt17integral_constantIbLb1EES11_EEDaSW_SX_EUlSW_E_NS1_11comp_targetILNS1_3genE3ELNS1_11target_archE908ELNS1_3gpuE7ELNS1_3repE0EEENS1_30default_config_static_selectorELNS0_4arch9wavefront6targetE1EEEvT1_
    .private_segment_fixed_size: 0
    .sgpr_count:     4
    .sgpr_spill_count: 0
    .symbol:         _ZN7rocprim17ROCPRIM_400000_NS6detail17trampoline_kernelINS0_14default_configENS1_29reduce_by_key_config_selectorIffN6thrust23THRUST_200600_302600_NS4plusIfEEEEZZNS1_33reduce_by_key_impl_wrapped_configILNS1_25lookback_scan_determinismE1ES3_S9_NS6_6detail15normal_iteratorINS6_10device_ptrIfEEEESG_SG_SG_PmS8_NS6_8equal_toIfEEEE10hipError_tPvRmT2_T3_mT4_T5_T6_T7_T8_P12ihipStream_tbENKUlT_T0_E_clISt17integral_constantIbLb1EES11_EEDaSW_SX_EUlSW_E_NS1_11comp_targetILNS1_3genE3ELNS1_11target_archE908ELNS1_3gpuE7ELNS1_3repE0EEENS1_30default_config_static_selectorELNS0_4arch9wavefront6targetE1EEEvT1_.kd
    .uniform_work_group_size: 1
    .uses_dynamic_stack: false
    .vgpr_count:     0
    .vgpr_spill_count: 0
    .wavefront_size: 64
  - .agpr_count:     0
    .args:
      - .offset:         0
        .size:           120
        .value_kind:     by_value
    .group_segment_fixed_size: 0
    .kernarg_segment_align: 8
    .kernarg_segment_size: 120
    .language:       OpenCL C
    .language_version:
      - 2
      - 0
    .max_flat_workgroup_size: 256
    .name:           _ZN7rocprim17ROCPRIM_400000_NS6detail17trampoline_kernelINS0_14default_configENS1_29reduce_by_key_config_selectorIffN6thrust23THRUST_200600_302600_NS4plusIfEEEEZZNS1_33reduce_by_key_impl_wrapped_configILNS1_25lookback_scan_determinismE1ES3_S9_NS6_6detail15normal_iteratorINS6_10device_ptrIfEEEESG_SG_SG_PmS8_NS6_8equal_toIfEEEE10hipError_tPvRmT2_T3_mT4_T5_T6_T7_T8_P12ihipStream_tbENKUlT_T0_E_clISt17integral_constantIbLb1EES11_EEDaSW_SX_EUlSW_E_NS1_11comp_targetILNS1_3genE2ELNS1_11target_archE906ELNS1_3gpuE6ELNS1_3repE0EEENS1_30default_config_static_selectorELNS0_4arch9wavefront6targetE1EEEvT1_
    .private_segment_fixed_size: 0
    .sgpr_count:     4
    .sgpr_spill_count: 0
    .symbol:         _ZN7rocprim17ROCPRIM_400000_NS6detail17trampoline_kernelINS0_14default_configENS1_29reduce_by_key_config_selectorIffN6thrust23THRUST_200600_302600_NS4plusIfEEEEZZNS1_33reduce_by_key_impl_wrapped_configILNS1_25lookback_scan_determinismE1ES3_S9_NS6_6detail15normal_iteratorINS6_10device_ptrIfEEEESG_SG_SG_PmS8_NS6_8equal_toIfEEEE10hipError_tPvRmT2_T3_mT4_T5_T6_T7_T8_P12ihipStream_tbENKUlT_T0_E_clISt17integral_constantIbLb1EES11_EEDaSW_SX_EUlSW_E_NS1_11comp_targetILNS1_3genE2ELNS1_11target_archE906ELNS1_3gpuE6ELNS1_3repE0EEENS1_30default_config_static_selectorELNS0_4arch9wavefront6targetE1EEEvT1_.kd
    .uniform_work_group_size: 1
    .uses_dynamic_stack: false
    .vgpr_count:     0
    .vgpr_spill_count: 0
    .wavefront_size: 64
  - .agpr_count:     0
    .args:
      - .offset:         0
        .size:           120
        .value_kind:     by_value
    .group_segment_fixed_size: 0
    .kernarg_segment_align: 8
    .kernarg_segment_size: 120
    .language:       OpenCL C
    .language_version:
      - 2
      - 0
    .max_flat_workgroup_size: 256
    .name:           _ZN7rocprim17ROCPRIM_400000_NS6detail17trampoline_kernelINS0_14default_configENS1_29reduce_by_key_config_selectorIffN6thrust23THRUST_200600_302600_NS4plusIfEEEEZZNS1_33reduce_by_key_impl_wrapped_configILNS1_25lookback_scan_determinismE1ES3_S9_NS6_6detail15normal_iteratorINS6_10device_ptrIfEEEESG_SG_SG_PmS8_NS6_8equal_toIfEEEE10hipError_tPvRmT2_T3_mT4_T5_T6_T7_T8_P12ihipStream_tbENKUlT_T0_E_clISt17integral_constantIbLb1EES11_EEDaSW_SX_EUlSW_E_NS1_11comp_targetILNS1_3genE10ELNS1_11target_archE1201ELNS1_3gpuE5ELNS1_3repE0EEENS1_30default_config_static_selectorELNS0_4arch9wavefront6targetE1EEEvT1_
    .private_segment_fixed_size: 0
    .sgpr_count:     4
    .sgpr_spill_count: 0
    .symbol:         _ZN7rocprim17ROCPRIM_400000_NS6detail17trampoline_kernelINS0_14default_configENS1_29reduce_by_key_config_selectorIffN6thrust23THRUST_200600_302600_NS4plusIfEEEEZZNS1_33reduce_by_key_impl_wrapped_configILNS1_25lookback_scan_determinismE1ES3_S9_NS6_6detail15normal_iteratorINS6_10device_ptrIfEEEESG_SG_SG_PmS8_NS6_8equal_toIfEEEE10hipError_tPvRmT2_T3_mT4_T5_T6_T7_T8_P12ihipStream_tbENKUlT_T0_E_clISt17integral_constantIbLb1EES11_EEDaSW_SX_EUlSW_E_NS1_11comp_targetILNS1_3genE10ELNS1_11target_archE1201ELNS1_3gpuE5ELNS1_3repE0EEENS1_30default_config_static_selectorELNS0_4arch9wavefront6targetE1EEEvT1_.kd
    .uniform_work_group_size: 1
    .uses_dynamic_stack: false
    .vgpr_count:     0
    .vgpr_spill_count: 0
    .wavefront_size: 64
  - .agpr_count:     0
    .args:
      - .offset:         0
        .size:           120
        .value_kind:     by_value
    .group_segment_fixed_size: 0
    .kernarg_segment_align: 8
    .kernarg_segment_size: 120
    .language:       OpenCL C
    .language_version:
      - 2
      - 0
    .max_flat_workgroup_size: 256
    .name:           _ZN7rocprim17ROCPRIM_400000_NS6detail17trampoline_kernelINS0_14default_configENS1_29reduce_by_key_config_selectorIffN6thrust23THRUST_200600_302600_NS4plusIfEEEEZZNS1_33reduce_by_key_impl_wrapped_configILNS1_25lookback_scan_determinismE1ES3_S9_NS6_6detail15normal_iteratorINS6_10device_ptrIfEEEESG_SG_SG_PmS8_NS6_8equal_toIfEEEE10hipError_tPvRmT2_T3_mT4_T5_T6_T7_T8_P12ihipStream_tbENKUlT_T0_E_clISt17integral_constantIbLb1EES11_EEDaSW_SX_EUlSW_E_NS1_11comp_targetILNS1_3genE10ELNS1_11target_archE1200ELNS1_3gpuE4ELNS1_3repE0EEENS1_30default_config_static_selectorELNS0_4arch9wavefront6targetE1EEEvT1_
    .private_segment_fixed_size: 0
    .sgpr_count:     4
    .sgpr_spill_count: 0
    .symbol:         _ZN7rocprim17ROCPRIM_400000_NS6detail17trampoline_kernelINS0_14default_configENS1_29reduce_by_key_config_selectorIffN6thrust23THRUST_200600_302600_NS4plusIfEEEEZZNS1_33reduce_by_key_impl_wrapped_configILNS1_25lookback_scan_determinismE1ES3_S9_NS6_6detail15normal_iteratorINS6_10device_ptrIfEEEESG_SG_SG_PmS8_NS6_8equal_toIfEEEE10hipError_tPvRmT2_T3_mT4_T5_T6_T7_T8_P12ihipStream_tbENKUlT_T0_E_clISt17integral_constantIbLb1EES11_EEDaSW_SX_EUlSW_E_NS1_11comp_targetILNS1_3genE10ELNS1_11target_archE1200ELNS1_3gpuE4ELNS1_3repE0EEENS1_30default_config_static_selectorELNS0_4arch9wavefront6targetE1EEEvT1_.kd
    .uniform_work_group_size: 1
    .uses_dynamic_stack: false
    .vgpr_count:     0
    .vgpr_spill_count: 0
    .wavefront_size: 64
  - .agpr_count:     0
    .args:
      - .offset:         0
        .size:           120
        .value_kind:     by_value
    .group_segment_fixed_size: 0
    .kernarg_segment_align: 8
    .kernarg_segment_size: 120
    .language:       OpenCL C
    .language_version:
      - 2
      - 0
    .max_flat_workgroup_size: 256
    .name:           _ZN7rocprim17ROCPRIM_400000_NS6detail17trampoline_kernelINS0_14default_configENS1_29reduce_by_key_config_selectorIffN6thrust23THRUST_200600_302600_NS4plusIfEEEEZZNS1_33reduce_by_key_impl_wrapped_configILNS1_25lookback_scan_determinismE1ES3_S9_NS6_6detail15normal_iteratorINS6_10device_ptrIfEEEESG_SG_SG_PmS8_NS6_8equal_toIfEEEE10hipError_tPvRmT2_T3_mT4_T5_T6_T7_T8_P12ihipStream_tbENKUlT_T0_E_clISt17integral_constantIbLb1EES11_EEDaSW_SX_EUlSW_E_NS1_11comp_targetILNS1_3genE9ELNS1_11target_archE1100ELNS1_3gpuE3ELNS1_3repE0EEENS1_30default_config_static_selectorELNS0_4arch9wavefront6targetE1EEEvT1_
    .private_segment_fixed_size: 0
    .sgpr_count:     4
    .sgpr_spill_count: 0
    .symbol:         _ZN7rocprim17ROCPRIM_400000_NS6detail17trampoline_kernelINS0_14default_configENS1_29reduce_by_key_config_selectorIffN6thrust23THRUST_200600_302600_NS4plusIfEEEEZZNS1_33reduce_by_key_impl_wrapped_configILNS1_25lookback_scan_determinismE1ES3_S9_NS6_6detail15normal_iteratorINS6_10device_ptrIfEEEESG_SG_SG_PmS8_NS6_8equal_toIfEEEE10hipError_tPvRmT2_T3_mT4_T5_T6_T7_T8_P12ihipStream_tbENKUlT_T0_E_clISt17integral_constantIbLb1EES11_EEDaSW_SX_EUlSW_E_NS1_11comp_targetILNS1_3genE9ELNS1_11target_archE1100ELNS1_3gpuE3ELNS1_3repE0EEENS1_30default_config_static_selectorELNS0_4arch9wavefront6targetE1EEEvT1_.kd
    .uniform_work_group_size: 1
    .uses_dynamic_stack: false
    .vgpr_count:     0
    .vgpr_spill_count: 0
    .wavefront_size: 64
  - .agpr_count:     0
    .args:
      - .offset:         0
        .size:           120
        .value_kind:     by_value
    .group_segment_fixed_size: 0
    .kernarg_segment_align: 8
    .kernarg_segment_size: 120
    .language:       OpenCL C
    .language_version:
      - 2
      - 0
    .max_flat_workgroup_size: 256
    .name:           _ZN7rocprim17ROCPRIM_400000_NS6detail17trampoline_kernelINS0_14default_configENS1_29reduce_by_key_config_selectorIffN6thrust23THRUST_200600_302600_NS4plusIfEEEEZZNS1_33reduce_by_key_impl_wrapped_configILNS1_25lookback_scan_determinismE1ES3_S9_NS6_6detail15normal_iteratorINS6_10device_ptrIfEEEESG_SG_SG_PmS8_NS6_8equal_toIfEEEE10hipError_tPvRmT2_T3_mT4_T5_T6_T7_T8_P12ihipStream_tbENKUlT_T0_E_clISt17integral_constantIbLb1EES11_EEDaSW_SX_EUlSW_E_NS1_11comp_targetILNS1_3genE8ELNS1_11target_archE1030ELNS1_3gpuE2ELNS1_3repE0EEENS1_30default_config_static_selectorELNS0_4arch9wavefront6targetE1EEEvT1_
    .private_segment_fixed_size: 0
    .sgpr_count:     4
    .sgpr_spill_count: 0
    .symbol:         _ZN7rocprim17ROCPRIM_400000_NS6detail17trampoline_kernelINS0_14default_configENS1_29reduce_by_key_config_selectorIffN6thrust23THRUST_200600_302600_NS4plusIfEEEEZZNS1_33reduce_by_key_impl_wrapped_configILNS1_25lookback_scan_determinismE1ES3_S9_NS6_6detail15normal_iteratorINS6_10device_ptrIfEEEESG_SG_SG_PmS8_NS6_8equal_toIfEEEE10hipError_tPvRmT2_T3_mT4_T5_T6_T7_T8_P12ihipStream_tbENKUlT_T0_E_clISt17integral_constantIbLb1EES11_EEDaSW_SX_EUlSW_E_NS1_11comp_targetILNS1_3genE8ELNS1_11target_archE1030ELNS1_3gpuE2ELNS1_3repE0EEENS1_30default_config_static_selectorELNS0_4arch9wavefront6targetE1EEEvT1_.kd
    .uniform_work_group_size: 1
    .uses_dynamic_stack: false
    .vgpr_count:     0
    .vgpr_spill_count: 0
    .wavefront_size: 64
  - .agpr_count:     0
    .args:
      - .address_space:  global
        .offset:         0
        .size:           8
        .value_kind:     global_buffer
      - .offset:         8
        .size:           4
        .value_kind:     by_value
      - .offset:         12
        .size:           1
        .value_kind:     by_value
      - .offset:         16
        .size:           4
        .value_kind:     by_value
      - .address_space:  global
        .offset:         24
        .size:           8
        .value_kind:     global_buffer
      - .address_space:  global
        .offset:         32
        .size:           8
        .value_kind:     global_buffer
      - .offset:         40
        .size:           1
        .value_kind:     by_value
      - .offset:         48
        .size:           4
        .value_kind:     hidden_block_count_x
      - .offset:         52
        .size:           4
        .value_kind:     hidden_block_count_y
      - .offset:         56
        .size:           4
        .value_kind:     hidden_block_count_z
      - .offset:         60
        .size:           2
        .value_kind:     hidden_group_size_x
      - .offset:         62
        .size:           2
        .value_kind:     hidden_group_size_y
      - .offset:         64
        .size:           2
        .value_kind:     hidden_group_size_z
      - .offset:         66
        .size:           2
        .value_kind:     hidden_remainder_x
      - .offset:         68
        .size:           2
        .value_kind:     hidden_remainder_y
      - .offset:         70
        .size:           2
        .value_kind:     hidden_remainder_z
      - .offset:         88
        .size:           8
        .value_kind:     hidden_global_offset_x
      - .offset:         96
        .size:           8
        .value_kind:     hidden_global_offset_y
      - .offset:         104
        .size:           8
        .value_kind:     hidden_global_offset_z
      - .offset:         112
        .size:           2
        .value_kind:     hidden_grid_dims
    .group_segment_fixed_size: 0
    .kernarg_segment_align: 8
    .kernarg_segment_size: 304
    .language:       OpenCL C
    .language_version:
      - 2
      - 0
    .max_flat_workgroup_size: 256
    .name:           _ZN7rocprim17ROCPRIM_400000_NS6detail25reduce_by_key_init_kernelINS1_19lookback_scan_stateINS0_5tupleIJjfEEELb1ELb1EEEfNS1_16block_id_wrapperIjLb0EEEEEvT_jbjPmPT0_T1_
    .private_segment_fixed_size: 0
    .sgpr_count:     20
    .sgpr_spill_count: 0
    .symbol:         _ZN7rocprim17ROCPRIM_400000_NS6detail25reduce_by_key_init_kernelINS1_19lookback_scan_stateINS0_5tupleIJjfEEELb1ELb1EEEfNS1_16block_id_wrapperIjLb0EEEEEvT_jbjPmPT0_T1_.kd
    .uniform_work_group_size: 1
    .uses_dynamic_stack: false
    .vgpr_count:     14
    .vgpr_spill_count: 0
    .wavefront_size: 64
  - .agpr_count:     0
    .args:
      - .offset:         0
        .size:           120
        .value_kind:     by_value
    .group_segment_fixed_size: 0
    .kernarg_segment_align: 8
    .kernarg_segment_size: 120
    .language:       OpenCL C
    .language_version:
      - 2
      - 0
    .max_flat_workgroup_size: 256
    .name:           _ZN7rocprim17ROCPRIM_400000_NS6detail17trampoline_kernelINS0_14default_configENS1_29reduce_by_key_config_selectorIffN6thrust23THRUST_200600_302600_NS4plusIfEEEEZZNS1_33reduce_by_key_impl_wrapped_configILNS1_25lookback_scan_determinismE1ES3_S9_NS6_6detail15normal_iteratorINS6_10device_ptrIfEEEESG_SG_SG_PmS8_NS6_8equal_toIfEEEE10hipError_tPvRmT2_T3_mT4_T5_T6_T7_T8_P12ihipStream_tbENKUlT_T0_E_clISt17integral_constantIbLb1EES10_IbLb0EEEEDaSW_SX_EUlSW_E_NS1_11comp_targetILNS1_3genE0ELNS1_11target_archE4294967295ELNS1_3gpuE0ELNS1_3repE0EEENS1_30default_config_static_selectorELNS0_4arch9wavefront6targetE1EEEvT1_
    .private_segment_fixed_size: 0
    .sgpr_count:     4
    .sgpr_spill_count: 0
    .symbol:         _ZN7rocprim17ROCPRIM_400000_NS6detail17trampoline_kernelINS0_14default_configENS1_29reduce_by_key_config_selectorIffN6thrust23THRUST_200600_302600_NS4plusIfEEEEZZNS1_33reduce_by_key_impl_wrapped_configILNS1_25lookback_scan_determinismE1ES3_S9_NS6_6detail15normal_iteratorINS6_10device_ptrIfEEEESG_SG_SG_PmS8_NS6_8equal_toIfEEEE10hipError_tPvRmT2_T3_mT4_T5_T6_T7_T8_P12ihipStream_tbENKUlT_T0_E_clISt17integral_constantIbLb1EES10_IbLb0EEEEDaSW_SX_EUlSW_E_NS1_11comp_targetILNS1_3genE0ELNS1_11target_archE4294967295ELNS1_3gpuE0ELNS1_3repE0EEENS1_30default_config_static_selectorELNS0_4arch9wavefront6targetE1EEEvT1_.kd
    .uniform_work_group_size: 1
    .uses_dynamic_stack: false
    .vgpr_count:     0
    .vgpr_spill_count: 0
    .wavefront_size: 64
  - .agpr_count:     0
    .args:
      - .offset:         0
        .size:           120
        .value_kind:     by_value
    .group_segment_fixed_size: 0
    .kernarg_segment_align: 8
    .kernarg_segment_size: 120
    .language:       OpenCL C
    .language_version:
      - 2
      - 0
    .max_flat_workgroup_size: 256
    .name:           _ZN7rocprim17ROCPRIM_400000_NS6detail17trampoline_kernelINS0_14default_configENS1_29reduce_by_key_config_selectorIffN6thrust23THRUST_200600_302600_NS4plusIfEEEEZZNS1_33reduce_by_key_impl_wrapped_configILNS1_25lookback_scan_determinismE1ES3_S9_NS6_6detail15normal_iteratorINS6_10device_ptrIfEEEESG_SG_SG_PmS8_NS6_8equal_toIfEEEE10hipError_tPvRmT2_T3_mT4_T5_T6_T7_T8_P12ihipStream_tbENKUlT_T0_E_clISt17integral_constantIbLb1EES10_IbLb0EEEEDaSW_SX_EUlSW_E_NS1_11comp_targetILNS1_3genE5ELNS1_11target_archE942ELNS1_3gpuE9ELNS1_3repE0EEENS1_30default_config_static_selectorELNS0_4arch9wavefront6targetE1EEEvT1_
    .private_segment_fixed_size: 0
    .sgpr_count:     4
    .sgpr_spill_count: 0
    .symbol:         _ZN7rocprim17ROCPRIM_400000_NS6detail17trampoline_kernelINS0_14default_configENS1_29reduce_by_key_config_selectorIffN6thrust23THRUST_200600_302600_NS4plusIfEEEEZZNS1_33reduce_by_key_impl_wrapped_configILNS1_25lookback_scan_determinismE1ES3_S9_NS6_6detail15normal_iteratorINS6_10device_ptrIfEEEESG_SG_SG_PmS8_NS6_8equal_toIfEEEE10hipError_tPvRmT2_T3_mT4_T5_T6_T7_T8_P12ihipStream_tbENKUlT_T0_E_clISt17integral_constantIbLb1EES10_IbLb0EEEEDaSW_SX_EUlSW_E_NS1_11comp_targetILNS1_3genE5ELNS1_11target_archE942ELNS1_3gpuE9ELNS1_3repE0EEENS1_30default_config_static_selectorELNS0_4arch9wavefront6targetE1EEEvT1_.kd
    .uniform_work_group_size: 1
    .uses_dynamic_stack: false
    .vgpr_count:     0
    .vgpr_spill_count: 0
    .wavefront_size: 64
  - .agpr_count:     0
    .args:
      - .offset:         0
        .size:           120
        .value_kind:     by_value
    .group_segment_fixed_size: 15360
    .kernarg_segment_align: 8
    .kernarg_segment_size: 120
    .language:       OpenCL C
    .language_version:
      - 2
      - 0
    .max_flat_workgroup_size: 256
    .name:           _ZN7rocprim17ROCPRIM_400000_NS6detail17trampoline_kernelINS0_14default_configENS1_29reduce_by_key_config_selectorIffN6thrust23THRUST_200600_302600_NS4plusIfEEEEZZNS1_33reduce_by_key_impl_wrapped_configILNS1_25lookback_scan_determinismE1ES3_S9_NS6_6detail15normal_iteratorINS6_10device_ptrIfEEEESG_SG_SG_PmS8_NS6_8equal_toIfEEEE10hipError_tPvRmT2_T3_mT4_T5_T6_T7_T8_P12ihipStream_tbENKUlT_T0_E_clISt17integral_constantIbLb1EES10_IbLb0EEEEDaSW_SX_EUlSW_E_NS1_11comp_targetILNS1_3genE4ELNS1_11target_archE910ELNS1_3gpuE8ELNS1_3repE0EEENS1_30default_config_static_selectorELNS0_4arch9wavefront6targetE1EEEvT1_
    .private_segment_fixed_size: 48
    .sgpr_count:     80
    .sgpr_spill_count: 0
    .symbol:         _ZN7rocprim17ROCPRIM_400000_NS6detail17trampoline_kernelINS0_14default_configENS1_29reduce_by_key_config_selectorIffN6thrust23THRUST_200600_302600_NS4plusIfEEEEZZNS1_33reduce_by_key_impl_wrapped_configILNS1_25lookback_scan_determinismE1ES3_S9_NS6_6detail15normal_iteratorINS6_10device_ptrIfEEEESG_SG_SG_PmS8_NS6_8equal_toIfEEEE10hipError_tPvRmT2_T3_mT4_T5_T6_T7_T8_P12ihipStream_tbENKUlT_T0_E_clISt17integral_constantIbLb1EES10_IbLb0EEEEDaSW_SX_EUlSW_E_NS1_11comp_targetILNS1_3genE4ELNS1_11target_archE910ELNS1_3gpuE8ELNS1_3repE0EEENS1_30default_config_static_selectorELNS0_4arch9wavefront6targetE1EEEvT1_.kd
    .uniform_work_group_size: 1
    .uses_dynamic_stack: false
    .vgpr_count:     108
    .vgpr_spill_count: 0
    .wavefront_size: 64
  - .agpr_count:     0
    .args:
      - .offset:         0
        .size:           120
        .value_kind:     by_value
    .group_segment_fixed_size: 0
    .kernarg_segment_align: 8
    .kernarg_segment_size: 120
    .language:       OpenCL C
    .language_version:
      - 2
      - 0
    .max_flat_workgroup_size: 256
    .name:           _ZN7rocprim17ROCPRIM_400000_NS6detail17trampoline_kernelINS0_14default_configENS1_29reduce_by_key_config_selectorIffN6thrust23THRUST_200600_302600_NS4plusIfEEEEZZNS1_33reduce_by_key_impl_wrapped_configILNS1_25lookback_scan_determinismE1ES3_S9_NS6_6detail15normal_iteratorINS6_10device_ptrIfEEEESG_SG_SG_PmS8_NS6_8equal_toIfEEEE10hipError_tPvRmT2_T3_mT4_T5_T6_T7_T8_P12ihipStream_tbENKUlT_T0_E_clISt17integral_constantIbLb1EES10_IbLb0EEEEDaSW_SX_EUlSW_E_NS1_11comp_targetILNS1_3genE3ELNS1_11target_archE908ELNS1_3gpuE7ELNS1_3repE0EEENS1_30default_config_static_selectorELNS0_4arch9wavefront6targetE1EEEvT1_
    .private_segment_fixed_size: 0
    .sgpr_count:     4
    .sgpr_spill_count: 0
    .symbol:         _ZN7rocprim17ROCPRIM_400000_NS6detail17trampoline_kernelINS0_14default_configENS1_29reduce_by_key_config_selectorIffN6thrust23THRUST_200600_302600_NS4plusIfEEEEZZNS1_33reduce_by_key_impl_wrapped_configILNS1_25lookback_scan_determinismE1ES3_S9_NS6_6detail15normal_iteratorINS6_10device_ptrIfEEEESG_SG_SG_PmS8_NS6_8equal_toIfEEEE10hipError_tPvRmT2_T3_mT4_T5_T6_T7_T8_P12ihipStream_tbENKUlT_T0_E_clISt17integral_constantIbLb1EES10_IbLb0EEEEDaSW_SX_EUlSW_E_NS1_11comp_targetILNS1_3genE3ELNS1_11target_archE908ELNS1_3gpuE7ELNS1_3repE0EEENS1_30default_config_static_selectorELNS0_4arch9wavefront6targetE1EEEvT1_.kd
    .uniform_work_group_size: 1
    .uses_dynamic_stack: false
    .vgpr_count:     0
    .vgpr_spill_count: 0
    .wavefront_size: 64
  - .agpr_count:     0
    .args:
      - .offset:         0
        .size:           120
        .value_kind:     by_value
    .group_segment_fixed_size: 0
    .kernarg_segment_align: 8
    .kernarg_segment_size: 120
    .language:       OpenCL C
    .language_version:
      - 2
      - 0
    .max_flat_workgroup_size: 256
    .name:           _ZN7rocprim17ROCPRIM_400000_NS6detail17trampoline_kernelINS0_14default_configENS1_29reduce_by_key_config_selectorIffN6thrust23THRUST_200600_302600_NS4plusIfEEEEZZNS1_33reduce_by_key_impl_wrapped_configILNS1_25lookback_scan_determinismE1ES3_S9_NS6_6detail15normal_iteratorINS6_10device_ptrIfEEEESG_SG_SG_PmS8_NS6_8equal_toIfEEEE10hipError_tPvRmT2_T3_mT4_T5_T6_T7_T8_P12ihipStream_tbENKUlT_T0_E_clISt17integral_constantIbLb1EES10_IbLb0EEEEDaSW_SX_EUlSW_E_NS1_11comp_targetILNS1_3genE2ELNS1_11target_archE906ELNS1_3gpuE6ELNS1_3repE0EEENS1_30default_config_static_selectorELNS0_4arch9wavefront6targetE1EEEvT1_
    .private_segment_fixed_size: 0
    .sgpr_count:     4
    .sgpr_spill_count: 0
    .symbol:         _ZN7rocprim17ROCPRIM_400000_NS6detail17trampoline_kernelINS0_14default_configENS1_29reduce_by_key_config_selectorIffN6thrust23THRUST_200600_302600_NS4plusIfEEEEZZNS1_33reduce_by_key_impl_wrapped_configILNS1_25lookback_scan_determinismE1ES3_S9_NS6_6detail15normal_iteratorINS6_10device_ptrIfEEEESG_SG_SG_PmS8_NS6_8equal_toIfEEEE10hipError_tPvRmT2_T3_mT4_T5_T6_T7_T8_P12ihipStream_tbENKUlT_T0_E_clISt17integral_constantIbLb1EES10_IbLb0EEEEDaSW_SX_EUlSW_E_NS1_11comp_targetILNS1_3genE2ELNS1_11target_archE906ELNS1_3gpuE6ELNS1_3repE0EEENS1_30default_config_static_selectorELNS0_4arch9wavefront6targetE1EEEvT1_.kd
    .uniform_work_group_size: 1
    .uses_dynamic_stack: false
    .vgpr_count:     0
    .vgpr_spill_count: 0
    .wavefront_size: 64
  - .agpr_count:     0
    .args:
      - .offset:         0
        .size:           120
        .value_kind:     by_value
    .group_segment_fixed_size: 0
    .kernarg_segment_align: 8
    .kernarg_segment_size: 120
    .language:       OpenCL C
    .language_version:
      - 2
      - 0
    .max_flat_workgroup_size: 256
    .name:           _ZN7rocprim17ROCPRIM_400000_NS6detail17trampoline_kernelINS0_14default_configENS1_29reduce_by_key_config_selectorIffN6thrust23THRUST_200600_302600_NS4plusIfEEEEZZNS1_33reduce_by_key_impl_wrapped_configILNS1_25lookback_scan_determinismE1ES3_S9_NS6_6detail15normal_iteratorINS6_10device_ptrIfEEEESG_SG_SG_PmS8_NS6_8equal_toIfEEEE10hipError_tPvRmT2_T3_mT4_T5_T6_T7_T8_P12ihipStream_tbENKUlT_T0_E_clISt17integral_constantIbLb1EES10_IbLb0EEEEDaSW_SX_EUlSW_E_NS1_11comp_targetILNS1_3genE10ELNS1_11target_archE1201ELNS1_3gpuE5ELNS1_3repE0EEENS1_30default_config_static_selectorELNS0_4arch9wavefront6targetE1EEEvT1_
    .private_segment_fixed_size: 0
    .sgpr_count:     4
    .sgpr_spill_count: 0
    .symbol:         _ZN7rocprim17ROCPRIM_400000_NS6detail17trampoline_kernelINS0_14default_configENS1_29reduce_by_key_config_selectorIffN6thrust23THRUST_200600_302600_NS4plusIfEEEEZZNS1_33reduce_by_key_impl_wrapped_configILNS1_25lookback_scan_determinismE1ES3_S9_NS6_6detail15normal_iteratorINS6_10device_ptrIfEEEESG_SG_SG_PmS8_NS6_8equal_toIfEEEE10hipError_tPvRmT2_T3_mT4_T5_T6_T7_T8_P12ihipStream_tbENKUlT_T0_E_clISt17integral_constantIbLb1EES10_IbLb0EEEEDaSW_SX_EUlSW_E_NS1_11comp_targetILNS1_3genE10ELNS1_11target_archE1201ELNS1_3gpuE5ELNS1_3repE0EEENS1_30default_config_static_selectorELNS0_4arch9wavefront6targetE1EEEvT1_.kd
    .uniform_work_group_size: 1
    .uses_dynamic_stack: false
    .vgpr_count:     0
    .vgpr_spill_count: 0
    .wavefront_size: 64
  - .agpr_count:     0
    .args:
      - .offset:         0
        .size:           120
        .value_kind:     by_value
    .group_segment_fixed_size: 0
    .kernarg_segment_align: 8
    .kernarg_segment_size: 120
    .language:       OpenCL C
    .language_version:
      - 2
      - 0
    .max_flat_workgroup_size: 256
    .name:           _ZN7rocprim17ROCPRIM_400000_NS6detail17trampoline_kernelINS0_14default_configENS1_29reduce_by_key_config_selectorIffN6thrust23THRUST_200600_302600_NS4plusIfEEEEZZNS1_33reduce_by_key_impl_wrapped_configILNS1_25lookback_scan_determinismE1ES3_S9_NS6_6detail15normal_iteratorINS6_10device_ptrIfEEEESG_SG_SG_PmS8_NS6_8equal_toIfEEEE10hipError_tPvRmT2_T3_mT4_T5_T6_T7_T8_P12ihipStream_tbENKUlT_T0_E_clISt17integral_constantIbLb1EES10_IbLb0EEEEDaSW_SX_EUlSW_E_NS1_11comp_targetILNS1_3genE10ELNS1_11target_archE1200ELNS1_3gpuE4ELNS1_3repE0EEENS1_30default_config_static_selectorELNS0_4arch9wavefront6targetE1EEEvT1_
    .private_segment_fixed_size: 0
    .sgpr_count:     4
    .sgpr_spill_count: 0
    .symbol:         _ZN7rocprim17ROCPRIM_400000_NS6detail17trampoline_kernelINS0_14default_configENS1_29reduce_by_key_config_selectorIffN6thrust23THRUST_200600_302600_NS4plusIfEEEEZZNS1_33reduce_by_key_impl_wrapped_configILNS1_25lookback_scan_determinismE1ES3_S9_NS6_6detail15normal_iteratorINS6_10device_ptrIfEEEESG_SG_SG_PmS8_NS6_8equal_toIfEEEE10hipError_tPvRmT2_T3_mT4_T5_T6_T7_T8_P12ihipStream_tbENKUlT_T0_E_clISt17integral_constantIbLb1EES10_IbLb0EEEEDaSW_SX_EUlSW_E_NS1_11comp_targetILNS1_3genE10ELNS1_11target_archE1200ELNS1_3gpuE4ELNS1_3repE0EEENS1_30default_config_static_selectorELNS0_4arch9wavefront6targetE1EEEvT1_.kd
    .uniform_work_group_size: 1
    .uses_dynamic_stack: false
    .vgpr_count:     0
    .vgpr_spill_count: 0
    .wavefront_size: 64
  - .agpr_count:     0
    .args:
      - .offset:         0
        .size:           120
        .value_kind:     by_value
    .group_segment_fixed_size: 0
    .kernarg_segment_align: 8
    .kernarg_segment_size: 120
    .language:       OpenCL C
    .language_version:
      - 2
      - 0
    .max_flat_workgroup_size: 256
    .name:           _ZN7rocprim17ROCPRIM_400000_NS6detail17trampoline_kernelINS0_14default_configENS1_29reduce_by_key_config_selectorIffN6thrust23THRUST_200600_302600_NS4plusIfEEEEZZNS1_33reduce_by_key_impl_wrapped_configILNS1_25lookback_scan_determinismE1ES3_S9_NS6_6detail15normal_iteratorINS6_10device_ptrIfEEEESG_SG_SG_PmS8_NS6_8equal_toIfEEEE10hipError_tPvRmT2_T3_mT4_T5_T6_T7_T8_P12ihipStream_tbENKUlT_T0_E_clISt17integral_constantIbLb1EES10_IbLb0EEEEDaSW_SX_EUlSW_E_NS1_11comp_targetILNS1_3genE9ELNS1_11target_archE1100ELNS1_3gpuE3ELNS1_3repE0EEENS1_30default_config_static_selectorELNS0_4arch9wavefront6targetE1EEEvT1_
    .private_segment_fixed_size: 0
    .sgpr_count:     4
    .sgpr_spill_count: 0
    .symbol:         _ZN7rocprim17ROCPRIM_400000_NS6detail17trampoline_kernelINS0_14default_configENS1_29reduce_by_key_config_selectorIffN6thrust23THRUST_200600_302600_NS4plusIfEEEEZZNS1_33reduce_by_key_impl_wrapped_configILNS1_25lookback_scan_determinismE1ES3_S9_NS6_6detail15normal_iteratorINS6_10device_ptrIfEEEESG_SG_SG_PmS8_NS6_8equal_toIfEEEE10hipError_tPvRmT2_T3_mT4_T5_T6_T7_T8_P12ihipStream_tbENKUlT_T0_E_clISt17integral_constantIbLb1EES10_IbLb0EEEEDaSW_SX_EUlSW_E_NS1_11comp_targetILNS1_3genE9ELNS1_11target_archE1100ELNS1_3gpuE3ELNS1_3repE0EEENS1_30default_config_static_selectorELNS0_4arch9wavefront6targetE1EEEvT1_.kd
    .uniform_work_group_size: 1
    .uses_dynamic_stack: false
    .vgpr_count:     0
    .vgpr_spill_count: 0
    .wavefront_size: 64
  - .agpr_count:     0
    .args:
      - .offset:         0
        .size:           120
        .value_kind:     by_value
    .group_segment_fixed_size: 0
    .kernarg_segment_align: 8
    .kernarg_segment_size: 120
    .language:       OpenCL C
    .language_version:
      - 2
      - 0
    .max_flat_workgroup_size: 256
    .name:           _ZN7rocprim17ROCPRIM_400000_NS6detail17trampoline_kernelINS0_14default_configENS1_29reduce_by_key_config_selectorIffN6thrust23THRUST_200600_302600_NS4plusIfEEEEZZNS1_33reduce_by_key_impl_wrapped_configILNS1_25lookback_scan_determinismE1ES3_S9_NS6_6detail15normal_iteratorINS6_10device_ptrIfEEEESG_SG_SG_PmS8_NS6_8equal_toIfEEEE10hipError_tPvRmT2_T3_mT4_T5_T6_T7_T8_P12ihipStream_tbENKUlT_T0_E_clISt17integral_constantIbLb1EES10_IbLb0EEEEDaSW_SX_EUlSW_E_NS1_11comp_targetILNS1_3genE8ELNS1_11target_archE1030ELNS1_3gpuE2ELNS1_3repE0EEENS1_30default_config_static_selectorELNS0_4arch9wavefront6targetE1EEEvT1_
    .private_segment_fixed_size: 0
    .sgpr_count:     4
    .sgpr_spill_count: 0
    .symbol:         _ZN7rocprim17ROCPRIM_400000_NS6detail17trampoline_kernelINS0_14default_configENS1_29reduce_by_key_config_selectorIffN6thrust23THRUST_200600_302600_NS4plusIfEEEEZZNS1_33reduce_by_key_impl_wrapped_configILNS1_25lookback_scan_determinismE1ES3_S9_NS6_6detail15normal_iteratorINS6_10device_ptrIfEEEESG_SG_SG_PmS8_NS6_8equal_toIfEEEE10hipError_tPvRmT2_T3_mT4_T5_T6_T7_T8_P12ihipStream_tbENKUlT_T0_E_clISt17integral_constantIbLb1EES10_IbLb0EEEEDaSW_SX_EUlSW_E_NS1_11comp_targetILNS1_3genE8ELNS1_11target_archE1030ELNS1_3gpuE2ELNS1_3repE0EEENS1_30default_config_static_selectorELNS0_4arch9wavefront6targetE1EEEvT1_.kd
    .uniform_work_group_size: 1
    .uses_dynamic_stack: false
    .vgpr_count:     0
    .vgpr_spill_count: 0
    .wavefront_size: 64
  - .agpr_count:     0
    .args:
      - .address_space:  global
        .offset:         0
        .size:           8
        .value_kind:     global_buffer
      - .offset:         8
        .size:           4
        .value_kind:     by_value
      - .offset:         12
        .size:           1
        .value_kind:     by_value
      - .offset:         16
        .size:           4
        .value_kind:     by_value
      - .address_space:  global
        .offset:         24
        .size:           8
        .value_kind:     global_buffer
      - .address_space:  global
        .offset:         32
        .size:           8
        .value_kind:     global_buffer
      - .address_space:  global
        .offset:         40
        .size:           8
        .value_kind:     global_buffer
      - .offset:         48
        .size:           4
        .value_kind:     hidden_block_count_x
      - .offset:         52
        .size:           4
        .value_kind:     hidden_block_count_y
      - .offset:         56
        .size:           4
        .value_kind:     hidden_block_count_z
      - .offset:         60
        .size:           2
        .value_kind:     hidden_group_size_x
      - .offset:         62
        .size:           2
        .value_kind:     hidden_group_size_y
      - .offset:         64
        .size:           2
        .value_kind:     hidden_group_size_z
      - .offset:         66
        .size:           2
        .value_kind:     hidden_remainder_x
      - .offset:         68
        .size:           2
        .value_kind:     hidden_remainder_y
      - .offset:         70
        .size:           2
        .value_kind:     hidden_remainder_z
      - .offset:         88
        .size:           8
        .value_kind:     hidden_global_offset_x
      - .offset:         96
        .size:           8
        .value_kind:     hidden_global_offset_y
      - .offset:         104
        .size:           8
        .value_kind:     hidden_global_offset_z
      - .offset:         112
        .size:           2
        .value_kind:     hidden_grid_dims
    .group_segment_fixed_size: 0
    .kernarg_segment_align: 8
    .kernarg_segment_size: 304
    .language:       OpenCL C
    .language_version:
      - 2
      - 0
    .max_flat_workgroup_size: 256
    .name:           _ZN7rocprim17ROCPRIM_400000_NS6detail25reduce_by_key_init_kernelINS1_19lookback_scan_stateINS0_5tupleIJjfEEELb0ELb1EEEfNS1_16block_id_wrapperIjLb1EEEEEvT_jbjPmPT0_T1_
    .private_segment_fixed_size: 0
    .sgpr_count:     22
    .sgpr_spill_count: 0
    .symbol:         _ZN7rocprim17ROCPRIM_400000_NS6detail25reduce_by_key_init_kernelINS1_19lookback_scan_stateINS0_5tupleIJjfEEELb0ELb1EEEfNS1_16block_id_wrapperIjLb1EEEEEvT_jbjPmPT0_T1_.kd
    .uniform_work_group_size: 1
    .uses_dynamic_stack: false
    .vgpr_count:     14
    .vgpr_spill_count: 0
    .wavefront_size: 64
  - .agpr_count:     0
    .args:
      - .offset:         0
        .size:           120
        .value_kind:     by_value
    .group_segment_fixed_size: 0
    .kernarg_segment_align: 8
    .kernarg_segment_size: 120
    .language:       OpenCL C
    .language_version:
      - 2
      - 0
    .max_flat_workgroup_size: 256
    .name:           _ZN7rocprim17ROCPRIM_400000_NS6detail17trampoline_kernelINS0_14default_configENS1_29reduce_by_key_config_selectorIffN6thrust23THRUST_200600_302600_NS4plusIfEEEEZZNS1_33reduce_by_key_impl_wrapped_configILNS1_25lookback_scan_determinismE1ES3_S9_NS6_6detail15normal_iteratorINS6_10device_ptrIfEEEESG_SG_SG_PmS8_NS6_8equal_toIfEEEE10hipError_tPvRmT2_T3_mT4_T5_T6_T7_T8_P12ihipStream_tbENKUlT_T0_E_clISt17integral_constantIbLb0EES10_IbLb1EEEEDaSW_SX_EUlSW_E_NS1_11comp_targetILNS1_3genE0ELNS1_11target_archE4294967295ELNS1_3gpuE0ELNS1_3repE0EEENS1_30default_config_static_selectorELNS0_4arch9wavefront6targetE1EEEvT1_
    .private_segment_fixed_size: 0
    .sgpr_count:     4
    .sgpr_spill_count: 0
    .symbol:         _ZN7rocprim17ROCPRIM_400000_NS6detail17trampoline_kernelINS0_14default_configENS1_29reduce_by_key_config_selectorIffN6thrust23THRUST_200600_302600_NS4plusIfEEEEZZNS1_33reduce_by_key_impl_wrapped_configILNS1_25lookback_scan_determinismE1ES3_S9_NS6_6detail15normal_iteratorINS6_10device_ptrIfEEEESG_SG_SG_PmS8_NS6_8equal_toIfEEEE10hipError_tPvRmT2_T3_mT4_T5_T6_T7_T8_P12ihipStream_tbENKUlT_T0_E_clISt17integral_constantIbLb0EES10_IbLb1EEEEDaSW_SX_EUlSW_E_NS1_11comp_targetILNS1_3genE0ELNS1_11target_archE4294967295ELNS1_3gpuE0ELNS1_3repE0EEENS1_30default_config_static_selectorELNS0_4arch9wavefront6targetE1EEEvT1_.kd
    .uniform_work_group_size: 1
    .uses_dynamic_stack: false
    .vgpr_count:     0
    .vgpr_spill_count: 0
    .wavefront_size: 64
  - .agpr_count:     0
    .args:
      - .offset:         0
        .size:           120
        .value_kind:     by_value
    .group_segment_fixed_size: 0
    .kernarg_segment_align: 8
    .kernarg_segment_size: 120
    .language:       OpenCL C
    .language_version:
      - 2
      - 0
    .max_flat_workgroup_size: 256
    .name:           _ZN7rocprim17ROCPRIM_400000_NS6detail17trampoline_kernelINS0_14default_configENS1_29reduce_by_key_config_selectorIffN6thrust23THRUST_200600_302600_NS4plusIfEEEEZZNS1_33reduce_by_key_impl_wrapped_configILNS1_25lookback_scan_determinismE1ES3_S9_NS6_6detail15normal_iteratorINS6_10device_ptrIfEEEESG_SG_SG_PmS8_NS6_8equal_toIfEEEE10hipError_tPvRmT2_T3_mT4_T5_T6_T7_T8_P12ihipStream_tbENKUlT_T0_E_clISt17integral_constantIbLb0EES10_IbLb1EEEEDaSW_SX_EUlSW_E_NS1_11comp_targetILNS1_3genE5ELNS1_11target_archE942ELNS1_3gpuE9ELNS1_3repE0EEENS1_30default_config_static_selectorELNS0_4arch9wavefront6targetE1EEEvT1_
    .private_segment_fixed_size: 0
    .sgpr_count:     4
    .sgpr_spill_count: 0
    .symbol:         _ZN7rocprim17ROCPRIM_400000_NS6detail17trampoline_kernelINS0_14default_configENS1_29reduce_by_key_config_selectorIffN6thrust23THRUST_200600_302600_NS4plusIfEEEEZZNS1_33reduce_by_key_impl_wrapped_configILNS1_25lookback_scan_determinismE1ES3_S9_NS6_6detail15normal_iteratorINS6_10device_ptrIfEEEESG_SG_SG_PmS8_NS6_8equal_toIfEEEE10hipError_tPvRmT2_T3_mT4_T5_T6_T7_T8_P12ihipStream_tbENKUlT_T0_E_clISt17integral_constantIbLb0EES10_IbLb1EEEEDaSW_SX_EUlSW_E_NS1_11comp_targetILNS1_3genE5ELNS1_11target_archE942ELNS1_3gpuE9ELNS1_3repE0EEENS1_30default_config_static_selectorELNS0_4arch9wavefront6targetE1EEEvT1_.kd
    .uniform_work_group_size: 1
    .uses_dynamic_stack: false
    .vgpr_count:     0
    .vgpr_spill_count: 0
    .wavefront_size: 64
  - .agpr_count:     0
    .args:
      - .offset:         0
        .size:           120
        .value_kind:     by_value
    .group_segment_fixed_size: 15360
    .kernarg_segment_align: 8
    .kernarg_segment_size: 120
    .language:       OpenCL C
    .language_version:
      - 2
      - 0
    .max_flat_workgroup_size: 256
    .name:           _ZN7rocprim17ROCPRIM_400000_NS6detail17trampoline_kernelINS0_14default_configENS1_29reduce_by_key_config_selectorIffN6thrust23THRUST_200600_302600_NS4plusIfEEEEZZNS1_33reduce_by_key_impl_wrapped_configILNS1_25lookback_scan_determinismE1ES3_S9_NS6_6detail15normal_iteratorINS6_10device_ptrIfEEEESG_SG_SG_PmS8_NS6_8equal_toIfEEEE10hipError_tPvRmT2_T3_mT4_T5_T6_T7_T8_P12ihipStream_tbENKUlT_T0_E_clISt17integral_constantIbLb0EES10_IbLb1EEEEDaSW_SX_EUlSW_E_NS1_11comp_targetILNS1_3genE4ELNS1_11target_archE910ELNS1_3gpuE8ELNS1_3repE0EEENS1_30default_config_static_selectorELNS0_4arch9wavefront6targetE1EEEvT1_
    .private_segment_fixed_size: 48
    .sgpr_count:     82
    .sgpr_spill_count: 0
    .symbol:         _ZN7rocprim17ROCPRIM_400000_NS6detail17trampoline_kernelINS0_14default_configENS1_29reduce_by_key_config_selectorIffN6thrust23THRUST_200600_302600_NS4plusIfEEEEZZNS1_33reduce_by_key_impl_wrapped_configILNS1_25lookback_scan_determinismE1ES3_S9_NS6_6detail15normal_iteratorINS6_10device_ptrIfEEEESG_SG_SG_PmS8_NS6_8equal_toIfEEEE10hipError_tPvRmT2_T3_mT4_T5_T6_T7_T8_P12ihipStream_tbENKUlT_T0_E_clISt17integral_constantIbLb0EES10_IbLb1EEEEDaSW_SX_EUlSW_E_NS1_11comp_targetILNS1_3genE4ELNS1_11target_archE910ELNS1_3gpuE8ELNS1_3repE0EEENS1_30default_config_static_selectorELNS0_4arch9wavefront6targetE1EEEvT1_.kd
    .uniform_work_group_size: 1
    .uses_dynamic_stack: false
    .vgpr_count:     108
    .vgpr_spill_count: 0
    .wavefront_size: 64
  - .agpr_count:     0
    .args:
      - .offset:         0
        .size:           120
        .value_kind:     by_value
    .group_segment_fixed_size: 0
    .kernarg_segment_align: 8
    .kernarg_segment_size: 120
    .language:       OpenCL C
    .language_version:
      - 2
      - 0
    .max_flat_workgroup_size: 256
    .name:           _ZN7rocprim17ROCPRIM_400000_NS6detail17trampoline_kernelINS0_14default_configENS1_29reduce_by_key_config_selectorIffN6thrust23THRUST_200600_302600_NS4plusIfEEEEZZNS1_33reduce_by_key_impl_wrapped_configILNS1_25lookback_scan_determinismE1ES3_S9_NS6_6detail15normal_iteratorINS6_10device_ptrIfEEEESG_SG_SG_PmS8_NS6_8equal_toIfEEEE10hipError_tPvRmT2_T3_mT4_T5_T6_T7_T8_P12ihipStream_tbENKUlT_T0_E_clISt17integral_constantIbLb0EES10_IbLb1EEEEDaSW_SX_EUlSW_E_NS1_11comp_targetILNS1_3genE3ELNS1_11target_archE908ELNS1_3gpuE7ELNS1_3repE0EEENS1_30default_config_static_selectorELNS0_4arch9wavefront6targetE1EEEvT1_
    .private_segment_fixed_size: 0
    .sgpr_count:     4
    .sgpr_spill_count: 0
    .symbol:         _ZN7rocprim17ROCPRIM_400000_NS6detail17trampoline_kernelINS0_14default_configENS1_29reduce_by_key_config_selectorIffN6thrust23THRUST_200600_302600_NS4plusIfEEEEZZNS1_33reduce_by_key_impl_wrapped_configILNS1_25lookback_scan_determinismE1ES3_S9_NS6_6detail15normal_iteratorINS6_10device_ptrIfEEEESG_SG_SG_PmS8_NS6_8equal_toIfEEEE10hipError_tPvRmT2_T3_mT4_T5_T6_T7_T8_P12ihipStream_tbENKUlT_T0_E_clISt17integral_constantIbLb0EES10_IbLb1EEEEDaSW_SX_EUlSW_E_NS1_11comp_targetILNS1_3genE3ELNS1_11target_archE908ELNS1_3gpuE7ELNS1_3repE0EEENS1_30default_config_static_selectorELNS0_4arch9wavefront6targetE1EEEvT1_.kd
    .uniform_work_group_size: 1
    .uses_dynamic_stack: false
    .vgpr_count:     0
    .vgpr_spill_count: 0
    .wavefront_size: 64
  - .agpr_count:     0
    .args:
      - .offset:         0
        .size:           120
        .value_kind:     by_value
    .group_segment_fixed_size: 0
    .kernarg_segment_align: 8
    .kernarg_segment_size: 120
    .language:       OpenCL C
    .language_version:
      - 2
      - 0
    .max_flat_workgroup_size: 256
    .name:           _ZN7rocprim17ROCPRIM_400000_NS6detail17trampoline_kernelINS0_14default_configENS1_29reduce_by_key_config_selectorIffN6thrust23THRUST_200600_302600_NS4plusIfEEEEZZNS1_33reduce_by_key_impl_wrapped_configILNS1_25lookback_scan_determinismE1ES3_S9_NS6_6detail15normal_iteratorINS6_10device_ptrIfEEEESG_SG_SG_PmS8_NS6_8equal_toIfEEEE10hipError_tPvRmT2_T3_mT4_T5_T6_T7_T8_P12ihipStream_tbENKUlT_T0_E_clISt17integral_constantIbLb0EES10_IbLb1EEEEDaSW_SX_EUlSW_E_NS1_11comp_targetILNS1_3genE2ELNS1_11target_archE906ELNS1_3gpuE6ELNS1_3repE0EEENS1_30default_config_static_selectorELNS0_4arch9wavefront6targetE1EEEvT1_
    .private_segment_fixed_size: 0
    .sgpr_count:     4
    .sgpr_spill_count: 0
    .symbol:         _ZN7rocprim17ROCPRIM_400000_NS6detail17trampoline_kernelINS0_14default_configENS1_29reduce_by_key_config_selectorIffN6thrust23THRUST_200600_302600_NS4plusIfEEEEZZNS1_33reduce_by_key_impl_wrapped_configILNS1_25lookback_scan_determinismE1ES3_S9_NS6_6detail15normal_iteratorINS6_10device_ptrIfEEEESG_SG_SG_PmS8_NS6_8equal_toIfEEEE10hipError_tPvRmT2_T3_mT4_T5_T6_T7_T8_P12ihipStream_tbENKUlT_T0_E_clISt17integral_constantIbLb0EES10_IbLb1EEEEDaSW_SX_EUlSW_E_NS1_11comp_targetILNS1_3genE2ELNS1_11target_archE906ELNS1_3gpuE6ELNS1_3repE0EEENS1_30default_config_static_selectorELNS0_4arch9wavefront6targetE1EEEvT1_.kd
    .uniform_work_group_size: 1
    .uses_dynamic_stack: false
    .vgpr_count:     0
    .vgpr_spill_count: 0
    .wavefront_size: 64
  - .agpr_count:     0
    .args:
      - .offset:         0
        .size:           120
        .value_kind:     by_value
    .group_segment_fixed_size: 0
    .kernarg_segment_align: 8
    .kernarg_segment_size: 120
    .language:       OpenCL C
    .language_version:
      - 2
      - 0
    .max_flat_workgroup_size: 256
    .name:           _ZN7rocprim17ROCPRIM_400000_NS6detail17trampoline_kernelINS0_14default_configENS1_29reduce_by_key_config_selectorIffN6thrust23THRUST_200600_302600_NS4plusIfEEEEZZNS1_33reduce_by_key_impl_wrapped_configILNS1_25lookback_scan_determinismE1ES3_S9_NS6_6detail15normal_iteratorINS6_10device_ptrIfEEEESG_SG_SG_PmS8_NS6_8equal_toIfEEEE10hipError_tPvRmT2_T3_mT4_T5_T6_T7_T8_P12ihipStream_tbENKUlT_T0_E_clISt17integral_constantIbLb0EES10_IbLb1EEEEDaSW_SX_EUlSW_E_NS1_11comp_targetILNS1_3genE10ELNS1_11target_archE1201ELNS1_3gpuE5ELNS1_3repE0EEENS1_30default_config_static_selectorELNS0_4arch9wavefront6targetE1EEEvT1_
    .private_segment_fixed_size: 0
    .sgpr_count:     4
    .sgpr_spill_count: 0
    .symbol:         _ZN7rocprim17ROCPRIM_400000_NS6detail17trampoline_kernelINS0_14default_configENS1_29reduce_by_key_config_selectorIffN6thrust23THRUST_200600_302600_NS4plusIfEEEEZZNS1_33reduce_by_key_impl_wrapped_configILNS1_25lookback_scan_determinismE1ES3_S9_NS6_6detail15normal_iteratorINS6_10device_ptrIfEEEESG_SG_SG_PmS8_NS6_8equal_toIfEEEE10hipError_tPvRmT2_T3_mT4_T5_T6_T7_T8_P12ihipStream_tbENKUlT_T0_E_clISt17integral_constantIbLb0EES10_IbLb1EEEEDaSW_SX_EUlSW_E_NS1_11comp_targetILNS1_3genE10ELNS1_11target_archE1201ELNS1_3gpuE5ELNS1_3repE0EEENS1_30default_config_static_selectorELNS0_4arch9wavefront6targetE1EEEvT1_.kd
    .uniform_work_group_size: 1
    .uses_dynamic_stack: false
    .vgpr_count:     0
    .vgpr_spill_count: 0
    .wavefront_size: 64
  - .agpr_count:     0
    .args:
      - .offset:         0
        .size:           120
        .value_kind:     by_value
    .group_segment_fixed_size: 0
    .kernarg_segment_align: 8
    .kernarg_segment_size: 120
    .language:       OpenCL C
    .language_version:
      - 2
      - 0
    .max_flat_workgroup_size: 256
    .name:           _ZN7rocprim17ROCPRIM_400000_NS6detail17trampoline_kernelINS0_14default_configENS1_29reduce_by_key_config_selectorIffN6thrust23THRUST_200600_302600_NS4plusIfEEEEZZNS1_33reduce_by_key_impl_wrapped_configILNS1_25lookback_scan_determinismE1ES3_S9_NS6_6detail15normal_iteratorINS6_10device_ptrIfEEEESG_SG_SG_PmS8_NS6_8equal_toIfEEEE10hipError_tPvRmT2_T3_mT4_T5_T6_T7_T8_P12ihipStream_tbENKUlT_T0_E_clISt17integral_constantIbLb0EES10_IbLb1EEEEDaSW_SX_EUlSW_E_NS1_11comp_targetILNS1_3genE10ELNS1_11target_archE1200ELNS1_3gpuE4ELNS1_3repE0EEENS1_30default_config_static_selectorELNS0_4arch9wavefront6targetE1EEEvT1_
    .private_segment_fixed_size: 0
    .sgpr_count:     4
    .sgpr_spill_count: 0
    .symbol:         _ZN7rocprim17ROCPRIM_400000_NS6detail17trampoline_kernelINS0_14default_configENS1_29reduce_by_key_config_selectorIffN6thrust23THRUST_200600_302600_NS4plusIfEEEEZZNS1_33reduce_by_key_impl_wrapped_configILNS1_25lookback_scan_determinismE1ES3_S9_NS6_6detail15normal_iteratorINS6_10device_ptrIfEEEESG_SG_SG_PmS8_NS6_8equal_toIfEEEE10hipError_tPvRmT2_T3_mT4_T5_T6_T7_T8_P12ihipStream_tbENKUlT_T0_E_clISt17integral_constantIbLb0EES10_IbLb1EEEEDaSW_SX_EUlSW_E_NS1_11comp_targetILNS1_3genE10ELNS1_11target_archE1200ELNS1_3gpuE4ELNS1_3repE0EEENS1_30default_config_static_selectorELNS0_4arch9wavefront6targetE1EEEvT1_.kd
    .uniform_work_group_size: 1
    .uses_dynamic_stack: false
    .vgpr_count:     0
    .vgpr_spill_count: 0
    .wavefront_size: 64
  - .agpr_count:     0
    .args:
      - .offset:         0
        .size:           120
        .value_kind:     by_value
    .group_segment_fixed_size: 0
    .kernarg_segment_align: 8
    .kernarg_segment_size: 120
    .language:       OpenCL C
    .language_version:
      - 2
      - 0
    .max_flat_workgroup_size: 256
    .name:           _ZN7rocprim17ROCPRIM_400000_NS6detail17trampoline_kernelINS0_14default_configENS1_29reduce_by_key_config_selectorIffN6thrust23THRUST_200600_302600_NS4plusIfEEEEZZNS1_33reduce_by_key_impl_wrapped_configILNS1_25lookback_scan_determinismE1ES3_S9_NS6_6detail15normal_iteratorINS6_10device_ptrIfEEEESG_SG_SG_PmS8_NS6_8equal_toIfEEEE10hipError_tPvRmT2_T3_mT4_T5_T6_T7_T8_P12ihipStream_tbENKUlT_T0_E_clISt17integral_constantIbLb0EES10_IbLb1EEEEDaSW_SX_EUlSW_E_NS1_11comp_targetILNS1_3genE9ELNS1_11target_archE1100ELNS1_3gpuE3ELNS1_3repE0EEENS1_30default_config_static_selectorELNS0_4arch9wavefront6targetE1EEEvT1_
    .private_segment_fixed_size: 0
    .sgpr_count:     4
    .sgpr_spill_count: 0
    .symbol:         _ZN7rocprim17ROCPRIM_400000_NS6detail17trampoline_kernelINS0_14default_configENS1_29reduce_by_key_config_selectorIffN6thrust23THRUST_200600_302600_NS4plusIfEEEEZZNS1_33reduce_by_key_impl_wrapped_configILNS1_25lookback_scan_determinismE1ES3_S9_NS6_6detail15normal_iteratorINS6_10device_ptrIfEEEESG_SG_SG_PmS8_NS6_8equal_toIfEEEE10hipError_tPvRmT2_T3_mT4_T5_T6_T7_T8_P12ihipStream_tbENKUlT_T0_E_clISt17integral_constantIbLb0EES10_IbLb1EEEEDaSW_SX_EUlSW_E_NS1_11comp_targetILNS1_3genE9ELNS1_11target_archE1100ELNS1_3gpuE3ELNS1_3repE0EEENS1_30default_config_static_selectorELNS0_4arch9wavefront6targetE1EEEvT1_.kd
    .uniform_work_group_size: 1
    .uses_dynamic_stack: false
    .vgpr_count:     0
    .vgpr_spill_count: 0
    .wavefront_size: 64
  - .agpr_count:     0
    .args:
      - .offset:         0
        .size:           120
        .value_kind:     by_value
    .group_segment_fixed_size: 0
    .kernarg_segment_align: 8
    .kernarg_segment_size: 120
    .language:       OpenCL C
    .language_version:
      - 2
      - 0
    .max_flat_workgroup_size: 256
    .name:           _ZN7rocprim17ROCPRIM_400000_NS6detail17trampoline_kernelINS0_14default_configENS1_29reduce_by_key_config_selectorIffN6thrust23THRUST_200600_302600_NS4plusIfEEEEZZNS1_33reduce_by_key_impl_wrapped_configILNS1_25lookback_scan_determinismE1ES3_S9_NS6_6detail15normal_iteratorINS6_10device_ptrIfEEEESG_SG_SG_PmS8_NS6_8equal_toIfEEEE10hipError_tPvRmT2_T3_mT4_T5_T6_T7_T8_P12ihipStream_tbENKUlT_T0_E_clISt17integral_constantIbLb0EES10_IbLb1EEEEDaSW_SX_EUlSW_E_NS1_11comp_targetILNS1_3genE8ELNS1_11target_archE1030ELNS1_3gpuE2ELNS1_3repE0EEENS1_30default_config_static_selectorELNS0_4arch9wavefront6targetE1EEEvT1_
    .private_segment_fixed_size: 0
    .sgpr_count:     4
    .sgpr_spill_count: 0
    .symbol:         _ZN7rocprim17ROCPRIM_400000_NS6detail17trampoline_kernelINS0_14default_configENS1_29reduce_by_key_config_selectorIffN6thrust23THRUST_200600_302600_NS4plusIfEEEEZZNS1_33reduce_by_key_impl_wrapped_configILNS1_25lookback_scan_determinismE1ES3_S9_NS6_6detail15normal_iteratorINS6_10device_ptrIfEEEESG_SG_SG_PmS8_NS6_8equal_toIfEEEE10hipError_tPvRmT2_T3_mT4_T5_T6_T7_T8_P12ihipStream_tbENKUlT_T0_E_clISt17integral_constantIbLb0EES10_IbLb1EEEEDaSW_SX_EUlSW_E_NS1_11comp_targetILNS1_3genE8ELNS1_11target_archE1030ELNS1_3gpuE2ELNS1_3repE0EEENS1_30default_config_static_selectorELNS0_4arch9wavefront6targetE1EEEvT1_.kd
    .uniform_work_group_size: 1
    .uses_dynamic_stack: false
    .vgpr_count:     0
    .vgpr_spill_count: 0
    .wavefront_size: 64
  - .agpr_count:     0
    .args:
      - .offset:         0
        .size:           120
        .value_kind:     by_value
    .group_segment_fixed_size: 0
    .kernarg_segment_align: 8
    .kernarg_segment_size: 120
    .language:       OpenCL C
    .language_version:
      - 2
      - 0
    .max_flat_workgroup_size: 256
    .name:           _ZN7rocprim17ROCPRIM_400000_NS6detail17trampoline_kernelINS0_14default_configENS1_29reduce_by_key_config_selectorIffN6thrust23THRUST_200600_302600_NS4plusIfEEEEZZNS1_33reduce_by_key_impl_wrapped_configILNS1_25lookback_scan_determinismE1ES3_S9_NS6_6detail15normal_iteratorINS6_10device_ptrIfEEEESG_SG_SG_PmS8_22is_equal_div_10_reduceIfEEE10hipError_tPvRmT2_T3_mT4_T5_T6_T7_T8_P12ihipStream_tbENKUlT_T0_E_clISt17integral_constantIbLb0EES11_EEDaSW_SX_EUlSW_E_NS1_11comp_targetILNS1_3genE0ELNS1_11target_archE4294967295ELNS1_3gpuE0ELNS1_3repE0EEENS1_30default_config_static_selectorELNS0_4arch9wavefront6targetE1EEEvT1_
    .private_segment_fixed_size: 0
    .sgpr_count:     4
    .sgpr_spill_count: 0
    .symbol:         _ZN7rocprim17ROCPRIM_400000_NS6detail17trampoline_kernelINS0_14default_configENS1_29reduce_by_key_config_selectorIffN6thrust23THRUST_200600_302600_NS4plusIfEEEEZZNS1_33reduce_by_key_impl_wrapped_configILNS1_25lookback_scan_determinismE1ES3_S9_NS6_6detail15normal_iteratorINS6_10device_ptrIfEEEESG_SG_SG_PmS8_22is_equal_div_10_reduceIfEEE10hipError_tPvRmT2_T3_mT4_T5_T6_T7_T8_P12ihipStream_tbENKUlT_T0_E_clISt17integral_constantIbLb0EES11_EEDaSW_SX_EUlSW_E_NS1_11comp_targetILNS1_3genE0ELNS1_11target_archE4294967295ELNS1_3gpuE0ELNS1_3repE0EEENS1_30default_config_static_selectorELNS0_4arch9wavefront6targetE1EEEvT1_.kd
    .uniform_work_group_size: 1
    .uses_dynamic_stack: false
    .vgpr_count:     0
    .vgpr_spill_count: 0
    .wavefront_size: 64
  - .agpr_count:     0
    .args:
      - .offset:         0
        .size:           120
        .value_kind:     by_value
    .group_segment_fixed_size: 0
    .kernarg_segment_align: 8
    .kernarg_segment_size: 120
    .language:       OpenCL C
    .language_version:
      - 2
      - 0
    .max_flat_workgroup_size: 256
    .name:           _ZN7rocprim17ROCPRIM_400000_NS6detail17trampoline_kernelINS0_14default_configENS1_29reduce_by_key_config_selectorIffN6thrust23THRUST_200600_302600_NS4plusIfEEEEZZNS1_33reduce_by_key_impl_wrapped_configILNS1_25lookback_scan_determinismE1ES3_S9_NS6_6detail15normal_iteratorINS6_10device_ptrIfEEEESG_SG_SG_PmS8_22is_equal_div_10_reduceIfEEE10hipError_tPvRmT2_T3_mT4_T5_T6_T7_T8_P12ihipStream_tbENKUlT_T0_E_clISt17integral_constantIbLb0EES11_EEDaSW_SX_EUlSW_E_NS1_11comp_targetILNS1_3genE5ELNS1_11target_archE942ELNS1_3gpuE9ELNS1_3repE0EEENS1_30default_config_static_selectorELNS0_4arch9wavefront6targetE1EEEvT1_
    .private_segment_fixed_size: 0
    .sgpr_count:     4
    .sgpr_spill_count: 0
    .symbol:         _ZN7rocprim17ROCPRIM_400000_NS6detail17trampoline_kernelINS0_14default_configENS1_29reduce_by_key_config_selectorIffN6thrust23THRUST_200600_302600_NS4plusIfEEEEZZNS1_33reduce_by_key_impl_wrapped_configILNS1_25lookback_scan_determinismE1ES3_S9_NS6_6detail15normal_iteratorINS6_10device_ptrIfEEEESG_SG_SG_PmS8_22is_equal_div_10_reduceIfEEE10hipError_tPvRmT2_T3_mT4_T5_T6_T7_T8_P12ihipStream_tbENKUlT_T0_E_clISt17integral_constantIbLb0EES11_EEDaSW_SX_EUlSW_E_NS1_11comp_targetILNS1_3genE5ELNS1_11target_archE942ELNS1_3gpuE9ELNS1_3repE0EEENS1_30default_config_static_selectorELNS0_4arch9wavefront6targetE1EEEvT1_.kd
    .uniform_work_group_size: 1
    .uses_dynamic_stack: false
    .vgpr_count:     0
    .vgpr_spill_count: 0
    .wavefront_size: 64
  - .agpr_count:     0
    .args:
      - .offset:         0
        .size:           120
        .value_kind:     by_value
    .group_segment_fixed_size: 15360
    .kernarg_segment_align: 8
    .kernarg_segment_size: 120
    .language:       OpenCL C
    .language_version:
      - 2
      - 0
    .max_flat_workgroup_size: 256
    .name:           _ZN7rocprim17ROCPRIM_400000_NS6detail17trampoline_kernelINS0_14default_configENS1_29reduce_by_key_config_selectorIffN6thrust23THRUST_200600_302600_NS4plusIfEEEEZZNS1_33reduce_by_key_impl_wrapped_configILNS1_25lookback_scan_determinismE1ES3_S9_NS6_6detail15normal_iteratorINS6_10device_ptrIfEEEESG_SG_SG_PmS8_22is_equal_div_10_reduceIfEEE10hipError_tPvRmT2_T3_mT4_T5_T6_T7_T8_P12ihipStream_tbENKUlT_T0_E_clISt17integral_constantIbLb0EES11_EEDaSW_SX_EUlSW_E_NS1_11comp_targetILNS1_3genE4ELNS1_11target_archE910ELNS1_3gpuE8ELNS1_3repE0EEENS1_30default_config_static_selectorELNS0_4arch9wavefront6targetE1EEEvT1_
    .private_segment_fixed_size: 48
    .sgpr_count:     80
    .sgpr_spill_count: 0
    .symbol:         _ZN7rocprim17ROCPRIM_400000_NS6detail17trampoline_kernelINS0_14default_configENS1_29reduce_by_key_config_selectorIffN6thrust23THRUST_200600_302600_NS4plusIfEEEEZZNS1_33reduce_by_key_impl_wrapped_configILNS1_25lookback_scan_determinismE1ES3_S9_NS6_6detail15normal_iteratorINS6_10device_ptrIfEEEESG_SG_SG_PmS8_22is_equal_div_10_reduceIfEEE10hipError_tPvRmT2_T3_mT4_T5_T6_T7_T8_P12ihipStream_tbENKUlT_T0_E_clISt17integral_constantIbLb0EES11_EEDaSW_SX_EUlSW_E_NS1_11comp_targetILNS1_3genE4ELNS1_11target_archE910ELNS1_3gpuE8ELNS1_3repE0EEENS1_30default_config_static_selectorELNS0_4arch9wavefront6targetE1EEEvT1_.kd
    .uniform_work_group_size: 1
    .uses_dynamic_stack: false
    .vgpr_count:     108
    .vgpr_spill_count: 0
    .wavefront_size: 64
  - .agpr_count:     0
    .args:
      - .offset:         0
        .size:           120
        .value_kind:     by_value
    .group_segment_fixed_size: 0
    .kernarg_segment_align: 8
    .kernarg_segment_size: 120
    .language:       OpenCL C
    .language_version:
      - 2
      - 0
    .max_flat_workgroup_size: 256
    .name:           _ZN7rocprim17ROCPRIM_400000_NS6detail17trampoline_kernelINS0_14default_configENS1_29reduce_by_key_config_selectorIffN6thrust23THRUST_200600_302600_NS4plusIfEEEEZZNS1_33reduce_by_key_impl_wrapped_configILNS1_25lookback_scan_determinismE1ES3_S9_NS6_6detail15normal_iteratorINS6_10device_ptrIfEEEESG_SG_SG_PmS8_22is_equal_div_10_reduceIfEEE10hipError_tPvRmT2_T3_mT4_T5_T6_T7_T8_P12ihipStream_tbENKUlT_T0_E_clISt17integral_constantIbLb0EES11_EEDaSW_SX_EUlSW_E_NS1_11comp_targetILNS1_3genE3ELNS1_11target_archE908ELNS1_3gpuE7ELNS1_3repE0EEENS1_30default_config_static_selectorELNS0_4arch9wavefront6targetE1EEEvT1_
    .private_segment_fixed_size: 0
    .sgpr_count:     4
    .sgpr_spill_count: 0
    .symbol:         _ZN7rocprim17ROCPRIM_400000_NS6detail17trampoline_kernelINS0_14default_configENS1_29reduce_by_key_config_selectorIffN6thrust23THRUST_200600_302600_NS4plusIfEEEEZZNS1_33reduce_by_key_impl_wrapped_configILNS1_25lookback_scan_determinismE1ES3_S9_NS6_6detail15normal_iteratorINS6_10device_ptrIfEEEESG_SG_SG_PmS8_22is_equal_div_10_reduceIfEEE10hipError_tPvRmT2_T3_mT4_T5_T6_T7_T8_P12ihipStream_tbENKUlT_T0_E_clISt17integral_constantIbLb0EES11_EEDaSW_SX_EUlSW_E_NS1_11comp_targetILNS1_3genE3ELNS1_11target_archE908ELNS1_3gpuE7ELNS1_3repE0EEENS1_30default_config_static_selectorELNS0_4arch9wavefront6targetE1EEEvT1_.kd
    .uniform_work_group_size: 1
    .uses_dynamic_stack: false
    .vgpr_count:     0
    .vgpr_spill_count: 0
    .wavefront_size: 64
  - .agpr_count:     0
    .args:
      - .offset:         0
        .size:           120
        .value_kind:     by_value
    .group_segment_fixed_size: 0
    .kernarg_segment_align: 8
    .kernarg_segment_size: 120
    .language:       OpenCL C
    .language_version:
      - 2
      - 0
    .max_flat_workgroup_size: 256
    .name:           _ZN7rocprim17ROCPRIM_400000_NS6detail17trampoline_kernelINS0_14default_configENS1_29reduce_by_key_config_selectorIffN6thrust23THRUST_200600_302600_NS4plusIfEEEEZZNS1_33reduce_by_key_impl_wrapped_configILNS1_25lookback_scan_determinismE1ES3_S9_NS6_6detail15normal_iteratorINS6_10device_ptrIfEEEESG_SG_SG_PmS8_22is_equal_div_10_reduceIfEEE10hipError_tPvRmT2_T3_mT4_T5_T6_T7_T8_P12ihipStream_tbENKUlT_T0_E_clISt17integral_constantIbLb0EES11_EEDaSW_SX_EUlSW_E_NS1_11comp_targetILNS1_3genE2ELNS1_11target_archE906ELNS1_3gpuE6ELNS1_3repE0EEENS1_30default_config_static_selectorELNS0_4arch9wavefront6targetE1EEEvT1_
    .private_segment_fixed_size: 0
    .sgpr_count:     4
    .sgpr_spill_count: 0
    .symbol:         _ZN7rocprim17ROCPRIM_400000_NS6detail17trampoline_kernelINS0_14default_configENS1_29reduce_by_key_config_selectorIffN6thrust23THRUST_200600_302600_NS4plusIfEEEEZZNS1_33reduce_by_key_impl_wrapped_configILNS1_25lookback_scan_determinismE1ES3_S9_NS6_6detail15normal_iteratorINS6_10device_ptrIfEEEESG_SG_SG_PmS8_22is_equal_div_10_reduceIfEEE10hipError_tPvRmT2_T3_mT4_T5_T6_T7_T8_P12ihipStream_tbENKUlT_T0_E_clISt17integral_constantIbLb0EES11_EEDaSW_SX_EUlSW_E_NS1_11comp_targetILNS1_3genE2ELNS1_11target_archE906ELNS1_3gpuE6ELNS1_3repE0EEENS1_30default_config_static_selectorELNS0_4arch9wavefront6targetE1EEEvT1_.kd
    .uniform_work_group_size: 1
    .uses_dynamic_stack: false
    .vgpr_count:     0
    .vgpr_spill_count: 0
    .wavefront_size: 64
  - .agpr_count:     0
    .args:
      - .offset:         0
        .size:           120
        .value_kind:     by_value
    .group_segment_fixed_size: 0
    .kernarg_segment_align: 8
    .kernarg_segment_size: 120
    .language:       OpenCL C
    .language_version:
      - 2
      - 0
    .max_flat_workgroup_size: 256
    .name:           _ZN7rocprim17ROCPRIM_400000_NS6detail17trampoline_kernelINS0_14default_configENS1_29reduce_by_key_config_selectorIffN6thrust23THRUST_200600_302600_NS4plusIfEEEEZZNS1_33reduce_by_key_impl_wrapped_configILNS1_25lookback_scan_determinismE1ES3_S9_NS6_6detail15normal_iteratorINS6_10device_ptrIfEEEESG_SG_SG_PmS8_22is_equal_div_10_reduceIfEEE10hipError_tPvRmT2_T3_mT4_T5_T6_T7_T8_P12ihipStream_tbENKUlT_T0_E_clISt17integral_constantIbLb0EES11_EEDaSW_SX_EUlSW_E_NS1_11comp_targetILNS1_3genE10ELNS1_11target_archE1201ELNS1_3gpuE5ELNS1_3repE0EEENS1_30default_config_static_selectorELNS0_4arch9wavefront6targetE1EEEvT1_
    .private_segment_fixed_size: 0
    .sgpr_count:     4
    .sgpr_spill_count: 0
    .symbol:         _ZN7rocprim17ROCPRIM_400000_NS6detail17trampoline_kernelINS0_14default_configENS1_29reduce_by_key_config_selectorIffN6thrust23THRUST_200600_302600_NS4plusIfEEEEZZNS1_33reduce_by_key_impl_wrapped_configILNS1_25lookback_scan_determinismE1ES3_S9_NS6_6detail15normal_iteratorINS6_10device_ptrIfEEEESG_SG_SG_PmS8_22is_equal_div_10_reduceIfEEE10hipError_tPvRmT2_T3_mT4_T5_T6_T7_T8_P12ihipStream_tbENKUlT_T0_E_clISt17integral_constantIbLb0EES11_EEDaSW_SX_EUlSW_E_NS1_11comp_targetILNS1_3genE10ELNS1_11target_archE1201ELNS1_3gpuE5ELNS1_3repE0EEENS1_30default_config_static_selectorELNS0_4arch9wavefront6targetE1EEEvT1_.kd
    .uniform_work_group_size: 1
    .uses_dynamic_stack: false
    .vgpr_count:     0
    .vgpr_spill_count: 0
    .wavefront_size: 64
  - .agpr_count:     0
    .args:
      - .offset:         0
        .size:           120
        .value_kind:     by_value
    .group_segment_fixed_size: 0
    .kernarg_segment_align: 8
    .kernarg_segment_size: 120
    .language:       OpenCL C
    .language_version:
      - 2
      - 0
    .max_flat_workgroup_size: 256
    .name:           _ZN7rocprim17ROCPRIM_400000_NS6detail17trampoline_kernelINS0_14default_configENS1_29reduce_by_key_config_selectorIffN6thrust23THRUST_200600_302600_NS4plusIfEEEEZZNS1_33reduce_by_key_impl_wrapped_configILNS1_25lookback_scan_determinismE1ES3_S9_NS6_6detail15normal_iteratorINS6_10device_ptrIfEEEESG_SG_SG_PmS8_22is_equal_div_10_reduceIfEEE10hipError_tPvRmT2_T3_mT4_T5_T6_T7_T8_P12ihipStream_tbENKUlT_T0_E_clISt17integral_constantIbLb0EES11_EEDaSW_SX_EUlSW_E_NS1_11comp_targetILNS1_3genE10ELNS1_11target_archE1200ELNS1_3gpuE4ELNS1_3repE0EEENS1_30default_config_static_selectorELNS0_4arch9wavefront6targetE1EEEvT1_
    .private_segment_fixed_size: 0
    .sgpr_count:     4
    .sgpr_spill_count: 0
    .symbol:         _ZN7rocprim17ROCPRIM_400000_NS6detail17trampoline_kernelINS0_14default_configENS1_29reduce_by_key_config_selectorIffN6thrust23THRUST_200600_302600_NS4plusIfEEEEZZNS1_33reduce_by_key_impl_wrapped_configILNS1_25lookback_scan_determinismE1ES3_S9_NS6_6detail15normal_iteratorINS6_10device_ptrIfEEEESG_SG_SG_PmS8_22is_equal_div_10_reduceIfEEE10hipError_tPvRmT2_T3_mT4_T5_T6_T7_T8_P12ihipStream_tbENKUlT_T0_E_clISt17integral_constantIbLb0EES11_EEDaSW_SX_EUlSW_E_NS1_11comp_targetILNS1_3genE10ELNS1_11target_archE1200ELNS1_3gpuE4ELNS1_3repE0EEENS1_30default_config_static_selectorELNS0_4arch9wavefront6targetE1EEEvT1_.kd
    .uniform_work_group_size: 1
    .uses_dynamic_stack: false
    .vgpr_count:     0
    .vgpr_spill_count: 0
    .wavefront_size: 64
  - .agpr_count:     0
    .args:
      - .offset:         0
        .size:           120
        .value_kind:     by_value
    .group_segment_fixed_size: 0
    .kernarg_segment_align: 8
    .kernarg_segment_size: 120
    .language:       OpenCL C
    .language_version:
      - 2
      - 0
    .max_flat_workgroup_size: 256
    .name:           _ZN7rocprim17ROCPRIM_400000_NS6detail17trampoline_kernelINS0_14default_configENS1_29reduce_by_key_config_selectorIffN6thrust23THRUST_200600_302600_NS4plusIfEEEEZZNS1_33reduce_by_key_impl_wrapped_configILNS1_25lookback_scan_determinismE1ES3_S9_NS6_6detail15normal_iteratorINS6_10device_ptrIfEEEESG_SG_SG_PmS8_22is_equal_div_10_reduceIfEEE10hipError_tPvRmT2_T3_mT4_T5_T6_T7_T8_P12ihipStream_tbENKUlT_T0_E_clISt17integral_constantIbLb0EES11_EEDaSW_SX_EUlSW_E_NS1_11comp_targetILNS1_3genE9ELNS1_11target_archE1100ELNS1_3gpuE3ELNS1_3repE0EEENS1_30default_config_static_selectorELNS0_4arch9wavefront6targetE1EEEvT1_
    .private_segment_fixed_size: 0
    .sgpr_count:     4
    .sgpr_spill_count: 0
    .symbol:         _ZN7rocprim17ROCPRIM_400000_NS6detail17trampoline_kernelINS0_14default_configENS1_29reduce_by_key_config_selectorIffN6thrust23THRUST_200600_302600_NS4plusIfEEEEZZNS1_33reduce_by_key_impl_wrapped_configILNS1_25lookback_scan_determinismE1ES3_S9_NS6_6detail15normal_iteratorINS6_10device_ptrIfEEEESG_SG_SG_PmS8_22is_equal_div_10_reduceIfEEE10hipError_tPvRmT2_T3_mT4_T5_T6_T7_T8_P12ihipStream_tbENKUlT_T0_E_clISt17integral_constantIbLb0EES11_EEDaSW_SX_EUlSW_E_NS1_11comp_targetILNS1_3genE9ELNS1_11target_archE1100ELNS1_3gpuE3ELNS1_3repE0EEENS1_30default_config_static_selectorELNS0_4arch9wavefront6targetE1EEEvT1_.kd
    .uniform_work_group_size: 1
    .uses_dynamic_stack: false
    .vgpr_count:     0
    .vgpr_spill_count: 0
    .wavefront_size: 64
  - .agpr_count:     0
    .args:
      - .offset:         0
        .size:           120
        .value_kind:     by_value
    .group_segment_fixed_size: 0
    .kernarg_segment_align: 8
    .kernarg_segment_size: 120
    .language:       OpenCL C
    .language_version:
      - 2
      - 0
    .max_flat_workgroup_size: 256
    .name:           _ZN7rocprim17ROCPRIM_400000_NS6detail17trampoline_kernelINS0_14default_configENS1_29reduce_by_key_config_selectorIffN6thrust23THRUST_200600_302600_NS4plusIfEEEEZZNS1_33reduce_by_key_impl_wrapped_configILNS1_25lookback_scan_determinismE1ES3_S9_NS6_6detail15normal_iteratorINS6_10device_ptrIfEEEESG_SG_SG_PmS8_22is_equal_div_10_reduceIfEEE10hipError_tPvRmT2_T3_mT4_T5_T6_T7_T8_P12ihipStream_tbENKUlT_T0_E_clISt17integral_constantIbLb0EES11_EEDaSW_SX_EUlSW_E_NS1_11comp_targetILNS1_3genE8ELNS1_11target_archE1030ELNS1_3gpuE2ELNS1_3repE0EEENS1_30default_config_static_selectorELNS0_4arch9wavefront6targetE1EEEvT1_
    .private_segment_fixed_size: 0
    .sgpr_count:     4
    .sgpr_spill_count: 0
    .symbol:         _ZN7rocprim17ROCPRIM_400000_NS6detail17trampoline_kernelINS0_14default_configENS1_29reduce_by_key_config_selectorIffN6thrust23THRUST_200600_302600_NS4plusIfEEEEZZNS1_33reduce_by_key_impl_wrapped_configILNS1_25lookback_scan_determinismE1ES3_S9_NS6_6detail15normal_iteratorINS6_10device_ptrIfEEEESG_SG_SG_PmS8_22is_equal_div_10_reduceIfEEE10hipError_tPvRmT2_T3_mT4_T5_T6_T7_T8_P12ihipStream_tbENKUlT_T0_E_clISt17integral_constantIbLb0EES11_EEDaSW_SX_EUlSW_E_NS1_11comp_targetILNS1_3genE8ELNS1_11target_archE1030ELNS1_3gpuE2ELNS1_3repE0EEENS1_30default_config_static_selectorELNS0_4arch9wavefront6targetE1EEEvT1_.kd
    .uniform_work_group_size: 1
    .uses_dynamic_stack: false
    .vgpr_count:     0
    .vgpr_spill_count: 0
    .wavefront_size: 64
  - .agpr_count:     0
    .args:
      - .offset:         0
        .size:           120
        .value_kind:     by_value
    .group_segment_fixed_size: 0
    .kernarg_segment_align: 8
    .kernarg_segment_size: 120
    .language:       OpenCL C
    .language_version:
      - 2
      - 0
    .max_flat_workgroup_size: 256
    .name:           _ZN7rocprim17ROCPRIM_400000_NS6detail17trampoline_kernelINS0_14default_configENS1_29reduce_by_key_config_selectorIffN6thrust23THRUST_200600_302600_NS4plusIfEEEEZZNS1_33reduce_by_key_impl_wrapped_configILNS1_25lookback_scan_determinismE1ES3_S9_NS6_6detail15normal_iteratorINS6_10device_ptrIfEEEESG_SG_SG_PmS8_22is_equal_div_10_reduceIfEEE10hipError_tPvRmT2_T3_mT4_T5_T6_T7_T8_P12ihipStream_tbENKUlT_T0_E_clISt17integral_constantIbLb1EES11_EEDaSW_SX_EUlSW_E_NS1_11comp_targetILNS1_3genE0ELNS1_11target_archE4294967295ELNS1_3gpuE0ELNS1_3repE0EEENS1_30default_config_static_selectorELNS0_4arch9wavefront6targetE1EEEvT1_
    .private_segment_fixed_size: 0
    .sgpr_count:     4
    .sgpr_spill_count: 0
    .symbol:         _ZN7rocprim17ROCPRIM_400000_NS6detail17trampoline_kernelINS0_14default_configENS1_29reduce_by_key_config_selectorIffN6thrust23THRUST_200600_302600_NS4plusIfEEEEZZNS1_33reduce_by_key_impl_wrapped_configILNS1_25lookback_scan_determinismE1ES3_S9_NS6_6detail15normal_iteratorINS6_10device_ptrIfEEEESG_SG_SG_PmS8_22is_equal_div_10_reduceIfEEE10hipError_tPvRmT2_T3_mT4_T5_T6_T7_T8_P12ihipStream_tbENKUlT_T0_E_clISt17integral_constantIbLb1EES11_EEDaSW_SX_EUlSW_E_NS1_11comp_targetILNS1_3genE0ELNS1_11target_archE4294967295ELNS1_3gpuE0ELNS1_3repE0EEENS1_30default_config_static_selectorELNS0_4arch9wavefront6targetE1EEEvT1_.kd
    .uniform_work_group_size: 1
    .uses_dynamic_stack: false
    .vgpr_count:     0
    .vgpr_spill_count: 0
    .wavefront_size: 64
  - .agpr_count:     0
    .args:
      - .offset:         0
        .size:           120
        .value_kind:     by_value
    .group_segment_fixed_size: 0
    .kernarg_segment_align: 8
    .kernarg_segment_size: 120
    .language:       OpenCL C
    .language_version:
      - 2
      - 0
    .max_flat_workgroup_size: 256
    .name:           _ZN7rocprim17ROCPRIM_400000_NS6detail17trampoline_kernelINS0_14default_configENS1_29reduce_by_key_config_selectorIffN6thrust23THRUST_200600_302600_NS4plusIfEEEEZZNS1_33reduce_by_key_impl_wrapped_configILNS1_25lookback_scan_determinismE1ES3_S9_NS6_6detail15normal_iteratorINS6_10device_ptrIfEEEESG_SG_SG_PmS8_22is_equal_div_10_reduceIfEEE10hipError_tPvRmT2_T3_mT4_T5_T6_T7_T8_P12ihipStream_tbENKUlT_T0_E_clISt17integral_constantIbLb1EES11_EEDaSW_SX_EUlSW_E_NS1_11comp_targetILNS1_3genE5ELNS1_11target_archE942ELNS1_3gpuE9ELNS1_3repE0EEENS1_30default_config_static_selectorELNS0_4arch9wavefront6targetE1EEEvT1_
    .private_segment_fixed_size: 0
    .sgpr_count:     4
    .sgpr_spill_count: 0
    .symbol:         _ZN7rocprim17ROCPRIM_400000_NS6detail17trampoline_kernelINS0_14default_configENS1_29reduce_by_key_config_selectorIffN6thrust23THRUST_200600_302600_NS4plusIfEEEEZZNS1_33reduce_by_key_impl_wrapped_configILNS1_25lookback_scan_determinismE1ES3_S9_NS6_6detail15normal_iteratorINS6_10device_ptrIfEEEESG_SG_SG_PmS8_22is_equal_div_10_reduceIfEEE10hipError_tPvRmT2_T3_mT4_T5_T6_T7_T8_P12ihipStream_tbENKUlT_T0_E_clISt17integral_constantIbLb1EES11_EEDaSW_SX_EUlSW_E_NS1_11comp_targetILNS1_3genE5ELNS1_11target_archE942ELNS1_3gpuE9ELNS1_3repE0EEENS1_30default_config_static_selectorELNS0_4arch9wavefront6targetE1EEEvT1_.kd
    .uniform_work_group_size: 1
    .uses_dynamic_stack: false
    .vgpr_count:     0
    .vgpr_spill_count: 0
    .wavefront_size: 64
  - .agpr_count:     0
    .args:
      - .offset:         0
        .size:           120
        .value_kind:     by_value
    .group_segment_fixed_size: 15360
    .kernarg_segment_align: 8
    .kernarg_segment_size: 120
    .language:       OpenCL C
    .language_version:
      - 2
      - 0
    .max_flat_workgroup_size: 256
    .name:           _ZN7rocprim17ROCPRIM_400000_NS6detail17trampoline_kernelINS0_14default_configENS1_29reduce_by_key_config_selectorIffN6thrust23THRUST_200600_302600_NS4plusIfEEEEZZNS1_33reduce_by_key_impl_wrapped_configILNS1_25lookback_scan_determinismE1ES3_S9_NS6_6detail15normal_iteratorINS6_10device_ptrIfEEEESG_SG_SG_PmS8_22is_equal_div_10_reduceIfEEE10hipError_tPvRmT2_T3_mT4_T5_T6_T7_T8_P12ihipStream_tbENKUlT_T0_E_clISt17integral_constantIbLb1EES11_EEDaSW_SX_EUlSW_E_NS1_11comp_targetILNS1_3genE4ELNS1_11target_archE910ELNS1_3gpuE8ELNS1_3repE0EEENS1_30default_config_static_selectorELNS0_4arch9wavefront6targetE1EEEvT1_
    .private_segment_fixed_size: 48
    .sgpr_count:     82
    .sgpr_spill_count: 0
    .symbol:         _ZN7rocprim17ROCPRIM_400000_NS6detail17trampoline_kernelINS0_14default_configENS1_29reduce_by_key_config_selectorIffN6thrust23THRUST_200600_302600_NS4plusIfEEEEZZNS1_33reduce_by_key_impl_wrapped_configILNS1_25lookback_scan_determinismE1ES3_S9_NS6_6detail15normal_iteratorINS6_10device_ptrIfEEEESG_SG_SG_PmS8_22is_equal_div_10_reduceIfEEE10hipError_tPvRmT2_T3_mT4_T5_T6_T7_T8_P12ihipStream_tbENKUlT_T0_E_clISt17integral_constantIbLb1EES11_EEDaSW_SX_EUlSW_E_NS1_11comp_targetILNS1_3genE4ELNS1_11target_archE910ELNS1_3gpuE8ELNS1_3repE0EEENS1_30default_config_static_selectorELNS0_4arch9wavefront6targetE1EEEvT1_.kd
    .uniform_work_group_size: 1
    .uses_dynamic_stack: false
    .vgpr_count:     108
    .vgpr_spill_count: 0
    .wavefront_size: 64
  - .agpr_count:     0
    .args:
      - .offset:         0
        .size:           120
        .value_kind:     by_value
    .group_segment_fixed_size: 0
    .kernarg_segment_align: 8
    .kernarg_segment_size: 120
    .language:       OpenCL C
    .language_version:
      - 2
      - 0
    .max_flat_workgroup_size: 256
    .name:           _ZN7rocprim17ROCPRIM_400000_NS6detail17trampoline_kernelINS0_14default_configENS1_29reduce_by_key_config_selectorIffN6thrust23THRUST_200600_302600_NS4plusIfEEEEZZNS1_33reduce_by_key_impl_wrapped_configILNS1_25lookback_scan_determinismE1ES3_S9_NS6_6detail15normal_iteratorINS6_10device_ptrIfEEEESG_SG_SG_PmS8_22is_equal_div_10_reduceIfEEE10hipError_tPvRmT2_T3_mT4_T5_T6_T7_T8_P12ihipStream_tbENKUlT_T0_E_clISt17integral_constantIbLb1EES11_EEDaSW_SX_EUlSW_E_NS1_11comp_targetILNS1_3genE3ELNS1_11target_archE908ELNS1_3gpuE7ELNS1_3repE0EEENS1_30default_config_static_selectorELNS0_4arch9wavefront6targetE1EEEvT1_
    .private_segment_fixed_size: 0
    .sgpr_count:     4
    .sgpr_spill_count: 0
    .symbol:         _ZN7rocprim17ROCPRIM_400000_NS6detail17trampoline_kernelINS0_14default_configENS1_29reduce_by_key_config_selectorIffN6thrust23THRUST_200600_302600_NS4plusIfEEEEZZNS1_33reduce_by_key_impl_wrapped_configILNS1_25lookback_scan_determinismE1ES3_S9_NS6_6detail15normal_iteratorINS6_10device_ptrIfEEEESG_SG_SG_PmS8_22is_equal_div_10_reduceIfEEE10hipError_tPvRmT2_T3_mT4_T5_T6_T7_T8_P12ihipStream_tbENKUlT_T0_E_clISt17integral_constantIbLb1EES11_EEDaSW_SX_EUlSW_E_NS1_11comp_targetILNS1_3genE3ELNS1_11target_archE908ELNS1_3gpuE7ELNS1_3repE0EEENS1_30default_config_static_selectorELNS0_4arch9wavefront6targetE1EEEvT1_.kd
    .uniform_work_group_size: 1
    .uses_dynamic_stack: false
    .vgpr_count:     0
    .vgpr_spill_count: 0
    .wavefront_size: 64
  - .agpr_count:     0
    .args:
      - .offset:         0
        .size:           120
        .value_kind:     by_value
    .group_segment_fixed_size: 0
    .kernarg_segment_align: 8
    .kernarg_segment_size: 120
    .language:       OpenCL C
    .language_version:
      - 2
      - 0
    .max_flat_workgroup_size: 256
    .name:           _ZN7rocprim17ROCPRIM_400000_NS6detail17trampoline_kernelINS0_14default_configENS1_29reduce_by_key_config_selectorIffN6thrust23THRUST_200600_302600_NS4plusIfEEEEZZNS1_33reduce_by_key_impl_wrapped_configILNS1_25lookback_scan_determinismE1ES3_S9_NS6_6detail15normal_iteratorINS6_10device_ptrIfEEEESG_SG_SG_PmS8_22is_equal_div_10_reduceIfEEE10hipError_tPvRmT2_T3_mT4_T5_T6_T7_T8_P12ihipStream_tbENKUlT_T0_E_clISt17integral_constantIbLb1EES11_EEDaSW_SX_EUlSW_E_NS1_11comp_targetILNS1_3genE2ELNS1_11target_archE906ELNS1_3gpuE6ELNS1_3repE0EEENS1_30default_config_static_selectorELNS0_4arch9wavefront6targetE1EEEvT1_
    .private_segment_fixed_size: 0
    .sgpr_count:     4
    .sgpr_spill_count: 0
    .symbol:         _ZN7rocprim17ROCPRIM_400000_NS6detail17trampoline_kernelINS0_14default_configENS1_29reduce_by_key_config_selectorIffN6thrust23THRUST_200600_302600_NS4plusIfEEEEZZNS1_33reduce_by_key_impl_wrapped_configILNS1_25lookback_scan_determinismE1ES3_S9_NS6_6detail15normal_iteratorINS6_10device_ptrIfEEEESG_SG_SG_PmS8_22is_equal_div_10_reduceIfEEE10hipError_tPvRmT2_T3_mT4_T5_T6_T7_T8_P12ihipStream_tbENKUlT_T0_E_clISt17integral_constantIbLb1EES11_EEDaSW_SX_EUlSW_E_NS1_11comp_targetILNS1_3genE2ELNS1_11target_archE906ELNS1_3gpuE6ELNS1_3repE0EEENS1_30default_config_static_selectorELNS0_4arch9wavefront6targetE1EEEvT1_.kd
    .uniform_work_group_size: 1
    .uses_dynamic_stack: false
    .vgpr_count:     0
    .vgpr_spill_count: 0
    .wavefront_size: 64
  - .agpr_count:     0
    .args:
      - .offset:         0
        .size:           120
        .value_kind:     by_value
    .group_segment_fixed_size: 0
    .kernarg_segment_align: 8
    .kernarg_segment_size: 120
    .language:       OpenCL C
    .language_version:
      - 2
      - 0
    .max_flat_workgroup_size: 256
    .name:           _ZN7rocprim17ROCPRIM_400000_NS6detail17trampoline_kernelINS0_14default_configENS1_29reduce_by_key_config_selectorIffN6thrust23THRUST_200600_302600_NS4plusIfEEEEZZNS1_33reduce_by_key_impl_wrapped_configILNS1_25lookback_scan_determinismE1ES3_S9_NS6_6detail15normal_iteratorINS6_10device_ptrIfEEEESG_SG_SG_PmS8_22is_equal_div_10_reduceIfEEE10hipError_tPvRmT2_T3_mT4_T5_T6_T7_T8_P12ihipStream_tbENKUlT_T0_E_clISt17integral_constantIbLb1EES11_EEDaSW_SX_EUlSW_E_NS1_11comp_targetILNS1_3genE10ELNS1_11target_archE1201ELNS1_3gpuE5ELNS1_3repE0EEENS1_30default_config_static_selectorELNS0_4arch9wavefront6targetE1EEEvT1_
    .private_segment_fixed_size: 0
    .sgpr_count:     4
    .sgpr_spill_count: 0
    .symbol:         _ZN7rocprim17ROCPRIM_400000_NS6detail17trampoline_kernelINS0_14default_configENS1_29reduce_by_key_config_selectorIffN6thrust23THRUST_200600_302600_NS4plusIfEEEEZZNS1_33reduce_by_key_impl_wrapped_configILNS1_25lookback_scan_determinismE1ES3_S9_NS6_6detail15normal_iteratorINS6_10device_ptrIfEEEESG_SG_SG_PmS8_22is_equal_div_10_reduceIfEEE10hipError_tPvRmT2_T3_mT4_T5_T6_T7_T8_P12ihipStream_tbENKUlT_T0_E_clISt17integral_constantIbLb1EES11_EEDaSW_SX_EUlSW_E_NS1_11comp_targetILNS1_3genE10ELNS1_11target_archE1201ELNS1_3gpuE5ELNS1_3repE0EEENS1_30default_config_static_selectorELNS0_4arch9wavefront6targetE1EEEvT1_.kd
    .uniform_work_group_size: 1
    .uses_dynamic_stack: false
    .vgpr_count:     0
    .vgpr_spill_count: 0
    .wavefront_size: 64
  - .agpr_count:     0
    .args:
      - .offset:         0
        .size:           120
        .value_kind:     by_value
    .group_segment_fixed_size: 0
    .kernarg_segment_align: 8
    .kernarg_segment_size: 120
    .language:       OpenCL C
    .language_version:
      - 2
      - 0
    .max_flat_workgroup_size: 256
    .name:           _ZN7rocprim17ROCPRIM_400000_NS6detail17trampoline_kernelINS0_14default_configENS1_29reduce_by_key_config_selectorIffN6thrust23THRUST_200600_302600_NS4plusIfEEEEZZNS1_33reduce_by_key_impl_wrapped_configILNS1_25lookback_scan_determinismE1ES3_S9_NS6_6detail15normal_iteratorINS6_10device_ptrIfEEEESG_SG_SG_PmS8_22is_equal_div_10_reduceIfEEE10hipError_tPvRmT2_T3_mT4_T5_T6_T7_T8_P12ihipStream_tbENKUlT_T0_E_clISt17integral_constantIbLb1EES11_EEDaSW_SX_EUlSW_E_NS1_11comp_targetILNS1_3genE10ELNS1_11target_archE1200ELNS1_3gpuE4ELNS1_3repE0EEENS1_30default_config_static_selectorELNS0_4arch9wavefront6targetE1EEEvT1_
    .private_segment_fixed_size: 0
    .sgpr_count:     4
    .sgpr_spill_count: 0
    .symbol:         _ZN7rocprim17ROCPRIM_400000_NS6detail17trampoline_kernelINS0_14default_configENS1_29reduce_by_key_config_selectorIffN6thrust23THRUST_200600_302600_NS4plusIfEEEEZZNS1_33reduce_by_key_impl_wrapped_configILNS1_25lookback_scan_determinismE1ES3_S9_NS6_6detail15normal_iteratorINS6_10device_ptrIfEEEESG_SG_SG_PmS8_22is_equal_div_10_reduceIfEEE10hipError_tPvRmT2_T3_mT4_T5_T6_T7_T8_P12ihipStream_tbENKUlT_T0_E_clISt17integral_constantIbLb1EES11_EEDaSW_SX_EUlSW_E_NS1_11comp_targetILNS1_3genE10ELNS1_11target_archE1200ELNS1_3gpuE4ELNS1_3repE0EEENS1_30default_config_static_selectorELNS0_4arch9wavefront6targetE1EEEvT1_.kd
    .uniform_work_group_size: 1
    .uses_dynamic_stack: false
    .vgpr_count:     0
    .vgpr_spill_count: 0
    .wavefront_size: 64
  - .agpr_count:     0
    .args:
      - .offset:         0
        .size:           120
        .value_kind:     by_value
    .group_segment_fixed_size: 0
    .kernarg_segment_align: 8
    .kernarg_segment_size: 120
    .language:       OpenCL C
    .language_version:
      - 2
      - 0
    .max_flat_workgroup_size: 256
    .name:           _ZN7rocprim17ROCPRIM_400000_NS6detail17trampoline_kernelINS0_14default_configENS1_29reduce_by_key_config_selectorIffN6thrust23THRUST_200600_302600_NS4plusIfEEEEZZNS1_33reduce_by_key_impl_wrapped_configILNS1_25lookback_scan_determinismE1ES3_S9_NS6_6detail15normal_iteratorINS6_10device_ptrIfEEEESG_SG_SG_PmS8_22is_equal_div_10_reduceIfEEE10hipError_tPvRmT2_T3_mT4_T5_T6_T7_T8_P12ihipStream_tbENKUlT_T0_E_clISt17integral_constantIbLb1EES11_EEDaSW_SX_EUlSW_E_NS1_11comp_targetILNS1_3genE9ELNS1_11target_archE1100ELNS1_3gpuE3ELNS1_3repE0EEENS1_30default_config_static_selectorELNS0_4arch9wavefront6targetE1EEEvT1_
    .private_segment_fixed_size: 0
    .sgpr_count:     4
    .sgpr_spill_count: 0
    .symbol:         _ZN7rocprim17ROCPRIM_400000_NS6detail17trampoline_kernelINS0_14default_configENS1_29reduce_by_key_config_selectorIffN6thrust23THRUST_200600_302600_NS4plusIfEEEEZZNS1_33reduce_by_key_impl_wrapped_configILNS1_25lookback_scan_determinismE1ES3_S9_NS6_6detail15normal_iteratorINS6_10device_ptrIfEEEESG_SG_SG_PmS8_22is_equal_div_10_reduceIfEEE10hipError_tPvRmT2_T3_mT4_T5_T6_T7_T8_P12ihipStream_tbENKUlT_T0_E_clISt17integral_constantIbLb1EES11_EEDaSW_SX_EUlSW_E_NS1_11comp_targetILNS1_3genE9ELNS1_11target_archE1100ELNS1_3gpuE3ELNS1_3repE0EEENS1_30default_config_static_selectorELNS0_4arch9wavefront6targetE1EEEvT1_.kd
    .uniform_work_group_size: 1
    .uses_dynamic_stack: false
    .vgpr_count:     0
    .vgpr_spill_count: 0
    .wavefront_size: 64
  - .agpr_count:     0
    .args:
      - .offset:         0
        .size:           120
        .value_kind:     by_value
    .group_segment_fixed_size: 0
    .kernarg_segment_align: 8
    .kernarg_segment_size: 120
    .language:       OpenCL C
    .language_version:
      - 2
      - 0
    .max_flat_workgroup_size: 256
    .name:           _ZN7rocprim17ROCPRIM_400000_NS6detail17trampoline_kernelINS0_14default_configENS1_29reduce_by_key_config_selectorIffN6thrust23THRUST_200600_302600_NS4plusIfEEEEZZNS1_33reduce_by_key_impl_wrapped_configILNS1_25lookback_scan_determinismE1ES3_S9_NS6_6detail15normal_iteratorINS6_10device_ptrIfEEEESG_SG_SG_PmS8_22is_equal_div_10_reduceIfEEE10hipError_tPvRmT2_T3_mT4_T5_T6_T7_T8_P12ihipStream_tbENKUlT_T0_E_clISt17integral_constantIbLb1EES11_EEDaSW_SX_EUlSW_E_NS1_11comp_targetILNS1_3genE8ELNS1_11target_archE1030ELNS1_3gpuE2ELNS1_3repE0EEENS1_30default_config_static_selectorELNS0_4arch9wavefront6targetE1EEEvT1_
    .private_segment_fixed_size: 0
    .sgpr_count:     4
    .sgpr_spill_count: 0
    .symbol:         _ZN7rocprim17ROCPRIM_400000_NS6detail17trampoline_kernelINS0_14default_configENS1_29reduce_by_key_config_selectorIffN6thrust23THRUST_200600_302600_NS4plusIfEEEEZZNS1_33reduce_by_key_impl_wrapped_configILNS1_25lookback_scan_determinismE1ES3_S9_NS6_6detail15normal_iteratorINS6_10device_ptrIfEEEESG_SG_SG_PmS8_22is_equal_div_10_reduceIfEEE10hipError_tPvRmT2_T3_mT4_T5_T6_T7_T8_P12ihipStream_tbENKUlT_T0_E_clISt17integral_constantIbLb1EES11_EEDaSW_SX_EUlSW_E_NS1_11comp_targetILNS1_3genE8ELNS1_11target_archE1030ELNS1_3gpuE2ELNS1_3repE0EEENS1_30default_config_static_selectorELNS0_4arch9wavefront6targetE1EEEvT1_.kd
    .uniform_work_group_size: 1
    .uses_dynamic_stack: false
    .vgpr_count:     0
    .vgpr_spill_count: 0
    .wavefront_size: 64
  - .agpr_count:     0
    .args:
      - .offset:         0
        .size:           120
        .value_kind:     by_value
    .group_segment_fixed_size: 0
    .kernarg_segment_align: 8
    .kernarg_segment_size: 120
    .language:       OpenCL C
    .language_version:
      - 2
      - 0
    .max_flat_workgroup_size: 256
    .name:           _ZN7rocprim17ROCPRIM_400000_NS6detail17trampoline_kernelINS0_14default_configENS1_29reduce_by_key_config_selectorIffN6thrust23THRUST_200600_302600_NS4plusIfEEEEZZNS1_33reduce_by_key_impl_wrapped_configILNS1_25lookback_scan_determinismE1ES3_S9_NS6_6detail15normal_iteratorINS6_10device_ptrIfEEEESG_SG_SG_PmS8_22is_equal_div_10_reduceIfEEE10hipError_tPvRmT2_T3_mT4_T5_T6_T7_T8_P12ihipStream_tbENKUlT_T0_E_clISt17integral_constantIbLb1EES10_IbLb0EEEEDaSW_SX_EUlSW_E_NS1_11comp_targetILNS1_3genE0ELNS1_11target_archE4294967295ELNS1_3gpuE0ELNS1_3repE0EEENS1_30default_config_static_selectorELNS0_4arch9wavefront6targetE1EEEvT1_
    .private_segment_fixed_size: 0
    .sgpr_count:     4
    .sgpr_spill_count: 0
    .symbol:         _ZN7rocprim17ROCPRIM_400000_NS6detail17trampoline_kernelINS0_14default_configENS1_29reduce_by_key_config_selectorIffN6thrust23THRUST_200600_302600_NS4plusIfEEEEZZNS1_33reduce_by_key_impl_wrapped_configILNS1_25lookback_scan_determinismE1ES3_S9_NS6_6detail15normal_iteratorINS6_10device_ptrIfEEEESG_SG_SG_PmS8_22is_equal_div_10_reduceIfEEE10hipError_tPvRmT2_T3_mT4_T5_T6_T7_T8_P12ihipStream_tbENKUlT_T0_E_clISt17integral_constantIbLb1EES10_IbLb0EEEEDaSW_SX_EUlSW_E_NS1_11comp_targetILNS1_3genE0ELNS1_11target_archE4294967295ELNS1_3gpuE0ELNS1_3repE0EEENS1_30default_config_static_selectorELNS0_4arch9wavefront6targetE1EEEvT1_.kd
    .uniform_work_group_size: 1
    .uses_dynamic_stack: false
    .vgpr_count:     0
    .vgpr_spill_count: 0
    .wavefront_size: 64
  - .agpr_count:     0
    .args:
      - .offset:         0
        .size:           120
        .value_kind:     by_value
    .group_segment_fixed_size: 0
    .kernarg_segment_align: 8
    .kernarg_segment_size: 120
    .language:       OpenCL C
    .language_version:
      - 2
      - 0
    .max_flat_workgroup_size: 256
    .name:           _ZN7rocprim17ROCPRIM_400000_NS6detail17trampoline_kernelINS0_14default_configENS1_29reduce_by_key_config_selectorIffN6thrust23THRUST_200600_302600_NS4plusIfEEEEZZNS1_33reduce_by_key_impl_wrapped_configILNS1_25lookback_scan_determinismE1ES3_S9_NS6_6detail15normal_iteratorINS6_10device_ptrIfEEEESG_SG_SG_PmS8_22is_equal_div_10_reduceIfEEE10hipError_tPvRmT2_T3_mT4_T5_T6_T7_T8_P12ihipStream_tbENKUlT_T0_E_clISt17integral_constantIbLb1EES10_IbLb0EEEEDaSW_SX_EUlSW_E_NS1_11comp_targetILNS1_3genE5ELNS1_11target_archE942ELNS1_3gpuE9ELNS1_3repE0EEENS1_30default_config_static_selectorELNS0_4arch9wavefront6targetE1EEEvT1_
    .private_segment_fixed_size: 0
    .sgpr_count:     4
    .sgpr_spill_count: 0
    .symbol:         _ZN7rocprim17ROCPRIM_400000_NS6detail17trampoline_kernelINS0_14default_configENS1_29reduce_by_key_config_selectorIffN6thrust23THRUST_200600_302600_NS4plusIfEEEEZZNS1_33reduce_by_key_impl_wrapped_configILNS1_25lookback_scan_determinismE1ES3_S9_NS6_6detail15normal_iteratorINS6_10device_ptrIfEEEESG_SG_SG_PmS8_22is_equal_div_10_reduceIfEEE10hipError_tPvRmT2_T3_mT4_T5_T6_T7_T8_P12ihipStream_tbENKUlT_T0_E_clISt17integral_constantIbLb1EES10_IbLb0EEEEDaSW_SX_EUlSW_E_NS1_11comp_targetILNS1_3genE5ELNS1_11target_archE942ELNS1_3gpuE9ELNS1_3repE0EEENS1_30default_config_static_selectorELNS0_4arch9wavefront6targetE1EEEvT1_.kd
    .uniform_work_group_size: 1
    .uses_dynamic_stack: false
    .vgpr_count:     0
    .vgpr_spill_count: 0
    .wavefront_size: 64
  - .agpr_count:     0
    .args:
      - .offset:         0
        .size:           120
        .value_kind:     by_value
    .group_segment_fixed_size: 15360
    .kernarg_segment_align: 8
    .kernarg_segment_size: 120
    .language:       OpenCL C
    .language_version:
      - 2
      - 0
    .max_flat_workgroup_size: 256
    .name:           _ZN7rocprim17ROCPRIM_400000_NS6detail17trampoline_kernelINS0_14default_configENS1_29reduce_by_key_config_selectorIffN6thrust23THRUST_200600_302600_NS4plusIfEEEEZZNS1_33reduce_by_key_impl_wrapped_configILNS1_25lookback_scan_determinismE1ES3_S9_NS6_6detail15normal_iteratorINS6_10device_ptrIfEEEESG_SG_SG_PmS8_22is_equal_div_10_reduceIfEEE10hipError_tPvRmT2_T3_mT4_T5_T6_T7_T8_P12ihipStream_tbENKUlT_T0_E_clISt17integral_constantIbLb1EES10_IbLb0EEEEDaSW_SX_EUlSW_E_NS1_11comp_targetILNS1_3genE4ELNS1_11target_archE910ELNS1_3gpuE8ELNS1_3repE0EEENS1_30default_config_static_selectorELNS0_4arch9wavefront6targetE1EEEvT1_
    .private_segment_fixed_size: 48
    .sgpr_count:     80
    .sgpr_spill_count: 0
    .symbol:         _ZN7rocprim17ROCPRIM_400000_NS6detail17trampoline_kernelINS0_14default_configENS1_29reduce_by_key_config_selectorIffN6thrust23THRUST_200600_302600_NS4plusIfEEEEZZNS1_33reduce_by_key_impl_wrapped_configILNS1_25lookback_scan_determinismE1ES3_S9_NS6_6detail15normal_iteratorINS6_10device_ptrIfEEEESG_SG_SG_PmS8_22is_equal_div_10_reduceIfEEE10hipError_tPvRmT2_T3_mT4_T5_T6_T7_T8_P12ihipStream_tbENKUlT_T0_E_clISt17integral_constantIbLb1EES10_IbLb0EEEEDaSW_SX_EUlSW_E_NS1_11comp_targetILNS1_3genE4ELNS1_11target_archE910ELNS1_3gpuE8ELNS1_3repE0EEENS1_30default_config_static_selectorELNS0_4arch9wavefront6targetE1EEEvT1_.kd
    .uniform_work_group_size: 1
    .uses_dynamic_stack: false
    .vgpr_count:     108
    .vgpr_spill_count: 0
    .wavefront_size: 64
  - .agpr_count:     0
    .args:
      - .offset:         0
        .size:           120
        .value_kind:     by_value
    .group_segment_fixed_size: 0
    .kernarg_segment_align: 8
    .kernarg_segment_size: 120
    .language:       OpenCL C
    .language_version:
      - 2
      - 0
    .max_flat_workgroup_size: 256
    .name:           _ZN7rocprim17ROCPRIM_400000_NS6detail17trampoline_kernelINS0_14default_configENS1_29reduce_by_key_config_selectorIffN6thrust23THRUST_200600_302600_NS4plusIfEEEEZZNS1_33reduce_by_key_impl_wrapped_configILNS1_25lookback_scan_determinismE1ES3_S9_NS6_6detail15normal_iteratorINS6_10device_ptrIfEEEESG_SG_SG_PmS8_22is_equal_div_10_reduceIfEEE10hipError_tPvRmT2_T3_mT4_T5_T6_T7_T8_P12ihipStream_tbENKUlT_T0_E_clISt17integral_constantIbLb1EES10_IbLb0EEEEDaSW_SX_EUlSW_E_NS1_11comp_targetILNS1_3genE3ELNS1_11target_archE908ELNS1_3gpuE7ELNS1_3repE0EEENS1_30default_config_static_selectorELNS0_4arch9wavefront6targetE1EEEvT1_
    .private_segment_fixed_size: 0
    .sgpr_count:     4
    .sgpr_spill_count: 0
    .symbol:         _ZN7rocprim17ROCPRIM_400000_NS6detail17trampoline_kernelINS0_14default_configENS1_29reduce_by_key_config_selectorIffN6thrust23THRUST_200600_302600_NS4plusIfEEEEZZNS1_33reduce_by_key_impl_wrapped_configILNS1_25lookback_scan_determinismE1ES3_S9_NS6_6detail15normal_iteratorINS6_10device_ptrIfEEEESG_SG_SG_PmS8_22is_equal_div_10_reduceIfEEE10hipError_tPvRmT2_T3_mT4_T5_T6_T7_T8_P12ihipStream_tbENKUlT_T0_E_clISt17integral_constantIbLb1EES10_IbLb0EEEEDaSW_SX_EUlSW_E_NS1_11comp_targetILNS1_3genE3ELNS1_11target_archE908ELNS1_3gpuE7ELNS1_3repE0EEENS1_30default_config_static_selectorELNS0_4arch9wavefront6targetE1EEEvT1_.kd
    .uniform_work_group_size: 1
    .uses_dynamic_stack: false
    .vgpr_count:     0
    .vgpr_spill_count: 0
    .wavefront_size: 64
  - .agpr_count:     0
    .args:
      - .offset:         0
        .size:           120
        .value_kind:     by_value
    .group_segment_fixed_size: 0
    .kernarg_segment_align: 8
    .kernarg_segment_size: 120
    .language:       OpenCL C
    .language_version:
      - 2
      - 0
    .max_flat_workgroup_size: 256
    .name:           _ZN7rocprim17ROCPRIM_400000_NS6detail17trampoline_kernelINS0_14default_configENS1_29reduce_by_key_config_selectorIffN6thrust23THRUST_200600_302600_NS4plusIfEEEEZZNS1_33reduce_by_key_impl_wrapped_configILNS1_25lookback_scan_determinismE1ES3_S9_NS6_6detail15normal_iteratorINS6_10device_ptrIfEEEESG_SG_SG_PmS8_22is_equal_div_10_reduceIfEEE10hipError_tPvRmT2_T3_mT4_T5_T6_T7_T8_P12ihipStream_tbENKUlT_T0_E_clISt17integral_constantIbLb1EES10_IbLb0EEEEDaSW_SX_EUlSW_E_NS1_11comp_targetILNS1_3genE2ELNS1_11target_archE906ELNS1_3gpuE6ELNS1_3repE0EEENS1_30default_config_static_selectorELNS0_4arch9wavefront6targetE1EEEvT1_
    .private_segment_fixed_size: 0
    .sgpr_count:     4
    .sgpr_spill_count: 0
    .symbol:         _ZN7rocprim17ROCPRIM_400000_NS6detail17trampoline_kernelINS0_14default_configENS1_29reduce_by_key_config_selectorIffN6thrust23THRUST_200600_302600_NS4plusIfEEEEZZNS1_33reduce_by_key_impl_wrapped_configILNS1_25lookback_scan_determinismE1ES3_S9_NS6_6detail15normal_iteratorINS6_10device_ptrIfEEEESG_SG_SG_PmS8_22is_equal_div_10_reduceIfEEE10hipError_tPvRmT2_T3_mT4_T5_T6_T7_T8_P12ihipStream_tbENKUlT_T0_E_clISt17integral_constantIbLb1EES10_IbLb0EEEEDaSW_SX_EUlSW_E_NS1_11comp_targetILNS1_3genE2ELNS1_11target_archE906ELNS1_3gpuE6ELNS1_3repE0EEENS1_30default_config_static_selectorELNS0_4arch9wavefront6targetE1EEEvT1_.kd
    .uniform_work_group_size: 1
    .uses_dynamic_stack: false
    .vgpr_count:     0
    .vgpr_spill_count: 0
    .wavefront_size: 64
  - .agpr_count:     0
    .args:
      - .offset:         0
        .size:           120
        .value_kind:     by_value
    .group_segment_fixed_size: 0
    .kernarg_segment_align: 8
    .kernarg_segment_size: 120
    .language:       OpenCL C
    .language_version:
      - 2
      - 0
    .max_flat_workgroup_size: 256
    .name:           _ZN7rocprim17ROCPRIM_400000_NS6detail17trampoline_kernelINS0_14default_configENS1_29reduce_by_key_config_selectorIffN6thrust23THRUST_200600_302600_NS4plusIfEEEEZZNS1_33reduce_by_key_impl_wrapped_configILNS1_25lookback_scan_determinismE1ES3_S9_NS6_6detail15normal_iteratorINS6_10device_ptrIfEEEESG_SG_SG_PmS8_22is_equal_div_10_reduceIfEEE10hipError_tPvRmT2_T3_mT4_T5_T6_T7_T8_P12ihipStream_tbENKUlT_T0_E_clISt17integral_constantIbLb1EES10_IbLb0EEEEDaSW_SX_EUlSW_E_NS1_11comp_targetILNS1_3genE10ELNS1_11target_archE1201ELNS1_3gpuE5ELNS1_3repE0EEENS1_30default_config_static_selectorELNS0_4arch9wavefront6targetE1EEEvT1_
    .private_segment_fixed_size: 0
    .sgpr_count:     4
    .sgpr_spill_count: 0
    .symbol:         _ZN7rocprim17ROCPRIM_400000_NS6detail17trampoline_kernelINS0_14default_configENS1_29reduce_by_key_config_selectorIffN6thrust23THRUST_200600_302600_NS4plusIfEEEEZZNS1_33reduce_by_key_impl_wrapped_configILNS1_25lookback_scan_determinismE1ES3_S9_NS6_6detail15normal_iteratorINS6_10device_ptrIfEEEESG_SG_SG_PmS8_22is_equal_div_10_reduceIfEEE10hipError_tPvRmT2_T3_mT4_T5_T6_T7_T8_P12ihipStream_tbENKUlT_T0_E_clISt17integral_constantIbLb1EES10_IbLb0EEEEDaSW_SX_EUlSW_E_NS1_11comp_targetILNS1_3genE10ELNS1_11target_archE1201ELNS1_3gpuE5ELNS1_3repE0EEENS1_30default_config_static_selectorELNS0_4arch9wavefront6targetE1EEEvT1_.kd
    .uniform_work_group_size: 1
    .uses_dynamic_stack: false
    .vgpr_count:     0
    .vgpr_spill_count: 0
    .wavefront_size: 64
  - .agpr_count:     0
    .args:
      - .offset:         0
        .size:           120
        .value_kind:     by_value
    .group_segment_fixed_size: 0
    .kernarg_segment_align: 8
    .kernarg_segment_size: 120
    .language:       OpenCL C
    .language_version:
      - 2
      - 0
    .max_flat_workgroup_size: 256
    .name:           _ZN7rocprim17ROCPRIM_400000_NS6detail17trampoline_kernelINS0_14default_configENS1_29reduce_by_key_config_selectorIffN6thrust23THRUST_200600_302600_NS4plusIfEEEEZZNS1_33reduce_by_key_impl_wrapped_configILNS1_25lookback_scan_determinismE1ES3_S9_NS6_6detail15normal_iteratorINS6_10device_ptrIfEEEESG_SG_SG_PmS8_22is_equal_div_10_reduceIfEEE10hipError_tPvRmT2_T3_mT4_T5_T6_T7_T8_P12ihipStream_tbENKUlT_T0_E_clISt17integral_constantIbLb1EES10_IbLb0EEEEDaSW_SX_EUlSW_E_NS1_11comp_targetILNS1_3genE10ELNS1_11target_archE1200ELNS1_3gpuE4ELNS1_3repE0EEENS1_30default_config_static_selectorELNS0_4arch9wavefront6targetE1EEEvT1_
    .private_segment_fixed_size: 0
    .sgpr_count:     4
    .sgpr_spill_count: 0
    .symbol:         _ZN7rocprim17ROCPRIM_400000_NS6detail17trampoline_kernelINS0_14default_configENS1_29reduce_by_key_config_selectorIffN6thrust23THRUST_200600_302600_NS4plusIfEEEEZZNS1_33reduce_by_key_impl_wrapped_configILNS1_25lookback_scan_determinismE1ES3_S9_NS6_6detail15normal_iteratorINS6_10device_ptrIfEEEESG_SG_SG_PmS8_22is_equal_div_10_reduceIfEEE10hipError_tPvRmT2_T3_mT4_T5_T6_T7_T8_P12ihipStream_tbENKUlT_T0_E_clISt17integral_constantIbLb1EES10_IbLb0EEEEDaSW_SX_EUlSW_E_NS1_11comp_targetILNS1_3genE10ELNS1_11target_archE1200ELNS1_3gpuE4ELNS1_3repE0EEENS1_30default_config_static_selectorELNS0_4arch9wavefront6targetE1EEEvT1_.kd
    .uniform_work_group_size: 1
    .uses_dynamic_stack: false
    .vgpr_count:     0
    .vgpr_spill_count: 0
    .wavefront_size: 64
  - .agpr_count:     0
    .args:
      - .offset:         0
        .size:           120
        .value_kind:     by_value
    .group_segment_fixed_size: 0
    .kernarg_segment_align: 8
    .kernarg_segment_size: 120
    .language:       OpenCL C
    .language_version:
      - 2
      - 0
    .max_flat_workgroup_size: 256
    .name:           _ZN7rocprim17ROCPRIM_400000_NS6detail17trampoline_kernelINS0_14default_configENS1_29reduce_by_key_config_selectorIffN6thrust23THRUST_200600_302600_NS4plusIfEEEEZZNS1_33reduce_by_key_impl_wrapped_configILNS1_25lookback_scan_determinismE1ES3_S9_NS6_6detail15normal_iteratorINS6_10device_ptrIfEEEESG_SG_SG_PmS8_22is_equal_div_10_reduceIfEEE10hipError_tPvRmT2_T3_mT4_T5_T6_T7_T8_P12ihipStream_tbENKUlT_T0_E_clISt17integral_constantIbLb1EES10_IbLb0EEEEDaSW_SX_EUlSW_E_NS1_11comp_targetILNS1_3genE9ELNS1_11target_archE1100ELNS1_3gpuE3ELNS1_3repE0EEENS1_30default_config_static_selectorELNS0_4arch9wavefront6targetE1EEEvT1_
    .private_segment_fixed_size: 0
    .sgpr_count:     4
    .sgpr_spill_count: 0
    .symbol:         _ZN7rocprim17ROCPRIM_400000_NS6detail17trampoline_kernelINS0_14default_configENS1_29reduce_by_key_config_selectorIffN6thrust23THRUST_200600_302600_NS4plusIfEEEEZZNS1_33reduce_by_key_impl_wrapped_configILNS1_25lookback_scan_determinismE1ES3_S9_NS6_6detail15normal_iteratorINS6_10device_ptrIfEEEESG_SG_SG_PmS8_22is_equal_div_10_reduceIfEEE10hipError_tPvRmT2_T3_mT4_T5_T6_T7_T8_P12ihipStream_tbENKUlT_T0_E_clISt17integral_constantIbLb1EES10_IbLb0EEEEDaSW_SX_EUlSW_E_NS1_11comp_targetILNS1_3genE9ELNS1_11target_archE1100ELNS1_3gpuE3ELNS1_3repE0EEENS1_30default_config_static_selectorELNS0_4arch9wavefront6targetE1EEEvT1_.kd
    .uniform_work_group_size: 1
    .uses_dynamic_stack: false
    .vgpr_count:     0
    .vgpr_spill_count: 0
    .wavefront_size: 64
  - .agpr_count:     0
    .args:
      - .offset:         0
        .size:           120
        .value_kind:     by_value
    .group_segment_fixed_size: 0
    .kernarg_segment_align: 8
    .kernarg_segment_size: 120
    .language:       OpenCL C
    .language_version:
      - 2
      - 0
    .max_flat_workgroup_size: 256
    .name:           _ZN7rocprim17ROCPRIM_400000_NS6detail17trampoline_kernelINS0_14default_configENS1_29reduce_by_key_config_selectorIffN6thrust23THRUST_200600_302600_NS4plusIfEEEEZZNS1_33reduce_by_key_impl_wrapped_configILNS1_25lookback_scan_determinismE1ES3_S9_NS6_6detail15normal_iteratorINS6_10device_ptrIfEEEESG_SG_SG_PmS8_22is_equal_div_10_reduceIfEEE10hipError_tPvRmT2_T3_mT4_T5_T6_T7_T8_P12ihipStream_tbENKUlT_T0_E_clISt17integral_constantIbLb1EES10_IbLb0EEEEDaSW_SX_EUlSW_E_NS1_11comp_targetILNS1_3genE8ELNS1_11target_archE1030ELNS1_3gpuE2ELNS1_3repE0EEENS1_30default_config_static_selectorELNS0_4arch9wavefront6targetE1EEEvT1_
    .private_segment_fixed_size: 0
    .sgpr_count:     4
    .sgpr_spill_count: 0
    .symbol:         _ZN7rocprim17ROCPRIM_400000_NS6detail17trampoline_kernelINS0_14default_configENS1_29reduce_by_key_config_selectorIffN6thrust23THRUST_200600_302600_NS4plusIfEEEEZZNS1_33reduce_by_key_impl_wrapped_configILNS1_25lookback_scan_determinismE1ES3_S9_NS6_6detail15normal_iteratorINS6_10device_ptrIfEEEESG_SG_SG_PmS8_22is_equal_div_10_reduceIfEEE10hipError_tPvRmT2_T3_mT4_T5_T6_T7_T8_P12ihipStream_tbENKUlT_T0_E_clISt17integral_constantIbLb1EES10_IbLb0EEEEDaSW_SX_EUlSW_E_NS1_11comp_targetILNS1_3genE8ELNS1_11target_archE1030ELNS1_3gpuE2ELNS1_3repE0EEENS1_30default_config_static_selectorELNS0_4arch9wavefront6targetE1EEEvT1_.kd
    .uniform_work_group_size: 1
    .uses_dynamic_stack: false
    .vgpr_count:     0
    .vgpr_spill_count: 0
    .wavefront_size: 64
  - .agpr_count:     0
    .args:
      - .offset:         0
        .size:           120
        .value_kind:     by_value
    .group_segment_fixed_size: 0
    .kernarg_segment_align: 8
    .kernarg_segment_size: 120
    .language:       OpenCL C
    .language_version:
      - 2
      - 0
    .max_flat_workgroup_size: 256
    .name:           _ZN7rocprim17ROCPRIM_400000_NS6detail17trampoline_kernelINS0_14default_configENS1_29reduce_by_key_config_selectorIffN6thrust23THRUST_200600_302600_NS4plusIfEEEEZZNS1_33reduce_by_key_impl_wrapped_configILNS1_25lookback_scan_determinismE1ES3_S9_NS6_6detail15normal_iteratorINS6_10device_ptrIfEEEESG_SG_SG_PmS8_22is_equal_div_10_reduceIfEEE10hipError_tPvRmT2_T3_mT4_T5_T6_T7_T8_P12ihipStream_tbENKUlT_T0_E_clISt17integral_constantIbLb0EES10_IbLb1EEEEDaSW_SX_EUlSW_E_NS1_11comp_targetILNS1_3genE0ELNS1_11target_archE4294967295ELNS1_3gpuE0ELNS1_3repE0EEENS1_30default_config_static_selectorELNS0_4arch9wavefront6targetE1EEEvT1_
    .private_segment_fixed_size: 0
    .sgpr_count:     4
    .sgpr_spill_count: 0
    .symbol:         _ZN7rocprim17ROCPRIM_400000_NS6detail17trampoline_kernelINS0_14default_configENS1_29reduce_by_key_config_selectorIffN6thrust23THRUST_200600_302600_NS4plusIfEEEEZZNS1_33reduce_by_key_impl_wrapped_configILNS1_25lookback_scan_determinismE1ES3_S9_NS6_6detail15normal_iteratorINS6_10device_ptrIfEEEESG_SG_SG_PmS8_22is_equal_div_10_reduceIfEEE10hipError_tPvRmT2_T3_mT4_T5_T6_T7_T8_P12ihipStream_tbENKUlT_T0_E_clISt17integral_constantIbLb0EES10_IbLb1EEEEDaSW_SX_EUlSW_E_NS1_11comp_targetILNS1_3genE0ELNS1_11target_archE4294967295ELNS1_3gpuE0ELNS1_3repE0EEENS1_30default_config_static_selectorELNS0_4arch9wavefront6targetE1EEEvT1_.kd
    .uniform_work_group_size: 1
    .uses_dynamic_stack: false
    .vgpr_count:     0
    .vgpr_spill_count: 0
    .wavefront_size: 64
  - .agpr_count:     0
    .args:
      - .offset:         0
        .size:           120
        .value_kind:     by_value
    .group_segment_fixed_size: 0
    .kernarg_segment_align: 8
    .kernarg_segment_size: 120
    .language:       OpenCL C
    .language_version:
      - 2
      - 0
    .max_flat_workgroup_size: 256
    .name:           _ZN7rocprim17ROCPRIM_400000_NS6detail17trampoline_kernelINS0_14default_configENS1_29reduce_by_key_config_selectorIffN6thrust23THRUST_200600_302600_NS4plusIfEEEEZZNS1_33reduce_by_key_impl_wrapped_configILNS1_25lookback_scan_determinismE1ES3_S9_NS6_6detail15normal_iteratorINS6_10device_ptrIfEEEESG_SG_SG_PmS8_22is_equal_div_10_reduceIfEEE10hipError_tPvRmT2_T3_mT4_T5_T6_T7_T8_P12ihipStream_tbENKUlT_T0_E_clISt17integral_constantIbLb0EES10_IbLb1EEEEDaSW_SX_EUlSW_E_NS1_11comp_targetILNS1_3genE5ELNS1_11target_archE942ELNS1_3gpuE9ELNS1_3repE0EEENS1_30default_config_static_selectorELNS0_4arch9wavefront6targetE1EEEvT1_
    .private_segment_fixed_size: 0
    .sgpr_count:     4
    .sgpr_spill_count: 0
    .symbol:         _ZN7rocprim17ROCPRIM_400000_NS6detail17trampoline_kernelINS0_14default_configENS1_29reduce_by_key_config_selectorIffN6thrust23THRUST_200600_302600_NS4plusIfEEEEZZNS1_33reduce_by_key_impl_wrapped_configILNS1_25lookback_scan_determinismE1ES3_S9_NS6_6detail15normal_iteratorINS6_10device_ptrIfEEEESG_SG_SG_PmS8_22is_equal_div_10_reduceIfEEE10hipError_tPvRmT2_T3_mT4_T5_T6_T7_T8_P12ihipStream_tbENKUlT_T0_E_clISt17integral_constantIbLb0EES10_IbLb1EEEEDaSW_SX_EUlSW_E_NS1_11comp_targetILNS1_3genE5ELNS1_11target_archE942ELNS1_3gpuE9ELNS1_3repE0EEENS1_30default_config_static_selectorELNS0_4arch9wavefront6targetE1EEEvT1_.kd
    .uniform_work_group_size: 1
    .uses_dynamic_stack: false
    .vgpr_count:     0
    .vgpr_spill_count: 0
    .wavefront_size: 64
  - .agpr_count:     0
    .args:
      - .offset:         0
        .size:           120
        .value_kind:     by_value
    .group_segment_fixed_size: 15360
    .kernarg_segment_align: 8
    .kernarg_segment_size: 120
    .language:       OpenCL C
    .language_version:
      - 2
      - 0
    .max_flat_workgroup_size: 256
    .name:           _ZN7rocprim17ROCPRIM_400000_NS6detail17trampoline_kernelINS0_14default_configENS1_29reduce_by_key_config_selectorIffN6thrust23THRUST_200600_302600_NS4plusIfEEEEZZNS1_33reduce_by_key_impl_wrapped_configILNS1_25lookback_scan_determinismE1ES3_S9_NS6_6detail15normal_iteratorINS6_10device_ptrIfEEEESG_SG_SG_PmS8_22is_equal_div_10_reduceIfEEE10hipError_tPvRmT2_T3_mT4_T5_T6_T7_T8_P12ihipStream_tbENKUlT_T0_E_clISt17integral_constantIbLb0EES10_IbLb1EEEEDaSW_SX_EUlSW_E_NS1_11comp_targetILNS1_3genE4ELNS1_11target_archE910ELNS1_3gpuE8ELNS1_3repE0EEENS1_30default_config_static_selectorELNS0_4arch9wavefront6targetE1EEEvT1_
    .private_segment_fixed_size: 48
    .sgpr_count:     82
    .sgpr_spill_count: 0
    .symbol:         _ZN7rocprim17ROCPRIM_400000_NS6detail17trampoline_kernelINS0_14default_configENS1_29reduce_by_key_config_selectorIffN6thrust23THRUST_200600_302600_NS4plusIfEEEEZZNS1_33reduce_by_key_impl_wrapped_configILNS1_25lookback_scan_determinismE1ES3_S9_NS6_6detail15normal_iteratorINS6_10device_ptrIfEEEESG_SG_SG_PmS8_22is_equal_div_10_reduceIfEEE10hipError_tPvRmT2_T3_mT4_T5_T6_T7_T8_P12ihipStream_tbENKUlT_T0_E_clISt17integral_constantIbLb0EES10_IbLb1EEEEDaSW_SX_EUlSW_E_NS1_11comp_targetILNS1_3genE4ELNS1_11target_archE910ELNS1_3gpuE8ELNS1_3repE0EEENS1_30default_config_static_selectorELNS0_4arch9wavefront6targetE1EEEvT1_.kd
    .uniform_work_group_size: 1
    .uses_dynamic_stack: false
    .vgpr_count:     108
    .vgpr_spill_count: 0
    .wavefront_size: 64
  - .agpr_count:     0
    .args:
      - .offset:         0
        .size:           120
        .value_kind:     by_value
    .group_segment_fixed_size: 0
    .kernarg_segment_align: 8
    .kernarg_segment_size: 120
    .language:       OpenCL C
    .language_version:
      - 2
      - 0
    .max_flat_workgroup_size: 256
    .name:           _ZN7rocprim17ROCPRIM_400000_NS6detail17trampoline_kernelINS0_14default_configENS1_29reduce_by_key_config_selectorIffN6thrust23THRUST_200600_302600_NS4plusIfEEEEZZNS1_33reduce_by_key_impl_wrapped_configILNS1_25lookback_scan_determinismE1ES3_S9_NS6_6detail15normal_iteratorINS6_10device_ptrIfEEEESG_SG_SG_PmS8_22is_equal_div_10_reduceIfEEE10hipError_tPvRmT2_T3_mT4_T5_T6_T7_T8_P12ihipStream_tbENKUlT_T0_E_clISt17integral_constantIbLb0EES10_IbLb1EEEEDaSW_SX_EUlSW_E_NS1_11comp_targetILNS1_3genE3ELNS1_11target_archE908ELNS1_3gpuE7ELNS1_3repE0EEENS1_30default_config_static_selectorELNS0_4arch9wavefront6targetE1EEEvT1_
    .private_segment_fixed_size: 0
    .sgpr_count:     4
    .sgpr_spill_count: 0
    .symbol:         _ZN7rocprim17ROCPRIM_400000_NS6detail17trampoline_kernelINS0_14default_configENS1_29reduce_by_key_config_selectorIffN6thrust23THRUST_200600_302600_NS4plusIfEEEEZZNS1_33reduce_by_key_impl_wrapped_configILNS1_25lookback_scan_determinismE1ES3_S9_NS6_6detail15normal_iteratorINS6_10device_ptrIfEEEESG_SG_SG_PmS8_22is_equal_div_10_reduceIfEEE10hipError_tPvRmT2_T3_mT4_T5_T6_T7_T8_P12ihipStream_tbENKUlT_T0_E_clISt17integral_constantIbLb0EES10_IbLb1EEEEDaSW_SX_EUlSW_E_NS1_11comp_targetILNS1_3genE3ELNS1_11target_archE908ELNS1_3gpuE7ELNS1_3repE0EEENS1_30default_config_static_selectorELNS0_4arch9wavefront6targetE1EEEvT1_.kd
    .uniform_work_group_size: 1
    .uses_dynamic_stack: false
    .vgpr_count:     0
    .vgpr_spill_count: 0
    .wavefront_size: 64
  - .agpr_count:     0
    .args:
      - .offset:         0
        .size:           120
        .value_kind:     by_value
    .group_segment_fixed_size: 0
    .kernarg_segment_align: 8
    .kernarg_segment_size: 120
    .language:       OpenCL C
    .language_version:
      - 2
      - 0
    .max_flat_workgroup_size: 256
    .name:           _ZN7rocprim17ROCPRIM_400000_NS6detail17trampoline_kernelINS0_14default_configENS1_29reduce_by_key_config_selectorIffN6thrust23THRUST_200600_302600_NS4plusIfEEEEZZNS1_33reduce_by_key_impl_wrapped_configILNS1_25lookback_scan_determinismE1ES3_S9_NS6_6detail15normal_iteratorINS6_10device_ptrIfEEEESG_SG_SG_PmS8_22is_equal_div_10_reduceIfEEE10hipError_tPvRmT2_T3_mT4_T5_T6_T7_T8_P12ihipStream_tbENKUlT_T0_E_clISt17integral_constantIbLb0EES10_IbLb1EEEEDaSW_SX_EUlSW_E_NS1_11comp_targetILNS1_3genE2ELNS1_11target_archE906ELNS1_3gpuE6ELNS1_3repE0EEENS1_30default_config_static_selectorELNS0_4arch9wavefront6targetE1EEEvT1_
    .private_segment_fixed_size: 0
    .sgpr_count:     4
    .sgpr_spill_count: 0
    .symbol:         _ZN7rocprim17ROCPRIM_400000_NS6detail17trampoline_kernelINS0_14default_configENS1_29reduce_by_key_config_selectorIffN6thrust23THRUST_200600_302600_NS4plusIfEEEEZZNS1_33reduce_by_key_impl_wrapped_configILNS1_25lookback_scan_determinismE1ES3_S9_NS6_6detail15normal_iteratorINS6_10device_ptrIfEEEESG_SG_SG_PmS8_22is_equal_div_10_reduceIfEEE10hipError_tPvRmT2_T3_mT4_T5_T6_T7_T8_P12ihipStream_tbENKUlT_T0_E_clISt17integral_constantIbLb0EES10_IbLb1EEEEDaSW_SX_EUlSW_E_NS1_11comp_targetILNS1_3genE2ELNS1_11target_archE906ELNS1_3gpuE6ELNS1_3repE0EEENS1_30default_config_static_selectorELNS0_4arch9wavefront6targetE1EEEvT1_.kd
    .uniform_work_group_size: 1
    .uses_dynamic_stack: false
    .vgpr_count:     0
    .vgpr_spill_count: 0
    .wavefront_size: 64
  - .agpr_count:     0
    .args:
      - .offset:         0
        .size:           120
        .value_kind:     by_value
    .group_segment_fixed_size: 0
    .kernarg_segment_align: 8
    .kernarg_segment_size: 120
    .language:       OpenCL C
    .language_version:
      - 2
      - 0
    .max_flat_workgroup_size: 256
    .name:           _ZN7rocprim17ROCPRIM_400000_NS6detail17trampoline_kernelINS0_14default_configENS1_29reduce_by_key_config_selectorIffN6thrust23THRUST_200600_302600_NS4plusIfEEEEZZNS1_33reduce_by_key_impl_wrapped_configILNS1_25lookback_scan_determinismE1ES3_S9_NS6_6detail15normal_iteratorINS6_10device_ptrIfEEEESG_SG_SG_PmS8_22is_equal_div_10_reduceIfEEE10hipError_tPvRmT2_T3_mT4_T5_T6_T7_T8_P12ihipStream_tbENKUlT_T0_E_clISt17integral_constantIbLb0EES10_IbLb1EEEEDaSW_SX_EUlSW_E_NS1_11comp_targetILNS1_3genE10ELNS1_11target_archE1201ELNS1_3gpuE5ELNS1_3repE0EEENS1_30default_config_static_selectorELNS0_4arch9wavefront6targetE1EEEvT1_
    .private_segment_fixed_size: 0
    .sgpr_count:     4
    .sgpr_spill_count: 0
    .symbol:         _ZN7rocprim17ROCPRIM_400000_NS6detail17trampoline_kernelINS0_14default_configENS1_29reduce_by_key_config_selectorIffN6thrust23THRUST_200600_302600_NS4plusIfEEEEZZNS1_33reduce_by_key_impl_wrapped_configILNS1_25lookback_scan_determinismE1ES3_S9_NS6_6detail15normal_iteratorINS6_10device_ptrIfEEEESG_SG_SG_PmS8_22is_equal_div_10_reduceIfEEE10hipError_tPvRmT2_T3_mT4_T5_T6_T7_T8_P12ihipStream_tbENKUlT_T0_E_clISt17integral_constantIbLb0EES10_IbLb1EEEEDaSW_SX_EUlSW_E_NS1_11comp_targetILNS1_3genE10ELNS1_11target_archE1201ELNS1_3gpuE5ELNS1_3repE0EEENS1_30default_config_static_selectorELNS0_4arch9wavefront6targetE1EEEvT1_.kd
    .uniform_work_group_size: 1
    .uses_dynamic_stack: false
    .vgpr_count:     0
    .vgpr_spill_count: 0
    .wavefront_size: 64
  - .agpr_count:     0
    .args:
      - .offset:         0
        .size:           120
        .value_kind:     by_value
    .group_segment_fixed_size: 0
    .kernarg_segment_align: 8
    .kernarg_segment_size: 120
    .language:       OpenCL C
    .language_version:
      - 2
      - 0
    .max_flat_workgroup_size: 256
    .name:           _ZN7rocprim17ROCPRIM_400000_NS6detail17trampoline_kernelINS0_14default_configENS1_29reduce_by_key_config_selectorIffN6thrust23THRUST_200600_302600_NS4plusIfEEEEZZNS1_33reduce_by_key_impl_wrapped_configILNS1_25lookback_scan_determinismE1ES3_S9_NS6_6detail15normal_iteratorINS6_10device_ptrIfEEEESG_SG_SG_PmS8_22is_equal_div_10_reduceIfEEE10hipError_tPvRmT2_T3_mT4_T5_T6_T7_T8_P12ihipStream_tbENKUlT_T0_E_clISt17integral_constantIbLb0EES10_IbLb1EEEEDaSW_SX_EUlSW_E_NS1_11comp_targetILNS1_3genE10ELNS1_11target_archE1200ELNS1_3gpuE4ELNS1_3repE0EEENS1_30default_config_static_selectorELNS0_4arch9wavefront6targetE1EEEvT1_
    .private_segment_fixed_size: 0
    .sgpr_count:     4
    .sgpr_spill_count: 0
    .symbol:         _ZN7rocprim17ROCPRIM_400000_NS6detail17trampoline_kernelINS0_14default_configENS1_29reduce_by_key_config_selectorIffN6thrust23THRUST_200600_302600_NS4plusIfEEEEZZNS1_33reduce_by_key_impl_wrapped_configILNS1_25lookback_scan_determinismE1ES3_S9_NS6_6detail15normal_iteratorINS6_10device_ptrIfEEEESG_SG_SG_PmS8_22is_equal_div_10_reduceIfEEE10hipError_tPvRmT2_T3_mT4_T5_T6_T7_T8_P12ihipStream_tbENKUlT_T0_E_clISt17integral_constantIbLb0EES10_IbLb1EEEEDaSW_SX_EUlSW_E_NS1_11comp_targetILNS1_3genE10ELNS1_11target_archE1200ELNS1_3gpuE4ELNS1_3repE0EEENS1_30default_config_static_selectorELNS0_4arch9wavefront6targetE1EEEvT1_.kd
    .uniform_work_group_size: 1
    .uses_dynamic_stack: false
    .vgpr_count:     0
    .vgpr_spill_count: 0
    .wavefront_size: 64
  - .agpr_count:     0
    .args:
      - .offset:         0
        .size:           120
        .value_kind:     by_value
    .group_segment_fixed_size: 0
    .kernarg_segment_align: 8
    .kernarg_segment_size: 120
    .language:       OpenCL C
    .language_version:
      - 2
      - 0
    .max_flat_workgroup_size: 256
    .name:           _ZN7rocprim17ROCPRIM_400000_NS6detail17trampoline_kernelINS0_14default_configENS1_29reduce_by_key_config_selectorIffN6thrust23THRUST_200600_302600_NS4plusIfEEEEZZNS1_33reduce_by_key_impl_wrapped_configILNS1_25lookback_scan_determinismE1ES3_S9_NS6_6detail15normal_iteratorINS6_10device_ptrIfEEEESG_SG_SG_PmS8_22is_equal_div_10_reduceIfEEE10hipError_tPvRmT2_T3_mT4_T5_T6_T7_T8_P12ihipStream_tbENKUlT_T0_E_clISt17integral_constantIbLb0EES10_IbLb1EEEEDaSW_SX_EUlSW_E_NS1_11comp_targetILNS1_3genE9ELNS1_11target_archE1100ELNS1_3gpuE3ELNS1_3repE0EEENS1_30default_config_static_selectorELNS0_4arch9wavefront6targetE1EEEvT1_
    .private_segment_fixed_size: 0
    .sgpr_count:     4
    .sgpr_spill_count: 0
    .symbol:         _ZN7rocprim17ROCPRIM_400000_NS6detail17trampoline_kernelINS0_14default_configENS1_29reduce_by_key_config_selectorIffN6thrust23THRUST_200600_302600_NS4plusIfEEEEZZNS1_33reduce_by_key_impl_wrapped_configILNS1_25lookback_scan_determinismE1ES3_S9_NS6_6detail15normal_iteratorINS6_10device_ptrIfEEEESG_SG_SG_PmS8_22is_equal_div_10_reduceIfEEE10hipError_tPvRmT2_T3_mT4_T5_T6_T7_T8_P12ihipStream_tbENKUlT_T0_E_clISt17integral_constantIbLb0EES10_IbLb1EEEEDaSW_SX_EUlSW_E_NS1_11comp_targetILNS1_3genE9ELNS1_11target_archE1100ELNS1_3gpuE3ELNS1_3repE0EEENS1_30default_config_static_selectorELNS0_4arch9wavefront6targetE1EEEvT1_.kd
    .uniform_work_group_size: 1
    .uses_dynamic_stack: false
    .vgpr_count:     0
    .vgpr_spill_count: 0
    .wavefront_size: 64
  - .agpr_count:     0
    .args:
      - .offset:         0
        .size:           120
        .value_kind:     by_value
    .group_segment_fixed_size: 0
    .kernarg_segment_align: 8
    .kernarg_segment_size: 120
    .language:       OpenCL C
    .language_version:
      - 2
      - 0
    .max_flat_workgroup_size: 256
    .name:           _ZN7rocprim17ROCPRIM_400000_NS6detail17trampoline_kernelINS0_14default_configENS1_29reduce_by_key_config_selectorIffN6thrust23THRUST_200600_302600_NS4plusIfEEEEZZNS1_33reduce_by_key_impl_wrapped_configILNS1_25lookback_scan_determinismE1ES3_S9_NS6_6detail15normal_iteratorINS6_10device_ptrIfEEEESG_SG_SG_PmS8_22is_equal_div_10_reduceIfEEE10hipError_tPvRmT2_T3_mT4_T5_T6_T7_T8_P12ihipStream_tbENKUlT_T0_E_clISt17integral_constantIbLb0EES10_IbLb1EEEEDaSW_SX_EUlSW_E_NS1_11comp_targetILNS1_3genE8ELNS1_11target_archE1030ELNS1_3gpuE2ELNS1_3repE0EEENS1_30default_config_static_selectorELNS0_4arch9wavefront6targetE1EEEvT1_
    .private_segment_fixed_size: 0
    .sgpr_count:     4
    .sgpr_spill_count: 0
    .symbol:         _ZN7rocprim17ROCPRIM_400000_NS6detail17trampoline_kernelINS0_14default_configENS1_29reduce_by_key_config_selectorIffN6thrust23THRUST_200600_302600_NS4plusIfEEEEZZNS1_33reduce_by_key_impl_wrapped_configILNS1_25lookback_scan_determinismE1ES3_S9_NS6_6detail15normal_iteratorINS6_10device_ptrIfEEEESG_SG_SG_PmS8_22is_equal_div_10_reduceIfEEE10hipError_tPvRmT2_T3_mT4_T5_T6_T7_T8_P12ihipStream_tbENKUlT_T0_E_clISt17integral_constantIbLb0EES10_IbLb1EEEEDaSW_SX_EUlSW_E_NS1_11comp_targetILNS1_3genE8ELNS1_11target_archE1030ELNS1_3gpuE2ELNS1_3repE0EEENS1_30default_config_static_selectorELNS0_4arch9wavefront6targetE1EEEvT1_.kd
    .uniform_work_group_size: 1
    .uses_dynamic_stack: false
    .vgpr_count:     0
    .vgpr_spill_count: 0
    .wavefront_size: 64
  - .agpr_count:     0
    .args:
      - .offset:         0
        .size:           120
        .value_kind:     by_value
    .group_segment_fixed_size: 0
    .kernarg_segment_align: 8
    .kernarg_segment_size: 120
    .language:       OpenCL C
    .language_version:
      - 2
      - 0
    .max_flat_workgroup_size: 256
    .name:           _ZN7rocprim17ROCPRIM_400000_NS6detail17trampoline_kernelINS0_14default_configENS1_29reduce_by_key_config_selectorIffN6thrust23THRUST_200600_302600_NS4plusIfEEEEZZNS1_33reduce_by_key_impl_wrapped_configILNS1_25lookback_scan_determinismE0ES3_S9_NS6_6detail15normal_iteratorINS6_10device_ptrIfEEEESG_SG_SG_PmS8_NS6_8equal_toIfEEEE10hipError_tPvRmT2_T3_mT4_T5_T6_T7_T8_P12ihipStream_tbENKUlT_T0_E_clISt17integral_constantIbLb0EES11_EEDaSW_SX_EUlSW_E_NS1_11comp_targetILNS1_3genE0ELNS1_11target_archE4294967295ELNS1_3gpuE0ELNS1_3repE0EEENS1_30default_config_static_selectorELNS0_4arch9wavefront6targetE1EEEvT1_
    .private_segment_fixed_size: 0
    .sgpr_count:     4
    .sgpr_spill_count: 0
    .symbol:         _ZN7rocprim17ROCPRIM_400000_NS6detail17trampoline_kernelINS0_14default_configENS1_29reduce_by_key_config_selectorIffN6thrust23THRUST_200600_302600_NS4plusIfEEEEZZNS1_33reduce_by_key_impl_wrapped_configILNS1_25lookback_scan_determinismE0ES3_S9_NS6_6detail15normal_iteratorINS6_10device_ptrIfEEEESG_SG_SG_PmS8_NS6_8equal_toIfEEEE10hipError_tPvRmT2_T3_mT4_T5_T6_T7_T8_P12ihipStream_tbENKUlT_T0_E_clISt17integral_constantIbLb0EES11_EEDaSW_SX_EUlSW_E_NS1_11comp_targetILNS1_3genE0ELNS1_11target_archE4294967295ELNS1_3gpuE0ELNS1_3repE0EEENS1_30default_config_static_selectorELNS0_4arch9wavefront6targetE1EEEvT1_.kd
    .uniform_work_group_size: 1
    .uses_dynamic_stack: false
    .vgpr_count:     0
    .vgpr_spill_count: 0
    .wavefront_size: 64
  - .agpr_count:     0
    .args:
      - .offset:         0
        .size:           120
        .value_kind:     by_value
    .group_segment_fixed_size: 0
    .kernarg_segment_align: 8
    .kernarg_segment_size: 120
    .language:       OpenCL C
    .language_version:
      - 2
      - 0
    .max_flat_workgroup_size: 256
    .name:           _ZN7rocprim17ROCPRIM_400000_NS6detail17trampoline_kernelINS0_14default_configENS1_29reduce_by_key_config_selectorIffN6thrust23THRUST_200600_302600_NS4plusIfEEEEZZNS1_33reduce_by_key_impl_wrapped_configILNS1_25lookback_scan_determinismE0ES3_S9_NS6_6detail15normal_iteratorINS6_10device_ptrIfEEEESG_SG_SG_PmS8_NS6_8equal_toIfEEEE10hipError_tPvRmT2_T3_mT4_T5_T6_T7_T8_P12ihipStream_tbENKUlT_T0_E_clISt17integral_constantIbLb0EES11_EEDaSW_SX_EUlSW_E_NS1_11comp_targetILNS1_3genE5ELNS1_11target_archE942ELNS1_3gpuE9ELNS1_3repE0EEENS1_30default_config_static_selectorELNS0_4arch9wavefront6targetE1EEEvT1_
    .private_segment_fixed_size: 0
    .sgpr_count:     4
    .sgpr_spill_count: 0
    .symbol:         _ZN7rocprim17ROCPRIM_400000_NS6detail17trampoline_kernelINS0_14default_configENS1_29reduce_by_key_config_selectorIffN6thrust23THRUST_200600_302600_NS4plusIfEEEEZZNS1_33reduce_by_key_impl_wrapped_configILNS1_25lookback_scan_determinismE0ES3_S9_NS6_6detail15normal_iteratorINS6_10device_ptrIfEEEESG_SG_SG_PmS8_NS6_8equal_toIfEEEE10hipError_tPvRmT2_T3_mT4_T5_T6_T7_T8_P12ihipStream_tbENKUlT_T0_E_clISt17integral_constantIbLb0EES11_EEDaSW_SX_EUlSW_E_NS1_11comp_targetILNS1_3genE5ELNS1_11target_archE942ELNS1_3gpuE9ELNS1_3repE0EEENS1_30default_config_static_selectorELNS0_4arch9wavefront6targetE1EEEvT1_.kd
    .uniform_work_group_size: 1
    .uses_dynamic_stack: false
    .vgpr_count:     0
    .vgpr_spill_count: 0
    .wavefront_size: 64
  - .agpr_count:     0
    .args:
      - .offset:         0
        .size:           120
        .value_kind:     by_value
    .group_segment_fixed_size: 15360
    .kernarg_segment_align: 8
    .kernarg_segment_size: 120
    .language:       OpenCL C
    .language_version:
      - 2
      - 0
    .max_flat_workgroup_size: 256
    .name:           _ZN7rocprim17ROCPRIM_400000_NS6detail17trampoline_kernelINS0_14default_configENS1_29reduce_by_key_config_selectorIffN6thrust23THRUST_200600_302600_NS4plusIfEEEEZZNS1_33reduce_by_key_impl_wrapped_configILNS1_25lookback_scan_determinismE0ES3_S9_NS6_6detail15normal_iteratorINS6_10device_ptrIfEEEESG_SG_SG_PmS8_NS6_8equal_toIfEEEE10hipError_tPvRmT2_T3_mT4_T5_T6_T7_T8_P12ihipStream_tbENKUlT_T0_E_clISt17integral_constantIbLb0EES11_EEDaSW_SX_EUlSW_E_NS1_11comp_targetILNS1_3genE4ELNS1_11target_archE910ELNS1_3gpuE8ELNS1_3repE0EEENS1_30default_config_static_selectorELNS0_4arch9wavefront6targetE1EEEvT1_
    .private_segment_fixed_size: 0
    .sgpr_count:     68
    .sgpr_spill_count: 0
    .symbol:         _ZN7rocprim17ROCPRIM_400000_NS6detail17trampoline_kernelINS0_14default_configENS1_29reduce_by_key_config_selectorIffN6thrust23THRUST_200600_302600_NS4plusIfEEEEZZNS1_33reduce_by_key_impl_wrapped_configILNS1_25lookback_scan_determinismE0ES3_S9_NS6_6detail15normal_iteratorINS6_10device_ptrIfEEEESG_SG_SG_PmS8_NS6_8equal_toIfEEEE10hipError_tPvRmT2_T3_mT4_T5_T6_T7_T8_P12ihipStream_tbENKUlT_T0_E_clISt17integral_constantIbLb0EES11_EEDaSW_SX_EUlSW_E_NS1_11comp_targetILNS1_3genE4ELNS1_11target_archE910ELNS1_3gpuE8ELNS1_3repE0EEENS1_30default_config_static_selectorELNS0_4arch9wavefront6targetE1EEEvT1_.kd
    .uniform_work_group_size: 1
    .uses_dynamic_stack: false
    .vgpr_count:     106
    .vgpr_spill_count: 0
    .wavefront_size: 64
  - .agpr_count:     0
    .args:
      - .offset:         0
        .size:           120
        .value_kind:     by_value
    .group_segment_fixed_size: 0
    .kernarg_segment_align: 8
    .kernarg_segment_size: 120
    .language:       OpenCL C
    .language_version:
      - 2
      - 0
    .max_flat_workgroup_size: 256
    .name:           _ZN7rocprim17ROCPRIM_400000_NS6detail17trampoline_kernelINS0_14default_configENS1_29reduce_by_key_config_selectorIffN6thrust23THRUST_200600_302600_NS4plusIfEEEEZZNS1_33reduce_by_key_impl_wrapped_configILNS1_25lookback_scan_determinismE0ES3_S9_NS6_6detail15normal_iteratorINS6_10device_ptrIfEEEESG_SG_SG_PmS8_NS6_8equal_toIfEEEE10hipError_tPvRmT2_T3_mT4_T5_T6_T7_T8_P12ihipStream_tbENKUlT_T0_E_clISt17integral_constantIbLb0EES11_EEDaSW_SX_EUlSW_E_NS1_11comp_targetILNS1_3genE3ELNS1_11target_archE908ELNS1_3gpuE7ELNS1_3repE0EEENS1_30default_config_static_selectorELNS0_4arch9wavefront6targetE1EEEvT1_
    .private_segment_fixed_size: 0
    .sgpr_count:     4
    .sgpr_spill_count: 0
    .symbol:         _ZN7rocprim17ROCPRIM_400000_NS6detail17trampoline_kernelINS0_14default_configENS1_29reduce_by_key_config_selectorIffN6thrust23THRUST_200600_302600_NS4plusIfEEEEZZNS1_33reduce_by_key_impl_wrapped_configILNS1_25lookback_scan_determinismE0ES3_S9_NS6_6detail15normal_iteratorINS6_10device_ptrIfEEEESG_SG_SG_PmS8_NS6_8equal_toIfEEEE10hipError_tPvRmT2_T3_mT4_T5_T6_T7_T8_P12ihipStream_tbENKUlT_T0_E_clISt17integral_constantIbLb0EES11_EEDaSW_SX_EUlSW_E_NS1_11comp_targetILNS1_3genE3ELNS1_11target_archE908ELNS1_3gpuE7ELNS1_3repE0EEENS1_30default_config_static_selectorELNS0_4arch9wavefront6targetE1EEEvT1_.kd
    .uniform_work_group_size: 1
    .uses_dynamic_stack: false
    .vgpr_count:     0
    .vgpr_spill_count: 0
    .wavefront_size: 64
  - .agpr_count:     0
    .args:
      - .offset:         0
        .size:           120
        .value_kind:     by_value
    .group_segment_fixed_size: 0
    .kernarg_segment_align: 8
    .kernarg_segment_size: 120
    .language:       OpenCL C
    .language_version:
      - 2
      - 0
    .max_flat_workgroup_size: 256
    .name:           _ZN7rocprim17ROCPRIM_400000_NS6detail17trampoline_kernelINS0_14default_configENS1_29reduce_by_key_config_selectorIffN6thrust23THRUST_200600_302600_NS4plusIfEEEEZZNS1_33reduce_by_key_impl_wrapped_configILNS1_25lookback_scan_determinismE0ES3_S9_NS6_6detail15normal_iteratorINS6_10device_ptrIfEEEESG_SG_SG_PmS8_NS6_8equal_toIfEEEE10hipError_tPvRmT2_T3_mT4_T5_T6_T7_T8_P12ihipStream_tbENKUlT_T0_E_clISt17integral_constantIbLb0EES11_EEDaSW_SX_EUlSW_E_NS1_11comp_targetILNS1_3genE2ELNS1_11target_archE906ELNS1_3gpuE6ELNS1_3repE0EEENS1_30default_config_static_selectorELNS0_4arch9wavefront6targetE1EEEvT1_
    .private_segment_fixed_size: 0
    .sgpr_count:     4
    .sgpr_spill_count: 0
    .symbol:         _ZN7rocprim17ROCPRIM_400000_NS6detail17trampoline_kernelINS0_14default_configENS1_29reduce_by_key_config_selectorIffN6thrust23THRUST_200600_302600_NS4plusIfEEEEZZNS1_33reduce_by_key_impl_wrapped_configILNS1_25lookback_scan_determinismE0ES3_S9_NS6_6detail15normal_iteratorINS6_10device_ptrIfEEEESG_SG_SG_PmS8_NS6_8equal_toIfEEEE10hipError_tPvRmT2_T3_mT4_T5_T6_T7_T8_P12ihipStream_tbENKUlT_T0_E_clISt17integral_constantIbLb0EES11_EEDaSW_SX_EUlSW_E_NS1_11comp_targetILNS1_3genE2ELNS1_11target_archE906ELNS1_3gpuE6ELNS1_3repE0EEENS1_30default_config_static_selectorELNS0_4arch9wavefront6targetE1EEEvT1_.kd
    .uniform_work_group_size: 1
    .uses_dynamic_stack: false
    .vgpr_count:     0
    .vgpr_spill_count: 0
    .wavefront_size: 64
  - .agpr_count:     0
    .args:
      - .offset:         0
        .size:           120
        .value_kind:     by_value
    .group_segment_fixed_size: 0
    .kernarg_segment_align: 8
    .kernarg_segment_size: 120
    .language:       OpenCL C
    .language_version:
      - 2
      - 0
    .max_flat_workgroup_size: 256
    .name:           _ZN7rocprim17ROCPRIM_400000_NS6detail17trampoline_kernelINS0_14default_configENS1_29reduce_by_key_config_selectorIffN6thrust23THRUST_200600_302600_NS4plusIfEEEEZZNS1_33reduce_by_key_impl_wrapped_configILNS1_25lookback_scan_determinismE0ES3_S9_NS6_6detail15normal_iteratorINS6_10device_ptrIfEEEESG_SG_SG_PmS8_NS6_8equal_toIfEEEE10hipError_tPvRmT2_T3_mT4_T5_T6_T7_T8_P12ihipStream_tbENKUlT_T0_E_clISt17integral_constantIbLb0EES11_EEDaSW_SX_EUlSW_E_NS1_11comp_targetILNS1_3genE10ELNS1_11target_archE1201ELNS1_3gpuE5ELNS1_3repE0EEENS1_30default_config_static_selectorELNS0_4arch9wavefront6targetE1EEEvT1_
    .private_segment_fixed_size: 0
    .sgpr_count:     4
    .sgpr_spill_count: 0
    .symbol:         _ZN7rocprim17ROCPRIM_400000_NS6detail17trampoline_kernelINS0_14default_configENS1_29reduce_by_key_config_selectorIffN6thrust23THRUST_200600_302600_NS4plusIfEEEEZZNS1_33reduce_by_key_impl_wrapped_configILNS1_25lookback_scan_determinismE0ES3_S9_NS6_6detail15normal_iteratorINS6_10device_ptrIfEEEESG_SG_SG_PmS8_NS6_8equal_toIfEEEE10hipError_tPvRmT2_T3_mT4_T5_T6_T7_T8_P12ihipStream_tbENKUlT_T0_E_clISt17integral_constantIbLb0EES11_EEDaSW_SX_EUlSW_E_NS1_11comp_targetILNS1_3genE10ELNS1_11target_archE1201ELNS1_3gpuE5ELNS1_3repE0EEENS1_30default_config_static_selectorELNS0_4arch9wavefront6targetE1EEEvT1_.kd
    .uniform_work_group_size: 1
    .uses_dynamic_stack: false
    .vgpr_count:     0
    .vgpr_spill_count: 0
    .wavefront_size: 64
  - .agpr_count:     0
    .args:
      - .offset:         0
        .size:           120
        .value_kind:     by_value
    .group_segment_fixed_size: 0
    .kernarg_segment_align: 8
    .kernarg_segment_size: 120
    .language:       OpenCL C
    .language_version:
      - 2
      - 0
    .max_flat_workgroup_size: 256
    .name:           _ZN7rocprim17ROCPRIM_400000_NS6detail17trampoline_kernelINS0_14default_configENS1_29reduce_by_key_config_selectorIffN6thrust23THRUST_200600_302600_NS4plusIfEEEEZZNS1_33reduce_by_key_impl_wrapped_configILNS1_25lookback_scan_determinismE0ES3_S9_NS6_6detail15normal_iteratorINS6_10device_ptrIfEEEESG_SG_SG_PmS8_NS6_8equal_toIfEEEE10hipError_tPvRmT2_T3_mT4_T5_T6_T7_T8_P12ihipStream_tbENKUlT_T0_E_clISt17integral_constantIbLb0EES11_EEDaSW_SX_EUlSW_E_NS1_11comp_targetILNS1_3genE10ELNS1_11target_archE1200ELNS1_3gpuE4ELNS1_3repE0EEENS1_30default_config_static_selectorELNS0_4arch9wavefront6targetE1EEEvT1_
    .private_segment_fixed_size: 0
    .sgpr_count:     4
    .sgpr_spill_count: 0
    .symbol:         _ZN7rocprim17ROCPRIM_400000_NS6detail17trampoline_kernelINS0_14default_configENS1_29reduce_by_key_config_selectorIffN6thrust23THRUST_200600_302600_NS4plusIfEEEEZZNS1_33reduce_by_key_impl_wrapped_configILNS1_25lookback_scan_determinismE0ES3_S9_NS6_6detail15normal_iteratorINS6_10device_ptrIfEEEESG_SG_SG_PmS8_NS6_8equal_toIfEEEE10hipError_tPvRmT2_T3_mT4_T5_T6_T7_T8_P12ihipStream_tbENKUlT_T0_E_clISt17integral_constantIbLb0EES11_EEDaSW_SX_EUlSW_E_NS1_11comp_targetILNS1_3genE10ELNS1_11target_archE1200ELNS1_3gpuE4ELNS1_3repE0EEENS1_30default_config_static_selectorELNS0_4arch9wavefront6targetE1EEEvT1_.kd
    .uniform_work_group_size: 1
    .uses_dynamic_stack: false
    .vgpr_count:     0
    .vgpr_spill_count: 0
    .wavefront_size: 64
  - .agpr_count:     0
    .args:
      - .offset:         0
        .size:           120
        .value_kind:     by_value
    .group_segment_fixed_size: 0
    .kernarg_segment_align: 8
    .kernarg_segment_size: 120
    .language:       OpenCL C
    .language_version:
      - 2
      - 0
    .max_flat_workgroup_size: 256
    .name:           _ZN7rocprim17ROCPRIM_400000_NS6detail17trampoline_kernelINS0_14default_configENS1_29reduce_by_key_config_selectorIffN6thrust23THRUST_200600_302600_NS4plusIfEEEEZZNS1_33reduce_by_key_impl_wrapped_configILNS1_25lookback_scan_determinismE0ES3_S9_NS6_6detail15normal_iteratorINS6_10device_ptrIfEEEESG_SG_SG_PmS8_NS6_8equal_toIfEEEE10hipError_tPvRmT2_T3_mT4_T5_T6_T7_T8_P12ihipStream_tbENKUlT_T0_E_clISt17integral_constantIbLb0EES11_EEDaSW_SX_EUlSW_E_NS1_11comp_targetILNS1_3genE9ELNS1_11target_archE1100ELNS1_3gpuE3ELNS1_3repE0EEENS1_30default_config_static_selectorELNS0_4arch9wavefront6targetE1EEEvT1_
    .private_segment_fixed_size: 0
    .sgpr_count:     4
    .sgpr_spill_count: 0
    .symbol:         _ZN7rocprim17ROCPRIM_400000_NS6detail17trampoline_kernelINS0_14default_configENS1_29reduce_by_key_config_selectorIffN6thrust23THRUST_200600_302600_NS4plusIfEEEEZZNS1_33reduce_by_key_impl_wrapped_configILNS1_25lookback_scan_determinismE0ES3_S9_NS6_6detail15normal_iteratorINS6_10device_ptrIfEEEESG_SG_SG_PmS8_NS6_8equal_toIfEEEE10hipError_tPvRmT2_T3_mT4_T5_T6_T7_T8_P12ihipStream_tbENKUlT_T0_E_clISt17integral_constantIbLb0EES11_EEDaSW_SX_EUlSW_E_NS1_11comp_targetILNS1_3genE9ELNS1_11target_archE1100ELNS1_3gpuE3ELNS1_3repE0EEENS1_30default_config_static_selectorELNS0_4arch9wavefront6targetE1EEEvT1_.kd
    .uniform_work_group_size: 1
    .uses_dynamic_stack: false
    .vgpr_count:     0
    .vgpr_spill_count: 0
    .wavefront_size: 64
  - .agpr_count:     0
    .args:
      - .offset:         0
        .size:           120
        .value_kind:     by_value
    .group_segment_fixed_size: 0
    .kernarg_segment_align: 8
    .kernarg_segment_size: 120
    .language:       OpenCL C
    .language_version:
      - 2
      - 0
    .max_flat_workgroup_size: 256
    .name:           _ZN7rocprim17ROCPRIM_400000_NS6detail17trampoline_kernelINS0_14default_configENS1_29reduce_by_key_config_selectorIffN6thrust23THRUST_200600_302600_NS4plusIfEEEEZZNS1_33reduce_by_key_impl_wrapped_configILNS1_25lookback_scan_determinismE0ES3_S9_NS6_6detail15normal_iteratorINS6_10device_ptrIfEEEESG_SG_SG_PmS8_NS6_8equal_toIfEEEE10hipError_tPvRmT2_T3_mT4_T5_T6_T7_T8_P12ihipStream_tbENKUlT_T0_E_clISt17integral_constantIbLb0EES11_EEDaSW_SX_EUlSW_E_NS1_11comp_targetILNS1_3genE8ELNS1_11target_archE1030ELNS1_3gpuE2ELNS1_3repE0EEENS1_30default_config_static_selectorELNS0_4arch9wavefront6targetE1EEEvT1_
    .private_segment_fixed_size: 0
    .sgpr_count:     4
    .sgpr_spill_count: 0
    .symbol:         _ZN7rocprim17ROCPRIM_400000_NS6detail17trampoline_kernelINS0_14default_configENS1_29reduce_by_key_config_selectorIffN6thrust23THRUST_200600_302600_NS4plusIfEEEEZZNS1_33reduce_by_key_impl_wrapped_configILNS1_25lookback_scan_determinismE0ES3_S9_NS6_6detail15normal_iteratorINS6_10device_ptrIfEEEESG_SG_SG_PmS8_NS6_8equal_toIfEEEE10hipError_tPvRmT2_T3_mT4_T5_T6_T7_T8_P12ihipStream_tbENKUlT_T0_E_clISt17integral_constantIbLb0EES11_EEDaSW_SX_EUlSW_E_NS1_11comp_targetILNS1_3genE8ELNS1_11target_archE1030ELNS1_3gpuE2ELNS1_3repE0EEENS1_30default_config_static_selectorELNS0_4arch9wavefront6targetE1EEEvT1_.kd
    .uniform_work_group_size: 1
    .uses_dynamic_stack: false
    .vgpr_count:     0
    .vgpr_spill_count: 0
    .wavefront_size: 64
  - .agpr_count:     0
    .args:
      - .offset:         0
        .size:           120
        .value_kind:     by_value
    .group_segment_fixed_size: 0
    .kernarg_segment_align: 8
    .kernarg_segment_size: 120
    .language:       OpenCL C
    .language_version:
      - 2
      - 0
    .max_flat_workgroup_size: 256
    .name:           _ZN7rocprim17ROCPRIM_400000_NS6detail17trampoline_kernelINS0_14default_configENS1_29reduce_by_key_config_selectorIffN6thrust23THRUST_200600_302600_NS4plusIfEEEEZZNS1_33reduce_by_key_impl_wrapped_configILNS1_25lookback_scan_determinismE0ES3_S9_NS6_6detail15normal_iteratorINS6_10device_ptrIfEEEESG_SG_SG_PmS8_NS6_8equal_toIfEEEE10hipError_tPvRmT2_T3_mT4_T5_T6_T7_T8_P12ihipStream_tbENKUlT_T0_E_clISt17integral_constantIbLb1EES11_EEDaSW_SX_EUlSW_E_NS1_11comp_targetILNS1_3genE0ELNS1_11target_archE4294967295ELNS1_3gpuE0ELNS1_3repE0EEENS1_30default_config_static_selectorELNS0_4arch9wavefront6targetE1EEEvT1_
    .private_segment_fixed_size: 0
    .sgpr_count:     4
    .sgpr_spill_count: 0
    .symbol:         _ZN7rocprim17ROCPRIM_400000_NS6detail17trampoline_kernelINS0_14default_configENS1_29reduce_by_key_config_selectorIffN6thrust23THRUST_200600_302600_NS4plusIfEEEEZZNS1_33reduce_by_key_impl_wrapped_configILNS1_25lookback_scan_determinismE0ES3_S9_NS6_6detail15normal_iteratorINS6_10device_ptrIfEEEESG_SG_SG_PmS8_NS6_8equal_toIfEEEE10hipError_tPvRmT2_T3_mT4_T5_T6_T7_T8_P12ihipStream_tbENKUlT_T0_E_clISt17integral_constantIbLb1EES11_EEDaSW_SX_EUlSW_E_NS1_11comp_targetILNS1_3genE0ELNS1_11target_archE4294967295ELNS1_3gpuE0ELNS1_3repE0EEENS1_30default_config_static_selectorELNS0_4arch9wavefront6targetE1EEEvT1_.kd
    .uniform_work_group_size: 1
    .uses_dynamic_stack: false
    .vgpr_count:     0
    .vgpr_spill_count: 0
    .wavefront_size: 64
  - .agpr_count:     0
    .args:
      - .offset:         0
        .size:           120
        .value_kind:     by_value
    .group_segment_fixed_size: 0
    .kernarg_segment_align: 8
    .kernarg_segment_size: 120
    .language:       OpenCL C
    .language_version:
      - 2
      - 0
    .max_flat_workgroup_size: 256
    .name:           _ZN7rocprim17ROCPRIM_400000_NS6detail17trampoline_kernelINS0_14default_configENS1_29reduce_by_key_config_selectorIffN6thrust23THRUST_200600_302600_NS4plusIfEEEEZZNS1_33reduce_by_key_impl_wrapped_configILNS1_25lookback_scan_determinismE0ES3_S9_NS6_6detail15normal_iteratorINS6_10device_ptrIfEEEESG_SG_SG_PmS8_NS6_8equal_toIfEEEE10hipError_tPvRmT2_T3_mT4_T5_T6_T7_T8_P12ihipStream_tbENKUlT_T0_E_clISt17integral_constantIbLb1EES11_EEDaSW_SX_EUlSW_E_NS1_11comp_targetILNS1_3genE5ELNS1_11target_archE942ELNS1_3gpuE9ELNS1_3repE0EEENS1_30default_config_static_selectorELNS0_4arch9wavefront6targetE1EEEvT1_
    .private_segment_fixed_size: 0
    .sgpr_count:     4
    .sgpr_spill_count: 0
    .symbol:         _ZN7rocprim17ROCPRIM_400000_NS6detail17trampoline_kernelINS0_14default_configENS1_29reduce_by_key_config_selectorIffN6thrust23THRUST_200600_302600_NS4plusIfEEEEZZNS1_33reduce_by_key_impl_wrapped_configILNS1_25lookback_scan_determinismE0ES3_S9_NS6_6detail15normal_iteratorINS6_10device_ptrIfEEEESG_SG_SG_PmS8_NS6_8equal_toIfEEEE10hipError_tPvRmT2_T3_mT4_T5_T6_T7_T8_P12ihipStream_tbENKUlT_T0_E_clISt17integral_constantIbLb1EES11_EEDaSW_SX_EUlSW_E_NS1_11comp_targetILNS1_3genE5ELNS1_11target_archE942ELNS1_3gpuE9ELNS1_3repE0EEENS1_30default_config_static_selectorELNS0_4arch9wavefront6targetE1EEEvT1_.kd
    .uniform_work_group_size: 1
    .uses_dynamic_stack: false
    .vgpr_count:     0
    .vgpr_spill_count: 0
    .wavefront_size: 64
  - .agpr_count:     0
    .args:
      - .offset:         0
        .size:           120
        .value_kind:     by_value
    .group_segment_fixed_size: 15360
    .kernarg_segment_align: 8
    .kernarg_segment_size: 120
    .language:       OpenCL C
    .language_version:
      - 2
      - 0
    .max_flat_workgroup_size: 256
    .name:           _ZN7rocprim17ROCPRIM_400000_NS6detail17trampoline_kernelINS0_14default_configENS1_29reduce_by_key_config_selectorIffN6thrust23THRUST_200600_302600_NS4plusIfEEEEZZNS1_33reduce_by_key_impl_wrapped_configILNS1_25lookback_scan_determinismE0ES3_S9_NS6_6detail15normal_iteratorINS6_10device_ptrIfEEEESG_SG_SG_PmS8_NS6_8equal_toIfEEEE10hipError_tPvRmT2_T3_mT4_T5_T6_T7_T8_P12ihipStream_tbENKUlT_T0_E_clISt17integral_constantIbLb1EES11_EEDaSW_SX_EUlSW_E_NS1_11comp_targetILNS1_3genE4ELNS1_11target_archE910ELNS1_3gpuE8ELNS1_3repE0EEENS1_30default_config_static_selectorELNS0_4arch9wavefront6targetE1EEEvT1_
    .private_segment_fixed_size: 0
    .sgpr_count:     70
    .sgpr_spill_count: 0
    .symbol:         _ZN7rocprim17ROCPRIM_400000_NS6detail17trampoline_kernelINS0_14default_configENS1_29reduce_by_key_config_selectorIffN6thrust23THRUST_200600_302600_NS4plusIfEEEEZZNS1_33reduce_by_key_impl_wrapped_configILNS1_25lookback_scan_determinismE0ES3_S9_NS6_6detail15normal_iteratorINS6_10device_ptrIfEEEESG_SG_SG_PmS8_NS6_8equal_toIfEEEE10hipError_tPvRmT2_T3_mT4_T5_T6_T7_T8_P12ihipStream_tbENKUlT_T0_E_clISt17integral_constantIbLb1EES11_EEDaSW_SX_EUlSW_E_NS1_11comp_targetILNS1_3genE4ELNS1_11target_archE910ELNS1_3gpuE8ELNS1_3repE0EEENS1_30default_config_static_selectorELNS0_4arch9wavefront6targetE1EEEvT1_.kd
    .uniform_work_group_size: 1
    .uses_dynamic_stack: false
    .vgpr_count:     106
    .vgpr_spill_count: 0
    .wavefront_size: 64
  - .agpr_count:     0
    .args:
      - .offset:         0
        .size:           120
        .value_kind:     by_value
    .group_segment_fixed_size: 0
    .kernarg_segment_align: 8
    .kernarg_segment_size: 120
    .language:       OpenCL C
    .language_version:
      - 2
      - 0
    .max_flat_workgroup_size: 256
    .name:           _ZN7rocprim17ROCPRIM_400000_NS6detail17trampoline_kernelINS0_14default_configENS1_29reduce_by_key_config_selectorIffN6thrust23THRUST_200600_302600_NS4plusIfEEEEZZNS1_33reduce_by_key_impl_wrapped_configILNS1_25lookback_scan_determinismE0ES3_S9_NS6_6detail15normal_iteratorINS6_10device_ptrIfEEEESG_SG_SG_PmS8_NS6_8equal_toIfEEEE10hipError_tPvRmT2_T3_mT4_T5_T6_T7_T8_P12ihipStream_tbENKUlT_T0_E_clISt17integral_constantIbLb1EES11_EEDaSW_SX_EUlSW_E_NS1_11comp_targetILNS1_3genE3ELNS1_11target_archE908ELNS1_3gpuE7ELNS1_3repE0EEENS1_30default_config_static_selectorELNS0_4arch9wavefront6targetE1EEEvT1_
    .private_segment_fixed_size: 0
    .sgpr_count:     4
    .sgpr_spill_count: 0
    .symbol:         _ZN7rocprim17ROCPRIM_400000_NS6detail17trampoline_kernelINS0_14default_configENS1_29reduce_by_key_config_selectorIffN6thrust23THRUST_200600_302600_NS4plusIfEEEEZZNS1_33reduce_by_key_impl_wrapped_configILNS1_25lookback_scan_determinismE0ES3_S9_NS6_6detail15normal_iteratorINS6_10device_ptrIfEEEESG_SG_SG_PmS8_NS6_8equal_toIfEEEE10hipError_tPvRmT2_T3_mT4_T5_T6_T7_T8_P12ihipStream_tbENKUlT_T0_E_clISt17integral_constantIbLb1EES11_EEDaSW_SX_EUlSW_E_NS1_11comp_targetILNS1_3genE3ELNS1_11target_archE908ELNS1_3gpuE7ELNS1_3repE0EEENS1_30default_config_static_selectorELNS0_4arch9wavefront6targetE1EEEvT1_.kd
    .uniform_work_group_size: 1
    .uses_dynamic_stack: false
    .vgpr_count:     0
    .vgpr_spill_count: 0
    .wavefront_size: 64
  - .agpr_count:     0
    .args:
      - .offset:         0
        .size:           120
        .value_kind:     by_value
    .group_segment_fixed_size: 0
    .kernarg_segment_align: 8
    .kernarg_segment_size: 120
    .language:       OpenCL C
    .language_version:
      - 2
      - 0
    .max_flat_workgroup_size: 256
    .name:           _ZN7rocprim17ROCPRIM_400000_NS6detail17trampoline_kernelINS0_14default_configENS1_29reduce_by_key_config_selectorIffN6thrust23THRUST_200600_302600_NS4plusIfEEEEZZNS1_33reduce_by_key_impl_wrapped_configILNS1_25lookback_scan_determinismE0ES3_S9_NS6_6detail15normal_iteratorINS6_10device_ptrIfEEEESG_SG_SG_PmS8_NS6_8equal_toIfEEEE10hipError_tPvRmT2_T3_mT4_T5_T6_T7_T8_P12ihipStream_tbENKUlT_T0_E_clISt17integral_constantIbLb1EES11_EEDaSW_SX_EUlSW_E_NS1_11comp_targetILNS1_3genE2ELNS1_11target_archE906ELNS1_3gpuE6ELNS1_3repE0EEENS1_30default_config_static_selectorELNS0_4arch9wavefront6targetE1EEEvT1_
    .private_segment_fixed_size: 0
    .sgpr_count:     4
    .sgpr_spill_count: 0
    .symbol:         _ZN7rocprim17ROCPRIM_400000_NS6detail17trampoline_kernelINS0_14default_configENS1_29reduce_by_key_config_selectorIffN6thrust23THRUST_200600_302600_NS4plusIfEEEEZZNS1_33reduce_by_key_impl_wrapped_configILNS1_25lookback_scan_determinismE0ES3_S9_NS6_6detail15normal_iteratorINS6_10device_ptrIfEEEESG_SG_SG_PmS8_NS6_8equal_toIfEEEE10hipError_tPvRmT2_T3_mT4_T5_T6_T7_T8_P12ihipStream_tbENKUlT_T0_E_clISt17integral_constantIbLb1EES11_EEDaSW_SX_EUlSW_E_NS1_11comp_targetILNS1_3genE2ELNS1_11target_archE906ELNS1_3gpuE6ELNS1_3repE0EEENS1_30default_config_static_selectorELNS0_4arch9wavefront6targetE1EEEvT1_.kd
    .uniform_work_group_size: 1
    .uses_dynamic_stack: false
    .vgpr_count:     0
    .vgpr_spill_count: 0
    .wavefront_size: 64
  - .agpr_count:     0
    .args:
      - .offset:         0
        .size:           120
        .value_kind:     by_value
    .group_segment_fixed_size: 0
    .kernarg_segment_align: 8
    .kernarg_segment_size: 120
    .language:       OpenCL C
    .language_version:
      - 2
      - 0
    .max_flat_workgroup_size: 256
    .name:           _ZN7rocprim17ROCPRIM_400000_NS6detail17trampoline_kernelINS0_14default_configENS1_29reduce_by_key_config_selectorIffN6thrust23THRUST_200600_302600_NS4plusIfEEEEZZNS1_33reduce_by_key_impl_wrapped_configILNS1_25lookback_scan_determinismE0ES3_S9_NS6_6detail15normal_iteratorINS6_10device_ptrIfEEEESG_SG_SG_PmS8_NS6_8equal_toIfEEEE10hipError_tPvRmT2_T3_mT4_T5_T6_T7_T8_P12ihipStream_tbENKUlT_T0_E_clISt17integral_constantIbLb1EES11_EEDaSW_SX_EUlSW_E_NS1_11comp_targetILNS1_3genE10ELNS1_11target_archE1201ELNS1_3gpuE5ELNS1_3repE0EEENS1_30default_config_static_selectorELNS0_4arch9wavefront6targetE1EEEvT1_
    .private_segment_fixed_size: 0
    .sgpr_count:     4
    .sgpr_spill_count: 0
    .symbol:         _ZN7rocprim17ROCPRIM_400000_NS6detail17trampoline_kernelINS0_14default_configENS1_29reduce_by_key_config_selectorIffN6thrust23THRUST_200600_302600_NS4plusIfEEEEZZNS1_33reduce_by_key_impl_wrapped_configILNS1_25lookback_scan_determinismE0ES3_S9_NS6_6detail15normal_iteratorINS6_10device_ptrIfEEEESG_SG_SG_PmS8_NS6_8equal_toIfEEEE10hipError_tPvRmT2_T3_mT4_T5_T6_T7_T8_P12ihipStream_tbENKUlT_T0_E_clISt17integral_constantIbLb1EES11_EEDaSW_SX_EUlSW_E_NS1_11comp_targetILNS1_3genE10ELNS1_11target_archE1201ELNS1_3gpuE5ELNS1_3repE0EEENS1_30default_config_static_selectorELNS0_4arch9wavefront6targetE1EEEvT1_.kd
    .uniform_work_group_size: 1
    .uses_dynamic_stack: false
    .vgpr_count:     0
    .vgpr_spill_count: 0
    .wavefront_size: 64
  - .agpr_count:     0
    .args:
      - .offset:         0
        .size:           120
        .value_kind:     by_value
    .group_segment_fixed_size: 0
    .kernarg_segment_align: 8
    .kernarg_segment_size: 120
    .language:       OpenCL C
    .language_version:
      - 2
      - 0
    .max_flat_workgroup_size: 256
    .name:           _ZN7rocprim17ROCPRIM_400000_NS6detail17trampoline_kernelINS0_14default_configENS1_29reduce_by_key_config_selectorIffN6thrust23THRUST_200600_302600_NS4plusIfEEEEZZNS1_33reduce_by_key_impl_wrapped_configILNS1_25lookback_scan_determinismE0ES3_S9_NS6_6detail15normal_iteratorINS6_10device_ptrIfEEEESG_SG_SG_PmS8_NS6_8equal_toIfEEEE10hipError_tPvRmT2_T3_mT4_T5_T6_T7_T8_P12ihipStream_tbENKUlT_T0_E_clISt17integral_constantIbLb1EES11_EEDaSW_SX_EUlSW_E_NS1_11comp_targetILNS1_3genE10ELNS1_11target_archE1200ELNS1_3gpuE4ELNS1_3repE0EEENS1_30default_config_static_selectorELNS0_4arch9wavefront6targetE1EEEvT1_
    .private_segment_fixed_size: 0
    .sgpr_count:     4
    .sgpr_spill_count: 0
    .symbol:         _ZN7rocprim17ROCPRIM_400000_NS6detail17trampoline_kernelINS0_14default_configENS1_29reduce_by_key_config_selectorIffN6thrust23THRUST_200600_302600_NS4plusIfEEEEZZNS1_33reduce_by_key_impl_wrapped_configILNS1_25lookback_scan_determinismE0ES3_S9_NS6_6detail15normal_iteratorINS6_10device_ptrIfEEEESG_SG_SG_PmS8_NS6_8equal_toIfEEEE10hipError_tPvRmT2_T3_mT4_T5_T6_T7_T8_P12ihipStream_tbENKUlT_T0_E_clISt17integral_constantIbLb1EES11_EEDaSW_SX_EUlSW_E_NS1_11comp_targetILNS1_3genE10ELNS1_11target_archE1200ELNS1_3gpuE4ELNS1_3repE0EEENS1_30default_config_static_selectorELNS0_4arch9wavefront6targetE1EEEvT1_.kd
    .uniform_work_group_size: 1
    .uses_dynamic_stack: false
    .vgpr_count:     0
    .vgpr_spill_count: 0
    .wavefront_size: 64
  - .agpr_count:     0
    .args:
      - .offset:         0
        .size:           120
        .value_kind:     by_value
    .group_segment_fixed_size: 0
    .kernarg_segment_align: 8
    .kernarg_segment_size: 120
    .language:       OpenCL C
    .language_version:
      - 2
      - 0
    .max_flat_workgroup_size: 256
    .name:           _ZN7rocprim17ROCPRIM_400000_NS6detail17trampoline_kernelINS0_14default_configENS1_29reduce_by_key_config_selectorIffN6thrust23THRUST_200600_302600_NS4plusIfEEEEZZNS1_33reduce_by_key_impl_wrapped_configILNS1_25lookback_scan_determinismE0ES3_S9_NS6_6detail15normal_iteratorINS6_10device_ptrIfEEEESG_SG_SG_PmS8_NS6_8equal_toIfEEEE10hipError_tPvRmT2_T3_mT4_T5_T6_T7_T8_P12ihipStream_tbENKUlT_T0_E_clISt17integral_constantIbLb1EES11_EEDaSW_SX_EUlSW_E_NS1_11comp_targetILNS1_3genE9ELNS1_11target_archE1100ELNS1_3gpuE3ELNS1_3repE0EEENS1_30default_config_static_selectorELNS0_4arch9wavefront6targetE1EEEvT1_
    .private_segment_fixed_size: 0
    .sgpr_count:     4
    .sgpr_spill_count: 0
    .symbol:         _ZN7rocprim17ROCPRIM_400000_NS6detail17trampoline_kernelINS0_14default_configENS1_29reduce_by_key_config_selectorIffN6thrust23THRUST_200600_302600_NS4plusIfEEEEZZNS1_33reduce_by_key_impl_wrapped_configILNS1_25lookback_scan_determinismE0ES3_S9_NS6_6detail15normal_iteratorINS6_10device_ptrIfEEEESG_SG_SG_PmS8_NS6_8equal_toIfEEEE10hipError_tPvRmT2_T3_mT4_T5_T6_T7_T8_P12ihipStream_tbENKUlT_T0_E_clISt17integral_constantIbLb1EES11_EEDaSW_SX_EUlSW_E_NS1_11comp_targetILNS1_3genE9ELNS1_11target_archE1100ELNS1_3gpuE3ELNS1_3repE0EEENS1_30default_config_static_selectorELNS0_4arch9wavefront6targetE1EEEvT1_.kd
    .uniform_work_group_size: 1
    .uses_dynamic_stack: false
    .vgpr_count:     0
    .vgpr_spill_count: 0
    .wavefront_size: 64
  - .agpr_count:     0
    .args:
      - .offset:         0
        .size:           120
        .value_kind:     by_value
    .group_segment_fixed_size: 0
    .kernarg_segment_align: 8
    .kernarg_segment_size: 120
    .language:       OpenCL C
    .language_version:
      - 2
      - 0
    .max_flat_workgroup_size: 256
    .name:           _ZN7rocprim17ROCPRIM_400000_NS6detail17trampoline_kernelINS0_14default_configENS1_29reduce_by_key_config_selectorIffN6thrust23THRUST_200600_302600_NS4plusIfEEEEZZNS1_33reduce_by_key_impl_wrapped_configILNS1_25lookback_scan_determinismE0ES3_S9_NS6_6detail15normal_iteratorINS6_10device_ptrIfEEEESG_SG_SG_PmS8_NS6_8equal_toIfEEEE10hipError_tPvRmT2_T3_mT4_T5_T6_T7_T8_P12ihipStream_tbENKUlT_T0_E_clISt17integral_constantIbLb1EES11_EEDaSW_SX_EUlSW_E_NS1_11comp_targetILNS1_3genE8ELNS1_11target_archE1030ELNS1_3gpuE2ELNS1_3repE0EEENS1_30default_config_static_selectorELNS0_4arch9wavefront6targetE1EEEvT1_
    .private_segment_fixed_size: 0
    .sgpr_count:     4
    .sgpr_spill_count: 0
    .symbol:         _ZN7rocprim17ROCPRIM_400000_NS6detail17trampoline_kernelINS0_14default_configENS1_29reduce_by_key_config_selectorIffN6thrust23THRUST_200600_302600_NS4plusIfEEEEZZNS1_33reduce_by_key_impl_wrapped_configILNS1_25lookback_scan_determinismE0ES3_S9_NS6_6detail15normal_iteratorINS6_10device_ptrIfEEEESG_SG_SG_PmS8_NS6_8equal_toIfEEEE10hipError_tPvRmT2_T3_mT4_T5_T6_T7_T8_P12ihipStream_tbENKUlT_T0_E_clISt17integral_constantIbLb1EES11_EEDaSW_SX_EUlSW_E_NS1_11comp_targetILNS1_3genE8ELNS1_11target_archE1030ELNS1_3gpuE2ELNS1_3repE0EEENS1_30default_config_static_selectorELNS0_4arch9wavefront6targetE1EEEvT1_.kd
    .uniform_work_group_size: 1
    .uses_dynamic_stack: false
    .vgpr_count:     0
    .vgpr_spill_count: 0
    .wavefront_size: 64
  - .agpr_count:     0
    .args:
      - .offset:         0
        .size:           120
        .value_kind:     by_value
    .group_segment_fixed_size: 0
    .kernarg_segment_align: 8
    .kernarg_segment_size: 120
    .language:       OpenCL C
    .language_version:
      - 2
      - 0
    .max_flat_workgroup_size: 256
    .name:           _ZN7rocprim17ROCPRIM_400000_NS6detail17trampoline_kernelINS0_14default_configENS1_29reduce_by_key_config_selectorIffN6thrust23THRUST_200600_302600_NS4plusIfEEEEZZNS1_33reduce_by_key_impl_wrapped_configILNS1_25lookback_scan_determinismE0ES3_S9_NS6_6detail15normal_iteratorINS6_10device_ptrIfEEEESG_SG_SG_PmS8_NS6_8equal_toIfEEEE10hipError_tPvRmT2_T3_mT4_T5_T6_T7_T8_P12ihipStream_tbENKUlT_T0_E_clISt17integral_constantIbLb1EES10_IbLb0EEEEDaSW_SX_EUlSW_E_NS1_11comp_targetILNS1_3genE0ELNS1_11target_archE4294967295ELNS1_3gpuE0ELNS1_3repE0EEENS1_30default_config_static_selectorELNS0_4arch9wavefront6targetE1EEEvT1_
    .private_segment_fixed_size: 0
    .sgpr_count:     4
    .sgpr_spill_count: 0
    .symbol:         _ZN7rocprim17ROCPRIM_400000_NS6detail17trampoline_kernelINS0_14default_configENS1_29reduce_by_key_config_selectorIffN6thrust23THRUST_200600_302600_NS4plusIfEEEEZZNS1_33reduce_by_key_impl_wrapped_configILNS1_25lookback_scan_determinismE0ES3_S9_NS6_6detail15normal_iteratorINS6_10device_ptrIfEEEESG_SG_SG_PmS8_NS6_8equal_toIfEEEE10hipError_tPvRmT2_T3_mT4_T5_T6_T7_T8_P12ihipStream_tbENKUlT_T0_E_clISt17integral_constantIbLb1EES10_IbLb0EEEEDaSW_SX_EUlSW_E_NS1_11comp_targetILNS1_3genE0ELNS1_11target_archE4294967295ELNS1_3gpuE0ELNS1_3repE0EEENS1_30default_config_static_selectorELNS0_4arch9wavefront6targetE1EEEvT1_.kd
    .uniform_work_group_size: 1
    .uses_dynamic_stack: false
    .vgpr_count:     0
    .vgpr_spill_count: 0
    .wavefront_size: 64
  - .agpr_count:     0
    .args:
      - .offset:         0
        .size:           120
        .value_kind:     by_value
    .group_segment_fixed_size: 0
    .kernarg_segment_align: 8
    .kernarg_segment_size: 120
    .language:       OpenCL C
    .language_version:
      - 2
      - 0
    .max_flat_workgroup_size: 256
    .name:           _ZN7rocprim17ROCPRIM_400000_NS6detail17trampoline_kernelINS0_14default_configENS1_29reduce_by_key_config_selectorIffN6thrust23THRUST_200600_302600_NS4plusIfEEEEZZNS1_33reduce_by_key_impl_wrapped_configILNS1_25lookback_scan_determinismE0ES3_S9_NS6_6detail15normal_iteratorINS6_10device_ptrIfEEEESG_SG_SG_PmS8_NS6_8equal_toIfEEEE10hipError_tPvRmT2_T3_mT4_T5_T6_T7_T8_P12ihipStream_tbENKUlT_T0_E_clISt17integral_constantIbLb1EES10_IbLb0EEEEDaSW_SX_EUlSW_E_NS1_11comp_targetILNS1_3genE5ELNS1_11target_archE942ELNS1_3gpuE9ELNS1_3repE0EEENS1_30default_config_static_selectorELNS0_4arch9wavefront6targetE1EEEvT1_
    .private_segment_fixed_size: 0
    .sgpr_count:     4
    .sgpr_spill_count: 0
    .symbol:         _ZN7rocprim17ROCPRIM_400000_NS6detail17trampoline_kernelINS0_14default_configENS1_29reduce_by_key_config_selectorIffN6thrust23THRUST_200600_302600_NS4plusIfEEEEZZNS1_33reduce_by_key_impl_wrapped_configILNS1_25lookback_scan_determinismE0ES3_S9_NS6_6detail15normal_iteratorINS6_10device_ptrIfEEEESG_SG_SG_PmS8_NS6_8equal_toIfEEEE10hipError_tPvRmT2_T3_mT4_T5_T6_T7_T8_P12ihipStream_tbENKUlT_T0_E_clISt17integral_constantIbLb1EES10_IbLb0EEEEDaSW_SX_EUlSW_E_NS1_11comp_targetILNS1_3genE5ELNS1_11target_archE942ELNS1_3gpuE9ELNS1_3repE0EEENS1_30default_config_static_selectorELNS0_4arch9wavefront6targetE1EEEvT1_.kd
    .uniform_work_group_size: 1
    .uses_dynamic_stack: false
    .vgpr_count:     0
    .vgpr_spill_count: 0
    .wavefront_size: 64
  - .agpr_count:     0
    .args:
      - .offset:         0
        .size:           120
        .value_kind:     by_value
    .group_segment_fixed_size: 15360
    .kernarg_segment_align: 8
    .kernarg_segment_size: 120
    .language:       OpenCL C
    .language_version:
      - 2
      - 0
    .max_flat_workgroup_size: 256
    .name:           _ZN7rocprim17ROCPRIM_400000_NS6detail17trampoline_kernelINS0_14default_configENS1_29reduce_by_key_config_selectorIffN6thrust23THRUST_200600_302600_NS4plusIfEEEEZZNS1_33reduce_by_key_impl_wrapped_configILNS1_25lookback_scan_determinismE0ES3_S9_NS6_6detail15normal_iteratorINS6_10device_ptrIfEEEESG_SG_SG_PmS8_NS6_8equal_toIfEEEE10hipError_tPvRmT2_T3_mT4_T5_T6_T7_T8_P12ihipStream_tbENKUlT_T0_E_clISt17integral_constantIbLb1EES10_IbLb0EEEEDaSW_SX_EUlSW_E_NS1_11comp_targetILNS1_3genE4ELNS1_11target_archE910ELNS1_3gpuE8ELNS1_3repE0EEENS1_30default_config_static_selectorELNS0_4arch9wavefront6targetE1EEEvT1_
    .private_segment_fixed_size: 0
    .sgpr_count:     68
    .sgpr_spill_count: 0
    .symbol:         _ZN7rocprim17ROCPRIM_400000_NS6detail17trampoline_kernelINS0_14default_configENS1_29reduce_by_key_config_selectorIffN6thrust23THRUST_200600_302600_NS4plusIfEEEEZZNS1_33reduce_by_key_impl_wrapped_configILNS1_25lookback_scan_determinismE0ES3_S9_NS6_6detail15normal_iteratorINS6_10device_ptrIfEEEESG_SG_SG_PmS8_NS6_8equal_toIfEEEE10hipError_tPvRmT2_T3_mT4_T5_T6_T7_T8_P12ihipStream_tbENKUlT_T0_E_clISt17integral_constantIbLb1EES10_IbLb0EEEEDaSW_SX_EUlSW_E_NS1_11comp_targetILNS1_3genE4ELNS1_11target_archE910ELNS1_3gpuE8ELNS1_3repE0EEENS1_30default_config_static_selectorELNS0_4arch9wavefront6targetE1EEEvT1_.kd
    .uniform_work_group_size: 1
    .uses_dynamic_stack: false
    .vgpr_count:     106
    .vgpr_spill_count: 0
    .wavefront_size: 64
  - .agpr_count:     0
    .args:
      - .offset:         0
        .size:           120
        .value_kind:     by_value
    .group_segment_fixed_size: 0
    .kernarg_segment_align: 8
    .kernarg_segment_size: 120
    .language:       OpenCL C
    .language_version:
      - 2
      - 0
    .max_flat_workgroup_size: 256
    .name:           _ZN7rocprim17ROCPRIM_400000_NS6detail17trampoline_kernelINS0_14default_configENS1_29reduce_by_key_config_selectorIffN6thrust23THRUST_200600_302600_NS4plusIfEEEEZZNS1_33reduce_by_key_impl_wrapped_configILNS1_25lookback_scan_determinismE0ES3_S9_NS6_6detail15normal_iteratorINS6_10device_ptrIfEEEESG_SG_SG_PmS8_NS6_8equal_toIfEEEE10hipError_tPvRmT2_T3_mT4_T5_T6_T7_T8_P12ihipStream_tbENKUlT_T0_E_clISt17integral_constantIbLb1EES10_IbLb0EEEEDaSW_SX_EUlSW_E_NS1_11comp_targetILNS1_3genE3ELNS1_11target_archE908ELNS1_3gpuE7ELNS1_3repE0EEENS1_30default_config_static_selectorELNS0_4arch9wavefront6targetE1EEEvT1_
    .private_segment_fixed_size: 0
    .sgpr_count:     4
    .sgpr_spill_count: 0
    .symbol:         _ZN7rocprim17ROCPRIM_400000_NS6detail17trampoline_kernelINS0_14default_configENS1_29reduce_by_key_config_selectorIffN6thrust23THRUST_200600_302600_NS4plusIfEEEEZZNS1_33reduce_by_key_impl_wrapped_configILNS1_25lookback_scan_determinismE0ES3_S9_NS6_6detail15normal_iteratorINS6_10device_ptrIfEEEESG_SG_SG_PmS8_NS6_8equal_toIfEEEE10hipError_tPvRmT2_T3_mT4_T5_T6_T7_T8_P12ihipStream_tbENKUlT_T0_E_clISt17integral_constantIbLb1EES10_IbLb0EEEEDaSW_SX_EUlSW_E_NS1_11comp_targetILNS1_3genE3ELNS1_11target_archE908ELNS1_3gpuE7ELNS1_3repE0EEENS1_30default_config_static_selectorELNS0_4arch9wavefront6targetE1EEEvT1_.kd
    .uniform_work_group_size: 1
    .uses_dynamic_stack: false
    .vgpr_count:     0
    .vgpr_spill_count: 0
    .wavefront_size: 64
  - .agpr_count:     0
    .args:
      - .offset:         0
        .size:           120
        .value_kind:     by_value
    .group_segment_fixed_size: 0
    .kernarg_segment_align: 8
    .kernarg_segment_size: 120
    .language:       OpenCL C
    .language_version:
      - 2
      - 0
    .max_flat_workgroup_size: 256
    .name:           _ZN7rocprim17ROCPRIM_400000_NS6detail17trampoline_kernelINS0_14default_configENS1_29reduce_by_key_config_selectorIffN6thrust23THRUST_200600_302600_NS4plusIfEEEEZZNS1_33reduce_by_key_impl_wrapped_configILNS1_25lookback_scan_determinismE0ES3_S9_NS6_6detail15normal_iteratorINS6_10device_ptrIfEEEESG_SG_SG_PmS8_NS6_8equal_toIfEEEE10hipError_tPvRmT2_T3_mT4_T5_T6_T7_T8_P12ihipStream_tbENKUlT_T0_E_clISt17integral_constantIbLb1EES10_IbLb0EEEEDaSW_SX_EUlSW_E_NS1_11comp_targetILNS1_3genE2ELNS1_11target_archE906ELNS1_3gpuE6ELNS1_3repE0EEENS1_30default_config_static_selectorELNS0_4arch9wavefront6targetE1EEEvT1_
    .private_segment_fixed_size: 0
    .sgpr_count:     4
    .sgpr_spill_count: 0
    .symbol:         _ZN7rocprim17ROCPRIM_400000_NS6detail17trampoline_kernelINS0_14default_configENS1_29reduce_by_key_config_selectorIffN6thrust23THRUST_200600_302600_NS4plusIfEEEEZZNS1_33reduce_by_key_impl_wrapped_configILNS1_25lookback_scan_determinismE0ES3_S9_NS6_6detail15normal_iteratorINS6_10device_ptrIfEEEESG_SG_SG_PmS8_NS6_8equal_toIfEEEE10hipError_tPvRmT2_T3_mT4_T5_T6_T7_T8_P12ihipStream_tbENKUlT_T0_E_clISt17integral_constantIbLb1EES10_IbLb0EEEEDaSW_SX_EUlSW_E_NS1_11comp_targetILNS1_3genE2ELNS1_11target_archE906ELNS1_3gpuE6ELNS1_3repE0EEENS1_30default_config_static_selectorELNS0_4arch9wavefront6targetE1EEEvT1_.kd
    .uniform_work_group_size: 1
    .uses_dynamic_stack: false
    .vgpr_count:     0
    .vgpr_spill_count: 0
    .wavefront_size: 64
  - .agpr_count:     0
    .args:
      - .offset:         0
        .size:           120
        .value_kind:     by_value
    .group_segment_fixed_size: 0
    .kernarg_segment_align: 8
    .kernarg_segment_size: 120
    .language:       OpenCL C
    .language_version:
      - 2
      - 0
    .max_flat_workgroup_size: 256
    .name:           _ZN7rocprim17ROCPRIM_400000_NS6detail17trampoline_kernelINS0_14default_configENS1_29reduce_by_key_config_selectorIffN6thrust23THRUST_200600_302600_NS4plusIfEEEEZZNS1_33reduce_by_key_impl_wrapped_configILNS1_25lookback_scan_determinismE0ES3_S9_NS6_6detail15normal_iteratorINS6_10device_ptrIfEEEESG_SG_SG_PmS8_NS6_8equal_toIfEEEE10hipError_tPvRmT2_T3_mT4_T5_T6_T7_T8_P12ihipStream_tbENKUlT_T0_E_clISt17integral_constantIbLb1EES10_IbLb0EEEEDaSW_SX_EUlSW_E_NS1_11comp_targetILNS1_3genE10ELNS1_11target_archE1201ELNS1_3gpuE5ELNS1_3repE0EEENS1_30default_config_static_selectorELNS0_4arch9wavefront6targetE1EEEvT1_
    .private_segment_fixed_size: 0
    .sgpr_count:     4
    .sgpr_spill_count: 0
    .symbol:         _ZN7rocprim17ROCPRIM_400000_NS6detail17trampoline_kernelINS0_14default_configENS1_29reduce_by_key_config_selectorIffN6thrust23THRUST_200600_302600_NS4plusIfEEEEZZNS1_33reduce_by_key_impl_wrapped_configILNS1_25lookback_scan_determinismE0ES3_S9_NS6_6detail15normal_iteratorINS6_10device_ptrIfEEEESG_SG_SG_PmS8_NS6_8equal_toIfEEEE10hipError_tPvRmT2_T3_mT4_T5_T6_T7_T8_P12ihipStream_tbENKUlT_T0_E_clISt17integral_constantIbLb1EES10_IbLb0EEEEDaSW_SX_EUlSW_E_NS1_11comp_targetILNS1_3genE10ELNS1_11target_archE1201ELNS1_3gpuE5ELNS1_3repE0EEENS1_30default_config_static_selectorELNS0_4arch9wavefront6targetE1EEEvT1_.kd
    .uniform_work_group_size: 1
    .uses_dynamic_stack: false
    .vgpr_count:     0
    .vgpr_spill_count: 0
    .wavefront_size: 64
  - .agpr_count:     0
    .args:
      - .offset:         0
        .size:           120
        .value_kind:     by_value
    .group_segment_fixed_size: 0
    .kernarg_segment_align: 8
    .kernarg_segment_size: 120
    .language:       OpenCL C
    .language_version:
      - 2
      - 0
    .max_flat_workgroup_size: 256
    .name:           _ZN7rocprim17ROCPRIM_400000_NS6detail17trampoline_kernelINS0_14default_configENS1_29reduce_by_key_config_selectorIffN6thrust23THRUST_200600_302600_NS4plusIfEEEEZZNS1_33reduce_by_key_impl_wrapped_configILNS1_25lookback_scan_determinismE0ES3_S9_NS6_6detail15normal_iteratorINS6_10device_ptrIfEEEESG_SG_SG_PmS8_NS6_8equal_toIfEEEE10hipError_tPvRmT2_T3_mT4_T5_T6_T7_T8_P12ihipStream_tbENKUlT_T0_E_clISt17integral_constantIbLb1EES10_IbLb0EEEEDaSW_SX_EUlSW_E_NS1_11comp_targetILNS1_3genE10ELNS1_11target_archE1200ELNS1_3gpuE4ELNS1_3repE0EEENS1_30default_config_static_selectorELNS0_4arch9wavefront6targetE1EEEvT1_
    .private_segment_fixed_size: 0
    .sgpr_count:     4
    .sgpr_spill_count: 0
    .symbol:         _ZN7rocprim17ROCPRIM_400000_NS6detail17trampoline_kernelINS0_14default_configENS1_29reduce_by_key_config_selectorIffN6thrust23THRUST_200600_302600_NS4plusIfEEEEZZNS1_33reduce_by_key_impl_wrapped_configILNS1_25lookback_scan_determinismE0ES3_S9_NS6_6detail15normal_iteratorINS6_10device_ptrIfEEEESG_SG_SG_PmS8_NS6_8equal_toIfEEEE10hipError_tPvRmT2_T3_mT4_T5_T6_T7_T8_P12ihipStream_tbENKUlT_T0_E_clISt17integral_constantIbLb1EES10_IbLb0EEEEDaSW_SX_EUlSW_E_NS1_11comp_targetILNS1_3genE10ELNS1_11target_archE1200ELNS1_3gpuE4ELNS1_3repE0EEENS1_30default_config_static_selectorELNS0_4arch9wavefront6targetE1EEEvT1_.kd
    .uniform_work_group_size: 1
    .uses_dynamic_stack: false
    .vgpr_count:     0
    .vgpr_spill_count: 0
    .wavefront_size: 64
  - .agpr_count:     0
    .args:
      - .offset:         0
        .size:           120
        .value_kind:     by_value
    .group_segment_fixed_size: 0
    .kernarg_segment_align: 8
    .kernarg_segment_size: 120
    .language:       OpenCL C
    .language_version:
      - 2
      - 0
    .max_flat_workgroup_size: 256
    .name:           _ZN7rocprim17ROCPRIM_400000_NS6detail17trampoline_kernelINS0_14default_configENS1_29reduce_by_key_config_selectorIffN6thrust23THRUST_200600_302600_NS4plusIfEEEEZZNS1_33reduce_by_key_impl_wrapped_configILNS1_25lookback_scan_determinismE0ES3_S9_NS6_6detail15normal_iteratorINS6_10device_ptrIfEEEESG_SG_SG_PmS8_NS6_8equal_toIfEEEE10hipError_tPvRmT2_T3_mT4_T5_T6_T7_T8_P12ihipStream_tbENKUlT_T0_E_clISt17integral_constantIbLb1EES10_IbLb0EEEEDaSW_SX_EUlSW_E_NS1_11comp_targetILNS1_3genE9ELNS1_11target_archE1100ELNS1_3gpuE3ELNS1_3repE0EEENS1_30default_config_static_selectorELNS0_4arch9wavefront6targetE1EEEvT1_
    .private_segment_fixed_size: 0
    .sgpr_count:     4
    .sgpr_spill_count: 0
    .symbol:         _ZN7rocprim17ROCPRIM_400000_NS6detail17trampoline_kernelINS0_14default_configENS1_29reduce_by_key_config_selectorIffN6thrust23THRUST_200600_302600_NS4plusIfEEEEZZNS1_33reduce_by_key_impl_wrapped_configILNS1_25lookback_scan_determinismE0ES3_S9_NS6_6detail15normal_iteratorINS6_10device_ptrIfEEEESG_SG_SG_PmS8_NS6_8equal_toIfEEEE10hipError_tPvRmT2_T3_mT4_T5_T6_T7_T8_P12ihipStream_tbENKUlT_T0_E_clISt17integral_constantIbLb1EES10_IbLb0EEEEDaSW_SX_EUlSW_E_NS1_11comp_targetILNS1_3genE9ELNS1_11target_archE1100ELNS1_3gpuE3ELNS1_3repE0EEENS1_30default_config_static_selectorELNS0_4arch9wavefront6targetE1EEEvT1_.kd
    .uniform_work_group_size: 1
    .uses_dynamic_stack: false
    .vgpr_count:     0
    .vgpr_spill_count: 0
    .wavefront_size: 64
  - .agpr_count:     0
    .args:
      - .offset:         0
        .size:           120
        .value_kind:     by_value
    .group_segment_fixed_size: 0
    .kernarg_segment_align: 8
    .kernarg_segment_size: 120
    .language:       OpenCL C
    .language_version:
      - 2
      - 0
    .max_flat_workgroup_size: 256
    .name:           _ZN7rocprim17ROCPRIM_400000_NS6detail17trampoline_kernelINS0_14default_configENS1_29reduce_by_key_config_selectorIffN6thrust23THRUST_200600_302600_NS4plusIfEEEEZZNS1_33reduce_by_key_impl_wrapped_configILNS1_25lookback_scan_determinismE0ES3_S9_NS6_6detail15normal_iteratorINS6_10device_ptrIfEEEESG_SG_SG_PmS8_NS6_8equal_toIfEEEE10hipError_tPvRmT2_T3_mT4_T5_T6_T7_T8_P12ihipStream_tbENKUlT_T0_E_clISt17integral_constantIbLb1EES10_IbLb0EEEEDaSW_SX_EUlSW_E_NS1_11comp_targetILNS1_3genE8ELNS1_11target_archE1030ELNS1_3gpuE2ELNS1_3repE0EEENS1_30default_config_static_selectorELNS0_4arch9wavefront6targetE1EEEvT1_
    .private_segment_fixed_size: 0
    .sgpr_count:     4
    .sgpr_spill_count: 0
    .symbol:         _ZN7rocprim17ROCPRIM_400000_NS6detail17trampoline_kernelINS0_14default_configENS1_29reduce_by_key_config_selectorIffN6thrust23THRUST_200600_302600_NS4plusIfEEEEZZNS1_33reduce_by_key_impl_wrapped_configILNS1_25lookback_scan_determinismE0ES3_S9_NS6_6detail15normal_iteratorINS6_10device_ptrIfEEEESG_SG_SG_PmS8_NS6_8equal_toIfEEEE10hipError_tPvRmT2_T3_mT4_T5_T6_T7_T8_P12ihipStream_tbENKUlT_T0_E_clISt17integral_constantIbLb1EES10_IbLb0EEEEDaSW_SX_EUlSW_E_NS1_11comp_targetILNS1_3genE8ELNS1_11target_archE1030ELNS1_3gpuE2ELNS1_3repE0EEENS1_30default_config_static_selectorELNS0_4arch9wavefront6targetE1EEEvT1_.kd
    .uniform_work_group_size: 1
    .uses_dynamic_stack: false
    .vgpr_count:     0
    .vgpr_spill_count: 0
    .wavefront_size: 64
  - .agpr_count:     0
    .args:
      - .offset:         0
        .size:           120
        .value_kind:     by_value
    .group_segment_fixed_size: 0
    .kernarg_segment_align: 8
    .kernarg_segment_size: 120
    .language:       OpenCL C
    .language_version:
      - 2
      - 0
    .max_flat_workgroup_size: 256
    .name:           _ZN7rocprim17ROCPRIM_400000_NS6detail17trampoline_kernelINS0_14default_configENS1_29reduce_by_key_config_selectorIffN6thrust23THRUST_200600_302600_NS4plusIfEEEEZZNS1_33reduce_by_key_impl_wrapped_configILNS1_25lookback_scan_determinismE0ES3_S9_NS6_6detail15normal_iteratorINS6_10device_ptrIfEEEESG_SG_SG_PmS8_NS6_8equal_toIfEEEE10hipError_tPvRmT2_T3_mT4_T5_T6_T7_T8_P12ihipStream_tbENKUlT_T0_E_clISt17integral_constantIbLb0EES10_IbLb1EEEEDaSW_SX_EUlSW_E_NS1_11comp_targetILNS1_3genE0ELNS1_11target_archE4294967295ELNS1_3gpuE0ELNS1_3repE0EEENS1_30default_config_static_selectorELNS0_4arch9wavefront6targetE1EEEvT1_
    .private_segment_fixed_size: 0
    .sgpr_count:     4
    .sgpr_spill_count: 0
    .symbol:         _ZN7rocprim17ROCPRIM_400000_NS6detail17trampoline_kernelINS0_14default_configENS1_29reduce_by_key_config_selectorIffN6thrust23THRUST_200600_302600_NS4plusIfEEEEZZNS1_33reduce_by_key_impl_wrapped_configILNS1_25lookback_scan_determinismE0ES3_S9_NS6_6detail15normal_iteratorINS6_10device_ptrIfEEEESG_SG_SG_PmS8_NS6_8equal_toIfEEEE10hipError_tPvRmT2_T3_mT4_T5_T6_T7_T8_P12ihipStream_tbENKUlT_T0_E_clISt17integral_constantIbLb0EES10_IbLb1EEEEDaSW_SX_EUlSW_E_NS1_11comp_targetILNS1_3genE0ELNS1_11target_archE4294967295ELNS1_3gpuE0ELNS1_3repE0EEENS1_30default_config_static_selectorELNS0_4arch9wavefront6targetE1EEEvT1_.kd
    .uniform_work_group_size: 1
    .uses_dynamic_stack: false
    .vgpr_count:     0
    .vgpr_spill_count: 0
    .wavefront_size: 64
  - .agpr_count:     0
    .args:
      - .offset:         0
        .size:           120
        .value_kind:     by_value
    .group_segment_fixed_size: 0
    .kernarg_segment_align: 8
    .kernarg_segment_size: 120
    .language:       OpenCL C
    .language_version:
      - 2
      - 0
    .max_flat_workgroup_size: 256
    .name:           _ZN7rocprim17ROCPRIM_400000_NS6detail17trampoline_kernelINS0_14default_configENS1_29reduce_by_key_config_selectorIffN6thrust23THRUST_200600_302600_NS4plusIfEEEEZZNS1_33reduce_by_key_impl_wrapped_configILNS1_25lookback_scan_determinismE0ES3_S9_NS6_6detail15normal_iteratorINS6_10device_ptrIfEEEESG_SG_SG_PmS8_NS6_8equal_toIfEEEE10hipError_tPvRmT2_T3_mT4_T5_T6_T7_T8_P12ihipStream_tbENKUlT_T0_E_clISt17integral_constantIbLb0EES10_IbLb1EEEEDaSW_SX_EUlSW_E_NS1_11comp_targetILNS1_3genE5ELNS1_11target_archE942ELNS1_3gpuE9ELNS1_3repE0EEENS1_30default_config_static_selectorELNS0_4arch9wavefront6targetE1EEEvT1_
    .private_segment_fixed_size: 0
    .sgpr_count:     4
    .sgpr_spill_count: 0
    .symbol:         _ZN7rocprim17ROCPRIM_400000_NS6detail17trampoline_kernelINS0_14default_configENS1_29reduce_by_key_config_selectorIffN6thrust23THRUST_200600_302600_NS4plusIfEEEEZZNS1_33reduce_by_key_impl_wrapped_configILNS1_25lookback_scan_determinismE0ES3_S9_NS6_6detail15normal_iteratorINS6_10device_ptrIfEEEESG_SG_SG_PmS8_NS6_8equal_toIfEEEE10hipError_tPvRmT2_T3_mT4_T5_T6_T7_T8_P12ihipStream_tbENKUlT_T0_E_clISt17integral_constantIbLb0EES10_IbLb1EEEEDaSW_SX_EUlSW_E_NS1_11comp_targetILNS1_3genE5ELNS1_11target_archE942ELNS1_3gpuE9ELNS1_3repE0EEENS1_30default_config_static_selectorELNS0_4arch9wavefront6targetE1EEEvT1_.kd
    .uniform_work_group_size: 1
    .uses_dynamic_stack: false
    .vgpr_count:     0
    .vgpr_spill_count: 0
    .wavefront_size: 64
  - .agpr_count:     0
    .args:
      - .offset:         0
        .size:           120
        .value_kind:     by_value
    .group_segment_fixed_size: 15360
    .kernarg_segment_align: 8
    .kernarg_segment_size: 120
    .language:       OpenCL C
    .language_version:
      - 2
      - 0
    .max_flat_workgroup_size: 256
    .name:           _ZN7rocprim17ROCPRIM_400000_NS6detail17trampoline_kernelINS0_14default_configENS1_29reduce_by_key_config_selectorIffN6thrust23THRUST_200600_302600_NS4plusIfEEEEZZNS1_33reduce_by_key_impl_wrapped_configILNS1_25lookback_scan_determinismE0ES3_S9_NS6_6detail15normal_iteratorINS6_10device_ptrIfEEEESG_SG_SG_PmS8_NS6_8equal_toIfEEEE10hipError_tPvRmT2_T3_mT4_T5_T6_T7_T8_P12ihipStream_tbENKUlT_T0_E_clISt17integral_constantIbLb0EES10_IbLb1EEEEDaSW_SX_EUlSW_E_NS1_11comp_targetILNS1_3genE4ELNS1_11target_archE910ELNS1_3gpuE8ELNS1_3repE0EEENS1_30default_config_static_selectorELNS0_4arch9wavefront6targetE1EEEvT1_
    .private_segment_fixed_size: 0
    .sgpr_count:     70
    .sgpr_spill_count: 0
    .symbol:         _ZN7rocprim17ROCPRIM_400000_NS6detail17trampoline_kernelINS0_14default_configENS1_29reduce_by_key_config_selectorIffN6thrust23THRUST_200600_302600_NS4plusIfEEEEZZNS1_33reduce_by_key_impl_wrapped_configILNS1_25lookback_scan_determinismE0ES3_S9_NS6_6detail15normal_iteratorINS6_10device_ptrIfEEEESG_SG_SG_PmS8_NS6_8equal_toIfEEEE10hipError_tPvRmT2_T3_mT4_T5_T6_T7_T8_P12ihipStream_tbENKUlT_T0_E_clISt17integral_constantIbLb0EES10_IbLb1EEEEDaSW_SX_EUlSW_E_NS1_11comp_targetILNS1_3genE4ELNS1_11target_archE910ELNS1_3gpuE8ELNS1_3repE0EEENS1_30default_config_static_selectorELNS0_4arch9wavefront6targetE1EEEvT1_.kd
    .uniform_work_group_size: 1
    .uses_dynamic_stack: false
    .vgpr_count:     106
    .vgpr_spill_count: 0
    .wavefront_size: 64
  - .agpr_count:     0
    .args:
      - .offset:         0
        .size:           120
        .value_kind:     by_value
    .group_segment_fixed_size: 0
    .kernarg_segment_align: 8
    .kernarg_segment_size: 120
    .language:       OpenCL C
    .language_version:
      - 2
      - 0
    .max_flat_workgroup_size: 256
    .name:           _ZN7rocprim17ROCPRIM_400000_NS6detail17trampoline_kernelINS0_14default_configENS1_29reduce_by_key_config_selectorIffN6thrust23THRUST_200600_302600_NS4plusIfEEEEZZNS1_33reduce_by_key_impl_wrapped_configILNS1_25lookback_scan_determinismE0ES3_S9_NS6_6detail15normal_iteratorINS6_10device_ptrIfEEEESG_SG_SG_PmS8_NS6_8equal_toIfEEEE10hipError_tPvRmT2_T3_mT4_T5_T6_T7_T8_P12ihipStream_tbENKUlT_T0_E_clISt17integral_constantIbLb0EES10_IbLb1EEEEDaSW_SX_EUlSW_E_NS1_11comp_targetILNS1_3genE3ELNS1_11target_archE908ELNS1_3gpuE7ELNS1_3repE0EEENS1_30default_config_static_selectorELNS0_4arch9wavefront6targetE1EEEvT1_
    .private_segment_fixed_size: 0
    .sgpr_count:     4
    .sgpr_spill_count: 0
    .symbol:         _ZN7rocprim17ROCPRIM_400000_NS6detail17trampoline_kernelINS0_14default_configENS1_29reduce_by_key_config_selectorIffN6thrust23THRUST_200600_302600_NS4plusIfEEEEZZNS1_33reduce_by_key_impl_wrapped_configILNS1_25lookback_scan_determinismE0ES3_S9_NS6_6detail15normal_iteratorINS6_10device_ptrIfEEEESG_SG_SG_PmS8_NS6_8equal_toIfEEEE10hipError_tPvRmT2_T3_mT4_T5_T6_T7_T8_P12ihipStream_tbENKUlT_T0_E_clISt17integral_constantIbLb0EES10_IbLb1EEEEDaSW_SX_EUlSW_E_NS1_11comp_targetILNS1_3genE3ELNS1_11target_archE908ELNS1_3gpuE7ELNS1_3repE0EEENS1_30default_config_static_selectorELNS0_4arch9wavefront6targetE1EEEvT1_.kd
    .uniform_work_group_size: 1
    .uses_dynamic_stack: false
    .vgpr_count:     0
    .vgpr_spill_count: 0
    .wavefront_size: 64
  - .agpr_count:     0
    .args:
      - .offset:         0
        .size:           120
        .value_kind:     by_value
    .group_segment_fixed_size: 0
    .kernarg_segment_align: 8
    .kernarg_segment_size: 120
    .language:       OpenCL C
    .language_version:
      - 2
      - 0
    .max_flat_workgroup_size: 256
    .name:           _ZN7rocprim17ROCPRIM_400000_NS6detail17trampoline_kernelINS0_14default_configENS1_29reduce_by_key_config_selectorIffN6thrust23THRUST_200600_302600_NS4plusIfEEEEZZNS1_33reduce_by_key_impl_wrapped_configILNS1_25lookback_scan_determinismE0ES3_S9_NS6_6detail15normal_iteratorINS6_10device_ptrIfEEEESG_SG_SG_PmS8_NS6_8equal_toIfEEEE10hipError_tPvRmT2_T3_mT4_T5_T6_T7_T8_P12ihipStream_tbENKUlT_T0_E_clISt17integral_constantIbLb0EES10_IbLb1EEEEDaSW_SX_EUlSW_E_NS1_11comp_targetILNS1_3genE2ELNS1_11target_archE906ELNS1_3gpuE6ELNS1_3repE0EEENS1_30default_config_static_selectorELNS0_4arch9wavefront6targetE1EEEvT1_
    .private_segment_fixed_size: 0
    .sgpr_count:     4
    .sgpr_spill_count: 0
    .symbol:         _ZN7rocprim17ROCPRIM_400000_NS6detail17trampoline_kernelINS0_14default_configENS1_29reduce_by_key_config_selectorIffN6thrust23THRUST_200600_302600_NS4plusIfEEEEZZNS1_33reduce_by_key_impl_wrapped_configILNS1_25lookback_scan_determinismE0ES3_S9_NS6_6detail15normal_iteratorINS6_10device_ptrIfEEEESG_SG_SG_PmS8_NS6_8equal_toIfEEEE10hipError_tPvRmT2_T3_mT4_T5_T6_T7_T8_P12ihipStream_tbENKUlT_T0_E_clISt17integral_constantIbLb0EES10_IbLb1EEEEDaSW_SX_EUlSW_E_NS1_11comp_targetILNS1_3genE2ELNS1_11target_archE906ELNS1_3gpuE6ELNS1_3repE0EEENS1_30default_config_static_selectorELNS0_4arch9wavefront6targetE1EEEvT1_.kd
    .uniform_work_group_size: 1
    .uses_dynamic_stack: false
    .vgpr_count:     0
    .vgpr_spill_count: 0
    .wavefront_size: 64
  - .agpr_count:     0
    .args:
      - .offset:         0
        .size:           120
        .value_kind:     by_value
    .group_segment_fixed_size: 0
    .kernarg_segment_align: 8
    .kernarg_segment_size: 120
    .language:       OpenCL C
    .language_version:
      - 2
      - 0
    .max_flat_workgroup_size: 256
    .name:           _ZN7rocprim17ROCPRIM_400000_NS6detail17trampoline_kernelINS0_14default_configENS1_29reduce_by_key_config_selectorIffN6thrust23THRUST_200600_302600_NS4plusIfEEEEZZNS1_33reduce_by_key_impl_wrapped_configILNS1_25lookback_scan_determinismE0ES3_S9_NS6_6detail15normal_iteratorINS6_10device_ptrIfEEEESG_SG_SG_PmS8_NS6_8equal_toIfEEEE10hipError_tPvRmT2_T3_mT4_T5_T6_T7_T8_P12ihipStream_tbENKUlT_T0_E_clISt17integral_constantIbLb0EES10_IbLb1EEEEDaSW_SX_EUlSW_E_NS1_11comp_targetILNS1_3genE10ELNS1_11target_archE1201ELNS1_3gpuE5ELNS1_3repE0EEENS1_30default_config_static_selectorELNS0_4arch9wavefront6targetE1EEEvT1_
    .private_segment_fixed_size: 0
    .sgpr_count:     4
    .sgpr_spill_count: 0
    .symbol:         _ZN7rocprim17ROCPRIM_400000_NS6detail17trampoline_kernelINS0_14default_configENS1_29reduce_by_key_config_selectorIffN6thrust23THRUST_200600_302600_NS4plusIfEEEEZZNS1_33reduce_by_key_impl_wrapped_configILNS1_25lookback_scan_determinismE0ES3_S9_NS6_6detail15normal_iteratorINS6_10device_ptrIfEEEESG_SG_SG_PmS8_NS6_8equal_toIfEEEE10hipError_tPvRmT2_T3_mT4_T5_T6_T7_T8_P12ihipStream_tbENKUlT_T0_E_clISt17integral_constantIbLb0EES10_IbLb1EEEEDaSW_SX_EUlSW_E_NS1_11comp_targetILNS1_3genE10ELNS1_11target_archE1201ELNS1_3gpuE5ELNS1_3repE0EEENS1_30default_config_static_selectorELNS0_4arch9wavefront6targetE1EEEvT1_.kd
    .uniform_work_group_size: 1
    .uses_dynamic_stack: false
    .vgpr_count:     0
    .vgpr_spill_count: 0
    .wavefront_size: 64
  - .agpr_count:     0
    .args:
      - .offset:         0
        .size:           120
        .value_kind:     by_value
    .group_segment_fixed_size: 0
    .kernarg_segment_align: 8
    .kernarg_segment_size: 120
    .language:       OpenCL C
    .language_version:
      - 2
      - 0
    .max_flat_workgroup_size: 256
    .name:           _ZN7rocprim17ROCPRIM_400000_NS6detail17trampoline_kernelINS0_14default_configENS1_29reduce_by_key_config_selectorIffN6thrust23THRUST_200600_302600_NS4plusIfEEEEZZNS1_33reduce_by_key_impl_wrapped_configILNS1_25lookback_scan_determinismE0ES3_S9_NS6_6detail15normal_iteratorINS6_10device_ptrIfEEEESG_SG_SG_PmS8_NS6_8equal_toIfEEEE10hipError_tPvRmT2_T3_mT4_T5_T6_T7_T8_P12ihipStream_tbENKUlT_T0_E_clISt17integral_constantIbLb0EES10_IbLb1EEEEDaSW_SX_EUlSW_E_NS1_11comp_targetILNS1_3genE10ELNS1_11target_archE1200ELNS1_3gpuE4ELNS1_3repE0EEENS1_30default_config_static_selectorELNS0_4arch9wavefront6targetE1EEEvT1_
    .private_segment_fixed_size: 0
    .sgpr_count:     4
    .sgpr_spill_count: 0
    .symbol:         _ZN7rocprim17ROCPRIM_400000_NS6detail17trampoline_kernelINS0_14default_configENS1_29reduce_by_key_config_selectorIffN6thrust23THRUST_200600_302600_NS4plusIfEEEEZZNS1_33reduce_by_key_impl_wrapped_configILNS1_25lookback_scan_determinismE0ES3_S9_NS6_6detail15normal_iteratorINS6_10device_ptrIfEEEESG_SG_SG_PmS8_NS6_8equal_toIfEEEE10hipError_tPvRmT2_T3_mT4_T5_T6_T7_T8_P12ihipStream_tbENKUlT_T0_E_clISt17integral_constantIbLb0EES10_IbLb1EEEEDaSW_SX_EUlSW_E_NS1_11comp_targetILNS1_3genE10ELNS1_11target_archE1200ELNS1_3gpuE4ELNS1_3repE0EEENS1_30default_config_static_selectorELNS0_4arch9wavefront6targetE1EEEvT1_.kd
    .uniform_work_group_size: 1
    .uses_dynamic_stack: false
    .vgpr_count:     0
    .vgpr_spill_count: 0
    .wavefront_size: 64
  - .agpr_count:     0
    .args:
      - .offset:         0
        .size:           120
        .value_kind:     by_value
    .group_segment_fixed_size: 0
    .kernarg_segment_align: 8
    .kernarg_segment_size: 120
    .language:       OpenCL C
    .language_version:
      - 2
      - 0
    .max_flat_workgroup_size: 256
    .name:           _ZN7rocprim17ROCPRIM_400000_NS6detail17trampoline_kernelINS0_14default_configENS1_29reduce_by_key_config_selectorIffN6thrust23THRUST_200600_302600_NS4plusIfEEEEZZNS1_33reduce_by_key_impl_wrapped_configILNS1_25lookback_scan_determinismE0ES3_S9_NS6_6detail15normal_iteratorINS6_10device_ptrIfEEEESG_SG_SG_PmS8_NS6_8equal_toIfEEEE10hipError_tPvRmT2_T3_mT4_T5_T6_T7_T8_P12ihipStream_tbENKUlT_T0_E_clISt17integral_constantIbLb0EES10_IbLb1EEEEDaSW_SX_EUlSW_E_NS1_11comp_targetILNS1_3genE9ELNS1_11target_archE1100ELNS1_3gpuE3ELNS1_3repE0EEENS1_30default_config_static_selectorELNS0_4arch9wavefront6targetE1EEEvT1_
    .private_segment_fixed_size: 0
    .sgpr_count:     4
    .sgpr_spill_count: 0
    .symbol:         _ZN7rocprim17ROCPRIM_400000_NS6detail17trampoline_kernelINS0_14default_configENS1_29reduce_by_key_config_selectorIffN6thrust23THRUST_200600_302600_NS4plusIfEEEEZZNS1_33reduce_by_key_impl_wrapped_configILNS1_25lookback_scan_determinismE0ES3_S9_NS6_6detail15normal_iteratorINS6_10device_ptrIfEEEESG_SG_SG_PmS8_NS6_8equal_toIfEEEE10hipError_tPvRmT2_T3_mT4_T5_T6_T7_T8_P12ihipStream_tbENKUlT_T0_E_clISt17integral_constantIbLb0EES10_IbLb1EEEEDaSW_SX_EUlSW_E_NS1_11comp_targetILNS1_3genE9ELNS1_11target_archE1100ELNS1_3gpuE3ELNS1_3repE0EEENS1_30default_config_static_selectorELNS0_4arch9wavefront6targetE1EEEvT1_.kd
    .uniform_work_group_size: 1
    .uses_dynamic_stack: false
    .vgpr_count:     0
    .vgpr_spill_count: 0
    .wavefront_size: 64
  - .agpr_count:     0
    .args:
      - .offset:         0
        .size:           120
        .value_kind:     by_value
    .group_segment_fixed_size: 0
    .kernarg_segment_align: 8
    .kernarg_segment_size: 120
    .language:       OpenCL C
    .language_version:
      - 2
      - 0
    .max_flat_workgroup_size: 256
    .name:           _ZN7rocprim17ROCPRIM_400000_NS6detail17trampoline_kernelINS0_14default_configENS1_29reduce_by_key_config_selectorIffN6thrust23THRUST_200600_302600_NS4plusIfEEEEZZNS1_33reduce_by_key_impl_wrapped_configILNS1_25lookback_scan_determinismE0ES3_S9_NS6_6detail15normal_iteratorINS6_10device_ptrIfEEEESG_SG_SG_PmS8_NS6_8equal_toIfEEEE10hipError_tPvRmT2_T3_mT4_T5_T6_T7_T8_P12ihipStream_tbENKUlT_T0_E_clISt17integral_constantIbLb0EES10_IbLb1EEEEDaSW_SX_EUlSW_E_NS1_11comp_targetILNS1_3genE8ELNS1_11target_archE1030ELNS1_3gpuE2ELNS1_3repE0EEENS1_30default_config_static_selectorELNS0_4arch9wavefront6targetE1EEEvT1_
    .private_segment_fixed_size: 0
    .sgpr_count:     4
    .sgpr_spill_count: 0
    .symbol:         _ZN7rocprim17ROCPRIM_400000_NS6detail17trampoline_kernelINS0_14default_configENS1_29reduce_by_key_config_selectorIffN6thrust23THRUST_200600_302600_NS4plusIfEEEEZZNS1_33reduce_by_key_impl_wrapped_configILNS1_25lookback_scan_determinismE0ES3_S9_NS6_6detail15normal_iteratorINS6_10device_ptrIfEEEESG_SG_SG_PmS8_NS6_8equal_toIfEEEE10hipError_tPvRmT2_T3_mT4_T5_T6_T7_T8_P12ihipStream_tbENKUlT_T0_E_clISt17integral_constantIbLb0EES10_IbLb1EEEEDaSW_SX_EUlSW_E_NS1_11comp_targetILNS1_3genE8ELNS1_11target_archE1030ELNS1_3gpuE2ELNS1_3repE0EEENS1_30default_config_static_selectorELNS0_4arch9wavefront6targetE1EEEvT1_.kd
    .uniform_work_group_size: 1
    .uses_dynamic_stack: false
    .vgpr_count:     0
    .vgpr_spill_count: 0
    .wavefront_size: 64
  - .agpr_count:     0
    .args:
      - .offset:         0
        .size:           120
        .value_kind:     by_value
    .group_segment_fixed_size: 0
    .kernarg_segment_align: 8
    .kernarg_segment_size: 120
    .language:       OpenCL C
    .language_version:
      - 2
      - 0
    .max_flat_workgroup_size: 256
    .name:           _ZN7rocprim17ROCPRIM_400000_NS6detail17trampoline_kernelINS0_14default_configENS1_29reduce_by_key_config_selectorIffN6thrust23THRUST_200600_302600_NS4plusIfEEEEZZNS1_33reduce_by_key_impl_wrapped_configILNS1_25lookback_scan_determinismE0ES3_S9_NS6_6detail15normal_iteratorINS6_10device_ptrIfEEEESG_SG_SG_PmS8_22is_equal_div_10_reduceIfEEE10hipError_tPvRmT2_T3_mT4_T5_T6_T7_T8_P12ihipStream_tbENKUlT_T0_E_clISt17integral_constantIbLb0EES11_EEDaSW_SX_EUlSW_E_NS1_11comp_targetILNS1_3genE0ELNS1_11target_archE4294967295ELNS1_3gpuE0ELNS1_3repE0EEENS1_30default_config_static_selectorELNS0_4arch9wavefront6targetE1EEEvT1_
    .private_segment_fixed_size: 0
    .sgpr_count:     4
    .sgpr_spill_count: 0
    .symbol:         _ZN7rocprim17ROCPRIM_400000_NS6detail17trampoline_kernelINS0_14default_configENS1_29reduce_by_key_config_selectorIffN6thrust23THRUST_200600_302600_NS4plusIfEEEEZZNS1_33reduce_by_key_impl_wrapped_configILNS1_25lookback_scan_determinismE0ES3_S9_NS6_6detail15normal_iteratorINS6_10device_ptrIfEEEESG_SG_SG_PmS8_22is_equal_div_10_reduceIfEEE10hipError_tPvRmT2_T3_mT4_T5_T6_T7_T8_P12ihipStream_tbENKUlT_T0_E_clISt17integral_constantIbLb0EES11_EEDaSW_SX_EUlSW_E_NS1_11comp_targetILNS1_3genE0ELNS1_11target_archE4294967295ELNS1_3gpuE0ELNS1_3repE0EEENS1_30default_config_static_selectorELNS0_4arch9wavefront6targetE1EEEvT1_.kd
    .uniform_work_group_size: 1
    .uses_dynamic_stack: false
    .vgpr_count:     0
    .vgpr_spill_count: 0
    .wavefront_size: 64
  - .agpr_count:     0
    .args:
      - .offset:         0
        .size:           120
        .value_kind:     by_value
    .group_segment_fixed_size: 0
    .kernarg_segment_align: 8
    .kernarg_segment_size: 120
    .language:       OpenCL C
    .language_version:
      - 2
      - 0
    .max_flat_workgroup_size: 256
    .name:           _ZN7rocprim17ROCPRIM_400000_NS6detail17trampoline_kernelINS0_14default_configENS1_29reduce_by_key_config_selectorIffN6thrust23THRUST_200600_302600_NS4plusIfEEEEZZNS1_33reduce_by_key_impl_wrapped_configILNS1_25lookback_scan_determinismE0ES3_S9_NS6_6detail15normal_iteratorINS6_10device_ptrIfEEEESG_SG_SG_PmS8_22is_equal_div_10_reduceIfEEE10hipError_tPvRmT2_T3_mT4_T5_T6_T7_T8_P12ihipStream_tbENKUlT_T0_E_clISt17integral_constantIbLb0EES11_EEDaSW_SX_EUlSW_E_NS1_11comp_targetILNS1_3genE5ELNS1_11target_archE942ELNS1_3gpuE9ELNS1_3repE0EEENS1_30default_config_static_selectorELNS0_4arch9wavefront6targetE1EEEvT1_
    .private_segment_fixed_size: 0
    .sgpr_count:     4
    .sgpr_spill_count: 0
    .symbol:         _ZN7rocprim17ROCPRIM_400000_NS6detail17trampoline_kernelINS0_14default_configENS1_29reduce_by_key_config_selectorIffN6thrust23THRUST_200600_302600_NS4plusIfEEEEZZNS1_33reduce_by_key_impl_wrapped_configILNS1_25lookback_scan_determinismE0ES3_S9_NS6_6detail15normal_iteratorINS6_10device_ptrIfEEEESG_SG_SG_PmS8_22is_equal_div_10_reduceIfEEE10hipError_tPvRmT2_T3_mT4_T5_T6_T7_T8_P12ihipStream_tbENKUlT_T0_E_clISt17integral_constantIbLb0EES11_EEDaSW_SX_EUlSW_E_NS1_11comp_targetILNS1_3genE5ELNS1_11target_archE942ELNS1_3gpuE9ELNS1_3repE0EEENS1_30default_config_static_selectorELNS0_4arch9wavefront6targetE1EEEvT1_.kd
    .uniform_work_group_size: 1
    .uses_dynamic_stack: false
    .vgpr_count:     0
    .vgpr_spill_count: 0
    .wavefront_size: 64
  - .agpr_count:     0
    .args:
      - .offset:         0
        .size:           120
        .value_kind:     by_value
    .group_segment_fixed_size: 15360
    .kernarg_segment_align: 8
    .kernarg_segment_size: 120
    .language:       OpenCL C
    .language_version:
      - 2
      - 0
    .max_flat_workgroup_size: 256
    .name:           _ZN7rocprim17ROCPRIM_400000_NS6detail17trampoline_kernelINS0_14default_configENS1_29reduce_by_key_config_selectorIffN6thrust23THRUST_200600_302600_NS4plusIfEEEEZZNS1_33reduce_by_key_impl_wrapped_configILNS1_25lookback_scan_determinismE0ES3_S9_NS6_6detail15normal_iteratorINS6_10device_ptrIfEEEESG_SG_SG_PmS8_22is_equal_div_10_reduceIfEEE10hipError_tPvRmT2_T3_mT4_T5_T6_T7_T8_P12ihipStream_tbENKUlT_T0_E_clISt17integral_constantIbLb0EES11_EEDaSW_SX_EUlSW_E_NS1_11comp_targetILNS1_3genE4ELNS1_11target_archE910ELNS1_3gpuE8ELNS1_3repE0EEENS1_30default_config_static_selectorELNS0_4arch9wavefront6targetE1EEEvT1_
    .private_segment_fixed_size: 0
    .sgpr_count:     68
    .sgpr_spill_count: 0
    .symbol:         _ZN7rocprim17ROCPRIM_400000_NS6detail17trampoline_kernelINS0_14default_configENS1_29reduce_by_key_config_selectorIffN6thrust23THRUST_200600_302600_NS4plusIfEEEEZZNS1_33reduce_by_key_impl_wrapped_configILNS1_25lookback_scan_determinismE0ES3_S9_NS6_6detail15normal_iteratorINS6_10device_ptrIfEEEESG_SG_SG_PmS8_22is_equal_div_10_reduceIfEEE10hipError_tPvRmT2_T3_mT4_T5_T6_T7_T8_P12ihipStream_tbENKUlT_T0_E_clISt17integral_constantIbLb0EES11_EEDaSW_SX_EUlSW_E_NS1_11comp_targetILNS1_3genE4ELNS1_11target_archE910ELNS1_3gpuE8ELNS1_3repE0EEENS1_30default_config_static_selectorELNS0_4arch9wavefront6targetE1EEEvT1_.kd
    .uniform_work_group_size: 1
    .uses_dynamic_stack: false
    .vgpr_count:     106
    .vgpr_spill_count: 0
    .wavefront_size: 64
  - .agpr_count:     0
    .args:
      - .offset:         0
        .size:           120
        .value_kind:     by_value
    .group_segment_fixed_size: 0
    .kernarg_segment_align: 8
    .kernarg_segment_size: 120
    .language:       OpenCL C
    .language_version:
      - 2
      - 0
    .max_flat_workgroup_size: 256
    .name:           _ZN7rocprim17ROCPRIM_400000_NS6detail17trampoline_kernelINS0_14default_configENS1_29reduce_by_key_config_selectorIffN6thrust23THRUST_200600_302600_NS4plusIfEEEEZZNS1_33reduce_by_key_impl_wrapped_configILNS1_25lookback_scan_determinismE0ES3_S9_NS6_6detail15normal_iteratorINS6_10device_ptrIfEEEESG_SG_SG_PmS8_22is_equal_div_10_reduceIfEEE10hipError_tPvRmT2_T3_mT4_T5_T6_T7_T8_P12ihipStream_tbENKUlT_T0_E_clISt17integral_constantIbLb0EES11_EEDaSW_SX_EUlSW_E_NS1_11comp_targetILNS1_3genE3ELNS1_11target_archE908ELNS1_3gpuE7ELNS1_3repE0EEENS1_30default_config_static_selectorELNS0_4arch9wavefront6targetE1EEEvT1_
    .private_segment_fixed_size: 0
    .sgpr_count:     4
    .sgpr_spill_count: 0
    .symbol:         _ZN7rocprim17ROCPRIM_400000_NS6detail17trampoline_kernelINS0_14default_configENS1_29reduce_by_key_config_selectorIffN6thrust23THRUST_200600_302600_NS4plusIfEEEEZZNS1_33reduce_by_key_impl_wrapped_configILNS1_25lookback_scan_determinismE0ES3_S9_NS6_6detail15normal_iteratorINS6_10device_ptrIfEEEESG_SG_SG_PmS8_22is_equal_div_10_reduceIfEEE10hipError_tPvRmT2_T3_mT4_T5_T6_T7_T8_P12ihipStream_tbENKUlT_T0_E_clISt17integral_constantIbLb0EES11_EEDaSW_SX_EUlSW_E_NS1_11comp_targetILNS1_3genE3ELNS1_11target_archE908ELNS1_3gpuE7ELNS1_3repE0EEENS1_30default_config_static_selectorELNS0_4arch9wavefront6targetE1EEEvT1_.kd
    .uniform_work_group_size: 1
    .uses_dynamic_stack: false
    .vgpr_count:     0
    .vgpr_spill_count: 0
    .wavefront_size: 64
  - .agpr_count:     0
    .args:
      - .offset:         0
        .size:           120
        .value_kind:     by_value
    .group_segment_fixed_size: 0
    .kernarg_segment_align: 8
    .kernarg_segment_size: 120
    .language:       OpenCL C
    .language_version:
      - 2
      - 0
    .max_flat_workgroup_size: 256
    .name:           _ZN7rocprim17ROCPRIM_400000_NS6detail17trampoline_kernelINS0_14default_configENS1_29reduce_by_key_config_selectorIffN6thrust23THRUST_200600_302600_NS4plusIfEEEEZZNS1_33reduce_by_key_impl_wrapped_configILNS1_25lookback_scan_determinismE0ES3_S9_NS6_6detail15normal_iteratorINS6_10device_ptrIfEEEESG_SG_SG_PmS8_22is_equal_div_10_reduceIfEEE10hipError_tPvRmT2_T3_mT4_T5_T6_T7_T8_P12ihipStream_tbENKUlT_T0_E_clISt17integral_constantIbLb0EES11_EEDaSW_SX_EUlSW_E_NS1_11comp_targetILNS1_3genE2ELNS1_11target_archE906ELNS1_3gpuE6ELNS1_3repE0EEENS1_30default_config_static_selectorELNS0_4arch9wavefront6targetE1EEEvT1_
    .private_segment_fixed_size: 0
    .sgpr_count:     4
    .sgpr_spill_count: 0
    .symbol:         _ZN7rocprim17ROCPRIM_400000_NS6detail17trampoline_kernelINS0_14default_configENS1_29reduce_by_key_config_selectorIffN6thrust23THRUST_200600_302600_NS4plusIfEEEEZZNS1_33reduce_by_key_impl_wrapped_configILNS1_25lookback_scan_determinismE0ES3_S9_NS6_6detail15normal_iteratorINS6_10device_ptrIfEEEESG_SG_SG_PmS8_22is_equal_div_10_reduceIfEEE10hipError_tPvRmT2_T3_mT4_T5_T6_T7_T8_P12ihipStream_tbENKUlT_T0_E_clISt17integral_constantIbLb0EES11_EEDaSW_SX_EUlSW_E_NS1_11comp_targetILNS1_3genE2ELNS1_11target_archE906ELNS1_3gpuE6ELNS1_3repE0EEENS1_30default_config_static_selectorELNS0_4arch9wavefront6targetE1EEEvT1_.kd
    .uniform_work_group_size: 1
    .uses_dynamic_stack: false
    .vgpr_count:     0
    .vgpr_spill_count: 0
    .wavefront_size: 64
  - .agpr_count:     0
    .args:
      - .offset:         0
        .size:           120
        .value_kind:     by_value
    .group_segment_fixed_size: 0
    .kernarg_segment_align: 8
    .kernarg_segment_size: 120
    .language:       OpenCL C
    .language_version:
      - 2
      - 0
    .max_flat_workgroup_size: 256
    .name:           _ZN7rocprim17ROCPRIM_400000_NS6detail17trampoline_kernelINS0_14default_configENS1_29reduce_by_key_config_selectorIffN6thrust23THRUST_200600_302600_NS4plusIfEEEEZZNS1_33reduce_by_key_impl_wrapped_configILNS1_25lookback_scan_determinismE0ES3_S9_NS6_6detail15normal_iteratorINS6_10device_ptrIfEEEESG_SG_SG_PmS8_22is_equal_div_10_reduceIfEEE10hipError_tPvRmT2_T3_mT4_T5_T6_T7_T8_P12ihipStream_tbENKUlT_T0_E_clISt17integral_constantIbLb0EES11_EEDaSW_SX_EUlSW_E_NS1_11comp_targetILNS1_3genE10ELNS1_11target_archE1201ELNS1_3gpuE5ELNS1_3repE0EEENS1_30default_config_static_selectorELNS0_4arch9wavefront6targetE1EEEvT1_
    .private_segment_fixed_size: 0
    .sgpr_count:     4
    .sgpr_spill_count: 0
    .symbol:         _ZN7rocprim17ROCPRIM_400000_NS6detail17trampoline_kernelINS0_14default_configENS1_29reduce_by_key_config_selectorIffN6thrust23THRUST_200600_302600_NS4plusIfEEEEZZNS1_33reduce_by_key_impl_wrapped_configILNS1_25lookback_scan_determinismE0ES3_S9_NS6_6detail15normal_iteratorINS6_10device_ptrIfEEEESG_SG_SG_PmS8_22is_equal_div_10_reduceIfEEE10hipError_tPvRmT2_T3_mT4_T5_T6_T7_T8_P12ihipStream_tbENKUlT_T0_E_clISt17integral_constantIbLb0EES11_EEDaSW_SX_EUlSW_E_NS1_11comp_targetILNS1_3genE10ELNS1_11target_archE1201ELNS1_3gpuE5ELNS1_3repE0EEENS1_30default_config_static_selectorELNS0_4arch9wavefront6targetE1EEEvT1_.kd
    .uniform_work_group_size: 1
    .uses_dynamic_stack: false
    .vgpr_count:     0
    .vgpr_spill_count: 0
    .wavefront_size: 64
  - .agpr_count:     0
    .args:
      - .offset:         0
        .size:           120
        .value_kind:     by_value
    .group_segment_fixed_size: 0
    .kernarg_segment_align: 8
    .kernarg_segment_size: 120
    .language:       OpenCL C
    .language_version:
      - 2
      - 0
    .max_flat_workgroup_size: 256
    .name:           _ZN7rocprim17ROCPRIM_400000_NS6detail17trampoline_kernelINS0_14default_configENS1_29reduce_by_key_config_selectorIffN6thrust23THRUST_200600_302600_NS4plusIfEEEEZZNS1_33reduce_by_key_impl_wrapped_configILNS1_25lookback_scan_determinismE0ES3_S9_NS6_6detail15normal_iteratorINS6_10device_ptrIfEEEESG_SG_SG_PmS8_22is_equal_div_10_reduceIfEEE10hipError_tPvRmT2_T3_mT4_T5_T6_T7_T8_P12ihipStream_tbENKUlT_T0_E_clISt17integral_constantIbLb0EES11_EEDaSW_SX_EUlSW_E_NS1_11comp_targetILNS1_3genE10ELNS1_11target_archE1200ELNS1_3gpuE4ELNS1_3repE0EEENS1_30default_config_static_selectorELNS0_4arch9wavefront6targetE1EEEvT1_
    .private_segment_fixed_size: 0
    .sgpr_count:     4
    .sgpr_spill_count: 0
    .symbol:         _ZN7rocprim17ROCPRIM_400000_NS6detail17trampoline_kernelINS0_14default_configENS1_29reduce_by_key_config_selectorIffN6thrust23THRUST_200600_302600_NS4plusIfEEEEZZNS1_33reduce_by_key_impl_wrapped_configILNS1_25lookback_scan_determinismE0ES3_S9_NS6_6detail15normal_iteratorINS6_10device_ptrIfEEEESG_SG_SG_PmS8_22is_equal_div_10_reduceIfEEE10hipError_tPvRmT2_T3_mT4_T5_T6_T7_T8_P12ihipStream_tbENKUlT_T0_E_clISt17integral_constantIbLb0EES11_EEDaSW_SX_EUlSW_E_NS1_11comp_targetILNS1_3genE10ELNS1_11target_archE1200ELNS1_3gpuE4ELNS1_3repE0EEENS1_30default_config_static_selectorELNS0_4arch9wavefront6targetE1EEEvT1_.kd
    .uniform_work_group_size: 1
    .uses_dynamic_stack: false
    .vgpr_count:     0
    .vgpr_spill_count: 0
    .wavefront_size: 64
  - .agpr_count:     0
    .args:
      - .offset:         0
        .size:           120
        .value_kind:     by_value
    .group_segment_fixed_size: 0
    .kernarg_segment_align: 8
    .kernarg_segment_size: 120
    .language:       OpenCL C
    .language_version:
      - 2
      - 0
    .max_flat_workgroup_size: 256
    .name:           _ZN7rocprim17ROCPRIM_400000_NS6detail17trampoline_kernelINS0_14default_configENS1_29reduce_by_key_config_selectorIffN6thrust23THRUST_200600_302600_NS4plusIfEEEEZZNS1_33reduce_by_key_impl_wrapped_configILNS1_25lookback_scan_determinismE0ES3_S9_NS6_6detail15normal_iteratorINS6_10device_ptrIfEEEESG_SG_SG_PmS8_22is_equal_div_10_reduceIfEEE10hipError_tPvRmT2_T3_mT4_T5_T6_T7_T8_P12ihipStream_tbENKUlT_T0_E_clISt17integral_constantIbLb0EES11_EEDaSW_SX_EUlSW_E_NS1_11comp_targetILNS1_3genE9ELNS1_11target_archE1100ELNS1_3gpuE3ELNS1_3repE0EEENS1_30default_config_static_selectorELNS0_4arch9wavefront6targetE1EEEvT1_
    .private_segment_fixed_size: 0
    .sgpr_count:     4
    .sgpr_spill_count: 0
    .symbol:         _ZN7rocprim17ROCPRIM_400000_NS6detail17trampoline_kernelINS0_14default_configENS1_29reduce_by_key_config_selectorIffN6thrust23THRUST_200600_302600_NS4plusIfEEEEZZNS1_33reduce_by_key_impl_wrapped_configILNS1_25lookback_scan_determinismE0ES3_S9_NS6_6detail15normal_iteratorINS6_10device_ptrIfEEEESG_SG_SG_PmS8_22is_equal_div_10_reduceIfEEE10hipError_tPvRmT2_T3_mT4_T5_T6_T7_T8_P12ihipStream_tbENKUlT_T0_E_clISt17integral_constantIbLb0EES11_EEDaSW_SX_EUlSW_E_NS1_11comp_targetILNS1_3genE9ELNS1_11target_archE1100ELNS1_3gpuE3ELNS1_3repE0EEENS1_30default_config_static_selectorELNS0_4arch9wavefront6targetE1EEEvT1_.kd
    .uniform_work_group_size: 1
    .uses_dynamic_stack: false
    .vgpr_count:     0
    .vgpr_spill_count: 0
    .wavefront_size: 64
  - .agpr_count:     0
    .args:
      - .offset:         0
        .size:           120
        .value_kind:     by_value
    .group_segment_fixed_size: 0
    .kernarg_segment_align: 8
    .kernarg_segment_size: 120
    .language:       OpenCL C
    .language_version:
      - 2
      - 0
    .max_flat_workgroup_size: 256
    .name:           _ZN7rocprim17ROCPRIM_400000_NS6detail17trampoline_kernelINS0_14default_configENS1_29reduce_by_key_config_selectorIffN6thrust23THRUST_200600_302600_NS4plusIfEEEEZZNS1_33reduce_by_key_impl_wrapped_configILNS1_25lookback_scan_determinismE0ES3_S9_NS6_6detail15normal_iteratorINS6_10device_ptrIfEEEESG_SG_SG_PmS8_22is_equal_div_10_reduceIfEEE10hipError_tPvRmT2_T3_mT4_T5_T6_T7_T8_P12ihipStream_tbENKUlT_T0_E_clISt17integral_constantIbLb0EES11_EEDaSW_SX_EUlSW_E_NS1_11comp_targetILNS1_3genE8ELNS1_11target_archE1030ELNS1_3gpuE2ELNS1_3repE0EEENS1_30default_config_static_selectorELNS0_4arch9wavefront6targetE1EEEvT1_
    .private_segment_fixed_size: 0
    .sgpr_count:     4
    .sgpr_spill_count: 0
    .symbol:         _ZN7rocprim17ROCPRIM_400000_NS6detail17trampoline_kernelINS0_14default_configENS1_29reduce_by_key_config_selectorIffN6thrust23THRUST_200600_302600_NS4plusIfEEEEZZNS1_33reduce_by_key_impl_wrapped_configILNS1_25lookback_scan_determinismE0ES3_S9_NS6_6detail15normal_iteratorINS6_10device_ptrIfEEEESG_SG_SG_PmS8_22is_equal_div_10_reduceIfEEE10hipError_tPvRmT2_T3_mT4_T5_T6_T7_T8_P12ihipStream_tbENKUlT_T0_E_clISt17integral_constantIbLb0EES11_EEDaSW_SX_EUlSW_E_NS1_11comp_targetILNS1_3genE8ELNS1_11target_archE1030ELNS1_3gpuE2ELNS1_3repE0EEENS1_30default_config_static_selectorELNS0_4arch9wavefront6targetE1EEEvT1_.kd
    .uniform_work_group_size: 1
    .uses_dynamic_stack: false
    .vgpr_count:     0
    .vgpr_spill_count: 0
    .wavefront_size: 64
  - .agpr_count:     0
    .args:
      - .offset:         0
        .size:           120
        .value_kind:     by_value
    .group_segment_fixed_size: 0
    .kernarg_segment_align: 8
    .kernarg_segment_size: 120
    .language:       OpenCL C
    .language_version:
      - 2
      - 0
    .max_flat_workgroup_size: 256
    .name:           _ZN7rocprim17ROCPRIM_400000_NS6detail17trampoline_kernelINS0_14default_configENS1_29reduce_by_key_config_selectorIffN6thrust23THRUST_200600_302600_NS4plusIfEEEEZZNS1_33reduce_by_key_impl_wrapped_configILNS1_25lookback_scan_determinismE0ES3_S9_NS6_6detail15normal_iteratorINS6_10device_ptrIfEEEESG_SG_SG_PmS8_22is_equal_div_10_reduceIfEEE10hipError_tPvRmT2_T3_mT4_T5_T6_T7_T8_P12ihipStream_tbENKUlT_T0_E_clISt17integral_constantIbLb1EES11_EEDaSW_SX_EUlSW_E_NS1_11comp_targetILNS1_3genE0ELNS1_11target_archE4294967295ELNS1_3gpuE0ELNS1_3repE0EEENS1_30default_config_static_selectorELNS0_4arch9wavefront6targetE1EEEvT1_
    .private_segment_fixed_size: 0
    .sgpr_count:     4
    .sgpr_spill_count: 0
    .symbol:         _ZN7rocprim17ROCPRIM_400000_NS6detail17trampoline_kernelINS0_14default_configENS1_29reduce_by_key_config_selectorIffN6thrust23THRUST_200600_302600_NS4plusIfEEEEZZNS1_33reduce_by_key_impl_wrapped_configILNS1_25lookback_scan_determinismE0ES3_S9_NS6_6detail15normal_iteratorINS6_10device_ptrIfEEEESG_SG_SG_PmS8_22is_equal_div_10_reduceIfEEE10hipError_tPvRmT2_T3_mT4_T5_T6_T7_T8_P12ihipStream_tbENKUlT_T0_E_clISt17integral_constantIbLb1EES11_EEDaSW_SX_EUlSW_E_NS1_11comp_targetILNS1_3genE0ELNS1_11target_archE4294967295ELNS1_3gpuE0ELNS1_3repE0EEENS1_30default_config_static_selectorELNS0_4arch9wavefront6targetE1EEEvT1_.kd
    .uniform_work_group_size: 1
    .uses_dynamic_stack: false
    .vgpr_count:     0
    .vgpr_spill_count: 0
    .wavefront_size: 64
  - .agpr_count:     0
    .args:
      - .offset:         0
        .size:           120
        .value_kind:     by_value
    .group_segment_fixed_size: 0
    .kernarg_segment_align: 8
    .kernarg_segment_size: 120
    .language:       OpenCL C
    .language_version:
      - 2
      - 0
    .max_flat_workgroup_size: 256
    .name:           _ZN7rocprim17ROCPRIM_400000_NS6detail17trampoline_kernelINS0_14default_configENS1_29reduce_by_key_config_selectorIffN6thrust23THRUST_200600_302600_NS4plusIfEEEEZZNS1_33reduce_by_key_impl_wrapped_configILNS1_25lookback_scan_determinismE0ES3_S9_NS6_6detail15normal_iteratorINS6_10device_ptrIfEEEESG_SG_SG_PmS8_22is_equal_div_10_reduceIfEEE10hipError_tPvRmT2_T3_mT4_T5_T6_T7_T8_P12ihipStream_tbENKUlT_T0_E_clISt17integral_constantIbLb1EES11_EEDaSW_SX_EUlSW_E_NS1_11comp_targetILNS1_3genE5ELNS1_11target_archE942ELNS1_3gpuE9ELNS1_3repE0EEENS1_30default_config_static_selectorELNS0_4arch9wavefront6targetE1EEEvT1_
    .private_segment_fixed_size: 0
    .sgpr_count:     4
    .sgpr_spill_count: 0
    .symbol:         _ZN7rocprim17ROCPRIM_400000_NS6detail17trampoline_kernelINS0_14default_configENS1_29reduce_by_key_config_selectorIffN6thrust23THRUST_200600_302600_NS4plusIfEEEEZZNS1_33reduce_by_key_impl_wrapped_configILNS1_25lookback_scan_determinismE0ES3_S9_NS6_6detail15normal_iteratorINS6_10device_ptrIfEEEESG_SG_SG_PmS8_22is_equal_div_10_reduceIfEEE10hipError_tPvRmT2_T3_mT4_T5_T6_T7_T8_P12ihipStream_tbENKUlT_T0_E_clISt17integral_constantIbLb1EES11_EEDaSW_SX_EUlSW_E_NS1_11comp_targetILNS1_3genE5ELNS1_11target_archE942ELNS1_3gpuE9ELNS1_3repE0EEENS1_30default_config_static_selectorELNS0_4arch9wavefront6targetE1EEEvT1_.kd
    .uniform_work_group_size: 1
    .uses_dynamic_stack: false
    .vgpr_count:     0
    .vgpr_spill_count: 0
    .wavefront_size: 64
  - .agpr_count:     0
    .args:
      - .offset:         0
        .size:           120
        .value_kind:     by_value
    .group_segment_fixed_size: 15360
    .kernarg_segment_align: 8
    .kernarg_segment_size: 120
    .language:       OpenCL C
    .language_version:
      - 2
      - 0
    .max_flat_workgroup_size: 256
    .name:           _ZN7rocprim17ROCPRIM_400000_NS6detail17trampoline_kernelINS0_14default_configENS1_29reduce_by_key_config_selectorIffN6thrust23THRUST_200600_302600_NS4plusIfEEEEZZNS1_33reduce_by_key_impl_wrapped_configILNS1_25lookback_scan_determinismE0ES3_S9_NS6_6detail15normal_iteratorINS6_10device_ptrIfEEEESG_SG_SG_PmS8_22is_equal_div_10_reduceIfEEE10hipError_tPvRmT2_T3_mT4_T5_T6_T7_T8_P12ihipStream_tbENKUlT_T0_E_clISt17integral_constantIbLb1EES11_EEDaSW_SX_EUlSW_E_NS1_11comp_targetILNS1_3genE4ELNS1_11target_archE910ELNS1_3gpuE8ELNS1_3repE0EEENS1_30default_config_static_selectorELNS0_4arch9wavefront6targetE1EEEvT1_
    .private_segment_fixed_size: 0
    .sgpr_count:     70
    .sgpr_spill_count: 0
    .symbol:         _ZN7rocprim17ROCPRIM_400000_NS6detail17trampoline_kernelINS0_14default_configENS1_29reduce_by_key_config_selectorIffN6thrust23THRUST_200600_302600_NS4plusIfEEEEZZNS1_33reduce_by_key_impl_wrapped_configILNS1_25lookback_scan_determinismE0ES3_S9_NS6_6detail15normal_iteratorINS6_10device_ptrIfEEEESG_SG_SG_PmS8_22is_equal_div_10_reduceIfEEE10hipError_tPvRmT2_T3_mT4_T5_T6_T7_T8_P12ihipStream_tbENKUlT_T0_E_clISt17integral_constantIbLb1EES11_EEDaSW_SX_EUlSW_E_NS1_11comp_targetILNS1_3genE4ELNS1_11target_archE910ELNS1_3gpuE8ELNS1_3repE0EEENS1_30default_config_static_selectorELNS0_4arch9wavefront6targetE1EEEvT1_.kd
    .uniform_work_group_size: 1
    .uses_dynamic_stack: false
    .vgpr_count:     106
    .vgpr_spill_count: 0
    .wavefront_size: 64
  - .agpr_count:     0
    .args:
      - .offset:         0
        .size:           120
        .value_kind:     by_value
    .group_segment_fixed_size: 0
    .kernarg_segment_align: 8
    .kernarg_segment_size: 120
    .language:       OpenCL C
    .language_version:
      - 2
      - 0
    .max_flat_workgroup_size: 256
    .name:           _ZN7rocprim17ROCPRIM_400000_NS6detail17trampoline_kernelINS0_14default_configENS1_29reduce_by_key_config_selectorIffN6thrust23THRUST_200600_302600_NS4plusIfEEEEZZNS1_33reduce_by_key_impl_wrapped_configILNS1_25lookback_scan_determinismE0ES3_S9_NS6_6detail15normal_iteratorINS6_10device_ptrIfEEEESG_SG_SG_PmS8_22is_equal_div_10_reduceIfEEE10hipError_tPvRmT2_T3_mT4_T5_T6_T7_T8_P12ihipStream_tbENKUlT_T0_E_clISt17integral_constantIbLb1EES11_EEDaSW_SX_EUlSW_E_NS1_11comp_targetILNS1_3genE3ELNS1_11target_archE908ELNS1_3gpuE7ELNS1_3repE0EEENS1_30default_config_static_selectorELNS0_4arch9wavefront6targetE1EEEvT1_
    .private_segment_fixed_size: 0
    .sgpr_count:     4
    .sgpr_spill_count: 0
    .symbol:         _ZN7rocprim17ROCPRIM_400000_NS6detail17trampoline_kernelINS0_14default_configENS1_29reduce_by_key_config_selectorIffN6thrust23THRUST_200600_302600_NS4plusIfEEEEZZNS1_33reduce_by_key_impl_wrapped_configILNS1_25lookback_scan_determinismE0ES3_S9_NS6_6detail15normal_iteratorINS6_10device_ptrIfEEEESG_SG_SG_PmS8_22is_equal_div_10_reduceIfEEE10hipError_tPvRmT2_T3_mT4_T5_T6_T7_T8_P12ihipStream_tbENKUlT_T0_E_clISt17integral_constantIbLb1EES11_EEDaSW_SX_EUlSW_E_NS1_11comp_targetILNS1_3genE3ELNS1_11target_archE908ELNS1_3gpuE7ELNS1_3repE0EEENS1_30default_config_static_selectorELNS0_4arch9wavefront6targetE1EEEvT1_.kd
    .uniform_work_group_size: 1
    .uses_dynamic_stack: false
    .vgpr_count:     0
    .vgpr_spill_count: 0
    .wavefront_size: 64
  - .agpr_count:     0
    .args:
      - .offset:         0
        .size:           120
        .value_kind:     by_value
    .group_segment_fixed_size: 0
    .kernarg_segment_align: 8
    .kernarg_segment_size: 120
    .language:       OpenCL C
    .language_version:
      - 2
      - 0
    .max_flat_workgroup_size: 256
    .name:           _ZN7rocprim17ROCPRIM_400000_NS6detail17trampoline_kernelINS0_14default_configENS1_29reduce_by_key_config_selectorIffN6thrust23THRUST_200600_302600_NS4plusIfEEEEZZNS1_33reduce_by_key_impl_wrapped_configILNS1_25lookback_scan_determinismE0ES3_S9_NS6_6detail15normal_iteratorINS6_10device_ptrIfEEEESG_SG_SG_PmS8_22is_equal_div_10_reduceIfEEE10hipError_tPvRmT2_T3_mT4_T5_T6_T7_T8_P12ihipStream_tbENKUlT_T0_E_clISt17integral_constantIbLb1EES11_EEDaSW_SX_EUlSW_E_NS1_11comp_targetILNS1_3genE2ELNS1_11target_archE906ELNS1_3gpuE6ELNS1_3repE0EEENS1_30default_config_static_selectorELNS0_4arch9wavefront6targetE1EEEvT1_
    .private_segment_fixed_size: 0
    .sgpr_count:     4
    .sgpr_spill_count: 0
    .symbol:         _ZN7rocprim17ROCPRIM_400000_NS6detail17trampoline_kernelINS0_14default_configENS1_29reduce_by_key_config_selectorIffN6thrust23THRUST_200600_302600_NS4plusIfEEEEZZNS1_33reduce_by_key_impl_wrapped_configILNS1_25lookback_scan_determinismE0ES3_S9_NS6_6detail15normal_iteratorINS6_10device_ptrIfEEEESG_SG_SG_PmS8_22is_equal_div_10_reduceIfEEE10hipError_tPvRmT2_T3_mT4_T5_T6_T7_T8_P12ihipStream_tbENKUlT_T0_E_clISt17integral_constantIbLb1EES11_EEDaSW_SX_EUlSW_E_NS1_11comp_targetILNS1_3genE2ELNS1_11target_archE906ELNS1_3gpuE6ELNS1_3repE0EEENS1_30default_config_static_selectorELNS0_4arch9wavefront6targetE1EEEvT1_.kd
    .uniform_work_group_size: 1
    .uses_dynamic_stack: false
    .vgpr_count:     0
    .vgpr_spill_count: 0
    .wavefront_size: 64
  - .agpr_count:     0
    .args:
      - .offset:         0
        .size:           120
        .value_kind:     by_value
    .group_segment_fixed_size: 0
    .kernarg_segment_align: 8
    .kernarg_segment_size: 120
    .language:       OpenCL C
    .language_version:
      - 2
      - 0
    .max_flat_workgroup_size: 256
    .name:           _ZN7rocprim17ROCPRIM_400000_NS6detail17trampoline_kernelINS0_14default_configENS1_29reduce_by_key_config_selectorIffN6thrust23THRUST_200600_302600_NS4plusIfEEEEZZNS1_33reduce_by_key_impl_wrapped_configILNS1_25lookback_scan_determinismE0ES3_S9_NS6_6detail15normal_iteratorINS6_10device_ptrIfEEEESG_SG_SG_PmS8_22is_equal_div_10_reduceIfEEE10hipError_tPvRmT2_T3_mT4_T5_T6_T7_T8_P12ihipStream_tbENKUlT_T0_E_clISt17integral_constantIbLb1EES11_EEDaSW_SX_EUlSW_E_NS1_11comp_targetILNS1_3genE10ELNS1_11target_archE1201ELNS1_3gpuE5ELNS1_3repE0EEENS1_30default_config_static_selectorELNS0_4arch9wavefront6targetE1EEEvT1_
    .private_segment_fixed_size: 0
    .sgpr_count:     4
    .sgpr_spill_count: 0
    .symbol:         _ZN7rocprim17ROCPRIM_400000_NS6detail17trampoline_kernelINS0_14default_configENS1_29reduce_by_key_config_selectorIffN6thrust23THRUST_200600_302600_NS4plusIfEEEEZZNS1_33reduce_by_key_impl_wrapped_configILNS1_25lookback_scan_determinismE0ES3_S9_NS6_6detail15normal_iteratorINS6_10device_ptrIfEEEESG_SG_SG_PmS8_22is_equal_div_10_reduceIfEEE10hipError_tPvRmT2_T3_mT4_T5_T6_T7_T8_P12ihipStream_tbENKUlT_T0_E_clISt17integral_constantIbLb1EES11_EEDaSW_SX_EUlSW_E_NS1_11comp_targetILNS1_3genE10ELNS1_11target_archE1201ELNS1_3gpuE5ELNS1_3repE0EEENS1_30default_config_static_selectorELNS0_4arch9wavefront6targetE1EEEvT1_.kd
    .uniform_work_group_size: 1
    .uses_dynamic_stack: false
    .vgpr_count:     0
    .vgpr_spill_count: 0
    .wavefront_size: 64
  - .agpr_count:     0
    .args:
      - .offset:         0
        .size:           120
        .value_kind:     by_value
    .group_segment_fixed_size: 0
    .kernarg_segment_align: 8
    .kernarg_segment_size: 120
    .language:       OpenCL C
    .language_version:
      - 2
      - 0
    .max_flat_workgroup_size: 256
    .name:           _ZN7rocprim17ROCPRIM_400000_NS6detail17trampoline_kernelINS0_14default_configENS1_29reduce_by_key_config_selectorIffN6thrust23THRUST_200600_302600_NS4plusIfEEEEZZNS1_33reduce_by_key_impl_wrapped_configILNS1_25lookback_scan_determinismE0ES3_S9_NS6_6detail15normal_iteratorINS6_10device_ptrIfEEEESG_SG_SG_PmS8_22is_equal_div_10_reduceIfEEE10hipError_tPvRmT2_T3_mT4_T5_T6_T7_T8_P12ihipStream_tbENKUlT_T0_E_clISt17integral_constantIbLb1EES11_EEDaSW_SX_EUlSW_E_NS1_11comp_targetILNS1_3genE10ELNS1_11target_archE1200ELNS1_3gpuE4ELNS1_3repE0EEENS1_30default_config_static_selectorELNS0_4arch9wavefront6targetE1EEEvT1_
    .private_segment_fixed_size: 0
    .sgpr_count:     4
    .sgpr_spill_count: 0
    .symbol:         _ZN7rocprim17ROCPRIM_400000_NS6detail17trampoline_kernelINS0_14default_configENS1_29reduce_by_key_config_selectorIffN6thrust23THRUST_200600_302600_NS4plusIfEEEEZZNS1_33reduce_by_key_impl_wrapped_configILNS1_25lookback_scan_determinismE0ES3_S9_NS6_6detail15normal_iteratorINS6_10device_ptrIfEEEESG_SG_SG_PmS8_22is_equal_div_10_reduceIfEEE10hipError_tPvRmT2_T3_mT4_T5_T6_T7_T8_P12ihipStream_tbENKUlT_T0_E_clISt17integral_constantIbLb1EES11_EEDaSW_SX_EUlSW_E_NS1_11comp_targetILNS1_3genE10ELNS1_11target_archE1200ELNS1_3gpuE4ELNS1_3repE0EEENS1_30default_config_static_selectorELNS0_4arch9wavefront6targetE1EEEvT1_.kd
    .uniform_work_group_size: 1
    .uses_dynamic_stack: false
    .vgpr_count:     0
    .vgpr_spill_count: 0
    .wavefront_size: 64
  - .agpr_count:     0
    .args:
      - .offset:         0
        .size:           120
        .value_kind:     by_value
    .group_segment_fixed_size: 0
    .kernarg_segment_align: 8
    .kernarg_segment_size: 120
    .language:       OpenCL C
    .language_version:
      - 2
      - 0
    .max_flat_workgroup_size: 256
    .name:           _ZN7rocprim17ROCPRIM_400000_NS6detail17trampoline_kernelINS0_14default_configENS1_29reduce_by_key_config_selectorIffN6thrust23THRUST_200600_302600_NS4plusIfEEEEZZNS1_33reduce_by_key_impl_wrapped_configILNS1_25lookback_scan_determinismE0ES3_S9_NS6_6detail15normal_iteratorINS6_10device_ptrIfEEEESG_SG_SG_PmS8_22is_equal_div_10_reduceIfEEE10hipError_tPvRmT2_T3_mT4_T5_T6_T7_T8_P12ihipStream_tbENKUlT_T0_E_clISt17integral_constantIbLb1EES11_EEDaSW_SX_EUlSW_E_NS1_11comp_targetILNS1_3genE9ELNS1_11target_archE1100ELNS1_3gpuE3ELNS1_3repE0EEENS1_30default_config_static_selectorELNS0_4arch9wavefront6targetE1EEEvT1_
    .private_segment_fixed_size: 0
    .sgpr_count:     4
    .sgpr_spill_count: 0
    .symbol:         _ZN7rocprim17ROCPRIM_400000_NS6detail17trampoline_kernelINS0_14default_configENS1_29reduce_by_key_config_selectorIffN6thrust23THRUST_200600_302600_NS4plusIfEEEEZZNS1_33reduce_by_key_impl_wrapped_configILNS1_25lookback_scan_determinismE0ES3_S9_NS6_6detail15normal_iteratorINS6_10device_ptrIfEEEESG_SG_SG_PmS8_22is_equal_div_10_reduceIfEEE10hipError_tPvRmT2_T3_mT4_T5_T6_T7_T8_P12ihipStream_tbENKUlT_T0_E_clISt17integral_constantIbLb1EES11_EEDaSW_SX_EUlSW_E_NS1_11comp_targetILNS1_3genE9ELNS1_11target_archE1100ELNS1_3gpuE3ELNS1_3repE0EEENS1_30default_config_static_selectorELNS0_4arch9wavefront6targetE1EEEvT1_.kd
    .uniform_work_group_size: 1
    .uses_dynamic_stack: false
    .vgpr_count:     0
    .vgpr_spill_count: 0
    .wavefront_size: 64
  - .agpr_count:     0
    .args:
      - .offset:         0
        .size:           120
        .value_kind:     by_value
    .group_segment_fixed_size: 0
    .kernarg_segment_align: 8
    .kernarg_segment_size: 120
    .language:       OpenCL C
    .language_version:
      - 2
      - 0
    .max_flat_workgroup_size: 256
    .name:           _ZN7rocprim17ROCPRIM_400000_NS6detail17trampoline_kernelINS0_14default_configENS1_29reduce_by_key_config_selectorIffN6thrust23THRUST_200600_302600_NS4plusIfEEEEZZNS1_33reduce_by_key_impl_wrapped_configILNS1_25lookback_scan_determinismE0ES3_S9_NS6_6detail15normal_iteratorINS6_10device_ptrIfEEEESG_SG_SG_PmS8_22is_equal_div_10_reduceIfEEE10hipError_tPvRmT2_T3_mT4_T5_T6_T7_T8_P12ihipStream_tbENKUlT_T0_E_clISt17integral_constantIbLb1EES11_EEDaSW_SX_EUlSW_E_NS1_11comp_targetILNS1_3genE8ELNS1_11target_archE1030ELNS1_3gpuE2ELNS1_3repE0EEENS1_30default_config_static_selectorELNS0_4arch9wavefront6targetE1EEEvT1_
    .private_segment_fixed_size: 0
    .sgpr_count:     4
    .sgpr_spill_count: 0
    .symbol:         _ZN7rocprim17ROCPRIM_400000_NS6detail17trampoline_kernelINS0_14default_configENS1_29reduce_by_key_config_selectorIffN6thrust23THRUST_200600_302600_NS4plusIfEEEEZZNS1_33reduce_by_key_impl_wrapped_configILNS1_25lookback_scan_determinismE0ES3_S9_NS6_6detail15normal_iteratorINS6_10device_ptrIfEEEESG_SG_SG_PmS8_22is_equal_div_10_reduceIfEEE10hipError_tPvRmT2_T3_mT4_T5_T6_T7_T8_P12ihipStream_tbENKUlT_T0_E_clISt17integral_constantIbLb1EES11_EEDaSW_SX_EUlSW_E_NS1_11comp_targetILNS1_3genE8ELNS1_11target_archE1030ELNS1_3gpuE2ELNS1_3repE0EEENS1_30default_config_static_selectorELNS0_4arch9wavefront6targetE1EEEvT1_.kd
    .uniform_work_group_size: 1
    .uses_dynamic_stack: false
    .vgpr_count:     0
    .vgpr_spill_count: 0
    .wavefront_size: 64
  - .agpr_count:     0
    .args:
      - .offset:         0
        .size:           120
        .value_kind:     by_value
    .group_segment_fixed_size: 0
    .kernarg_segment_align: 8
    .kernarg_segment_size: 120
    .language:       OpenCL C
    .language_version:
      - 2
      - 0
    .max_flat_workgroup_size: 256
    .name:           _ZN7rocprim17ROCPRIM_400000_NS6detail17trampoline_kernelINS0_14default_configENS1_29reduce_by_key_config_selectorIffN6thrust23THRUST_200600_302600_NS4plusIfEEEEZZNS1_33reduce_by_key_impl_wrapped_configILNS1_25lookback_scan_determinismE0ES3_S9_NS6_6detail15normal_iteratorINS6_10device_ptrIfEEEESG_SG_SG_PmS8_22is_equal_div_10_reduceIfEEE10hipError_tPvRmT2_T3_mT4_T5_T6_T7_T8_P12ihipStream_tbENKUlT_T0_E_clISt17integral_constantIbLb1EES10_IbLb0EEEEDaSW_SX_EUlSW_E_NS1_11comp_targetILNS1_3genE0ELNS1_11target_archE4294967295ELNS1_3gpuE0ELNS1_3repE0EEENS1_30default_config_static_selectorELNS0_4arch9wavefront6targetE1EEEvT1_
    .private_segment_fixed_size: 0
    .sgpr_count:     4
    .sgpr_spill_count: 0
    .symbol:         _ZN7rocprim17ROCPRIM_400000_NS6detail17trampoline_kernelINS0_14default_configENS1_29reduce_by_key_config_selectorIffN6thrust23THRUST_200600_302600_NS4plusIfEEEEZZNS1_33reduce_by_key_impl_wrapped_configILNS1_25lookback_scan_determinismE0ES3_S9_NS6_6detail15normal_iteratorINS6_10device_ptrIfEEEESG_SG_SG_PmS8_22is_equal_div_10_reduceIfEEE10hipError_tPvRmT2_T3_mT4_T5_T6_T7_T8_P12ihipStream_tbENKUlT_T0_E_clISt17integral_constantIbLb1EES10_IbLb0EEEEDaSW_SX_EUlSW_E_NS1_11comp_targetILNS1_3genE0ELNS1_11target_archE4294967295ELNS1_3gpuE0ELNS1_3repE0EEENS1_30default_config_static_selectorELNS0_4arch9wavefront6targetE1EEEvT1_.kd
    .uniform_work_group_size: 1
    .uses_dynamic_stack: false
    .vgpr_count:     0
    .vgpr_spill_count: 0
    .wavefront_size: 64
  - .agpr_count:     0
    .args:
      - .offset:         0
        .size:           120
        .value_kind:     by_value
    .group_segment_fixed_size: 0
    .kernarg_segment_align: 8
    .kernarg_segment_size: 120
    .language:       OpenCL C
    .language_version:
      - 2
      - 0
    .max_flat_workgroup_size: 256
    .name:           _ZN7rocprim17ROCPRIM_400000_NS6detail17trampoline_kernelINS0_14default_configENS1_29reduce_by_key_config_selectorIffN6thrust23THRUST_200600_302600_NS4plusIfEEEEZZNS1_33reduce_by_key_impl_wrapped_configILNS1_25lookback_scan_determinismE0ES3_S9_NS6_6detail15normal_iteratorINS6_10device_ptrIfEEEESG_SG_SG_PmS8_22is_equal_div_10_reduceIfEEE10hipError_tPvRmT2_T3_mT4_T5_T6_T7_T8_P12ihipStream_tbENKUlT_T0_E_clISt17integral_constantIbLb1EES10_IbLb0EEEEDaSW_SX_EUlSW_E_NS1_11comp_targetILNS1_3genE5ELNS1_11target_archE942ELNS1_3gpuE9ELNS1_3repE0EEENS1_30default_config_static_selectorELNS0_4arch9wavefront6targetE1EEEvT1_
    .private_segment_fixed_size: 0
    .sgpr_count:     4
    .sgpr_spill_count: 0
    .symbol:         _ZN7rocprim17ROCPRIM_400000_NS6detail17trampoline_kernelINS0_14default_configENS1_29reduce_by_key_config_selectorIffN6thrust23THRUST_200600_302600_NS4plusIfEEEEZZNS1_33reduce_by_key_impl_wrapped_configILNS1_25lookback_scan_determinismE0ES3_S9_NS6_6detail15normal_iteratorINS6_10device_ptrIfEEEESG_SG_SG_PmS8_22is_equal_div_10_reduceIfEEE10hipError_tPvRmT2_T3_mT4_T5_T6_T7_T8_P12ihipStream_tbENKUlT_T0_E_clISt17integral_constantIbLb1EES10_IbLb0EEEEDaSW_SX_EUlSW_E_NS1_11comp_targetILNS1_3genE5ELNS1_11target_archE942ELNS1_3gpuE9ELNS1_3repE0EEENS1_30default_config_static_selectorELNS0_4arch9wavefront6targetE1EEEvT1_.kd
    .uniform_work_group_size: 1
    .uses_dynamic_stack: false
    .vgpr_count:     0
    .vgpr_spill_count: 0
    .wavefront_size: 64
  - .agpr_count:     0
    .args:
      - .offset:         0
        .size:           120
        .value_kind:     by_value
    .group_segment_fixed_size: 15360
    .kernarg_segment_align: 8
    .kernarg_segment_size: 120
    .language:       OpenCL C
    .language_version:
      - 2
      - 0
    .max_flat_workgroup_size: 256
    .name:           _ZN7rocprim17ROCPRIM_400000_NS6detail17trampoline_kernelINS0_14default_configENS1_29reduce_by_key_config_selectorIffN6thrust23THRUST_200600_302600_NS4plusIfEEEEZZNS1_33reduce_by_key_impl_wrapped_configILNS1_25lookback_scan_determinismE0ES3_S9_NS6_6detail15normal_iteratorINS6_10device_ptrIfEEEESG_SG_SG_PmS8_22is_equal_div_10_reduceIfEEE10hipError_tPvRmT2_T3_mT4_T5_T6_T7_T8_P12ihipStream_tbENKUlT_T0_E_clISt17integral_constantIbLb1EES10_IbLb0EEEEDaSW_SX_EUlSW_E_NS1_11comp_targetILNS1_3genE4ELNS1_11target_archE910ELNS1_3gpuE8ELNS1_3repE0EEENS1_30default_config_static_selectorELNS0_4arch9wavefront6targetE1EEEvT1_
    .private_segment_fixed_size: 0
    .sgpr_count:     68
    .sgpr_spill_count: 0
    .symbol:         _ZN7rocprim17ROCPRIM_400000_NS6detail17trampoline_kernelINS0_14default_configENS1_29reduce_by_key_config_selectorIffN6thrust23THRUST_200600_302600_NS4plusIfEEEEZZNS1_33reduce_by_key_impl_wrapped_configILNS1_25lookback_scan_determinismE0ES3_S9_NS6_6detail15normal_iteratorINS6_10device_ptrIfEEEESG_SG_SG_PmS8_22is_equal_div_10_reduceIfEEE10hipError_tPvRmT2_T3_mT4_T5_T6_T7_T8_P12ihipStream_tbENKUlT_T0_E_clISt17integral_constantIbLb1EES10_IbLb0EEEEDaSW_SX_EUlSW_E_NS1_11comp_targetILNS1_3genE4ELNS1_11target_archE910ELNS1_3gpuE8ELNS1_3repE0EEENS1_30default_config_static_selectorELNS0_4arch9wavefront6targetE1EEEvT1_.kd
    .uniform_work_group_size: 1
    .uses_dynamic_stack: false
    .vgpr_count:     106
    .vgpr_spill_count: 0
    .wavefront_size: 64
  - .agpr_count:     0
    .args:
      - .offset:         0
        .size:           120
        .value_kind:     by_value
    .group_segment_fixed_size: 0
    .kernarg_segment_align: 8
    .kernarg_segment_size: 120
    .language:       OpenCL C
    .language_version:
      - 2
      - 0
    .max_flat_workgroup_size: 256
    .name:           _ZN7rocprim17ROCPRIM_400000_NS6detail17trampoline_kernelINS0_14default_configENS1_29reduce_by_key_config_selectorIffN6thrust23THRUST_200600_302600_NS4plusIfEEEEZZNS1_33reduce_by_key_impl_wrapped_configILNS1_25lookback_scan_determinismE0ES3_S9_NS6_6detail15normal_iteratorINS6_10device_ptrIfEEEESG_SG_SG_PmS8_22is_equal_div_10_reduceIfEEE10hipError_tPvRmT2_T3_mT4_T5_T6_T7_T8_P12ihipStream_tbENKUlT_T0_E_clISt17integral_constantIbLb1EES10_IbLb0EEEEDaSW_SX_EUlSW_E_NS1_11comp_targetILNS1_3genE3ELNS1_11target_archE908ELNS1_3gpuE7ELNS1_3repE0EEENS1_30default_config_static_selectorELNS0_4arch9wavefront6targetE1EEEvT1_
    .private_segment_fixed_size: 0
    .sgpr_count:     4
    .sgpr_spill_count: 0
    .symbol:         _ZN7rocprim17ROCPRIM_400000_NS6detail17trampoline_kernelINS0_14default_configENS1_29reduce_by_key_config_selectorIffN6thrust23THRUST_200600_302600_NS4plusIfEEEEZZNS1_33reduce_by_key_impl_wrapped_configILNS1_25lookback_scan_determinismE0ES3_S9_NS6_6detail15normal_iteratorINS6_10device_ptrIfEEEESG_SG_SG_PmS8_22is_equal_div_10_reduceIfEEE10hipError_tPvRmT2_T3_mT4_T5_T6_T7_T8_P12ihipStream_tbENKUlT_T0_E_clISt17integral_constantIbLb1EES10_IbLb0EEEEDaSW_SX_EUlSW_E_NS1_11comp_targetILNS1_3genE3ELNS1_11target_archE908ELNS1_3gpuE7ELNS1_3repE0EEENS1_30default_config_static_selectorELNS0_4arch9wavefront6targetE1EEEvT1_.kd
    .uniform_work_group_size: 1
    .uses_dynamic_stack: false
    .vgpr_count:     0
    .vgpr_spill_count: 0
    .wavefront_size: 64
  - .agpr_count:     0
    .args:
      - .offset:         0
        .size:           120
        .value_kind:     by_value
    .group_segment_fixed_size: 0
    .kernarg_segment_align: 8
    .kernarg_segment_size: 120
    .language:       OpenCL C
    .language_version:
      - 2
      - 0
    .max_flat_workgroup_size: 256
    .name:           _ZN7rocprim17ROCPRIM_400000_NS6detail17trampoline_kernelINS0_14default_configENS1_29reduce_by_key_config_selectorIffN6thrust23THRUST_200600_302600_NS4plusIfEEEEZZNS1_33reduce_by_key_impl_wrapped_configILNS1_25lookback_scan_determinismE0ES3_S9_NS6_6detail15normal_iteratorINS6_10device_ptrIfEEEESG_SG_SG_PmS8_22is_equal_div_10_reduceIfEEE10hipError_tPvRmT2_T3_mT4_T5_T6_T7_T8_P12ihipStream_tbENKUlT_T0_E_clISt17integral_constantIbLb1EES10_IbLb0EEEEDaSW_SX_EUlSW_E_NS1_11comp_targetILNS1_3genE2ELNS1_11target_archE906ELNS1_3gpuE6ELNS1_3repE0EEENS1_30default_config_static_selectorELNS0_4arch9wavefront6targetE1EEEvT1_
    .private_segment_fixed_size: 0
    .sgpr_count:     4
    .sgpr_spill_count: 0
    .symbol:         _ZN7rocprim17ROCPRIM_400000_NS6detail17trampoline_kernelINS0_14default_configENS1_29reduce_by_key_config_selectorIffN6thrust23THRUST_200600_302600_NS4plusIfEEEEZZNS1_33reduce_by_key_impl_wrapped_configILNS1_25lookback_scan_determinismE0ES3_S9_NS6_6detail15normal_iteratorINS6_10device_ptrIfEEEESG_SG_SG_PmS8_22is_equal_div_10_reduceIfEEE10hipError_tPvRmT2_T3_mT4_T5_T6_T7_T8_P12ihipStream_tbENKUlT_T0_E_clISt17integral_constantIbLb1EES10_IbLb0EEEEDaSW_SX_EUlSW_E_NS1_11comp_targetILNS1_3genE2ELNS1_11target_archE906ELNS1_3gpuE6ELNS1_3repE0EEENS1_30default_config_static_selectorELNS0_4arch9wavefront6targetE1EEEvT1_.kd
    .uniform_work_group_size: 1
    .uses_dynamic_stack: false
    .vgpr_count:     0
    .vgpr_spill_count: 0
    .wavefront_size: 64
  - .agpr_count:     0
    .args:
      - .offset:         0
        .size:           120
        .value_kind:     by_value
    .group_segment_fixed_size: 0
    .kernarg_segment_align: 8
    .kernarg_segment_size: 120
    .language:       OpenCL C
    .language_version:
      - 2
      - 0
    .max_flat_workgroup_size: 256
    .name:           _ZN7rocprim17ROCPRIM_400000_NS6detail17trampoline_kernelINS0_14default_configENS1_29reduce_by_key_config_selectorIffN6thrust23THRUST_200600_302600_NS4plusIfEEEEZZNS1_33reduce_by_key_impl_wrapped_configILNS1_25lookback_scan_determinismE0ES3_S9_NS6_6detail15normal_iteratorINS6_10device_ptrIfEEEESG_SG_SG_PmS8_22is_equal_div_10_reduceIfEEE10hipError_tPvRmT2_T3_mT4_T5_T6_T7_T8_P12ihipStream_tbENKUlT_T0_E_clISt17integral_constantIbLb1EES10_IbLb0EEEEDaSW_SX_EUlSW_E_NS1_11comp_targetILNS1_3genE10ELNS1_11target_archE1201ELNS1_3gpuE5ELNS1_3repE0EEENS1_30default_config_static_selectorELNS0_4arch9wavefront6targetE1EEEvT1_
    .private_segment_fixed_size: 0
    .sgpr_count:     4
    .sgpr_spill_count: 0
    .symbol:         _ZN7rocprim17ROCPRIM_400000_NS6detail17trampoline_kernelINS0_14default_configENS1_29reduce_by_key_config_selectorIffN6thrust23THRUST_200600_302600_NS4plusIfEEEEZZNS1_33reduce_by_key_impl_wrapped_configILNS1_25lookback_scan_determinismE0ES3_S9_NS6_6detail15normal_iteratorINS6_10device_ptrIfEEEESG_SG_SG_PmS8_22is_equal_div_10_reduceIfEEE10hipError_tPvRmT2_T3_mT4_T5_T6_T7_T8_P12ihipStream_tbENKUlT_T0_E_clISt17integral_constantIbLb1EES10_IbLb0EEEEDaSW_SX_EUlSW_E_NS1_11comp_targetILNS1_3genE10ELNS1_11target_archE1201ELNS1_3gpuE5ELNS1_3repE0EEENS1_30default_config_static_selectorELNS0_4arch9wavefront6targetE1EEEvT1_.kd
    .uniform_work_group_size: 1
    .uses_dynamic_stack: false
    .vgpr_count:     0
    .vgpr_spill_count: 0
    .wavefront_size: 64
  - .agpr_count:     0
    .args:
      - .offset:         0
        .size:           120
        .value_kind:     by_value
    .group_segment_fixed_size: 0
    .kernarg_segment_align: 8
    .kernarg_segment_size: 120
    .language:       OpenCL C
    .language_version:
      - 2
      - 0
    .max_flat_workgroup_size: 256
    .name:           _ZN7rocprim17ROCPRIM_400000_NS6detail17trampoline_kernelINS0_14default_configENS1_29reduce_by_key_config_selectorIffN6thrust23THRUST_200600_302600_NS4plusIfEEEEZZNS1_33reduce_by_key_impl_wrapped_configILNS1_25lookback_scan_determinismE0ES3_S9_NS6_6detail15normal_iteratorINS6_10device_ptrIfEEEESG_SG_SG_PmS8_22is_equal_div_10_reduceIfEEE10hipError_tPvRmT2_T3_mT4_T5_T6_T7_T8_P12ihipStream_tbENKUlT_T0_E_clISt17integral_constantIbLb1EES10_IbLb0EEEEDaSW_SX_EUlSW_E_NS1_11comp_targetILNS1_3genE10ELNS1_11target_archE1200ELNS1_3gpuE4ELNS1_3repE0EEENS1_30default_config_static_selectorELNS0_4arch9wavefront6targetE1EEEvT1_
    .private_segment_fixed_size: 0
    .sgpr_count:     4
    .sgpr_spill_count: 0
    .symbol:         _ZN7rocprim17ROCPRIM_400000_NS6detail17trampoline_kernelINS0_14default_configENS1_29reduce_by_key_config_selectorIffN6thrust23THRUST_200600_302600_NS4plusIfEEEEZZNS1_33reduce_by_key_impl_wrapped_configILNS1_25lookback_scan_determinismE0ES3_S9_NS6_6detail15normal_iteratorINS6_10device_ptrIfEEEESG_SG_SG_PmS8_22is_equal_div_10_reduceIfEEE10hipError_tPvRmT2_T3_mT4_T5_T6_T7_T8_P12ihipStream_tbENKUlT_T0_E_clISt17integral_constantIbLb1EES10_IbLb0EEEEDaSW_SX_EUlSW_E_NS1_11comp_targetILNS1_3genE10ELNS1_11target_archE1200ELNS1_3gpuE4ELNS1_3repE0EEENS1_30default_config_static_selectorELNS0_4arch9wavefront6targetE1EEEvT1_.kd
    .uniform_work_group_size: 1
    .uses_dynamic_stack: false
    .vgpr_count:     0
    .vgpr_spill_count: 0
    .wavefront_size: 64
  - .agpr_count:     0
    .args:
      - .offset:         0
        .size:           120
        .value_kind:     by_value
    .group_segment_fixed_size: 0
    .kernarg_segment_align: 8
    .kernarg_segment_size: 120
    .language:       OpenCL C
    .language_version:
      - 2
      - 0
    .max_flat_workgroup_size: 256
    .name:           _ZN7rocprim17ROCPRIM_400000_NS6detail17trampoline_kernelINS0_14default_configENS1_29reduce_by_key_config_selectorIffN6thrust23THRUST_200600_302600_NS4plusIfEEEEZZNS1_33reduce_by_key_impl_wrapped_configILNS1_25lookback_scan_determinismE0ES3_S9_NS6_6detail15normal_iteratorINS6_10device_ptrIfEEEESG_SG_SG_PmS8_22is_equal_div_10_reduceIfEEE10hipError_tPvRmT2_T3_mT4_T5_T6_T7_T8_P12ihipStream_tbENKUlT_T0_E_clISt17integral_constantIbLb1EES10_IbLb0EEEEDaSW_SX_EUlSW_E_NS1_11comp_targetILNS1_3genE9ELNS1_11target_archE1100ELNS1_3gpuE3ELNS1_3repE0EEENS1_30default_config_static_selectorELNS0_4arch9wavefront6targetE1EEEvT1_
    .private_segment_fixed_size: 0
    .sgpr_count:     4
    .sgpr_spill_count: 0
    .symbol:         _ZN7rocprim17ROCPRIM_400000_NS6detail17trampoline_kernelINS0_14default_configENS1_29reduce_by_key_config_selectorIffN6thrust23THRUST_200600_302600_NS4plusIfEEEEZZNS1_33reduce_by_key_impl_wrapped_configILNS1_25lookback_scan_determinismE0ES3_S9_NS6_6detail15normal_iteratorINS6_10device_ptrIfEEEESG_SG_SG_PmS8_22is_equal_div_10_reduceIfEEE10hipError_tPvRmT2_T3_mT4_T5_T6_T7_T8_P12ihipStream_tbENKUlT_T0_E_clISt17integral_constantIbLb1EES10_IbLb0EEEEDaSW_SX_EUlSW_E_NS1_11comp_targetILNS1_3genE9ELNS1_11target_archE1100ELNS1_3gpuE3ELNS1_3repE0EEENS1_30default_config_static_selectorELNS0_4arch9wavefront6targetE1EEEvT1_.kd
    .uniform_work_group_size: 1
    .uses_dynamic_stack: false
    .vgpr_count:     0
    .vgpr_spill_count: 0
    .wavefront_size: 64
  - .agpr_count:     0
    .args:
      - .offset:         0
        .size:           120
        .value_kind:     by_value
    .group_segment_fixed_size: 0
    .kernarg_segment_align: 8
    .kernarg_segment_size: 120
    .language:       OpenCL C
    .language_version:
      - 2
      - 0
    .max_flat_workgroup_size: 256
    .name:           _ZN7rocprim17ROCPRIM_400000_NS6detail17trampoline_kernelINS0_14default_configENS1_29reduce_by_key_config_selectorIffN6thrust23THRUST_200600_302600_NS4plusIfEEEEZZNS1_33reduce_by_key_impl_wrapped_configILNS1_25lookback_scan_determinismE0ES3_S9_NS6_6detail15normal_iteratorINS6_10device_ptrIfEEEESG_SG_SG_PmS8_22is_equal_div_10_reduceIfEEE10hipError_tPvRmT2_T3_mT4_T5_T6_T7_T8_P12ihipStream_tbENKUlT_T0_E_clISt17integral_constantIbLb1EES10_IbLb0EEEEDaSW_SX_EUlSW_E_NS1_11comp_targetILNS1_3genE8ELNS1_11target_archE1030ELNS1_3gpuE2ELNS1_3repE0EEENS1_30default_config_static_selectorELNS0_4arch9wavefront6targetE1EEEvT1_
    .private_segment_fixed_size: 0
    .sgpr_count:     4
    .sgpr_spill_count: 0
    .symbol:         _ZN7rocprim17ROCPRIM_400000_NS6detail17trampoline_kernelINS0_14default_configENS1_29reduce_by_key_config_selectorIffN6thrust23THRUST_200600_302600_NS4plusIfEEEEZZNS1_33reduce_by_key_impl_wrapped_configILNS1_25lookback_scan_determinismE0ES3_S9_NS6_6detail15normal_iteratorINS6_10device_ptrIfEEEESG_SG_SG_PmS8_22is_equal_div_10_reduceIfEEE10hipError_tPvRmT2_T3_mT4_T5_T6_T7_T8_P12ihipStream_tbENKUlT_T0_E_clISt17integral_constantIbLb1EES10_IbLb0EEEEDaSW_SX_EUlSW_E_NS1_11comp_targetILNS1_3genE8ELNS1_11target_archE1030ELNS1_3gpuE2ELNS1_3repE0EEENS1_30default_config_static_selectorELNS0_4arch9wavefront6targetE1EEEvT1_.kd
    .uniform_work_group_size: 1
    .uses_dynamic_stack: false
    .vgpr_count:     0
    .vgpr_spill_count: 0
    .wavefront_size: 64
  - .agpr_count:     0
    .args:
      - .offset:         0
        .size:           120
        .value_kind:     by_value
    .group_segment_fixed_size: 0
    .kernarg_segment_align: 8
    .kernarg_segment_size: 120
    .language:       OpenCL C
    .language_version:
      - 2
      - 0
    .max_flat_workgroup_size: 256
    .name:           _ZN7rocprim17ROCPRIM_400000_NS6detail17trampoline_kernelINS0_14default_configENS1_29reduce_by_key_config_selectorIffN6thrust23THRUST_200600_302600_NS4plusIfEEEEZZNS1_33reduce_by_key_impl_wrapped_configILNS1_25lookback_scan_determinismE0ES3_S9_NS6_6detail15normal_iteratorINS6_10device_ptrIfEEEESG_SG_SG_PmS8_22is_equal_div_10_reduceIfEEE10hipError_tPvRmT2_T3_mT4_T5_T6_T7_T8_P12ihipStream_tbENKUlT_T0_E_clISt17integral_constantIbLb0EES10_IbLb1EEEEDaSW_SX_EUlSW_E_NS1_11comp_targetILNS1_3genE0ELNS1_11target_archE4294967295ELNS1_3gpuE0ELNS1_3repE0EEENS1_30default_config_static_selectorELNS0_4arch9wavefront6targetE1EEEvT1_
    .private_segment_fixed_size: 0
    .sgpr_count:     4
    .sgpr_spill_count: 0
    .symbol:         _ZN7rocprim17ROCPRIM_400000_NS6detail17trampoline_kernelINS0_14default_configENS1_29reduce_by_key_config_selectorIffN6thrust23THRUST_200600_302600_NS4plusIfEEEEZZNS1_33reduce_by_key_impl_wrapped_configILNS1_25lookback_scan_determinismE0ES3_S9_NS6_6detail15normal_iteratorINS6_10device_ptrIfEEEESG_SG_SG_PmS8_22is_equal_div_10_reduceIfEEE10hipError_tPvRmT2_T3_mT4_T5_T6_T7_T8_P12ihipStream_tbENKUlT_T0_E_clISt17integral_constantIbLb0EES10_IbLb1EEEEDaSW_SX_EUlSW_E_NS1_11comp_targetILNS1_3genE0ELNS1_11target_archE4294967295ELNS1_3gpuE0ELNS1_3repE0EEENS1_30default_config_static_selectorELNS0_4arch9wavefront6targetE1EEEvT1_.kd
    .uniform_work_group_size: 1
    .uses_dynamic_stack: false
    .vgpr_count:     0
    .vgpr_spill_count: 0
    .wavefront_size: 64
  - .agpr_count:     0
    .args:
      - .offset:         0
        .size:           120
        .value_kind:     by_value
    .group_segment_fixed_size: 0
    .kernarg_segment_align: 8
    .kernarg_segment_size: 120
    .language:       OpenCL C
    .language_version:
      - 2
      - 0
    .max_flat_workgroup_size: 256
    .name:           _ZN7rocprim17ROCPRIM_400000_NS6detail17trampoline_kernelINS0_14default_configENS1_29reduce_by_key_config_selectorIffN6thrust23THRUST_200600_302600_NS4plusIfEEEEZZNS1_33reduce_by_key_impl_wrapped_configILNS1_25lookback_scan_determinismE0ES3_S9_NS6_6detail15normal_iteratorINS6_10device_ptrIfEEEESG_SG_SG_PmS8_22is_equal_div_10_reduceIfEEE10hipError_tPvRmT2_T3_mT4_T5_T6_T7_T8_P12ihipStream_tbENKUlT_T0_E_clISt17integral_constantIbLb0EES10_IbLb1EEEEDaSW_SX_EUlSW_E_NS1_11comp_targetILNS1_3genE5ELNS1_11target_archE942ELNS1_3gpuE9ELNS1_3repE0EEENS1_30default_config_static_selectorELNS0_4arch9wavefront6targetE1EEEvT1_
    .private_segment_fixed_size: 0
    .sgpr_count:     4
    .sgpr_spill_count: 0
    .symbol:         _ZN7rocprim17ROCPRIM_400000_NS6detail17trampoline_kernelINS0_14default_configENS1_29reduce_by_key_config_selectorIffN6thrust23THRUST_200600_302600_NS4plusIfEEEEZZNS1_33reduce_by_key_impl_wrapped_configILNS1_25lookback_scan_determinismE0ES3_S9_NS6_6detail15normal_iteratorINS6_10device_ptrIfEEEESG_SG_SG_PmS8_22is_equal_div_10_reduceIfEEE10hipError_tPvRmT2_T3_mT4_T5_T6_T7_T8_P12ihipStream_tbENKUlT_T0_E_clISt17integral_constantIbLb0EES10_IbLb1EEEEDaSW_SX_EUlSW_E_NS1_11comp_targetILNS1_3genE5ELNS1_11target_archE942ELNS1_3gpuE9ELNS1_3repE0EEENS1_30default_config_static_selectorELNS0_4arch9wavefront6targetE1EEEvT1_.kd
    .uniform_work_group_size: 1
    .uses_dynamic_stack: false
    .vgpr_count:     0
    .vgpr_spill_count: 0
    .wavefront_size: 64
  - .agpr_count:     0
    .args:
      - .offset:         0
        .size:           120
        .value_kind:     by_value
    .group_segment_fixed_size: 15360
    .kernarg_segment_align: 8
    .kernarg_segment_size: 120
    .language:       OpenCL C
    .language_version:
      - 2
      - 0
    .max_flat_workgroup_size: 256
    .name:           _ZN7rocprim17ROCPRIM_400000_NS6detail17trampoline_kernelINS0_14default_configENS1_29reduce_by_key_config_selectorIffN6thrust23THRUST_200600_302600_NS4plusIfEEEEZZNS1_33reduce_by_key_impl_wrapped_configILNS1_25lookback_scan_determinismE0ES3_S9_NS6_6detail15normal_iteratorINS6_10device_ptrIfEEEESG_SG_SG_PmS8_22is_equal_div_10_reduceIfEEE10hipError_tPvRmT2_T3_mT4_T5_T6_T7_T8_P12ihipStream_tbENKUlT_T0_E_clISt17integral_constantIbLb0EES10_IbLb1EEEEDaSW_SX_EUlSW_E_NS1_11comp_targetILNS1_3genE4ELNS1_11target_archE910ELNS1_3gpuE8ELNS1_3repE0EEENS1_30default_config_static_selectorELNS0_4arch9wavefront6targetE1EEEvT1_
    .private_segment_fixed_size: 0
    .sgpr_count:     70
    .sgpr_spill_count: 0
    .symbol:         _ZN7rocprim17ROCPRIM_400000_NS6detail17trampoline_kernelINS0_14default_configENS1_29reduce_by_key_config_selectorIffN6thrust23THRUST_200600_302600_NS4plusIfEEEEZZNS1_33reduce_by_key_impl_wrapped_configILNS1_25lookback_scan_determinismE0ES3_S9_NS6_6detail15normal_iteratorINS6_10device_ptrIfEEEESG_SG_SG_PmS8_22is_equal_div_10_reduceIfEEE10hipError_tPvRmT2_T3_mT4_T5_T6_T7_T8_P12ihipStream_tbENKUlT_T0_E_clISt17integral_constantIbLb0EES10_IbLb1EEEEDaSW_SX_EUlSW_E_NS1_11comp_targetILNS1_3genE4ELNS1_11target_archE910ELNS1_3gpuE8ELNS1_3repE0EEENS1_30default_config_static_selectorELNS0_4arch9wavefront6targetE1EEEvT1_.kd
    .uniform_work_group_size: 1
    .uses_dynamic_stack: false
    .vgpr_count:     106
    .vgpr_spill_count: 0
    .wavefront_size: 64
  - .agpr_count:     0
    .args:
      - .offset:         0
        .size:           120
        .value_kind:     by_value
    .group_segment_fixed_size: 0
    .kernarg_segment_align: 8
    .kernarg_segment_size: 120
    .language:       OpenCL C
    .language_version:
      - 2
      - 0
    .max_flat_workgroup_size: 256
    .name:           _ZN7rocprim17ROCPRIM_400000_NS6detail17trampoline_kernelINS0_14default_configENS1_29reduce_by_key_config_selectorIffN6thrust23THRUST_200600_302600_NS4plusIfEEEEZZNS1_33reduce_by_key_impl_wrapped_configILNS1_25lookback_scan_determinismE0ES3_S9_NS6_6detail15normal_iteratorINS6_10device_ptrIfEEEESG_SG_SG_PmS8_22is_equal_div_10_reduceIfEEE10hipError_tPvRmT2_T3_mT4_T5_T6_T7_T8_P12ihipStream_tbENKUlT_T0_E_clISt17integral_constantIbLb0EES10_IbLb1EEEEDaSW_SX_EUlSW_E_NS1_11comp_targetILNS1_3genE3ELNS1_11target_archE908ELNS1_3gpuE7ELNS1_3repE0EEENS1_30default_config_static_selectorELNS0_4arch9wavefront6targetE1EEEvT1_
    .private_segment_fixed_size: 0
    .sgpr_count:     4
    .sgpr_spill_count: 0
    .symbol:         _ZN7rocprim17ROCPRIM_400000_NS6detail17trampoline_kernelINS0_14default_configENS1_29reduce_by_key_config_selectorIffN6thrust23THRUST_200600_302600_NS4plusIfEEEEZZNS1_33reduce_by_key_impl_wrapped_configILNS1_25lookback_scan_determinismE0ES3_S9_NS6_6detail15normal_iteratorINS6_10device_ptrIfEEEESG_SG_SG_PmS8_22is_equal_div_10_reduceIfEEE10hipError_tPvRmT2_T3_mT4_T5_T6_T7_T8_P12ihipStream_tbENKUlT_T0_E_clISt17integral_constantIbLb0EES10_IbLb1EEEEDaSW_SX_EUlSW_E_NS1_11comp_targetILNS1_3genE3ELNS1_11target_archE908ELNS1_3gpuE7ELNS1_3repE0EEENS1_30default_config_static_selectorELNS0_4arch9wavefront6targetE1EEEvT1_.kd
    .uniform_work_group_size: 1
    .uses_dynamic_stack: false
    .vgpr_count:     0
    .vgpr_spill_count: 0
    .wavefront_size: 64
  - .agpr_count:     0
    .args:
      - .offset:         0
        .size:           120
        .value_kind:     by_value
    .group_segment_fixed_size: 0
    .kernarg_segment_align: 8
    .kernarg_segment_size: 120
    .language:       OpenCL C
    .language_version:
      - 2
      - 0
    .max_flat_workgroup_size: 256
    .name:           _ZN7rocprim17ROCPRIM_400000_NS6detail17trampoline_kernelINS0_14default_configENS1_29reduce_by_key_config_selectorIffN6thrust23THRUST_200600_302600_NS4plusIfEEEEZZNS1_33reduce_by_key_impl_wrapped_configILNS1_25lookback_scan_determinismE0ES3_S9_NS6_6detail15normal_iteratorINS6_10device_ptrIfEEEESG_SG_SG_PmS8_22is_equal_div_10_reduceIfEEE10hipError_tPvRmT2_T3_mT4_T5_T6_T7_T8_P12ihipStream_tbENKUlT_T0_E_clISt17integral_constantIbLb0EES10_IbLb1EEEEDaSW_SX_EUlSW_E_NS1_11comp_targetILNS1_3genE2ELNS1_11target_archE906ELNS1_3gpuE6ELNS1_3repE0EEENS1_30default_config_static_selectorELNS0_4arch9wavefront6targetE1EEEvT1_
    .private_segment_fixed_size: 0
    .sgpr_count:     4
    .sgpr_spill_count: 0
    .symbol:         _ZN7rocprim17ROCPRIM_400000_NS6detail17trampoline_kernelINS0_14default_configENS1_29reduce_by_key_config_selectorIffN6thrust23THRUST_200600_302600_NS4plusIfEEEEZZNS1_33reduce_by_key_impl_wrapped_configILNS1_25lookback_scan_determinismE0ES3_S9_NS6_6detail15normal_iteratorINS6_10device_ptrIfEEEESG_SG_SG_PmS8_22is_equal_div_10_reduceIfEEE10hipError_tPvRmT2_T3_mT4_T5_T6_T7_T8_P12ihipStream_tbENKUlT_T0_E_clISt17integral_constantIbLb0EES10_IbLb1EEEEDaSW_SX_EUlSW_E_NS1_11comp_targetILNS1_3genE2ELNS1_11target_archE906ELNS1_3gpuE6ELNS1_3repE0EEENS1_30default_config_static_selectorELNS0_4arch9wavefront6targetE1EEEvT1_.kd
    .uniform_work_group_size: 1
    .uses_dynamic_stack: false
    .vgpr_count:     0
    .vgpr_spill_count: 0
    .wavefront_size: 64
  - .agpr_count:     0
    .args:
      - .offset:         0
        .size:           120
        .value_kind:     by_value
    .group_segment_fixed_size: 0
    .kernarg_segment_align: 8
    .kernarg_segment_size: 120
    .language:       OpenCL C
    .language_version:
      - 2
      - 0
    .max_flat_workgroup_size: 256
    .name:           _ZN7rocprim17ROCPRIM_400000_NS6detail17trampoline_kernelINS0_14default_configENS1_29reduce_by_key_config_selectorIffN6thrust23THRUST_200600_302600_NS4plusIfEEEEZZNS1_33reduce_by_key_impl_wrapped_configILNS1_25lookback_scan_determinismE0ES3_S9_NS6_6detail15normal_iteratorINS6_10device_ptrIfEEEESG_SG_SG_PmS8_22is_equal_div_10_reduceIfEEE10hipError_tPvRmT2_T3_mT4_T5_T6_T7_T8_P12ihipStream_tbENKUlT_T0_E_clISt17integral_constantIbLb0EES10_IbLb1EEEEDaSW_SX_EUlSW_E_NS1_11comp_targetILNS1_3genE10ELNS1_11target_archE1201ELNS1_3gpuE5ELNS1_3repE0EEENS1_30default_config_static_selectorELNS0_4arch9wavefront6targetE1EEEvT1_
    .private_segment_fixed_size: 0
    .sgpr_count:     4
    .sgpr_spill_count: 0
    .symbol:         _ZN7rocprim17ROCPRIM_400000_NS6detail17trampoline_kernelINS0_14default_configENS1_29reduce_by_key_config_selectorIffN6thrust23THRUST_200600_302600_NS4plusIfEEEEZZNS1_33reduce_by_key_impl_wrapped_configILNS1_25lookback_scan_determinismE0ES3_S9_NS6_6detail15normal_iteratorINS6_10device_ptrIfEEEESG_SG_SG_PmS8_22is_equal_div_10_reduceIfEEE10hipError_tPvRmT2_T3_mT4_T5_T6_T7_T8_P12ihipStream_tbENKUlT_T0_E_clISt17integral_constantIbLb0EES10_IbLb1EEEEDaSW_SX_EUlSW_E_NS1_11comp_targetILNS1_3genE10ELNS1_11target_archE1201ELNS1_3gpuE5ELNS1_3repE0EEENS1_30default_config_static_selectorELNS0_4arch9wavefront6targetE1EEEvT1_.kd
    .uniform_work_group_size: 1
    .uses_dynamic_stack: false
    .vgpr_count:     0
    .vgpr_spill_count: 0
    .wavefront_size: 64
  - .agpr_count:     0
    .args:
      - .offset:         0
        .size:           120
        .value_kind:     by_value
    .group_segment_fixed_size: 0
    .kernarg_segment_align: 8
    .kernarg_segment_size: 120
    .language:       OpenCL C
    .language_version:
      - 2
      - 0
    .max_flat_workgroup_size: 256
    .name:           _ZN7rocprim17ROCPRIM_400000_NS6detail17trampoline_kernelINS0_14default_configENS1_29reduce_by_key_config_selectorIffN6thrust23THRUST_200600_302600_NS4plusIfEEEEZZNS1_33reduce_by_key_impl_wrapped_configILNS1_25lookback_scan_determinismE0ES3_S9_NS6_6detail15normal_iteratorINS6_10device_ptrIfEEEESG_SG_SG_PmS8_22is_equal_div_10_reduceIfEEE10hipError_tPvRmT2_T3_mT4_T5_T6_T7_T8_P12ihipStream_tbENKUlT_T0_E_clISt17integral_constantIbLb0EES10_IbLb1EEEEDaSW_SX_EUlSW_E_NS1_11comp_targetILNS1_3genE10ELNS1_11target_archE1200ELNS1_3gpuE4ELNS1_3repE0EEENS1_30default_config_static_selectorELNS0_4arch9wavefront6targetE1EEEvT1_
    .private_segment_fixed_size: 0
    .sgpr_count:     4
    .sgpr_spill_count: 0
    .symbol:         _ZN7rocprim17ROCPRIM_400000_NS6detail17trampoline_kernelINS0_14default_configENS1_29reduce_by_key_config_selectorIffN6thrust23THRUST_200600_302600_NS4plusIfEEEEZZNS1_33reduce_by_key_impl_wrapped_configILNS1_25lookback_scan_determinismE0ES3_S9_NS6_6detail15normal_iteratorINS6_10device_ptrIfEEEESG_SG_SG_PmS8_22is_equal_div_10_reduceIfEEE10hipError_tPvRmT2_T3_mT4_T5_T6_T7_T8_P12ihipStream_tbENKUlT_T0_E_clISt17integral_constantIbLb0EES10_IbLb1EEEEDaSW_SX_EUlSW_E_NS1_11comp_targetILNS1_3genE10ELNS1_11target_archE1200ELNS1_3gpuE4ELNS1_3repE0EEENS1_30default_config_static_selectorELNS0_4arch9wavefront6targetE1EEEvT1_.kd
    .uniform_work_group_size: 1
    .uses_dynamic_stack: false
    .vgpr_count:     0
    .vgpr_spill_count: 0
    .wavefront_size: 64
  - .agpr_count:     0
    .args:
      - .offset:         0
        .size:           120
        .value_kind:     by_value
    .group_segment_fixed_size: 0
    .kernarg_segment_align: 8
    .kernarg_segment_size: 120
    .language:       OpenCL C
    .language_version:
      - 2
      - 0
    .max_flat_workgroup_size: 256
    .name:           _ZN7rocprim17ROCPRIM_400000_NS6detail17trampoline_kernelINS0_14default_configENS1_29reduce_by_key_config_selectorIffN6thrust23THRUST_200600_302600_NS4plusIfEEEEZZNS1_33reduce_by_key_impl_wrapped_configILNS1_25lookback_scan_determinismE0ES3_S9_NS6_6detail15normal_iteratorINS6_10device_ptrIfEEEESG_SG_SG_PmS8_22is_equal_div_10_reduceIfEEE10hipError_tPvRmT2_T3_mT4_T5_T6_T7_T8_P12ihipStream_tbENKUlT_T0_E_clISt17integral_constantIbLb0EES10_IbLb1EEEEDaSW_SX_EUlSW_E_NS1_11comp_targetILNS1_3genE9ELNS1_11target_archE1100ELNS1_3gpuE3ELNS1_3repE0EEENS1_30default_config_static_selectorELNS0_4arch9wavefront6targetE1EEEvT1_
    .private_segment_fixed_size: 0
    .sgpr_count:     4
    .sgpr_spill_count: 0
    .symbol:         _ZN7rocprim17ROCPRIM_400000_NS6detail17trampoline_kernelINS0_14default_configENS1_29reduce_by_key_config_selectorIffN6thrust23THRUST_200600_302600_NS4plusIfEEEEZZNS1_33reduce_by_key_impl_wrapped_configILNS1_25lookback_scan_determinismE0ES3_S9_NS6_6detail15normal_iteratorINS6_10device_ptrIfEEEESG_SG_SG_PmS8_22is_equal_div_10_reduceIfEEE10hipError_tPvRmT2_T3_mT4_T5_T6_T7_T8_P12ihipStream_tbENKUlT_T0_E_clISt17integral_constantIbLb0EES10_IbLb1EEEEDaSW_SX_EUlSW_E_NS1_11comp_targetILNS1_3genE9ELNS1_11target_archE1100ELNS1_3gpuE3ELNS1_3repE0EEENS1_30default_config_static_selectorELNS0_4arch9wavefront6targetE1EEEvT1_.kd
    .uniform_work_group_size: 1
    .uses_dynamic_stack: false
    .vgpr_count:     0
    .vgpr_spill_count: 0
    .wavefront_size: 64
  - .agpr_count:     0
    .args:
      - .offset:         0
        .size:           120
        .value_kind:     by_value
    .group_segment_fixed_size: 0
    .kernarg_segment_align: 8
    .kernarg_segment_size: 120
    .language:       OpenCL C
    .language_version:
      - 2
      - 0
    .max_flat_workgroup_size: 256
    .name:           _ZN7rocprim17ROCPRIM_400000_NS6detail17trampoline_kernelINS0_14default_configENS1_29reduce_by_key_config_selectorIffN6thrust23THRUST_200600_302600_NS4plusIfEEEEZZNS1_33reduce_by_key_impl_wrapped_configILNS1_25lookback_scan_determinismE0ES3_S9_NS6_6detail15normal_iteratorINS6_10device_ptrIfEEEESG_SG_SG_PmS8_22is_equal_div_10_reduceIfEEE10hipError_tPvRmT2_T3_mT4_T5_T6_T7_T8_P12ihipStream_tbENKUlT_T0_E_clISt17integral_constantIbLb0EES10_IbLb1EEEEDaSW_SX_EUlSW_E_NS1_11comp_targetILNS1_3genE8ELNS1_11target_archE1030ELNS1_3gpuE2ELNS1_3repE0EEENS1_30default_config_static_selectorELNS0_4arch9wavefront6targetE1EEEvT1_
    .private_segment_fixed_size: 0
    .sgpr_count:     4
    .sgpr_spill_count: 0
    .symbol:         _ZN7rocprim17ROCPRIM_400000_NS6detail17trampoline_kernelINS0_14default_configENS1_29reduce_by_key_config_selectorIffN6thrust23THRUST_200600_302600_NS4plusIfEEEEZZNS1_33reduce_by_key_impl_wrapped_configILNS1_25lookback_scan_determinismE0ES3_S9_NS6_6detail15normal_iteratorINS6_10device_ptrIfEEEESG_SG_SG_PmS8_22is_equal_div_10_reduceIfEEE10hipError_tPvRmT2_T3_mT4_T5_T6_T7_T8_P12ihipStream_tbENKUlT_T0_E_clISt17integral_constantIbLb0EES10_IbLb1EEEEDaSW_SX_EUlSW_E_NS1_11comp_targetILNS1_3genE8ELNS1_11target_archE1030ELNS1_3gpuE2ELNS1_3repE0EEENS1_30default_config_static_selectorELNS0_4arch9wavefront6targetE1EEEvT1_.kd
    .uniform_work_group_size: 1
    .uses_dynamic_stack: false
    .vgpr_count:     0
    .vgpr_spill_count: 0
    .wavefront_size: 64
  - .agpr_count:     0
    .args:
      - .offset:         0
        .size:           16
        .value_kind:     by_value
      - .offset:         16
        .size:           8
        .value_kind:     by_value
      - .offset:         24
        .size:           8
        .value_kind:     by_value
    .group_segment_fixed_size: 0
    .kernarg_segment_align: 8
    .kernarg_segment_size: 32
    .language:       OpenCL C
    .language_version:
      - 2
      - 0
    .max_flat_workgroup_size: 256
    .name:           _ZN6thrust23THRUST_200600_302600_NS11hip_rocprim14__parallel_for6kernelILj256ENS1_20__uninitialized_fill7functorINS0_10device_ptrIyEEyEEmLj1EEEvT0_T1_SA_
    .private_segment_fixed_size: 0
    .sgpr_count:     20
    .sgpr_spill_count: 0
    .symbol:         _ZN6thrust23THRUST_200600_302600_NS11hip_rocprim14__parallel_for6kernelILj256ENS1_20__uninitialized_fill7functorINS0_10device_ptrIyEEyEEmLj1EEEvT0_T1_SA_.kd
    .uniform_work_group_size: 1
    .uses_dynamic_stack: false
    .vgpr_count:     5
    .vgpr_spill_count: 0
    .wavefront_size: 64
  - .agpr_count:     0
    .args:
      - .offset:         0
        .size:           24
        .value_kind:     by_value
      - .offset:         24
        .size:           4
        .value_kind:     by_value
      - .offset:         28
        .size:           1
        .value_kind:     by_value
      - .offset:         32
        .size:           4
        .value_kind:     by_value
      - .address_space:  global
        .offset:         40
        .size:           8
        .value_kind:     global_buffer
      - .address_space:  global
        .offset:         48
        .size:           8
        .value_kind:     global_buffer
      - .offset:         56
        .size:           1
        .value_kind:     by_value
      - .offset:         64
        .size:           4
        .value_kind:     hidden_block_count_x
      - .offset:         68
        .size:           4
        .value_kind:     hidden_block_count_y
      - .offset:         72
        .size:           4
        .value_kind:     hidden_block_count_z
      - .offset:         76
        .size:           2
        .value_kind:     hidden_group_size_x
      - .offset:         78
        .size:           2
        .value_kind:     hidden_group_size_y
      - .offset:         80
        .size:           2
        .value_kind:     hidden_group_size_z
      - .offset:         82
        .size:           2
        .value_kind:     hidden_remainder_x
      - .offset:         84
        .size:           2
        .value_kind:     hidden_remainder_y
      - .offset:         86
        .size:           2
        .value_kind:     hidden_remainder_z
      - .offset:         104
        .size:           8
        .value_kind:     hidden_global_offset_x
      - .offset:         112
        .size:           8
        .value_kind:     hidden_global_offset_y
      - .offset:         120
        .size:           8
        .value_kind:     hidden_global_offset_z
      - .offset:         128
        .size:           2
        .value_kind:     hidden_grid_dims
    .group_segment_fixed_size: 0
    .kernarg_segment_align: 8
    .kernarg_segment_size: 320
    .language:       OpenCL C
    .language_version:
      - 2
      - 0
    .max_flat_workgroup_size: 256
    .name:           _ZN7rocprim17ROCPRIM_400000_NS6detail25reduce_by_key_init_kernelINS1_19lookback_scan_stateINS0_5tupleIJjyEEELb0ELb0EEEyNS1_16block_id_wrapperIjLb0EEEEEvT_jbjPmPT0_T1_
    .private_segment_fixed_size: 0
    .sgpr_count:     22
    .sgpr_spill_count: 0
    .symbol:         _ZN7rocprim17ROCPRIM_400000_NS6detail25reduce_by_key_init_kernelINS1_19lookback_scan_stateINS0_5tupleIJjyEEELb0ELb0EEEyNS1_16block_id_wrapperIjLb0EEEEEvT_jbjPmPT0_T1_.kd
    .uniform_work_group_size: 1
    .uses_dynamic_stack: false
    .vgpr_count:     7
    .vgpr_spill_count: 0
    .wavefront_size: 64
  - .agpr_count:     0
    .args:
      - .offset:         0
        .size:           136
        .value_kind:     by_value
    .group_segment_fixed_size: 0
    .kernarg_segment_align: 8
    .kernarg_segment_size: 136
    .language:       OpenCL C
    .language_version:
      - 2
      - 0
    .max_flat_workgroup_size: 256
    .name:           _ZN7rocprim17ROCPRIM_400000_NS6detail17trampoline_kernelINS0_14default_configENS1_29reduce_by_key_config_selectorIyyN6thrust23THRUST_200600_302600_NS4plusIyEEEEZZNS1_33reduce_by_key_impl_wrapped_configILNS1_25lookback_scan_determinismE0ES3_S9_NS6_6detail15normal_iteratorINS6_10device_ptrIyEEEESG_SG_SG_PmS8_NS6_8equal_toIyEEEE10hipError_tPvRmT2_T3_mT4_T5_T6_T7_T8_P12ihipStream_tbENKUlT_T0_E_clISt17integral_constantIbLb0EES11_EEDaSW_SX_EUlSW_E_NS1_11comp_targetILNS1_3genE0ELNS1_11target_archE4294967295ELNS1_3gpuE0ELNS1_3repE0EEENS1_30default_config_static_selectorELNS0_4arch9wavefront6targetE1EEEvT1_
    .private_segment_fixed_size: 0
    .sgpr_count:     4
    .sgpr_spill_count: 0
    .symbol:         _ZN7rocprim17ROCPRIM_400000_NS6detail17trampoline_kernelINS0_14default_configENS1_29reduce_by_key_config_selectorIyyN6thrust23THRUST_200600_302600_NS4plusIyEEEEZZNS1_33reduce_by_key_impl_wrapped_configILNS1_25lookback_scan_determinismE0ES3_S9_NS6_6detail15normal_iteratorINS6_10device_ptrIyEEEESG_SG_SG_PmS8_NS6_8equal_toIyEEEE10hipError_tPvRmT2_T3_mT4_T5_T6_T7_T8_P12ihipStream_tbENKUlT_T0_E_clISt17integral_constantIbLb0EES11_EEDaSW_SX_EUlSW_E_NS1_11comp_targetILNS1_3genE0ELNS1_11target_archE4294967295ELNS1_3gpuE0ELNS1_3repE0EEENS1_30default_config_static_selectorELNS0_4arch9wavefront6targetE1EEEvT1_.kd
    .uniform_work_group_size: 1
    .uses_dynamic_stack: false
    .vgpr_count:     0
    .vgpr_spill_count: 0
    .wavefront_size: 64
  - .agpr_count:     0
    .args:
      - .offset:         0
        .size:           136
        .value_kind:     by_value
    .group_segment_fixed_size: 0
    .kernarg_segment_align: 8
    .kernarg_segment_size: 136
    .language:       OpenCL C
    .language_version:
      - 2
      - 0
    .max_flat_workgroup_size: 256
    .name:           _ZN7rocprim17ROCPRIM_400000_NS6detail17trampoline_kernelINS0_14default_configENS1_29reduce_by_key_config_selectorIyyN6thrust23THRUST_200600_302600_NS4plusIyEEEEZZNS1_33reduce_by_key_impl_wrapped_configILNS1_25lookback_scan_determinismE0ES3_S9_NS6_6detail15normal_iteratorINS6_10device_ptrIyEEEESG_SG_SG_PmS8_NS6_8equal_toIyEEEE10hipError_tPvRmT2_T3_mT4_T5_T6_T7_T8_P12ihipStream_tbENKUlT_T0_E_clISt17integral_constantIbLb0EES11_EEDaSW_SX_EUlSW_E_NS1_11comp_targetILNS1_3genE5ELNS1_11target_archE942ELNS1_3gpuE9ELNS1_3repE0EEENS1_30default_config_static_selectorELNS0_4arch9wavefront6targetE1EEEvT1_
    .private_segment_fixed_size: 0
    .sgpr_count:     4
    .sgpr_spill_count: 0
    .symbol:         _ZN7rocprim17ROCPRIM_400000_NS6detail17trampoline_kernelINS0_14default_configENS1_29reduce_by_key_config_selectorIyyN6thrust23THRUST_200600_302600_NS4plusIyEEEEZZNS1_33reduce_by_key_impl_wrapped_configILNS1_25lookback_scan_determinismE0ES3_S9_NS6_6detail15normal_iteratorINS6_10device_ptrIyEEEESG_SG_SG_PmS8_NS6_8equal_toIyEEEE10hipError_tPvRmT2_T3_mT4_T5_T6_T7_T8_P12ihipStream_tbENKUlT_T0_E_clISt17integral_constantIbLb0EES11_EEDaSW_SX_EUlSW_E_NS1_11comp_targetILNS1_3genE5ELNS1_11target_archE942ELNS1_3gpuE9ELNS1_3repE0EEENS1_30default_config_static_selectorELNS0_4arch9wavefront6targetE1EEEvT1_.kd
    .uniform_work_group_size: 1
    .uses_dynamic_stack: false
    .vgpr_count:     0
    .vgpr_spill_count: 0
    .wavefront_size: 64
  - .agpr_count:     0
    .args:
      - .offset:         0
        .size:           136
        .value_kind:     by_value
    .group_segment_fixed_size: 30720
    .kernarg_segment_align: 8
    .kernarg_segment_size: 136
    .language:       OpenCL C
    .language_version:
      - 2
      - 0
    .max_flat_workgroup_size: 256
    .name:           _ZN7rocprim17ROCPRIM_400000_NS6detail17trampoline_kernelINS0_14default_configENS1_29reduce_by_key_config_selectorIyyN6thrust23THRUST_200600_302600_NS4plusIyEEEEZZNS1_33reduce_by_key_impl_wrapped_configILNS1_25lookback_scan_determinismE0ES3_S9_NS6_6detail15normal_iteratorINS6_10device_ptrIyEEEESG_SG_SG_PmS8_NS6_8equal_toIyEEEE10hipError_tPvRmT2_T3_mT4_T5_T6_T7_T8_P12ihipStream_tbENKUlT_T0_E_clISt17integral_constantIbLb0EES11_EEDaSW_SX_EUlSW_E_NS1_11comp_targetILNS1_3genE4ELNS1_11target_archE910ELNS1_3gpuE8ELNS1_3repE0EEENS1_30default_config_static_selectorELNS0_4arch9wavefront6targetE1EEEvT1_
    .private_segment_fixed_size: 0
    .sgpr_count:     69
    .sgpr_spill_count: 0
    .symbol:         _ZN7rocprim17ROCPRIM_400000_NS6detail17trampoline_kernelINS0_14default_configENS1_29reduce_by_key_config_selectorIyyN6thrust23THRUST_200600_302600_NS4plusIyEEEEZZNS1_33reduce_by_key_impl_wrapped_configILNS1_25lookback_scan_determinismE0ES3_S9_NS6_6detail15normal_iteratorINS6_10device_ptrIyEEEESG_SG_SG_PmS8_NS6_8equal_toIyEEEE10hipError_tPvRmT2_T3_mT4_T5_T6_T7_T8_P12ihipStream_tbENKUlT_T0_E_clISt17integral_constantIbLb0EES11_EEDaSW_SX_EUlSW_E_NS1_11comp_targetILNS1_3genE4ELNS1_11target_archE910ELNS1_3gpuE8ELNS1_3repE0EEENS1_30default_config_static_selectorELNS0_4arch9wavefront6targetE1EEEvT1_.kd
    .uniform_work_group_size: 1
    .uses_dynamic_stack: false
    .vgpr_count:     118
    .vgpr_spill_count: 0
    .wavefront_size: 64
  - .agpr_count:     0
    .args:
      - .offset:         0
        .size:           136
        .value_kind:     by_value
    .group_segment_fixed_size: 0
    .kernarg_segment_align: 8
    .kernarg_segment_size: 136
    .language:       OpenCL C
    .language_version:
      - 2
      - 0
    .max_flat_workgroup_size: 256
    .name:           _ZN7rocprim17ROCPRIM_400000_NS6detail17trampoline_kernelINS0_14default_configENS1_29reduce_by_key_config_selectorIyyN6thrust23THRUST_200600_302600_NS4plusIyEEEEZZNS1_33reduce_by_key_impl_wrapped_configILNS1_25lookback_scan_determinismE0ES3_S9_NS6_6detail15normal_iteratorINS6_10device_ptrIyEEEESG_SG_SG_PmS8_NS6_8equal_toIyEEEE10hipError_tPvRmT2_T3_mT4_T5_T6_T7_T8_P12ihipStream_tbENKUlT_T0_E_clISt17integral_constantIbLb0EES11_EEDaSW_SX_EUlSW_E_NS1_11comp_targetILNS1_3genE3ELNS1_11target_archE908ELNS1_3gpuE7ELNS1_3repE0EEENS1_30default_config_static_selectorELNS0_4arch9wavefront6targetE1EEEvT1_
    .private_segment_fixed_size: 0
    .sgpr_count:     4
    .sgpr_spill_count: 0
    .symbol:         _ZN7rocprim17ROCPRIM_400000_NS6detail17trampoline_kernelINS0_14default_configENS1_29reduce_by_key_config_selectorIyyN6thrust23THRUST_200600_302600_NS4plusIyEEEEZZNS1_33reduce_by_key_impl_wrapped_configILNS1_25lookback_scan_determinismE0ES3_S9_NS6_6detail15normal_iteratorINS6_10device_ptrIyEEEESG_SG_SG_PmS8_NS6_8equal_toIyEEEE10hipError_tPvRmT2_T3_mT4_T5_T6_T7_T8_P12ihipStream_tbENKUlT_T0_E_clISt17integral_constantIbLb0EES11_EEDaSW_SX_EUlSW_E_NS1_11comp_targetILNS1_3genE3ELNS1_11target_archE908ELNS1_3gpuE7ELNS1_3repE0EEENS1_30default_config_static_selectorELNS0_4arch9wavefront6targetE1EEEvT1_.kd
    .uniform_work_group_size: 1
    .uses_dynamic_stack: false
    .vgpr_count:     0
    .vgpr_spill_count: 0
    .wavefront_size: 64
  - .agpr_count:     0
    .args:
      - .offset:         0
        .size:           136
        .value_kind:     by_value
    .group_segment_fixed_size: 0
    .kernarg_segment_align: 8
    .kernarg_segment_size: 136
    .language:       OpenCL C
    .language_version:
      - 2
      - 0
    .max_flat_workgroup_size: 256
    .name:           _ZN7rocprim17ROCPRIM_400000_NS6detail17trampoline_kernelINS0_14default_configENS1_29reduce_by_key_config_selectorIyyN6thrust23THRUST_200600_302600_NS4plusIyEEEEZZNS1_33reduce_by_key_impl_wrapped_configILNS1_25lookback_scan_determinismE0ES3_S9_NS6_6detail15normal_iteratorINS6_10device_ptrIyEEEESG_SG_SG_PmS8_NS6_8equal_toIyEEEE10hipError_tPvRmT2_T3_mT4_T5_T6_T7_T8_P12ihipStream_tbENKUlT_T0_E_clISt17integral_constantIbLb0EES11_EEDaSW_SX_EUlSW_E_NS1_11comp_targetILNS1_3genE2ELNS1_11target_archE906ELNS1_3gpuE6ELNS1_3repE0EEENS1_30default_config_static_selectorELNS0_4arch9wavefront6targetE1EEEvT1_
    .private_segment_fixed_size: 0
    .sgpr_count:     4
    .sgpr_spill_count: 0
    .symbol:         _ZN7rocprim17ROCPRIM_400000_NS6detail17trampoline_kernelINS0_14default_configENS1_29reduce_by_key_config_selectorIyyN6thrust23THRUST_200600_302600_NS4plusIyEEEEZZNS1_33reduce_by_key_impl_wrapped_configILNS1_25lookback_scan_determinismE0ES3_S9_NS6_6detail15normal_iteratorINS6_10device_ptrIyEEEESG_SG_SG_PmS8_NS6_8equal_toIyEEEE10hipError_tPvRmT2_T3_mT4_T5_T6_T7_T8_P12ihipStream_tbENKUlT_T0_E_clISt17integral_constantIbLb0EES11_EEDaSW_SX_EUlSW_E_NS1_11comp_targetILNS1_3genE2ELNS1_11target_archE906ELNS1_3gpuE6ELNS1_3repE0EEENS1_30default_config_static_selectorELNS0_4arch9wavefront6targetE1EEEvT1_.kd
    .uniform_work_group_size: 1
    .uses_dynamic_stack: false
    .vgpr_count:     0
    .vgpr_spill_count: 0
    .wavefront_size: 64
  - .agpr_count:     0
    .args:
      - .offset:         0
        .size:           136
        .value_kind:     by_value
    .group_segment_fixed_size: 0
    .kernarg_segment_align: 8
    .kernarg_segment_size: 136
    .language:       OpenCL C
    .language_version:
      - 2
      - 0
    .max_flat_workgroup_size: 256
    .name:           _ZN7rocprim17ROCPRIM_400000_NS6detail17trampoline_kernelINS0_14default_configENS1_29reduce_by_key_config_selectorIyyN6thrust23THRUST_200600_302600_NS4plusIyEEEEZZNS1_33reduce_by_key_impl_wrapped_configILNS1_25lookback_scan_determinismE0ES3_S9_NS6_6detail15normal_iteratorINS6_10device_ptrIyEEEESG_SG_SG_PmS8_NS6_8equal_toIyEEEE10hipError_tPvRmT2_T3_mT4_T5_T6_T7_T8_P12ihipStream_tbENKUlT_T0_E_clISt17integral_constantIbLb0EES11_EEDaSW_SX_EUlSW_E_NS1_11comp_targetILNS1_3genE10ELNS1_11target_archE1201ELNS1_3gpuE5ELNS1_3repE0EEENS1_30default_config_static_selectorELNS0_4arch9wavefront6targetE1EEEvT1_
    .private_segment_fixed_size: 0
    .sgpr_count:     4
    .sgpr_spill_count: 0
    .symbol:         _ZN7rocprim17ROCPRIM_400000_NS6detail17trampoline_kernelINS0_14default_configENS1_29reduce_by_key_config_selectorIyyN6thrust23THRUST_200600_302600_NS4plusIyEEEEZZNS1_33reduce_by_key_impl_wrapped_configILNS1_25lookback_scan_determinismE0ES3_S9_NS6_6detail15normal_iteratorINS6_10device_ptrIyEEEESG_SG_SG_PmS8_NS6_8equal_toIyEEEE10hipError_tPvRmT2_T3_mT4_T5_T6_T7_T8_P12ihipStream_tbENKUlT_T0_E_clISt17integral_constantIbLb0EES11_EEDaSW_SX_EUlSW_E_NS1_11comp_targetILNS1_3genE10ELNS1_11target_archE1201ELNS1_3gpuE5ELNS1_3repE0EEENS1_30default_config_static_selectorELNS0_4arch9wavefront6targetE1EEEvT1_.kd
    .uniform_work_group_size: 1
    .uses_dynamic_stack: false
    .vgpr_count:     0
    .vgpr_spill_count: 0
    .wavefront_size: 64
  - .agpr_count:     0
    .args:
      - .offset:         0
        .size:           136
        .value_kind:     by_value
    .group_segment_fixed_size: 0
    .kernarg_segment_align: 8
    .kernarg_segment_size: 136
    .language:       OpenCL C
    .language_version:
      - 2
      - 0
    .max_flat_workgroup_size: 256
    .name:           _ZN7rocprim17ROCPRIM_400000_NS6detail17trampoline_kernelINS0_14default_configENS1_29reduce_by_key_config_selectorIyyN6thrust23THRUST_200600_302600_NS4plusIyEEEEZZNS1_33reduce_by_key_impl_wrapped_configILNS1_25lookback_scan_determinismE0ES3_S9_NS6_6detail15normal_iteratorINS6_10device_ptrIyEEEESG_SG_SG_PmS8_NS6_8equal_toIyEEEE10hipError_tPvRmT2_T3_mT4_T5_T6_T7_T8_P12ihipStream_tbENKUlT_T0_E_clISt17integral_constantIbLb0EES11_EEDaSW_SX_EUlSW_E_NS1_11comp_targetILNS1_3genE10ELNS1_11target_archE1200ELNS1_3gpuE4ELNS1_3repE0EEENS1_30default_config_static_selectorELNS0_4arch9wavefront6targetE1EEEvT1_
    .private_segment_fixed_size: 0
    .sgpr_count:     4
    .sgpr_spill_count: 0
    .symbol:         _ZN7rocprim17ROCPRIM_400000_NS6detail17trampoline_kernelINS0_14default_configENS1_29reduce_by_key_config_selectorIyyN6thrust23THRUST_200600_302600_NS4plusIyEEEEZZNS1_33reduce_by_key_impl_wrapped_configILNS1_25lookback_scan_determinismE0ES3_S9_NS6_6detail15normal_iteratorINS6_10device_ptrIyEEEESG_SG_SG_PmS8_NS6_8equal_toIyEEEE10hipError_tPvRmT2_T3_mT4_T5_T6_T7_T8_P12ihipStream_tbENKUlT_T0_E_clISt17integral_constantIbLb0EES11_EEDaSW_SX_EUlSW_E_NS1_11comp_targetILNS1_3genE10ELNS1_11target_archE1200ELNS1_3gpuE4ELNS1_3repE0EEENS1_30default_config_static_selectorELNS0_4arch9wavefront6targetE1EEEvT1_.kd
    .uniform_work_group_size: 1
    .uses_dynamic_stack: false
    .vgpr_count:     0
    .vgpr_spill_count: 0
    .wavefront_size: 64
  - .agpr_count:     0
    .args:
      - .offset:         0
        .size:           136
        .value_kind:     by_value
    .group_segment_fixed_size: 0
    .kernarg_segment_align: 8
    .kernarg_segment_size: 136
    .language:       OpenCL C
    .language_version:
      - 2
      - 0
    .max_flat_workgroup_size: 256
    .name:           _ZN7rocprim17ROCPRIM_400000_NS6detail17trampoline_kernelINS0_14default_configENS1_29reduce_by_key_config_selectorIyyN6thrust23THRUST_200600_302600_NS4plusIyEEEEZZNS1_33reduce_by_key_impl_wrapped_configILNS1_25lookback_scan_determinismE0ES3_S9_NS6_6detail15normal_iteratorINS6_10device_ptrIyEEEESG_SG_SG_PmS8_NS6_8equal_toIyEEEE10hipError_tPvRmT2_T3_mT4_T5_T6_T7_T8_P12ihipStream_tbENKUlT_T0_E_clISt17integral_constantIbLb0EES11_EEDaSW_SX_EUlSW_E_NS1_11comp_targetILNS1_3genE9ELNS1_11target_archE1100ELNS1_3gpuE3ELNS1_3repE0EEENS1_30default_config_static_selectorELNS0_4arch9wavefront6targetE1EEEvT1_
    .private_segment_fixed_size: 0
    .sgpr_count:     4
    .sgpr_spill_count: 0
    .symbol:         _ZN7rocprim17ROCPRIM_400000_NS6detail17trampoline_kernelINS0_14default_configENS1_29reduce_by_key_config_selectorIyyN6thrust23THRUST_200600_302600_NS4plusIyEEEEZZNS1_33reduce_by_key_impl_wrapped_configILNS1_25lookback_scan_determinismE0ES3_S9_NS6_6detail15normal_iteratorINS6_10device_ptrIyEEEESG_SG_SG_PmS8_NS6_8equal_toIyEEEE10hipError_tPvRmT2_T3_mT4_T5_T6_T7_T8_P12ihipStream_tbENKUlT_T0_E_clISt17integral_constantIbLb0EES11_EEDaSW_SX_EUlSW_E_NS1_11comp_targetILNS1_3genE9ELNS1_11target_archE1100ELNS1_3gpuE3ELNS1_3repE0EEENS1_30default_config_static_selectorELNS0_4arch9wavefront6targetE1EEEvT1_.kd
    .uniform_work_group_size: 1
    .uses_dynamic_stack: false
    .vgpr_count:     0
    .vgpr_spill_count: 0
    .wavefront_size: 64
  - .agpr_count:     0
    .args:
      - .offset:         0
        .size:           136
        .value_kind:     by_value
    .group_segment_fixed_size: 0
    .kernarg_segment_align: 8
    .kernarg_segment_size: 136
    .language:       OpenCL C
    .language_version:
      - 2
      - 0
    .max_flat_workgroup_size: 256
    .name:           _ZN7rocprim17ROCPRIM_400000_NS6detail17trampoline_kernelINS0_14default_configENS1_29reduce_by_key_config_selectorIyyN6thrust23THRUST_200600_302600_NS4plusIyEEEEZZNS1_33reduce_by_key_impl_wrapped_configILNS1_25lookback_scan_determinismE0ES3_S9_NS6_6detail15normal_iteratorINS6_10device_ptrIyEEEESG_SG_SG_PmS8_NS6_8equal_toIyEEEE10hipError_tPvRmT2_T3_mT4_T5_T6_T7_T8_P12ihipStream_tbENKUlT_T0_E_clISt17integral_constantIbLb0EES11_EEDaSW_SX_EUlSW_E_NS1_11comp_targetILNS1_3genE8ELNS1_11target_archE1030ELNS1_3gpuE2ELNS1_3repE0EEENS1_30default_config_static_selectorELNS0_4arch9wavefront6targetE1EEEvT1_
    .private_segment_fixed_size: 0
    .sgpr_count:     4
    .sgpr_spill_count: 0
    .symbol:         _ZN7rocprim17ROCPRIM_400000_NS6detail17trampoline_kernelINS0_14default_configENS1_29reduce_by_key_config_selectorIyyN6thrust23THRUST_200600_302600_NS4plusIyEEEEZZNS1_33reduce_by_key_impl_wrapped_configILNS1_25lookback_scan_determinismE0ES3_S9_NS6_6detail15normal_iteratorINS6_10device_ptrIyEEEESG_SG_SG_PmS8_NS6_8equal_toIyEEEE10hipError_tPvRmT2_T3_mT4_T5_T6_T7_T8_P12ihipStream_tbENKUlT_T0_E_clISt17integral_constantIbLb0EES11_EEDaSW_SX_EUlSW_E_NS1_11comp_targetILNS1_3genE8ELNS1_11target_archE1030ELNS1_3gpuE2ELNS1_3repE0EEENS1_30default_config_static_selectorELNS0_4arch9wavefront6targetE1EEEvT1_.kd
    .uniform_work_group_size: 1
    .uses_dynamic_stack: false
    .vgpr_count:     0
    .vgpr_spill_count: 0
    .wavefront_size: 64
  - .agpr_count:     0
    .args:
      - .offset:         0
        .size:           24
        .value_kind:     by_value
      - .offset:         24
        .size:           4
        .value_kind:     by_value
      - .offset:         28
        .size:           1
        .value_kind:     by_value
      - .offset:         32
        .size:           4
        .value_kind:     by_value
      - .address_space:  global
        .offset:         40
        .size:           8
        .value_kind:     global_buffer
      - .address_space:  global
        .offset:         48
        .size:           8
        .value_kind:     global_buffer
      - .address_space:  global
        .offset:         56
        .size:           8
        .value_kind:     global_buffer
      - .offset:         64
        .size:           4
        .value_kind:     hidden_block_count_x
      - .offset:         68
        .size:           4
        .value_kind:     hidden_block_count_y
      - .offset:         72
        .size:           4
        .value_kind:     hidden_block_count_z
      - .offset:         76
        .size:           2
        .value_kind:     hidden_group_size_x
      - .offset:         78
        .size:           2
        .value_kind:     hidden_group_size_y
      - .offset:         80
        .size:           2
        .value_kind:     hidden_group_size_z
      - .offset:         82
        .size:           2
        .value_kind:     hidden_remainder_x
      - .offset:         84
        .size:           2
        .value_kind:     hidden_remainder_y
      - .offset:         86
        .size:           2
        .value_kind:     hidden_remainder_z
      - .offset:         104
        .size:           8
        .value_kind:     hidden_global_offset_x
      - .offset:         112
        .size:           8
        .value_kind:     hidden_global_offset_y
      - .offset:         120
        .size:           8
        .value_kind:     hidden_global_offset_z
      - .offset:         128
        .size:           2
        .value_kind:     hidden_grid_dims
    .group_segment_fixed_size: 0
    .kernarg_segment_align: 8
    .kernarg_segment_size: 320
    .language:       OpenCL C
    .language_version:
      - 2
      - 0
    .max_flat_workgroup_size: 256
    .name:           _ZN7rocprim17ROCPRIM_400000_NS6detail25reduce_by_key_init_kernelINS1_19lookback_scan_stateINS0_5tupleIJjyEEELb1ELb0EEEyNS1_16block_id_wrapperIjLb1EEEEEvT_jbjPmPT0_T1_
    .private_segment_fixed_size: 0
    .sgpr_count:     26
    .sgpr_spill_count: 0
    .symbol:         _ZN7rocprim17ROCPRIM_400000_NS6detail25reduce_by_key_init_kernelINS1_19lookback_scan_stateINS0_5tupleIJjyEEELb1ELb0EEEyNS1_16block_id_wrapperIjLb1EEEEEvT_jbjPmPT0_T1_.kd
    .uniform_work_group_size: 1
    .uses_dynamic_stack: false
    .vgpr_count:     7
    .vgpr_spill_count: 0
    .wavefront_size: 64
  - .agpr_count:     0
    .args:
      - .offset:         0
        .size:           136
        .value_kind:     by_value
    .group_segment_fixed_size: 0
    .kernarg_segment_align: 8
    .kernarg_segment_size: 136
    .language:       OpenCL C
    .language_version:
      - 2
      - 0
    .max_flat_workgroup_size: 256
    .name:           _ZN7rocprim17ROCPRIM_400000_NS6detail17trampoline_kernelINS0_14default_configENS1_29reduce_by_key_config_selectorIyyN6thrust23THRUST_200600_302600_NS4plusIyEEEEZZNS1_33reduce_by_key_impl_wrapped_configILNS1_25lookback_scan_determinismE0ES3_S9_NS6_6detail15normal_iteratorINS6_10device_ptrIyEEEESG_SG_SG_PmS8_NS6_8equal_toIyEEEE10hipError_tPvRmT2_T3_mT4_T5_T6_T7_T8_P12ihipStream_tbENKUlT_T0_E_clISt17integral_constantIbLb1EES11_EEDaSW_SX_EUlSW_E_NS1_11comp_targetILNS1_3genE0ELNS1_11target_archE4294967295ELNS1_3gpuE0ELNS1_3repE0EEENS1_30default_config_static_selectorELNS0_4arch9wavefront6targetE1EEEvT1_
    .private_segment_fixed_size: 0
    .sgpr_count:     4
    .sgpr_spill_count: 0
    .symbol:         _ZN7rocprim17ROCPRIM_400000_NS6detail17trampoline_kernelINS0_14default_configENS1_29reduce_by_key_config_selectorIyyN6thrust23THRUST_200600_302600_NS4plusIyEEEEZZNS1_33reduce_by_key_impl_wrapped_configILNS1_25lookback_scan_determinismE0ES3_S9_NS6_6detail15normal_iteratorINS6_10device_ptrIyEEEESG_SG_SG_PmS8_NS6_8equal_toIyEEEE10hipError_tPvRmT2_T3_mT4_T5_T6_T7_T8_P12ihipStream_tbENKUlT_T0_E_clISt17integral_constantIbLb1EES11_EEDaSW_SX_EUlSW_E_NS1_11comp_targetILNS1_3genE0ELNS1_11target_archE4294967295ELNS1_3gpuE0ELNS1_3repE0EEENS1_30default_config_static_selectorELNS0_4arch9wavefront6targetE1EEEvT1_.kd
    .uniform_work_group_size: 1
    .uses_dynamic_stack: false
    .vgpr_count:     0
    .vgpr_spill_count: 0
    .wavefront_size: 64
  - .agpr_count:     0
    .args:
      - .offset:         0
        .size:           136
        .value_kind:     by_value
    .group_segment_fixed_size: 0
    .kernarg_segment_align: 8
    .kernarg_segment_size: 136
    .language:       OpenCL C
    .language_version:
      - 2
      - 0
    .max_flat_workgroup_size: 256
    .name:           _ZN7rocprim17ROCPRIM_400000_NS6detail17trampoline_kernelINS0_14default_configENS1_29reduce_by_key_config_selectorIyyN6thrust23THRUST_200600_302600_NS4plusIyEEEEZZNS1_33reduce_by_key_impl_wrapped_configILNS1_25lookback_scan_determinismE0ES3_S9_NS6_6detail15normal_iteratorINS6_10device_ptrIyEEEESG_SG_SG_PmS8_NS6_8equal_toIyEEEE10hipError_tPvRmT2_T3_mT4_T5_T6_T7_T8_P12ihipStream_tbENKUlT_T0_E_clISt17integral_constantIbLb1EES11_EEDaSW_SX_EUlSW_E_NS1_11comp_targetILNS1_3genE5ELNS1_11target_archE942ELNS1_3gpuE9ELNS1_3repE0EEENS1_30default_config_static_selectorELNS0_4arch9wavefront6targetE1EEEvT1_
    .private_segment_fixed_size: 0
    .sgpr_count:     4
    .sgpr_spill_count: 0
    .symbol:         _ZN7rocprim17ROCPRIM_400000_NS6detail17trampoline_kernelINS0_14default_configENS1_29reduce_by_key_config_selectorIyyN6thrust23THRUST_200600_302600_NS4plusIyEEEEZZNS1_33reduce_by_key_impl_wrapped_configILNS1_25lookback_scan_determinismE0ES3_S9_NS6_6detail15normal_iteratorINS6_10device_ptrIyEEEESG_SG_SG_PmS8_NS6_8equal_toIyEEEE10hipError_tPvRmT2_T3_mT4_T5_T6_T7_T8_P12ihipStream_tbENKUlT_T0_E_clISt17integral_constantIbLb1EES11_EEDaSW_SX_EUlSW_E_NS1_11comp_targetILNS1_3genE5ELNS1_11target_archE942ELNS1_3gpuE9ELNS1_3repE0EEENS1_30default_config_static_selectorELNS0_4arch9wavefront6targetE1EEEvT1_.kd
    .uniform_work_group_size: 1
    .uses_dynamic_stack: false
    .vgpr_count:     0
    .vgpr_spill_count: 0
    .wavefront_size: 64
  - .agpr_count:     0
    .args:
      - .offset:         0
        .size:           136
        .value_kind:     by_value
    .group_segment_fixed_size: 30720
    .kernarg_segment_align: 8
    .kernarg_segment_size: 136
    .language:       OpenCL C
    .language_version:
      - 2
      - 0
    .max_flat_workgroup_size: 256
    .name:           _ZN7rocprim17ROCPRIM_400000_NS6detail17trampoline_kernelINS0_14default_configENS1_29reduce_by_key_config_selectorIyyN6thrust23THRUST_200600_302600_NS4plusIyEEEEZZNS1_33reduce_by_key_impl_wrapped_configILNS1_25lookback_scan_determinismE0ES3_S9_NS6_6detail15normal_iteratorINS6_10device_ptrIyEEEESG_SG_SG_PmS8_NS6_8equal_toIyEEEE10hipError_tPvRmT2_T3_mT4_T5_T6_T7_T8_P12ihipStream_tbENKUlT_T0_E_clISt17integral_constantIbLb1EES11_EEDaSW_SX_EUlSW_E_NS1_11comp_targetILNS1_3genE4ELNS1_11target_archE910ELNS1_3gpuE8ELNS1_3repE0EEENS1_30default_config_static_selectorELNS0_4arch9wavefront6targetE1EEEvT1_
    .private_segment_fixed_size: 0
    .sgpr_count:     70
    .sgpr_spill_count: 0
    .symbol:         _ZN7rocprim17ROCPRIM_400000_NS6detail17trampoline_kernelINS0_14default_configENS1_29reduce_by_key_config_selectorIyyN6thrust23THRUST_200600_302600_NS4plusIyEEEEZZNS1_33reduce_by_key_impl_wrapped_configILNS1_25lookback_scan_determinismE0ES3_S9_NS6_6detail15normal_iteratorINS6_10device_ptrIyEEEESG_SG_SG_PmS8_NS6_8equal_toIyEEEE10hipError_tPvRmT2_T3_mT4_T5_T6_T7_T8_P12ihipStream_tbENKUlT_T0_E_clISt17integral_constantIbLb1EES11_EEDaSW_SX_EUlSW_E_NS1_11comp_targetILNS1_3genE4ELNS1_11target_archE910ELNS1_3gpuE8ELNS1_3repE0EEENS1_30default_config_static_selectorELNS0_4arch9wavefront6targetE1EEEvT1_.kd
    .uniform_work_group_size: 1
    .uses_dynamic_stack: false
    .vgpr_count:     118
    .vgpr_spill_count: 0
    .wavefront_size: 64
  - .agpr_count:     0
    .args:
      - .offset:         0
        .size:           136
        .value_kind:     by_value
    .group_segment_fixed_size: 0
    .kernarg_segment_align: 8
    .kernarg_segment_size: 136
    .language:       OpenCL C
    .language_version:
      - 2
      - 0
    .max_flat_workgroup_size: 256
    .name:           _ZN7rocprim17ROCPRIM_400000_NS6detail17trampoline_kernelINS0_14default_configENS1_29reduce_by_key_config_selectorIyyN6thrust23THRUST_200600_302600_NS4plusIyEEEEZZNS1_33reduce_by_key_impl_wrapped_configILNS1_25lookback_scan_determinismE0ES3_S9_NS6_6detail15normal_iteratorINS6_10device_ptrIyEEEESG_SG_SG_PmS8_NS6_8equal_toIyEEEE10hipError_tPvRmT2_T3_mT4_T5_T6_T7_T8_P12ihipStream_tbENKUlT_T0_E_clISt17integral_constantIbLb1EES11_EEDaSW_SX_EUlSW_E_NS1_11comp_targetILNS1_3genE3ELNS1_11target_archE908ELNS1_3gpuE7ELNS1_3repE0EEENS1_30default_config_static_selectorELNS0_4arch9wavefront6targetE1EEEvT1_
    .private_segment_fixed_size: 0
    .sgpr_count:     4
    .sgpr_spill_count: 0
    .symbol:         _ZN7rocprim17ROCPRIM_400000_NS6detail17trampoline_kernelINS0_14default_configENS1_29reduce_by_key_config_selectorIyyN6thrust23THRUST_200600_302600_NS4plusIyEEEEZZNS1_33reduce_by_key_impl_wrapped_configILNS1_25lookback_scan_determinismE0ES3_S9_NS6_6detail15normal_iteratorINS6_10device_ptrIyEEEESG_SG_SG_PmS8_NS6_8equal_toIyEEEE10hipError_tPvRmT2_T3_mT4_T5_T6_T7_T8_P12ihipStream_tbENKUlT_T0_E_clISt17integral_constantIbLb1EES11_EEDaSW_SX_EUlSW_E_NS1_11comp_targetILNS1_3genE3ELNS1_11target_archE908ELNS1_3gpuE7ELNS1_3repE0EEENS1_30default_config_static_selectorELNS0_4arch9wavefront6targetE1EEEvT1_.kd
    .uniform_work_group_size: 1
    .uses_dynamic_stack: false
    .vgpr_count:     0
    .vgpr_spill_count: 0
    .wavefront_size: 64
  - .agpr_count:     0
    .args:
      - .offset:         0
        .size:           136
        .value_kind:     by_value
    .group_segment_fixed_size: 0
    .kernarg_segment_align: 8
    .kernarg_segment_size: 136
    .language:       OpenCL C
    .language_version:
      - 2
      - 0
    .max_flat_workgroup_size: 256
    .name:           _ZN7rocprim17ROCPRIM_400000_NS6detail17trampoline_kernelINS0_14default_configENS1_29reduce_by_key_config_selectorIyyN6thrust23THRUST_200600_302600_NS4plusIyEEEEZZNS1_33reduce_by_key_impl_wrapped_configILNS1_25lookback_scan_determinismE0ES3_S9_NS6_6detail15normal_iteratorINS6_10device_ptrIyEEEESG_SG_SG_PmS8_NS6_8equal_toIyEEEE10hipError_tPvRmT2_T3_mT4_T5_T6_T7_T8_P12ihipStream_tbENKUlT_T0_E_clISt17integral_constantIbLb1EES11_EEDaSW_SX_EUlSW_E_NS1_11comp_targetILNS1_3genE2ELNS1_11target_archE906ELNS1_3gpuE6ELNS1_3repE0EEENS1_30default_config_static_selectorELNS0_4arch9wavefront6targetE1EEEvT1_
    .private_segment_fixed_size: 0
    .sgpr_count:     4
    .sgpr_spill_count: 0
    .symbol:         _ZN7rocprim17ROCPRIM_400000_NS6detail17trampoline_kernelINS0_14default_configENS1_29reduce_by_key_config_selectorIyyN6thrust23THRUST_200600_302600_NS4plusIyEEEEZZNS1_33reduce_by_key_impl_wrapped_configILNS1_25lookback_scan_determinismE0ES3_S9_NS6_6detail15normal_iteratorINS6_10device_ptrIyEEEESG_SG_SG_PmS8_NS6_8equal_toIyEEEE10hipError_tPvRmT2_T3_mT4_T5_T6_T7_T8_P12ihipStream_tbENKUlT_T0_E_clISt17integral_constantIbLb1EES11_EEDaSW_SX_EUlSW_E_NS1_11comp_targetILNS1_3genE2ELNS1_11target_archE906ELNS1_3gpuE6ELNS1_3repE0EEENS1_30default_config_static_selectorELNS0_4arch9wavefront6targetE1EEEvT1_.kd
    .uniform_work_group_size: 1
    .uses_dynamic_stack: false
    .vgpr_count:     0
    .vgpr_spill_count: 0
    .wavefront_size: 64
  - .agpr_count:     0
    .args:
      - .offset:         0
        .size:           136
        .value_kind:     by_value
    .group_segment_fixed_size: 0
    .kernarg_segment_align: 8
    .kernarg_segment_size: 136
    .language:       OpenCL C
    .language_version:
      - 2
      - 0
    .max_flat_workgroup_size: 256
    .name:           _ZN7rocprim17ROCPRIM_400000_NS6detail17trampoline_kernelINS0_14default_configENS1_29reduce_by_key_config_selectorIyyN6thrust23THRUST_200600_302600_NS4plusIyEEEEZZNS1_33reduce_by_key_impl_wrapped_configILNS1_25lookback_scan_determinismE0ES3_S9_NS6_6detail15normal_iteratorINS6_10device_ptrIyEEEESG_SG_SG_PmS8_NS6_8equal_toIyEEEE10hipError_tPvRmT2_T3_mT4_T5_T6_T7_T8_P12ihipStream_tbENKUlT_T0_E_clISt17integral_constantIbLb1EES11_EEDaSW_SX_EUlSW_E_NS1_11comp_targetILNS1_3genE10ELNS1_11target_archE1201ELNS1_3gpuE5ELNS1_3repE0EEENS1_30default_config_static_selectorELNS0_4arch9wavefront6targetE1EEEvT1_
    .private_segment_fixed_size: 0
    .sgpr_count:     4
    .sgpr_spill_count: 0
    .symbol:         _ZN7rocprim17ROCPRIM_400000_NS6detail17trampoline_kernelINS0_14default_configENS1_29reduce_by_key_config_selectorIyyN6thrust23THRUST_200600_302600_NS4plusIyEEEEZZNS1_33reduce_by_key_impl_wrapped_configILNS1_25lookback_scan_determinismE0ES3_S9_NS6_6detail15normal_iteratorINS6_10device_ptrIyEEEESG_SG_SG_PmS8_NS6_8equal_toIyEEEE10hipError_tPvRmT2_T3_mT4_T5_T6_T7_T8_P12ihipStream_tbENKUlT_T0_E_clISt17integral_constantIbLb1EES11_EEDaSW_SX_EUlSW_E_NS1_11comp_targetILNS1_3genE10ELNS1_11target_archE1201ELNS1_3gpuE5ELNS1_3repE0EEENS1_30default_config_static_selectorELNS0_4arch9wavefront6targetE1EEEvT1_.kd
    .uniform_work_group_size: 1
    .uses_dynamic_stack: false
    .vgpr_count:     0
    .vgpr_spill_count: 0
    .wavefront_size: 64
  - .agpr_count:     0
    .args:
      - .offset:         0
        .size:           136
        .value_kind:     by_value
    .group_segment_fixed_size: 0
    .kernarg_segment_align: 8
    .kernarg_segment_size: 136
    .language:       OpenCL C
    .language_version:
      - 2
      - 0
    .max_flat_workgroup_size: 256
    .name:           _ZN7rocprim17ROCPRIM_400000_NS6detail17trampoline_kernelINS0_14default_configENS1_29reduce_by_key_config_selectorIyyN6thrust23THRUST_200600_302600_NS4plusIyEEEEZZNS1_33reduce_by_key_impl_wrapped_configILNS1_25lookback_scan_determinismE0ES3_S9_NS6_6detail15normal_iteratorINS6_10device_ptrIyEEEESG_SG_SG_PmS8_NS6_8equal_toIyEEEE10hipError_tPvRmT2_T3_mT4_T5_T6_T7_T8_P12ihipStream_tbENKUlT_T0_E_clISt17integral_constantIbLb1EES11_EEDaSW_SX_EUlSW_E_NS1_11comp_targetILNS1_3genE10ELNS1_11target_archE1200ELNS1_3gpuE4ELNS1_3repE0EEENS1_30default_config_static_selectorELNS0_4arch9wavefront6targetE1EEEvT1_
    .private_segment_fixed_size: 0
    .sgpr_count:     4
    .sgpr_spill_count: 0
    .symbol:         _ZN7rocprim17ROCPRIM_400000_NS6detail17trampoline_kernelINS0_14default_configENS1_29reduce_by_key_config_selectorIyyN6thrust23THRUST_200600_302600_NS4plusIyEEEEZZNS1_33reduce_by_key_impl_wrapped_configILNS1_25lookback_scan_determinismE0ES3_S9_NS6_6detail15normal_iteratorINS6_10device_ptrIyEEEESG_SG_SG_PmS8_NS6_8equal_toIyEEEE10hipError_tPvRmT2_T3_mT4_T5_T6_T7_T8_P12ihipStream_tbENKUlT_T0_E_clISt17integral_constantIbLb1EES11_EEDaSW_SX_EUlSW_E_NS1_11comp_targetILNS1_3genE10ELNS1_11target_archE1200ELNS1_3gpuE4ELNS1_3repE0EEENS1_30default_config_static_selectorELNS0_4arch9wavefront6targetE1EEEvT1_.kd
    .uniform_work_group_size: 1
    .uses_dynamic_stack: false
    .vgpr_count:     0
    .vgpr_spill_count: 0
    .wavefront_size: 64
  - .agpr_count:     0
    .args:
      - .offset:         0
        .size:           136
        .value_kind:     by_value
    .group_segment_fixed_size: 0
    .kernarg_segment_align: 8
    .kernarg_segment_size: 136
    .language:       OpenCL C
    .language_version:
      - 2
      - 0
    .max_flat_workgroup_size: 256
    .name:           _ZN7rocprim17ROCPRIM_400000_NS6detail17trampoline_kernelINS0_14default_configENS1_29reduce_by_key_config_selectorIyyN6thrust23THRUST_200600_302600_NS4plusIyEEEEZZNS1_33reduce_by_key_impl_wrapped_configILNS1_25lookback_scan_determinismE0ES3_S9_NS6_6detail15normal_iteratorINS6_10device_ptrIyEEEESG_SG_SG_PmS8_NS6_8equal_toIyEEEE10hipError_tPvRmT2_T3_mT4_T5_T6_T7_T8_P12ihipStream_tbENKUlT_T0_E_clISt17integral_constantIbLb1EES11_EEDaSW_SX_EUlSW_E_NS1_11comp_targetILNS1_3genE9ELNS1_11target_archE1100ELNS1_3gpuE3ELNS1_3repE0EEENS1_30default_config_static_selectorELNS0_4arch9wavefront6targetE1EEEvT1_
    .private_segment_fixed_size: 0
    .sgpr_count:     4
    .sgpr_spill_count: 0
    .symbol:         _ZN7rocprim17ROCPRIM_400000_NS6detail17trampoline_kernelINS0_14default_configENS1_29reduce_by_key_config_selectorIyyN6thrust23THRUST_200600_302600_NS4plusIyEEEEZZNS1_33reduce_by_key_impl_wrapped_configILNS1_25lookback_scan_determinismE0ES3_S9_NS6_6detail15normal_iteratorINS6_10device_ptrIyEEEESG_SG_SG_PmS8_NS6_8equal_toIyEEEE10hipError_tPvRmT2_T3_mT4_T5_T6_T7_T8_P12ihipStream_tbENKUlT_T0_E_clISt17integral_constantIbLb1EES11_EEDaSW_SX_EUlSW_E_NS1_11comp_targetILNS1_3genE9ELNS1_11target_archE1100ELNS1_3gpuE3ELNS1_3repE0EEENS1_30default_config_static_selectorELNS0_4arch9wavefront6targetE1EEEvT1_.kd
    .uniform_work_group_size: 1
    .uses_dynamic_stack: false
    .vgpr_count:     0
    .vgpr_spill_count: 0
    .wavefront_size: 64
  - .agpr_count:     0
    .args:
      - .offset:         0
        .size:           136
        .value_kind:     by_value
    .group_segment_fixed_size: 0
    .kernarg_segment_align: 8
    .kernarg_segment_size: 136
    .language:       OpenCL C
    .language_version:
      - 2
      - 0
    .max_flat_workgroup_size: 256
    .name:           _ZN7rocprim17ROCPRIM_400000_NS6detail17trampoline_kernelINS0_14default_configENS1_29reduce_by_key_config_selectorIyyN6thrust23THRUST_200600_302600_NS4plusIyEEEEZZNS1_33reduce_by_key_impl_wrapped_configILNS1_25lookback_scan_determinismE0ES3_S9_NS6_6detail15normal_iteratorINS6_10device_ptrIyEEEESG_SG_SG_PmS8_NS6_8equal_toIyEEEE10hipError_tPvRmT2_T3_mT4_T5_T6_T7_T8_P12ihipStream_tbENKUlT_T0_E_clISt17integral_constantIbLb1EES11_EEDaSW_SX_EUlSW_E_NS1_11comp_targetILNS1_3genE8ELNS1_11target_archE1030ELNS1_3gpuE2ELNS1_3repE0EEENS1_30default_config_static_selectorELNS0_4arch9wavefront6targetE1EEEvT1_
    .private_segment_fixed_size: 0
    .sgpr_count:     4
    .sgpr_spill_count: 0
    .symbol:         _ZN7rocprim17ROCPRIM_400000_NS6detail17trampoline_kernelINS0_14default_configENS1_29reduce_by_key_config_selectorIyyN6thrust23THRUST_200600_302600_NS4plusIyEEEEZZNS1_33reduce_by_key_impl_wrapped_configILNS1_25lookback_scan_determinismE0ES3_S9_NS6_6detail15normal_iteratorINS6_10device_ptrIyEEEESG_SG_SG_PmS8_NS6_8equal_toIyEEEE10hipError_tPvRmT2_T3_mT4_T5_T6_T7_T8_P12ihipStream_tbENKUlT_T0_E_clISt17integral_constantIbLb1EES11_EEDaSW_SX_EUlSW_E_NS1_11comp_targetILNS1_3genE8ELNS1_11target_archE1030ELNS1_3gpuE2ELNS1_3repE0EEENS1_30default_config_static_selectorELNS0_4arch9wavefront6targetE1EEEvT1_.kd
    .uniform_work_group_size: 1
    .uses_dynamic_stack: false
    .vgpr_count:     0
    .vgpr_spill_count: 0
    .wavefront_size: 64
  - .agpr_count:     0
    .args:
      - .offset:         0
        .size:           24
        .value_kind:     by_value
      - .offset:         24
        .size:           4
        .value_kind:     by_value
      - .offset:         28
        .size:           1
        .value_kind:     by_value
      - .offset:         32
        .size:           4
        .value_kind:     by_value
      - .address_space:  global
        .offset:         40
        .size:           8
        .value_kind:     global_buffer
      - .address_space:  global
        .offset:         48
        .size:           8
        .value_kind:     global_buffer
      - .offset:         56
        .size:           1
        .value_kind:     by_value
      - .offset:         64
        .size:           4
        .value_kind:     hidden_block_count_x
      - .offset:         68
        .size:           4
        .value_kind:     hidden_block_count_y
      - .offset:         72
        .size:           4
        .value_kind:     hidden_block_count_z
      - .offset:         76
        .size:           2
        .value_kind:     hidden_group_size_x
      - .offset:         78
        .size:           2
        .value_kind:     hidden_group_size_y
      - .offset:         80
        .size:           2
        .value_kind:     hidden_group_size_z
      - .offset:         82
        .size:           2
        .value_kind:     hidden_remainder_x
      - .offset:         84
        .size:           2
        .value_kind:     hidden_remainder_y
      - .offset:         86
        .size:           2
        .value_kind:     hidden_remainder_z
      - .offset:         104
        .size:           8
        .value_kind:     hidden_global_offset_x
      - .offset:         112
        .size:           8
        .value_kind:     hidden_global_offset_y
      - .offset:         120
        .size:           8
        .value_kind:     hidden_global_offset_z
      - .offset:         128
        .size:           2
        .value_kind:     hidden_grid_dims
    .group_segment_fixed_size: 0
    .kernarg_segment_align: 8
    .kernarg_segment_size: 320
    .language:       OpenCL C
    .language_version:
      - 2
      - 0
    .max_flat_workgroup_size: 256
    .name:           _ZN7rocprim17ROCPRIM_400000_NS6detail25reduce_by_key_init_kernelINS1_19lookback_scan_stateINS0_5tupleIJjyEEELb1ELb0EEEyNS1_16block_id_wrapperIjLb0EEEEEvT_jbjPmPT0_T1_
    .private_segment_fixed_size: 0
    .sgpr_count:     24
    .sgpr_spill_count: 0
    .symbol:         _ZN7rocprim17ROCPRIM_400000_NS6detail25reduce_by_key_init_kernelINS1_19lookback_scan_stateINS0_5tupleIJjyEEELb1ELb0EEEyNS1_16block_id_wrapperIjLb0EEEEEvT_jbjPmPT0_T1_.kd
    .uniform_work_group_size: 1
    .uses_dynamic_stack: false
    .vgpr_count:     7
    .vgpr_spill_count: 0
    .wavefront_size: 64
  - .agpr_count:     0
    .args:
      - .offset:         0
        .size:           136
        .value_kind:     by_value
    .group_segment_fixed_size: 0
    .kernarg_segment_align: 8
    .kernarg_segment_size: 136
    .language:       OpenCL C
    .language_version:
      - 2
      - 0
    .max_flat_workgroup_size: 256
    .name:           _ZN7rocprim17ROCPRIM_400000_NS6detail17trampoline_kernelINS0_14default_configENS1_29reduce_by_key_config_selectorIyyN6thrust23THRUST_200600_302600_NS4plusIyEEEEZZNS1_33reduce_by_key_impl_wrapped_configILNS1_25lookback_scan_determinismE0ES3_S9_NS6_6detail15normal_iteratorINS6_10device_ptrIyEEEESG_SG_SG_PmS8_NS6_8equal_toIyEEEE10hipError_tPvRmT2_T3_mT4_T5_T6_T7_T8_P12ihipStream_tbENKUlT_T0_E_clISt17integral_constantIbLb1EES10_IbLb0EEEEDaSW_SX_EUlSW_E_NS1_11comp_targetILNS1_3genE0ELNS1_11target_archE4294967295ELNS1_3gpuE0ELNS1_3repE0EEENS1_30default_config_static_selectorELNS0_4arch9wavefront6targetE1EEEvT1_
    .private_segment_fixed_size: 0
    .sgpr_count:     4
    .sgpr_spill_count: 0
    .symbol:         _ZN7rocprim17ROCPRIM_400000_NS6detail17trampoline_kernelINS0_14default_configENS1_29reduce_by_key_config_selectorIyyN6thrust23THRUST_200600_302600_NS4plusIyEEEEZZNS1_33reduce_by_key_impl_wrapped_configILNS1_25lookback_scan_determinismE0ES3_S9_NS6_6detail15normal_iteratorINS6_10device_ptrIyEEEESG_SG_SG_PmS8_NS6_8equal_toIyEEEE10hipError_tPvRmT2_T3_mT4_T5_T6_T7_T8_P12ihipStream_tbENKUlT_T0_E_clISt17integral_constantIbLb1EES10_IbLb0EEEEDaSW_SX_EUlSW_E_NS1_11comp_targetILNS1_3genE0ELNS1_11target_archE4294967295ELNS1_3gpuE0ELNS1_3repE0EEENS1_30default_config_static_selectorELNS0_4arch9wavefront6targetE1EEEvT1_.kd
    .uniform_work_group_size: 1
    .uses_dynamic_stack: false
    .vgpr_count:     0
    .vgpr_spill_count: 0
    .wavefront_size: 64
  - .agpr_count:     0
    .args:
      - .offset:         0
        .size:           136
        .value_kind:     by_value
    .group_segment_fixed_size: 0
    .kernarg_segment_align: 8
    .kernarg_segment_size: 136
    .language:       OpenCL C
    .language_version:
      - 2
      - 0
    .max_flat_workgroup_size: 256
    .name:           _ZN7rocprim17ROCPRIM_400000_NS6detail17trampoline_kernelINS0_14default_configENS1_29reduce_by_key_config_selectorIyyN6thrust23THRUST_200600_302600_NS4plusIyEEEEZZNS1_33reduce_by_key_impl_wrapped_configILNS1_25lookback_scan_determinismE0ES3_S9_NS6_6detail15normal_iteratorINS6_10device_ptrIyEEEESG_SG_SG_PmS8_NS6_8equal_toIyEEEE10hipError_tPvRmT2_T3_mT4_T5_T6_T7_T8_P12ihipStream_tbENKUlT_T0_E_clISt17integral_constantIbLb1EES10_IbLb0EEEEDaSW_SX_EUlSW_E_NS1_11comp_targetILNS1_3genE5ELNS1_11target_archE942ELNS1_3gpuE9ELNS1_3repE0EEENS1_30default_config_static_selectorELNS0_4arch9wavefront6targetE1EEEvT1_
    .private_segment_fixed_size: 0
    .sgpr_count:     4
    .sgpr_spill_count: 0
    .symbol:         _ZN7rocprim17ROCPRIM_400000_NS6detail17trampoline_kernelINS0_14default_configENS1_29reduce_by_key_config_selectorIyyN6thrust23THRUST_200600_302600_NS4plusIyEEEEZZNS1_33reduce_by_key_impl_wrapped_configILNS1_25lookback_scan_determinismE0ES3_S9_NS6_6detail15normal_iteratorINS6_10device_ptrIyEEEESG_SG_SG_PmS8_NS6_8equal_toIyEEEE10hipError_tPvRmT2_T3_mT4_T5_T6_T7_T8_P12ihipStream_tbENKUlT_T0_E_clISt17integral_constantIbLb1EES10_IbLb0EEEEDaSW_SX_EUlSW_E_NS1_11comp_targetILNS1_3genE5ELNS1_11target_archE942ELNS1_3gpuE9ELNS1_3repE0EEENS1_30default_config_static_selectorELNS0_4arch9wavefront6targetE1EEEvT1_.kd
    .uniform_work_group_size: 1
    .uses_dynamic_stack: false
    .vgpr_count:     0
    .vgpr_spill_count: 0
    .wavefront_size: 64
  - .agpr_count:     0
    .args:
      - .offset:         0
        .size:           136
        .value_kind:     by_value
    .group_segment_fixed_size: 30720
    .kernarg_segment_align: 8
    .kernarg_segment_size: 136
    .language:       OpenCL C
    .language_version:
      - 2
      - 0
    .max_flat_workgroup_size: 256
    .name:           _ZN7rocprim17ROCPRIM_400000_NS6detail17trampoline_kernelINS0_14default_configENS1_29reduce_by_key_config_selectorIyyN6thrust23THRUST_200600_302600_NS4plusIyEEEEZZNS1_33reduce_by_key_impl_wrapped_configILNS1_25lookback_scan_determinismE0ES3_S9_NS6_6detail15normal_iteratorINS6_10device_ptrIyEEEESG_SG_SG_PmS8_NS6_8equal_toIyEEEE10hipError_tPvRmT2_T3_mT4_T5_T6_T7_T8_P12ihipStream_tbENKUlT_T0_E_clISt17integral_constantIbLb1EES10_IbLb0EEEEDaSW_SX_EUlSW_E_NS1_11comp_targetILNS1_3genE4ELNS1_11target_archE910ELNS1_3gpuE8ELNS1_3repE0EEENS1_30default_config_static_selectorELNS0_4arch9wavefront6targetE1EEEvT1_
    .private_segment_fixed_size: 0
    .sgpr_count:     69
    .sgpr_spill_count: 0
    .symbol:         _ZN7rocprim17ROCPRIM_400000_NS6detail17trampoline_kernelINS0_14default_configENS1_29reduce_by_key_config_selectorIyyN6thrust23THRUST_200600_302600_NS4plusIyEEEEZZNS1_33reduce_by_key_impl_wrapped_configILNS1_25lookback_scan_determinismE0ES3_S9_NS6_6detail15normal_iteratorINS6_10device_ptrIyEEEESG_SG_SG_PmS8_NS6_8equal_toIyEEEE10hipError_tPvRmT2_T3_mT4_T5_T6_T7_T8_P12ihipStream_tbENKUlT_T0_E_clISt17integral_constantIbLb1EES10_IbLb0EEEEDaSW_SX_EUlSW_E_NS1_11comp_targetILNS1_3genE4ELNS1_11target_archE910ELNS1_3gpuE8ELNS1_3repE0EEENS1_30default_config_static_selectorELNS0_4arch9wavefront6targetE1EEEvT1_.kd
    .uniform_work_group_size: 1
    .uses_dynamic_stack: false
    .vgpr_count:     118
    .vgpr_spill_count: 0
    .wavefront_size: 64
  - .agpr_count:     0
    .args:
      - .offset:         0
        .size:           136
        .value_kind:     by_value
    .group_segment_fixed_size: 0
    .kernarg_segment_align: 8
    .kernarg_segment_size: 136
    .language:       OpenCL C
    .language_version:
      - 2
      - 0
    .max_flat_workgroup_size: 256
    .name:           _ZN7rocprim17ROCPRIM_400000_NS6detail17trampoline_kernelINS0_14default_configENS1_29reduce_by_key_config_selectorIyyN6thrust23THRUST_200600_302600_NS4plusIyEEEEZZNS1_33reduce_by_key_impl_wrapped_configILNS1_25lookback_scan_determinismE0ES3_S9_NS6_6detail15normal_iteratorINS6_10device_ptrIyEEEESG_SG_SG_PmS8_NS6_8equal_toIyEEEE10hipError_tPvRmT2_T3_mT4_T5_T6_T7_T8_P12ihipStream_tbENKUlT_T0_E_clISt17integral_constantIbLb1EES10_IbLb0EEEEDaSW_SX_EUlSW_E_NS1_11comp_targetILNS1_3genE3ELNS1_11target_archE908ELNS1_3gpuE7ELNS1_3repE0EEENS1_30default_config_static_selectorELNS0_4arch9wavefront6targetE1EEEvT1_
    .private_segment_fixed_size: 0
    .sgpr_count:     4
    .sgpr_spill_count: 0
    .symbol:         _ZN7rocprim17ROCPRIM_400000_NS6detail17trampoline_kernelINS0_14default_configENS1_29reduce_by_key_config_selectorIyyN6thrust23THRUST_200600_302600_NS4plusIyEEEEZZNS1_33reduce_by_key_impl_wrapped_configILNS1_25lookback_scan_determinismE0ES3_S9_NS6_6detail15normal_iteratorINS6_10device_ptrIyEEEESG_SG_SG_PmS8_NS6_8equal_toIyEEEE10hipError_tPvRmT2_T3_mT4_T5_T6_T7_T8_P12ihipStream_tbENKUlT_T0_E_clISt17integral_constantIbLb1EES10_IbLb0EEEEDaSW_SX_EUlSW_E_NS1_11comp_targetILNS1_3genE3ELNS1_11target_archE908ELNS1_3gpuE7ELNS1_3repE0EEENS1_30default_config_static_selectorELNS0_4arch9wavefront6targetE1EEEvT1_.kd
    .uniform_work_group_size: 1
    .uses_dynamic_stack: false
    .vgpr_count:     0
    .vgpr_spill_count: 0
    .wavefront_size: 64
  - .agpr_count:     0
    .args:
      - .offset:         0
        .size:           136
        .value_kind:     by_value
    .group_segment_fixed_size: 0
    .kernarg_segment_align: 8
    .kernarg_segment_size: 136
    .language:       OpenCL C
    .language_version:
      - 2
      - 0
    .max_flat_workgroup_size: 256
    .name:           _ZN7rocprim17ROCPRIM_400000_NS6detail17trampoline_kernelINS0_14default_configENS1_29reduce_by_key_config_selectorIyyN6thrust23THRUST_200600_302600_NS4plusIyEEEEZZNS1_33reduce_by_key_impl_wrapped_configILNS1_25lookback_scan_determinismE0ES3_S9_NS6_6detail15normal_iteratorINS6_10device_ptrIyEEEESG_SG_SG_PmS8_NS6_8equal_toIyEEEE10hipError_tPvRmT2_T3_mT4_T5_T6_T7_T8_P12ihipStream_tbENKUlT_T0_E_clISt17integral_constantIbLb1EES10_IbLb0EEEEDaSW_SX_EUlSW_E_NS1_11comp_targetILNS1_3genE2ELNS1_11target_archE906ELNS1_3gpuE6ELNS1_3repE0EEENS1_30default_config_static_selectorELNS0_4arch9wavefront6targetE1EEEvT1_
    .private_segment_fixed_size: 0
    .sgpr_count:     4
    .sgpr_spill_count: 0
    .symbol:         _ZN7rocprim17ROCPRIM_400000_NS6detail17trampoline_kernelINS0_14default_configENS1_29reduce_by_key_config_selectorIyyN6thrust23THRUST_200600_302600_NS4plusIyEEEEZZNS1_33reduce_by_key_impl_wrapped_configILNS1_25lookback_scan_determinismE0ES3_S9_NS6_6detail15normal_iteratorINS6_10device_ptrIyEEEESG_SG_SG_PmS8_NS6_8equal_toIyEEEE10hipError_tPvRmT2_T3_mT4_T5_T6_T7_T8_P12ihipStream_tbENKUlT_T0_E_clISt17integral_constantIbLb1EES10_IbLb0EEEEDaSW_SX_EUlSW_E_NS1_11comp_targetILNS1_3genE2ELNS1_11target_archE906ELNS1_3gpuE6ELNS1_3repE0EEENS1_30default_config_static_selectorELNS0_4arch9wavefront6targetE1EEEvT1_.kd
    .uniform_work_group_size: 1
    .uses_dynamic_stack: false
    .vgpr_count:     0
    .vgpr_spill_count: 0
    .wavefront_size: 64
  - .agpr_count:     0
    .args:
      - .offset:         0
        .size:           136
        .value_kind:     by_value
    .group_segment_fixed_size: 0
    .kernarg_segment_align: 8
    .kernarg_segment_size: 136
    .language:       OpenCL C
    .language_version:
      - 2
      - 0
    .max_flat_workgroup_size: 256
    .name:           _ZN7rocprim17ROCPRIM_400000_NS6detail17trampoline_kernelINS0_14default_configENS1_29reduce_by_key_config_selectorIyyN6thrust23THRUST_200600_302600_NS4plusIyEEEEZZNS1_33reduce_by_key_impl_wrapped_configILNS1_25lookback_scan_determinismE0ES3_S9_NS6_6detail15normal_iteratorINS6_10device_ptrIyEEEESG_SG_SG_PmS8_NS6_8equal_toIyEEEE10hipError_tPvRmT2_T3_mT4_T5_T6_T7_T8_P12ihipStream_tbENKUlT_T0_E_clISt17integral_constantIbLb1EES10_IbLb0EEEEDaSW_SX_EUlSW_E_NS1_11comp_targetILNS1_3genE10ELNS1_11target_archE1201ELNS1_3gpuE5ELNS1_3repE0EEENS1_30default_config_static_selectorELNS0_4arch9wavefront6targetE1EEEvT1_
    .private_segment_fixed_size: 0
    .sgpr_count:     4
    .sgpr_spill_count: 0
    .symbol:         _ZN7rocprim17ROCPRIM_400000_NS6detail17trampoline_kernelINS0_14default_configENS1_29reduce_by_key_config_selectorIyyN6thrust23THRUST_200600_302600_NS4plusIyEEEEZZNS1_33reduce_by_key_impl_wrapped_configILNS1_25lookback_scan_determinismE0ES3_S9_NS6_6detail15normal_iteratorINS6_10device_ptrIyEEEESG_SG_SG_PmS8_NS6_8equal_toIyEEEE10hipError_tPvRmT2_T3_mT4_T5_T6_T7_T8_P12ihipStream_tbENKUlT_T0_E_clISt17integral_constantIbLb1EES10_IbLb0EEEEDaSW_SX_EUlSW_E_NS1_11comp_targetILNS1_3genE10ELNS1_11target_archE1201ELNS1_3gpuE5ELNS1_3repE0EEENS1_30default_config_static_selectorELNS0_4arch9wavefront6targetE1EEEvT1_.kd
    .uniform_work_group_size: 1
    .uses_dynamic_stack: false
    .vgpr_count:     0
    .vgpr_spill_count: 0
    .wavefront_size: 64
  - .agpr_count:     0
    .args:
      - .offset:         0
        .size:           136
        .value_kind:     by_value
    .group_segment_fixed_size: 0
    .kernarg_segment_align: 8
    .kernarg_segment_size: 136
    .language:       OpenCL C
    .language_version:
      - 2
      - 0
    .max_flat_workgroup_size: 256
    .name:           _ZN7rocprim17ROCPRIM_400000_NS6detail17trampoline_kernelINS0_14default_configENS1_29reduce_by_key_config_selectorIyyN6thrust23THRUST_200600_302600_NS4plusIyEEEEZZNS1_33reduce_by_key_impl_wrapped_configILNS1_25lookback_scan_determinismE0ES3_S9_NS6_6detail15normal_iteratorINS6_10device_ptrIyEEEESG_SG_SG_PmS8_NS6_8equal_toIyEEEE10hipError_tPvRmT2_T3_mT4_T5_T6_T7_T8_P12ihipStream_tbENKUlT_T0_E_clISt17integral_constantIbLb1EES10_IbLb0EEEEDaSW_SX_EUlSW_E_NS1_11comp_targetILNS1_3genE10ELNS1_11target_archE1200ELNS1_3gpuE4ELNS1_3repE0EEENS1_30default_config_static_selectorELNS0_4arch9wavefront6targetE1EEEvT1_
    .private_segment_fixed_size: 0
    .sgpr_count:     4
    .sgpr_spill_count: 0
    .symbol:         _ZN7rocprim17ROCPRIM_400000_NS6detail17trampoline_kernelINS0_14default_configENS1_29reduce_by_key_config_selectorIyyN6thrust23THRUST_200600_302600_NS4plusIyEEEEZZNS1_33reduce_by_key_impl_wrapped_configILNS1_25lookback_scan_determinismE0ES3_S9_NS6_6detail15normal_iteratorINS6_10device_ptrIyEEEESG_SG_SG_PmS8_NS6_8equal_toIyEEEE10hipError_tPvRmT2_T3_mT4_T5_T6_T7_T8_P12ihipStream_tbENKUlT_T0_E_clISt17integral_constantIbLb1EES10_IbLb0EEEEDaSW_SX_EUlSW_E_NS1_11comp_targetILNS1_3genE10ELNS1_11target_archE1200ELNS1_3gpuE4ELNS1_3repE0EEENS1_30default_config_static_selectorELNS0_4arch9wavefront6targetE1EEEvT1_.kd
    .uniform_work_group_size: 1
    .uses_dynamic_stack: false
    .vgpr_count:     0
    .vgpr_spill_count: 0
    .wavefront_size: 64
  - .agpr_count:     0
    .args:
      - .offset:         0
        .size:           136
        .value_kind:     by_value
    .group_segment_fixed_size: 0
    .kernarg_segment_align: 8
    .kernarg_segment_size: 136
    .language:       OpenCL C
    .language_version:
      - 2
      - 0
    .max_flat_workgroup_size: 256
    .name:           _ZN7rocprim17ROCPRIM_400000_NS6detail17trampoline_kernelINS0_14default_configENS1_29reduce_by_key_config_selectorIyyN6thrust23THRUST_200600_302600_NS4plusIyEEEEZZNS1_33reduce_by_key_impl_wrapped_configILNS1_25lookback_scan_determinismE0ES3_S9_NS6_6detail15normal_iteratorINS6_10device_ptrIyEEEESG_SG_SG_PmS8_NS6_8equal_toIyEEEE10hipError_tPvRmT2_T3_mT4_T5_T6_T7_T8_P12ihipStream_tbENKUlT_T0_E_clISt17integral_constantIbLb1EES10_IbLb0EEEEDaSW_SX_EUlSW_E_NS1_11comp_targetILNS1_3genE9ELNS1_11target_archE1100ELNS1_3gpuE3ELNS1_3repE0EEENS1_30default_config_static_selectorELNS0_4arch9wavefront6targetE1EEEvT1_
    .private_segment_fixed_size: 0
    .sgpr_count:     4
    .sgpr_spill_count: 0
    .symbol:         _ZN7rocprim17ROCPRIM_400000_NS6detail17trampoline_kernelINS0_14default_configENS1_29reduce_by_key_config_selectorIyyN6thrust23THRUST_200600_302600_NS4plusIyEEEEZZNS1_33reduce_by_key_impl_wrapped_configILNS1_25lookback_scan_determinismE0ES3_S9_NS6_6detail15normal_iteratorINS6_10device_ptrIyEEEESG_SG_SG_PmS8_NS6_8equal_toIyEEEE10hipError_tPvRmT2_T3_mT4_T5_T6_T7_T8_P12ihipStream_tbENKUlT_T0_E_clISt17integral_constantIbLb1EES10_IbLb0EEEEDaSW_SX_EUlSW_E_NS1_11comp_targetILNS1_3genE9ELNS1_11target_archE1100ELNS1_3gpuE3ELNS1_3repE0EEENS1_30default_config_static_selectorELNS0_4arch9wavefront6targetE1EEEvT1_.kd
    .uniform_work_group_size: 1
    .uses_dynamic_stack: false
    .vgpr_count:     0
    .vgpr_spill_count: 0
    .wavefront_size: 64
  - .agpr_count:     0
    .args:
      - .offset:         0
        .size:           136
        .value_kind:     by_value
    .group_segment_fixed_size: 0
    .kernarg_segment_align: 8
    .kernarg_segment_size: 136
    .language:       OpenCL C
    .language_version:
      - 2
      - 0
    .max_flat_workgroup_size: 256
    .name:           _ZN7rocprim17ROCPRIM_400000_NS6detail17trampoline_kernelINS0_14default_configENS1_29reduce_by_key_config_selectorIyyN6thrust23THRUST_200600_302600_NS4plusIyEEEEZZNS1_33reduce_by_key_impl_wrapped_configILNS1_25lookback_scan_determinismE0ES3_S9_NS6_6detail15normal_iteratorINS6_10device_ptrIyEEEESG_SG_SG_PmS8_NS6_8equal_toIyEEEE10hipError_tPvRmT2_T3_mT4_T5_T6_T7_T8_P12ihipStream_tbENKUlT_T0_E_clISt17integral_constantIbLb1EES10_IbLb0EEEEDaSW_SX_EUlSW_E_NS1_11comp_targetILNS1_3genE8ELNS1_11target_archE1030ELNS1_3gpuE2ELNS1_3repE0EEENS1_30default_config_static_selectorELNS0_4arch9wavefront6targetE1EEEvT1_
    .private_segment_fixed_size: 0
    .sgpr_count:     4
    .sgpr_spill_count: 0
    .symbol:         _ZN7rocprim17ROCPRIM_400000_NS6detail17trampoline_kernelINS0_14default_configENS1_29reduce_by_key_config_selectorIyyN6thrust23THRUST_200600_302600_NS4plusIyEEEEZZNS1_33reduce_by_key_impl_wrapped_configILNS1_25lookback_scan_determinismE0ES3_S9_NS6_6detail15normal_iteratorINS6_10device_ptrIyEEEESG_SG_SG_PmS8_NS6_8equal_toIyEEEE10hipError_tPvRmT2_T3_mT4_T5_T6_T7_T8_P12ihipStream_tbENKUlT_T0_E_clISt17integral_constantIbLb1EES10_IbLb0EEEEDaSW_SX_EUlSW_E_NS1_11comp_targetILNS1_3genE8ELNS1_11target_archE1030ELNS1_3gpuE2ELNS1_3repE0EEENS1_30default_config_static_selectorELNS0_4arch9wavefront6targetE1EEEvT1_.kd
    .uniform_work_group_size: 1
    .uses_dynamic_stack: false
    .vgpr_count:     0
    .vgpr_spill_count: 0
    .wavefront_size: 64
  - .agpr_count:     0
    .args:
      - .offset:         0
        .size:           24
        .value_kind:     by_value
      - .offset:         24
        .size:           4
        .value_kind:     by_value
      - .offset:         28
        .size:           1
        .value_kind:     by_value
      - .offset:         32
        .size:           4
        .value_kind:     by_value
      - .address_space:  global
        .offset:         40
        .size:           8
        .value_kind:     global_buffer
      - .address_space:  global
        .offset:         48
        .size:           8
        .value_kind:     global_buffer
      - .address_space:  global
        .offset:         56
        .size:           8
        .value_kind:     global_buffer
      - .offset:         64
        .size:           4
        .value_kind:     hidden_block_count_x
      - .offset:         68
        .size:           4
        .value_kind:     hidden_block_count_y
      - .offset:         72
        .size:           4
        .value_kind:     hidden_block_count_z
      - .offset:         76
        .size:           2
        .value_kind:     hidden_group_size_x
      - .offset:         78
        .size:           2
        .value_kind:     hidden_group_size_y
      - .offset:         80
        .size:           2
        .value_kind:     hidden_group_size_z
      - .offset:         82
        .size:           2
        .value_kind:     hidden_remainder_x
      - .offset:         84
        .size:           2
        .value_kind:     hidden_remainder_y
      - .offset:         86
        .size:           2
        .value_kind:     hidden_remainder_z
      - .offset:         104
        .size:           8
        .value_kind:     hidden_global_offset_x
      - .offset:         112
        .size:           8
        .value_kind:     hidden_global_offset_y
      - .offset:         120
        .size:           8
        .value_kind:     hidden_global_offset_z
      - .offset:         128
        .size:           2
        .value_kind:     hidden_grid_dims
    .group_segment_fixed_size: 0
    .kernarg_segment_align: 8
    .kernarg_segment_size: 320
    .language:       OpenCL C
    .language_version:
      - 2
      - 0
    .max_flat_workgroup_size: 256
    .name:           _ZN7rocprim17ROCPRIM_400000_NS6detail25reduce_by_key_init_kernelINS1_19lookback_scan_stateINS0_5tupleIJjyEEELb0ELb0EEEyNS1_16block_id_wrapperIjLb1EEEEEvT_jbjPmPT0_T1_
    .private_segment_fixed_size: 0
    .sgpr_count:     24
    .sgpr_spill_count: 0
    .symbol:         _ZN7rocprim17ROCPRIM_400000_NS6detail25reduce_by_key_init_kernelINS1_19lookback_scan_stateINS0_5tupleIJjyEEELb0ELb0EEEyNS1_16block_id_wrapperIjLb1EEEEEvT_jbjPmPT0_T1_.kd
    .uniform_work_group_size: 1
    .uses_dynamic_stack: false
    .vgpr_count:     7
    .vgpr_spill_count: 0
    .wavefront_size: 64
  - .agpr_count:     0
    .args:
      - .offset:         0
        .size:           136
        .value_kind:     by_value
    .group_segment_fixed_size: 0
    .kernarg_segment_align: 8
    .kernarg_segment_size: 136
    .language:       OpenCL C
    .language_version:
      - 2
      - 0
    .max_flat_workgroup_size: 256
    .name:           _ZN7rocprim17ROCPRIM_400000_NS6detail17trampoline_kernelINS0_14default_configENS1_29reduce_by_key_config_selectorIyyN6thrust23THRUST_200600_302600_NS4plusIyEEEEZZNS1_33reduce_by_key_impl_wrapped_configILNS1_25lookback_scan_determinismE0ES3_S9_NS6_6detail15normal_iteratorINS6_10device_ptrIyEEEESG_SG_SG_PmS8_NS6_8equal_toIyEEEE10hipError_tPvRmT2_T3_mT4_T5_T6_T7_T8_P12ihipStream_tbENKUlT_T0_E_clISt17integral_constantIbLb0EES10_IbLb1EEEEDaSW_SX_EUlSW_E_NS1_11comp_targetILNS1_3genE0ELNS1_11target_archE4294967295ELNS1_3gpuE0ELNS1_3repE0EEENS1_30default_config_static_selectorELNS0_4arch9wavefront6targetE1EEEvT1_
    .private_segment_fixed_size: 0
    .sgpr_count:     4
    .sgpr_spill_count: 0
    .symbol:         _ZN7rocprim17ROCPRIM_400000_NS6detail17trampoline_kernelINS0_14default_configENS1_29reduce_by_key_config_selectorIyyN6thrust23THRUST_200600_302600_NS4plusIyEEEEZZNS1_33reduce_by_key_impl_wrapped_configILNS1_25lookback_scan_determinismE0ES3_S9_NS6_6detail15normal_iteratorINS6_10device_ptrIyEEEESG_SG_SG_PmS8_NS6_8equal_toIyEEEE10hipError_tPvRmT2_T3_mT4_T5_T6_T7_T8_P12ihipStream_tbENKUlT_T0_E_clISt17integral_constantIbLb0EES10_IbLb1EEEEDaSW_SX_EUlSW_E_NS1_11comp_targetILNS1_3genE0ELNS1_11target_archE4294967295ELNS1_3gpuE0ELNS1_3repE0EEENS1_30default_config_static_selectorELNS0_4arch9wavefront6targetE1EEEvT1_.kd
    .uniform_work_group_size: 1
    .uses_dynamic_stack: false
    .vgpr_count:     0
    .vgpr_spill_count: 0
    .wavefront_size: 64
  - .agpr_count:     0
    .args:
      - .offset:         0
        .size:           136
        .value_kind:     by_value
    .group_segment_fixed_size: 0
    .kernarg_segment_align: 8
    .kernarg_segment_size: 136
    .language:       OpenCL C
    .language_version:
      - 2
      - 0
    .max_flat_workgroup_size: 256
    .name:           _ZN7rocprim17ROCPRIM_400000_NS6detail17trampoline_kernelINS0_14default_configENS1_29reduce_by_key_config_selectorIyyN6thrust23THRUST_200600_302600_NS4plusIyEEEEZZNS1_33reduce_by_key_impl_wrapped_configILNS1_25lookback_scan_determinismE0ES3_S9_NS6_6detail15normal_iteratorINS6_10device_ptrIyEEEESG_SG_SG_PmS8_NS6_8equal_toIyEEEE10hipError_tPvRmT2_T3_mT4_T5_T6_T7_T8_P12ihipStream_tbENKUlT_T0_E_clISt17integral_constantIbLb0EES10_IbLb1EEEEDaSW_SX_EUlSW_E_NS1_11comp_targetILNS1_3genE5ELNS1_11target_archE942ELNS1_3gpuE9ELNS1_3repE0EEENS1_30default_config_static_selectorELNS0_4arch9wavefront6targetE1EEEvT1_
    .private_segment_fixed_size: 0
    .sgpr_count:     4
    .sgpr_spill_count: 0
    .symbol:         _ZN7rocprim17ROCPRIM_400000_NS6detail17trampoline_kernelINS0_14default_configENS1_29reduce_by_key_config_selectorIyyN6thrust23THRUST_200600_302600_NS4plusIyEEEEZZNS1_33reduce_by_key_impl_wrapped_configILNS1_25lookback_scan_determinismE0ES3_S9_NS6_6detail15normal_iteratorINS6_10device_ptrIyEEEESG_SG_SG_PmS8_NS6_8equal_toIyEEEE10hipError_tPvRmT2_T3_mT4_T5_T6_T7_T8_P12ihipStream_tbENKUlT_T0_E_clISt17integral_constantIbLb0EES10_IbLb1EEEEDaSW_SX_EUlSW_E_NS1_11comp_targetILNS1_3genE5ELNS1_11target_archE942ELNS1_3gpuE9ELNS1_3repE0EEENS1_30default_config_static_selectorELNS0_4arch9wavefront6targetE1EEEvT1_.kd
    .uniform_work_group_size: 1
    .uses_dynamic_stack: false
    .vgpr_count:     0
    .vgpr_spill_count: 0
    .wavefront_size: 64
  - .agpr_count:     0
    .args:
      - .offset:         0
        .size:           136
        .value_kind:     by_value
    .group_segment_fixed_size: 30720
    .kernarg_segment_align: 8
    .kernarg_segment_size: 136
    .language:       OpenCL C
    .language_version:
      - 2
      - 0
    .max_flat_workgroup_size: 256
    .name:           _ZN7rocprim17ROCPRIM_400000_NS6detail17trampoline_kernelINS0_14default_configENS1_29reduce_by_key_config_selectorIyyN6thrust23THRUST_200600_302600_NS4plusIyEEEEZZNS1_33reduce_by_key_impl_wrapped_configILNS1_25lookback_scan_determinismE0ES3_S9_NS6_6detail15normal_iteratorINS6_10device_ptrIyEEEESG_SG_SG_PmS8_NS6_8equal_toIyEEEE10hipError_tPvRmT2_T3_mT4_T5_T6_T7_T8_P12ihipStream_tbENKUlT_T0_E_clISt17integral_constantIbLb0EES10_IbLb1EEEEDaSW_SX_EUlSW_E_NS1_11comp_targetILNS1_3genE4ELNS1_11target_archE910ELNS1_3gpuE8ELNS1_3repE0EEENS1_30default_config_static_selectorELNS0_4arch9wavefront6targetE1EEEvT1_
    .private_segment_fixed_size: 0
    .sgpr_count:     70
    .sgpr_spill_count: 0
    .symbol:         _ZN7rocprim17ROCPRIM_400000_NS6detail17trampoline_kernelINS0_14default_configENS1_29reduce_by_key_config_selectorIyyN6thrust23THRUST_200600_302600_NS4plusIyEEEEZZNS1_33reduce_by_key_impl_wrapped_configILNS1_25lookback_scan_determinismE0ES3_S9_NS6_6detail15normal_iteratorINS6_10device_ptrIyEEEESG_SG_SG_PmS8_NS6_8equal_toIyEEEE10hipError_tPvRmT2_T3_mT4_T5_T6_T7_T8_P12ihipStream_tbENKUlT_T0_E_clISt17integral_constantIbLb0EES10_IbLb1EEEEDaSW_SX_EUlSW_E_NS1_11comp_targetILNS1_3genE4ELNS1_11target_archE910ELNS1_3gpuE8ELNS1_3repE0EEENS1_30default_config_static_selectorELNS0_4arch9wavefront6targetE1EEEvT1_.kd
    .uniform_work_group_size: 1
    .uses_dynamic_stack: false
    .vgpr_count:     118
    .vgpr_spill_count: 0
    .wavefront_size: 64
  - .agpr_count:     0
    .args:
      - .offset:         0
        .size:           136
        .value_kind:     by_value
    .group_segment_fixed_size: 0
    .kernarg_segment_align: 8
    .kernarg_segment_size: 136
    .language:       OpenCL C
    .language_version:
      - 2
      - 0
    .max_flat_workgroup_size: 256
    .name:           _ZN7rocprim17ROCPRIM_400000_NS6detail17trampoline_kernelINS0_14default_configENS1_29reduce_by_key_config_selectorIyyN6thrust23THRUST_200600_302600_NS4plusIyEEEEZZNS1_33reduce_by_key_impl_wrapped_configILNS1_25lookback_scan_determinismE0ES3_S9_NS6_6detail15normal_iteratorINS6_10device_ptrIyEEEESG_SG_SG_PmS8_NS6_8equal_toIyEEEE10hipError_tPvRmT2_T3_mT4_T5_T6_T7_T8_P12ihipStream_tbENKUlT_T0_E_clISt17integral_constantIbLb0EES10_IbLb1EEEEDaSW_SX_EUlSW_E_NS1_11comp_targetILNS1_3genE3ELNS1_11target_archE908ELNS1_3gpuE7ELNS1_3repE0EEENS1_30default_config_static_selectorELNS0_4arch9wavefront6targetE1EEEvT1_
    .private_segment_fixed_size: 0
    .sgpr_count:     4
    .sgpr_spill_count: 0
    .symbol:         _ZN7rocprim17ROCPRIM_400000_NS6detail17trampoline_kernelINS0_14default_configENS1_29reduce_by_key_config_selectorIyyN6thrust23THRUST_200600_302600_NS4plusIyEEEEZZNS1_33reduce_by_key_impl_wrapped_configILNS1_25lookback_scan_determinismE0ES3_S9_NS6_6detail15normal_iteratorINS6_10device_ptrIyEEEESG_SG_SG_PmS8_NS6_8equal_toIyEEEE10hipError_tPvRmT2_T3_mT4_T5_T6_T7_T8_P12ihipStream_tbENKUlT_T0_E_clISt17integral_constantIbLb0EES10_IbLb1EEEEDaSW_SX_EUlSW_E_NS1_11comp_targetILNS1_3genE3ELNS1_11target_archE908ELNS1_3gpuE7ELNS1_3repE0EEENS1_30default_config_static_selectorELNS0_4arch9wavefront6targetE1EEEvT1_.kd
    .uniform_work_group_size: 1
    .uses_dynamic_stack: false
    .vgpr_count:     0
    .vgpr_spill_count: 0
    .wavefront_size: 64
  - .agpr_count:     0
    .args:
      - .offset:         0
        .size:           136
        .value_kind:     by_value
    .group_segment_fixed_size: 0
    .kernarg_segment_align: 8
    .kernarg_segment_size: 136
    .language:       OpenCL C
    .language_version:
      - 2
      - 0
    .max_flat_workgroup_size: 256
    .name:           _ZN7rocprim17ROCPRIM_400000_NS6detail17trampoline_kernelINS0_14default_configENS1_29reduce_by_key_config_selectorIyyN6thrust23THRUST_200600_302600_NS4plusIyEEEEZZNS1_33reduce_by_key_impl_wrapped_configILNS1_25lookback_scan_determinismE0ES3_S9_NS6_6detail15normal_iteratorINS6_10device_ptrIyEEEESG_SG_SG_PmS8_NS6_8equal_toIyEEEE10hipError_tPvRmT2_T3_mT4_T5_T6_T7_T8_P12ihipStream_tbENKUlT_T0_E_clISt17integral_constantIbLb0EES10_IbLb1EEEEDaSW_SX_EUlSW_E_NS1_11comp_targetILNS1_3genE2ELNS1_11target_archE906ELNS1_3gpuE6ELNS1_3repE0EEENS1_30default_config_static_selectorELNS0_4arch9wavefront6targetE1EEEvT1_
    .private_segment_fixed_size: 0
    .sgpr_count:     4
    .sgpr_spill_count: 0
    .symbol:         _ZN7rocprim17ROCPRIM_400000_NS6detail17trampoline_kernelINS0_14default_configENS1_29reduce_by_key_config_selectorIyyN6thrust23THRUST_200600_302600_NS4plusIyEEEEZZNS1_33reduce_by_key_impl_wrapped_configILNS1_25lookback_scan_determinismE0ES3_S9_NS6_6detail15normal_iteratorINS6_10device_ptrIyEEEESG_SG_SG_PmS8_NS6_8equal_toIyEEEE10hipError_tPvRmT2_T3_mT4_T5_T6_T7_T8_P12ihipStream_tbENKUlT_T0_E_clISt17integral_constantIbLb0EES10_IbLb1EEEEDaSW_SX_EUlSW_E_NS1_11comp_targetILNS1_3genE2ELNS1_11target_archE906ELNS1_3gpuE6ELNS1_3repE0EEENS1_30default_config_static_selectorELNS0_4arch9wavefront6targetE1EEEvT1_.kd
    .uniform_work_group_size: 1
    .uses_dynamic_stack: false
    .vgpr_count:     0
    .vgpr_spill_count: 0
    .wavefront_size: 64
  - .agpr_count:     0
    .args:
      - .offset:         0
        .size:           136
        .value_kind:     by_value
    .group_segment_fixed_size: 0
    .kernarg_segment_align: 8
    .kernarg_segment_size: 136
    .language:       OpenCL C
    .language_version:
      - 2
      - 0
    .max_flat_workgroup_size: 256
    .name:           _ZN7rocprim17ROCPRIM_400000_NS6detail17trampoline_kernelINS0_14default_configENS1_29reduce_by_key_config_selectorIyyN6thrust23THRUST_200600_302600_NS4plusIyEEEEZZNS1_33reduce_by_key_impl_wrapped_configILNS1_25lookback_scan_determinismE0ES3_S9_NS6_6detail15normal_iteratorINS6_10device_ptrIyEEEESG_SG_SG_PmS8_NS6_8equal_toIyEEEE10hipError_tPvRmT2_T3_mT4_T5_T6_T7_T8_P12ihipStream_tbENKUlT_T0_E_clISt17integral_constantIbLb0EES10_IbLb1EEEEDaSW_SX_EUlSW_E_NS1_11comp_targetILNS1_3genE10ELNS1_11target_archE1201ELNS1_3gpuE5ELNS1_3repE0EEENS1_30default_config_static_selectorELNS0_4arch9wavefront6targetE1EEEvT1_
    .private_segment_fixed_size: 0
    .sgpr_count:     4
    .sgpr_spill_count: 0
    .symbol:         _ZN7rocprim17ROCPRIM_400000_NS6detail17trampoline_kernelINS0_14default_configENS1_29reduce_by_key_config_selectorIyyN6thrust23THRUST_200600_302600_NS4plusIyEEEEZZNS1_33reduce_by_key_impl_wrapped_configILNS1_25lookback_scan_determinismE0ES3_S9_NS6_6detail15normal_iteratorINS6_10device_ptrIyEEEESG_SG_SG_PmS8_NS6_8equal_toIyEEEE10hipError_tPvRmT2_T3_mT4_T5_T6_T7_T8_P12ihipStream_tbENKUlT_T0_E_clISt17integral_constantIbLb0EES10_IbLb1EEEEDaSW_SX_EUlSW_E_NS1_11comp_targetILNS1_3genE10ELNS1_11target_archE1201ELNS1_3gpuE5ELNS1_3repE0EEENS1_30default_config_static_selectorELNS0_4arch9wavefront6targetE1EEEvT1_.kd
    .uniform_work_group_size: 1
    .uses_dynamic_stack: false
    .vgpr_count:     0
    .vgpr_spill_count: 0
    .wavefront_size: 64
  - .agpr_count:     0
    .args:
      - .offset:         0
        .size:           136
        .value_kind:     by_value
    .group_segment_fixed_size: 0
    .kernarg_segment_align: 8
    .kernarg_segment_size: 136
    .language:       OpenCL C
    .language_version:
      - 2
      - 0
    .max_flat_workgroup_size: 256
    .name:           _ZN7rocprim17ROCPRIM_400000_NS6detail17trampoline_kernelINS0_14default_configENS1_29reduce_by_key_config_selectorIyyN6thrust23THRUST_200600_302600_NS4plusIyEEEEZZNS1_33reduce_by_key_impl_wrapped_configILNS1_25lookback_scan_determinismE0ES3_S9_NS6_6detail15normal_iteratorINS6_10device_ptrIyEEEESG_SG_SG_PmS8_NS6_8equal_toIyEEEE10hipError_tPvRmT2_T3_mT4_T5_T6_T7_T8_P12ihipStream_tbENKUlT_T0_E_clISt17integral_constantIbLb0EES10_IbLb1EEEEDaSW_SX_EUlSW_E_NS1_11comp_targetILNS1_3genE10ELNS1_11target_archE1200ELNS1_3gpuE4ELNS1_3repE0EEENS1_30default_config_static_selectorELNS0_4arch9wavefront6targetE1EEEvT1_
    .private_segment_fixed_size: 0
    .sgpr_count:     4
    .sgpr_spill_count: 0
    .symbol:         _ZN7rocprim17ROCPRIM_400000_NS6detail17trampoline_kernelINS0_14default_configENS1_29reduce_by_key_config_selectorIyyN6thrust23THRUST_200600_302600_NS4plusIyEEEEZZNS1_33reduce_by_key_impl_wrapped_configILNS1_25lookback_scan_determinismE0ES3_S9_NS6_6detail15normal_iteratorINS6_10device_ptrIyEEEESG_SG_SG_PmS8_NS6_8equal_toIyEEEE10hipError_tPvRmT2_T3_mT4_T5_T6_T7_T8_P12ihipStream_tbENKUlT_T0_E_clISt17integral_constantIbLb0EES10_IbLb1EEEEDaSW_SX_EUlSW_E_NS1_11comp_targetILNS1_3genE10ELNS1_11target_archE1200ELNS1_3gpuE4ELNS1_3repE0EEENS1_30default_config_static_selectorELNS0_4arch9wavefront6targetE1EEEvT1_.kd
    .uniform_work_group_size: 1
    .uses_dynamic_stack: false
    .vgpr_count:     0
    .vgpr_spill_count: 0
    .wavefront_size: 64
  - .agpr_count:     0
    .args:
      - .offset:         0
        .size:           136
        .value_kind:     by_value
    .group_segment_fixed_size: 0
    .kernarg_segment_align: 8
    .kernarg_segment_size: 136
    .language:       OpenCL C
    .language_version:
      - 2
      - 0
    .max_flat_workgroup_size: 256
    .name:           _ZN7rocprim17ROCPRIM_400000_NS6detail17trampoline_kernelINS0_14default_configENS1_29reduce_by_key_config_selectorIyyN6thrust23THRUST_200600_302600_NS4plusIyEEEEZZNS1_33reduce_by_key_impl_wrapped_configILNS1_25lookback_scan_determinismE0ES3_S9_NS6_6detail15normal_iteratorINS6_10device_ptrIyEEEESG_SG_SG_PmS8_NS6_8equal_toIyEEEE10hipError_tPvRmT2_T3_mT4_T5_T6_T7_T8_P12ihipStream_tbENKUlT_T0_E_clISt17integral_constantIbLb0EES10_IbLb1EEEEDaSW_SX_EUlSW_E_NS1_11comp_targetILNS1_3genE9ELNS1_11target_archE1100ELNS1_3gpuE3ELNS1_3repE0EEENS1_30default_config_static_selectorELNS0_4arch9wavefront6targetE1EEEvT1_
    .private_segment_fixed_size: 0
    .sgpr_count:     4
    .sgpr_spill_count: 0
    .symbol:         _ZN7rocprim17ROCPRIM_400000_NS6detail17trampoline_kernelINS0_14default_configENS1_29reduce_by_key_config_selectorIyyN6thrust23THRUST_200600_302600_NS4plusIyEEEEZZNS1_33reduce_by_key_impl_wrapped_configILNS1_25lookback_scan_determinismE0ES3_S9_NS6_6detail15normal_iteratorINS6_10device_ptrIyEEEESG_SG_SG_PmS8_NS6_8equal_toIyEEEE10hipError_tPvRmT2_T3_mT4_T5_T6_T7_T8_P12ihipStream_tbENKUlT_T0_E_clISt17integral_constantIbLb0EES10_IbLb1EEEEDaSW_SX_EUlSW_E_NS1_11comp_targetILNS1_3genE9ELNS1_11target_archE1100ELNS1_3gpuE3ELNS1_3repE0EEENS1_30default_config_static_selectorELNS0_4arch9wavefront6targetE1EEEvT1_.kd
    .uniform_work_group_size: 1
    .uses_dynamic_stack: false
    .vgpr_count:     0
    .vgpr_spill_count: 0
    .wavefront_size: 64
  - .agpr_count:     0
    .args:
      - .offset:         0
        .size:           136
        .value_kind:     by_value
    .group_segment_fixed_size: 0
    .kernarg_segment_align: 8
    .kernarg_segment_size: 136
    .language:       OpenCL C
    .language_version:
      - 2
      - 0
    .max_flat_workgroup_size: 256
    .name:           _ZN7rocprim17ROCPRIM_400000_NS6detail17trampoline_kernelINS0_14default_configENS1_29reduce_by_key_config_selectorIyyN6thrust23THRUST_200600_302600_NS4plusIyEEEEZZNS1_33reduce_by_key_impl_wrapped_configILNS1_25lookback_scan_determinismE0ES3_S9_NS6_6detail15normal_iteratorINS6_10device_ptrIyEEEESG_SG_SG_PmS8_NS6_8equal_toIyEEEE10hipError_tPvRmT2_T3_mT4_T5_T6_T7_T8_P12ihipStream_tbENKUlT_T0_E_clISt17integral_constantIbLb0EES10_IbLb1EEEEDaSW_SX_EUlSW_E_NS1_11comp_targetILNS1_3genE8ELNS1_11target_archE1030ELNS1_3gpuE2ELNS1_3repE0EEENS1_30default_config_static_selectorELNS0_4arch9wavefront6targetE1EEEvT1_
    .private_segment_fixed_size: 0
    .sgpr_count:     4
    .sgpr_spill_count: 0
    .symbol:         _ZN7rocprim17ROCPRIM_400000_NS6detail17trampoline_kernelINS0_14default_configENS1_29reduce_by_key_config_selectorIyyN6thrust23THRUST_200600_302600_NS4plusIyEEEEZZNS1_33reduce_by_key_impl_wrapped_configILNS1_25lookback_scan_determinismE0ES3_S9_NS6_6detail15normal_iteratorINS6_10device_ptrIyEEEESG_SG_SG_PmS8_NS6_8equal_toIyEEEE10hipError_tPvRmT2_T3_mT4_T5_T6_T7_T8_P12ihipStream_tbENKUlT_T0_E_clISt17integral_constantIbLb0EES10_IbLb1EEEEDaSW_SX_EUlSW_E_NS1_11comp_targetILNS1_3genE8ELNS1_11target_archE1030ELNS1_3gpuE2ELNS1_3repE0EEENS1_30default_config_static_selectorELNS0_4arch9wavefront6targetE1EEEvT1_.kd
    .uniform_work_group_size: 1
    .uses_dynamic_stack: false
    .vgpr_count:     0
    .vgpr_spill_count: 0
    .wavefront_size: 64
  - .agpr_count:     0
    .args:
      - .offset:         0
        .size:           136
        .value_kind:     by_value
    .group_segment_fixed_size: 0
    .kernarg_segment_align: 8
    .kernarg_segment_size: 136
    .language:       OpenCL C
    .language_version:
      - 2
      - 0
    .max_flat_workgroup_size: 256
    .name:           _ZN7rocprim17ROCPRIM_400000_NS6detail17trampoline_kernelINS0_14default_configENS1_29reduce_by_key_config_selectorIyyN6thrust23THRUST_200600_302600_NS4plusIyEEEEZZNS1_33reduce_by_key_impl_wrapped_configILNS1_25lookback_scan_determinismE0ES3_S9_NS6_6detail15normal_iteratorINS6_10device_ptrIyEEEESG_SG_SG_PmS8_22is_equal_div_10_reduceIyEEE10hipError_tPvRmT2_T3_mT4_T5_T6_T7_T8_P12ihipStream_tbENKUlT_T0_E_clISt17integral_constantIbLb0EES11_EEDaSW_SX_EUlSW_E_NS1_11comp_targetILNS1_3genE0ELNS1_11target_archE4294967295ELNS1_3gpuE0ELNS1_3repE0EEENS1_30default_config_static_selectorELNS0_4arch9wavefront6targetE1EEEvT1_
    .private_segment_fixed_size: 0
    .sgpr_count:     4
    .sgpr_spill_count: 0
    .symbol:         _ZN7rocprim17ROCPRIM_400000_NS6detail17trampoline_kernelINS0_14default_configENS1_29reduce_by_key_config_selectorIyyN6thrust23THRUST_200600_302600_NS4plusIyEEEEZZNS1_33reduce_by_key_impl_wrapped_configILNS1_25lookback_scan_determinismE0ES3_S9_NS6_6detail15normal_iteratorINS6_10device_ptrIyEEEESG_SG_SG_PmS8_22is_equal_div_10_reduceIyEEE10hipError_tPvRmT2_T3_mT4_T5_T6_T7_T8_P12ihipStream_tbENKUlT_T0_E_clISt17integral_constantIbLb0EES11_EEDaSW_SX_EUlSW_E_NS1_11comp_targetILNS1_3genE0ELNS1_11target_archE4294967295ELNS1_3gpuE0ELNS1_3repE0EEENS1_30default_config_static_selectorELNS0_4arch9wavefront6targetE1EEEvT1_.kd
    .uniform_work_group_size: 1
    .uses_dynamic_stack: false
    .vgpr_count:     0
    .vgpr_spill_count: 0
    .wavefront_size: 64
  - .agpr_count:     0
    .args:
      - .offset:         0
        .size:           136
        .value_kind:     by_value
    .group_segment_fixed_size: 0
    .kernarg_segment_align: 8
    .kernarg_segment_size: 136
    .language:       OpenCL C
    .language_version:
      - 2
      - 0
    .max_flat_workgroup_size: 256
    .name:           _ZN7rocprim17ROCPRIM_400000_NS6detail17trampoline_kernelINS0_14default_configENS1_29reduce_by_key_config_selectorIyyN6thrust23THRUST_200600_302600_NS4plusIyEEEEZZNS1_33reduce_by_key_impl_wrapped_configILNS1_25lookback_scan_determinismE0ES3_S9_NS6_6detail15normal_iteratorINS6_10device_ptrIyEEEESG_SG_SG_PmS8_22is_equal_div_10_reduceIyEEE10hipError_tPvRmT2_T3_mT4_T5_T6_T7_T8_P12ihipStream_tbENKUlT_T0_E_clISt17integral_constantIbLb0EES11_EEDaSW_SX_EUlSW_E_NS1_11comp_targetILNS1_3genE5ELNS1_11target_archE942ELNS1_3gpuE9ELNS1_3repE0EEENS1_30default_config_static_selectorELNS0_4arch9wavefront6targetE1EEEvT1_
    .private_segment_fixed_size: 0
    .sgpr_count:     4
    .sgpr_spill_count: 0
    .symbol:         _ZN7rocprim17ROCPRIM_400000_NS6detail17trampoline_kernelINS0_14default_configENS1_29reduce_by_key_config_selectorIyyN6thrust23THRUST_200600_302600_NS4plusIyEEEEZZNS1_33reduce_by_key_impl_wrapped_configILNS1_25lookback_scan_determinismE0ES3_S9_NS6_6detail15normal_iteratorINS6_10device_ptrIyEEEESG_SG_SG_PmS8_22is_equal_div_10_reduceIyEEE10hipError_tPvRmT2_T3_mT4_T5_T6_T7_T8_P12ihipStream_tbENKUlT_T0_E_clISt17integral_constantIbLb0EES11_EEDaSW_SX_EUlSW_E_NS1_11comp_targetILNS1_3genE5ELNS1_11target_archE942ELNS1_3gpuE9ELNS1_3repE0EEENS1_30default_config_static_selectorELNS0_4arch9wavefront6targetE1EEEvT1_.kd
    .uniform_work_group_size: 1
    .uses_dynamic_stack: false
    .vgpr_count:     0
    .vgpr_spill_count: 0
    .wavefront_size: 64
  - .agpr_count:     0
    .args:
      - .offset:         0
        .size:           136
        .value_kind:     by_value
    .group_segment_fixed_size: 30720
    .kernarg_segment_align: 8
    .kernarg_segment_size: 136
    .language:       OpenCL C
    .language_version:
      - 2
      - 0
    .max_flat_workgroup_size: 256
    .name:           _ZN7rocprim17ROCPRIM_400000_NS6detail17trampoline_kernelINS0_14default_configENS1_29reduce_by_key_config_selectorIyyN6thrust23THRUST_200600_302600_NS4plusIyEEEEZZNS1_33reduce_by_key_impl_wrapped_configILNS1_25lookback_scan_determinismE0ES3_S9_NS6_6detail15normal_iteratorINS6_10device_ptrIyEEEESG_SG_SG_PmS8_22is_equal_div_10_reduceIyEEE10hipError_tPvRmT2_T3_mT4_T5_T6_T7_T8_P12ihipStream_tbENKUlT_T0_E_clISt17integral_constantIbLb0EES11_EEDaSW_SX_EUlSW_E_NS1_11comp_targetILNS1_3genE4ELNS1_11target_archE910ELNS1_3gpuE8ELNS1_3repE0EEENS1_30default_config_static_selectorELNS0_4arch9wavefront6targetE1EEEvT1_
    .private_segment_fixed_size: 0
    .sgpr_count:     69
    .sgpr_spill_count: 0
    .symbol:         _ZN7rocprim17ROCPRIM_400000_NS6detail17trampoline_kernelINS0_14default_configENS1_29reduce_by_key_config_selectorIyyN6thrust23THRUST_200600_302600_NS4plusIyEEEEZZNS1_33reduce_by_key_impl_wrapped_configILNS1_25lookback_scan_determinismE0ES3_S9_NS6_6detail15normal_iteratorINS6_10device_ptrIyEEEESG_SG_SG_PmS8_22is_equal_div_10_reduceIyEEE10hipError_tPvRmT2_T3_mT4_T5_T6_T7_T8_P12ihipStream_tbENKUlT_T0_E_clISt17integral_constantIbLb0EES11_EEDaSW_SX_EUlSW_E_NS1_11comp_targetILNS1_3genE4ELNS1_11target_archE910ELNS1_3gpuE8ELNS1_3repE0EEENS1_30default_config_static_selectorELNS0_4arch9wavefront6targetE1EEEvT1_.kd
    .uniform_work_group_size: 1
    .uses_dynamic_stack: false
    .vgpr_count:     116
    .vgpr_spill_count: 0
    .wavefront_size: 64
  - .agpr_count:     0
    .args:
      - .offset:         0
        .size:           136
        .value_kind:     by_value
    .group_segment_fixed_size: 0
    .kernarg_segment_align: 8
    .kernarg_segment_size: 136
    .language:       OpenCL C
    .language_version:
      - 2
      - 0
    .max_flat_workgroup_size: 256
    .name:           _ZN7rocprim17ROCPRIM_400000_NS6detail17trampoline_kernelINS0_14default_configENS1_29reduce_by_key_config_selectorIyyN6thrust23THRUST_200600_302600_NS4plusIyEEEEZZNS1_33reduce_by_key_impl_wrapped_configILNS1_25lookback_scan_determinismE0ES3_S9_NS6_6detail15normal_iteratorINS6_10device_ptrIyEEEESG_SG_SG_PmS8_22is_equal_div_10_reduceIyEEE10hipError_tPvRmT2_T3_mT4_T5_T6_T7_T8_P12ihipStream_tbENKUlT_T0_E_clISt17integral_constantIbLb0EES11_EEDaSW_SX_EUlSW_E_NS1_11comp_targetILNS1_3genE3ELNS1_11target_archE908ELNS1_3gpuE7ELNS1_3repE0EEENS1_30default_config_static_selectorELNS0_4arch9wavefront6targetE1EEEvT1_
    .private_segment_fixed_size: 0
    .sgpr_count:     4
    .sgpr_spill_count: 0
    .symbol:         _ZN7rocprim17ROCPRIM_400000_NS6detail17trampoline_kernelINS0_14default_configENS1_29reduce_by_key_config_selectorIyyN6thrust23THRUST_200600_302600_NS4plusIyEEEEZZNS1_33reduce_by_key_impl_wrapped_configILNS1_25lookback_scan_determinismE0ES3_S9_NS6_6detail15normal_iteratorINS6_10device_ptrIyEEEESG_SG_SG_PmS8_22is_equal_div_10_reduceIyEEE10hipError_tPvRmT2_T3_mT4_T5_T6_T7_T8_P12ihipStream_tbENKUlT_T0_E_clISt17integral_constantIbLb0EES11_EEDaSW_SX_EUlSW_E_NS1_11comp_targetILNS1_3genE3ELNS1_11target_archE908ELNS1_3gpuE7ELNS1_3repE0EEENS1_30default_config_static_selectorELNS0_4arch9wavefront6targetE1EEEvT1_.kd
    .uniform_work_group_size: 1
    .uses_dynamic_stack: false
    .vgpr_count:     0
    .vgpr_spill_count: 0
    .wavefront_size: 64
  - .agpr_count:     0
    .args:
      - .offset:         0
        .size:           136
        .value_kind:     by_value
    .group_segment_fixed_size: 0
    .kernarg_segment_align: 8
    .kernarg_segment_size: 136
    .language:       OpenCL C
    .language_version:
      - 2
      - 0
    .max_flat_workgroup_size: 256
    .name:           _ZN7rocprim17ROCPRIM_400000_NS6detail17trampoline_kernelINS0_14default_configENS1_29reduce_by_key_config_selectorIyyN6thrust23THRUST_200600_302600_NS4plusIyEEEEZZNS1_33reduce_by_key_impl_wrapped_configILNS1_25lookback_scan_determinismE0ES3_S9_NS6_6detail15normal_iteratorINS6_10device_ptrIyEEEESG_SG_SG_PmS8_22is_equal_div_10_reduceIyEEE10hipError_tPvRmT2_T3_mT4_T5_T6_T7_T8_P12ihipStream_tbENKUlT_T0_E_clISt17integral_constantIbLb0EES11_EEDaSW_SX_EUlSW_E_NS1_11comp_targetILNS1_3genE2ELNS1_11target_archE906ELNS1_3gpuE6ELNS1_3repE0EEENS1_30default_config_static_selectorELNS0_4arch9wavefront6targetE1EEEvT1_
    .private_segment_fixed_size: 0
    .sgpr_count:     4
    .sgpr_spill_count: 0
    .symbol:         _ZN7rocprim17ROCPRIM_400000_NS6detail17trampoline_kernelINS0_14default_configENS1_29reduce_by_key_config_selectorIyyN6thrust23THRUST_200600_302600_NS4plusIyEEEEZZNS1_33reduce_by_key_impl_wrapped_configILNS1_25lookback_scan_determinismE0ES3_S9_NS6_6detail15normal_iteratorINS6_10device_ptrIyEEEESG_SG_SG_PmS8_22is_equal_div_10_reduceIyEEE10hipError_tPvRmT2_T3_mT4_T5_T6_T7_T8_P12ihipStream_tbENKUlT_T0_E_clISt17integral_constantIbLb0EES11_EEDaSW_SX_EUlSW_E_NS1_11comp_targetILNS1_3genE2ELNS1_11target_archE906ELNS1_3gpuE6ELNS1_3repE0EEENS1_30default_config_static_selectorELNS0_4arch9wavefront6targetE1EEEvT1_.kd
    .uniform_work_group_size: 1
    .uses_dynamic_stack: false
    .vgpr_count:     0
    .vgpr_spill_count: 0
    .wavefront_size: 64
  - .agpr_count:     0
    .args:
      - .offset:         0
        .size:           136
        .value_kind:     by_value
    .group_segment_fixed_size: 0
    .kernarg_segment_align: 8
    .kernarg_segment_size: 136
    .language:       OpenCL C
    .language_version:
      - 2
      - 0
    .max_flat_workgroup_size: 256
    .name:           _ZN7rocprim17ROCPRIM_400000_NS6detail17trampoline_kernelINS0_14default_configENS1_29reduce_by_key_config_selectorIyyN6thrust23THRUST_200600_302600_NS4plusIyEEEEZZNS1_33reduce_by_key_impl_wrapped_configILNS1_25lookback_scan_determinismE0ES3_S9_NS6_6detail15normal_iteratorINS6_10device_ptrIyEEEESG_SG_SG_PmS8_22is_equal_div_10_reduceIyEEE10hipError_tPvRmT2_T3_mT4_T5_T6_T7_T8_P12ihipStream_tbENKUlT_T0_E_clISt17integral_constantIbLb0EES11_EEDaSW_SX_EUlSW_E_NS1_11comp_targetILNS1_3genE10ELNS1_11target_archE1201ELNS1_3gpuE5ELNS1_3repE0EEENS1_30default_config_static_selectorELNS0_4arch9wavefront6targetE1EEEvT1_
    .private_segment_fixed_size: 0
    .sgpr_count:     4
    .sgpr_spill_count: 0
    .symbol:         _ZN7rocprim17ROCPRIM_400000_NS6detail17trampoline_kernelINS0_14default_configENS1_29reduce_by_key_config_selectorIyyN6thrust23THRUST_200600_302600_NS4plusIyEEEEZZNS1_33reduce_by_key_impl_wrapped_configILNS1_25lookback_scan_determinismE0ES3_S9_NS6_6detail15normal_iteratorINS6_10device_ptrIyEEEESG_SG_SG_PmS8_22is_equal_div_10_reduceIyEEE10hipError_tPvRmT2_T3_mT4_T5_T6_T7_T8_P12ihipStream_tbENKUlT_T0_E_clISt17integral_constantIbLb0EES11_EEDaSW_SX_EUlSW_E_NS1_11comp_targetILNS1_3genE10ELNS1_11target_archE1201ELNS1_3gpuE5ELNS1_3repE0EEENS1_30default_config_static_selectorELNS0_4arch9wavefront6targetE1EEEvT1_.kd
    .uniform_work_group_size: 1
    .uses_dynamic_stack: false
    .vgpr_count:     0
    .vgpr_spill_count: 0
    .wavefront_size: 64
  - .agpr_count:     0
    .args:
      - .offset:         0
        .size:           136
        .value_kind:     by_value
    .group_segment_fixed_size: 0
    .kernarg_segment_align: 8
    .kernarg_segment_size: 136
    .language:       OpenCL C
    .language_version:
      - 2
      - 0
    .max_flat_workgroup_size: 256
    .name:           _ZN7rocprim17ROCPRIM_400000_NS6detail17trampoline_kernelINS0_14default_configENS1_29reduce_by_key_config_selectorIyyN6thrust23THRUST_200600_302600_NS4plusIyEEEEZZNS1_33reduce_by_key_impl_wrapped_configILNS1_25lookback_scan_determinismE0ES3_S9_NS6_6detail15normal_iteratorINS6_10device_ptrIyEEEESG_SG_SG_PmS8_22is_equal_div_10_reduceIyEEE10hipError_tPvRmT2_T3_mT4_T5_T6_T7_T8_P12ihipStream_tbENKUlT_T0_E_clISt17integral_constantIbLb0EES11_EEDaSW_SX_EUlSW_E_NS1_11comp_targetILNS1_3genE10ELNS1_11target_archE1200ELNS1_3gpuE4ELNS1_3repE0EEENS1_30default_config_static_selectorELNS0_4arch9wavefront6targetE1EEEvT1_
    .private_segment_fixed_size: 0
    .sgpr_count:     4
    .sgpr_spill_count: 0
    .symbol:         _ZN7rocprim17ROCPRIM_400000_NS6detail17trampoline_kernelINS0_14default_configENS1_29reduce_by_key_config_selectorIyyN6thrust23THRUST_200600_302600_NS4plusIyEEEEZZNS1_33reduce_by_key_impl_wrapped_configILNS1_25lookback_scan_determinismE0ES3_S9_NS6_6detail15normal_iteratorINS6_10device_ptrIyEEEESG_SG_SG_PmS8_22is_equal_div_10_reduceIyEEE10hipError_tPvRmT2_T3_mT4_T5_T6_T7_T8_P12ihipStream_tbENKUlT_T0_E_clISt17integral_constantIbLb0EES11_EEDaSW_SX_EUlSW_E_NS1_11comp_targetILNS1_3genE10ELNS1_11target_archE1200ELNS1_3gpuE4ELNS1_3repE0EEENS1_30default_config_static_selectorELNS0_4arch9wavefront6targetE1EEEvT1_.kd
    .uniform_work_group_size: 1
    .uses_dynamic_stack: false
    .vgpr_count:     0
    .vgpr_spill_count: 0
    .wavefront_size: 64
  - .agpr_count:     0
    .args:
      - .offset:         0
        .size:           136
        .value_kind:     by_value
    .group_segment_fixed_size: 0
    .kernarg_segment_align: 8
    .kernarg_segment_size: 136
    .language:       OpenCL C
    .language_version:
      - 2
      - 0
    .max_flat_workgroup_size: 256
    .name:           _ZN7rocprim17ROCPRIM_400000_NS6detail17trampoline_kernelINS0_14default_configENS1_29reduce_by_key_config_selectorIyyN6thrust23THRUST_200600_302600_NS4plusIyEEEEZZNS1_33reduce_by_key_impl_wrapped_configILNS1_25lookback_scan_determinismE0ES3_S9_NS6_6detail15normal_iteratorINS6_10device_ptrIyEEEESG_SG_SG_PmS8_22is_equal_div_10_reduceIyEEE10hipError_tPvRmT2_T3_mT4_T5_T6_T7_T8_P12ihipStream_tbENKUlT_T0_E_clISt17integral_constantIbLb0EES11_EEDaSW_SX_EUlSW_E_NS1_11comp_targetILNS1_3genE9ELNS1_11target_archE1100ELNS1_3gpuE3ELNS1_3repE0EEENS1_30default_config_static_selectorELNS0_4arch9wavefront6targetE1EEEvT1_
    .private_segment_fixed_size: 0
    .sgpr_count:     4
    .sgpr_spill_count: 0
    .symbol:         _ZN7rocprim17ROCPRIM_400000_NS6detail17trampoline_kernelINS0_14default_configENS1_29reduce_by_key_config_selectorIyyN6thrust23THRUST_200600_302600_NS4plusIyEEEEZZNS1_33reduce_by_key_impl_wrapped_configILNS1_25lookback_scan_determinismE0ES3_S9_NS6_6detail15normal_iteratorINS6_10device_ptrIyEEEESG_SG_SG_PmS8_22is_equal_div_10_reduceIyEEE10hipError_tPvRmT2_T3_mT4_T5_T6_T7_T8_P12ihipStream_tbENKUlT_T0_E_clISt17integral_constantIbLb0EES11_EEDaSW_SX_EUlSW_E_NS1_11comp_targetILNS1_3genE9ELNS1_11target_archE1100ELNS1_3gpuE3ELNS1_3repE0EEENS1_30default_config_static_selectorELNS0_4arch9wavefront6targetE1EEEvT1_.kd
    .uniform_work_group_size: 1
    .uses_dynamic_stack: false
    .vgpr_count:     0
    .vgpr_spill_count: 0
    .wavefront_size: 64
  - .agpr_count:     0
    .args:
      - .offset:         0
        .size:           136
        .value_kind:     by_value
    .group_segment_fixed_size: 0
    .kernarg_segment_align: 8
    .kernarg_segment_size: 136
    .language:       OpenCL C
    .language_version:
      - 2
      - 0
    .max_flat_workgroup_size: 256
    .name:           _ZN7rocprim17ROCPRIM_400000_NS6detail17trampoline_kernelINS0_14default_configENS1_29reduce_by_key_config_selectorIyyN6thrust23THRUST_200600_302600_NS4plusIyEEEEZZNS1_33reduce_by_key_impl_wrapped_configILNS1_25lookback_scan_determinismE0ES3_S9_NS6_6detail15normal_iteratorINS6_10device_ptrIyEEEESG_SG_SG_PmS8_22is_equal_div_10_reduceIyEEE10hipError_tPvRmT2_T3_mT4_T5_T6_T7_T8_P12ihipStream_tbENKUlT_T0_E_clISt17integral_constantIbLb0EES11_EEDaSW_SX_EUlSW_E_NS1_11comp_targetILNS1_3genE8ELNS1_11target_archE1030ELNS1_3gpuE2ELNS1_3repE0EEENS1_30default_config_static_selectorELNS0_4arch9wavefront6targetE1EEEvT1_
    .private_segment_fixed_size: 0
    .sgpr_count:     4
    .sgpr_spill_count: 0
    .symbol:         _ZN7rocprim17ROCPRIM_400000_NS6detail17trampoline_kernelINS0_14default_configENS1_29reduce_by_key_config_selectorIyyN6thrust23THRUST_200600_302600_NS4plusIyEEEEZZNS1_33reduce_by_key_impl_wrapped_configILNS1_25lookback_scan_determinismE0ES3_S9_NS6_6detail15normal_iteratorINS6_10device_ptrIyEEEESG_SG_SG_PmS8_22is_equal_div_10_reduceIyEEE10hipError_tPvRmT2_T3_mT4_T5_T6_T7_T8_P12ihipStream_tbENKUlT_T0_E_clISt17integral_constantIbLb0EES11_EEDaSW_SX_EUlSW_E_NS1_11comp_targetILNS1_3genE8ELNS1_11target_archE1030ELNS1_3gpuE2ELNS1_3repE0EEENS1_30default_config_static_selectorELNS0_4arch9wavefront6targetE1EEEvT1_.kd
    .uniform_work_group_size: 1
    .uses_dynamic_stack: false
    .vgpr_count:     0
    .vgpr_spill_count: 0
    .wavefront_size: 64
  - .agpr_count:     0
    .args:
      - .offset:         0
        .size:           136
        .value_kind:     by_value
    .group_segment_fixed_size: 0
    .kernarg_segment_align: 8
    .kernarg_segment_size: 136
    .language:       OpenCL C
    .language_version:
      - 2
      - 0
    .max_flat_workgroup_size: 256
    .name:           _ZN7rocprim17ROCPRIM_400000_NS6detail17trampoline_kernelINS0_14default_configENS1_29reduce_by_key_config_selectorIyyN6thrust23THRUST_200600_302600_NS4plusIyEEEEZZNS1_33reduce_by_key_impl_wrapped_configILNS1_25lookback_scan_determinismE0ES3_S9_NS6_6detail15normal_iteratorINS6_10device_ptrIyEEEESG_SG_SG_PmS8_22is_equal_div_10_reduceIyEEE10hipError_tPvRmT2_T3_mT4_T5_T6_T7_T8_P12ihipStream_tbENKUlT_T0_E_clISt17integral_constantIbLb1EES11_EEDaSW_SX_EUlSW_E_NS1_11comp_targetILNS1_3genE0ELNS1_11target_archE4294967295ELNS1_3gpuE0ELNS1_3repE0EEENS1_30default_config_static_selectorELNS0_4arch9wavefront6targetE1EEEvT1_
    .private_segment_fixed_size: 0
    .sgpr_count:     4
    .sgpr_spill_count: 0
    .symbol:         _ZN7rocprim17ROCPRIM_400000_NS6detail17trampoline_kernelINS0_14default_configENS1_29reduce_by_key_config_selectorIyyN6thrust23THRUST_200600_302600_NS4plusIyEEEEZZNS1_33reduce_by_key_impl_wrapped_configILNS1_25lookback_scan_determinismE0ES3_S9_NS6_6detail15normal_iteratorINS6_10device_ptrIyEEEESG_SG_SG_PmS8_22is_equal_div_10_reduceIyEEE10hipError_tPvRmT2_T3_mT4_T5_T6_T7_T8_P12ihipStream_tbENKUlT_T0_E_clISt17integral_constantIbLb1EES11_EEDaSW_SX_EUlSW_E_NS1_11comp_targetILNS1_3genE0ELNS1_11target_archE4294967295ELNS1_3gpuE0ELNS1_3repE0EEENS1_30default_config_static_selectorELNS0_4arch9wavefront6targetE1EEEvT1_.kd
    .uniform_work_group_size: 1
    .uses_dynamic_stack: false
    .vgpr_count:     0
    .vgpr_spill_count: 0
    .wavefront_size: 64
  - .agpr_count:     0
    .args:
      - .offset:         0
        .size:           136
        .value_kind:     by_value
    .group_segment_fixed_size: 0
    .kernarg_segment_align: 8
    .kernarg_segment_size: 136
    .language:       OpenCL C
    .language_version:
      - 2
      - 0
    .max_flat_workgroup_size: 256
    .name:           _ZN7rocprim17ROCPRIM_400000_NS6detail17trampoline_kernelINS0_14default_configENS1_29reduce_by_key_config_selectorIyyN6thrust23THRUST_200600_302600_NS4plusIyEEEEZZNS1_33reduce_by_key_impl_wrapped_configILNS1_25lookback_scan_determinismE0ES3_S9_NS6_6detail15normal_iteratorINS6_10device_ptrIyEEEESG_SG_SG_PmS8_22is_equal_div_10_reduceIyEEE10hipError_tPvRmT2_T3_mT4_T5_T6_T7_T8_P12ihipStream_tbENKUlT_T0_E_clISt17integral_constantIbLb1EES11_EEDaSW_SX_EUlSW_E_NS1_11comp_targetILNS1_3genE5ELNS1_11target_archE942ELNS1_3gpuE9ELNS1_3repE0EEENS1_30default_config_static_selectorELNS0_4arch9wavefront6targetE1EEEvT1_
    .private_segment_fixed_size: 0
    .sgpr_count:     4
    .sgpr_spill_count: 0
    .symbol:         _ZN7rocprim17ROCPRIM_400000_NS6detail17trampoline_kernelINS0_14default_configENS1_29reduce_by_key_config_selectorIyyN6thrust23THRUST_200600_302600_NS4plusIyEEEEZZNS1_33reduce_by_key_impl_wrapped_configILNS1_25lookback_scan_determinismE0ES3_S9_NS6_6detail15normal_iteratorINS6_10device_ptrIyEEEESG_SG_SG_PmS8_22is_equal_div_10_reduceIyEEE10hipError_tPvRmT2_T3_mT4_T5_T6_T7_T8_P12ihipStream_tbENKUlT_T0_E_clISt17integral_constantIbLb1EES11_EEDaSW_SX_EUlSW_E_NS1_11comp_targetILNS1_3genE5ELNS1_11target_archE942ELNS1_3gpuE9ELNS1_3repE0EEENS1_30default_config_static_selectorELNS0_4arch9wavefront6targetE1EEEvT1_.kd
    .uniform_work_group_size: 1
    .uses_dynamic_stack: false
    .vgpr_count:     0
    .vgpr_spill_count: 0
    .wavefront_size: 64
  - .agpr_count:     0
    .args:
      - .offset:         0
        .size:           136
        .value_kind:     by_value
    .group_segment_fixed_size: 30720
    .kernarg_segment_align: 8
    .kernarg_segment_size: 136
    .language:       OpenCL C
    .language_version:
      - 2
      - 0
    .max_flat_workgroup_size: 256
    .name:           _ZN7rocprim17ROCPRIM_400000_NS6detail17trampoline_kernelINS0_14default_configENS1_29reduce_by_key_config_selectorIyyN6thrust23THRUST_200600_302600_NS4plusIyEEEEZZNS1_33reduce_by_key_impl_wrapped_configILNS1_25lookback_scan_determinismE0ES3_S9_NS6_6detail15normal_iteratorINS6_10device_ptrIyEEEESG_SG_SG_PmS8_22is_equal_div_10_reduceIyEEE10hipError_tPvRmT2_T3_mT4_T5_T6_T7_T8_P12ihipStream_tbENKUlT_T0_E_clISt17integral_constantIbLb1EES11_EEDaSW_SX_EUlSW_E_NS1_11comp_targetILNS1_3genE4ELNS1_11target_archE910ELNS1_3gpuE8ELNS1_3repE0EEENS1_30default_config_static_selectorELNS0_4arch9wavefront6targetE1EEEvT1_
    .private_segment_fixed_size: 0
    .sgpr_count:     70
    .sgpr_spill_count: 0
    .symbol:         _ZN7rocprim17ROCPRIM_400000_NS6detail17trampoline_kernelINS0_14default_configENS1_29reduce_by_key_config_selectorIyyN6thrust23THRUST_200600_302600_NS4plusIyEEEEZZNS1_33reduce_by_key_impl_wrapped_configILNS1_25lookback_scan_determinismE0ES3_S9_NS6_6detail15normal_iteratorINS6_10device_ptrIyEEEESG_SG_SG_PmS8_22is_equal_div_10_reduceIyEEE10hipError_tPvRmT2_T3_mT4_T5_T6_T7_T8_P12ihipStream_tbENKUlT_T0_E_clISt17integral_constantIbLb1EES11_EEDaSW_SX_EUlSW_E_NS1_11comp_targetILNS1_3genE4ELNS1_11target_archE910ELNS1_3gpuE8ELNS1_3repE0EEENS1_30default_config_static_selectorELNS0_4arch9wavefront6targetE1EEEvT1_.kd
    .uniform_work_group_size: 1
    .uses_dynamic_stack: false
    .vgpr_count:     116
    .vgpr_spill_count: 0
    .wavefront_size: 64
  - .agpr_count:     0
    .args:
      - .offset:         0
        .size:           136
        .value_kind:     by_value
    .group_segment_fixed_size: 0
    .kernarg_segment_align: 8
    .kernarg_segment_size: 136
    .language:       OpenCL C
    .language_version:
      - 2
      - 0
    .max_flat_workgroup_size: 256
    .name:           _ZN7rocprim17ROCPRIM_400000_NS6detail17trampoline_kernelINS0_14default_configENS1_29reduce_by_key_config_selectorIyyN6thrust23THRUST_200600_302600_NS4plusIyEEEEZZNS1_33reduce_by_key_impl_wrapped_configILNS1_25lookback_scan_determinismE0ES3_S9_NS6_6detail15normal_iteratorINS6_10device_ptrIyEEEESG_SG_SG_PmS8_22is_equal_div_10_reduceIyEEE10hipError_tPvRmT2_T3_mT4_T5_T6_T7_T8_P12ihipStream_tbENKUlT_T0_E_clISt17integral_constantIbLb1EES11_EEDaSW_SX_EUlSW_E_NS1_11comp_targetILNS1_3genE3ELNS1_11target_archE908ELNS1_3gpuE7ELNS1_3repE0EEENS1_30default_config_static_selectorELNS0_4arch9wavefront6targetE1EEEvT1_
    .private_segment_fixed_size: 0
    .sgpr_count:     4
    .sgpr_spill_count: 0
    .symbol:         _ZN7rocprim17ROCPRIM_400000_NS6detail17trampoline_kernelINS0_14default_configENS1_29reduce_by_key_config_selectorIyyN6thrust23THRUST_200600_302600_NS4plusIyEEEEZZNS1_33reduce_by_key_impl_wrapped_configILNS1_25lookback_scan_determinismE0ES3_S9_NS6_6detail15normal_iteratorINS6_10device_ptrIyEEEESG_SG_SG_PmS8_22is_equal_div_10_reduceIyEEE10hipError_tPvRmT2_T3_mT4_T5_T6_T7_T8_P12ihipStream_tbENKUlT_T0_E_clISt17integral_constantIbLb1EES11_EEDaSW_SX_EUlSW_E_NS1_11comp_targetILNS1_3genE3ELNS1_11target_archE908ELNS1_3gpuE7ELNS1_3repE0EEENS1_30default_config_static_selectorELNS0_4arch9wavefront6targetE1EEEvT1_.kd
    .uniform_work_group_size: 1
    .uses_dynamic_stack: false
    .vgpr_count:     0
    .vgpr_spill_count: 0
    .wavefront_size: 64
  - .agpr_count:     0
    .args:
      - .offset:         0
        .size:           136
        .value_kind:     by_value
    .group_segment_fixed_size: 0
    .kernarg_segment_align: 8
    .kernarg_segment_size: 136
    .language:       OpenCL C
    .language_version:
      - 2
      - 0
    .max_flat_workgroup_size: 256
    .name:           _ZN7rocprim17ROCPRIM_400000_NS6detail17trampoline_kernelINS0_14default_configENS1_29reduce_by_key_config_selectorIyyN6thrust23THRUST_200600_302600_NS4plusIyEEEEZZNS1_33reduce_by_key_impl_wrapped_configILNS1_25lookback_scan_determinismE0ES3_S9_NS6_6detail15normal_iteratorINS6_10device_ptrIyEEEESG_SG_SG_PmS8_22is_equal_div_10_reduceIyEEE10hipError_tPvRmT2_T3_mT4_T5_T6_T7_T8_P12ihipStream_tbENKUlT_T0_E_clISt17integral_constantIbLb1EES11_EEDaSW_SX_EUlSW_E_NS1_11comp_targetILNS1_3genE2ELNS1_11target_archE906ELNS1_3gpuE6ELNS1_3repE0EEENS1_30default_config_static_selectorELNS0_4arch9wavefront6targetE1EEEvT1_
    .private_segment_fixed_size: 0
    .sgpr_count:     4
    .sgpr_spill_count: 0
    .symbol:         _ZN7rocprim17ROCPRIM_400000_NS6detail17trampoline_kernelINS0_14default_configENS1_29reduce_by_key_config_selectorIyyN6thrust23THRUST_200600_302600_NS4plusIyEEEEZZNS1_33reduce_by_key_impl_wrapped_configILNS1_25lookback_scan_determinismE0ES3_S9_NS6_6detail15normal_iteratorINS6_10device_ptrIyEEEESG_SG_SG_PmS8_22is_equal_div_10_reduceIyEEE10hipError_tPvRmT2_T3_mT4_T5_T6_T7_T8_P12ihipStream_tbENKUlT_T0_E_clISt17integral_constantIbLb1EES11_EEDaSW_SX_EUlSW_E_NS1_11comp_targetILNS1_3genE2ELNS1_11target_archE906ELNS1_3gpuE6ELNS1_3repE0EEENS1_30default_config_static_selectorELNS0_4arch9wavefront6targetE1EEEvT1_.kd
    .uniform_work_group_size: 1
    .uses_dynamic_stack: false
    .vgpr_count:     0
    .vgpr_spill_count: 0
    .wavefront_size: 64
  - .agpr_count:     0
    .args:
      - .offset:         0
        .size:           136
        .value_kind:     by_value
    .group_segment_fixed_size: 0
    .kernarg_segment_align: 8
    .kernarg_segment_size: 136
    .language:       OpenCL C
    .language_version:
      - 2
      - 0
    .max_flat_workgroup_size: 256
    .name:           _ZN7rocprim17ROCPRIM_400000_NS6detail17trampoline_kernelINS0_14default_configENS1_29reduce_by_key_config_selectorIyyN6thrust23THRUST_200600_302600_NS4plusIyEEEEZZNS1_33reduce_by_key_impl_wrapped_configILNS1_25lookback_scan_determinismE0ES3_S9_NS6_6detail15normal_iteratorINS6_10device_ptrIyEEEESG_SG_SG_PmS8_22is_equal_div_10_reduceIyEEE10hipError_tPvRmT2_T3_mT4_T5_T6_T7_T8_P12ihipStream_tbENKUlT_T0_E_clISt17integral_constantIbLb1EES11_EEDaSW_SX_EUlSW_E_NS1_11comp_targetILNS1_3genE10ELNS1_11target_archE1201ELNS1_3gpuE5ELNS1_3repE0EEENS1_30default_config_static_selectorELNS0_4arch9wavefront6targetE1EEEvT1_
    .private_segment_fixed_size: 0
    .sgpr_count:     4
    .sgpr_spill_count: 0
    .symbol:         _ZN7rocprim17ROCPRIM_400000_NS6detail17trampoline_kernelINS0_14default_configENS1_29reduce_by_key_config_selectorIyyN6thrust23THRUST_200600_302600_NS4plusIyEEEEZZNS1_33reduce_by_key_impl_wrapped_configILNS1_25lookback_scan_determinismE0ES3_S9_NS6_6detail15normal_iteratorINS6_10device_ptrIyEEEESG_SG_SG_PmS8_22is_equal_div_10_reduceIyEEE10hipError_tPvRmT2_T3_mT4_T5_T6_T7_T8_P12ihipStream_tbENKUlT_T0_E_clISt17integral_constantIbLb1EES11_EEDaSW_SX_EUlSW_E_NS1_11comp_targetILNS1_3genE10ELNS1_11target_archE1201ELNS1_3gpuE5ELNS1_3repE0EEENS1_30default_config_static_selectorELNS0_4arch9wavefront6targetE1EEEvT1_.kd
    .uniform_work_group_size: 1
    .uses_dynamic_stack: false
    .vgpr_count:     0
    .vgpr_spill_count: 0
    .wavefront_size: 64
  - .agpr_count:     0
    .args:
      - .offset:         0
        .size:           136
        .value_kind:     by_value
    .group_segment_fixed_size: 0
    .kernarg_segment_align: 8
    .kernarg_segment_size: 136
    .language:       OpenCL C
    .language_version:
      - 2
      - 0
    .max_flat_workgroup_size: 256
    .name:           _ZN7rocprim17ROCPRIM_400000_NS6detail17trampoline_kernelINS0_14default_configENS1_29reduce_by_key_config_selectorIyyN6thrust23THRUST_200600_302600_NS4plusIyEEEEZZNS1_33reduce_by_key_impl_wrapped_configILNS1_25lookback_scan_determinismE0ES3_S9_NS6_6detail15normal_iteratorINS6_10device_ptrIyEEEESG_SG_SG_PmS8_22is_equal_div_10_reduceIyEEE10hipError_tPvRmT2_T3_mT4_T5_T6_T7_T8_P12ihipStream_tbENKUlT_T0_E_clISt17integral_constantIbLb1EES11_EEDaSW_SX_EUlSW_E_NS1_11comp_targetILNS1_3genE10ELNS1_11target_archE1200ELNS1_3gpuE4ELNS1_3repE0EEENS1_30default_config_static_selectorELNS0_4arch9wavefront6targetE1EEEvT1_
    .private_segment_fixed_size: 0
    .sgpr_count:     4
    .sgpr_spill_count: 0
    .symbol:         _ZN7rocprim17ROCPRIM_400000_NS6detail17trampoline_kernelINS0_14default_configENS1_29reduce_by_key_config_selectorIyyN6thrust23THRUST_200600_302600_NS4plusIyEEEEZZNS1_33reduce_by_key_impl_wrapped_configILNS1_25lookback_scan_determinismE0ES3_S9_NS6_6detail15normal_iteratorINS6_10device_ptrIyEEEESG_SG_SG_PmS8_22is_equal_div_10_reduceIyEEE10hipError_tPvRmT2_T3_mT4_T5_T6_T7_T8_P12ihipStream_tbENKUlT_T0_E_clISt17integral_constantIbLb1EES11_EEDaSW_SX_EUlSW_E_NS1_11comp_targetILNS1_3genE10ELNS1_11target_archE1200ELNS1_3gpuE4ELNS1_3repE0EEENS1_30default_config_static_selectorELNS0_4arch9wavefront6targetE1EEEvT1_.kd
    .uniform_work_group_size: 1
    .uses_dynamic_stack: false
    .vgpr_count:     0
    .vgpr_spill_count: 0
    .wavefront_size: 64
  - .agpr_count:     0
    .args:
      - .offset:         0
        .size:           136
        .value_kind:     by_value
    .group_segment_fixed_size: 0
    .kernarg_segment_align: 8
    .kernarg_segment_size: 136
    .language:       OpenCL C
    .language_version:
      - 2
      - 0
    .max_flat_workgroup_size: 256
    .name:           _ZN7rocprim17ROCPRIM_400000_NS6detail17trampoline_kernelINS0_14default_configENS1_29reduce_by_key_config_selectorIyyN6thrust23THRUST_200600_302600_NS4plusIyEEEEZZNS1_33reduce_by_key_impl_wrapped_configILNS1_25lookback_scan_determinismE0ES3_S9_NS6_6detail15normal_iteratorINS6_10device_ptrIyEEEESG_SG_SG_PmS8_22is_equal_div_10_reduceIyEEE10hipError_tPvRmT2_T3_mT4_T5_T6_T7_T8_P12ihipStream_tbENKUlT_T0_E_clISt17integral_constantIbLb1EES11_EEDaSW_SX_EUlSW_E_NS1_11comp_targetILNS1_3genE9ELNS1_11target_archE1100ELNS1_3gpuE3ELNS1_3repE0EEENS1_30default_config_static_selectorELNS0_4arch9wavefront6targetE1EEEvT1_
    .private_segment_fixed_size: 0
    .sgpr_count:     4
    .sgpr_spill_count: 0
    .symbol:         _ZN7rocprim17ROCPRIM_400000_NS6detail17trampoline_kernelINS0_14default_configENS1_29reduce_by_key_config_selectorIyyN6thrust23THRUST_200600_302600_NS4plusIyEEEEZZNS1_33reduce_by_key_impl_wrapped_configILNS1_25lookback_scan_determinismE0ES3_S9_NS6_6detail15normal_iteratorINS6_10device_ptrIyEEEESG_SG_SG_PmS8_22is_equal_div_10_reduceIyEEE10hipError_tPvRmT2_T3_mT4_T5_T6_T7_T8_P12ihipStream_tbENKUlT_T0_E_clISt17integral_constantIbLb1EES11_EEDaSW_SX_EUlSW_E_NS1_11comp_targetILNS1_3genE9ELNS1_11target_archE1100ELNS1_3gpuE3ELNS1_3repE0EEENS1_30default_config_static_selectorELNS0_4arch9wavefront6targetE1EEEvT1_.kd
    .uniform_work_group_size: 1
    .uses_dynamic_stack: false
    .vgpr_count:     0
    .vgpr_spill_count: 0
    .wavefront_size: 64
  - .agpr_count:     0
    .args:
      - .offset:         0
        .size:           136
        .value_kind:     by_value
    .group_segment_fixed_size: 0
    .kernarg_segment_align: 8
    .kernarg_segment_size: 136
    .language:       OpenCL C
    .language_version:
      - 2
      - 0
    .max_flat_workgroup_size: 256
    .name:           _ZN7rocprim17ROCPRIM_400000_NS6detail17trampoline_kernelINS0_14default_configENS1_29reduce_by_key_config_selectorIyyN6thrust23THRUST_200600_302600_NS4plusIyEEEEZZNS1_33reduce_by_key_impl_wrapped_configILNS1_25lookback_scan_determinismE0ES3_S9_NS6_6detail15normal_iteratorINS6_10device_ptrIyEEEESG_SG_SG_PmS8_22is_equal_div_10_reduceIyEEE10hipError_tPvRmT2_T3_mT4_T5_T6_T7_T8_P12ihipStream_tbENKUlT_T0_E_clISt17integral_constantIbLb1EES11_EEDaSW_SX_EUlSW_E_NS1_11comp_targetILNS1_3genE8ELNS1_11target_archE1030ELNS1_3gpuE2ELNS1_3repE0EEENS1_30default_config_static_selectorELNS0_4arch9wavefront6targetE1EEEvT1_
    .private_segment_fixed_size: 0
    .sgpr_count:     4
    .sgpr_spill_count: 0
    .symbol:         _ZN7rocprim17ROCPRIM_400000_NS6detail17trampoline_kernelINS0_14default_configENS1_29reduce_by_key_config_selectorIyyN6thrust23THRUST_200600_302600_NS4plusIyEEEEZZNS1_33reduce_by_key_impl_wrapped_configILNS1_25lookback_scan_determinismE0ES3_S9_NS6_6detail15normal_iteratorINS6_10device_ptrIyEEEESG_SG_SG_PmS8_22is_equal_div_10_reduceIyEEE10hipError_tPvRmT2_T3_mT4_T5_T6_T7_T8_P12ihipStream_tbENKUlT_T0_E_clISt17integral_constantIbLb1EES11_EEDaSW_SX_EUlSW_E_NS1_11comp_targetILNS1_3genE8ELNS1_11target_archE1030ELNS1_3gpuE2ELNS1_3repE0EEENS1_30default_config_static_selectorELNS0_4arch9wavefront6targetE1EEEvT1_.kd
    .uniform_work_group_size: 1
    .uses_dynamic_stack: false
    .vgpr_count:     0
    .vgpr_spill_count: 0
    .wavefront_size: 64
  - .agpr_count:     0
    .args:
      - .offset:         0
        .size:           136
        .value_kind:     by_value
    .group_segment_fixed_size: 0
    .kernarg_segment_align: 8
    .kernarg_segment_size: 136
    .language:       OpenCL C
    .language_version:
      - 2
      - 0
    .max_flat_workgroup_size: 256
    .name:           _ZN7rocprim17ROCPRIM_400000_NS6detail17trampoline_kernelINS0_14default_configENS1_29reduce_by_key_config_selectorIyyN6thrust23THRUST_200600_302600_NS4plusIyEEEEZZNS1_33reduce_by_key_impl_wrapped_configILNS1_25lookback_scan_determinismE0ES3_S9_NS6_6detail15normal_iteratorINS6_10device_ptrIyEEEESG_SG_SG_PmS8_22is_equal_div_10_reduceIyEEE10hipError_tPvRmT2_T3_mT4_T5_T6_T7_T8_P12ihipStream_tbENKUlT_T0_E_clISt17integral_constantIbLb1EES10_IbLb0EEEEDaSW_SX_EUlSW_E_NS1_11comp_targetILNS1_3genE0ELNS1_11target_archE4294967295ELNS1_3gpuE0ELNS1_3repE0EEENS1_30default_config_static_selectorELNS0_4arch9wavefront6targetE1EEEvT1_
    .private_segment_fixed_size: 0
    .sgpr_count:     4
    .sgpr_spill_count: 0
    .symbol:         _ZN7rocprim17ROCPRIM_400000_NS6detail17trampoline_kernelINS0_14default_configENS1_29reduce_by_key_config_selectorIyyN6thrust23THRUST_200600_302600_NS4plusIyEEEEZZNS1_33reduce_by_key_impl_wrapped_configILNS1_25lookback_scan_determinismE0ES3_S9_NS6_6detail15normal_iteratorINS6_10device_ptrIyEEEESG_SG_SG_PmS8_22is_equal_div_10_reduceIyEEE10hipError_tPvRmT2_T3_mT4_T5_T6_T7_T8_P12ihipStream_tbENKUlT_T0_E_clISt17integral_constantIbLb1EES10_IbLb0EEEEDaSW_SX_EUlSW_E_NS1_11comp_targetILNS1_3genE0ELNS1_11target_archE4294967295ELNS1_3gpuE0ELNS1_3repE0EEENS1_30default_config_static_selectorELNS0_4arch9wavefront6targetE1EEEvT1_.kd
    .uniform_work_group_size: 1
    .uses_dynamic_stack: false
    .vgpr_count:     0
    .vgpr_spill_count: 0
    .wavefront_size: 64
  - .agpr_count:     0
    .args:
      - .offset:         0
        .size:           136
        .value_kind:     by_value
    .group_segment_fixed_size: 0
    .kernarg_segment_align: 8
    .kernarg_segment_size: 136
    .language:       OpenCL C
    .language_version:
      - 2
      - 0
    .max_flat_workgroup_size: 256
    .name:           _ZN7rocprim17ROCPRIM_400000_NS6detail17trampoline_kernelINS0_14default_configENS1_29reduce_by_key_config_selectorIyyN6thrust23THRUST_200600_302600_NS4plusIyEEEEZZNS1_33reduce_by_key_impl_wrapped_configILNS1_25lookback_scan_determinismE0ES3_S9_NS6_6detail15normal_iteratorINS6_10device_ptrIyEEEESG_SG_SG_PmS8_22is_equal_div_10_reduceIyEEE10hipError_tPvRmT2_T3_mT4_T5_T6_T7_T8_P12ihipStream_tbENKUlT_T0_E_clISt17integral_constantIbLb1EES10_IbLb0EEEEDaSW_SX_EUlSW_E_NS1_11comp_targetILNS1_3genE5ELNS1_11target_archE942ELNS1_3gpuE9ELNS1_3repE0EEENS1_30default_config_static_selectorELNS0_4arch9wavefront6targetE1EEEvT1_
    .private_segment_fixed_size: 0
    .sgpr_count:     4
    .sgpr_spill_count: 0
    .symbol:         _ZN7rocprim17ROCPRIM_400000_NS6detail17trampoline_kernelINS0_14default_configENS1_29reduce_by_key_config_selectorIyyN6thrust23THRUST_200600_302600_NS4plusIyEEEEZZNS1_33reduce_by_key_impl_wrapped_configILNS1_25lookback_scan_determinismE0ES3_S9_NS6_6detail15normal_iteratorINS6_10device_ptrIyEEEESG_SG_SG_PmS8_22is_equal_div_10_reduceIyEEE10hipError_tPvRmT2_T3_mT4_T5_T6_T7_T8_P12ihipStream_tbENKUlT_T0_E_clISt17integral_constantIbLb1EES10_IbLb0EEEEDaSW_SX_EUlSW_E_NS1_11comp_targetILNS1_3genE5ELNS1_11target_archE942ELNS1_3gpuE9ELNS1_3repE0EEENS1_30default_config_static_selectorELNS0_4arch9wavefront6targetE1EEEvT1_.kd
    .uniform_work_group_size: 1
    .uses_dynamic_stack: false
    .vgpr_count:     0
    .vgpr_spill_count: 0
    .wavefront_size: 64
  - .agpr_count:     0
    .args:
      - .offset:         0
        .size:           136
        .value_kind:     by_value
    .group_segment_fixed_size: 30720
    .kernarg_segment_align: 8
    .kernarg_segment_size: 136
    .language:       OpenCL C
    .language_version:
      - 2
      - 0
    .max_flat_workgroup_size: 256
    .name:           _ZN7rocprim17ROCPRIM_400000_NS6detail17trampoline_kernelINS0_14default_configENS1_29reduce_by_key_config_selectorIyyN6thrust23THRUST_200600_302600_NS4plusIyEEEEZZNS1_33reduce_by_key_impl_wrapped_configILNS1_25lookback_scan_determinismE0ES3_S9_NS6_6detail15normal_iteratorINS6_10device_ptrIyEEEESG_SG_SG_PmS8_22is_equal_div_10_reduceIyEEE10hipError_tPvRmT2_T3_mT4_T5_T6_T7_T8_P12ihipStream_tbENKUlT_T0_E_clISt17integral_constantIbLb1EES10_IbLb0EEEEDaSW_SX_EUlSW_E_NS1_11comp_targetILNS1_3genE4ELNS1_11target_archE910ELNS1_3gpuE8ELNS1_3repE0EEENS1_30default_config_static_selectorELNS0_4arch9wavefront6targetE1EEEvT1_
    .private_segment_fixed_size: 0
    .sgpr_count:     69
    .sgpr_spill_count: 0
    .symbol:         _ZN7rocprim17ROCPRIM_400000_NS6detail17trampoline_kernelINS0_14default_configENS1_29reduce_by_key_config_selectorIyyN6thrust23THRUST_200600_302600_NS4plusIyEEEEZZNS1_33reduce_by_key_impl_wrapped_configILNS1_25lookback_scan_determinismE0ES3_S9_NS6_6detail15normal_iteratorINS6_10device_ptrIyEEEESG_SG_SG_PmS8_22is_equal_div_10_reduceIyEEE10hipError_tPvRmT2_T3_mT4_T5_T6_T7_T8_P12ihipStream_tbENKUlT_T0_E_clISt17integral_constantIbLb1EES10_IbLb0EEEEDaSW_SX_EUlSW_E_NS1_11comp_targetILNS1_3genE4ELNS1_11target_archE910ELNS1_3gpuE8ELNS1_3repE0EEENS1_30default_config_static_selectorELNS0_4arch9wavefront6targetE1EEEvT1_.kd
    .uniform_work_group_size: 1
    .uses_dynamic_stack: false
    .vgpr_count:     116
    .vgpr_spill_count: 0
    .wavefront_size: 64
  - .agpr_count:     0
    .args:
      - .offset:         0
        .size:           136
        .value_kind:     by_value
    .group_segment_fixed_size: 0
    .kernarg_segment_align: 8
    .kernarg_segment_size: 136
    .language:       OpenCL C
    .language_version:
      - 2
      - 0
    .max_flat_workgroup_size: 256
    .name:           _ZN7rocprim17ROCPRIM_400000_NS6detail17trampoline_kernelINS0_14default_configENS1_29reduce_by_key_config_selectorIyyN6thrust23THRUST_200600_302600_NS4plusIyEEEEZZNS1_33reduce_by_key_impl_wrapped_configILNS1_25lookback_scan_determinismE0ES3_S9_NS6_6detail15normal_iteratorINS6_10device_ptrIyEEEESG_SG_SG_PmS8_22is_equal_div_10_reduceIyEEE10hipError_tPvRmT2_T3_mT4_T5_T6_T7_T8_P12ihipStream_tbENKUlT_T0_E_clISt17integral_constantIbLb1EES10_IbLb0EEEEDaSW_SX_EUlSW_E_NS1_11comp_targetILNS1_3genE3ELNS1_11target_archE908ELNS1_3gpuE7ELNS1_3repE0EEENS1_30default_config_static_selectorELNS0_4arch9wavefront6targetE1EEEvT1_
    .private_segment_fixed_size: 0
    .sgpr_count:     4
    .sgpr_spill_count: 0
    .symbol:         _ZN7rocprim17ROCPRIM_400000_NS6detail17trampoline_kernelINS0_14default_configENS1_29reduce_by_key_config_selectorIyyN6thrust23THRUST_200600_302600_NS4plusIyEEEEZZNS1_33reduce_by_key_impl_wrapped_configILNS1_25lookback_scan_determinismE0ES3_S9_NS6_6detail15normal_iteratorINS6_10device_ptrIyEEEESG_SG_SG_PmS8_22is_equal_div_10_reduceIyEEE10hipError_tPvRmT2_T3_mT4_T5_T6_T7_T8_P12ihipStream_tbENKUlT_T0_E_clISt17integral_constantIbLb1EES10_IbLb0EEEEDaSW_SX_EUlSW_E_NS1_11comp_targetILNS1_3genE3ELNS1_11target_archE908ELNS1_3gpuE7ELNS1_3repE0EEENS1_30default_config_static_selectorELNS0_4arch9wavefront6targetE1EEEvT1_.kd
    .uniform_work_group_size: 1
    .uses_dynamic_stack: false
    .vgpr_count:     0
    .vgpr_spill_count: 0
    .wavefront_size: 64
  - .agpr_count:     0
    .args:
      - .offset:         0
        .size:           136
        .value_kind:     by_value
    .group_segment_fixed_size: 0
    .kernarg_segment_align: 8
    .kernarg_segment_size: 136
    .language:       OpenCL C
    .language_version:
      - 2
      - 0
    .max_flat_workgroup_size: 256
    .name:           _ZN7rocprim17ROCPRIM_400000_NS6detail17trampoline_kernelINS0_14default_configENS1_29reduce_by_key_config_selectorIyyN6thrust23THRUST_200600_302600_NS4plusIyEEEEZZNS1_33reduce_by_key_impl_wrapped_configILNS1_25lookback_scan_determinismE0ES3_S9_NS6_6detail15normal_iteratorINS6_10device_ptrIyEEEESG_SG_SG_PmS8_22is_equal_div_10_reduceIyEEE10hipError_tPvRmT2_T3_mT4_T5_T6_T7_T8_P12ihipStream_tbENKUlT_T0_E_clISt17integral_constantIbLb1EES10_IbLb0EEEEDaSW_SX_EUlSW_E_NS1_11comp_targetILNS1_3genE2ELNS1_11target_archE906ELNS1_3gpuE6ELNS1_3repE0EEENS1_30default_config_static_selectorELNS0_4arch9wavefront6targetE1EEEvT1_
    .private_segment_fixed_size: 0
    .sgpr_count:     4
    .sgpr_spill_count: 0
    .symbol:         _ZN7rocprim17ROCPRIM_400000_NS6detail17trampoline_kernelINS0_14default_configENS1_29reduce_by_key_config_selectorIyyN6thrust23THRUST_200600_302600_NS4plusIyEEEEZZNS1_33reduce_by_key_impl_wrapped_configILNS1_25lookback_scan_determinismE0ES3_S9_NS6_6detail15normal_iteratorINS6_10device_ptrIyEEEESG_SG_SG_PmS8_22is_equal_div_10_reduceIyEEE10hipError_tPvRmT2_T3_mT4_T5_T6_T7_T8_P12ihipStream_tbENKUlT_T0_E_clISt17integral_constantIbLb1EES10_IbLb0EEEEDaSW_SX_EUlSW_E_NS1_11comp_targetILNS1_3genE2ELNS1_11target_archE906ELNS1_3gpuE6ELNS1_3repE0EEENS1_30default_config_static_selectorELNS0_4arch9wavefront6targetE1EEEvT1_.kd
    .uniform_work_group_size: 1
    .uses_dynamic_stack: false
    .vgpr_count:     0
    .vgpr_spill_count: 0
    .wavefront_size: 64
  - .agpr_count:     0
    .args:
      - .offset:         0
        .size:           136
        .value_kind:     by_value
    .group_segment_fixed_size: 0
    .kernarg_segment_align: 8
    .kernarg_segment_size: 136
    .language:       OpenCL C
    .language_version:
      - 2
      - 0
    .max_flat_workgroup_size: 256
    .name:           _ZN7rocprim17ROCPRIM_400000_NS6detail17trampoline_kernelINS0_14default_configENS1_29reduce_by_key_config_selectorIyyN6thrust23THRUST_200600_302600_NS4plusIyEEEEZZNS1_33reduce_by_key_impl_wrapped_configILNS1_25lookback_scan_determinismE0ES3_S9_NS6_6detail15normal_iteratorINS6_10device_ptrIyEEEESG_SG_SG_PmS8_22is_equal_div_10_reduceIyEEE10hipError_tPvRmT2_T3_mT4_T5_T6_T7_T8_P12ihipStream_tbENKUlT_T0_E_clISt17integral_constantIbLb1EES10_IbLb0EEEEDaSW_SX_EUlSW_E_NS1_11comp_targetILNS1_3genE10ELNS1_11target_archE1201ELNS1_3gpuE5ELNS1_3repE0EEENS1_30default_config_static_selectorELNS0_4arch9wavefront6targetE1EEEvT1_
    .private_segment_fixed_size: 0
    .sgpr_count:     4
    .sgpr_spill_count: 0
    .symbol:         _ZN7rocprim17ROCPRIM_400000_NS6detail17trampoline_kernelINS0_14default_configENS1_29reduce_by_key_config_selectorIyyN6thrust23THRUST_200600_302600_NS4plusIyEEEEZZNS1_33reduce_by_key_impl_wrapped_configILNS1_25lookback_scan_determinismE0ES3_S9_NS6_6detail15normal_iteratorINS6_10device_ptrIyEEEESG_SG_SG_PmS8_22is_equal_div_10_reduceIyEEE10hipError_tPvRmT2_T3_mT4_T5_T6_T7_T8_P12ihipStream_tbENKUlT_T0_E_clISt17integral_constantIbLb1EES10_IbLb0EEEEDaSW_SX_EUlSW_E_NS1_11comp_targetILNS1_3genE10ELNS1_11target_archE1201ELNS1_3gpuE5ELNS1_3repE0EEENS1_30default_config_static_selectorELNS0_4arch9wavefront6targetE1EEEvT1_.kd
    .uniform_work_group_size: 1
    .uses_dynamic_stack: false
    .vgpr_count:     0
    .vgpr_spill_count: 0
    .wavefront_size: 64
  - .agpr_count:     0
    .args:
      - .offset:         0
        .size:           136
        .value_kind:     by_value
    .group_segment_fixed_size: 0
    .kernarg_segment_align: 8
    .kernarg_segment_size: 136
    .language:       OpenCL C
    .language_version:
      - 2
      - 0
    .max_flat_workgroup_size: 256
    .name:           _ZN7rocprim17ROCPRIM_400000_NS6detail17trampoline_kernelINS0_14default_configENS1_29reduce_by_key_config_selectorIyyN6thrust23THRUST_200600_302600_NS4plusIyEEEEZZNS1_33reduce_by_key_impl_wrapped_configILNS1_25lookback_scan_determinismE0ES3_S9_NS6_6detail15normal_iteratorINS6_10device_ptrIyEEEESG_SG_SG_PmS8_22is_equal_div_10_reduceIyEEE10hipError_tPvRmT2_T3_mT4_T5_T6_T7_T8_P12ihipStream_tbENKUlT_T0_E_clISt17integral_constantIbLb1EES10_IbLb0EEEEDaSW_SX_EUlSW_E_NS1_11comp_targetILNS1_3genE10ELNS1_11target_archE1200ELNS1_3gpuE4ELNS1_3repE0EEENS1_30default_config_static_selectorELNS0_4arch9wavefront6targetE1EEEvT1_
    .private_segment_fixed_size: 0
    .sgpr_count:     4
    .sgpr_spill_count: 0
    .symbol:         _ZN7rocprim17ROCPRIM_400000_NS6detail17trampoline_kernelINS0_14default_configENS1_29reduce_by_key_config_selectorIyyN6thrust23THRUST_200600_302600_NS4plusIyEEEEZZNS1_33reduce_by_key_impl_wrapped_configILNS1_25lookback_scan_determinismE0ES3_S9_NS6_6detail15normal_iteratorINS6_10device_ptrIyEEEESG_SG_SG_PmS8_22is_equal_div_10_reduceIyEEE10hipError_tPvRmT2_T3_mT4_T5_T6_T7_T8_P12ihipStream_tbENKUlT_T0_E_clISt17integral_constantIbLb1EES10_IbLb0EEEEDaSW_SX_EUlSW_E_NS1_11comp_targetILNS1_3genE10ELNS1_11target_archE1200ELNS1_3gpuE4ELNS1_3repE0EEENS1_30default_config_static_selectorELNS0_4arch9wavefront6targetE1EEEvT1_.kd
    .uniform_work_group_size: 1
    .uses_dynamic_stack: false
    .vgpr_count:     0
    .vgpr_spill_count: 0
    .wavefront_size: 64
  - .agpr_count:     0
    .args:
      - .offset:         0
        .size:           136
        .value_kind:     by_value
    .group_segment_fixed_size: 0
    .kernarg_segment_align: 8
    .kernarg_segment_size: 136
    .language:       OpenCL C
    .language_version:
      - 2
      - 0
    .max_flat_workgroup_size: 256
    .name:           _ZN7rocprim17ROCPRIM_400000_NS6detail17trampoline_kernelINS0_14default_configENS1_29reduce_by_key_config_selectorIyyN6thrust23THRUST_200600_302600_NS4plusIyEEEEZZNS1_33reduce_by_key_impl_wrapped_configILNS1_25lookback_scan_determinismE0ES3_S9_NS6_6detail15normal_iteratorINS6_10device_ptrIyEEEESG_SG_SG_PmS8_22is_equal_div_10_reduceIyEEE10hipError_tPvRmT2_T3_mT4_T5_T6_T7_T8_P12ihipStream_tbENKUlT_T0_E_clISt17integral_constantIbLb1EES10_IbLb0EEEEDaSW_SX_EUlSW_E_NS1_11comp_targetILNS1_3genE9ELNS1_11target_archE1100ELNS1_3gpuE3ELNS1_3repE0EEENS1_30default_config_static_selectorELNS0_4arch9wavefront6targetE1EEEvT1_
    .private_segment_fixed_size: 0
    .sgpr_count:     4
    .sgpr_spill_count: 0
    .symbol:         _ZN7rocprim17ROCPRIM_400000_NS6detail17trampoline_kernelINS0_14default_configENS1_29reduce_by_key_config_selectorIyyN6thrust23THRUST_200600_302600_NS4plusIyEEEEZZNS1_33reduce_by_key_impl_wrapped_configILNS1_25lookback_scan_determinismE0ES3_S9_NS6_6detail15normal_iteratorINS6_10device_ptrIyEEEESG_SG_SG_PmS8_22is_equal_div_10_reduceIyEEE10hipError_tPvRmT2_T3_mT4_T5_T6_T7_T8_P12ihipStream_tbENKUlT_T0_E_clISt17integral_constantIbLb1EES10_IbLb0EEEEDaSW_SX_EUlSW_E_NS1_11comp_targetILNS1_3genE9ELNS1_11target_archE1100ELNS1_3gpuE3ELNS1_3repE0EEENS1_30default_config_static_selectorELNS0_4arch9wavefront6targetE1EEEvT1_.kd
    .uniform_work_group_size: 1
    .uses_dynamic_stack: false
    .vgpr_count:     0
    .vgpr_spill_count: 0
    .wavefront_size: 64
  - .agpr_count:     0
    .args:
      - .offset:         0
        .size:           136
        .value_kind:     by_value
    .group_segment_fixed_size: 0
    .kernarg_segment_align: 8
    .kernarg_segment_size: 136
    .language:       OpenCL C
    .language_version:
      - 2
      - 0
    .max_flat_workgroup_size: 256
    .name:           _ZN7rocprim17ROCPRIM_400000_NS6detail17trampoline_kernelINS0_14default_configENS1_29reduce_by_key_config_selectorIyyN6thrust23THRUST_200600_302600_NS4plusIyEEEEZZNS1_33reduce_by_key_impl_wrapped_configILNS1_25lookback_scan_determinismE0ES3_S9_NS6_6detail15normal_iteratorINS6_10device_ptrIyEEEESG_SG_SG_PmS8_22is_equal_div_10_reduceIyEEE10hipError_tPvRmT2_T3_mT4_T5_T6_T7_T8_P12ihipStream_tbENKUlT_T0_E_clISt17integral_constantIbLb1EES10_IbLb0EEEEDaSW_SX_EUlSW_E_NS1_11comp_targetILNS1_3genE8ELNS1_11target_archE1030ELNS1_3gpuE2ELNS1_3repE0EEENS1_30default_config_static_selectorELNS0_4arch9wavefront6targetE1EEEvT1_
    .private_segment_fixed_size: 0
    .sgpr_count:     4
    .sgpr_spill_count: 0
    .symbol:         _ZN7rocprim17ROCPRIM_400000_NS6detail17trampoline_kernelINS0_14default_configENS1_29reduce_by_key_config_selectorIyyN6thrust23THRUST_200600_302600_NS4plusIyEEEEZZNS1_33reduce_by_key_impl_wrapped_configILNS1_25lookback_scan_determinismE0ES3_S9_NS6_6detail15normal_iteratorINS6_10device_ptrIyEEEESG_SG_SG_PmS8_22is_equal_div_10_reduceIyEEE10hipError_tPvRmT2_T3_mT4_T5_T6_T7_T8_P12ihipStream_tbENKUlT_T0_E_clISt17integral_constantIbLb1EES10_IbLb0EEEEDaSW_SX_EUlSW_E_NS1_11comp_targetILNS1_3genE8ELNS1_11target_archE1030ELNS1_3gpuE2ELNS1_3repE0EEENS1_30default_config_static_selectorELNS0_4arch9wavefront6targetE1EEEvT1_.kd
    .uniform_work_group_size: 1
    .uses_dynamic_stack: false
    .vgpr_count:     0
    .vgpr_spill_count: 0
    .wavefront_size: 64
  - .agpr_count:     0
    .args:
      - .offset:         0
        .size:           136
        .value_kind:     by_value
    .group_segment_fixed_size: 0
    .kernarg_segment_align: 8
    .kernarg_segment_size: 136
    .language:       OpenCL C
    .language_version:
      - 2
      - 0
    .max_flat_workgroup_size: 256
    .name:           _ZN7rocprim17ROCPRIM_400000_NS6detail17trampoline_kernelINS0_14default_configENS1_29reduce_by_key_config_selectorIyyN6thrust23THRUST_200600_302600_NS4plusIyEEEEZZNS1_33reduce_by_key_impl_wrapped_configILNS1_25lookback_scan_determinismE0ES3_S9_NS6_6detail15normal_iteratorINS6_10device_ptrIyEEEESG_SG_SG_PmS8_22is_equal_div_10_reduceIyEEE10hipError_tPvRmT2_T3_mT4_T5_T6_T7_T8_P12ihipStream_tbENKUlT_T0_E_clISt17integral_constantIbLb0EES10_IbLb1EEEEDaSW_SX_EUlSW_E_NS1_11comp_targetILNS1_3genE0ELNS1_11target_archE4294967295ELNS1_3gpuE0ELNS1_3repE0EEENS1_30default_config_static_selectorELNS0_4arch9wavefront6targetE1EEEvT1_
    .private_segment_fixed_size: 0
    .sgpr_count:     4
    .sgpr_spill_count: 0
    .symbol:         _ZN7rocprim17ROCPRIM_400000_NS6detail17trampoline_kernelINS0_14default_configENS1_29reduce_by_key_config_selectorIyyN6thrust23THRUST_200600_302600_NS4plusIyEEEEZZNS1_33reduce_by_key_impl_wrapped_configILNS1_25lookback_scan_determinismE0ES3_S9_NS6_6detail15normal_iteratorINS6_10device_ptrIyEEEESG_SG_SG_PmS8_22is_equal_div_10_reduceIyEEE10hipError_tPvRmT2_T3_mT4_T5_T6_T7_T8_P12ihipStream_tbENKUlT_T0_E_clISt17integral_constantIbLb0EES10_IbLb1EEEEDaSW_SX_EUlSW_E_NS1_11comp_targetILNS1_3genE0ELNS1_11target_archE4294967295ELNS1_3gpuE0ELNS1_3repE0EEENS1_30default_config_static_selectorELNS0_4arch9wavefront6targetE1EEEvT1_.kd
    .uniform_work_group_size: 1
    .uses_dynamic_stack: false
    .vgpr_count:     0
    .vgpr_spill_count: 0
    .wavefront_size: 64
  - .agpr_count:     0
    .args:
      - .offset:         0
        .size:           136
        .value_kind:     by_value
    .group_segment_fixed_size: 0
    .kernarg_segment_align: 8
    .kernarg_segment_size: 136
    .language:       OpenCL C
    .language_version:
      - 2
      - 0
    .max_flat_workgroup_size: 256
    .name:           _ZN7rocprim17ROCPRIM_400000_NS6detail17trampoline_kernelINS0_14default_configENS1_29reduce_by_key_config_selectorIyyN6thrust23THRUST_200600_302600_NS4plusIyEEEEZZNS1_33reduce_by_key_impl_wrapped_configILNS1_25lookback_scan_determinismE0ES3_S9_NS6_6detail15normal_iteratorINS6_10device_ptrIyEEEESG_SG_SG_PmS8_22is_equal_div_10_reduceIyEEE10hipError_tPvRmT2_T3_mT4_T5_T6_T7_T8_P12ihipStream_tbENKUlT_T0_E_clISt17integral_constantIbLb0EES10_IbLb1EEEEDaSW_SX_EUlSW_E_NS1_11comp_targetILNS1_3genE5ELNS1_11target_archE942ELNS1_3gpuE9ELNS1_3repE0EEENS1_30default_config_static_selectorELNS0_4arch9wavefront6targetE1EEEvT1_
    .private_segment_fixed_size: 0
    .sgpr_count:     4
    .sgpr_spill_count: 0
    .symbol:         _ZN7rocprim17ROCPRIM_400000_NS6detail17trampoline_kernelINS0_14default_configENS1_29reduce_by_key_config_selectorIyyN6thrust23THRUST_200600_302600_NS4plusIyEEEEZZNS1_33reduce_by_key_impl_wrapped_configILNS1_25lookback_scan_determinismE0ES3_S9_NS6_6detail15normal_iteratorINS6_10device_ptrIyEEEESG_SG_SG_PmS8_22is_equal_div_10_reduceIyEEE10hipError_tPvRmT2_T3_mT4_T5_T6_T7_T8_P12ihipStream_tbENKUlT_T0_E_clISt17integral_constantIbLb0EES10_IbLb1EEEEDaSW_SX_EUlSW_E_NS1_11comp_targetILNS1_3genE5ELNS1_11target_archE942ELNS1_3gpuE9ELNS1_3repE0EEENS1_30default_config_static_selectorELNS0_4arch9wavefront6targetE1EEEvT1_.kd
    .uniform_work_group_size: 1
    .uses_dynamic_stack: false
    .vgpr_count:     0
    .vgpr_spill_count: 0
    .wavefront_size: 64
  - .agpr_count:     0
    .args:
      - .offset:         0
        .size:           136
        .value_kind:     by_value
    .group_segment_fixed_size: 30720
    .kernarg_segment_align: 8
    .kernarg_segment_size: 136
    .language:       OpenCL C
    .language_version:
      - 2
      - 0
    .max_flat_workgroup_size: 256
    .name:           _ZN7rocprim17ROCPRIM_400000_NS6detail17trampoline_kernelINS0_14default_configENS1_29reduce_by_key_config_selectorIyyN6thrust23THRUST_200600_302600_NS4plusIyEEEEZZNS1_33reduce_by_key_impl_wrapped_configILNS1_25lookback_scan_determinismE0ES3_S9_NS6_6detail15normal_iteratorINS6_10device_ptrIyEEEESG_SG_SG_PmS8_22is_equal_div_10_reduceIyEEE10hipError_tPvRmT2_T3_mT4_T5_T6_T7_T8_P12ihipStream_tbENKUlT_T0_E_clISt17integral_constantIbLb0EES10_IbLb1EEEEDaSW_SX_EUlSW_E_NS1_11comp_targetILNS1_3genE4ELNS1_11target_archE910ELNS1_3gpuE8ELNS1_3repE0EEENS1_30default_config_static_selectorELNS0_4arch9wavefront6targetE1EEEvT1_
    .private_segment_fixed_size: 0
    .sgpr_count:     70
    .sgpr_spill_count: 0
    .symbol:         _ZN7rocprim17ROCPRIM_400000_NS6detail17trampoline_kernelINS0_14default_configENS1_29reduce_by_key_config_selectorIyyN6thrust23THRUST_200600_302600_NS4plusIyEEEEZZNS1_33reduce_by_key_impl_wrapped_configILNS1_25lookback_scan_determinismE0ES3_S9_NS6_6detail15normal_iteratorINS6_10device_ptrIyEEEESG_SG_SG_PmS8_22is_equal_div_10_reduceIyEEE10hipError_tPvRmT2_T3_mT4_T5_T6_T7_T8_P12ihipStream_tbENKUlT_T0_E_clISt17integral_constantIbLb0EES10_IbLb1EEEEDaSW_SX_EUlSW_E_NS1_11comp_targetILNS1_3genE4ELNS1_11target_archE910ELNS1_3gpuE8ELNS1_3repE0EEENS1_30default_config_static_selectorELNS0_4arch9wavefront6targetE1EEEvT1_.kd
    .uniform_work_group_size: 1
    .uses_dynamic_stack: false
    .vgpr_count:     116
    .vgpr_spill_count: 0
    .wavefront_size: 64
  - .agpr_count:     0
    .args:
      - .offset:         0
        .size:           136
        .value_kind:     by_value
    .group_segment_fixed_size: 0
    .kernarg_segment_align: 8
    .kernarg_segment_size: 136
    .language:       OpenCL C
    .language_version:
      - 2
      - 0
    .max_flat_workgroup_size: 256
    .name:           _ZN7rocprim17ROCPRIM_400000_NS6detail17trampoline_kernelINS0_14default_configENS1_29reduce_by_key_config_selectorIyyN6thrust23THRUST_200600_302600_NS4plusIyEEEEZZNS1_33reduce_by_key_impl_wrapped_configILNS1_25lookback_scan_determinismE0ES3_S9_NS6_6detail15normal_iteratorINS6_10device_ptrIyEEEESG_SG_SG_PmS8_22is_equal_div_10_reduceIyEEE10hipError_tPvRmT2_T3_mT4_T5_T6_T7_T8_P12ihipStream_tbENKUlT_T0_E_clISt17integral_constantIbLb0EES10_IbLb1EEEEDaSW_SX_EUlSW_E_NS1_11comp_targetILNS1_3genE3ELNS1_11target_archE908ELNS1_3gpuE7ELNS1_3repE0EEENS1_30default_config_static_selectorELNS0_4arch9wavefront6targetE1EEEvT1_
    .private_segment_fixed_size: 0
    .sgpr_count:     4
    .sgpr_spill_count: 0
    .symbol:         _ZN7rocprim17ROCPRIM_400000_NS6detail17trampoline_kernelINS0_14default_configENS1_29reduce_by_key_config_selectorIyyN6thrust23THRUST_200600_302600_NS4plusIyEEEEZZNS1_33reduce_by_key_impl_wrapped_configILNS1_25lookback_scan_determinismE0ES3_S9_NS6_6detail15normal_iteratorINS6_10device_ptrIyEEEESG_SG_SG_PmS8_22is_equal_div_10_reduceIyEEE10hipError_tPvRmT2_T3_mT4_T5_T6_T7_T8_P12ihipStream_tbENKUlT_T0_E_clISt17integral_constantIbLb0EES10_IbLb1EEEEDaSW_SX_EUlSW_E_NS1_11comp_targetILNS1_3genE3ELNS1_11target_archE908ELNS1_3gpuE7ELNS1_3repE0EEENS1_30default_config_static_selectorELNS0_4arch9wavefront6targetE1EEEvT1_.kd
    .uniform_work_group_size: 1
    .uses_dynamic_stack: false
    .vgpr_count:     0
    .vgpr_spill_count: 0
    .wavefront_size: 64
  - .agpr_count:     0
    .args:
      - .offset:         0
        .size:           136
        .value_kind:     by_value
    .group_segment_fixed_size: 0
    .kernarg_segment_align: 8
    .kernarg_segment_size: 136
    .language:       OpenCL C
    .language_version:
      - 2
      - 0
    .max_flat_workgroup_size: 256
    .name:           _ZN7rocprim17ROCPRIM_400000_NS6detail17trampoline_kernelINS0_14default_configENS1_29reduce_by_key_config_selectorIyyN6thrust23THRUST_200600_302600_NS4plusIyEEEEZZNS1_33reduce_by_key_impl_wrapped_configILNS1_25lookback_scan_determinismE0ES3_S9_NS6_6detail15normal_iteratorINS6_10device_ptrIyEEEESG_SG_SG_PmS8_22is_equal_div_10_reduceIyEEE10hipError_tPvRmT2_T3_mT4_T5_T6_T7_T8_P12ihipStream_tbENKUlT_T0_E_clISt17integral_constantIbLb0EES10_IbLb1EEEEDaSW_SX_EUlSW_E_NS1_11comp_targetILNS1_3genE2ELNS1_11target_archE906ELNS1_3gpuE6ELNS1_3repE0EEENS1_30default_config_static_selectorELNS0_4arch9wavefront6targetE1EEEvT1_
    .private_segment_fixed_size: 0
    .sgpr_count:     4
    .sgpr_spill_count: 0
    .symbol:         _ZN7rocprim17ROCPRIM_400000_NS6detail17trampoline_kernelINS0_14default_configENS1_29reduce_by_key_config_selectorIyyN6thrust23THRUST_200600_302600_NS4plusIyEEEEZZNS1_33reduce_by_key_impl_wrapped_configILNS1_25lookback_scan_determinismE0ES3_S9_NS6_6detail15normal_iteratorINS6_10device_ptrIyEEEESG_SG_SG_PmS8_22is_equal_div_10_reduceIyEEE10hipError_tPvRmT2_T3_mT4_T5_T6_T7_T8_P12ihipStream_tbENKUlT_T0_E_clISt17integral_constantIbLb0EES10_IbLb1EEEEDaSW_SX_EUlSW_E_NS1_11comp_targetILNS1_3genE2ELNS1_11target_archE906ELNS1_3gpuE6ELNS1_3repE0EEENS1_30default_config_static_selectorELNS0_4arch9wavefront6targetE1EEEvT1_.kd
    .uniform_work_group_size: 1
    .uses_dynamic_stack: false
    .vgpr_count:     0
    .vgpr_spill_count: 0
    .wavefront_size: 64
  - .agpr_count:     0
    .args:
      - .offset:         0
        .size:           136
        .value_kind:     by_value
    .group_segment_fixed_size: 0
    .kernarg_segment_align: 8
    .kernarg_segment_size: 136
    .language:       OpenCL C
    .language_version:
      - 2
      - 0
    .max_flat_workgroup_size: 256
    .name:           _ZN7rocprim17ROCPRIM_400000_NS6detail17trampoline_kernelINS0_14default_configENS1_29reduce_by_key_config_selectorIyyN6thrust23THRUST_200600_302600_NS4plusIyEEEEZZNS1_33reduce_by_key_impl_wrapped_configILNS1_25lookback_scan_determinismE0ES3_S9_NS6_6detail15normal_iteratorINS6_10device_ptrIyEEEESG_SG_SG_PmS8_22is_equal_div_10_reduceIyEEE10hipError_tPvRmT2_T3_mT4_T5_T6_T7_T8_P12ihipStream_tbENKUlT_T0_E_clISt17integral_constantIbLb0EES10_IbLb1EEEEDaSW_SX_EUlSW_E_NS1_11comp_targetILNS1_3genE10ELNS1_11target_archE1201ELNS1_3gpuE5ELNS1_3repE0EEENS1_30default_config_static_selectorELNS0_4arch9wavefront6targetE1EEEvT1_
    .private_segment_fixed_size: 0
    .sgpr_count:     4
    .sgpr_spill_count: 0
    .symbol:         _ZN7rocprim17ROCPRIM_400000_NS6detail17trampoline_kernelINS0_14default_configENS1_29reduce_by_key_config_selectorIyyN6thrust23THRUST_200600_302600_NS4plusIyEEEEZZNS1_33reduce_by_key_impl_wrapped_configILNS1_25lookback_scan_determinismE0ES3_S9_NS6_6detail15normal_iteratorINS6_10device_ptrIyEEEESG_SG_SG_PmS8_22is_equal_div_10_reduceIyEEE10hipError_tPvRmT2_T3_mT4_T5_T6_T7_T8_P12ihipStream_tbENKUlT_T0_E_clISt17integral_constantIbLb0EES10_IbLb1EEEEDaSW_SX_EUlSW_E_NS1_11comp_targetILNS1_3genE10ELNS1_11target_archE1201ELNS1_3gpuE5ELNS1_3repE0EEENS1_30default_config_static_selectorELNS0_4arch9wavefront6targetE1EEEvT1_.kd
    .uniform_work_group_size: 1
    .uses_dynamic_stack: false
    .vgpr_count:     0
    .vgpr_spill_count: 0
    .wavefront_size: 64
  - .agpr_count:     0
    .args:
      - .offset:         0
        .size:           136
        .value_kind:     by_value
    .group_segment_fixed_size: 0
    .kernarg_segment_align: 8
    .kernarg_segment_size: 136
    .language:       OpenCL C
    .language_version:
      - 2
      - 0
    .max_flat_workgroup_size: 256
    .name:           _ZN7rocprim17ROCPRIM_400000_NS6detail17trampoline_kernelINS0_14default_configENS1_29reduce_by_key_config_selectorIyyN6thrust23THRUST_200600_302600_NS4plusIyEEEEZZNS1_33reduce_by_key_impl_wrapped_configILNS1_25lookback_scan_determinismE0ES3_S9_NS6_6detail15normal_iteratorINS6_10device_ptrIyEEEESG_SG_SG_PmS8_22is_equal_div_10_reduceIyEEE10hipError_tPvRmT2_T3_mT4_T5_T6_T7_T8_P12ihipStream_tbENKUlT_T0_E_clISt17integral_constantIbLb0EES10_IbLb1EEEEDaSW_SX_EUlSW_E_NS1_11comp_targetILNS1_3genE10ELNS1_11target_archE1200ELNS1_3gpuE4ELNS1_3repE0EEENS1_30default_config_static_selectorELNS0_4arch9wavefront6targetE1EEEvT1_
    .private_segment_fixed_size: 0
    .sgpr_count:     4
    .sgpr_spill_count: 0
    .symbol:         _ZN7rocprim17ROCPRIM_400000_NS6detail17trampoline_kernelINS0_14default_configENS1_29reduce_by_key_config_selectorIyyN6thrust23THRUST_200600_302600_NS4plusIyEEEEZZNS1_33reduce_by_key_impl_wrapped_configILNS1_25lookback_scan_determinismE0ES3_S9_NS6_6detail15normal_iteratorINS6_10device_ptrIyEEEESG_SG_SG_PmS8_22is_equal_div_10_reduceIyEEE10hipError_tPvRmT2_T3_mT4_T5_T6_T7_T8_P12ihipStream_tbENKUlT_T0_E_clISt17integral_constantIbLb0EES10_IbLb1EEEEDaSW_SX_EUlSW_E_NS1_11comp_targetILNS1_3genE10ELNS1_11target_archE1200ELNS1_3gpuE4ELNS1_3repE0EEENS1_30default_config_static_selectorELNS0_4arch9wavefront6targetE1EEEvT1_.kd
    .uniform_work_group_size: 1
    .uses_dynamic_stack: false
    .vgpr_count:     0
    .vgpr_spill_count: 0
    .wavefront_size: 64
  - .agpr_count:     0
    .args:
      - .offset:         0
        .size:           136
        .value_kind:     by_value
    .group_segment_fixed_size: 0
    .kernarg_segment_align: 8
    .kernarg_segment_size: 136
    .language:       OpenCL C
    .language_version:
      - 2
      - 0
    .max_flat_workgroup_size: 256
    .name:           _ZN7rocprim17ROCPRIM_400000_NS6detail17trampoline_kernelINS0_14default_configENS1_29reduce_by_key_config_selectorIyyN6thrust23THRUST_200600_302600_NS4plusIyEEEEZZNS1_33reduce_by_key_impl_wrapped_configILNS1_25lookback_scan_determinismE0ES3_S9_NS6_6detail15normal_iteratorINS6_10device_ptrIyEEEESG_SG_SG_PmS8_22is_equal_div_10_reduceIyEEE10hipError_tPvRmT2_T3_mT4_T5_T6_T7_T8_P12ihipStream_tbENKUlT_T0_E_clISt17integral_constantIbLb0EES10_IbLb1EEEEDaSW_SX_EUlSW_E_NS1_11comp_targetILNS1_3genE9ELNS1_11target_archE1100ELNS1_3gpuE3ELNS1_3repE0EEENS1_30default_config_static_selectorELNS0_4arch9wavefront6targetE1EEEvT1_
    .private_segment_fixed_size: 0
    .sgpr_count:     4
    .sgpr_spill_count: 0
    .symbol:         _ZN7rocprim17ROCPRIM_400000_NS6detail17trampoline_kernelINS0_14default_configENS1_29reduce_by_key_config_selectorIyyN6thrust23THRUST_200600_302600_NS4plusIyEEEEZZNS1_33reduce_by_key_impl_wrapped_configILNS1_25lookback_scan_determinismE0ES3_S9_NS6_6detail15normal_iteratorINS6_10device_ptrIyEEEESG_SG_SG_PmS8_22is_equal_div_10_reduceIyEEE10hipError_tPvRmT2_T3_mT4_T5_T6_T7_T8_P12ihipStream_tbENKUlT_T0_E_clISt17integral_constantIbLb0EES10_IbLb1EEEEDaSW_SX_EUlSW_E_NS1_11comp_targetILNS1_3genE9ELNS1_11target_archE1100ELNS1_3gpuE3ELNS1_3repE0EEENS1_30default_config_static_selectorELNS0_4arch9wavefront6targetE1EEEvT1_.kd
    .uniform_work_group_size: 1
    .uses_dynamic_stack: false
    .vgpr_count:     0
    .vgpr_spill_count: 0
    .wavefront_size: 64
  - .agpr_count:     0
    .args:
      - .offset:         0
        .size:           136
        .value_kind:     by_value
    .group_segment_fixed_size: 0
    .kernarg_segment_align: 8
    .kernarg_segment_size: 136
    .language:       OpenCL C
    .language_version:
      - 2
      - 0
    .max_flat_workgroup_size: 256
    .name:           _ZN7rocprim17ROCPRIM_400000_NS6detail17trampoline_kernelINS0_14default_configENS1_29reduce_by_key_config_selectorIyyN6thrust23THRUST_200600_302600_NS4plusIyEEEEZZNS1_33reduce_by_key_impl_wrapped_configILNS1_25lookback_scan_determinismE0ES3_S9_NS6_6detail15normal_iteratorINS6_10device_ptrIyEEEESG_SG_SG_PmS8_22is_equal_div_10_reduceIyEEE10hipError_tPvRmT2_T3_mT4_T5_T6_T7_T8_P12ihipStream_tbENKUlT_T0_E_clISt17integral_constantIbLb0EES10_IbLb1EEEEDaSW_SX_EUlSW_E_NS1_11comp_targetILNS1_3genE8ELNS1_11target_archE1030ELNS1_3gpuE2ELNS1_3repE0EEENS1_30default_config_static_selectorELNS0_4arch9wavefront6targetE1EEEvT1_
    .private_segment_fixed_size: 0
    .sgpr_count:     4
    .sgpr_spill_count: 0
    .symbol:         _ZN7rocprim17ROCPRIM_400000_NS6detail17trampoline_kernelINS0_14default_configENS1_29reduce_by_key_config_selectorIyyN6thrust23THRUST_200600_302600_NS4plusIyEEEEZZNS1_33reduce_by_key_impl_wrapped_configILNS1_25lookback_scan_determinismE0ES3_S9_NS6_6detail15normal_iteratorINS6_10device_ptrIyEEEESG_SG_SG_PmS8_22is_equal_div_10_reduceIyEEE10hipError_tPvRmT2_T3_mT4_T5_T6_T7_T8_P12ihipStream_tbENKUlT_T0_E_clISt17integral_constantIbLb0EES10_IbLb1EEEEDaSW_SX_EUlSW_E_NS1_11comp_targetILNS1_3genE8ELNS1_11target_archE1030ELNS1_3gpuE2ELNS1_3repE0EEENS1_30default_config_static_selectorELNS0_4arch9wavefront6targetE1EEEvT1_.kd
    .uniform_work_group_size: 1
    .uses_dynamic_stack: false
    .vgpr_count:     0
    .vgpr_spill_count: 0
    .wavefront_size: 64
  - .agpr_count:     0
    .args:
      - .offset:         0
        .size:           16
        .value_kind:     by_value
      - .offset:         16
        .size:           8
        .value_kind:     by_value
      - .offset:         24
        .size:           8
        .value_kind:     by_value
    .group_segment_fixed_size: 0
    .kernarg_segment_align: 8
    .kernarg_segment_size: 32
    .language:       OpenCL C
    .language_version:
      - 2
      - 0
    .max_flat_workgroup_size: 256
    .name:           _ZN6thrust23THRUST_200600_302600_NS11hip_rocprim14__parallel_for6kernelILj256ENS1_20__uninitialized_fill7functorINS0_10device_ptrIjEEjEEmLj1EEEvT0_T1_SA_
    .private_segment_fixed_size: 0
    .sgpr_count:     16
    .sgpr_spill_count: 0
    .symbol:         _ZN6thrust23THRUST_200600_302600_NS11hip_rocprim14__parallel_for6kernelILj256ENS1_20__uninitialized_fill7functorINS0_10device_ptrIjEEjEEmLj1EEEvT0_T1_SA_.kd
    .uniform_work_group_size: 1
    .uses_dynamic_stack: false
    .vgpr_count:     4
    .vgpr_spill_count: 0
    .wavefront_size: 64
  - .agpr_count:     0
    .args:
      - .address_space:  global
        .offset:         0
        .size:           8
        .value_kind:     global_buffer
      - .offset:         8
        .size:           4
        .value_kind:     by_value
      - .offset:         12
        .size:           1
        .value_kind:     by_value
      - .offset:         16
        .size:           4
        .value_kind:     by_value
      - .address_space:  global
        .offset:         24
        .size:           8
        .value_kind:     global_buffer
      - .address_space:  global
        .offset:         32
        .size:           8
        .value_kind:     global_buffer
      - .offset:         40
        .size:           1
        .value_kind:     by_value
      - .offset:         48
        .size:           4
        .value_kind:     hidden_block_count_x
      - .offset:         52
        .size:           4
        .value_kind:     hidden_block_count_y
      - .offset:         56
        .size:           4
        .value_kind:     hidden_block_count_z
      - .offset:         60
        .size:           2
        .value_kind:     hidden_group_size_x
      - .offset:         62
        .size:           2
        .value_kind:     hidden_group_size_y
      - .offset:         64
        .size:           2
        .value_kind:     hidden_group_size_z
      - .offset:         66
        .size:           2
        .value_kind:     hidden_remainder_x
      - .offset:         68
        .size:           2
        .value_kind:     hidden_remainder_y
      - .offset:         70
        .size:           2
        .value_kind:     hidden_remainder_z
      - .offset:         88
        .size:           8
        .value_kind:     hidden_global_offset_x
      - .offset:         96
        .size:           8
        .value_kind:     hidden_global_offset_y
      - .offset:         104
        .size:           8
        .value_kind:     hidden_global_offset_z
      - .offset:         112
        .size:           2
        .value_kind:     hidden_grid_dims
    .group_segment_fixed_size: 0
    .kernarg_segment_align: 8
    .kernarg_segment_size: 304
    .language:       OpenCL C
    .language_version:
      - 2
      - 0
    .max_flat_workgroup_size: 256
    .name:           _ZN7rocprim17ROCPRIM_400000_NS6detail25reduce_by_key_init_kernelINS1_19lookback_scan_stateINS0_5tupleIJjjEEELb0ELb1EEEjNS1_16block_id_wrapperIjLb0EEEEEvT_jbjPmPT0_T1_
    .private_segment_fixed_size: 0
    .sgpr_count:     20
    .sgpr_spill_count: 0
    .symbol:         _ZN7rocprim17ROCPRIM_400000_NS6detail25reduce_by_key_init_kernelINS1_19lookback_scan_stateINS0_5tupleIJjjEEELb0ELb1EEEjNS1_16block_id_wrapperIjLb0EEEEEvT_jbjPmPT0_T1_.kd
    .uniform_work_group_size: 1
    .uses_dynamic_stack: false
    .vgpr_count:     10
    .vgpr_spill_count: 0
    .wavefront_size: 64
  - .agpr_count:     0
    .args:
      - .offset:         0
        .size:           120
        .value_kind:     by_value
    .group_segment_fixed_size: 0
    .kernarg_segment_align: 8
    .kernarg_segment_size: 120
    .language:       OpenCL C
    .language_version:
      - 2
      - 0
    .max_flat_workgroup_size: 256
    .name:           _ZN7rocprim17ROCPRIM_400000_NS6detail17trampoline_kernelINS0_14default_configENS1_29reduce_by_key_config_selectorIjjN6thrust23THRUST_200600_302600_NS4plusIjEEEEZZNS1_33reduce_by_key_impl_wrapped_configILNS1_25lookback_scan_determinismE0ES3_S9_NS6_6detail15normal_iteratorINS6_10device_ptrIjEEEESG_SG_SG_PmS8_NS6_8equal_toIjEEEE10hipError_tPvRmT2_T3_mT4_T5_T6_T7_T8_P12ihipStream_tbENKUlT_T0_E_clISt17integral_constantIbLb0EES11_EEDaSW_SX_EUlSW_E_NS1_11comp_targetILNS1_3genE0ELNS1_11target_archE4294967295ELNS1_3gpuE0ELNS1_3repE0EEENS1_30default_config_static_selectorELNS0_4arch9wavefront6targetE1EEEvT1_
    .private_segment_fixed_size: 0
    .sgpr_count:     4
    .sgpr_spill_count: 0
    .symbol:         _ZN7rocprim17ROCPRIM_400000_NS6detail17trampoline_kernelINS0_14default_configENS1_29reduce_by_key_config_selectorIjjN6thrust23THRUST_200600_302600_NS4plusIjEEEEZZNS1_33reduce_by_key_impl_wrapped_configILNS1_25lookback_scan_determinismE0ES3_S9_NS6_6detail15normal_iteratorINS6_10device_ptrIjEEEESG_SG_SG_PmS8_NS6_8equal_toIjEEEE10hipError_tPvRmT2_T3_mT4_T5_T6_T7_T8_P12ihipStream_tbENKUlT_T0_E_clISt17integral_constantIbLb0EES11_EEDaSW_SX_EUlSW_E_NS1_11comp_targetILNS1_3genE0ELNS1_11target_archE4294967295ELNS1_3gpuE0ELNS1_3repE0EEENS1_30default_config_static_selectorELNS0_4arch9wavefront6targetE1EEEvT1_.kd
    .uniform_work_group_size: 1
    .uses_dynamic_stack: false
    .vgpr_count:     0
    .vgpr_spill_count: 0
    .wavefront_size: 64
  - .agpr_count:     0
    .args:
      - .offset:         0
        .size:           120
        .value_kind:     by_value
    .group_segment_fixed_size: 0
    .kernarg_segment_align: 8
    .kernarg_segment_size: 120
    .language:       OpenCL C
    .language_version:
      - 2
      - 0
    .max_flat_workgroup_size: 256
    .name:           _ZN7rocprim17ROCPRIM_400000_NS6detail17trampoline_kernelINS0_14default_configENS1_29reduce_by_key_config_selectorIjjN6thrust23THRUST_200600_302600_NS4plusIjEEEEZZNS1_33reduce_by_key_impl_wrapped_configILNS1_25lookback_scan_determinismE0ES3_S9_NS6_6detail15normal_iteratorINS6_10device_ptrIjEEEESG_SG_SG_PmS8_NS6_8equal_toIjEEEE10hipError_tPvRmT2_T3_mT4_T5_T6_T7_T8_P12ihipStream_tbENKUlT_T0_E_clISt17integral_constantIbLb0EES11_EEDaSW_SX_EUlSW_E_NS1_11comp_targetILNS1_3genE5ELNS1_11target_archE942ELNS1_3gpuE9ELNS1_3repE0EEENS1_30default_config_static_selectorELNS0_4arch9wavefront6targetE1EEEvT1_
    .private_segment_fixed_size: 0
    .sgpr_count:     4
    .sgpr_spill_count: 0
    .symbol:         _ZN7rocprim17ROCPRIM_400000_NS6detail17trampoline_kernelINS0_14default_configENS1_29reduce_by_key_config_selectorIjjN6thrust23THRUST_200600_302600_NS4plusIjEEEEZZNS1_33reduce_by_key_impl_wrapped_configILNS1_25lookback_scan_determinismE0ES3_S9_NS6_6detail15normal_iteratorINS6_10device_ptrIjEEEESG_SG_SG_PmS8_NS6_8equal_toIjEEEE10hipError_tPvRmT2_T3_mT4_T5_T6_T7_T8_P12ihipStream_tbENKUlT_T0_E_clISt17integral_constantIbLb0EES11_EEDaSW_SX_EUlSW_E_NS1_11comp_targetILNS1_3genE5ELNS1_11target_archE942ELNS1_3gpuE9ELNS1_3repE0EEENS1_30default_config_static_selectorELNS0_4arch9wavefront6targetE1EEEvT1_.kd
    .uniform_work_group_size: 1
    .uses_dynamic_stack: false
    .vgpr_count:     0
    .vgpr_spill_count: 0
    .wavefront_size: 64
  - .agpr_count:     0
    .args:
      - .offset:         0
        .size:           120
        .value_kind:     by_value
    .group_segment_fixed_size: 15360
    .kernarg_segment_align: 8
    .kernarg_segment_size: 120
    .language:       OpenCL C
    .language_version:
      - 2
      - 0
    .max_flat_workgroup_size: 256
    .name:           _ZN7rocprim17ROCPRIM_400000_NS6detail17trampoline_kernelINS0_14default_configENS1_29reduce_by_key_config_selectorIjjN6thrust23THRUST_200600_302600_NS4plusIjEEEEZZNS1_33reduce_by_key_impl_wrapped_configILNS1_25lookback_scan_determinismE0ES3_S9_NS6_6detail15normal_iteratorINS6_10device_ptrIjEEEESG_SG_SG_PmS8_NS6_8equal_toIjEEEE10hipError_tPvRmT2_T3_mT4_T5_T6_T7_T8_P12ihipStream_tbENKUlT_T0_E_clISt17integral_constantIbLb0EES11_EEDaSW_SX_EUlSW_E_NS1_11comp_targetILNS1_3genE4ELNS1_11target_archE910ELNS1_3gpuE8ELNS1_3repE0EEENS1_30default_config_static_selectorELNS0_4arch9wavefront6targetE1EEEvT1_
    .private_segment_fixed_size: 0
    .sgpr_count:     68
    .sgpr_spill_count: 0
    .symbol:         _ZN7rocprim17ROCPRIM_400000_NS6detail17trampoline_kernelINS0_14default_configENS1_29reduce_by_key_config_selectorIjjN6thrust23THRUST_200600_302600_NS4plusIjEEEEZZNS1_33reduce_by_key_impl_wrapped_configILNS1_25lookback_scan_determinismE0ES3_S9_NS6_6detail15normal_iteratorINS6_10device_ptrIjEEEESG_SG_SG_PmS8_NS6_8equal_toIjEEEE10hipError_tPvRmT2_T3_mT4_T5_T6_T7_T8_P12ihipStream_tbENKUlT_T0_E_clISt17integral_constantIbLb0EES11_EEDaSW_SX_EUlSW_E_NS1_11comp_targetILNS1_3genE4ELNS1_11target_archE910ELNS1_3gpuE8ELNS1_3repE0EEENS1_30default_config_static_selectorELNS0_4arch9wavefront6targetE1EEEvT1_.kd
    .uniform_work_group_size: 1
    .uses_dynamic_stack: false
    .vgpr_count:     106
    .vgpr_spill_count: 0
    .wavefront_size: 64
  - .agpr_count:     0
    .args:
      - .offset:         0
        .size:           120
        .value_kind:     by_value
    .group_segment_fixed_size: 0
    .kernarg_segment_align: 8
    .kernarg_segment_size: 120
    .language:       OpenCL C
    .language_version:
      - 2
      - 0
    .max_flat_workgroup_size: 256
    .name:           _ZN7rocprim17ROCPRIM_400000_NS6detail17trampoline_kernelINS0_14default_configENS1_29reduce_by_key_config_selectorIjjN6thrust23THRUST_200600_302600_NS4plusIjEEEEZZNS1_33reduce_by_key_impl_wrapped_configILNS1_25lookback_scan_determinismE0ES3_S9_NS6_6detail15normal_iteratorINS6_10device_ptrIjEEEESG_SG_SG_PmS8_NS6_8equal_toIjEEEE10hipError_tPvRmT2_T3_mT4_T5_T6_T7_T8_P12ihipStream_tbENKUlT_T0_E_clISt17integral_constantIbLb0EES11_EEDaSW_SX_EUlSW_E_NS1_11comp_targetILNS1_3genE3ELNS1_11target_archE908ELNS1_3gpuE7ELNS1_3repE0EEENS1_30default_config_static_selectorELNS0_4arch9wavefront6targetE1EEEvT1_
    .private_segment_fixed_size: 0
    .sgpr_count:     4
    .sgpr_spill_count: 0
    .symbol:         _ZN7rocprim17ROCPRIM_400000_NS6detail17trampoline_kernelINS0_14default_configENS1_29reduce_by_key_config_selectorIjjN6thrust23THRUST_200600_302600_NS4plusIjEEEEZZNS1_33reduce_by_key_impl_wrapped_configILNS1_25lookback_scan_determinismE0ES3_S9_NS6_6detail15normal_iteratorINS6_10device_ptrIjEEEESG_SG_SG_PmS8_NS6_8equal_toIjEEEE10hipError_tPvRmT2_T3_mT4_T5_T6_T7_T8_P12ihipStream_tbENKUlT_T0_E_clISt17integral_constantIbLb0EES11_EEDaSW_SX_EUlSW_E_NS1_11comp_targetILNS1_3genE3ELNS1_11target_archE908ELNS1_3gpuE7ELNS1_3repE0EEENS1_30default_config_static_selectorELNS0_4arch9wavefront6targetE1EEEvT1_.kd
    .uniform_work_group_size: 1
    .uses_dynamic_stack: false
    .vgpr_count:     0
    .vgpr_spill_count: 0
    .wavefront_size: 64
  - .agpr_count:     0
    .args:
      - .offset:         0
        .size:           120
        .value_kind:     by_value
    .group_segment_fixed_size: 0
    .kernarg_segment_align: 8
    .kernarg_segment_size: 120
    .language:       OpenCL C
    .language_version:
      - 2
      - 0
    .max_flat_workgroup_size: 256
    .name:           _ZN7rocprim17ROCPRIM_400000_NS6detail17trampoline_kernelINS0_14default_configENS1_29reduce_by_key_config_selectorIjjN6thrust23THRUST_200600_302600_NS4plusIjEEEEZZNS1_33reduce_by_key_impl_wrapped_configILNS1_25lookback_scan_determinismE0ES3_S9_NS6_6detail15normal_iteratorINS6_10device_ptrIjEEEESG_SG_SG_PmS8_NS6_8equal_toIjEEEE10hipError_tPvRmT2_T3_mT4_T5_T6_T7_T8_P12ihipStream_tbENKUlT_T0_E_clISt17integral_constantIbLb0EES11_EEDaSW_SX_EUlSW_E_NS1_11comp_targetILNS1_3genE2ELNS1_11target_archE906ELNS1_3gpuE6ELNS1_3repE0EEENS1_30default_config_static_selectorELNS0_4arch9wavefront6targetE1EEEvT1_
    .private_segment_fixed_size: 0
    .sgpr_count:     4
    .sgpr_spill_count: 0
    .symbol:         _ZN7rocprim17ROCPRIM_400000_NS6detail17trampoline_kernelINS0_14default_configENS1_29reduce_by_key_config_selectorIjjN6thrust23THRUST_200600_302600_NS4plusIjEEEEZZNS1_33reduce_by_key_impl_wrapped_configILNS1_25lookback_scan_determinismE0ES3_S9_NS6_6detail15normal_iteratorINS6_10device_ptrIjEEEESG_SG_SG_PmS8_NS6_8equal_toIjEEEE10hipError_tPvRmT2_T3_mT4_T5_T6_T7_T8_P12ihipStream_tbENKUlT_T0_E_clISt17integral_constantIbLb0EES11_EEDaSW_SX_EUlSW_E_NS1_11comp_targetILNS1_3genE2ELNS1_11target_archE906ELNS1_3gpuE6ELNS1_3repE0EEENS1_30default_config_static_selectorELNS0_4arch9wavefront6targetE1EEEvT1_.kd
    .uniform_work_group_size: 1
    .uses_dynamic_stack: false
    .vgpr_count:     0
    .vgpr_spill_count: 0
    .wavefront_size: 64
  - .agpr_count:     0
    .args:
      - .offset:         0
        .size:           120
        .value_kind:     by_value
    .group_segment_fixed_size: 0
    .kernarg_segment_align: 8
    .kernarg_segment_size: 120
    .language:       OpenCL C
    .language_version:
      - 2
      - 0
    .max_flat_workgroup_size: 256
    .name:           _ZN7rocprim17ROCPRIM_400000_NS6detail17trampoline_kernelINS0_14default_configENS1_29reduce_by_key_config_selectorIjjN6thrust23THRUST_200600_302600_NS4plusIjEEEEZZNS1_33reduce_by_key_impl_wrapped_configILNS1_25lookback_scan_determinismE0ES3_S9_NS6_6detail15normal_iteratorINS6_10device_ptrIjEEEESG_SG_SG_PmS8_NS6_8equal_toIjEEEE10hipError_tPvRmT2_T3_mT4_T5_T6_T7_T8_P12ihipStream_tbENKUlT_T0_E_clISt17integral_constantIbLb0EES11_EEDaSW_SX_EUlSW_E_NS1_11comp_targetILNS1_3genE10ELNS1_11target_archE1201ELNS1_3gpuE5ELNS1_3repE0EEENS1_30default_config_static_selectorELNS0_4arch9wavefront6targetE1EEEvT1_
    .private_segment_fixed_size: 0
    .sgpr_count:     4
    .sgpr_spill_count: 0
    .symbol:         _ZN7rocprim17ROCPRIM_400000_NS6detail17trampoline_kernelINS0_14default_configENS1_29reduce_by_key_config_selectorIjjN6thrust23THRUST_200600_302600_NS4plusIjEEEEZZNS1_33reduce_by_key_impl_wrapped_configILNS1_25lookback_scan_determinismE0ES3_S9_NS6_6detail15normal_iteratorINS6_10device_ptrIjEEEESG_SG_SG_PmS8_NS6_8equal_toIjEEEE10hipError_tPvRmT2_T3_mT4_T5_T6_T7_T8_P12ihipStream_tbENKUlT_T0_E_clISt17integral_constantIbLb0EES11_EEDaSW_SX_EUlSW_E_NS1_11comp_targetILNS1_3genE10ELNS1_11target_archE1201ELNS1_3gpuE5ELNS1_3repE0EEENS1_30default_config_static_selectorELNS0_4arch9wavefront6targetE1EEEvT1_.kd
    .uniform_work_group_size: 1
    .uses_dynamic_stack: false
    .vgpr_count:     0
    .vgpr_spill_count: 0
    .wavefront_size: 64
  - .agpr_count:     0
    .args:
      - .offset:         0
        .size:           120
        .value_kind:     by_value
    .group_segment_fixed_size: 0
    .kernarg_segment_align: 8
    .kernarg_segment_size: 120
    .language:       OpenCL C
    .language_version:
      - 2
      - 0
    .max_flat_workgroup_size: 256
    .name:           _ZN7rocprim17ROCPRIM_400000_NS6detail17trampoline_kernelINS0_14default_configENS1_29reduce_by_key_config_selectorIjjN6thrust23THRUST_200600_302600_NS4plusIjEEEEZZNS1_33reduce_by_key_impl_wrapped_configILNS1_25lookback_scan_determinismE0ES3_S9_NS6_6detail15normal_iteratorINS6_10device_ptrIjEEEESG_SG_SG_PmS8_NS6_8equal_toIjEEEE10hipError_tPvRmT2_T3_mT4_T5_T6_T7_T8_P12ihipStream_tbENKUlT_T0_E_clISt17integral_constantIbLb0EES11_EEDaSW_SX_EUlSW_E_NS1_11comp_targetILNS1_3genE10ELNS1_11target_archE1200ELNS1_3gpuE4ELNS1_3repE0EEENS1_30default_config_static_selectorELNS0_4arch9wavefront6targetE1EEEvT1_
    .private_segment_fixed_size: 0
    .sgpr_count:     4
    .sgpr_spill_count: 0
    .symbol:         _ZN7rocprim17ROCPRIM_400000_NS6detail17trampoline_kernelINS0_14default_configENS1_29reduce_by_key_config_selectorIjjN6thrust23THRUST_200600_302600_NS4plusIjEEEEZZNS1_33reduce_by_key_impl_wrapped_configILNS1_25lookback_scan_determinismE0ES3_S9_NS6_6detail15normal_iteratorINS6_10device_ptrIjEEEESG_SG_SG_PmS8_NS6_8equal_toIjEEEE10hipError_tPvRmT2_T3_mT4_T5_T6_T7_T8_P12ihipStream_tbENKUlT_T0_E_clISt17integral_constantIbLb0EES11_EEDaSW_SX_EUlSW_E_NS1_11comp_targetILNS1_3genE10ELNS1_11target_archE1200ELNS1_3gpuE4ELNS1_3repE0EEENS1_30default_config_static_selectorELNS0_4arch9wavefront6targetE1EEEvT1_.kd
    .uniform_work_group_size: 1
    .uses_dynamic_stack: false
    .vgpr_count:     0
    .vgpr_spill_count: 0
    .wavefront_size: 64
  - .agpr_count:     0
    .args:
      - .offset:         0
        .size:           120
        .value_kind:     by_value
    .group_segment_fixed_size: 0
    .kernarg_segment_align: 8
    .kernarg_segment_size: 120
    .language:       OpenCL C
    .language_version:
      - 2
      - 0
    .max_flat_workgroup_size: 256
    .name:           _ZN7rocprim17ROCPRIM_400000_NS6detail17trampoline_kernelINS0_14default_configENS1_29reduce_by_key_config_selectorIjjN6thrust23THRUST_200600_302600_NS4plusIjEEEEZZNS1_33reduce_by_key_impl_wrapped_configILNS1_25lookback_scan_determinismE0ES3_S9_NS6_6detail15normal_iteratorINS6_10device_ptrIjEEEESG_SG_SG_PmS8_NS6_8equal_toIjEEEE10hipError_tPvRmT2_T3_mT4_T5_T6_T7_T8_P12ihipStream_tbENKUlT_T0_E_clISt17integral_constantIbLb0EES11_EEDaSW_SX_EUlSW_E_NS1_11comp_targetILNS1_3genE9ELNS1_11target_archE1100ELNS1_3gpuE3ELNS1_3repE0EEENS1_30default_config_static_selectorELNS0_4arch9wavefront6targetE1EEEvT1_
    .private_segment_fixed_size: 0
    .sgpr_count:     4
    .sgpr_spill_count: 0
    .symbol:         _ZN7rocprim17ROCPRIM_400000_NS6detail17trampoline_kernelINS0_14default_configENS1_29reduce_by_key_config_selectorIjjN6thrust23THRUST_200600_302600_NS4plusIjEEEEZZNS1_33reduce_by_key_impl_wrapped_configILNS1_25lookback_scan_determinismE0ES3_S9_NS6_6detail15normal_iteratorINS6_10device_ptrIjEEEESG_SG_SG_PmS8_NS6_8equal_toIjEEEE10hipError_tPvRmT2_T3_mT4_T5_T6_T7_T8_P12ihipStream_tbENKUlT_T0_E_clISt17integral_constantIbLb0EES11_EEDaSW_SX_EUlSW_E_NS1_11comp_targetILNS1_3genE9ELNS1_11target_archE1100ELNS1_3gpuE3ELNS1_3repE0EEENS1_30default_config_static_selectorELNS0_4arch9wavefront6targetE1EEEvT1_.kd
    .uniform_work_group_size: 1
    .uses_dynamic_stack: false
    .vgpr_count:     0
    .vgpr_spill_count: 0
    .wavefront_size: 64
  - .agpr_count:     0
    .args:
      - .offset:         0
        .size:           120
        .value_kind:     by_value
    .group_segment_fixed_size: 0
    .kernarg_segment_align: 8
    .kernarg_segment_size: 120
    .language:       OpenCL C
    .language_version:
      - 2
      - 0
    .max_flat_workgroup_size: 256
    .name:           _ZN7rocprim17ROCPRIM_400000_NS6detail17trampoline_kernelINS0_14default_configENS1_29reduce_by_key_config_selectorIjjN6thrust23THRUST_200600_302600_NS4plusIjEEEEZZNS1_33reduce_by_key_impl_wrapped_configILNS1_25lookback_scan_determinismE0ES3_S9_NS6_6detail15normal_iteratorINS6_10device_ptrIjEEEESG_SG_SG_PmS8_NS6_8equal_toIjEEEE10hipError_tPvRmT2_T3_mT4_T5_T6_T7_T8_P12ihipStream_tbENKUlT_T0_E_clISt17integral_constantIbLb0EES11_EEDaSW_SX_EUlSW_E_NS1_11comp_targetILNS1_3genE8ELNS1_11target_archE1030ELNS1_3gpuE2ELNS1_3repE0EEENS1_30default_config_static_selectorELNS0_4arch9wavefront6targetE1EEEvT1_
    .private_segment_fixed_size: 0
    .sgpr_count:     4
    .sgpr_spill_count: 0
    .symbol:         _ZN7rocprim17ROCPRIM_400000_NS6detail17trampoline_kernelINS0_14default_configENS1_29reduce_by_key_config_selectorIjjN6thrust23THRUST_200600_302600_NS4plusIjEEEEZZNS1_33reduce_by_key_impl_wrapped_configILNS1_25lookback_scan_determinismE0ES3_S9_NS6_6detail15normal_iteratorINS6_10device_ptrIjEEEESG_SG_SG_PmS8_NS6_8equal_toIjEEEE10hipError_tPvRmT2_T3_mT4_T5_T6_T7_T8_P12ihipStream_tbENKUlT_T0_E_clISt17integral_constantIbLb0EES11_EEDaSW_SX_EUlSW_E_NS1_11comp_targetILNS1_3genE8ELNS1_11target_archE1030ELNS1_3gpuE2ELNS1_3repE0EEENS1_30default_config_static_selectorELNS0_4arch9wavefront6targetE1EEEvT1_.kd
    .uniform_work_group_size: 1
    .uses_dynamic_stack: false
    .vgpr_count:     0
    .vgpr_spill_count: 0
    .wavefront_size: 64
  - .agpr_count:     0
    .args:
      - .address_space:  global
        .offset:         0
        .size:           8
        .value_kind:     global_buffer
      - .offset:         8
        .size:           4
        .value_kind:     by_value
      - .offset:         12
        .size:           1
        .value_kind:     by_value
      - .offset:         16
        .size:           4
        .value_kind:     by_value
      - .address_space:  global
        .offset:         24
        .size:           8
        .value_kind:     global_buffer
      - .address_space:  global
        .offset:         32
        .size:           8
        .value_kind:     global_buffer
      - .address_space:  global
        .offset:         40
        .size:           8
        .value_kind:     global_buffer
      - .offset:         48
        .size:           4
        .value_kind:     hidden_block_count_x
      - .offset:         52
        .size:           4
        .value_kind:     hidden_block_count_y
      - .offset:         56
        .size:           4
        .value_kind:     hidden_block_count_z
      - .offset:         60
        .size:           2
        .value_kind:     hidden_group_size_x
      - .offset:         62
        .size:           2
        .value_kind:     hidden_group_size_y
      - .offset:         64
        .size:           2
        .value_kind:     hidden_group_size_z
      - .offset:         66
        .size:           2
        .value_kind:     hidden_remainder_x
      - .offset:         68
        .size:           2
        .value_kind:     hidden_remainder_y
      - .offset:         70
        .size:           2
        .value_kind:     hidden_remainder_z
      - .offset:         88
        .size:           8
        .value_kind:     hidden_global_offset_x
      - .offset:         96
        .size:           8
        .value_kind:     hidden_global_offset_y
      - .offset:         104
        .size:           8
        .value_kind:     hidden_global_offset_z
      - .offset:         112
        .size:           2
        .value_kind:     hidden_grid_dims
    .group_segment_fixed_size: 0
    .kernarg_segment_align: 8
    .kernarg_segment_size: 304
    .language:       OpenCL C
    .language_version:
      - 2
      - 0
    .max_flat_workgroup_size: 256
    .name:           _ZN7rocprim17ROCPRIM_400000_NS6detail25reduce_by_key_init_kernelINS1_19lookback_scan_stateINS0_5tupleIJjjEEELb1ELb1EEEjNS1_16block_id_wrapperIjLb1EEEEEvT_jbjPmPT0_T1_
    .private_segment_fixed_size: 0
    .sgpr_count:     22
    .sgpr_spill_count: 0
    .symbol:         _ZN7rocprim17ROCPRIM_400000_NS6detail25reduce_by_key_init_kernelINS1_19lookback_scan_stateINS0_5tupleIJjjEEELb1ELb1EEEjNS1_16block_id_wrapperIjLb1EEEEEvT_jbjPmPT0_T1_.kd
    .uniform_work_group_size: 1
    .uses_dynamic_stack: false
    .vgpr_count:     10
    .vgpr_spill_count: 0
    .wavefront_size: 64
  - .agpr_count:     0
    .args:
      - .offset:         0
        .size:           120
        .value_kind:     by_value
    .group_segment_fixed_size: 0
    .kernarg_segment_align: 8
    .kernarg_segment_size: 120
    .language:       OpenCL C
    .language_version:
      - 2
      - 0
    .max_flat_workgroup_size: 256
    .name:           _ZN7rocprim17ROCPRIM_400000_NS6detail17trampoline_kernelINS0_14default_configENS1_29reduce_by_key_config_selectorIjjN6thrust23THRUST_200600_302600_NS4plusIjEEEEZZNS1_33reduce_by_key_impl_wrapped_configILNS1_25lookback_scan_determinismE0ES3_S9_NS6_6detail15normal_iteratorINS6_10device_ptrIjEEEESG_SG_SG_PmS8_NS6_8equal_toIjEEEE10hipError_tPvRmT2_T3_mT4_T5_T6_T7_T8_P12ihipStream_tbENKUlT_T0_E_clISt17integral_constantIbLb1EES11_EEDaSW_SX_EUlSW_E_NS1_11comp_targetILNS1_3genE0ELNS1_11target_archE4294967295ELNS1_3gpuE0ELNS1_3repE0EEENS1_30default_config_static_selectorELNS0_4arch9wavefront6targetE1EEEvT1_
    .private_segment_fixed_size: 0
    .sgpr_count:     4
    .sgpr_spill_count: 0
    .symbol:         _ZN7rocprim17ROCPRIM_400000_NS6detail17trampoline_kernelINS0_14default_configENS1_29reduce_by_key_config_selectorIjjN6thrust23THRUST_200600_302600_NS4plusIjEEEEZZNS1_33reduce_by_key_impl_wrapped_configILNS1_25lookback_scan_determinismE0ES3_S9_NS6_6detail15normal_iteratorINS6_10device_ptrIjEEEESG_SG_SG_PmS8_NS6_8equal_toIjEEEE10hipError_tPvRmT2_T3_mT4_T5_T6_T7_T8_P12ihipStream_tbENKUlT_T0_E_clISt17integral_constantIbLb1EES11_EEDaSW_SX_EUlSW_E_NS1_11comp_targetILNS1_3genE0ELNS1_11target_archE4294967295ELNS1_3gpuE0ELNS1_3repE0EEENS1_30default_config_static_selectorELNS0_4arch9wavefront6targetE1EEEvT1_.kd
    .uniform_work_group_size: 1
    .uses_dynamic_stack: false
    .vgpr_count:     0
    .vgpr_spill_count: 0
    .wavefront_size: 64
  - .agpr_count:     0
    .args:
      - .offset:         0
        .size:           120
        .value_kind:     by_value
    .group_segment_fixed_size: 0
    .kernarg_segment_align: 8
    .kernarg_segment_size: 120
    .language:       OpenCL C
    .language_version:
      - 2
      - 0
    .max_flat_workgroup_size: 256
    .name:           _ZN7rocprim17ROCPRIM_400000_NS6detail17trampoline_kernelINS0_14default_configENS1_29reduce_by_key_config_selectorIjjN6thrust23THRUST_200600_302600_NS4plusIjEEEEZZNS1_33reduce_by_key_impl_wrapped_configILNS1_25lookback_scan_determinismE0ES3_S9_NS6_6detail15normal_iteratorINS6_10device_ptrIjEEEESG_SG_SG_PmS8_NS6_8equal_toIjEEEE10hipError_tPvRmT2_T3_mT4_T5_T6_T7_T8_P12ihipStream_tbENKUlT_T0_E_clISt17integral_constantIbLb1EES11_EEDaSW_SX_EUlSW_E_NS1_11comp_targetILNS1_3genE5ELNS1_11target_archE942ELNS1_3gpuE9ELNS1_3repE0EEENS1_30default_config_static_selectorELNS0_4arch9wavefront6targetE1EEEvT1_
    .private_segment_fixed_size: 0
    .sgpr_count:     4
    .sgpr_spill_count: 0
    .symbol:         _ZN7rocprim17ROCPRIM_400000_NS6detail17trampoline_kernelINS0_14default_configENS1_29reduce_by_key_config_selectorIjjN6thrust23THRUST_200600_302600_NS4plusIjEEEEZZNS1_33reduce_by_key_impl_wrapped_configILNS1_25lookback_scan_determinismE0ES3_S9_NS6_6detail15normal_iteratorINS6_10device_ptrIjEEEESG_SG_SG_PmS8_NS6_8equal_toIjEEEE10hipError_tPvRmT2_T3_mT4_T5_T6_T7_T8_P12ihipStream_tbENKUlT_T0_E_clISt17integral_constantIbLb1EES11_EEDaSW_SX_EUlSW_E_NS1_11comp_targetILNS1_3genE5ELNS1_11target_archE942ELNS1_3gpuE9ELNS1_3repE0EEENS1_30default_config_static_selectorELNS0_4arch9wavefront6targetE1EEEvT1_.kd
    .uniform_work_group_size: 1
    .uses_dynamic_stack: false
    .vgpr_count:     0
    .vgpr_spill_count: 0
    .wavefront_size: 64
  - .agpr_count:     0
    .args:
      - .offset:         0
        .size:           120
        .value_kind:     by_value
    .group_segment_fixed_size: 15360
    .kernarg_segment_align: 8
    .kernarg_segment_size: 120
    .language:       OpenCL C
    .language_version:
      - 2
      - 0
    .max_flat_workgroup_size: 256
    .name:           _ZN7rocprim17ROCPRIM_400000_NS6detail17trampoline_kernelINS0_14default_configENS1_29reduce_by_key_config_selectorIjjN6thrust23THRUST_200600_302600_NS4plusIjEEEEZZNS1_33reduce_by_key_impl_wrapped_configILNS1_25lookback_scan_determinismE0ES3_S9_NS6_6detail15normal_iteratorINS6_10device_ptrIjEEEESG_SG_SG_PmS8_NS6_8equal_toIjEEEE10hipError_tPvRmT2_T3_mT4_T5_T6_T7_T8_P12ihipStream_tbENKUlT_T0_E_clISt17integral_constantIbLb1EES11_EEDaSW_SX_EUlSW_E_NS1_11comp_targetILNS1_3genE4ELNS1_11target_archE910ELNS1_3gpuE8ELNS1_3repE0EEENS1_30default_config_static_selectorELNS0_4arch9wavefront6targetE1EEEvT1_
    .private_segment_fixed_size: 0
    .sgpr_count:     70
    .sgpr_spill_count: 0
    .symbol:         _ZN7rocprim17ROCPRIM_400000_NS6detail17trampoline_kernelINS0_14default_configENS1_29reduce_by_key_config_selectorIjjN6thrust23THRUST_200600_302600_NS4plusIjEEEEZZNS1_33reduce_by_key_impl_wrapped_configILNS1_25lookback_scan_determinismE0ES3_S9_NS6_6detail15normal_iteratorINS6_10device_ptrIjEEEESG_SG_SG_PmS8_NS6_8equal_toIjEEEE10hipError_tPvRmT2_T3_mT4_T5_T6_T7_T8_P12ihipStream_tbENKUlT_T0_E_clISt17integral_constantIbLb1EES11_EEDaSW_SX_EUlSW_E_NS1_11comp_targetILNS1_3genE4ELNS1_11target_archE910ELNS1_3gpuE8ELNS1_3repE0EEENS1_30default_config_static_selectorELNS0_4arch9wavefront6targetE1EEEvT1_.kd
    .uniform_work_group_size: 1
    .uses_dynamic_stack: false
    .vgpr_count:     106
    .vgpr_spill_count: 0
    .wavefront_size: 64
  - .agpr_count:     0
    .args:
      - .offset:         0
        .size:           120
        .value_kind:     by_value
    .group_segment_fixed_size: 0
    .kernarg_segment_align: 8
    .kernarg_segment_size: 120
    .language:       OpenCL C
    .language_version:
      - 2
      - 0
    .max_flat_workgroup_size: 256
    .name:           _ZN7rocprim17ROCPRIM_400000_NS6detail17trampoline_kernelINS0_14default_configENS1_29reduce_by_key_config_selectorIjjN6thrust23THRUST_200600_302600_NS4plusIjEEEEZZNS1_33reduce_by_key_impl_wrapped_configILNS1_25lookback_scan_determinismE0ES3_S9_NS6_6detail15normal_iteratorINS6_10device_ptrIjEEEESG_SG_SG_PmS8_NS6_8equal_toIjEEEE10hipError_tPvRmT2_T3_mT4_T5_T6_T7_T8_P12ihipStream_tbENKUlT_T0_E_clISt17integral_constantIbLb1EES11_EEDaSW_SX_EUlSW_E_NS1_11comp_targetILNS1_3genE3ELNS1_11target_archE908ELNS1_3gpuE7ELNS1_3repE0EEENS1_30default_config_static_selectorELNS0_4arch9wavefront6targetE1EEEvT1_
    .private_segment_fixed_size: 0
    .sgpr_count:     4
    .sgpr_spill_count: 0
    .symbol:         _ZN7rocprim17ROCPRIM_400000_NS6detail17trampoline_kernelINS0_14default_configENS1_29reduce_by_key_config_selectorIjjN6thrust23THRUST_200600_302600_NS4plusIjEEEEZZNS1_33reduce_by_key_impl_wrapped_configILNS1_25lookback_scan_determinismE0ES3_S9_NS6_6detail15normal_iteratorINS6_10device_ptrIjEEEESG_SG_SG_PmS8_NS6_8equal_toIjEEEE10hipError_tPvRmT2_T3_mT4_T5_T6_T7_T8_P12ihipStream_tbENKUlT_T0_E_clISt17integral_constantIbLb1EES11_EEDaSW_SX_EUlSW_E_NS1_11comp_targetILNS1_3genE3ELNS1_11target_archE908ELNS1_3gpuE7ELNS1_3repE0EEENS1_30default_config_static_selectorELNS0_4arch9wavefront6targetE1EEEvT1_.kd
    .uniform_work_group_size: 1
    .uses_dynamic_stack: false
    .vgpr_count:     0
    .vgpr_spill_count: 0
    .wavefront_size: 64
  - .agpr_count:     0
    .args:
      - .offset:         0
        .size:           120
        .value_kind:     by_value
    .group_segment_fixed_size: 0
    .kernarg_segment_align: 8
    .kernarg_segment_size: 120
    .language:       OpenCL C
    .language_version:
      - 2
      - 0
    .max_flat_workgroup_size: 256
    .name:           _ZN7rocprim17ROCPRIM_400000_NS6detail17trampoline_kernelINS0_14default_configENS1_29reduce_by_key_config_selectorIjjN6thrust23THRUST_200600_302600_NS4plusIjEEEEZZNS1_33reduce_by_key_impl_wrapped_configILNS1_25lookback_scan_determinismE0ES3_S9_NS6_6detail15normal_iteratorINS6_10device_ptrIjEEEESG_SG_SG_PmS8_NS6_8equal_toIjEEEE10hipError_tPvRmT2_T3_mT4_T5_T6_T7_T8_P12ihipStream_tbENKUlT_T0_E_clISt17integral_constantIbLb1EES11_EEDaSW_SX_EUlSW_E_NS1_11comp_targetILNS1_3genE2ELNS1_11target_archE906ELNS1_3gpuE6ELNS1_3repE0EEENS1_30default_config_static_selectorELNS0_4arch9wavefront6targetE1EEEvT1_
    .private_segment_fixed_size: 0
    .sgpr_count:     4
    .sgpr_spill_count: 0
    .symbol:         _ZN7rocprim17ROCPRIM_400000_NS6detail17trampoline_kernelINS0_14default_configENS1_29reduce_by_key_config_selectorIjjN6thrust23THRUST_200600_302600_NS4plusIjEEEEZZNS1_33reduce_by_key_impl_wrapped_configILNS1_25lookback_scan_determinismE0ES3_S9_NS6_6detail15normal_iteratorINS6_10device_ptrIjEEEESG_SG_SG_PmS8_NS6_8equal_toIjEEEE10hipError_tPvRmT2_T3_mT4_T5_T6_T7_T8_P12ihipStream_tbENKUlT_T0_E_clISt17integral_constantIbLb1EES11_EEDaSW_SX_EUlSW_E_NS1_11comp_targetILNS1_3genE2ELNS1_11target_archE906ELNS1_3gpuE6ELNS1_3repE0EEENS1_30default_config_static_selectorELNS0_4arch9wavefront6targetE1EEEvT1_.kd
    .uniform_work_group_size: 1
    .uses_dynamic_stack: false
    .vgpr_count:     0
    .vgpr_spill_count: 0
    .wavefront_size: 64
  - .agpr_count:     0
    .args:
      - .offset:         0
        .size:           120
        .value_kind:     by_value
    .group_segment_fixed_size: 0
    .kernarg_segment_align: 8
    .kernarg_segment_size: 120
    .language:       OpenCL C
    .language_version:
      - 2
      - 0
    .max_flat_workgroup_size: 256
    .name:           _ZN7rocprim17ROCPRIM_400000_NS6detail17trampoline_kernelINS0_14default_configENS1_29reduce_by_key_config_selectorIjjN6thrust23THRUST_200600_302600_NS4plusIjEEEEZZNS1_33reduce_by_key_impl_wrapped_configILNS1_25lookback_scan_determinismE0ES3_S9_NS6_6detail15normal_iteratorINS6_10device_ptrIjEEEESG_SG_SG_PmS8_NS6_8equal_toIjEEEE10hipError_tPvRmT2_T3_mT4_T5_T6_T7_T8_P12ihipStream_tbENKUlT_T0_E_clISt17integral_constantIbLb1EES11_EEDaSW_SX_EUlSW_E_NS1_11comp_targetILNS1_3genE10ELNS1_11target_archE1201ELNS1_3gpuE5ELNS1_3repE0EEENS1_30default_config_static_selectorELNS0_4arch9wavefront6targetE1EEEvT1_
    .private_segment_fixed_size: 0
    .sgpr_count:     4
    .sgpr_spill_count: 0
    .symbol:         _ZN7rocprim17ROCPRIM_400000_NS6detail17trampoline_kernelINS0_14default_configENS1_29reduce_by_key_config_selectorIjjN6thrust23THRUST_200600_302600_NS4plusIjEEEEZZNS1_33reduce_by_key_impl_wrapped_configILNS1_25lookback_scan_determinismE0ES3_S9_NS6_6detail15normal_iteratorINS6_10device_ptrIjEEEESG_SG_SG_PmS8_NS6_8equal_toIjEEEE10hipError_tPvRmT2_T3_mT4_T5_T6_T7_T8_P12ihipStream_tbENKUlT_T0_E_clISt17integral_constantIbLb1EES11_EEDaSW_SX_EUlSW_E_NS1_11comp_targetILNS1_3genE10ELNS1_11target_archE1201ELNS1_3gpuE5ELNS1_3repE0EEENS1_30default_config_static_selectorELNS0_4arch9wavefront6targetE1EEEvT1_.kd
    .uniform_work_group_size: 1
    .uses_dynamic_stack: false
    .vgpr_count:     0
    .vgpr_spill_count: 0
    .wavefront_size: 64
  - .agpr_count:     0
    .args:
      - .offset:         0
        .size:           120
        .value_kind:     by_value
    .group_segment_fixed_size: 0
    .kernarg_segment_align: 8
    .kernarg_segment_size: 120
    .language:       OpenCL C
    .language_version:
      - 2
      - 0
    .max_flat_workgroup_size: 256
    .name:           _ZN7rocprim17ROCPRIM_400000_NS6detail17trampoline_kernelINS0_14default_configENS1_29reduce_by_key_config_selectorIjjN6thrust23THRUST_200600_302600_NS4plusIjEEEEZZNS1_33reduce_by_key_impl_wrapped_configILNS1_25lookback_scan_determinismE0ES3_S9_NS6_6detail15normal_iteratorINS6_10device_ptrIjEEEESG_SG_SG_PmS8_NS6_8equal_toIjEEEE10hipError_tPvRmT2_T3_mT4_T5_T6_T7_T8_P12ihipStream_tbENKUlT_T0_E_clISt17integral_constantIbLb1EES11_EEDaSW_SX_EUlSW_E_NS1_11comp_targetILNS1_3genE10ELNS1_11target_archE1200ELNS1_3gpuE4ELNS1_3repE0EEENS1_30default_config_static_selectorELNS0_4arch9wavefront6targetE1EEEvT1_
    .private_segment_fixed_size: 0
    .sgpr_count:     4
    .sgpr_spill_count: 0
    .symbol:         _ZN7rocprim17ROCPRIM_400000_NS6detail17trampoline_kernelINS0_14default_configENS1_29reduce_by_key_config_selectorIjjN6thrust23THRUST_200600_302600_NS4plusIjEEEEZZNS1_33reduce_by_key_impl_wrapped_configILNS1_25lookback_scan_determinismE0ES3_S9_NS6_6detail15normal_iteratorINS6_10device_ptrIjEEEESG_SG_SG_PmS8_NS6_8equal_toIjEEEE10hipError_tPvRmT2_T3_mT4_T5_T6_T7_T8_P12ihipStream_tbENKUlT_T0_E_clISt17integral_constantIbLb1EES11_EEDaSW_SX_EUlSW_E_NS1_11comp_targetILNS1_3genE10ELNS1_11target_archE1200ELNS1_3gpuE4ELNS1_3repE0EEENS1_30default_config_static_selectorELNS0_4arch9wavefront6targetE1EEEvT1_.kd
    .uniform_work_group_size: 1
    .uses_dynamic_stack: false
    .vgpr_count:     0
    .vgpr_spill_count: 0
    .wavefront_size: 64
  - .agpr_count:     0
    .args:
      - .offset:         0
        .size:           120
        .value_kind:     by_value
    .group_segment_fixed_size: 0
    .kernarg_segment_align: 8
    .kernarg_segment_size: 120
    .language:       OpenCL C
    .language_version:
      - 2
      - 0
    .max_flat_workgroup_size: 256
    .name:           _ZN7rocprim17ROCPRIM_400000_NS6detail17trampoline_kernelINS0_14default_configENS1_29reduce_by_key_config_selectorIjjN6thrust23THRUST_200600_302600_NS4plusIjEEEEZZNS1_33reduce_by_key_impl_wrapped_configILNS1_25lookback_scan_determinismE0ES3_S9_NS6_6detail15normal_iteratorINS6_10device_ptrIjEEEESG_SG_SG_PmS8_NS6_8equal_toIjEEEE10hipError_tPvRmT2_T3_mT4_T5_T6_T7_T8_P12ihipStream_tbENKUlT_T0_E_clISt17integral_constantIbLb1EES11_EEDaSW_SX_EUlSW_E_NS1_11comp_targetILNS1_3genE9ELNS1_11target_archE1100ELNS1_3gpuE3ELNS1_3repE0EEENS1_30default_config_static_selectorELNS0_4arch9wavefront6targetE1EEEvT1_
    .private_segment_fixed_size: 0
    .sgpr_count:     4
    .sgpr_spill_count: 0
    .symbol:         _ZN7rocprim17ROCPRIM_400000_NS6detail17trampoline_kernelINS0_14default_configENS1_29reduce_by_key_config_selectorIjjN6thrust23THRUST_200600_302600_NS4plusIjEEEEZZNS1_33reduce_by_key_impl_wrapped_configILNS1_25lookback_scan_determinismE0ES3_S9_NS6_6detail15normal_iteratorINS6_10device_ptrIjEEEESG_SG_SG_PmS8_NS6_8equal_toIjEEEE10hipError_tPvRmT2_T3_mT4_T5_T6_T7_T8_P12ihipStream_tbENKUlT_T0_E_clISt17integral_constantIbLb1EES11_EEDaSW_SX_EUlSW_E_NS1_11comp_targetILNS1_3genE9ELNS1_11target_archE1100ELNS1_3gpuE3ELNS1_3repE0EEENS1_30default_config_static_selectorELNS0_4arch9wavefront6targetE1EEEvT1_.kd
    .uniform_work_group_size: 1
    .uses_dynamic_stack: false
    .vgpr_count:     0
    .vgpr_spill_count: 0
    .wavefront_size: 64
  - .agpr_count:     0
    .args:
      - .offset:         0
        .size:           120
        .value_kind:     by_value
    .group_segment_fixed_size: 0
    .kernarg_segment_align: 8
    .kernarg_segment_size: 120
    .language:       OpenCL C
    .language_version:
      - 2
      - 0
    .max_flat_workgroup_size: 256
    .name:           _ZN7rocprim17ROCPRIM_400000_NS6detail17trampoline_kernelINS0_14default_configENS1_29reduce_by_key_config_selectorIjjN6thrust23THRUST_200600_302600_NS4plusIjEEEEZZNS1_33reduce_by_key_impl_wrapped_configILNS1_25lookback_scan_determinismE0ES3_S9_NS6_6detail15normal_iteratorINS6_10device_ptrIjEEEESG_SG_SG_PmS8_NS6_8equal_toIjEEEE10hipError_tPvRmT2_T3_mT4_T5_T6_T7_T8_P12ihipStream_tbENKUlT_T0_E_clISt17integral_constantIbLb1EES11_EEDaSW_SX_EUlSW_E_NS1_11comp_targetILNS1_3genE8ELNS1_11target_archE1030ELNS1_3gpuE2ELNS1_3repE0EEENS1_30default_config_static_selectorELNS0_4arch9wavefront6targetE1EEEvT1_
    .private_segment_fixed_size: 0
    .sgpr_count:     4
    .sgpr_spill_count: 0
    .symbol:         _ZN7rocprim17ROCPRIM_400000_NS6detail17trampoline_kernelINS0_14default_configENS1_29reduce_by_key_config_selectorIjjN6thrust23THRUST_200600_302600_NS4plusIjEEEEZZNS1_33reduce_by_key_impl_wrapped_configILNS1_25lookback_scan_determinismE0ES3_S9_NS6_6detail15normal_iteratorINS6_10device_ptrIjEEEESG_SG_SG_PmS8_NS6_8equal_toIjEEEE10hipError_tPvRmT2_T3_mT4_T5_T6_T7_T8_P12ihipStream_tbENKUlT_T0_E_clISt17integral_constantIbLb1EES11_EEDaSW_SX_EUlSW_E_NS1_11comp_targetILNS1_3genE8ELNS1_11target_archE1030ELNS1_3gpuE2ELNS1_3repE0EEENS1_30default_config_static_selectorELNS0_4arch9wavefront6targetE1EEEvT1_.kd
    .uniform_work_group_size: 1
    .uses_dynamic_stack: false
    .vgpr_count:     0
    .vgpr_spill_count: 0
    .wavefront_size: 64
  - .agpr_count:     0
    .args:
      - .address_space:  global
        .offset:         0
        .size:           8
        .value_kind:     global_buffer
      - .offset:         8
        .size:           4
        .value_kind:     by_value
      - .offset:         12
        .size:           1
        .value_kind:     by_value
      - .offset:         16
        .size:           4
        .value_kind:     by_value
      - .address_space:  global
        .offset:         24
        .size:           8
        .value_kind:     global_buffer
      - .address_space:  global
        .offset:         32
        .size:           8
        .value_kind:     global_buffer
      - .offset:         40
        .size:           1
        .value_kind:     by_value
      - .offset:         48
        .size:           4
        .value_kind:     hidden_block_count_x
      - .offset:         52
        .size:           4
        .value_kind:     hidden_block_count_y
      - .offset:         56
        .size:           4
        .value_kind:     hidden_block_count_z
      - .offset:         60
        .size:           2
        .value_kind:     hidden_group_size_x
      - .offset:         62
        .size:           2
        .value_kind:     hidden_group_size_y
      - .offset:         64
        .size:           2
        .value_kind:     hidden_group_size_z
      - .offset:         66
        .size:           2
        .value_kind:     hidden_remainder_x
      - .offset:         68
        .size:           2
        .value_kind:     hidden_remainder_y
      - .offset:         70
        .size:           2
        .value_kind:     hidden_remainder_z
      - .offset:         88
        .size:           8
        .value_kind:     hidden_global_offset_x
      - .offset:         96
        .size:           8
        .value_kind:     hidden_global_offset_y
      - .offset:         104
        .size:           8
        .value_kind:     hidden_global_offset_z
      - .offset:         112
        .size:           2
        .value_kind:     hidden_grid_dims
    .group_segment_fixed_size: 0
    .kernarg_segment_align: 8
    .kernarg_segment_size: 304
    .language:       OpenCL C
    .language_version:
      - 2
      - 0
    .max_flat_workgroup_size: 256
    .name:           _ZN7rocprim17ROCPRIM_400000_NS6detail25reduce_by_key_init_kernelINS1_19lookback_scan_stateINS0_5tupleIJjjEEELb1ELb1EEEjNS1_16block_id_wrapperIjLb0EEEEEvT_jbjPmPT0_T1_
    .private_segment_fixed_size: 0
    .sgpr_count:     20
    .sgpr_spill_count: 0
    .symbol:         _ZN7rocprim17ROCPRIM_400000_NS6detail25reduce_by_key_init_kernelINS1_19lookback_scan_stateINS0_5tupleIJjjEEELb1ELb1EEEjNS1_16block_id_wrapperIjLb0EEEEEvT_jbjPmPT0_T1_.kd
    .uniform_work_group_size: 1
    .uses_dynamic_stack: false
    .vgpr_count:     10
    .vgpr_spill_count: 0
    .wavefront_size: 64
  - .agpr_count:     0
    .args:
      - .offset:         0
        .size:           120
        .value_kind:     by_value
    .group_segment_fixed_size: 0
    .kernarg_segment_align: 8
    .kernarg_segment_size: 120
    .language:       OpenCL C
    .language_version:
      - 2
      - 0
    .max_flat_workgroup_size: 256
    .name:           _ZN7rocprim17ROCPRIM_400000_NS6detail17trampoline_kernelINS0_14default_configENS1_29reduce_by_key_config_selectorIjjN6thrust23THRUST_200600_302600_NS4plusIjEEEEZZNS1_33reduce_by_key_impl_wrapped_configILNS1_25lookback_scan_determinismE0ES3_S9_NS6_6detail15normal_iteratorINS6_10device_ptrIjEEEESG_SG_SG_PmS8_NS6_8equal_toIjEEEE10hipError_tPvRmT2_T3_mT4_T5_T6_T7_T8_P12ihipStream_tbENKUlT_T0_E_clISt17integral_constantIbLb1EES10_IbLb0EEEEDaSW_SX_EUlSW_E_NS1_11comp_targetILNS1_3genE0ELNS1_11target_archE4294967295ELNS1_3gpuE0ELNS1_3repE0EEENS1_30default_config_static_selectorELNS0_4arch9wavefront6targetE1EEEvT1_
    .private_segment_fixed_size: 0
    .sgpr_count:     4
    .sgpr_spill_count: 0
    .symbol:         _ZN7rocprim17ROCPRIM_400000_NS6detail17trampoline_kernelINS0_14default_configENS1_29reduce_by_key_config_selectorIjjN6thrust23THRUST_200600_302600_NS4plusIjEEEEZZNS1_33reduce_by_key_impl_wrapped_configILNS1_25lookback_scan_determinismE0ES3_S9_NS6_6detail15normal_iteratorINS6_10device_ptrIjEEEESG_SG_SG_PmS8_NS6_8equal_toIjEEEE10hipError_tPvRmT2_T3_mT4_T5_T6_T7_T8_P12ihipStream_tbENKUlT_T0_E_clISt17integral_constantIbLb1EES10_IbLb0EEEEDaSW_SX_EUlSW_E_NS1_11comp_targetILNS1_3genE0ELNS1_11target_archE4294967295ELNS1_3gpuE0ELNS1_3repE0EEENS1_30default_config_static_selectorELNS0_4arch9wavefront6targetE1EEEvT1_.kd
    .uniform_work_group_size: 1
    .uses_dynamic_stack: false
    .vgpr_count:     0
    .vgpr_spill_count: 0
    .wavefront_size: 64
  - .agpr_count:     0
    .args:
      - .offset:         0
        .size:           120
        .value_kind:     by_value
    .group_segment_fixed_size: 0
    .kernarg_segment_align: 8
    .kernarg_segment_size: 120
    .language:       OpenCL C
    .language_version:
      - 2
      - 0
    .max_flat_workgroup_size: 256
    .name:           _ZN7rocprim17ROCPRIM_400000_NS6detail17trampoline_kernelINS0_14default_configENS1_29reduce_by_key_config_selectorIjjN6thrust23THRUST_200600_302600_NS4plusIjEEEEZZNS1_33reduce_by_key_impl_wrapped_configILNS1_25lookback_scan_determinismE0ES3_S9_NS6_6detail15normal_iteratorINS6_10device_ptrIjEEEESG_SG_SG_PmS8_NS6_8equal_toIjEEEE10hipError_tPvRmT2_T3_mT4_T5_T6_T7_T8_P12ihipStream_tbENKUlT_T0_E_clISt17integral_constantIbLb1EES10_IbLb0EEEEDaSW_SX_EUlSW_E_NS1_11comp_targetILNS1_3genE5ELNS1_11target_archE942ELNS1_3gpuE9ELNS1_3repE0EEENS1_30default_config_static_selectorELNS0_4arch9wavefront6targetE1EEEvT1_
    .private_segment_fixed_size: 0
    .sgpr_count:     4
    .sgpr_spill_count: 0
    .symbol:         _ZN7rocprim17ROCPRIM_400000_NS6detail17trampoline_kernelINS0_14default_configENS1_29reduce_by_key_config_selectorIjjN6thrust23THRUST_200600_302600_NS4plusIjEEEEZZNS1_33reduce_by_key_impl_wrapped_configILNS1_25lookback_scan_determinismE0ES3_S9_NS6_6detail15normal_iteratorINS6_10device_ptrIjEEEESG_SG_SG_PmS8_NS6_8equal_toIjEEEE10hipError_tPvRmT2_T3_mT4_T5_T6_T7_T8_P12ihipStream_tbENKUlT_T0_E_clISt17integral_constantIbLb1EES10_IbLb0EEEEDaSW_SX_EUlSW_E_NS1_11comp_targetILNS1_3genE5ELNS1_11target_archE942ELNS1_3gpuE9ELNS1_3repE0EEENS1_30default_config_static_selectorELNS0_4arch9wavefront6targetE1EEEvT1_.kd
    .uniform_work_group_size: 1
    .uses_dynamic_stack: false
    .vgpr_count:     0
    .vgpr_spill_count: 0
    .wavefront_size: 64
  - .agpr_count:     0
    .args:
      - .offset:         0
        .size:           120
        .value_kind:     by_value
    .group_segment_fixed_size: 15360
    .kernarg_segment_align: 8
    .kernarg_segment_size: 120
    .language:       OpenCL C
    .language_version:
      - 2
      - 0
    .max_flat_workgroup_size: 256
    .name:           _ZN7rocprim17ROCPRIM_400000_NS6detail17trampoline_kernelINS0_14default_configENS1_29reduce_by_key_config_selectorIjjN6thrust23THRUST_200600_302600_NS4plusIjEEEEZZNS1_33reduce_by_key_impl_wrapped_configILNS1_25lookback_scan_determinismE0ES3_S9_NS6_6detail15normal_iteratorINS6_10device_ptrIjEEEESG_SG_SG_PmS8_NS6_8equal_toIjEEEE10hipError_tPvRmT2_T3_mT4_T5_T6_T7_T8_P12ihipStream_tbENKUlT_T0_E_clISt17integral_constantIbLb1EES10_IbLb0EEEEDaSW_SX_EUlSW_E_NS1_11comp_targetILNS1_3genE4ELNS1_11target_archE910ELNS1_3gpuE8ELNS1_3repE0EEENS1_30default_config_static_selectorELNS0_4arch9wavefront6targetE1EEEvT1_
    .private_segment_fixed_size: 0
    .sgpr_count:     68
    .sgpr_spill_count: 0
    .symbol:         _ZN7rocprim17ROCPRIM_400000_NS6detail17trampoline_kernelINS0_14default_configENS1_29reduce_by_key_config_selectorIjjN6thrust23THRUST_200600_302600_NS4plusIjEEEEZZNS1_33reduce_by_key_impl_wrapped_configILNS1_25lookback_scan_determinismE0ES3_S9_NS6_6detail15normal_iteratorINS6_10device_ptrIjEEEESG_SG_SG_PmS8_NS6_8equal_toIjEEEE10hipError_tPvRmT2_T3_mT4_T5_T6_T7_T8_P12ihipStream_tbENKUlT_T0_E_clISt17integral_constantIbLb1EES10_IbLb0EEEEDaSW_SX_EUlSW_E_NS1_11comp_targetILNS1_3genE4ELNS1_11target_archE910ELNS1_3gpuE8ELNS1_3repE0EEENS1_30default_config_static_selectorELNS0_4arch9wavefront6targetE1EEEvT1_.kd
    .uniform_work_group_size: 1
    .uses_dynamic_stack: false
    .vgpr_count:     106
    .vgpr_spill_count: 0
    .wavefront_size: 64
  - .agpr_count:     0
    .args:
      - .offset:         0
        .size:           120
        .value_kind:     by_value
    .group_segment_fixed_size: 0
    .kernarg_segment_align: 8
    .kernarg_segment_size: 120
    .language:       OpenCL C
    .language_version:
      - 2
      - 0
    .max_flat_workgroup_size: 256
    .name:           _ZN7rocprim17ROCPRIM_400000_NS6detail17trampoline_kernelINS0_14default_configENS1_29reduce_by_key_config_selectorIjjN6thrust23THRUST_200600_302600_NS4plusIjEEEEZZNS1_33reduce_by_key_impl_wrapped_configILNS1_25lookback_scan_determinismE0ES3_S9_NS6_6detail15normal_iteratorINS6_10device_ptrIjEEEESG_SG_SG_PmS8_NS6_8equal_toIjEEEE10hipError_tPvRmT2_T3_mT4_T5_T6_T7_T8_P12ihipStream_tbENKUlT_T0_E_clISt17integral_constantIbLb1EES10_IbLb0EEEEDaSW_SX_EUlSW_E_NS1_11comp_targetILNS1_3genE3ELNS1_11target_archE908ELNS1_3gpuE7ELNS1_3repE0EEENS1_30default_config_static_selectorELNS0_4arch9wavefront6targetE1EEEvT1_
    .private_segment_fixed_size: 0
    .sgpr_count:     4
    .sgpr_spill_count: 0
    .symbol:         _ZN7rocprim17ROCPRIM_400000_NS6detail17trampoline_kernelINS0_14default_configENS1_29reduce_by_key_config_selectorIjjN6thrust23THRUST_200600_302600_NS4plusIjEEEEZZNS1_33reduce_by_key_impl_wrapped_configILNS1_25lookback_scan_determinismE0ES3_S9_NS6_6detail15normal_iteratorINS6_10device_ptrIjEEEESG_SG_SG_PmS8_NS6_8equal_toIjEEEE10hipError_tPvRmT2_T3_mT4_T5_T6_T7_T8_P12ihipStream_tbENKUlT_T0_E_clISt17integral_constantIbLb1EES10_IbLb0EEEEDaSW_SX_EUlSW_E_NS1_11comp_targetILNS1_3genE3ELNS1_11target_archE908ELNS1_3gpuE7ELNS1_3repE0EEENS1_30default_config_static_selectorELNS0_4arch9wavefront6targetE1EEEvT1_.kd
    .uniform_work_group_size: 1
    .uses_dynamic_stack: false
    .vgpr_count:     0
    .vgpr_spill_count: 0
    .wavefront_size: 64
  - .agpr_count:     0
    .args:
      - .offset:         0
        .size:           120
        .value_kind:     by_value
    .group_segment_fixed_size: 0
    .kernarg_segment_align: 8
    .kernarg_segment_size: 120
    .language:       OpenCL C
    .language_version:
      - 2
      - 0
    .max_flat_workgroup_size: 256
    .name:           _ZN7rocprim17ROCPRIM_400000_NS6detail17trampoline_kernelINS0_14default_configENS1_29reduce_by_key_config_selectorIjjN6thrust23THRUST_200600_302600_NS4plusIjEEEEZZNS1_33reduce_by_key_impl_wrapped_configILNS1_25lookback_scan_determinismE0ES3_S9_NS6_6detail15normal_iteratorINS6_10device_ptrIjEEEESG_SG_SG_PmS8_NS6_8equal_toIjEEEE10hipError_tPvRmT2_T3_mT4_T5_T6_T7_T8_P12ihipStream_tbENKUlT_T0_E_clISt17integral_constantIbLb1EES10_IbLb0EEEEDaSW_SX_EUlSW_E_NS1_11comp_targetILNS1_3genE2ELNS1_11target_archE906ELNS1_3gpuE6ELNS1_3repE0EEENS1_30default_config_static_selectorELNS0_4arch9wavefront6targetE1EEEvT1_
    .private_segment_fixed_size: 0
    .sgpr_count:     4
    .sgpr_spill_count: 0
    .symbol:         _ZN7rocprim17ROCPRIM_400000_NS6detail17trampoline_kernelINS0_14default_configENS1_29reduce_by_key_config_selectorIjjN6thrust23THRUST_200600_302600_NS4plusIjEEEEZZNS1_33reduce_by_key_impl_wrapped_configILNS1_25lookback_scan_determinismE0ES3_S9_NS6_6detail15normal_iteratorINS6_10device_ptrIjEEEESG_SG_SG_PmS8_NS6_8equal_toIjEEEE10hipError_tPvRmT2_T3_mT4_T5_T6_T7_T8_P12ihipStream_tbENKUlT_T0_E_clISt17integral_constantIbLb1EES10_IbLb0EEEEDaSW_SX_EUlSW_E_NS1_11comp_targetILNS1_3genE2ELNS1_11target_archE906ELNS1_3gpuE6ELNS1_3repE0EEENS1_30default_config_static_selectorELNS0_4arch9wavefront6targetE1EEEvT1_.kd
    .uniform_work_group_size: 1
    .uses_dynamic_stack: false
    .vgpr_count:     0
    .vgpr_spill_count: 0
    .wavefront_size: 64
  - .agpr_count:     0
    .args:
      - .offset:         0
        .size:           120
        .value_kind:     by_value
    .group_segment_fixed_size: 0
    .kernarg_segment_align: 8
    .kernarg_segment_size: 120
    .language:       OpenCL C
    .language_version:
      - 2
      - 0
    .max_flat_workgroup_size: 256
    .name:           _ZN7rocprim17ROCPRIM_400000_NS6detail17trampoline_kernelINS0_14default_configENS1_29reduce_by_key_config_selectorIjjN6thrust23THRUST_200600_302600_NS4plusIjEEEEZZNS1_33reduce_by_key_impl_wrapped_configILNS1_25lookback_scan_determinismE0ES3_S9_NS6_6detail15normal_iteratorINS6_10device_ptrIjEEEESG_SG_SG_PmS8_NS6_8equal_toIjEEEE10hipError_tPvRmT2_T3_mT4_T5_T6_T7_T8_P12ihipStream_tbENKUlT_T0_E_clISt17integral_constantIbLb1EES10_IbLb0EEEEDaSW_SX_EUlSW_E_NS1_11comp_targetILNS1_3genE10ELNS1_11target_archE1201ELNS1_3gpuE5ELNS1_3repE0EEENS1_30default_config_static_selectorELNS0_4arch9wavefront6targetE1EEEvT1_
    .private_segment_fixed_size: 0
    .sgpr_count:     4
    .sgpr_spill_count: 0
    .symbol:         _ZN7rocprim17ROCPRIM_400000_NS6detail17trampoline_kernelINS0_14default_configENS1_29reduce_by_key_config_selectorIjjN6thrust23THRUST_200600_302600_NS4plusIjEEEEZZNS1_33reduce_by_key_impl_wrapped_configILNS1_25lookback_scan_determinismE0ES3_S9_NS6_6detail15normal_iteratorINS6_10device_ptrIjEEEESG_SG_SG_PmS8_NS6_8equal_toIjEEEE10hipError_tPvRmT2_T3_mT4_T5_T6_T7_T8_P12ihipStream_tbENKUlT_T0_E_clISt17integral_constantIbLb1EES10_IbLb0EEEEDaSW_SX_EUlSW_E_NS1_11comp_targetILNS1_3genE10ELNS1_11target_archE1201ELNS1_3gpuE5ELNS1_3repE0EEENS1_30default_config_static_selectorELNS0_4arch9wavefront6targetE1EEEvT1_.kd
    .uniform_work_group_size: 1
    .uses_dynamic_stack: false
    .vgpr_count:     0
    .vgpr_spill_count: 0
    .wavefront_size: 64
  - .agpr_count:     0
    .args:
      - .offset:         0
        .size:           120
        .value_kind:     by_value
    .group_segment_fixed_size: 0
    .kernarg_segment_align: 8
    .kernarg_segment_size: 120
    .language:       OpenCL C
    .language_version:
      - 2
      - 0
    .max_flat_workgroup_size: 256
    .name:           _ZN7rocprim17ROCPRIM_400000_NS6detail17trampoline_kernelINS0_14default_configENS1_29reduce_by_key_config_selectorIjjN6thrust23THRUST_200600_302600_NS4plusIjEEEEZZNS1_33reduce_by_key_impl_wrapped_configILNS1_25lookback_scan_determinismE0ES3_S9_NS6_6detail15normal_iteratorINS6_10device_ptrIjEEEESG_SG_SG_PmS8_NS6_8equal_toIjEEEE10hipError_tPvRmT2_T3_mT4_T5_T6_T7_T8_P12ihipStream_tbENKUlT_T0_E_clISt17integral_constantIbLb1EES10_IbLb0EEEEDaSW_SX_EUlSW_E_NS1_11comp_targetILNS1_3genE10ELNS1_11target_archE1200ELNS1_3gpuE4ELNS1_3repE0EEENS1_30default_config_static_selectorELNS0_4arch9wavefront6targetE1EEEvT1_
    .private_segment_fixed_size: 0
    .sgpr_count:     4
    .sgpr_spill_count: 0
    .symbol:         _ZN7rocprim17ROCPRIM_400000_NS6detail17trampoline_kernelINS0_14default_configENS1_29reduce_by_key_config_selectorIjjN6thrust23THRUST_200600_302600_NS4plusIjEEEEZZNS1_33reduce_by_key_impl_wrapped_configILNS1_25lookback_scan_determinismE0ES3_S9_NS6_6detail15normal_iteratorINS6_10device_ptrIjEEEESG_SG_SG_PmS8_NS6_8equal_toIjEEEE10hipError_tPvRmT2_T3_mT4_T5_T6_T7_T8_P12ihipStream_tbENKUlT_T0_E_clISt17integral_constantIbLb1EES10_IbLb0EEEEDaSW_SX_EUlSW_E_NS1_11comp_targetILNS1_3genE10ELNS1_11target_archE1200ELNS1_3gpuE4ELNS1_3repE0EEENS1_30default_config_static_selectorELNS0_4arch9wavefront6targetE1EEEvT1_.kd
    .uniform_work_group_size: 1
    .uses_dynamic_stack: false
    .vgpr_count:     0
    .vgpr_spill_count: 0
    .wavefront_size: 64
  - .agpr_count:     0
    .args:
      - .offset:         0
        .size:           120
        .value_kind:     by_value
    .group_segment_fixed_size: 0
    .kernarg_segment_align: 8
    .kernarg_segment_size: 120
    .language:       OpenCL C
    .language_version:
      - 2
      - 0
    .max_flat_workgroup_size: 256
    .name:           _ZN7rocprim17ROCPRIM_400000_NS6detail17trampoline_kernelINS0_14default_configENS1_29reduce_by_key_config_selectorIjjN6thrust23THRUST_200600_302600_NS4plusIjEEEEZZNS1_33reduce_by_key_impl_wrapped_configILNS1_25lookback_scan_determinismE0ES3_S9_NS6_6detail15normal_iteratorINS6_10device_ptrIjEEEESG_SG_SG_PmS8_NS6_8equal_toIjEEEE10hipError_tPvRmT2_T3_mT4_T5_T6_T7_T8_P12ihipStream_tbENKUlT_T0_E_clISt17integral_constantIbLb1EES10_IbLb0EEEEDaSW_SX_EUlSW_E_NS1_11comp_targetILNS1_3genE9ELNS1_11target_archE1100ELNS1_3gpuE3ELNS1_3repE0EEENS1_30default_config_static_selectorELNS0_4arch9wavefront6targetE1EEEvT1_
    .private_segment_fixed_size: 0
    .sgpr_count:     4
    .sgpr_spill_count: 0
    .symbol:         _ZN7rocprim17ROCPRIM_400000_NS6detail17trampoline_kernelINS0_14default_configENS1_29reduce_by_key_config_selectorIjjN6thrust23THRUST_200600_302600_NS4plusIjEEEEZZNS1_33reduce_by_key_impl_wrapped_configILNS1_25lookback_scan_determinismE0ES3_S9_NS6_6detail15normal_iteratorINS6_10device_ptrIjEEEESG_SG_SG_PmS8_NS6_8equal_toIjEEEE10hipError_tPvRmT2_T3_mT4_T5_T6_T7_T8_P12ihipStream_tbENKUlT_T0_E_clISt17integral_constantIbLb1EES10_IbLb0EEEEDaSW_SX_EUlSW_E_NS1_11comp_targetILNS1_3genE9ELNS1_11target_archE1100ELNS1_3gpuE3ELNS1_3repE0EEENS1_30default_config_static_selectorELNS0_4arch9wavefront6targetE1EEEvT1_.kd
    .uniform_work_group_size: 1
    .uses_dynamic_stack: false
    .vgpr_count:     0
    .vgpr_spill_count: 0
    .wavefront_size: 64
  - .agpr_count:     0
    .args:
      - .offset:         0
        .size:           120
        .value_kind:     by_value
    .group_segment_fixed_size: 0
    .kernarg_segment_align: 8
    .kernarg_segment_size: 120
    .language:       OpenCL C
    .language_version:
      - 2
      - 0
    .max_flat_workgroup_size: 256
    .name:           _ZN7rocprim17ROCPRIM_400000_NS6detail17trampoline_kernelINS0_14default_configENS1_29reduce_by_key_config_selectorIjjN6thrust23THRUST_200600_302600_NS4plusIjEEEEZZNS1_33reduce_by_key_impl_wrapped_configILNS1_25lookback_scan_determinismE0ES3_S9_NS6_6detail15normal_iteratorINS6_10device_ptrIjEEEESG_SG_SG_PmS8_NS6_8equal_toIjEEEE10hipError_tPvRmT2_T3_mT4_T5_T6_T7_T8_P12ihipStream_tbENKUlT_T0_E_clISt17integral_constantIbLb1EES10_IbLb0EEEEDaSW_SX_EUlSW_E_NS1_11comp_targetILNS1_3genE8ELNS1_11target_archE1030ELNS1_3gpuE2ELNS1_3repE0EEENS1_30default_config_static_selectorELNS0_4arch9wavefront6targetE1EEEvT1_
    .private_segment_fixed_size: 0
    .sgpr_count:     4
    .sgpr_spill_count: 0
    .symbol:         _ZN7rocprim17ROCPRIM_400000_NS6detail17trampoline_kernelINS0_14default_configENS1_29reduce_by_key_config_selectorIjjN6thrust23THRUST_200600_302600_NS4plusIjEEEEZZNS1_33reduce_by_key_impl_wrapped_configILNS1_25lookback_scan_determinismE0ES3_S9_NS6_6detail15normal_iteratorINS6_10device_ptrIjEEEESG_SG_SG_PmS8_NS6_8equal_toIjEEEE10hipError_tPvRmT2_T3_mT4_T5_T6_T7_T8_P12ihipStream_tbENKUlT_T0_E_clISt17integral_constantIbLb1EES10_IbLb0EEEEDaSW_SX_EUlSW_E_NS1_11comp_targetILNS1_3genE8ELNS1_11target_archE1030ELNS1_3gpuE2ELNS1_3repE0EEENS1_30default_config_static_selectorELNS0_4arch9wavefront6targetE1EEEvT1_.kd
    .uniform_work_group_size: 1
    .uses_dynamic_stack: false
    .vgpr_count:     0
    .vgpr_spill_count: 0
    .wavefront_size: 64
  - .agpr_count:     0
    .args:
      - .address_space:  global
        .offset:         0
        .size:           8
        .value_kind:     global_buffer
      - .offset:         8
        .size:           4
        .value_kind:     by_value
      - .offset:         12
        .size:           1
        .value_kind:     by_value
      - .offset:         16
        .size:           4
        .value_kind:     by_value
      - .address_space:  global
        .offset:         24
        .size:           8
        .value_kind:     global_buffer
      - .address_space:  global
        .offset:         32
        .size:           8
        .value_kind:     global_buffer
      - .address_space:  global
        .offset:         40
        .size:           8
        .value_kind:     global_buffer
      - .offset:         48
        .size:           4
        .value_kind:     hidden_block_count_x
      - .offset:         52
        .size:           4
        .value_kind:     hidden_block_count_y
      - .offset:         56
        .size:           4
        .value_kind:     hidden_block_count_z
      - .offset:         60
        .size:           2
        .value_kind:     hidden_group_size_x
      - .offset:         62
        .size:           2
        .value_kind:     hidden_group_size_y
      - .offset:         64
        .size:           2
        .value_kind:     hidden_group_size_z
      - .offset:         66
        .size:           2
        .value_kind:     hidden_remainder_x
      - .offset:         68
        .size:           2
        .value_kind:     hidden_remainder_y
      - .offset:         70
        .size:           2
        .value_kind:     hidden_remainder_z
      - .offset:         88
        .size:           8
        .value_kind:     hidden_global_offset_x
      - .offset:         96
        .size:           8
        .value_kind:     hidden_global_offset_y
      - .offset:         104
        .size:           8
        .value_kind:     hidden_global_offset_z
      - .offset:         112
        .size:           2
        .value_kind:     hidden_grid_dims
    .group_segment_fixed_size: 0
    .kernarg_segment_align: 8
    .kernarg_segment_size: 304
    .language:       OpenCL C
    .language_version:
      - 2
      - 0
    .max_flat_workgroup_size: 256
    .name:           _ZN7rocprim17ROCPRIM_400000_NS6detail25reduce_by_key_init_kernelINS1_19lookback_scan_stateINS0_5tupleIJjjEEELb0ELb1EEEjNS1_16block_id_wrapperIjLb1EEEEEvT_jbjPmPT0_T1_
    .private_segment_fixed_size: 0
    .sgpr_count:     22
    .sgpr_spill_count: 0
    .symbol:         _ZN7rocprim17ROCPRIM_400000_NS6detail25reduce_by_key_init_kernelINS1_19lookback_scan_stateINS0_5tupleIJjjEEELb0ELb1EEEjNS1_16block_id_wrapperIjLb1EEEEEvT_jbjPmPT0_T1_.kd
    .uniform_work_group_size: 1
    .uses_dynamic_stack: false
    .vgpr_count:     10
    .vgpr_spill_count: 0
    .wavefront_size: 64
  - .agpr_count:     0
    .args:
      - .offset:         0
        .size:           120
        .value_kind:     by_value
    .group_segment_fixed_size: 0
    .kernarg_segment_align: 8
    .kernarg_segment_size: 120
    .language:       OpenCL C
    .language_version:
      - 2
      - 0
    .max_flat_workgroup_size: 256
    .name:           _ZN7rocprim17ROCPRIM_400000_NS6detail17trampoline_kernelINS0_14default_configENS1_29reduce_by_key_config_selectorIjjN6thrust23THRUST_200600_302600_NS4plusIjEEEEZZNS1_33reduce_by_key_impl_wrapped_configILNS1_25lookback_scan_determinismE0ES3_S9_NS6_6detail15normal_iteratorINS6_10device_ptrIjEEEESG_SG_SG_PmS8_NS6_8equal_toIjEEEE10hipError_tPvRmT2_T3_mT4_T5_T6_T7_T8_P12ihipStream_tbENKUlT_T0_E_clISt17integral_constantIbLb0EES10_IbLb1EEEEDaSW_SX_EUlSW_E_NS1_11comp_targetILNS1_3genE0ELNS1_11target_archE4294967295ELNS1_3gpuE0ELNS1_3repE0EEENS1_30default_config_static_selectorELNS0_4arch9wavefront6targetE1EEEvT1_
    .private_segment_fixed_size: 0
    .sgpr_count:     4
    .sgpr_spill_count: 0
    .symbol:         _ZN7rocprim17ROCPRIM_400000_NS6detail17trampoline_kernelINS0_14default_configENS1_29reduce_by_key_config_selectorIjjN6thrust23THRUST_200600_302600_NS4plusIjEEEEZZNS1_33reduce_by_key_impl_wrapped_configILNS1_25lookback_scan_determinismE0ES3_S9_NS6_6detail15normal_iteratorINS6_10device_ptrIjEEEESG_SG_SG_PmS8_NS6_8equal_toIjEEEE10hipError_tPvRmT2_T3_mT4_T5_T6_T7_T8_P12ihipStream_tbENKUlT_T0_E_clISt17integral_constantIbLb0EES10_IbLb1EEEEDaSW_SX_EUlSW_E_NS1_11comp_targetILNS1_3genE0ELNS1_11target_archE4294967295ELNS1_3gpuE0ELNS1_3repE0EEENS1_30default_config_static_selectorELNS0_4arch9wavefront6targetE1EEEvT1_.kd
    .uniform_work_group_size: 1
    .uses_dynamic_stack: false
    .vgpr_count:     0
    .vgpr_spill_count: 0
    .wavefront_size: 64
  - .agpr_count:     0
    .args:
      - .offset:         0
        .size:           120
        .value_kind:     by_value
    .group_segment_fixed_size: 0
    .kernarg_segment_align: 8
    .kernarg_segment_size: 120
    .language:       OpenCL C
    .language_version:
      - 2
      - 0
    .max_flat_workgroup_size: 256
    .name:           _ZN7rocprim17ROCPRIM_400000_NS6detail17trampoline_kernelINS0_14default_configENS1_29reduce_by_key_config_selectorIjjN6thrust23THRUST_200600_302600_NS4plusIjEEEEZZNS1_33reduce_by_key_impl_wrapped_configILNS1_25lookback_scan_determinismE0ES3_S9_NS6_6detail15normal_iteratorINS6_10device_ptrIjEEEESG_SG_SG_PmS8_NS6_8equal_toIjEEEE10hipError_tPvRmT2_T3_mT4_T5_T6_T7_T8_P12ihipStream_tbENKUlT_T0_E_clISt17integral_constantIbLb0EES10_IbLb1EEEEDaSW_SX_EUlSW_E_NS1_11comp_targetILNS1_3genE5ELNS1_11target_archE942ELNS1_3gpuE9ELNS1_3repE0EEENS1_30default_config_static_selectorELNS0_4arch9wavefront6targetE1EEEvT1_
    .private_segment_fixed_size: 0
    .sgpr_count:     4
    .sgpr_spill_count: 0
    .symbol:         _ZN7rocprim17ROCPRIM_400000_NS6detail17trampoline_kernelINS0_14default_configENS1_29reduce_by_key_config_selectorIjjN6thrust23THRUST_200600_302600_NS4plusIjEEEEZZNS1_33reduce_by_key_impl_wrapped_configILNS1_25lookback_scan_determinismE0ES3_S9_NS6_6detail15normal_iteratorINS6_10device_ptrIjEEEESG_SG_SG_PmS8_NS6_8equal_toIjEEEE10hipError_tPvRmT2_T3_mT4_T5_T6_T7_T8_P12ihipStream_tbENKUlT_T0_E_clISt17integral_constantIbLb0EES10_IbLb1EEEEDaSW_SX_EUlSW_E_NS1_11comp_targetILNS1_3genE5ELNS1_11target_archE942ELNS1_3gpuE9ELNS1_3repE0EEENS1_30default_config_static_selectorELNS0_4arch9wavefront6targetE1EEEvT1_.kd
    .uniform_work_group_size: 1
    .uses_dynamic_stack: false
    .vgpr_count:     0
    .vgpr_spill_count: 0
    .wavefront_size: 64
  - .agpr_count:     0
    .args:
      - .offset:         0
        .size:           120
        .value_kind:     by_value
    .group_segment_fixed_size: 15360
    .kernarg_segment_align: 8
    .kernarg_segment_size: 120
    .language:       OpenCL C
    .language_version:
      - 2
      - 0
    .max_flat_workgroup_size: 256
    .name:           _ZN7rocprim17ROCPRIM_400000_NS6detail17trampoline_kernelINS0_14default_configENS1_29reduce_by_key_config_selectorIjjN6thrust23THRUST_200600_302600_NS4plusIjEEEEZZNS1_33reduce_by_key_impl_wrapped_configILNS1_25lookback_scan_determinismE0ES3_S9_NS6_6detail15normal_iteratorINS6_10device_ptrIjEEEESG_SG_SG_PmS8_NS6_8equal_toIjEEEE10hipError_tPvRmT2_T3_mT4_T5_T6_T7_T8_P12ihipStream_tbENKUlT_T0_E_clISt17integral_constantIbLb0EES10_IbLb1EEEEDaSW_SX_EUlSW_E_NS1_11comp_targetILNS1_3genE4ELNS1_11target_archE910ELNS1_3gpuE8ELNS1_3repE0EEENS1_30default_config_static_selectorELNS0_4arch9wavefront6targetE1EEEvT1_
    .private_segment_fixed_size: 0
    .sgpr_count:     70
    .sgpr_spill_count: 0
    .symbol:         _ZN7rocprim17ROCPRIM_400000_NS6detail17trampoline_kernelINS0_14default_configENS1_29reduce_by_key_config_selectorIjjN6thrust23THRUST_200600_302600_NS4plusIjEEEEZZNS1_33reduce_by_key_impl_wrapped_configILNS1_25lookback_scan_determinismE0ES3_S9_NS6_6detail15normal_iteratorINS6_10device_ptrIjEEEESG_SG_SG_PmS8_NS6_8equal_toIjEEEE10hipError_tPvRmT2_T3_mT4_T5_T6_T7_T8_P12ihipStream_tbENKUlT_T0_E_clISt17integral_constantIbLb0EES10_IbLb1EEEEDaSW_SX_EUlSW_E_NS1_11comp_targetILNS1_3genE4ELNS1_11target_archE910ELNS1_3gpuE8ELNS1_3repE0EEENS1_30default_config_static_selectorELNS0_4arch9wavefront6targetE1EEEvT1_.kd
    .uniform_work_group_size: 1
    .uses_dynamic_stack: false
    .vgpr_count:     106
    .vgpr_spill_count: 0
    .wavefront_size: 64
  - .agpr_count:     0
    .args:
      - .offset:         0
        .size:           120
        .value_kind:     by_value
    .group_segment_fixed_size: 0
    .kernarg_segment_align: 8
    .kernarg_segment_size: 120
    .language:       OpenCL C
    .language_version:
      - 2
      - 0
    .max_flat_workgroup_size: 256
    .name:           _ZN7rocprim17ROCPRIM_400000_NS6detail17trampoline_kernelINS0_14default_configENS1_29reduce_by_key_config_selectorIjjN6thrust23THRUST_200600_302600_NS4plusIjEEEEZZNS1_33reduce_by_key_impl_wrapped_configILNS1_25lookback_scan_determinismE0ES3_S9_NS6_6detail15normal_iteratorINS6_10device_ptrIjEEEESG_SG_SG_PmS8_NS6_8equal_toIjEEEE10hipError_tPvRmT2_T3_mT4_T5_T6_T7_T8_P12ihipStream_tbENKUlT_T0_E_clISt17integral_constantIbLb0EES10_IbLb1EEEEDaSW_SX_EUlSW_E_NS1_11comp_targetILNS1_3genE3ELNS1_11target_archE908ELNS1_3gpuE7ELNS1_3repE0EEENS1_30default_config_static_selectorELNS0_4arch9wavefront6targetE1EEEvT1_
    .private_segment_fixed_size: 0
    .sgpr_count:     4
    .sgpr_spill_count: 0
    .symbol:         _ZN7rocprim17ROCPRIM_400000_NS6detail17trampoline_kernelINS0_14default_configENS1_29reduce_by_key_config_selectorIjjN6thrust23THRUST_200600_302600_NS4plusIjEEEEZZNS1_33reduce_by_key_impl_wrapped_configILNS1_25lookback_scan_determinismE0ES3_S9_NS6_6detail15normal_iteratorINS6_10device_ptrIjEEEESG_SG_SG_PmS8_NS6_8equal_toIjEEEE10hipError_tPvRmT2_T3_mT4_T5_T6_T7_T8_P12ihipStream_tbENKUlT_T0_E_clISt17integral_constantIbLb0EES10_IbLb1EEEEDaSW_SX_EUlSW_E_NS1_11comp_targetILNS1_3genE3ELNS1_11target_archE908ELNS1_3gpuE7ELNS1_3repE0EEENS1_30default_config_static_selectorELNS0_4arch9wavefront6targetE1EEEvT1_.kd
    .uniform_work_group_size: 1
    .uses_dynamic_stack: false
    .vgpr_count:     0
    .vgpr_spill_count: 0
    .wavefront_size: 64
  - .agpr_count:     0
    .args:
      - .offset:         0
        .size:           120
        .value_kind:     by_value
    .group_segment_fixed_size: 0
    .kernarg_segment_align: 8
    .kernarg_segment_size: 120
    .language:       OpenCL C
    .language_version:
      - 2
      - 0
    .max_flat_workgroup_size: 256
    .name:           _ZN7rocprim17ROCPRIM_400000_NS6detail17trampoline_kernelINS0_14default_configENS1_29reduce_by_key_config_selectorIjjN6thrust23THRUST_200600_302600_NS4plusIjEEEEZZNS1_33reduce_by_key_impl_wrapped_configILNS1_25lookback_scan_determinismE0ES3_S9_NS6_6detail15normal_iteratorINS6_10device_ptrIjEEEESG_SG_SG_PmS8_NS6_8equal_toIjEEEE10hipError_tPvRmT2_T3_mT4_T5_T6_T7_T8_P12ihipStream_tbENKUlT_T0_E_clISt17integral_constantIbLb0EES10_IbLb1EEEEDaSW_SX_EUlSW_E_NS1_11comp_targetILNS1_3genE2ELNS1_11target_archE906ELNS1_3gpuE6ELNS1_3repE0EEENS1_30default_config_static_selectorELNS0_4arch9wavefront6targetE1EEEvT1_
    .private_segment_fixed_size: 0
    .sgpr_count:     4
    .sgpr_spill_count: 0
    .symbol:         _ZN7rocprim17ROCPRIM_400000_NS6detail17trampoline_kernelINS0_14default_configENS1_29reduce_by_key_config_selectorIjjN6thrust23THRUST_200600_302600_NS4plusIjEEEEZZNS1_33reduce_by_key_impl_wrapped_configILNS1_25lookback_scan_determinismE0ES3_S9_NS6_6detail15normal_iteratorINS6_10device_ptrIjEEEESG_SG_SG_PmS8_NS6_8equal_toIjEEEE10hipError_tPvRmT2_T3_mT4_T5_T6_T7_T8_P12ihipStream_tbENKUlT_T0_E_clISt17integral_constantIbLb0EES10_IbLb1EEEEDaSW_SX_EUlSW_E_NS1_11comp_targetILNS1_3genE2ELNS1_11target_archE906ELNS1_3gpuE6ELNS1_3repE0EEENS1_30default_config_static_selectorELNS0_4arch9wavefront6targetE1EEEvT1_.kd
    .uniform_work_group_size: 1
    .uses_dynamic_stack: false
    .vgpr_count:     0
    .vgpr_spill_count: 0
    .wavefront_size: 64
  - .agpr_count:     0
    .args:
      - .offset:         0
        .size:           120
        .value_kind:     by_value
    .group_segment_fixed_size: 0
    .kernarg_segment_align: 8
    .kernarg_segment_size: 120
    .language:       OpenCL C
    .language_version:
      - 2
      - 0
    .max_flat_workgroup_size: 256
    .name:           _ZN7rocprim17ROCPRIM_400000_NS6detail17trampoline_kernelINS0_14default_configENS1_29reduce_by_key_config_selectorIjjN6thrust23THRUST_200600_302600_NS4plusIjEEEEZZNS1_33reduce_by_key_impl_wrapped_configILNS1_25lookback_scan_determinismE0ES3_S9_NS6_6detail15normal_iteratorINS6_10device_ptrIjEEEESG_SG_SG_PmS8_NS6_8equal_toIjEEEE10hipError_tPvRmT2_T3_mT4_T5_T6_T7_T8_P12ihipStream_tbENKUlT_T0_E_clISt17integral_constantIbLb0EES10_IbLb1EEEEDaSW_SX_EUlSW_E_NS1_11comp_targetILNS1_3genE10ELNS1_11target_archE1201ELNS1_3gpuE5ELNS1_3repE0EEENS1_30default_config_static_selectorELNS0_4arch9wavefront6targetE1EEEvT1_
    .private_segment_fixed_size: 0
    .sgpr_count:     4
    .sgpr_spill_count: 0
    .symbol:         _ZN7rocprim17ROCPRIM_400000_NS6detail17trampoline_kernelINS0_14default_configENS1_29reduce_by_key_config_selectorIjjN6thrust23THRUST_200600_302600_NS4plusIjEEEEZZNS1_33reduce_by_key_impl_wrapped_configILNS1_25lookback_scan_determinismE0ES3_S9_NS6_6detail15normal_iteratorINS6_10device_ptrIjEEEESG_SG_SG_PmS8_NS6_8equal_toIjEEEE10hipError_tPvRmT2_T3_mT4_T5_T6_T7_T8_P12ihipStream_tbENKUlT_T0_E_clISt17integral_constantIbLb0EES10_IbLb1EEEEDaSW_SX_EUlSW_E_NS1_11comp_targetILNS1_3genE10ELNS1_11target_archE1201ELNS1_3gpuE5ELNS1_3repE0EEENS1_30default_config_static_selectorELNS0_4arch9wavefront6targetE1EEEvT1_.kd
    .uniform_work_group_size: 1
    .uses_dynamic_stack: false
    .vgpr_count:     0
    .vgpr_spill_count: 0
    .wavefront_size: 64
  - .agpr_count:     0
    .args:
      - .offset:         0
        .size:           120
        .value_kind:     by_value
    .group_segment_fixed_size: 0
    .kernarg_segment_align: 8
    .kernarg_segment_size: 120
    .language:       OpenCL C
    .language_version:
      - 2
      - 0
    .max_flat_workgroup_size: 256
    .name:           _ZN7rocprim17ROCPRIM_400000_NS6detail17trampoline_kernelINS0_14default_configENS1_29reduce_by_key_config_selectorIjjN6thrust23THRUST_200600_302600_NS4plusIjEEEEZZNS1_33reduce_by_key_impl_wrapped_configILNS1_25lookback_scan_determinismE0ES3_S9_NS6_6detail15normal_iteratorINS6_10device_ptrIjEEEESG_SG_SG_PmS8_NS6_8equal_toIjEEEE10hipError_tPvRmT2_T3_mT4_T5_T6_T7_T8_P12ihipStream_tbENKUlT_T0_E_clISt17integral_constantIbLb0EES10_IbLb1EEEEDaSW_SX_EUlSW_E_NS1_11comp_targetILNS1_3genE10ELNS1_11target_archE1200ELNS1_3gpuE4ELNS1_3repE0EEENS1_30default_config_static_selectorELNS0_4arch9wavefront6targetE1EEEvT1_
    .private_segment_fixed_size: 0
    .sgpr_count:     4
    .sgpr_spill_count: 0
    .symbol:         _ZN7rocprim17ROCPRIM_400000_NS6detail17trampoline_kernelINS0_14default_configENS1_29reduce_by_key_config_selectorIjjN6thrust23THRUST_200600_302600_NS4plusIjEEEEZZNS1_33reduce_by_key_impl_wrapped_configILNS1_25lookback_scan_determinismE0ES3_S9_NS6_6detail15normal_iteratorINS6_10device_ptrIjEEEESG_SG_SG_PmS8_NS6_8equal_toIjEEEE10hipError_tPvRmT2_T3_mT4_T5_T6_T7_T8_P12ihipStream_tbENKUlT_T0_E_clISt17integral_constantIbLb0EES10_IbLb1EEEEDaSW_SX_EUlSW_E_NS1_11comp_targetILNS1_3genE10ELNS1_11target_archE1200ELNS1_3gpuE4ELNS1_3repE0EEENS1_30default_config_static_selectorELNS0_4arch9wavefront6targetE1EEEvT1_.kd
    .uniform_work_group_size: 1
    .uses_dynamic_stack: false
    .vgpr_count:     0
    .vgpr_spill_count: 0
    .wavefront_size: 64
  - .agpr_count:     0
    .args:
      - .offset:         0
        .size:           120
        .value_kind:     by_value
    .group_segment_fixed_size: 0
    .kernarg_segment_align: 8
    .kernarg_segment_size: 120
    .language:       OpenCL C
    .language_version:
      - 2
      - 0
    .max_flat_workgroup_size: 256
    .name:           _ZN7rocprim17ROCPRIM_400000_NS6detail17trampoline_kernelINS0_14default_configENS1_29reduce_by_key_config_selectorIjjN6thrust23THRUST_200600_302600_NS4plusIjEEEEZZNS1_33reduce_by_key_impl_wrapped_configILNS1_25lookback_scan_determinismE0ES3_S9_NS6_6detail15normal_iteratorINS6_10device_ptrIjEEEESG_SG_SG_PmS8_NS6_8equal_toIjEEEE10hipError_tPvRmT2_T3_mT4_T5_T6_T7_T8_P12ihipStream_tbENKUlT_T0_E_clISt17integral_constantIbLb0EES10_IbLb1EEEEDaSW_SX_EUlSW_E_NS1_11comp_targetILNS1_3genE9ELNS1_11target_archE1100ELNS1_3gpuE3ELNS1_3repE0EEENS1_30default_config_static_selectorELNS0_4arch9wavefront6targetE1EEEvT1_
    .private_segment_fixed_size: 0
    .sgpr_count:     4
    .sgpr_spill_count: 0
    .symbol:         _ZN7rocprim17ROCPRIM_400000_NS6detail17trampoline_kernelINS0_14default_configENS1_29reduce_by_key_config_selectorIjjN6thrust23THRUST_200600_302600_NS4plusIjEEEEZZNS1_33reduce_by_key_impl_wrapped_configILNS1_25lookback_scan_determinismE0ES3_S9_NS6_6detail15normal_iteratorINS6_10device_ptrIjEEEESG_SG_SG_PmS8_NS6_8equal_toIjEEEE10hipError_tPvRmT2_T3_mT4_T5_T6_T7_T8_P12ihipStream_tbENKUlT_T0_E_clISt17integral_constantIbLb0EES10_IbLb1EEEEDaSW_SX_EUlSW_E_NS1_11comp_targetILNS1_3genE9ELNS1_11target_archE1100ELNS1_3gpuE3ELNS1_3repE0EEENS1_30default_config_static_selectorELNS0_4arch9wavefront6targetE1EEEvT1_.kd
    .uniform_work_group_size: 1
    .uses_dynamic_stack: false
    .vgpr_count:     0
    .vgpr_spill_count: 0
    .wavefront_size: 64
  - .agpr_count:     0
    .args:
      - .offset:         0
        .size:           120
        .value_kind:     by_value
    .group_segment_fixed_size: 0
    .kernarg_segment_align: 8
    .kernarg_segment_size: 120
    .language:       OpenCL C
    .language_version:
      - 2
      - 0
    .max_flat_workgroup_size: 256
    .name:           _ZN7rocprim17ROCPRIM_400000_NS6detail17trampoline_kernelINS0_14default_configENS1_29reduce_by_key_config_selectorIjjN6thrust23THRUST_200600_302600_NS4plusIjEEEEZZNS1_33reduce_by_key_impl_wrapped_configILNS1_25lookback_scan_determinismE0ES3_S9_NS6_6detail15normal_iteratorINS6_10device_ptrIjEEEESG_SG_SG_PmS8_NS6_8equal_toIjEEEE10hipError_tPvRmT2_T3_mT4_T5_T6_T7_T8_P12ihipStream_tbENKUlT_T0_E_clISt17integral_constantIbLb0EES10_IbLb1EEEEDaSW_SX_EUlSW_E_NS1_11comp_targetILNS1_3genE8ELNS1_11target_archE1030ELNS1_3gpuE2ELNS1_3repE0EEENS1_30default_config_static_selectorELNS0_4arch9wavefront6targetE1EEEvT1_
    .private_segment_fixed_size: 0
    .sgpr_count:     4
    .sgpr_spill_count: 0
    .symbol:         _ZN7rocprim17ROCPRIM_400000_NS6detail17trampoline_kernelINS0_14default_configENS1_29reduce_by_key_config_selectorIjjN6thrust23THRUST_200600_302600_NS4plusIjEEEEZZNS1_33reduce_by_key_impl_wrapped_configILNS1_25lookback_scan_determinismE0ES3_S9_NS6_6detail15normal_iteratorINS6_10device_ptrIjEEEESG_SG_SG_PmS8_NS6_8equal_toIjEEEE10hipError_tPvRmT2_T3_mT4_T5_T6_T7_T8_P12ihipStream_tbENKUlT_T0_E_clISt17integral_constantIbLb0EES10_IbLb1EEEEDaSW_SX_EUlSW_E_NS1_11comp_targetILNS1_3genE8ELNS1_11target_archE1030ELNS1_3gpuE2ELNS1_3repE0EEENS1_30default_config_static_selectorELNS0_4arch9wavefront6targetE1EEEvT1_.kd
    .uniform_work_group_size: 1
    .uses_dynamic_stack: false
    .vgpr_count:     0
    .vgpr_spill_count: 0
    .wavefront_size: 64
  - .agpr_count:     0
    .args:
      - .offset:         0
        .size:           120
        .value_kind:     by_value
    .group_segment_fixed_size: 0
    .kernarg_segment_align: 8
    .kernarg_segment_size: 120
    .language:       OpenCL C
    .language_version:
      - 2
      - 0
    .max_flat_workgroup_size: 256
    .name:           _ZN7rocprim17ROCPRIM_400000_NS6detail17trampoline_kernelINS0_14default_configENS1_29reduce_by_key_config_selectorIjjN6thrust23THRUST_200600_302600_NS4plusIjEEEEZZNS1_33reduce_by_key_impl_wrapped_configILNS1_25lookback_scan_determinismE0ES3_S9_NS6_6detail15normal_iteratorINS6_10device_ptrIjEEEESG_SG_SG_PmS8_22is_equal_div_10_reduceIjEEE10hipError_tPvRmT2_T3_mT4_T5_T6_T7_T8_P12ihipStream_tbENKUlT_T0_E_clISt17integral_constantIbLb0EES11_EEDaSW_SX_EUlSW_E_NS1_11comp_targetILNS1_3genE0ELNS1_11target_archE4294967295ELNS1_3gpuE0ELNS1_3repE0EEENS1_30default_config_static_selectorELNS0_4arch9wavefront6targetE1EEEvT1_
    .private_segment_fixed_size: 0
    .sgpr_count:     4
    .sgpr_spill_count: 0
    .symbol:         _ZN7rocprim17ROCPRIM_400000_NS6detail17trampoline_kernelINS0_14default_configENS1_29reduce_by_key_config_selectorIjjN6thrust23THRUST_200600_302600_NS4plusIjEEEEZZNS1_33reduce_by_key_impl_wrapped_configILNS1_25lookback_scan_determinismE0ES3_S9_NS6_6detail15normal_iteratorINS6_10device_ptrIjEEEESG_SG_SG_PmS8_22is_equal_div_10_reduceIjEEE10hipError_tPvRmT2_T3_mT4_T5_T6_T7_T8_P12ihipStream_tbENKUlT_T0_E_clISt17integral_constantIbLb0EES11_EEDaSW_SX_EUlSW_E_NS1_11comp_targetILNS1_3genE0ELNS1_11target_archE4294967295ELNS1_3gpuE0ELNS1_3repE0EEENS1_30default_config_static_selectorELNS0_4arch9wavefront6targetE1EEEvT1_.kd
    .uniform_work_group_size: 1
    .uses_dynamic_stack: false
    .vgpr_count:     0
    .vgpr_spill_count: 0
    .wavefront_size: 64
  - .agpr_count:     0
    .args:
      - .offset:         0
        .size:           120
        .value_kind:     by_value
    .group_segment_fixed_size: 0
    .kernarg_segment_align: 8
    .kernarg_segment_size: 120
    .language:       OpenCL C
    .language_version:
      - 2
      - 0
    .max_flat_workgroup_size: 256
    .name:           _ZN7rocprim17ROCPRIM_400000_NS6detail17trampoline_kernelINS0_14default_configENS1_29reduce_by_key_config_selectorIjjN6thrust23THRUST_200600_302600_NS4plusIjEEEEZZNS1_33reduce_by_key_impl_wrapped_configILNS1_25lookback_scan_determinismE0ES3_S9_NS6_6detail15normal_iteratorINS6_10device_ptrIjEEEESG_SG_SG_PmS8_22is_equal_div_10_reduceIjEEE10hipError_tPvRmT2_T3_mT4_T5_T6_T7_T8_P12ihipStream_tbENKUlT_T0_E_clISt17integral_constantIbLb0EES11_EEDaSW_SX_EUlSW_E_NS1_11comp_targetILNS1_3genE5ELNS1_11target_archE942ELNS1_3gpuE9ELNS1_3repE0EEENS1_30default_config_static_selectorELNS0_4arch9wavefront6targetE1EEEvT1_
    .private_segment_fixed_size: 0
    .sgpr_count:     4
    .sgpr_spill_count: 0
    .symbol:         _ZN7rocprim17ROCPRIM_400000_NS6detail17trampoline_kernelINS0_14default_configENS1_29reduce_by_key_config_selectorIjjN6thrust23THRUST_200600_302600_NS4plusIjEEEEZZNS1_33reduce_by_key_impl_wrapped_configILNS1_25lookback_scan_determinismE0ES3_S9_NS6_6detail15normal_iteratorINS6_10device_ptrIjEEEESG_SG_SG_PmS8_22is_equal_div_10_reduceIjEEE10hipError_tPvRmT2_T3_mT4_T5_T6_T7_T8_P12ihipStream_tbENKUlT_T0_E_clISt17integral_constantIbLb0EES11_EEDaSW_SX_EUlSW_E_NS1_11comp_targetILNS1_3genE5ELNS1_11target_archE942ELNS1_3gpuE9ELNS1_3repE0EEENS1_30default_config_static_selectorELNS0_4arch9wavefront6targetE1EEEvT1_.kd
    .uniform_work_group_size: 1
    .uses_dynamic_stack: false
    .vgpr_count:     0
    .vgpr_spill_count: 0
    .wavefront_size: 64
  - .agpr_count:     0
    .args:
      - .offset:         0
        .size:           120
        .value_kind:     by_value
    .group_segment_fixed_size: 15360
    .kernarg_segment_align: 8
    .kernarg_segment_size: 120
    .language:       OpenCL C
    .language_version:
      - 2
      - 0
    .max_flat_workgroup_size: 256
    .name:           _ZN7rocprim17ROCPRIM_400000_NS6detail17trampoline_kernelINS0_14default_configENS1_29reduce_by_key_config_selectorIjjN6thrust23THRUST_200600_302600_NS4plusIjEEEEZZNS1_33reduce_by_key_impl_wrapped_configILNS1_25lookback_scan_determinismE0ES3_S9_NS6_6detail15normal_iteratorINS6_10device_ptrIjEEEESG_SG_SG_PmS8_22is_equal_div_10_reduceIjEEE10hipError_tPvRmT2_T3_mT4_T5_T6_T7_T8_P12ihipStream_tbENKUlT_T0_E_clISt17integral_constantIbLb0EES11_EEDaSW_SX_EUlSW_E_NS1_11comp_targetILNS1_3genE4ELNS1_11target_archE910ELNS1_3gpuE8ELNS1_3repE0EEENS1_30default_config_static_selectorELNS0_4arch9wavefront6targetE1EEEvT1_
    .private_segment_fixed_size: 0
    .sgpr_count:     68
    .sgpr_spill_count: 0
    .symbol:         _ZN7rocprim17ROCPRIM_400000_NS6detail17trampoline_kernelINS0_14default_configENS1_29reduce_by_key_config_selectorIjjN6thrust23THRUST_200600_302600_NS4plusIjEEEEZZNS1_33reduce_by_key_impl_wrapped_configILNS1_25lookback_scan_determinismE0ES3_S9_NS6_6detail15normal_iteratorINS6_10device_ptrIjEEEESG_SG_SG_PmS8_22is_equal_div_10_reduceIjEEE10hipError_tPvRmT2_T3_mT4_T5_T6_T7_T8_P12ihipStream_tbENKUlT_T0_E_clISt17integral_constantIbLb0EES11_EEDaSW_SX_EUlSW_E_NS1_11comp_targetILNS1_3genE4ELNS1_11target_archE910ELNS1_3gpuE8ELNS1_3repE0EEENS1_30default_config_static_selectorELNS0_4arch9wavefront6targetE1EEEvT1_.kd
    .uniform_work_group_size: 1
    .uses_dynamic_stack: false
    .vgpr_count:     106
    .vgpr_spill_count: 0
    .wavefront_size: 64
  - .agpr_count:     0
    .args:
      - .offset:         0
        .size:           120
        .value_kind:     by_value
    .group_segment_fixed_size: 0
    .kernarg_segment_align: 8
    .kernarg_segment_size: 120
    .language:       OpenCL C
    .language_version:
      - 2
      - 0
    .max_flat_workgroup_size: 256
    .name:           _ZN7rocprim17ROCPRIM_400000_NS6detail17trampoline_kernelINS0_14default_configENS1_29reduce_by_key_config_selectorIjjN6thrust23THRUST_200600_302600_NS4plusIjEEEEZZNS1_33reduce_by_key_impl_wrapped_configILNS1_25lookback_scan_determinismE0ES3_S9_NS6_6detail15normal_iteratorINS6_10device_ptrIjEEEESG_SG_SG_PmS8_22is_equal_div_10_reduceIjEEE10hipError_tPvRmT2_T3_mT4_T5_T6_T7_T8_P12ihipStream_tbENKUlT_T0_E_clISt17integral_constantIbLb0EES11_EEDaSW_SX_EUlSW_E_NS1_11comp_targetILNS1_3genE3ELNS1_11target_archE908ELNS1_3gpuE7ELNS1_3repE0EEENS1_30default_config_static_selectorELNS0_4arch9wavefront6targetE1EEEvT1_
    .private_segment_fixed_size: 0
    .sgpr_count:     4
    .sgpr_spill_count: 0
    .symbol:         _ZN7rocprim17ROCPRIM_400000_NS6detail17trampoline_kernelINS0_14default_configENS1_29reduce_by_key_config_selectorIjjN6thrust23THRUST_200600_302600_NS4plusIjEEEEZZNS1_33reduce_by_key_impl_wrapped_configILNS1_25lookback_scan_determinismE0ES3_S9_NS6_6detail15normal_iteratorINS6_10device_ptrIjEEEESG_SG_SG_PmS8_22is_equal_div_10_reduceIjEEE10hipError_tPvRmT2_T3_mT4_T5_T6_T7_T8_P12ihipStream_tbENKUlT_T0_E_clISt17integral_constantIbLb0EES11_EEDaSW_SX_EUlSW_E_NS1_11comp_targetILNS1_3genE3ELNS1_11target_archE908ELNS1_3gpuE7ELNS1_3repE0EEENS1_30default_config_static_selectorELNS0_4arch9wavefront6targetE1EEEvT1_.kd
    .uniform_work_group_size: 1
    .uses_dynamic_stack: false
    .vgpr_count:     0
    .vgpr_spill_count: 0
    .wavefront_size: 64
  - .agpr_count:     0
    .args:
      - .offset:         0
        .size:           120
        .value_kind:     by_value
    .group_segment_fixed_size: 0
    .kernarg_segment_align: 8
    .kernarg_segment_size: 120
    .language:       OpenCL C
    .language_version:
      - 2
      - 0
    .max_flat_workgroup_size: 256
    .name:           _ZN7rocprim17ROCPRIM_400000_NS6detail17trampoline_kernelINS0_14default_configENS1_29reduce_by_key_config_selectorIjjN6thrust23THRUST_200600_302600_NS4plusIjEEEEZZNS1_33reduce_by_key_impl_wrapped_configILNS1_25lookback_scan_determinismE0ES3_S9_NS6_6detail15normal_iteratorINS6_10device_ptrIjEEEESG_SG_SG_PmS8_22is_equal_div_10_reduceIjEEE10hipError_tPvRmT2_T3_mT4_T5_T6_T7_T8_P12ihipStream_tbENKUlT_T0_E_clISt17integral_constantIbLb0EES11_EEDaSW_SX_EUlSW_E_NS1_11comp_targetILNS1_3genE2ELNS1_11target_archE906ELNS1_3gpuE6ELNS1_3repE0EEENS1_30default_config_static_selectorELNS0_4arch9wavefront6targetE1EEEvT1_
    .private_segment_fixed_size: 0
    .sgpr_count:     4
    .sgpr_spill_count: 0
    .symbol:         _ZN7rocprim17ROCPRIM_400000_NS6detail17trampoline_kernelINS0_14default_configENS1_29reduce_by_key_config_selectorIjjN6thrust23THRUST_200600_302600_NS4plusIjEEEEZZNS1_33reduce_by_key_impl_wrapped_configILNS1_25lookback_scan_determinismE0ES3_S9_NS6_6detail15normal_iteratorINS6_10device_ptrIjEEEESG_SG_SG_PmS8_22is_equal_div_10_reduceIjEEE10hipError_tPvRmT2_T3_mT4_T5_T6_T7_T8_P12ihipStream_tbENKUlT_T0_E_clISt17integral_constantIbLb0EES11_EEDaSW_SX_EUlSW_E_NS1_11comp_targetILNS1_3genE2ELNS1_11target_archE906ELNS1_3gpuE6ELNS1_3repE0EEENS1_30default_config_static_selectorELNS0_4arch9wavefront6targetE1EEEvT1_.kd
    .uniform_work_group_size: 1
    .uses_dynamic_stack: false
    .vgpr_count:     0
    .vgpr_spill_count: 0
    .wavefront_size: 64
  - .agpr_count:     0
    .args:
      - .offset:         0
        .size:           120
        .value_kind:     by_value
    .group_segment_fixed_size: 0
    .kernarg_segment_align: 8
    .kernarg_segment_size: 120
    .language:       OpenCL C
    .language_version:
      - 2
      - 0
    .max_flat_workgroup_size: 256
    .name:           _ZN7rocprim17ROCPRIM_400000_NS6detail17trampoline_kernelINS0_14default_configENS1_29reduce_by_key_config_selectorIjjN6thrust23THRUST_200600_302600_NS4plusIjEEEEZZNS1_33reduce_by_key_impl_wrapped_configILNS1_25lookback_scan_determinismE0ES3_S9_NS6_6detail15normal_iteratorINS6_10device_ptrIjEEEESG_SG_SG_PmS8_22is_equal_div_10_reduceIjEEE10hipError_tPvRmT2_T3_mT4_T5_T6_T7_T8_P12ihipStream_tbENKUlT_T0_E_clISt17integral_constantIbLb0EES11_EEDaSW_SX_EUlSW_E_NS1_11comp_targetILNS1_3genE10ELNS1_11target_archE1201ELNS1_3gpuE5ELNS1_3repE0EEENS1_30default_config_static_selectorELNS0_4arch9wavefront6targetE1EEEvT1_
    .private_segment_fixed_size: 0
    .sgpr_count:     4
    .sgpr_spill_count: 0
    .symbol:         _ZN7rocprim17ROCPRIM_400000_NS6detail17trampoline_kernelINS0_14default_configENS1_29reduce_by_key_config_selectorIjjN6thrust23THRUST_200600_302600_NS4plusIjEEEEZZNS1_33reduce_by_key_impl_wrapped_configILNS1_25lookback_scan_determinismE0ES3_S9_NS6_6detail15normal_iteratorINS6_10device_ptrIjEEEESG_SG_SG_PmS8_22is_equal_div_10_reduceIjEEE10hipError_tPvRmT2_T3_mT4_T5_T6_T7_T8_P12ihipStream_tbENKUlT_T0_E_clISt17integral_constantIbLb0EES11_EEDaSW_SX_EUlSW_E_NS1_11comp_targetILNS1_3genE10ELNS1_11target_archE1201ELNS1_3gpuE5ELNS1_3repE0EEENS1_30default_config_static_selectorELNS0_4arch9wavefront6targetE1EEEvT1_.kd
    .uniform_work_group_size: 1
    .uses_dynamic_stack: false
    .vgpr_count:     0
    .vgpr_spill_count: 0
    .wavefront_size: 64
  - .agpr_count:     0
    .args:
      - .offset:         0
        .size:           120
        .value_kind:     by_value
    .group_segment_fixed_size: 0
    .kernarg_segment_align: 8
    .kernarg_segment_size: 120
    .language:       OpenCL C
    .language_version:
      - 2
      - 0
    .max_flat_workgroup_size: 256
    .name:           _ZN7rocprim17ROCPRIM_400000_NS6detail17trampoline_kernelINS0_14default_configENS1_29reduce_by_key_config_selectorIjjN6thrust23THRUST_200600_302600_NS4plusIjEEEEZZNS1_33reduce_by_key_impl_wrapped_configILNS1_25lookback_scan_determinismE0ES3_S9_NS6_6detail15normal_iteratorINS6_10device_ptrIjEEEESG_SG_SG_PmS8_22is_equal_div_10_reduceIjEEE10hipError_tPvRmT2_T3_mT4_T5_T6_T7_T8_P12ihipStream_tbENKUlT_T0_E_clISt17integral_constantIbLb0EES11_EEDaSW_SX_EUlSW_E_NS1_11comp_targetILNS1_3genE10ELNS1_11target_archE1200ELNS1_3gpuE4ELNS1_3repE0EEENS1_30default_config_static_selectorELNS0_4arch9wavefront6targetE1EEEvT1_
    .private_segment_fixed_size: 0
    .sgpr_count:     4
    .sgpr_spill_count: 0
    .symbol:         _ZN7rocprim17ROCPRIM_400000_NS6detail17trampoline_kernelINS0_14default_configENS1_29reduce_by_key_config_selectorIjjN6thrust23THRUST_200600_302600_NS4plusIjEEEEZZNS1_33reduce_by_key_impl_wrapped_configILNS1_25lookback_scan_determinismE0ES3_S9_NS6_6detail15normal_iteratorINS6_10device_ptrIjEEEESG_SG_SG_PmS8_22is_equal_div_10_reduceIjEEE10hipError_tPvRmT2_T3_mT4_T5_T6_T7_T8_P12ihipStream_tbENKUlT_T0_E_clISt17integral_constantIbLb0EES11_EEDaSW_SX_EUlSW_E_NS1_11comp_targetILNS1_3genE10ELNS1_11target_archE1200ELNS1_3gpuE4ELNS1_3repE0EEENS1_30default_config_static_selectorELNS0_4arch9wavefront6targetE1EEEvT1_.kd
    .uniform_work_group_size: 1
    .uses_dynamic_stack: false
    .vgpr_count:     0
    .vgpr_spill_count: 0
    .wavefront_size: 64
  - .agpr_count:     0
    .args:
      - .offset:         0
        .size:           120
        .value_kind:     by_value
    .group_segment_fixed_size: 0
    .kernarg_segment_align: 8
    .kernarg_segment_size: 120
    .language:       OpenCL C
    .language_version:
      - 2
      - 0
    .max_flat_workgroup_size: 256
    .name:           _ZN7rocprim17ROCPRIM_400000_NS6detail17trampoline_kernelINS0_14default_configENS1_29reduce_by_key_config_selectorIjjN6thrust23THRUST_200600_302600_NS4plusIjEEEEZZNS1_33reduce_by_key_impl_wrapped_configILNS1_25lookback_scan_determinismE0ES3_S9_NS6_6detail15normal_iteratorINS6_10device_ptrIjEEEESG_SG_SG_PmS8_22is_equal_div_10_reduceIjEEE10hipError_tPvRmT2_T3_mT4_T5_T6_T7_T8_P12ihipStream_tbENKUlT_T0_E_clISt17integral_constantIbLb0EES11_EEDaSW_SX_EUlSW_E_NS1_11comp_targetILNS1_3genE9ELNS1_11target_archE1100ELNS1_3gpuE3ELNS1_3repE0EEENS1_30default_config_static_selectorELNS0_4arch9wavefront6targetE1EEEvT1_
    .private_segment_fixed_size: 0
    .sgpr_count:     4
    .sgpr_spill_count: 0
    .symbol:         _ZN7rocprim17ROCPRIM_400000_NS6detail17trampoline_kernelINS0_14default_configENS1_29reduce_by_key_config_selectorIjjN6thrust23THRUST_200600_302600_NS4plusIjEEEEZZNS1_33reduce_by_key_impl_wrapped_configILNS1_25lookback_scan_determinismE0ES3_S9_NS6_6detail15normal_iteratorINS6_10device_ptrIjEEEESG_SG_SG_PmS8_22is_equal_div_10_reduceIjEEE10hipError_tPvRmT2_T3_mT4_T5_T6_T7_T8_P12ihipStream_tbENKUlT_T0_E_clISt17integral_constantIbLb0EES11_EEDaSW_SX_EUlSW_E_NS1_11comp_targetILNS1_3genE9ELNS1_11target_archE1100ELNS1_3gpuE3ELNS1_3repE0EEENS1_30default_config_static_selectorELNS0_4arch9wavefront6targetE1EEEvT1_.kd
    .uniform_work_group_size: 1
    .uses_dynamic_stack: false
    .vgpr_count:     0
    .vgpr_spill_count: 0
    .wavefront_size: 64
  - .agpr_count:     0
    .args:
      - .offset:         0
        .size:           120
        .value_kind:     by_value
    .group_segment_fixed_size: 0
    .kernarg_segment_align: 8
    .kernarg_segment_size: 120
    .language:       OpenCL C
    .language_version:
      - 2
      - 0
    .max_flat_workgroup_size: 256
    .name:           _ZN7rocprim17ROCPRIM_400000_NS6detail17trampoline_kernelINS0_14default_configENS1_29reduce_by_key_config_selectorIjjN6thrust23THRUST_200600_302600_NS4plusIjEEEEZZNS1_33reduce_by_key_impl_wrapped_configILNS1_25lookback_scan_determinismE0ES3_S9_NS6_6detail15normal_iteratorINS6_10device_ptrIjEEEESG_SG_SG_PmS8_22is_equal_div_10_reduceIjEEE10hipError_tPvRmT2_T3_mT4_T5_T6_T7_T8_P12ihipStream_tbENKUlT_T0_E_clISt17integral_constantIbLb0EES11_EEDaSW_SX_EUlSW_E_NS1_11comp_targetILNS1_3genE8ELNS1_11target_archE1030ELNS1_3gpuE2ELNS1_3repE0EEENS1_30default_config_static_selectorELNS0_4arch9wavefront6targetE1EEEvT1_
    .private_segment_fixed_size: 0
    .sgpr_count:     4
    .sgpr_spill_count: 0
    .symbol:         _ZN7rocprim17ROCPRIM_400000_NS6detail17trampoline_kernelINS0_14default_configENS1_29reduce_by_key_config_selectorIjjN6thrust23THRUST_200600_302600_NS4plusIjEEEEZZNS1_33reduce_by_key_impl_wrapped_configILNS1_25lookback_scan_determinismE0ES3_S9_NS6_6detail15normal_iteratorINS6_10device_ptrIjEEEESG_SG_SG_PmS8_22is_equal_div_10_reduceIjEEE10hipError_tPvRmT2_T3_mT4_T5_T6_T7_T8_P12ihipStream_tbENKUlT_T0_E_clISt17integral_constantIbLb0EES11_EEDaSW_SX_EUlSW_E_NS1_11comp_targetILNS1_3genE8ELNS1_11target_archE1030ELNS1_3gpuE2ELNS1_3repE0EEENS1_30default_config_static_selectorELNS0_4arch9wavefront6targetE1EEEvT1_.kd
    .uniform_work_group_size: 1
    .uses_dynamic_stack: false
    .vgpr_count:     0
    .vgpr_spill_count: 0
    .wavefront_size: 64
  - .agpr_count:     0
    .args:
      - .offset:         0
        .size:           120
        .value_kind:     by_value
    .group_segment_fixed_size: 0
    .kernarg_segment_align: 8
    .kernarg_segment_size: 120
    .language:       OpenCL C
    .language_version:
      - 2
      - 0
    .max_flat_workgroup_size: 256
    .name:           _ZN7rocprim17ROCPRIM_400000_NS6detail17trampoline_kernelINS0_14default_configENS1_29reduce_by_key_config_selectorIjjN6thrust23THRUST_200600_302600_NS4plusIjEEEEZZNS1_33reduce_by_key_impl_wrapped_configILNS1_25lookback_scan_determinismE0ES3_S9_NS6_6detail15normal_iteratorINS6_10device_ptrIjEEEESG_SG_SG_PmS8_22is_equal_div_10_reduceIjEEE10hipError_tPvRmT2_T3_mT4_T5_T6_T7_T8_P12ihipStream_tbENKUlT_T0_E_clISt17integral_constantIbLb1EES11_EEDaSW_SX_EUlSW_E_NS1_11comp_targetILNS1_3genE0ELNS1_11target_archE4294967295ELNS1_3gpuE0ELNS1_3repE0EEENS1_30default_config_static_selectorELNS0_4arch9wavefront6targetE1EEEvT1_
    .private_segment_fixed_size: 0
    .sgpr_count:     4
    .sgpr_spill_count: 0
    .symbol:         _ZN7rocprim17ROCPRIM_400000_NS6detail17trampoline_kernelINS0_14default_configENS1_29reduce_by_key_config_selectorIjjN6thrust23THRUST_200600_302600_NS4plusIjEEEEZZNS1_33reduce_by_key_impl_wrapped_configILNS1_25lookback_scan_determinismE0ES3_S9_NS6_6detail15normal_iteratorINS6_10device_ptrIjEEEESG_SG_SG_PmS8_22is_equal_div_10_reduceIjEEE10hipError_tPvRmT2_T3_mT4_T5_T6_T7_T8_P12ihipStream_tbENKUlT_T0_E_clISt17integral_constantIbLb1EES11_EEDaSW_SX_EUlSW_E_NS1_11comp_targetILNS1_3genE0ELNS1_11target_archE4294967295ELNS1_3gpuE0ELNS1_3repE0EEENS1_30default_config_static_selectorELNS0_4arch9wavefront6targetE1EEEvT1_.kd
    .uniform_work_group_size: 1
    .uses_dynamic_stack: false
    .vgpr_count:     0
    .vgpr_spill_count: 0
    .wavefront_size: 64
  - .agpr_count:     0
    .args:
      - .offset:         0
        .size:           120
        .value_kind:     by_value
    .group_segment_fixed_size: 0
    .kernarg_segment_align: 8
    .kernarg_segment_size: 120
    .language:       OpenCL C
    .language_version:
      - 2
      - 0
    .max_flat_workgroup_size: 256
    .name:           _ZN7rocprim17ROCPRIM_400000_NS6detail17trampoline_kernelINS0_14default_configENS1_29reduce_by_key_config_selectorIjjN6thrust23THRUST_200600_302600_NS4plusIjEEEEZZNS1_33reduce_by_key_impl_wrapped_configILNS1_25lookback_scan_determinismE0ES3_S9_NS6_6detail15normal_iteratorINS6_10device_ptrIjEEEESG_SG_SG_PmS8_22is_equal_div_10_reduceIjEEE10hipError_tPvRmT2_T3_mT4_T5_T6_T7_T8_P12ihipStream_tbENKUlT_T0_E_clISt17integral_constantIbLb1EES11_EEDaSW_SX_EUlSW_E_NS1_11comp_targetILNS1_3genE5ELNS1_11target_archE942ELNS1_3gpuE9ELNS1_3repE0EEENS1_30default_config_static_selectorELNS0_4arch9wavefront6targetE1EEEvT1_
    .private_segment_fixed_size: 0
    .sgpr_count:     4
    .sgpr_spill_count: 0
    .symbol:         _ZN7rocprim17ROCPRIM_400000_NS6detail17trampoline_kernelINS0_14default_configENS1_29reduce_by_key_config_selectorIjjN6thrust23THRUST_200600_302600_NS4plusIjEEEEZZNS1_33reduce_by_key_impl_wrapped_configILNS1_25lookback_scan_determinismE0ES3_S9_NS6_6detail15normal_iteratorINS6_10device_ptrIjEEEESG_SG_SG_PmS8_22is_equal_div_10_reduceIjEEE10hipError_tPvRmT2_T3_mT4_T5_T6_T7_T8_P12ihipStream_tbENKUlT_T0_E_clISt17integral_constantIbLb1EES11_EEDaSW_SX_EUlSW_E_NS1_11comp_targetILNS1_3genE5ELNS1_11target_archE942ELNS1_3gpuE9ELNS1_3repE0EEENS1_30default_config_static_selectorELNS0_4arch9wavefront6targetE1EEEvT1_.kd
    .uniform_work_group_size: 1
    .uses_dynamic_stack: false
    .vgpr_count:     0
    .vgpr_spill_count: 0
    .wavefront_size: 64
  - .agpr_count:     0
    .args:
      - .offset:         0
        .size:           120
        .value_kind:     by_value
    .group_segment_fixed_size: 15360
    .kernarg_segment_align: 8
    .kernarg_segment_size: 120
    .language:       OpenCL C
    .language_version:
      - 2
      - 0
    .max_flat_workgroup_size: 256
    .name:           _ZN7rocprim17ROCPRIM_400000_NS6detail17trampoline_kernelINS0_14default_configENS1_29reduce_by_key_config_selectorIjjN6thrust23THRUST_200600_302600_NS4plusIjEEEEZZNS1_33reduce_by_key_impl_wrapped_configILNS1_25lookback_scan_determinismE0ES3_S9_NS6_6detail15normal_iteratorINS6_10device_ptrIjEEEESG_SG_SG_PmS8_22is_equal_div_10_reduceIjEEE10hipError_tPvRmT2_T3_mT4_T5_T6_T7_T8_P12ihipStream_tbENKUlT_T0_E_clISt17integral_constantIbLb1EES11_EEDaSW_SX_EUlSW_E_NS1_11comp_targetILNS1_3genE4ELNS1_11target_archE910ELNS1_3gpuE8ELNS1_3repE0EEENS1_30default_config_static_selectorELNS0_4arch9wavefront6targetE1EEEvT1_
    .private_segment_fixed_size: 0
    .sgpr_count:     70
    .sgpr_spill_count: 0
    .symbol:         _ZN7rocprim17ROCPRIM_400000_NS6detail17trampoline_kernelINS0_14default_configENS1_29reduce_by_key_config_selectorIjjN6thrust23THRUST_200600_302600_NS4plusIjEEEEZZNS1_33reduce_by_key_impl_wrapped_configILNS1_25lookback_scan_determinismE0ES3_S9_NS6_6detail15normal_iteratorINS6_10device_ptrIjEEEESG_SG_SG_PmS8_22is_equal_div_10_reduceIjEEE10hipError_tPvRmT2_T3_mT4_T5_T6_T7_T8_P12ihipStream_tbENKUlT_T0_E_clISt17integral_constantIbLb1EES11_EEDaSW_SX_EUlSW_E_NS1_11comp_targetILNS1_3genE4ELNS1_11target_archE910ELNS1_3gpuE8ELNS1_3repE0EEENS1_30default_config_static_selectorELNS0_4arch9wavefront6targetE1EEEvT1_.kd
    .uniform_work_group_size: 1
    .uses_dynamic_stack: false
    .vgpr_count:     108
    .vgpr_spill_count: 0
    .wavefront_size: 64
  - .agpr_count:     0
    .args:
      - .offset:         0
        .size:           120
        .value_kind:     by_value
    .group_segment_fixed_size: 0
    .kernarg_segment_align: 8
    .kernarg_segment_size: 120
    .language:       OpenCL C
    .language_version:
      - 2
      - 0
    .max_flat_workgroup_size: 256
    .name:           _ZN7rocprim17ROCPRIM_400000_NS6detail17trampoline_kernelINS0_14default_configENS1_29reduce_by_key_config_selectorIjjN6thrust23THRUST_200600_302600_NS4plusIjEEEEZZNS1_33reduce_by_key_impl_wrapped_configILNS1_25lookback_scan_determinismE0ES3_S9_NS6_6detail15normal_iteratorINS6_10device_ptrIjEEEESG_SG_SG_PmS8_22is_equal_div_10_reduceIjEEE10hipError_tPvRmT2_T3_mT4_T5_T6_T7_T8_P12ihipStream_tbENKUlT_T0_E_clISt17integral_constantIbLb1EES11_EEDaSW_SX_EUlSW_E_NS1_11comp_targetILNS1_3genE3ELNS1_11target_archE908ELNS1_3gpuE7ELNS1_3repE0EEENS1_30default_config_static_selectorELNS0_4arch9wavefront6targetE1EEEvT1_
    .private_segment_fixed_size: 0
    .sgpr_count:     4
    .sgpr_spill_count: 0
    .symbol:         _ZN7rocprim17ROCPRIM_400000_NS6detail17trampoline_kernelINS0_14default_configENS1_29reduce_by_key_config_selectorIjjN6thrust23THRUST_200600_302600_NS4plusIjEEEEZZNS1_33reduce_by_key_impl_wrapped_configILNS1_25lookback_scan_determinismE0ES3_S9_NS6_6detail15normal_iteratorINS6_10device_ptrIjEEEESG_SG_SG_PmS8_22is_equal_div_10_reduceIjEEE10hipError_tPvRmT2_T3_mT4_T5_T6_T7_T8_P12ihipStream_tbENKUlT_T0_E_clISt17integral_constantIbLb1EES11_EEDaSW_SX_EUlSW_E_NS1_11comp_targetILNS1_3genE3ELNS1_11target_archE908ELNS1_3gpuE7ELNS1_3repE0EEENS1_30default_config_static_selectorELNS0_4arch9wavefront6targetE1EEEvT1_.kd
    .uniform_work_group_size: 1
    .uses_dynamic_stack: false
    .vgpr_count:     0
    .vgpr_spill_count: 0
    .wavefront_size: 64
  - .agpr_count:     0
    .args:
      - .offset:         0
        .size:           120
        .value_kind:     by_value
    .group_segment_fixed_size: 0
    .kernarg_segment_align: 8
    .kernarg_segment_size: 120
    .language:       OpenCL C
    .language_version:
      - 2
      - 0
    .max_flat_workgroup_size: 256
    .name:           _ZN7rocprim17ROCPRIM_400000_NS6detail17trampoline_kernelINS0_14default_configENS1_29reduce_by_key_config_selectorIjjN6thrust23THRUST_200600_302600_NS4plusIjEEEEZZNS1_33reduce_by_key_impl_wrapped_configILNS1_25lookback_scan_determinismE0ES3_S9_NS6_6detail15normal_iteratorINS6_10device_ptrIjEEEESG_SG_SG_PmS8_22is_equal_div_10_reduceIjEEE10hipError_tPvRmT2_T3_mT4_T5_T6_T7_T8_P12ihipStream_tbENKUlT_T0_E_clISt17integral_constantIbLb1EES11_EEDaSW_SX_EUlSW_E_NS1_11comp_targetILNS1_3genE2ELNS1_11target_archE906ELNS1_3gpuE6ELNS1_3repE0EEENS1_30default_config_static_selectorELNS0_4arch9wavefront6targetE1EEEvT1_
    .private_segment_fixed_size: 0
    .sgpr_count:     4
    .sgpr_spill_count: 0
    .symbol:         _ZN7rocprim17ROCPRIM_400000_NS6detail17trampoline_kernelINS0_14default_configENS1_29reduce_by_key_config_selectorIjjN6thrust23THRUST_200600_302600_NS4plusIjEEEEZZNS1_33reduce_by_key_impl_wrapped_configILNS1_25lookback_scan_determinismE0ES3_S9_NS6_6detail15normal_iteratorINS6_10device_ptrIjEEEESG_SG_SG_PmS8_22is_equal_div_10_reduceIjEEE10hipError_tPvRmT2_T3_mT4_T5_T6_T7_T8_P12ihipStream_tbENKUlT_T0_E_clISt17integral_constantIbLb1EES11_EEDaSW_SX_EUlSW_E_NS1_11comp_targetILNS1_3genE2ELNS1_11target_archE906ELNS1_3gpuE6ELNS1_3repE0EEENS1_30default_config_static_selectorELNS0_4arch9wavefront6targetE1EEEvT1_.kd
    .uniform_work_group_size: 1
    .uses_dynamic_stack: false
    .vgpr_count:     0
    .vgpr_spill_count: 0
    .wavefront_size: 64
  - .agpr_count:     0
    .args:
      - .offset:         0
        .size:           120
        .value_kind:     by_value
    .group_segment_fixed_size: 0
    .kernarg_segment_align: 8
    .kernarg_segment_size: 120
    .language:       OpenCL C
    .language_version:
      - 2
      - 0
    .max_flat_workgroup_size: 256
    .name:           _ZN7rocprim17ROCPRIM_400000_NS6detail17trampoline_kernelINS0_14default_configENS1_29reduce_by_key_config_selectorIjjN6thrust23THRUST_200600_302600_NS4plusIjEEEEZZNS1_33reduce_by_key_impl_wrapped_configILNS1_25lookback_scan_determinismE0ES3_S9_NS6_6detail15normal_iteratorINS6_10device_ptrIjEEEESG_SG_SG_PmS8_22is_equal_div_10_reduceIjEEE10hipError_tPvRmT2_T3_mT4_T5_T6_T7_T8_P12ihipStream_tbENKUlT_T0_E_clISt17integral_constantIbLb1EES11_EEDaSW_SX_EUlSW_E_NS1_11comp_targetILNS1_3genE10ELNS1_11target_archE1201ELNS1_3gpuE5ELNS1_3repE0EEENS1_30default_config_static_selectorELNS0_4arch9wavefront6targetE1EEEvT1_
    .private_segment_fixed_size: 0
    .sgpr_count:     4
    .sgpr_spill_count: 0
    .symbol:         _ZN7rocprim17ROCPRIM_400000_NS6detail17trampoline_kernelINS0_14default_configENS1_29reduce_by_key_config_selectorIjjN6thrust23THRUST_200600_302600_NS4plusIjEEEEZZNS1_33reduce_by_key_impl_wrapped_configILNS1_25lookback_scan_determinismE0ES3_S9_NS6_6detail15normal_iteratorINS6_10device_ptrIjEEEESG_SG_SG_PmS8_22is_equal_div_10_reduceIjEEE10hipError_tPvRmT2_T3_mT4_T5_T6_T7_T8_P12ihipStream_tbENKUlT_T0_E_clISt17integral_constantIbLb1EES11_EEDaSW_SX_EUlSW_E_NS1_11comp_targetILNS1_3genE10ELNS1_11target_archE1201ELNS1_3gpuE5ELNS1_3repE0EEENS1_30default_config_static_selectorELNS0_4arch9wavefront6targetE1EEEvT1_.kd
    .uniform_work_group_size: 1
    .uses_dynamic_stack: false
    .vgpr_count:     0
    .vgpr_spill_count: 0
    .wavefront_size: 64
  - .agpr_count:     0
    .args:
      - .offset:         0
        .size:           120
        .value_kind:     by_value
    .group_segment_fixed_size: 0
    .kernarg_segment_align: 8
    .kernarg_segment_size: 120
    .language:       OpenCL C
    .language_version:
      - 2
      - 0
    .max_flat_workgroup_size: 256
    .name:           _ZN7rocprim17ROCPRIM_400000_NS6detail17trampoline_kernelINS0_14default_configENS1_29reduce_by_key_config_selectorIjjN6thrust23THRUST_200600_302600_NS4plusIjEEEEZZNS1_33reduce_by_key_impl_wrapped_configILNS1_25lookback_scan_determinismE0ES3_S9_NS6_6detail15normal_iteratorINS6_10device_ptrIjEEEESG_SG_SG_PmS8_22is_equal_div_10_reduceIjEEE10hipError_tPvRmT2_T3_mT4_T5_T6_T7_T8_P12ihipStream_tbENKUlT_T0_E_clISt17integral_constantIbLb1EES11_EEDaSW_SX_EUlSW_E_NS1_11comp_targetILNS1_3genE10ELNS1_11target_archE1200ELNS1_3gpuE4ELNS1_3repE0EEENS1_30default_config_static_selectorELNS0_4arch9wavefront6targetE1EEEvT1_
    .private_segment_fixed_size: 0
    .sgpr_count:     4
    .sgpr_spill_count: 0
    .symbol:         _ZN7rocprim17ROCPRIM_400000_NS6detail17trampoline_kernelINS0_14default_configENS1_29reduce_by_key_config_selectorIjjN6thrust23THRUST_200600_302600_NS4plusIjEEEEZZNS1_33reduce_by_key_impl_wrapped_configILNS1_25lookback_scan_determinismE0ES3_S9_NS6_6detail15normal_iteratorINS6_10device_ptrIjEEEESG_SG_SG_PmS8_22is_equal_div_10_reduceIjEEE10hipError_tPvRmT2_T3_mT4_T5_T6_T7_T8_P12ihipStream_tbENKUlT_T0_E_clISt17integral_constantIbLb1EES11_EEDaSW_SX_EUlSW_E_NS1_11comp_targetILNS1_3genE10ELNS1_11target_archE1200ELNS1_3gpuE4ELNS1_3repE0EEENS1_30default_config_static_selectorELNS0_4arch9wavefront6targetE1EEEvT1_.kd
    .uniform_work_group_size: 1
    .uses_dynamic_stack: false
    .vgpr_count:     0
    .vgpr_spill_count: 0
    .wavefront_size: 64
  - .agpr_count:     0
    .args:
      - .offset:         0
        .size:           120
        .value_kind:     by_value
    .group_segment_fixed_size: 0
    .kernarg_segment_align: 8
    .kernarg_segment_size: 120
    .language:       OpenCL C
    .language_version:
      - 2
      - 0
    .max_flat_workgroup_size: 256
    .name:           _ZN7rocprim17ROCPRIM_400000_NS6detail17trampoline_kernelINS0_14default_configENS1_29reduce_by_key_config_selectorIjjN6thrust23THRUST_200600_302600_NS4plusIjEEEEZZNS1_33reduce_by_key_impl_wrapped_configILNS1_25lookback_scan_determinismE0ES3_S9_NS6_6detail15normal_iteratorINS6_10device_ptrIjEEEESG_SG_SG_PmS8_22is_equal_div_10_reduceIjEEE10hipError_tPvRmT2_T3_mT4_T5_T6_T7_T8_P12ihipStream_tbENKUlT_T0_E_clISt17integral_constantIbLb1EES11_EEDaSW_SX_EUlSW_E_NS1_11comp_targetILNS1_3genE9ELNS1_11target_archE1100ELNS1_3gpuE3ELNS1_3repE0EEENS1_30default_config_static_selectorELNS0_4arch9wavefront6targetE1EEEvT1_
    .private_segment_fixed_size: 0
    .sgpr_count:     4
    .sgpr_spill_count: 0
    .symbol:         _ZN7rocprim17ROCPRIM_400000_NS6detail17trampoline_kernelINS0_14default_configENS1_29reduce_by_key_config_selectorIjjN6thrust23THRUST_200600_302600_NS4plusIjEEEEZZNS1_33reduce_by_key_impl_wrapped_configILNS1_25lookback_scan_determinismE0ES3_S9_NS6_6detail15normal_iteratorINS6_10device_ptrIjEEEESG_SG_SG_PmS8_22is_equal_div_10_reduceIjEEE10hipError_tPvRmT2_T3_mT4_T5_T6_T7_T8_P12ihipStream_tbENKUlT_T0_E_clISt17integral_constantIbLb1EES11_EEDaSW_SX_EUlSW_E_NS1_11comp_targetILNS1_3genE9ELNS1_11target_archE1100ELNS1_3gpuE3ELNS1_3repE0EEENS1_30default_config_static_selectorELNS0_4arch9wavefront6targetE1EEEvT1_.kd
    .uniform_work_group_size: 1
    .uses_dynamic_stack: false
    .vgpr_count:     0
    .vgpr_spill_count: 0
    .wavefront_size: 64
  - .agpr_count:     0
    .args:
      - .offset:         0
        .size:           120
        .value_kind:     by_value
    .group_segment_fixed_size: 0
    .kernarg_segment_align: 8
    .kernarg_segment_size: 120
    .language:       OpenCL C
    .language_version:
      - 2
      - 0
    .max_flat_workgroup_size: 256
    .name:           _ZN7rocprim17ROCPRIM_400000_NS6detail17trampoline_kernelINS0_14default_configENS1_29reduce_by_key_config_selectorIjjN6thrust23THRUST_200600_302600_NS4plusIjEEEEZZNS1_33reduce_by_key_impl_wrapped_configILNS1_25lookback_scan_determinismE0ES3_S9_NS6_6detail15normal_iteratorINS6_10device_ptrIjEEEESG_SG_SG_PmS8_22is_equal_div_10_reduceIjEEE10hipError_tPvRmT2_T3_mT4_T5_T6_T7_T8_P12ihipStream_tbENKUlT_T0_E_clISt17integral_constantIbLb1EES11_EEDaSW_SX_EUlSW_E_NS1_11comp_targetILNS1_3genE8ELNS1_11target_archE1030ELNS1_3gpuE2ELNS1_3repE0EEENS1_30default_config_static_selectorELNS0_4arch9wavefront6targetE1EEEvT1_
    .private_segment_fixed_size: 0
    .sgpr_count:     4
    .sgpr_spill_count: 0
    .symbol:         _ZN7rocprim17ROCPRIM_400000_NS6detail17trampoline_kernelINS0_14default_configENS1_29reduce_by_key_config_selectorIjjN6thrust23THRUST_200600_302600_NS4plusIjEEEEZZNS1_33reduce_by_key_impl_wrapped_configILNS1_25lookback_scan_determinismE0ES3_S9_NS6_6detail15normal_iteratorINS6_10device_ptrIjEEEESG_SG_SG_PmS8_22is_equal_div_10_reduceIjEEE10hipError_tPvRmT2_T3_mT4_T5_T6_T7_T8_P12ihipStream_tbENKUlT_T0_E_clISt17integral_constantIbLb1EES11_EEDaSW_SX_EUlSW_E_NS1_11comp_targetILNS1_3genE8ELNS1_11target_archE1030ELNS1_3gpuE2ELNS1_3repE0EEENS1_30default_config_static_selectorELNS0_4arch9wavefront6targetE1EEEvT1_.kd
    .uniform_work_group_size: 1
    .uses_dynamic_stack: false
    .vgpr_count:     0
    .vgpr_spill_count: 0
    .wavefront_size: 64
  - .agpr_count:     0
    .args:
      - .offset:         0
        .size:           120
        .value_kind:     by_value
    .group_segment_fixed_size: 0
    .kernarg_segment_align: 8
    .kernarg_segment_size: 120
    .language:       OpenCL C
    .language_version:
      - 2
      - 0
    .max_flat_workgroup_size: 256
    .name:           _ZN7rocprim17ROCPRIM_400000_NS6detail17trampoline_kernelINS0_14default_configENS1_29reduce_by_key_config_selectorIjjN6thrust23THRUST_200600_302600_NS4plusIjEEEEZZNS1_33reduce_by_key_impl_wrapped_configILNS1_25lookback_scan_determinismE0ES3_S9_NS6_6detail15normal_iteratorINS6_10device_ptrIjEEEESG_SG_SG_PmS8_22is_equal_div_10_reduceIjEEE10hipError_tPvRmT2_T3_mT4_T5_T6_T7_T8_P12ihipStream_tbENKUlT_T0_E_clISt17integral_constantIbLb1EES10_IbLb0EEEEDaSW_SX_EUlSW_E_NS1_11comp_targetILNS1_3genE0ELNS1_11target_archE4294967295ELNS1_3gpuE0ELNS1_3repE0EEENS1_30default_config_static_selectorELNS0_4arch9wavefront6targetE1EEEvT1_
    .private_segment_fixed_size: 0
    .sgpr_count:     4
    .sgpr_spill_count: 0
    .symbol:         _ZN7rocprim17ROCPRIM_400000_NS6detail17trampoline_kernelINS0_14default_configENS1_29reduce_by_key_config_selectorIjjN6thrust23THRUST_200600_302600_NS4plusIjEEEEZZNS1_33reduce_by_key_impl_wrapped_configILNS1_25lookback_scan_determinismE0ES3_S9_NS6_6detail15normal_iteratorINS6_10device_ptrIjEEEESG_SG_SG_PmS8_22is_equal_div_10_reduceIjEEE10hipError_tPvRmT2_T3_mT4_T5_T6_T7_T8_P12ihipStream_tbENKUlT_T0_E_clISt17integral_constantIbLb1EES10_IbLb0EEEEDaSW_SX_EUlSW_E_NS1_11comp_targetILNS1_3genE0ELNS1_11target_archE4294967295ELNS1_3gpuE0ELNS1_3repE0EEENS1_30default_config_static_selectorELNS0_4arch9wavefront6targetE1EEEvT1_.kd
    .uniform_work_group_size: 1
    .uses_dynamic_stack: false
    .vgpr_count:     0
    .vgpr_spill_count: 0
    .wavefront_size: 64
  - .agpr_count:     0
    .args:
      - .offset:         0
        .size:           120
        .value_kind:     by_value
    .group_segment_fixed_size: 0
    .kernarg_segment_align: 8
    .kernarg_segment_size: 120
    .language:       OpenCL C
    .language_version:
      - 2
      - 0
    .max_flat_workgroup_size: 256
    .name:           _ZN7rocprim17ROCPRIM_400000_NS6detail17trampoline_kernelINS0_14default_configENS1_29reduce_by_key_config_selectorIjjN6thrust23THRUST_200600_302600_NS4plusIjEEEEZZNS1_33reduce_by_key_impl_wrapped_configILNS1_25lookback_scan_determinismE0ES3_S9_NS6_6detail15normal_iteratorINS6_10device_ptrIjEEEESG_SG_SG_PmS8_22is_equal_div_10_reduceIjEEE10hipError_tPvRmT2_T3_mT4_T5_T6_T7_T8_P12ihipStream_tbENKUlT_T0_E_clISt17integral_constantIbLb1EES10_IbLb0EEEEDaSW_SX_EUlSW_E_NS1_11comp_targetILNS1_3genE5ELNS1_11target_archE942ELNS1_3gpuE9ELNS1_3repE0EEENS1_30default_config_static_selectorELNS0_4arch9wavefront6targetE1EEEvT1_
    .private_segment_fixed_size: 0
    .sgpr_count:     4
    .sgpr_spill_count: 0
    .symbol:         _ZN7rocprim17ROCPRIM_400000_NS6detail17trampoline_kernelINS0_14default_configENS1_29reduce_by_key_config_selectorIjjN6thrust23THRUST_200600_302600_NS4plusIjEEEEZZNS1_33reduce_by_key_impl_wrapped_configILNS1_25lookback_scan_determinismE0ES3_S9_NS6_6detail15normal_iteratorINS6_10device_ptrIjEEEESG_SG_SG_PmS8_22is_equal_div_10_reduceIjEEE10hipError_tPvRmT2_T3_mT4_T5_T6_T7_T8_P12ihipStream_tbENKUlT_T0_E_clISt17integral_constantIbLb1EES10_IbLb0EEEEDaSW_SX_EUlSW_E_NS1_11comp_targetILNS1_3genE5ELNS1_11target_archE942ELNS1_3gpuE9ELNS1_3repE0EEENS1_30default_config_static_selectorELNS0_4arch9wavefront6targetE1EEEvT1_.kd
    .uniform_work_group_size: 1
    .uses_dynamic_stack: false
    .vgpr_count:     0
    .vgpr_spill_count: 0
    .wavefront_size: 64
  - .agpr_count:     0
    .args:
      - .offset:         0
        .size:           120
        .value_kind:     by_value
    .group_segment_fixed_size: 15360
    .kernarg_segment_align: 8
    .kernarg_segment_size: 120
    .language:       OpenCL C
    .language_version:
      - 2
      - 0
    .max_flat_workgroup_size: 256
    .name:           _ZN7rocprim17ROCPRIM_400000_NS6detail17trampoline_kernelINS0_14default_configENS1_29reduce_by_key_config_selectorIjjN6thrust23THRUST_200600_302600_NS4plusIjEEEEZZNS1_33reduce_by_key_impl_wrapped_configILNS1_25lookback_scan_determinismE0ES3_S9_NS6_6detail15normal_iteratorINS6_10device_ptrIjEEEESG_SG_SG_PmS8_22is_equal_div_10_reduceIjEEE10hipError_tPvRmT2_T3_mT4_T5_T6_T7_T8_P12ihipStream_tbENKUlT_T0_E_clISt17integral_constantIbLb1EES10_IbLb0EEEEDaSW_SX_EUlSW_E_NS1_11comp_targetILNS1_3genE4ELNS1_11target_archE910ELNS1_3gpuE8ELNS1_3repE0EEENS1_30default_config_static_selectorELNS0_4arch9wavefront6targetE1EEEvT1_
    .private_segment_fixed_size: 0
    .sgpr_count:     68
    .sgpr_spill_count: 0
    .symbol:         _ZN7rocprim17ROCPRIM_400000_NS6detail17trampoline_kernelINS0_14default_configENS1_29reduce_by_key_config_selectorIjjN6thrust23THRUST_200600_302600_NS4plusIjEEEEZZNS1_33reduce_by_key_impl_wrapped_configILNS1_25lookback_scan_determinismE0ES3_S9_NS6_6detail15normal_iteratorINS6_10device_ptrIjEEEESG_SG_SG_PmS8_22is_equal_div_10_reduceIjEEE10hipError_tPvRmT2_T3_mT4_T5_T6_T7_T8_P12ihipStream_tbENKUlT_T0_E_clISt17integral_constantIbLb1EES10_IbLb0EEEEDaSW_SX_EUlSW_E_NS1_11comp_targetILNS1_3genE4ELNS1_11target_archE910ELNS1_3gpuE8ELNS1_3repE0EEENS1_30default_config_static_selectorELNS0_4arch9wavefront6targetE1EEEvT1_.kd
    .uniform_work_group_size: 1
    .uses_dynamic_stack: false
    .vgpr_count:     108
    .vgpr_spill_count: 0
    .wavefront_size: 64
  - .agpr_count:     0
    .args:
      - .offset:         0
        .size:           120
        .value_kind:     by_value
    .group_segment_fixed_size: 0
    .kernarg_segment_align: 8
    .kernarg_segment_size: 120
    .language:       OpenCL C
    .language_version:
      - 2
      - 0
    .max_flat_workgroup_size: 256
    .name:           _ZN7rocprim17ROCPRIM_400000_NS6detail17trampoline_kernelINS0_14default_configENS1_29reduce_by_key_config_selectorIjjN6thrust23THRUST_200600_302600_NS4plusIjEEEEZZNS1_33reduce_by_key_impl_wrapped_configILNS1_25lookback_scan_determinismE0ES3_S9_NS6_6detail15normal_iteratorINS6_10device_ptrIjEEEESG_SG_SG_PmS8_22is_equal_div_10_reduceIjEEE10hipError_tPvRmT2_T3_mT4_T5_T6_T7_T8_P12ihipStream_tbENKUlT_T0_E_clISt17integral_constantIbLb1EES10_IbLb0EEEEDaSW_SX_EUlSW_E_NS1_11comp_targetILNS1_3genE3ELNS1_11target_archE908ELNS1_3gpuE7ELNS1_3repE0EEENS1_30default_config_static_selectorELNS0_4arch9wavefront6targetE1EEEvT1_
    .private_segment_fixed_size: 0
    .sgpr_count:     4
    .sgpr_spill_count: 0
    .symbol:         _ZN7rocprim17ROCPRIM_400000_NS6detail17trampoline_kernelINS0_14default_configENS1_29reduce_by_key_config_selectorIjjN6thrust23THRUST_200600_302600_NS4plusIjEEEEZZNS1_33reduce_by_key_impl_wrapped_configILNS1_25lookback_scan_determinismE0ES3_S9_NS6_6detail15normal_iteratorINS6_10device_ptrIjEEEESG_SG_SG_PmS8_22is_equal_div_10_reduceIjEEE10hipError_tPvRmT2_T3_mT4_T5_T6_T7_T8_P12ihipStream_tbENKUlT_T0_E_clISt17integral_constantIbLb1EES10_IbLb0EEEEDaSW_SX_EUlSW_E_NS1_11comp_targetILNS1_3genE3ELNS1_11target_archE908ELNS1_3gpuE7ELNS1_3repE0EEENS1_30default_config_static_selectorELNS0_4arch9wavefront6targetE1EEEvT1_.kd
    .uniform_work_group_size: 1
    .uses_dynamic_stack: false
    .vgpr_count:     0
    .vgpr_spill_count: 0
    .wavefront_size: 64
  - .agpr_count:     0
    .args:
      - .offset:         0
        .size:           120
        .value_kind:     by_value
    .group_segment_fixed_size: 0
    .kernarg_segment_align: 8
    .kernarg_segment_size: 120
    .language:       OpenCL C
    .language_version:
      - 2
      - 0
    .max_flat_workgroup_size: 256
    .name:           _ZN7rocprim17ROCPRIM_400000_NS6detail17trampoline_kernelINS0_14default_configENS1_29reduce_by_key_config_selectorIjjN6thrust23THRUST_200600_302600_NS4plusIjEEEEZZNS1_33reduce_by_key_impl_wrapped_configILNS1_25lookback_scan_determinismE0ES3_S9_NS6_6detail15normal_iteratorINS6_10device_ptrIjEEEESG_SG_SG_PmS8_22is_equal_div_10_reduceIjEEE10hipError_tPvRmT2_T3_mT4_T5_T6_T7_T8_P12ihipStream_tbENKUlT_T0_E_clISt17integral_constantIbLb1EES10_IbLb0EEEEDaSW_SX_EUlSW_E_NS1_11comp_targetILNS1_3genE2ELNS1_11target_archE906ELNS1_3gpuE6ELNS1_3repE0EEENS1_30default_config_static_selectorELNS0_4arch9wavefront6targetE1EEEvT1_
    .private_segment_fixed_size: 0
    .sgpr_count:     4
    .sgpr_spill_count: 0
    .symbol:         _ZN7rocprim17ROCPRIM_400000_NS6detail17trampoline_kernelINS0_14default_configENS1_29reduce_by_key_config_selectorIjjN6thrust23THRUST_200600_302600_NS4plusIjEEEEZZNS1_33reduce_by_key_impl_wrapped_configILNS1_25lookback_scan_determinismE0ES3_S9_NS6_6detail15normal_iteratorINS6_10device_ptrIjEEEESG_SG_SG_PmS8_22is_equal_div_10_reduceIjEEE10hipError_tPvRmT2_T3_mT4_T5_T6_T7_T8_P12ihipStream_tbENKUlT_T0_E_clISt17integral_constantIbLb1EES10_IbLb0EEEEDaSW_SX_EUlSW_E_NS1_11comp_targetILNS1_3genE2ELNS1_11target_archE906ELNS1_3gpuE6ELNS1_3repE0EEENS1_30default_config_static_selectorELNS0_4arch9wavefront6targetE1EEEvT1_.kd
    .uniform_work_group_size: 1
    .uses_dynamic_stack: false
    .vgpr_count:     0
    .vgpr_spill_count: 0
    .wavefront_size: 64
  - .agpr_count:     0
    .args:
      - .offset:         0
        .size:           120
        .value_kind:     by_value
    .group_segment_fixed_size: 0
    .kernarg_segment_align: 8
    .kernarg_segment_size: 120
    .language:       OpenCL C
    .language_version:
      - 2
      - 0
    .max_flat_workgroup_size: 256
    .name:           _ZN7rocprim17ROCPRIM_400000_NS6detail17trampoline_kernelINS0_14default_configENS1_29reduce_by_key_config_selectorIjjN6thrust23THRUST_200600_302600_NS4plusIjEEEEZZNS1_33reduce_by_key_impl_wrapped_configILNS1_25lookback_scan_determinismE0ES3_S9_NS6_6detail15normal_iteratorINS6_10device_ptrIjEEEESG_SG_SG_PmS8_22is_equal_div_10_reduceIjEEE10hipError_tPvRmT2_T3_mT4_T5_T6_T7_T8_P12ihipStream_tbENKUlT_T0_E_clISt17integral_constantIbLb1EES10_IbLb0EEEEDaSW_SX_EUlSW_E_NS1_11comp_targetILNS1_3genE10ELNS1_11target_archE1201ELNS1_3gpuE5ELNS1_3repE0EEENS1_30default_config_static_selectorELNS0_4arch9wavefront6targetE1EEEvT1_
    .private_segment_fixed_size: 0
    .sgpr_count:     4
    .sgpr_spill_count: 0
    .symbol:         _ZN7rocprim17ROCPRIM_400000_NS6detail17trampoline_kernelINS0_14default_configENS1_29reduce_by_key_config_selectorIjjN6thrust23THRUST_200600_302600_NS4plusIjEEEEZZNS1_33reduce_by_key_impl_wrapped_configILNS1_25lookback_scan_determinismE0ES3_S9_NS6_6detail15normal_iteratorINS6_10device_ptrIjEEEESG_SG_SG_PmS8_22is_equal_div_10_reduceIjEEE10hipError_tPvRmT2_T3_mT4_T5_T6_T7_T8_P12ihipStream_tbENKUlT_T0_E_clISt17integral_constantIbLb1EES10_IbLb0EEEEDaSW_SX_EUlSW_E_NS1_11comp_targetILNS1_3genE10ELNS1_11target_archE1201ELNS1_3gpuE5ELNS1_3repE0EEENS1_30default_config_static_selectorELNS0_4arch9wavefront6targetE1EEEvT1_.kd
    .uniform_work_group_size: 1
    .uses_dynamic_stack: false
    .vgpr_count:     0
    .vgpr_spill_count: 0
    .wavefront_size: 64
  - .agpr_count:     0
    .args:
      - .offset:         0
        .size:           120
        .value_kind:     by_value
    .group_segment_fixed_size: 0
    .kernarg_segment_align: 8
    .kernarg_segment_size: 120
    .language:       OpenCL C
    .language_version:
      - 2
      - 0
    .max_flat_workgroup_size: 256
    .name:           _ZN7rocprim17ROCPRIM_400000_NS6detail17trampoline_kernelINS0_14default_configENS1_29reduce_by_key_config_selectorIjjN6thrust23THRUST_200600_302600_NS4plusIjEEEEZZNS1_33reduce_by_key_impl_wrapped_configILNS1_25lookback_scan_determinismE0ES3_S9_NS6_6detail15normal_iteratorINS6_10device_ptrIjEEEESG_SG_SG_PmS8_22is_equal_div_10_reduceIjEEE10hipError_tPvRmT2_T3_mT4_T5_T6_T7_T8_P12ihipStream_tbENKUlT_T0_E_clISt17integral_constantIbLb1EES10_IbLb0EEEEDaSW_SX_EUlSW_E_NS1_11comp_targetILNS1_3genE10ELNS1_11target_archE1200ELNS1_3gpuE4ELNS1_3repE0EEENS1_30default_config_static_selectorELNS0_4arch9wavefront6targetE1EEEvT1_
    .private_segment_fixed_size: 0
    .sgpr_count:     4
    .sgpr_spill_count: 0
    .symbol:         _ZN7rocprim17ROCPRIM_400000_NS6detail17trampoline_kernelINS0_14default_configENS1_29reduce_by_key_config_selectorIjjN6thrust23THRUST_200600_302600_NS4plusIjEEEEZZNS1_33reduce_by_key_impl_wrapped_configILNS1_25lookback_scan_determinismE0ES3_S9_NS6_6detail15normal_iteratorINS6_10device_ptrIjEEEESG_SG_SG_PmS8_22is_equal_div_10_reduceIjEEE10hipError_tPvRmT2_T3_mT4_T5_T6_T7_T8_P12ihipStream_tbENKUlT_T0_E_clISt17integral_constantIbLb1EES10_IbLb0EEEEDaSW_SX_EUlSW_E_NS1_11comp_targetILNS1_3genE10ELNS1_11target_archE1200ELNS1_3gpuE4ELNS1_3repE0EEENS1_30default_config_static_selectorELNS0_4arch9wavefront6targetE1EEEvT1_.kd
    .uniform_work_group_size: 1
    .uses_dynamic_stack: false
    .vgpr_count:     0
    .vgpr_spill_count: 0
    .wavefront_size: 64
  - .agpr_count:     0
    .args:
      - .offset:         0
        .size:           120
        .value_kind:     by_value
    .group_segment_fixed_size: 0
    .kernarg_segment_align: 8
    .kernarg_segment_size: 120
    .language:       OpenCL C
    .language_version:
      - 2
      - 0
    .max_flat_workgroup_size: 256
    .name:           _ZN7rocprim17ROCPRIM_400000_NS6detail17trampoline_kernelINS0_14default_configENS1_29reduce_by_key_config_selectorIjjN6thrust23THRUST_200600_302600_NS4plusIjEEEEZZNS1_33reduce_by_key_impl_wrapped_configILNS1_25lookback_scan_determinismE0ES3_S9_NS6_6detail15normal_iteratorINS6_10device_ptrIjEEEESG_SG_SG_PmS8_22is_equal_div_10_reduceIjEEE10hipError_tPvRmT2_T3_mT4_T5_T6_T7_T8_P12ihipStream_tbENKUlT_T0_E_clISt17integral_constantIbLb1EES10_IbLb0EEEEDaSW_SX_EUlSW_E_NS1_11comp_targetILNS1_3genE9ELNS1_11target_archE1100ELNS1_3gpuE3ELNS1_3repE0EEENS1_30default_config_static_selectorELNS0_4arch9wavefront6targetE1EEEvT1_
    .private_segment_fixed_size: 0
    .sgpr_count:     4
    .sgpr_spill_count: 0
    .symbol:         _ZN7rocprim17ROCPRIM_400000_NS6detail17trampoline_kernelINS0_14default_configENS1_29reduce_by_key_config_selectorIjjN6thrust23THRUST_200600_302600_NS4plusIjEEEEZZNS1_33reduce_by_key_impl_wrapped_configILNS1_25lookback_scan_determinismE0ES3_S9_NS6_6detail15normal_iteratorINS6_10device_ptrIjEEEESG_SG_SG_PmS8_22is_equal_div_10_reduceIjEEE10hipError_tPvRmT2_T3_mT4_T5_T6_T7_T8_P12ihipStream_tbENKUlT_T0_E_clISt17integral_constantIbLb1EES10_IbLb0EEEEDaSW_SX_EUlSW_E_NS1_11comp_targetILNS1_3genE9ELNS1_11target_archE1100ELNS1_3gpuE3ELNS1_3repE0EEENS1_30default_config_static_selectorELNS0_4arch9wavefront6targetE1EEEvT1_.kd
    .uniform_work_group_size: 1
    .uses_dynamic_stack: false
    .vgpr_count:     0
    .vgpr_spill_count: 0
    .wavefront_size: 64
  - .agpr_count:     0
    .args:
      - .offset:         0
        .size:           120
        .value_kind:     by_value
    .group_segment_fixed_size: 0
    .kernarg_segment_align: 8
    .kernarg_segment_size: 120
    .language:       OpenCL C
    .language_version:
      - 2
      - 0
    .max_flat_workgroup_size: 256
    .name:           _ZN7rocprim17ROCPRIM_400000_NS6detail17trampoline_kernelINS0_14default_configENS1_29reduce_by_key_config_selectorIjjN6thrust23THRUST_200600_302600_NS4plusIjEEEEZZNS1_33reduce_by_key_impl_wrapped_configILNS1_25lookback_scan_determinismE0ES3_S9_NS6_6detail15normal_iteratorINS6_10device_ptrIjEEEESG_SG_SG_PmS8_22is_equal_div_10_reduceIjEEE10hipError_tPvRmT2_T3_mT4_T5_T6_T7_T8_P12ihipStream_tbENKUlT_T0_E_clISt17integral_constantIbLb1EES10_IbLb0EEEEDaSW_SX_EUlSW_E_NS1_11comp_targetILNS1_3genE8ELNS1_11target_archE1030ELNS1_3gpuE2ELNS1_3repE0EEENS1_30default_config_static_selectorELNS0_4arch9wavefront6targetE1EEEvT1_
    .private_segment_fixed_size: 0
    .sgpr_count:     4
    .sgpr_spill_count: 0
    .symbol:         _ZN7rocprim17ROCPRIM_400000_NS6detail17trampoline_kernelINS0_14default_configENS1_29reduce_by_key_config_selectorIjjN6thrust23THRUST_200600_302600_NS4plusIjEEEEZZNS1_33reduce_by_key_impl_wrapped_configILNS1_25lookback_scan_determinismE0ES3_S9_NS6_6detail15normal_iteratorINS6_10device_ptrIjEEEESG_SG_SG_PmS8_22is_equal_div_10_reduceIjEEE10hipError_tPvRmT2_T3_mT4_T5_T6_T7_T8_P12ihipStream_tbENKUlT_T0_E_clISt17integral_constantIbLb1EES10_IbLb0EEEEDaSW_SX_EUlSW_E_NS1_11comp_targetILNS1_3genE8ELNS1_11target_archE1030ELNS1_3gpuE2ELNS1_3repE0EEENS1_30default_config_static_selectorELNS0_4arch9wavefront6targetE1EEEvT1_.kd
    .uniform_work_group_size: 1
    .uses_dynamic_stack: false
    .vgpr_count:     0
    .vgpr_spill_count: 0
    .wavefront_size: 64
  - .agpr_count:     0
    .args:
      - .offset:         0
        .size:           120
        .value_kind:     by_value
    .group_segment_fixed_size: 0
    .kernarg_segment_align: 8
    .kernarg_segment_size: 120
    .language:       OpenCL C
    .language_version:
      - 2
      - 0
    .max_flat_workgroup_size: 256
    .name:           _ZN7rocprim17ROCPRIM_400000_NS6detail17trampoline_kernelINS0_14default_configENS1_29reduce_by_key_config_selectorIjjN6thrust23THRUST_200600_302600_NS4plusIjEEEEZZNS1_33reduce_by_key_impl_wrapped_configILNS1_25lookback_scan_determinismE0ES3_S9_NS6_6detail15normal_iteratorINS6_10device_ptrIjEEEESG_SG_SG_PmS8_22is_equal_div_10_reduceIjEEE10hipError_tPvRmT2_T3_mT4_T5_T6_T7_T8_P12ihipStream_tbENKUlT_T0_E_clISt17integral_constantIbLb0EES10_IbLb1EEEEDaSW_SX_EUlSW_E_NS1_11comp_targetILNS1_3genE0ELNS1_11target_archE4294967295ELNS1_3gpuE0ELNS1_3repE0EEENS1_30default_config_static_selectorELNS0_4arch9wavefront6targetE1EEEvT1_
    .private_segment_fixed_size: 0
    .sgpr_count:     4
    .sgpr_spill_count: 0
    .symbol:         _ZN7rocprim17ROCPRIM_400000_NS6detail17trampoline_kernelINS0_14default_configENS1_29reduce_by_key_config_selectorIjjN6thrust23THRUST_200600_302600_NS4plusIjEEEEZZNS1_33reduce_by_key_impl_wrapped_configILNS1_25lookback_scan_determinismE0ES3_S9_NS6_6detail15normal_iteratorINS6_10device_ptrIjEEEESG_SG_SG_PmS8_22is_equal_div_10_reduceIjEEE10hipError_tPvRmT2_T3_mT4_T5_T6_T7_T8_P12ihipStream_tbENKUlT_T0_E_clISt17integral_constantIbLb0EES10_IbLb1EEEEDaSW_SX_EUlSW_E_NS1_11comp_targetILNS1_3genE0ELNS1_11target_archE4294967295ELNS1_3gpuE0ELNS1_3repE0EEENS1_30default_config_static_selectorELNS0_4arch9wavefront6targetE1EEEvT1_.kd
    .uniform_work_group_size: 1
    .uses_dynamic_stack: false
    .vgpr_count:     0
    .vgpr_spill_count: 0
    .wavefront_size: 64
  - .agpr_count:     0
    .args:
      - .offset:         0
        .size:           120
        .value_kind:     by_value
    .group_segment_fixed_size: 0
    .kernarg_segment_align: 8
    .kernarg_segment_size: 120
    .language:       OpenCL C
    .language_version:
      - 2
      - 0
    .max_flat_workgroup_size: 256
    .name:           _ZN7rocprim17ROCPRIM_400000_NS6detail17trampoline_kernelINS0_14default_configENS1_29reduce_by_key_config_selectorIjjN6thrust23THRUST_200600_302600_NS4plusIjEEEEZZNS1_33reduce_by_key_impl_wrapped_configILNS1_25lookback_scan_determinismE0ES3_S9_NS6_6detail15normal_iteratorINS6_10device_ptrIjEEEESG_SG_SG_PmS8_22is_equal_div_10_reduceIjEEE10hipError_tPvRmT2_T3_mT4_T5_T6_T7_T8_P12ihipStream_tbENKUlT_T0_E_clISt17integral_constantIbLb0EES10_IbLb1EEEEDaSW_SX_EUlSW_E_NS1_11comp_targetILNS1_3genE5ELNS1_11target_archE942ELNS1_3gpuE9ELNS1_3repE0EEENS1_30default_config_static_selectorELNS0_4arch9wavefront6targetE1EEEvT1_
    .private_segment_fixed_size: 0
    .sgpr_count:     4
    .sgpr_spill_count: 0
    .symbol:         _ZN7rocprim17ROCPRIM_400000_NS6detail17trampoline_kernelINS0_14default_configENS1_29reduce_by_key_config_selectorIjjN6thrust23THRUST_200600_302600_NS4plusIjEEEEZZNS1_33reduce_by_key_impl_wrapped_configILNS1_25lookback_scan_determinismE0ES3_S9_NS6_6detail15normal_iteratorINS6_10device_ptrIjEEEESG_SG_SG_PmS8_22is_equal_div_10_reduceIjEEE10hipError_tPvRmT2_T3_mT4_T5_T6_T7_T8_P12ihipStream_tbENKUlT_T0_E_clISt17integral_constantIbLb0EES10_IbLb1EEEEDaSW_SX_EUlSW_E_NS1_11comp_targetILNS1_3genE5ELNS1_11target_archE942ELNS1_3gpuE9ELNS1_3repE0EEENS1_30default_config_static_selectorELNS0_4arch9wavefront6targetE1EEEvT1_.kd
    .uniform_work_group_size: 1
    .uses_dynamic_stack: false
    .vgpr_count:     0
    .vgpr_spill_count: 0
    .wavefront_size: 64
  - .agpr_count:     0
    .args:
      - .offset:         0
        .size:           120
        .value_kind:     by_value
    .group_segment_fixed_size: 15360
    .kernarg_segment_align: 8
    .kernarg_segment_size: 120
    .language:       OpenCL C
    .language_version:
      - 2
      - 0
    .max_flat_workgroup_size: 256
    .name:           _ZN7rocprim17ROCPRIM_400000_NS6detail17trampoline_kernelINS0_14default_configENS1_29reduce_by_key_config_selectorIjjN6thrust23THRUST_200600_302600_NS4plusIjEEEEZZNS1_33reduce_by_key_impl_wrapped_configILNS1_25lookback_scan_determinismE0ES3_S9_NS6_6detail15normal_iteratorINS6_10device_ptrIjEEEESG_SG_SG_PmS8_22is_equal_div_10_reduceIjEEE10hipError_tPvRmT2_T3_mT4_T5_T6_T7_T8_P12ihipStream_tbENKUlT_T0_E_clISt17integral_constantIbLb0EES10_IbLb1EEEEDaSW_SX_EUlSW_E_NS1_11comp_targetILNS1_3genE4ELNS1_11target_archE910ELNS1_3gpuE8ELNS1_3repE0EEENS1_30default_config_static_selectorELNS0_4arch9wavefront6targetE1EEEvT1_
    .private_segment_fixed_size: 0
    .sgpr_count:     70
    .sgpr_spill_count: 0
    .symbol:         _ZN7rocprim17ROCPRIM_400000_NS6detail17trampoline_kernelINS0_14default_configENS1_29reduce_by_key_config_selectorIjjN6thrust23THRUST_200600_302600_NS4plusIjEEEEZZNS1_33reduce_by_key_impl_wrapped_configILNS1_25lookback_scan_determinismE0ES3_S9_NS6_6detail15normal_iteratorINS6_10device_ptrIjEEEESG_SG_SG_PmS8_22is_equal_div_10_reduceIjEEE10hipError_tPvRmT2_T3_mT4_T5_T6_T7_T8_P12ihipStream_tbENKUlT_T0_E_clISt17integral_constantIbLb0EES10_IbLb1EEEEDaSW_SX_EUlSW_E_NS1_11comp_targetILNS1_3genE4ELNS1_11target_archE910ELNS1_3gpuE8ELNS1_3repE0EEENS1_30default_config_static_selectorELNS0_4arch9wavefront6targetE1EEEvT1_.kd
    .uniform_work_group_size: 1
    .uses_dynamic_stack: false
    .vgpr_count:     106
    .vgpr_spill_count: 0
    .wavefront_size: 64
  - .agpr_count:     0
    .args:
      - .offset:         0
        .size:           120
        .value_kind:     by_value
    .group_segment_fixed_size: 0
    .kernarg_segment_align: 8
    .kernarg_segment_size: 120
    .language:       OpenCL C
    .language_version:
      - 2
      - 0
    .max_flat_workgroup_size: 256
    .name:           _ZN7rocprim17ROCPRIM_400000_NS6detail17trampoline_kernelINS0_14default_configENS1_29reduce_by_key_config_selectorIjjN6thrust23THRUST_200600_302600_NS4plusIjEEEEZZNS1_33reduce_by_key_impl_wrapped_configILNS1_25lookback_scan_determinismE0ES3_S9_NS6_6detail15normal_iteratorINS6_10device_ptrIjEEEESG_SG_SG_PmS8_22is_equal_div_10_reduceIjEEE10hipError_tPvRmT2_T3_mT4_T5_T6_T7_T8_P12ihipStream_tbENKUlT_T0_E_clISt17integral_constantIbLb0EES10_IbLb1EEEEDaSW_SX_EUlSW_E_NS1_11comp_targetILNS1_3genE3ELNS1_11target_archE908ELNS1_3gpuE7ELNS1_3repE0EEENS1_30default_config_static_selectorELNS0_4arch9wavefront6targetE1EEEvT1_
    .private_segment_fixed_size: 0
    .sgpr_count:     4
    .sgpr_spill_count: 0
    .symbol:         _ZN7rocprim17ROCPRIM_400000_NS6detail17trampoline_kernelINS0_14default_configENS1_29reduce_by_key_config_selectorIjjN6thrust23THRUST_200600_302600_NS4plusIjEEEEZZNS1_33reduce_by_key_impl_wrapped_configILNS1_25lookback_scan_determinismE0ES3_S9_NS6_6detail15normal_iteratorINS6_10device_ptrIjEEEESG_SG_SG_PmS8_22is_equal_div_10_reduceIjEEE10hipError_tPvRmT2_T3_mT4_T5_T6_T7_T8_P12ihipStream_tbENKUlT_T0_E_clISt17integral_constantIbLb0EES10_IbLb1EEEEDaSW_SX_EUlSW_E_NS1_11comp_targetILNS1_3genE3ELNS1_11target_archE908ELNS1_3gpuE7ELNS1_3repE0EEENS1_30default_config_static_selectorELNS0_4arch9wavefront6targetE1EEEvT1_.kd
    .uniform_work_group_size: 1
    .uses_dynamic_stack: false
    .vgpr_count:     0
    .vgpr_spill_count: 0
    .wavefront_size: 64
  - .agpr_count:     0
    .args:
      - .offset:         0
        .size:           120
        .value_kind:     by_value
    .group_segment_fixed_size: 0
    .kernarg_segment_align: 8
    .kernarg_segment_size: 120
    .language:       OpenCL C
    .language_version:
      - 2
      - 0
    .max_flat_workgroup_size: 256
    .name:           _ZN7rocprim17ROCPRIM_400000_NS6detail17trampoline_kernelINS0_14default_configENS1_29reduce_by_key_config_selectorIjjN6thrust23THRUST_200600_302600_NS4plusIjEEEEZZNS1_33reduce_by_key_impl_wrapped_configILNS1_25lookback_scan_determinismE0ES3_S9_NS6_6detail15normal_iteratorINS6_10device_ptrIjEEEESG_SG_SG_PmS8_22is_equal_div_10_reduceIjEEE10hipError_tPvRmT2_T3_mT4_T5_T6_T7_T8_P12ihipStream_tbENKUlT_T0_E_clISt17integral_constantIbLb0EES10_IbLb1EEEEDaSW_SX_EUlSW_E_NS1_11comp_targetILNS1_3genE2ELNS1_11target_archE906ELNS1_3gpuE6ELNS1_3repE0EEENS1_30default_config_static_selectorELNS0_4arch9wavefront6targetE1EEEvT1_
    .private_segment_fixed_size: 0
    .sgpr_count:     4
    .sgpr_spill_count: 0
    .symbol:         _ZN7rocprim17ROCPRIM_400000_NS6detail17trampoline_kernelINS0_14default_configENS1_29reduce_by_key_config_selectorIjjN6thrust23THRUST_200600_302600_NS4plusIjEEEEZZNS1_33reduce_by_key_impl_wrapped_configILNS1_25lookback_scan_determinismE0ES3_S9_NS6_6detail15normal_iteratorINS6_10device_ptrIjEEEESG_SG_SG_PmS8_22is_equal_div_10_reduceIjEEE10hipError_tPvRmT2_T3_mT4_T5_T6_T7_T8_P12ihipStream_tbENKUlT_T0_E_clISt17integral_constantIbLb0EES10_IbLb1EEEEDaSW_SX_EUlSW_E_NS1_11comp_targetILNS1_3genE2ELNS1_11target_archE906ELNS1_3gpuE6ELNS1_3repE0EEENS1_30default_config_static_selectorELNS0_4arch9wavefront6targetE1EEEvT1_.kd
    .uniform_work_group_size: 1
    .uses_dynamic_stack: false
    .vgpr_count:     0
    .vgpr_spill_count: 0
    .wavefront_size: 64
  - .agpr_count:     0
    .args:
      - .offset:         0
        .size:           120
        .value_kind:     by_value
    .group_segment_fixed_size: 0
    .kernarg_segment_align: 8
    .kernarg_segment_size: 120
    .language:       OpenCL C
    .language_version:
      - 2
      - 0
    .max_flat_workgroup_size: 256
    .name:           _ZN7rocprim17ROCPRIM_400000_NS6detail17trampoline_kernelINS0_14default_configENS1_29reduce_by_key_config_selectorIjjN6thrust23THRUST_200600_302600_NS4plusIjEEEEZZNS1_33reduce_by_key_impl_wrapped_configILNS1_25lookback_scan_determinismE0ES3_S9_NS6_6detail15normal_iteratorINS6_10device_ptrIjEEEESG_SG_SG_PmS8_22is_equal_div_10_reduceIjEEE10hipError_tPvRmT2_T3_mT4_T5_T6_T7_T8_P12ihipStream_tbENKUlT_T0_E_clISt17integral_constantIbLb0EES10_IbLb1EEEEDaSW_SX_EUlSW_E_NS1_11comp_targetILNS1_3genE10ELNS1_11target_archE1201ELNS1_3gpuE5ELNS1_3repE0EEENS1_30default_config_static_selectorELNS0_4arch9wavefront6targetE1EEEvT1_
    .private_segment_fixed_size: 0
    .sgpr_count:     4
    .sgpr_spill_count: 0
    .symbol:         _ZN7rocprim17ROCPRIM_400000_NS6detail17trampoline_kernelINS0_14default_configENS1_29reduce_by_key_config_selectorIjjN6thrust23THRUST_200600_302600_NS4plusIjEEEEZZNS1_33reduce_by_key_impl_wrapped_configILNS1_25lookback_scan_determinismE0ES3_S9_NS6_6detail15normal_iteratorINS6_10device_ptrIjEEEESG_SG_SG_PmS8_22is_equal_div_10_reduceIjEEE10hipError_tPvRmT2_T3_mT4_T5_T6_T7_T8_P12ihipStream_tbENKUlT_T0_E_clISt17integral_constantIbLb0EES10_IbLb1EEEEDaSW_SX_EUlSW_E_NS1_11comp_targetILNS1_3genE10ELNS1_11target_archE1201ELNS1_3gpuE5ELNS1_3repE0EEENS1_30default_config_static_selectorELNS0_4arch9wavefront6targetE1EEEvT1_.kd
    .uniform_work_group_size: 1
    .uses_dynamic_stack: false
    .vgpr_count:     0
    .vgpr_spill_count: 0
    .wavefront_size: 64
  - .agpr_count:     0
    .args:
      - .offset:         0
        .size:           120
        .value_kind:     by_value
    .group_segment_fixed_size: 0
    .kernarg_segment_align: 8
    .kernarg_segment_size: 120
    .language:       OpenCL C
    .language_version:
      - 2
      - 0
    .max_flat_workgroup_size: 256
    .name:           _ZN7rocprim17ROCPRIM_400000_NS6detail17trampoline_kernelINS0_14default_configENS1_29reduce_by_key_config_selectorIjjN6thrust23THRUST_200600_302600_NS4plusIjEEEEZZNS1_33reduce_by_key_impl_wrapped_configILNS1_25lookback_scan_determinismE0ES3_S9_NS6_6detail15normal_iteratorINS6_10device_ptrIjEEEESG_SG_SG_PmS8_22is_equal_div_10_reduceIjEEE10hipError_tPvRmT2_T3_mT4_T5_T6_T7_T8_P12ihipStream_tbENKUlT_T0_E_clISt17integral_constantIbLb0EES10_IbLb1EEEEDaSW_SX_EUlSW_E_NS1_11comp_targetILNS1_3genE10ELNS1_11target_archE1200ELNS1_3gpuE4ELNS1_3repE0EEENS1_30default_config_static_selectorELNS0_4arch9wavefront6targetE1EEEvT1_
    .private_segment_fixed_size: 0
    .sgpr_count:     4
    .sgpr_spill_count: 0
    .symbol:         _ZN7rocprim17ROCPRIM_400000_NS6detail17trampoline_kernelINS0_14default_configENS1_29reduce_by_key_config_selectorIjjN6thrust23THRUST_200600_302600_NS4plusIjEEEEZZNS1_33reduce_by_key_impl_wrapped_configILNS1_25lookback_scan_determinismE0ES3_S9_NS6_6detail15normal_iteratorINS6_10device_ptrIjEEEESG_SG_SG_PmS8_22is_equal_div_10_reduceIjEEE10hipError_tPvRmT2_T3_mT4_T5_T6_T7_T8_P12ihipStream_tbENKUlT_T0_E_clISt17integral_constantIbLb0EES10_IbLb1EEEEDaSW_SX_EUlSW_E_NS1_11comp_targetILNS1_3genE10ELNS1_11target_archE1200ELNS1_3gpuE4ELNS1_3repE0EEENS1_30default_config_static_selectorELNS0_4arch9wavefront6targetE1EEEvT1_.kd
    .uniform_work_group_size: 1
    .uses_dynamic_stack: false
    .vgpr_count:     0
    .vgpr_spill_count: 0
    .wavefront_size: 64
  - .agpr_count:     0
    .args:
      - .offset:         0
        .size:           120
        .value_kind:     by_value
    .group_segment_fixed_size: 0
    .kernarg_segment_align: 8
    .kernarg_segment_size: 120
    .language:       OpenCL C
    .language_version:
      - 2
      - 0
    .max_flat_workgroup_size: 256
    .name:           _ZN7rocprim17ROCPRIM_400000_NS6detail17trampoline_kernelINS0_14default_configENS1_29reduce_by_key_config_selectorIjjN6thrust23THRUST_200600_302600_NS4plusIjEEEEZZNS1_33reduce_by_key_impl_wrapped_configILNS1_25lookback_scan_determinismE0ES3_S9_NS6_6detail15normal_iteratorINS6_10device_ptrIjEEEESG_SG_SG_PmS8_22is_equal_div_10_reduceIjEEE10hipError_tPvRmT2_T3_mT4_T5_T6_T7_T8_P12ihipStream_tbENKUlT_T0_E_clISt17integral_constantIbLb0EES10_IbLb1EEEEDaSW_SX_EUlSW_E_NS1_11comp_targetILNS1_3genE9ELNS1_11target_archE1100ELNS1_3gpuE3ELNS1_3repE0EEENS1_30default_config_static_selectorELNS0_4arch9wavefront6targetE1EEEvT1_
    .private_segment_fixed_size: 0
    .sgpr_count:     4
    .sgpr_spill_count: 0
    .symbol:         _ZN7rocprim17ROCPRIM_400000_NS6detail17trampoline_kernelINS0_14default_configENS1_29reduce_by_key_config_selectorIjjN6thrust23THRUST_200600_302600_NS4plusIjEEEEZZNS1_33reduce_by_key_impl_wrapped_configILNS1_25lookback_scan_determinismE0ES3_S9_NS6_6detail15normal_iteratorINS6_10device_ptrIjEEEESG_SG_SG_PmS8_22is_equal_div_10_reduceIjEEE10hipError_tPvRmT2_T3_mT4_T5_T6_T7_T8_P12ihipStream_tbENKUlT_T0_E_clISt17integral_constantIbLb0EES10_IbLb1EEEEDaSW_SX_EUlSW_E_NS1_11comp_targetILNS1_3genE9ELNS1_11target_archE1100ELNS1_3gpuE3ELNS1_3repE0EEENS1_30default_config_static_selectorELNS0_4arch9wavefront6targetE1EEEvT1_.kd
    .uniform_work_group_size: 1
    .uses_dynamic_stack: false
    .vgpr_count:     0
    .vgpr_spill_count: 0
    .wavefront_size: 64
  - .agpr_count:     0
    .args:
      - .offset:         0
        .size:           120
        .value_kind:     by_value
    .group_segment_fixed_size: 0
    .kernarg_segment_align: 8
    .kernarg_segment_size: 120
    .language:       OpenCL C
    .language_version:
      - 2
      - 0
    .max_flat_workgroup_size: 256
    .name:           _ZN7rocprim17ROCPRIM_400000_NS6detail17trampoline_kernelINS0_14default_configENS1_29reduce_by_key_config_selectorIjjN6thrust23THRUST_200600_302600_NS4plusIjEEEEZZNS1_33reduce_by_key_impl_wrapped_configILNS1_25lookback_scan_determinismE0ES3_S9_NS6_6detail15normal_iteratorINS6_10device_ptrIjEEEESG_SG_SG_PmS8_22is_equal_div_10_reduceIjEEE10hipError_tPvRmT2_T3_mT4_T5_T6_T7_T8_P12ihipStream_tbENKUlT_T0_E_clISt17integral_constantIbLb0EES10_IbLb1EEEEDaSW_SX_EUlSW_E_NS1_11comp_targetILNS1_3genE8ELNS1_11target_archE1030ELNS1_3gpuE2ELNS1_3repE0EEENS1_30default_config_static_selectorELNS0_4arch9wavefront6targetE1EEEvT1_
    .private_segment_fixed_size: 0
    .sgpr_count:     4
    .sgpr_spill_count: 0
    .symbol:         _ZN7rocprim17ROCPRIM_400000_NS6detail17trampoline_kernelINS0_14default_configENS1_29reduce_by_key_config_selectorIjjN6thrust23THRUST_200600_302600_NS4plusIjEEEEZZNS1_33reduce_by_key_impl_wrapped_configILNS1_25lookback_scan_determinismE0ES3_S9_NS6_6detail15normal_iteratorINS6_10device_ptrIjEEEESG_SG_SG_PmS8_22is_equal_div_10_reduceIjEEE10hipError_tPvRmT2_T3_mT4_T5_T6_T7_T8_P12ihipStream_tbENKUlT_T0_E_clISt17integral_constantIbLb0EES10_IbLb1EEEEDaSW_SX_EUlSW_E_NS1_11comp_targetILNS1_3genE8ELNS1_11target_archE1030ELNS1_3gpuE2ELNS1_3repE0EEENS1_30default_config_static_selectorELNS0_4arch9wavefront6targetE1EEEvT1_.kd
    .uniform_work_group_size: 1
    .uses_dynamic_stack: false
    .vgpr_count:     0
    .vgpr_spill_count: 0
    .wavefront_size: 64
  - .agpr_count:     0
    .args:
      - .offset:         0
        .size:           16
        .value_kind:     by_value
      - .offset:         16
        .size:           8
        .value_kind:     by_value
      - .offset:         24
        .size:           8
        .value_kind:     by_value
    .group_segment_fixed_size: 0
    .kernarg_segment_align: 8
    .kernarg_segment_size: 32
    .language:       OpenCL C
    .language_version:
      - 2
      - 0
    .max_flat_workgroup_size: 256
    .name:           _ZN6thrust23THRUST_200600_302600_NS11hip_rocprim14__parallel_for6kernelILj256ENS1_20__uninitialized_fill7functorINS0_10device_ptrItEEtEEmLj1EEEvT0_T1_SA_
    .private_segment_fixed_size: 0
    .sgpr_count:     16
    .sgpr_spill_count: 0
    .symbol:         _ZN6thrust23THRUST_200600_302600_NS11hip_rocprim14__parallel_for6kernelILj256ENS1_20__uninitialized_fill7functorINS0_10device_ptrItEEtEEmLj1EEEvT0_T1_SA_.kd
    .uniform_work_group_size: 1
    .uses_dynamic_stack: false
    .vgpr_count:     4
    .vgpr_spill_count: 0
    .wavefront_size: 64
  - .agpr_count:     0
    .args:
      - .address_space:  global
        .offset:         0
        .size:           8
        .value_kind:     global_buffer
      - .offset:         8
        .size:           4
        .value_kind:     by_value
      - .offset:         12
        .size:           1
        .value_kind:     by_value
      - .offset:         16
        .size:           4
        .value_kind:     by_value
      - .address_space:  global
        .offset:         24
        .size:           8
        .value_kind:     global_buffer
      - .address_space:  global
        .offset:         32
        .size:           8
        .value_kind:     global_buffer
      - .offset:         40
        .size:           1
        .value_kind:     by_value
      - .offset:         48
        .size:           4
        .value_kind:     hidden_block_count_x
      - .offset:         52
        .size:           4
        .value_kind:     hidden_block_count_y
      - .offset:         56
        .size:           4
        .value_kind:     hidden_block_count_z
      - .offset:         60
        .size:           2
        .value_kind:     hidden_group_size_x
      - .offset:         62
        .size:           2
        .value_kind:     hidden_group_size_y
      - .offset:         64
        .size:           2
        .value_kind:     hidden_group_size_z
      - .offset:         66
        .size:           2
        .value_kind:     hidden_remainder_x
      - .offset:         68
        .size:           2
        .value_kind:     hidden_remainder_y
      - .offset:         70
        .size:           2
        .value_kind:     hidden_remainder_z
      - .offset:         88
        .size:           8
        .value_kind:     hidden_global_offset_x
      - .offset:         96
        .size:           8
        .value_kind:     hidden_global_offset_y
      - .offset:         104
        .size:           8
        .value_kind:     hidden_global_offset_z
      - .offset:         112
        .size:           2
        .value_kind:     hidden_grid_dims
    .group_segment_fixed_size: 0
    .kernarg_segment_align: 8
    .kernarg_segment_size: 304
    .language:       OpenCL C
    .language_version:
      - 2
      - 0
    .max_flat_workgroup_size: 256
    .name:           _ZN7rocprim17ROCPRIM_400000_NS6detail25reduce_by_key_init_kernelINS1_19lookback_scan_stateINS0_5tupleIJjtEEELb0ELb1EEEtNS1_16block_id_wrapperIjLb0EEEEEvT_jbjPmPT0_T1_
    .private_segment_fixed_size: 0
    .sgpr_count:     20
    .sgpr_spill_count: 0
    .symbol:         _ZN7rocprim17ROCPRIM_400000_NS6detail25reduce_by_key_init_kernelINS1_19lookback_scan_stateINS0_5tupleIJjtEEELb0ELb1EEEtNS1_16block_id_wrapperIjLb0EEEEEvT_jbjPmPT0_T1_.kd
    .uniform_work_group_size: 1
    .uses_dynamic_stack: false
    .vgpr_count:     10
    .vgpr_spill_count: 0
    .wavefront_size: 64
  - .agpr_count:     0
    .args:
      - .offset:         0
        .size:           120
        .value_kind:     by_value
    .group_segment_fixed_size: 0
    .kernarg_segment_align: 8
    .kernarg_segment_size: 120
    .language:       OpenCL C
    .language_version:
      - 2
      - 0
    .max_flat_workgroup_size: 256
    .name:           _ZN7rocprim17ROCPRIM_400000_NS6detail17trampoline_kernelINS0_14default_configENS1_29reduce_by_key_config_selectorIttN6thrust23THRUST_200600_302600_NS4plusItEEEEZZNS1_33reduce_by_key_impl_wrapped_configILNS1_25lookback_scan_determinismE0ES3_S9_NS6_6detail15normal_iteratorINS6_10device_ptrItEEEESG_SG_SG_PmS8_NS6_8equal_toItEEEE10hipError_tPvRmT2_T3_mT4_T5_T6_T7_T8_P12ihipStream_tbENKUlT_T0_E_clISt17integral_constantIbLb0EES11_EEDaSW_SX_EUlSW_E_NS1_11comp_targetILNS1_3genE0ELNS1_11target_archE4294967295ELNS1_3gpuE0ELNS1_3repE0EEENS1_30default_config_static_selectorELNS0_4arch9wavefront6targetE1EEEvT1_
    .private_segment_fixed_size: 0
    .sgpr_count:     4
    .sgpr_spill_count: 0
    .symbol:         _ZN7rocprim17ROCPRIM_400000_NS6detail17trampoline_kernelINS0_14default_configENS1_29reduce_by_key_config_selectorIttN6thrust23THRUST_200600_302600_NS4plusItEEEEZZNS1_33reduce_by_key_impl_wrapped_configILNS1_25lookback_scan_determinismE0ES3_S9_NS6_6detail15normal_iteratorINS6_10device_ptrItEEEESG_SG_SG_PmS8_NS6_8equal_toItEEEE10hipError_tPvRmT2_T3_mT4_T5_T6_T7_T8_P12ihipStream_tbENKUlT_T0_E_clISt17integral_constantIbLb0EES11_EEDaSW_SX_EUlSW_E_NS1_11comp_targetILNS1_3genE0ELNS1_11target_archE4294967295ELNS1_3gpuE0ELNS1_3repE0EEENS1_30default_config_static_selectorELNS0_4arch9wavefront6targetE1EEEvT1_.kd
    .uniform_work_group_size: 1
    .uses_dynamic_stack: false
    .vgpr_count:     0
    .vgpr_spill_count: 0
    .wavefront_size: 64
  - .agpr_count:     0
    .args:
      - .offset:         0
        .size:           120
        .value_kind:     by_value
    .group_segment_fixed_size: 0
    .kernarg_segment_align: 8
    .kernarg_segment_size: 120
    .language:       OpenCL C
    .language_version:
      - 2
      - 0
    .max_flat_workgroup_size: 256
    .name:           _ZN7rocprim17ROCPRIM_400000_NS6detail17trampoline_kernelINS0_14default_configENS1_29reduce_by_key_config_selectorIttN6thrust23THRUST_200600_302600_NS4plusItEEEEZZNS1_33reduce_by_key_impl_wrapped_configILNS1_25lookback_scan_determinismE0ES3_S9_NS6_6detail15normal_iteratorINS6_10device_ptrItEEEESG_SG_SG_PmS8_NS6_8equal_toItEEEE10hipError_tPvRmT2_T3_mT4_T5_T6_T7_T8_P12ihipStream_tbENKUlT_T0_E_clISt17integral_constantIbLb0EES11_EEDaSW_SX_EUlSW_E_NS1_11comp_targetILNS1_3genE5ELNS1_11target_archE942ELNS1_3gpuE9ELNS1_3repE0EEENS1_30default_config_static_selectorELNS0_4arch9wavefront6targetE1EEEvT1_
    .private_segment_fixed_size: 0
    .sgpr_count:     4
    .sgpr_spill_count: 0
    .symbol:         _ZN7rocprim17ROCPRIM_400000_NS6detail17trampoline_kernelINS0_14default_configENS1_29reduce_by_key_config_selectorIttN6thrust23THRUST_200600_302600_NS4plusItEEEEZZNS1_33reduce_by_key_impl_wrapped_configILNS1_25lookback_scan_determinismE0ES3_S9_NS6_6detail15normal_iteratorINS6_10device_ptrItEEEESG_SG_SG_PmS8_NS6_8equal_toItEEEE10hipError_tPvRmT2_T3_mT4_T5_T6_T7_T8_P12ihipStream_tbENKUlT_T0_E_clISt17integral_constantIbLb0EES11_EEDaSW_SX_EUlSW_E_NS1_11comp_targetILNS1_3genE5ELNS1_11target_archE942ELNS1_3gpuE9ELNS1_3repE0EEENS1_30default_config_static_selectorELNS0_4arch9wavefront6targetE1EEEvT1_.kd
    .uniform_work_group_size: 1
    .uses_dynamic_stack: false
    .vgpr_count:     0
    .vgpr_spill_count: 0
    .wavefront_size: 64
  - .agpr_count:     0
    .args:
      - .offset:         0
        .size:           120
        .value_kind:     by_value
    .group_segment_fixed_size: 7680
    .kernarg_segment_align: 8
    .kernarg_segment_size: 120
    .language:       OpenCL C
    .language_version:
      - 2
      - 0
    .max_flat_workgroup_size: 256
    .name:           _ZN7rocprim17ROCPRIM_400000_NS6detail17trampoline_kernelINS0_14default_configENS1_29reduce_by_key_config_selectorIttN6thrust23THRUST_200600_302600_NS4plusItEEEEZZNS1_33reduce_by_key_impl_wrapped_configILNS1_25lookback_scan_determinismE0ES3_S9_NS6_6detail15normal_iteratorINS6_10device_ptrItEEEESG_SG_SG_PmS8_NS6_8equal_toItEEEE10hipError_tPvRmT2_T3_mT4_T5_T6_T7_T8_P12ihipStream_tbENKUlT_T0_E_clISt17integral_constantIbLb0EES11_EEDaSW_SX_EUlSW_E_NS1_11comp_targetILNS1_3genE4ELNS1_11target_archE910ELNS1_3gpuE8ELNS1_3repE0EEENS1_30default_config_static_selectorELNS0_4arch9wavefront6targetE1EEEvT1_
    .private_segment_fixed_size: 0
    .sgpr_count:     67
    .sgpr_spill_count: 0
    .symbol:         _ZN7rocprim17ROCPRIM_400000_NS6detail17trampoline_kernelINS0_14default_configENS1_29reduce_by_key_config_selectorIttN6thrust23THRUST_200600_302600_NS4plusItEEEEZZNS1_33reduce_by_key_impl_wrapped_configILNS1_25lookback_scan_determinismE0ES3_S9_NS6_6detail15normal_iteratorINS6_10device_ptrItEEEESG_SG_SG_PmS8_NS6_8equal_toItEEEE10hipError_tPvRmT2_T3_mT4_T5_T6_T7_T8_P12ihipStream_tbENKUlT_T0_E_clISt17integral_constantIbLb0EES11_EEDaSW_SX_EUlSW_E_NS1_11comp_targetILNS1_3genE4ELNS1_11target_archE910ELNS1_3gpuE8ELNS1_3repE0EEENS1_30default_config_static_selectorELNS0_4arch9wavefront6targetE1EEEvT1_.kd
    .uniform_work_group_size: 1
    .uses_dynamic_stack: false
    .vgpr_count:     111
    .vgpr_spill_count: 0
    .wavefront_size: 64
  - .agpr_count:     0
    .args:
      - .offset:         0
        .size:           120
        .value_kind:     by_value
    .group_segment_fixed_size: 0
    .kernarg_segment_align: 8
    .kernarg_segment_size: 120
    .language:       OpenCL C
    .language_version:
      - 2
      - 0
    .max_flat_workgroup_size: 256
    .name:           _ZN7rocprim17ROCPRIM_400000_NS6detail17trampoline_kernelINS0_14default_configENS1_29reduce_by_key_config_selectorIttN6thrust23THRUST_200600_302600_NS4plusItEEEEZZNS1_33reduce_by_key_impl_wrapped_configILNS1_25lookback_scan_determinismE0ES3_S9_NS6_6detail15normal_iteratorINS6_10device_ptrItEEEESG_SG_SG_PmS8_NS6_8equal_toItEEEE10hipError_tPvRmT2_T3_mT4_T5_T6_T7_T8_P12ihipStream_tbENKUlT_T0_E_clISt17integral_constantIbLb0EES11_EEDaSW_SX_EUlSW_E_NS1_11comp_targetILNS1_3genE3ELNS1_11target_archE908ELNS1_3gpuE7ELNS1_3repE0EEENS1_30default_config_static_selectorELNS0_4arch9wavefront6targetE1EEEvT1_
    .private_segment_fixed_size: 0
    .sgpr_count:     4
    .sgpr_spill_count: 0
    .symbol:         _ZN7rocprim17ROCPRIM_400000_NS6detail17trampoline_kernelINS0_14default_configENS1_29reduce_by_key_config_selectorIttN6thrust23THRUST_200600_302600_NS4plusItEEEEZZNS1_33reduce_by_key_impl_wrapped_configILNS1_25lookback_scan_determinismE0ES3_S9_NS6_6detail15normal_iteratorINS6_10device_ptrItEEEESG_SG_SG_PmS8_NS6_8equal_toItEEEE10hipError_tPvRmT2_T3_mT4_T5_T6_T7_T8_P12ihipStream_tbENKUlT_T0_E_clISt17integral_constantIbLb0EES11_EEDaSW_SX_EUlSW_E_NS1_11comp_targetILNS1_3genE3ELNS1_11target_archE908ELNS1_3gpuE7ELNS1_3repE0EEENS1_30default_config_static_selectorELNS0_4arch9wavefront6targetE1EEEvT1_.kd
    .uniform_work_group_size: 1
    .uses_dynamic_stack: false
    .vgpr_count:     0
    .vgpr_spill_count: 0
    .wavefront_size: 64
  - .agpr_count:     0
    .args:
      - .offset:         0
        .size:           120
        .value_kind:     by_value
    .group_segment_fixed_size: 0
    .kernarg_segment_align: 8
    .kernarg_segment_size: 120
    .language:       OpenCL C
    .language_version:
      - 2
      - 0
    .max_flat_workgroup_size: 256
    .name:           _ZN7rocprim17ROCPRIM_400000_NS6detail17trampoline_kernelINS0_14default_configENS1_29reduce_by_key_config_selectorIttN6thrust23THRUST_200600_302600_NS4plusItEEEEZZNS1_33reduce_by_key_impl_wrapped_configILNS1_25lookback_scan_determinismE0ES3_S9_NS6_6detail15normal_iteratorINS6_10device_ptrItEEEESG_SG_SG_PmS8_NS6_8equal_toItEEEE10hipError_tPvRmT2_T3_mT4_T5_T6_T7_T8_P12ihipStream_tbENKUlT_T0_E_clISt17integral_constantIbLb0EES11_EEDaSW_SX_EUlSW_E_NS1_11comp_targetILNS1_3genE2ELNS1_11target_archE906ELNS1_3gpuE6ELNS1_3repE0EEENS1_30default_config_static_selectorELNS0_4arch9wavefront6targetE1EEEvT1_
    .private_segment_fixed_size: 0
    .sgpr_count:     4
    .sgpr_spill_count: 0
    .symbol:         _ZN7rocprim17ROCPRIM_400000_NS6detail17trampoline_kernelINS0_14default_configENS1_29reduce_by_key_config_selectorIttN6thrust23THRUST_200600_302600_NS4plusItEEEEZZNS1_33reduce_by_key_impl_wrapped_configILNS1_25lookback_scan_determinismE0ES3_S9_NS6_6detail15normal_iteratorINS6_10device_ptrItEEEESG_SG_SG_PmS8_NS6_8equal_toItEEEE10hipError_tPvRmT2_T3_mT4_T5_T6_T7_T8_P12ihipStream_tbENKUlT_T0_E_clISt17integral_constantIbLb0EES11_EEDaSW_SX_EUlSW_E_NS1_11comp_targetILNS1_3genE2ELNS1_11target_archE906ELNS1_3gpuE6ELNS1_3repE0EEENS1_30default_config_static_selectorELNS0_4arch9wavefront6targetE1EEEvT1_.kd
    .uniform_work_group_size: 1
    .uses_dynamic_stack: false
    .vgpr_count:     0
    .vgpr_spill_count: 0
    .wavefront_size: 64
  - .agpr_count:     0
    .args:
      - .offset:         0
        .size:           120
        .value_kind:     by_value
    .group_segment_fixed_size: 0
    .kernarg_segment_align: 8
    .kernarg_segment_size: 120
    .language:       OpenCL C
    .language_version:
      - 2
      - 0
    .max_flat_workgroup_size: 256
    .name:           _ZN7rocprim17ROCPRIM_400000_NS6detail17trampoline_kernelINS0_14default_configENS1_29reduce_by_key_config_selectorIttN6thrust23THRUST_200600_302600_NS4plusItEEEEZZNS1_33reduce_by_key_impl_wrapped_configILNS1_25lookback_scan_determinismE0ES3_S9_NS6_6detail15normal_iteratorINS6_10device_ptrItEEEESG_SG_SG_PmS8_NS6_8equal_toItEEEE10hipError_tPvRmT2_T3_mT4_T5_T6_T7_T8_P12ihipStream_tbENKUlT_T0_E_clISt17integral_constantIbLb0EES11_EEDaSW_SX_EUlSW_E_NS1_11comp_targetILNS1_3genE10ELNS1_11target_archE1201ELNS1_3gpuE5ELNS1_3repE0EEENS1_30default_config_static_selectorELNS0_4arch9wavefront6targetE1EEEvT1_
    .private_segment_fixed_size: 0
    .sgpr_count:     4
    .sgpr_spill_count: 0
    .symbol:         _ZN7rocprim17ROCPRIM_400000_NS6detail17trampoline_kernelINS0_14default_configENS1_29reduce_by_key_config_selectorIttN6thrust23THRUST_200600_302600_NS4plusItEEEEZZNS1_33reduce_by_key_impl_wrapped_configILNS1_25lookback_scan_determinismE0ES3_S9_NS6_6detail15normal_iteratorINS6_10device_ptrItEEEESG_SG_SG_PmS8_NS6_8equal_toItEEEE10hipError_tPvRmT2_T3_mT4_T5_T6_T7_T8_P12ihipStream_tbENKUlT_T0_E_clISt17integral_constantIbLb0EES11_EEDaSW_SX_EUlSW_E_NS1_11comp_targetILNS1_3genE10ELNS1_11target_archE1201ELNS1_3gpuE5ELNS1_3repE0EEENS1_30default_config_static_selectorELNS0_4arch9wavefront6targetE1EEEvT1_.kd
    .uniform_work_group_size: 1
    .uses_dynamic_stack: false
    .vgpr_count:     0
    .vgpr_spill_count: 0
    .wavefront_size: 64
  - .agpr_count:     0
    .args:
      - .offset:         0
        .size:           120
        .value_kind:     by_value
    .group_segment_fixed_size: 0
    .kernarg_segment_align: 8
    .kernarg_segment_size: 120
    .language:       OpenCL C
    .language_version:
      - 2
      - 0
    .max_flat_workgroup_size: 256
    .name:           _ZN7rocprim17ROCPRIM_400000_NS6detail17trampoline_kernelINS0_14default_configENS1_29reduce_by_key_config_selectorIttN6thrust23THRUST_200600_302600_NS4plusItEEEEZZNS1_33reduce_by_key_impl_wrapped_configILNS1_25lookback_scan_determinismE0ES3_S9_NS6_6detail15normal_iteratorINS6_10device_ptrItEEEESG_SG_SG_PmS8_NS6_8equal_toItEEEE10hipError_tPvRmT2_T3_mT4_T5_T6_T7_T8_P12ihipStream_tbENKUlT_T0_E_clISt17integral_constantIbLb0EES11_EEDaSW_SX_EUlSW_E_NS1_11comp_targetILNS1_3genE10ELNS1_11target_archE1200ELNS1_3gpuE4ELNS1_3repE0EEENS1_30default_config_static_selectorELNS0_4arch9wavefront6targetE1EEEvT1_
    .private_segment_fixed_size: 0
    .sgpr_count:     4
    .sgpr_spill_count: 0
    .symbol:         _ZN7rocprim17ROCPRIM_400000_NS6detail17trampoline_kernelINS0_14default_configENS1_29reduce_by_key_config_selectorIttN6thrust23THRUST_200600_302600_NS4plusItEEEEZZNS1_33reduce_by_key_impl_wrapped_configILNS1_25lookback_scan_determinismE0ES3_S9_NS6_6detail15normal_iteratorINS6_10device_ptrItEEEESG_SG_SG_PmS8_NS6_8equal_toItEEEE10hipError_tPvRmT2_T3_mT4_T5_T6_T7_T8_P12ihipStream_tbENKUlT_T0_E_clISt17integral_constantIbLb0EES11_EEDaSW_SX_EUlSW_E_NS1_11comp_targetILNS1_3genE10ELNS1_11target_archE1200ELNS1_3gpuE4ELNS1_3repE0EEENS1_30default_config_static_selectorELNS0_4arch9wavefront6targetE1EEEvT1_.kd
    .uniform_work_group_size: 1
    .uses_dynamic_stack: false
    .vgpr_count:     0
    .vgpr_spill_count: 0
    .wavefront_size: 64
  - .agpr_count:     0
    .args:
      - .offset:         0
        .size:           120
        .value_kind:     by_value
    .group_segment_fixed_size: 0
    .kernarg_segment_align: 8
    .kernarg_segment_size: 120
    .language:       OpenCL C
    .language_version:
      - 2
      - 0
    .max_flat_workgroup_size: 256
    .name:           _ZN7rocprim17ROCPRIM_400000_NS6detail17trampoline_kernelINS0_14default_configENS1_29reduce_by_key_config_selectorIttN6thrust23THRUST_200600_302600_NS4plusItEEEEZZNS1_33reduce_by_key_impl_wrapped_configILNS1_25lookback_scan_determinismE0ES3_S9_NS6_6detail15normal_iteratorINS6_10device_ptrItEEEESG_SG_SG_PmS8_NS6_8equal_toItEEEE10hipError_tPvRmT2_T3_mT4_T5_T6_T7_T8_P12ihipStream_tbENKUlT_T0_E_clISt17integral_constantIbLb0EES11_EEDaSW_SX_EUlSW_E_NS1_11comp_targetILNS1_3genE9ELNS1_11target_archE1100ELNS1_3gpuE3ELNS1_3repE0EEENS1_30default_config_static_selectorELNS0_4arch9wavefront6targetE1EEEvT1_
    .private_segment_fixed_size: 0
    .sgpr_count:     4
    .sgpr_spill_count: 0
    .symbol:         _ZN7rocprim17ROCPRIM_400000_NS6detail17trampoline_kernelINS0_14default_configENS1_29reduce_by_key_config_selectorIttN6thrust23THRUST_200600_302600_NS4plusItEEEEZZNS1_33reduce_by_key_impl_wrapped_configILNS1_25lookback_scan_determinismE0ES3_S9_NS6_6detail15normal_iteratorINS6_10device_ptrItEEEESG_SG_SG_PmS8_NS6_8equal_toItEEEE10hipError_tPvRmT2_T3_mT4_T5_T6_T7_T8_P12ihipStream_tbENKUlT_T0_E_clISt17integral_constantIbLb0EES11_EEDaSW_SX_EUlSW_E_NS1_11comp_targetILNS1_3genE9ELNS1_11target_archE1100ELNS1_3gpuE3ELNS1_3repE0EEENS1_30default_config_static_selectorELNS0_4arch9wavefront6targetE1EEEvT1_.kd
    .uniform_work_group_size: 1
    .uses_dynamic_stack: false
    .vgpr_count:     0
    .vgpr_spill_count: 0
    .wavefront_size: 64
  - .agpr_count:     0
    .args:
      - .offset:         0
        .size:           120
        .value_kind:     by_value
    .group_segment_fixed_size: 0
    .kernarg_segment_align: 8
    .kernarg_segment_size: 120
    .language:       OpenCL C
    .language_version:
      - 2
      - 0
    .max_flat_workgroup_size: 256
    .name:           _ZN7rocprim17ROCPRIM_400000_NS6detail17trampoline_kernelINS0_14default_configENS1_29reduce_by_key_config_selectorIttN6thrust23THRUST_200600_302600_NS4plusItEEEEZZNS1_33reduce_by_key_impl_wrapped_configILNS1_25lookback_scan_determinismE0ES3_S9_NS6_6detail15normal_iteratorINS6_10device_ptrItEEEESG_SG_SG_PmS8_NS6_8equal_toItEEEE10hipError_tPvRmT2_T3_mT4_T5_T6_T7_T8_P12ihipStream_tbENKUlT_T0_E_clISt17integral_constantIbLb0EES11_EEDaSW_SX_EUlSW_E_NS1_11comp_targetILNS1_3genE8ELNS1_11target_archE1030ELNS1_3gpuE2ELNS1_3repE0EEENS1_30default_config_static_selectorELNS0_4arch9wavefront6targetE1EEEvT1_
    .private_segment_fixed_size: 0
    .sgpr_count:     4
    .sgpr_spill_count: 0
    .symbol:         _ZN7rocprim17ROCPRIM_400000_NS6detail17trampoline_kernelINS0_14default_configENS1_29reduce_by_key_config_selectorIttN6thrust23THRUST_200600_302600_NS4plusItEEEEZZNS1_33reduce_by_key_impl_wrapped_configILNS1_25lookback_scan_determinismE0ES3_S9_NS6_6detail15normal_iteratorINS6_10device_ptrItEEEESG_SG_SG_PmS8_NS6_8equal_toItEEEE10hipError_tPvRmT2_T3_mT4_T5_T6_T7_T8_P12ihipStream_tbENKUlT_T0_E_clISt17integral_constantIbLb0EES11_EEDaSW_SX_EUlSW_E_NS1_11comp_targetILNS1_3genE8ELNS1_11target_archE1030ELNS1_3gpuE2ELNS1_3repE0EEENS1_30default_config_static_selectorELNS0_4arch9wavefront6targetE1EEEvT1_.kd
    .uniform_work_group_size: 1
    .uses_dynamic_stack: false
    .vgpr_count:     0
    .vgpr_spill_count: 0
    .wavefront_size: 64
  - .agpr_count:     0
    .args:
      - .address_space:  global
        .offset:         0
        .size:           8
        .value_kind:     global_buffer
      - .offset:         8
        .size:           4
        .value_kind:     by_value
      - .offset:         12
        .size:           1
        .value_kind:     by_value
      - .offset:         16
        .size:           4
        .value_kind:     by_value
      - .address_space:  global
        .offset:         24
        .size:           8
        .value_kind:     global_buffer
      - .address_space:  global
        .offset:         32
        .size:           8
        .value_kind:     global_buffer
      - .address_space:  global
        .offset:         40
        .size:           8
        .value_kind:     global_buffer
      - .offset:         48
        .size:           4
        .value_kind:     hidden_block_count_x
      - .offset:         52
        .size:           4
        .value_kind:     hidden_block_count_y
      - .offset:         56
        .size:           4
        .value_kind:     hidden_block_count_z
      - .offset:         60
        .size:           2
        .value_kind:     hidden_group_size_x
      - .offset:         62
        .size:           2
        .value_kind:     hidden_group_size_y
      - .offset:         64
        .size:           2
        .value_kind:     hidden_group_size_z
      - .offset:         66
        .size:           2
        .value_kind:     hidden_remainder_x
      - .offset:         68
        .size:           2
        .value_kind:     hidden_remainder_y
      - .offset:         70
        .size:           2
        .value_kind:     hidden_remainder_z
      - .offset:         88
        .size:           8
        .value_kind:     hidden_global_offset_x
      - .offset:         96
        .size:           8
        .value_kind:     hidden_global_offset_y
      - .offset:         104
        .size:           8
        .value_kind:     hidden_global_offset_z
      - .offset:         112
        .size:           2
        .value_kind:     hidden_grid_dims
    .group_segment_fixed_size: 0
    .kernarg_segment_align: 8
    .kernarg_segment_size: 304
    .language:       OpenCL C
    .language_version:
      - 2
      - 0
    .max_flat_workgroup_size: 256
    .name:           _ZN7rocprim17ROCPRIM_400000_NS6detail25reduce_by_key_init_kernelINS1_19lookback_scan_stateINS0_5tupleIJjtEEELb1ELb1EEEtNS1_16block_id_wrapperIjLb1EEEEEvT_jbjPmPT0_T1_
    .private_segment_fixed_size: 0
    .sgpr_count:     22
    .sgpr_spill_count: 0
    .symbol:         _ZN7rocprim17ROCPRIM_400000_NS6detail25reduce_by_key_init_kernelINS1_19lookback_scan_stateINS0_5tupleIJjtEEELb1ELb1EEEtNS1_16block_id_wrapperIjLb1EEEEEvT_jbjPmPT0_T1_.kd
    .uniform_work_group_size: 1
    .uses_dynamic_stack: false
    .vgpr_count:     10
    .vgpr_spill_count: 0
    .wavefront_size: 64
  - .agpr_count:     0
    .args:
      - .offset:         0
        .size:           120
        .value_kind:     by_value
    .group_segment_fixed_size: 0
    .kernarg_segment_align: 8
    .kernarg_segment_size: 120
    .language:       OpenCL C
    .language_version:
      - 2
      - 0
    .max_flat_workgroup_size: 256
    .name:           _ZN7rocprim17ROCPRIM_400000_NS6detail17trampoline_kernelINS0_14default_configENS1_29reduce_by_key_config_selectorIttN6thrust23THRUST_200600_302600_NS4plusItEEEEZZNS1_33reduce_by_key_impl_wrapped_configILNS1_25lookback_scan_determinismE0ES3_S9_NS6_6detail15normal_iteratorINS6_10device_ptrItEEEESG_SG_SG_PmS8_NS6_8equal_toItEEEE10hipError_tPvRmT2_T3_mT4_T5_T6_T7_T8_P12ihipStream_tbENKUlT_T0_E_clISt17integral_constantIbLb1EES11_EEDaSW_SX_EUlSW_E_NS1_11comp_targetILNS1_3genE0ELNS1_11target_archE4294967295ELNS1_3gpuE0ELNS1_3repE0EEENS1_30default_config_static_selectorELNS0_4arch9wavefront6targetE1EEEvT1_
    .private_segment_fixed_size: 0
    .sgpr_count:     4
    .sgpr_spill_count: 0
    .symbol:         _ZN7rocprim17ROCPRIM_400000_NS6detail17trampoline_kernelINS0_14default_configENS1_29reduce_by_key_config_selectorIttN6thrust23THRUST_200600_302600_NS4plusItEEEEZZNS1_33reduce_by_key_impl_wrapped_configILNS1_25lookback_scan_determinismE0ES3_S9_NS6_6detail15normal_iteratorINS6_10device_ptrItEEEESG_SG_SG_PmS8_NS6_8equal_toItEEEE10hipError_tPvRmT2_T3_mT4_T5_T6_T7_T8_P12ihipStream_tbENKUlT_T0_E_clISt17integral_constantIbLb1EES11_EEDaSW_SX_EUlSW_E_NS1_11comp_targetILNS1_3genE0ELNS1_11target_archE4294967295ELNS1_3gpuE0ELNS1_3repE0EEENS1_30default_config_static_selectorELNS0_4arch9wavefront6targetE1EEEvT1_.kd
    .uniform_work_group_size: 1
    .uses_dynamic_stack: false
    .vgpr_count:     0
    .vgpr_spill_count: 0
    .wavefront_size: 64
  - .agpr_count:     0
    .args:
      - .offset:         0
        .size:           120
        .value_kind:     by_value
    .group_segment_fixed_size: 0
    .kernarg_segment_align: 8
    .kernarg_segment_size: 120
    .language:       OpenCL C
    .language_version:
      - 2
      - 0
    .max_flat_workgroup_size: 256
    .name:           _ZN7rocprim17ROCPRIM_400000_NS6detail17trampoline_kernelINS0_14default_configENS1_29reduce_by_key_config_selectorIttN6thrust23THRUST_200600_302600_NS4plusItEEEEZZNS1_33reduce_by_key_impl_wrapped_configILNS1_25lookback_scan_determinismE0ES3_S9_NS6_6detail15normal_iteratorINS6_10device_ptrItEEEESG_SG_SG_PmS8_NS6_8equal_toItEEEE10hipError_tPvRmT2_T3_mT4_T5_T6_T7_T8_P12ihipStream_tbENKUlT_T0_E_clISt17integral_constantIbLb1EES11_EEDaSW_SX_EUlSW_E_NS1_11comp_targetILNS1_3genE5ELNS1_11target_archE942ELNS1_3gpuE9ELNS1_3repE0EEENS1_30default_config_static_selectorELNS0_4arch9wavefront6targetE1EEEvT1_
    .private_segment_fixed_size: 0
    .sgpr_count:     4
    .sgpr_spill_count: 0
    .symbol:         _ZN7rocprim17ROCPRIM_400000_NS6detail17trampoline_kernelINS0_14default_configENS1_29reduce_by_key_config_selectorIttN6thrust23THRUST_200600_302600_NS4plusItEEEEZZNS1_33reduce_by_key_impl_wrapped_configILNS1_25lookback_scan_determinismE0ES3_S9_NS6_6detail15normal_iteratorINS6_10device_ptrItEEEESG_SG_SG_PmS8_NS6_8equal_toItEEEE10hipError_tPvRmT2_T3_mT4_T5_T6_T7_T8_P12ihipStream_tbENKUlT_T0_E_clISt17integral_constantIbLb1EES11_EEDaSW_SX_EUlSW_E_NS1_11comp_targetILNS1_3genE5ELNS1_11target_archE942ELNS1_3gpuE9ELNS1_3repE0EEENS1_30default_config_static_selectorELNS0_4arch9wavefront6targetE1EEEvT1_.kd
    .uniform_work_group_size: 1
    .uses_dynamic_stack: false
    .vgpr_count:     0
    .vgpr_spill_count: 0
    .wavefront_size: 64
  - .agpr_count:     0
    .args:
      - .offset:         0
        .size:           120
        .value_kind:     by_value
    .group_segment_fixed_size: 7680
    .kernarg_segment_align: 8
    .kernarg_segment_size: 120
    .language:       OpenCL C
    .language_version:
      - 2
      - 0
    .max_flat_workgroup_size: 256
    .name:           _ZN7rocprim17ROCPRIM_400000_NS6detail17trampoline_kernelINS0_14default_configENS1_29reduce_by_key_config_selectorIttN6thrust23THRUST_200600_302600_NS4plusItEEEEZZNS1_33reduce_by_key_impl_wrapped_configILNS1_25lookback_scan_determinismE0ES3_S9_NS6_6detail15normal_iteratorINS6_10device_ptrItEEEESG_SG_SG_PmS8_NS6_8equal_toItEEEE10hipError_tPvRmT2_T3_mT4_T5_T6_T7_T8_P12ihipStream_tbENKUlT_T0_E_clISt17integral_constantIbLb1EES11_EEDaSW_SX_EUlSW_E_NS1_11comp_targetILNS1_3genE4ELNS1_11target_archE910ELNS1_3gpuE8ELNS1_3repE0EEENS1_30default_config_static_selectorELNS0_4arch9wavefront6targetE1EEEvT1_
    .private_segment_fixed_size: 0
    .sgpr_count:     70
    .sgpr_spill_count: 0
    .symbol:         _ZN7rocprim17ROCPRIM_400000_NS6detail17trampoline_kernelINS0_14default_configENS1_29reduce_by_key_config_selectorIttN6thrust23THRUST_200600_302600_NS4plusItEEEEZZNS1_33reduce_by_key_impl_wrapped_configILNS1_25lookback_scan_determinismE0ES3_S9_NS6_6detail15normal_iteratorINS6_10device_ptrItEEEESG_SG_SG_PmS8_NS6_8equal_toItEEEE10hipError_tPvRmT2_T3_mT4_T5_T6_T7_T8_P12ihipStream_tbENKUlT_T0_E_clISt17integral_constantIbLb1EES11_EEDaSW_SX_EUlSW_E_NS1_11comp_targetILNS1_3genE4ELNS1_11target_archE910ELNS1_3gpuE8ELNS1_3repE0EEENS1_30default_config_static_selectorELNS0_4arch9wavefront6targetE1EEEvT1_.kd
    .uniform_work_group_size: 1
    .uses_dynamic_stack: false
    .vgpr_count:     111
    .vgpr_spill_count: 0
    .wavefront_size: 64
  - .agpr_count:     0
    .args:
      - .offset:         0
        .size:           120
        .value_kind:     by_value
    .group_segment_fixed_size: 0
    .kernarg_segment_align: 8
    .kernarg_segment_size: 120
    .language:       OpenCL C
    .language_version:
      - 2
      - 0
    .max_flat_workgroup_size: 256
    .name:           _ZN7rocprim17ROCPRIM_400000_NS6detail17trampoline_kernelINS0_14default_configENS1_29reduce_by_key_config_selectorIttN6thrust23THRUST_200600_302600_NS4plusItEEEEZZNS1_33reduce_by_key_impl_wrapped_configILNS1_25lookback_scan_determinismE0ES3_S9_NS6_6detail15normal_iteratorINS6_10device_ptrItEEEESG_SG_SG_PmS8_NS6_8equal_toItEEEE10hipError_tPvRmT2_T3_mT4_T5_T6_T7_T8_P12ihipStream_tbENKUlT_T0_E_clISt17integral_constantIbLb1EES11_EEDaSW_SX_EUlSW_E_NS1_11comp_targetILNS1_3genE3ELNS1_11target_archE908ELNS1_3gpuE7ELNS1_3repE0EEENS1_30default_config_static_selectorELNS0_4arch9wavefront6targetE1EEEvT1_
    .private_segment_fixed_size: 0
    .sgpr_count:     4
    .sgpr_spill_count: 0
    .symbol:         _ZN7rocprim17ROCPRIM_400000_NS6detail17trampoline_kernelINS0_14default_configENS1_29reduce_by_key_config_selectorIttN6thrust23THRUST_200600_302600_NS4plusItEEEEZZNS1_33reduce_by_key_impl_wrapped_configILNS1_25lookback_scan_determinismE0ES3_S9_NS6_6detail15normal_iteratorINS6_10device_ptrItEEEESG_SG_SG_PmS8_NS6_8equal_toItEEEE10hipError_tPvRmT2_T3_mT4_T5_T6_T7_T8_P12ihipStream_tbENKUlT_T0_E_clISt17integral_constantIbLb1EES11_EEDaSW_SX_EUlSW_E_NS1_11comp_targetILNS1_3genE3ELNS1_11target_archE908ELNS1_3gpuE7ELNS1_3repE0EEENS1_30default_config_static_selectorELNS0_4arch9wavefront6targetE1EEEvT1_.kd
    .uniform_work_group_size: 1
    .uses_dynamic_stack: false
    .vgpr_count:     0
    .vgpr_spill_count: 0
    .wavefront_size: 64
  - .agpr_count:     0
    .args:
      - .offset:         0
        .size:           120
        .value_kind:     by_value
    .group_segment_fixed_size: 0
    .kernarg_segment_align: 8
    .kernarg_segment_size: 120
    .language:       OpenCL C
    .language_version:
      - 2
      - 0
    .max_flat_workgroup_size: 256
    .name:           _ZN7rocprim17ROCPRIM_400000_NS6detail17trampoline_kernelINS0_14default_configENS1_29reduce_by_key_config_selectorIttN6thrust23THRUST_200600_302600_NS4plusItEEEEZZNS1_33reduce_by_key_impl_wrapped_configILNS1_25lookback_scan_determinismE0ES3_S9_NS6_6detail15normal_iteratorINS6_10device_ptrItEEEESG_SG_SG_PmS8_NS6_8equal_toItEEEE10hipError_tPvRmT2_T3_mT4_T5_T6_T7_T8_P12ihipStream_tbENKUlT_T0_E_clISt17integral_constantIbLb1EES11_EEDaSW_SX_EUlSW_E_NS1_11comp_targetILNS1_3genE2ELNS1_11target_archE906ELNS1_3gpuE6ELNS1_3repE0EEENS1_30default_config_static_selectorELNS0_4arch9wavefront6targetE1EEEvT1_
    .private_segment_fixed_size: 0
    .sgpr_count:     4
    .sgpr_spill_count: 0
    .symbol:         _ZN7rocprim17ROCPRIM_400000_NS6detail17trampoline_kernelINS0_14default_configENS1_29reduce_by_key_config_selectorIttN6thrust23THRUST_200600_302600_NS4plusItEEEEZZNS1_33reduce_by_key_impl_wrapped_configILNS1_25lookback_scan_determinismE0ES3_S9_NS6_6detail15normal_iteratorINS6_10device_ptrItEEEESG_SG_SG_PmS8_NS6_8equal_toItEEEE10hipError_tPvRmT2_T3_mT4_T5_T6_T7_T8_P12ihipStream_tbENKUlT_T0_E_clISt17integral_constantIbLb1EES11_EEDaSW_SX_EUlSW_E_NS1_11comp_targetILNS1_3genE2ELNS1_11target_archE906ELNS1_3gpuE6ELNS1_3repE0EEENS1_30default_config_static_selectorELNS0_4arch9wavefront6targetE1EEEvT1_.kd
    .uniform_work_group_size: 1
    .uses_dynamic_stack: false
    .vgpr_count:     0
    .vgpr_spill_count: 0
    .wavefront_size: 64
  - .agpr_count:     0
    .args:
      - .offset:         0
        .size:           120
        .value_kind:     by_value
    .group_segment_fixed_size: 0
    .kernarg_segment_align: 8
    .kernarg_segment_size: 120
    .language:       OpenCL C
    .language_version:
      - 2
      - 0
    .max_flat_workgroup_size: 256
    .name:           _ZN7rocprim17ROCPRIM_400000_NS6detail17trampoline_kernelINS0_14default_configENS1_29reduce_by_key_config_selectorIttN6thrust23THRUST_200600_302600_NS4plusItEEEEZZNS1_33reduce_by_key_impl_wrapped_configILNS1_25lookback_scan_determinismE0ES3_S9_NS6_6detail15normal_iteratorINS6_10device_ptrItEEEESG_SG_SG_PmS8_NS6_8equal_toItEEEE10hipError_tPvRmT2_T3_mT4_T5_T6_T7_T8_P12ihipStream_tbENKUlT_T0_E_clISt17integral_constantIbLb1EES11_EEDaSW_SX_EUlSW_E_NS1_11comp_targetILNS1_3genE10ELNS1_11target_archE1201ELNS1_3gpuE5ELNS1_3repE0EEENS1_30default_config_static_selectorELNS0_4arch9wavefront6targetE1EEEvT1_
    .private_segment_fixed_size: 0
    .sgpr_count:     4
    .sgpr_spill_count: 0
    .symbol:         _ZN7rocprim17ROCPRIM_400000_NS6detail17trampoline_kernelINS0_14default_configENS1_29reduce_by_key_config_selectorIttN6thrust23THRUST_200600_302600_NS4plusItEEEEZZNS1_33reduce_by_key_impl_wrapped_configILNS1_25lookback_scan_determinismE0ES3_S9_NS6_6detail15normal_iteratorINS6_10device_ptrItEEEESG_SG_SG_PmS8_NS6_8equal_toItEEEE10hipError_tPvRmT2_T3_mT4_T5_T6_T7_T8_P12ihipStream_tbENKUlT_T0_E_clISt17integral_constantIbLb1EES11_EEDaSW_SX_EUlSW_E_NS1_11comp_targetILNS1_3genE10ELNS1_11target_archE1201ELNS1_3gpuE5ELNS1_3repE0EEENS1_30default_config_static_selectorELNS0_4arch9wavefront6targetE1EEEvT1_.kd
    .uniform_work_group_size: 1
    .uses_dynamic_stack: false
    .vgpr_count:     0
    .vgpr_spill_count: 0
    .wavefront_size: 64
  - .agpr_count:     0
    .args:
      - .offset:         0
        .size:           120
        .value_kind:     by_value
    .group_segment_fixed_size: 0
    .kernarg_segment_align: 8
    .kernarg_segment_size: 120
    .language:       OpenCL C
    .language_version:
      - 2
      - 0
    .max_flat_workgroup_size: 256
    .name:           _ZN7rocprim17ROCPRIM_400000_NS6detail17trampoline_kernelINS0_14default_configENS1_29reduce_by_key_config_selectorIttN6thrust23THRUST_200600_302600_NS4plusItEEEEZZNS1_33reduce_by_key_impl_wrapped_configILNS1_25lookback_scan_determinismE0ES3_S9_NS6_6detail15normal_iteratorINS6_10device_ptrItEEEESG_SG_SG_PmS8_NS6_8equal_toItEEEE10hipError_tPvRmT2_T3_mT4_T5_T6_T7_T8_P12ihipStream_tbENKUlT_T0_E_clISt17integral_constantIbLb1EES11_EEDaSW_SX_EUlSW_E_NS1_11comp_targetILNS1_3genE10ELNS1_11target_archE1200ELNS1_3gpuE4ELNS1_3repE0EEENS1_30default_config_static_selectorELNS0_4arch9wavefront6targetE1EEEvT1_
    .private_segment_fixed_size: 0
    .sgpr_count:     4
    .sgpr_spill_count: 0
    .symbol:         _ZN7rocprim17ROCPRIM_400000_NS6detail17trampoline_kernelINS0_14default_configENS1_29reduce_by_key_config_selectorIttN6thrust23THRUST_200600_302600_NS4plusItEEEEZZNS1_33reduce_by_key_impl_wrapped_configILNS1_25lookback_scan_determinismE0ES3_S9_NS6_6detail15normal_iteratorINS6_10device_ptrItEEEESG_SG_SG_PmS8_NS6_8equal_toItEEEE10hipError_tPvRmT2_T3_mT4_T5_T6_T7_T8_P12ihipStream_tbENKUlT_T0_E_clISt17integral_constantIbLb1EES11_EEDaSW_SX_EUlSW_E_NS1_11comp_targetILNS1_3genE10ELNS1_11target_archE1200ELNS1_3gpuE4ELNS1_3repE0EEENS1_30default_config_static_selectorELNS0_4arch9wavefront6targetE1EEEvT1_.kd
    .uniform_work_group_size: 1
    .uses_dynamic_stack: false
    .vgpr_count:     0
    .vgpr_spill_count: 0
    .wavefront_size: 64
  - .agpr_count:     0
    .args:
      - .offset:         0
        .size:           120
        .value_kind:     by_value
    .group_segment_fixed_size: 0
    .kernarg_segment_align: 8
    .kernarg_segment_size: 120
    .language:       OpenCL C
    .language_version:
      - 2
      - 0
    .max_flat_workgroup_size: 256
    .name:           _ZN7rocprim17ROCPRIM_400000_NS6detail17trampoline_kernelINS0_14default_configENS1_29reduce_by_key_config_selectorIttN6thrust23THRUST_200600_302600_NS4plusItEEEEZZNS1_33reduce_by_key_impl_wrapped_configILNS1_25lookback_scan_determinismE0ES3_S9_NS6_6detail15normal_iteratorINS6_10device_ptrItEEEESG_SG_SG_PmS8_NS6_8equal_toItEEEE10hipError_tPvRmT2_T3_mT4_T5_T6_T7_T8_P12ihipStream_tbENKUlT_T0_E_clISt17integral_constantIbLb1EES11_EEDaSW_SX_EUlSW_E_NS1_11comp_targetILNS1_3genE9ELNS1_11target_archE1100ELNS1_3gpuE3ELNS1_3repE0EEENS1_30default_config_static_selectorELNS0_4arch9wavefront6targetE1EEEvT1_
    .private_segment_fixed_size: 0
    .sgpr_count:     4
    .sgpr_spill_count: 0
    .symbol:         _ZN7rocprim17ROCPRIM_400000_NS6detail17trampoline_kernelINS0_14default_configENS1_29reduce_by_key_config_selectorIttN6thrust23THRUST_200600_302600_NS4plusItEEEEZZNS1_33reduce_by_key_impl_wrapped_configILNS1_25lookback_scan_determinismE0ES3_S9_NS6_6detail15normal_iteratorINS6_10device_ptrItEEEESG_SG_SG_PmS8_NS6_8equal_toItEEEE10hipError_tPvRmT2_T3_mT4_T5_T6_T7_T8_P12ihipStream_tbENKUlT_T0_E_clISt17integral_constantIbLb1EES11_EEDaSW_SX_EUlSW_E_NS1_11comp_targetILNS1_3genE9ELNS1_11target_archE1100ELNS1_3gpuE3ELNS1_3repE0EEENS1_30default_config_static_selectorELNS0_4arch9wavefront6targetE1EEEvT1_.kd
    .uniform_work_group_size: 1
    .uses_dynamic_stack: false
    .vgpr_count:     0
    .vgpr_spill_count: 0
    .wavefront_size: 64
  - .agpr_count:     0
    .args:
      - .offset:         0
        .size:           120
        .value_kind:     by_value
    .group_segment_fixed_size: 0
    .kernarg_segment_align: 8
    .kernarg_segment_size: 120
    .language:       OpenCL C
    .language_version:
      - 2
      - 0
    .max_flat_workgroup_size: 256
    .name:           _ZN7rocprim17ROCPRIM_400000_NS6detail17trampoline_kernelINS0_14default_configENS1_29reduce_by_key_config_selectorIttN6thrust23THRUST_200600_302600_NS4plusItEEEEZZNS1_33reduce_by_key_impl_wrapped_configILNS1_25lookback_scan_determinismE0ES3_S9_NS6_6detail15normal_iteratorINS6_10device_ptrItEEEESG_SG_SG_PmS8_NS6_8equal_toItEEEE10hipError_tPvRmT2_T3_mT4_T5_T6_T7_T8_P12ihipStream_tbENKUlT_T0_E_clISt17integral_constantIbLb1EES11_EEDaSW_SX_EUlSW_E_NS1_11comp_targetILNS1_3genE8ELNS1_11target_archE1030ELNS1_3gpuE2ELNS1_3repE0EEENS1_30default_config_static_selectorELNS0_4arch9wavefront6targetE1EEEvT1_
    .private_segment_fixed_size: 0
    .sgpr_count:     4
    .sgpr_spill_count: 0
    .symbol:         _ZN7rocprim17ROCPRIM_400000_NS6detail17trampoline_kernelINS0_14default_configENS1_29reduce_by_key_config_selectorIttN6thrust23THRUST_200600_302600_NS4plusItEEEEZZNS1_33reduce_by_key_impl_wrapped_configILNS1_25lookback_scan_determinismE0ES3_S9_NS6_6detail15normal_iteratorINS6_10device_ptrItEEEESG_SG_SG_PmS8_NS6_8equal_toItEEEE10hipError_tPvRmT2_T3_mT4_T5_T6_T7_T8_P12ihipStream_tbENKUlT_T0_E_clISt17integral_constantIbLb1EES11_EEDaSW_SX_EUlSW_E_NS1_11comp_targetILNS1_3genE8ELNS1_11target_archE1030ELNS1_3gpuE2ELNS1_3repE0EEENS1_30default_config_static_selectorELNS0_4arch9wavefront6targetE1EEEvT1_.kd
    .uniform_work_group_size: 1
    .uses_dynamic_stack: false
    .vgpr_count:     0
    .vgpr_spill_count: 0
    .wavefront_size: 64
  - .agpr_count:     0
    .args:
      - .address_space:  global
        .offset:         0
        .size:           8
        .value_kind:     global_buffer
      - .offset:         8
        .size:           4
        .value_kind:     by_value
      - .offset:         12
        .size:           1
        .value_kind:     by_value
      - .offset:         16
        .size:           4
        .value_kind:     by_value
      - .address_space:  global
        .offset:         24
        .size:           8
        .value_kind:     global_buffer
      - .address_space:  global
        .offset:         32
        .size:           8
        .value_kind:     global_buffer
      - .offset:         40
        .size:           1
        .value_kind:     by_value
      - .offset:         48
        .size:           4
        .value_kind:     hidden_block_count_x
      - .offset:         52
        .size:           4
        .value_kind:     hidden_block_count_y
      - .offset:         56
        .size:           4
        .value_kind:     hidden_block_count_z
      - .offset:         60
        .size:           2
        .value_kind:     hidden_group_size_x
      - .offset:         62
        .size:           2
        .value_kind:     hidden_group_size_y
      - .offset:         64
        .size:           2
        .value_kind:     hidden_group_size_z
      - .offset:         66
        .size:           2
        .value_kind:     hidden_remainder_x
      - .offset:         68
        .size:           2
        .value_kind:     hidden_remainder_y
      - .offset:         70
        .size:           2
        .value_kind:     hidden_remainder_z
      - .offset:         88
        .size:           8
        .value_kind:     hidden_global_offset_x
      - .offset:         96
        .size:           8
        .value_kind:     hidden_global_offset_y
      - .offset:         104
        .size:           8
        .value_kind:     hidden_global_offset_z
      - .offset:         112
        .size:           2
        .value_kind:     hidden_grid_dims
    .group_segment_fixed_size: 0
    .kernarg_segment_align: 8
    .kernarg_segment_size: 304
    .language:       OpenCL C
    .language_version:
      - 2
      - 0
    .max_flat_workgroup_size: 256
    .name:           _ZN7rocprim17ROCPRIM_400000_NS6detail25reduce_by_key_init_kernelINS1_19lookback_scan_stateINS0_5tupleIJjtEEELb1ELb1EEEtNS1_16block_id_wrapperIjLb0EEEEEvT_jbjPmPT0_T1_
    .private_segment_fixed_size: 0
    .sgpr_count:     20
    .sgpr_spill_count: 0
    .symbol:         _ZN7rocprim17ROCPRIM_400000_NS6detail25reduce_by_key_init_kernelINS1_19lookback_scan_stateINS0_5tupleIJjtEEELb1ELb1EEEtNS1_16block_id_wrapperIjLb0EEEEEvT_jbjPmPT0_T1_.kd
    .uniform_work_group_size: 1
    .uses_dynamic_stack: false
    .vgpr_count:     10
    .vgpr_spill_count: 0
    .wavefront_size: 64
  - .agpr_count:     0
    .args:
      - .offset:         0
        .size:           120
        .value_kind:     by_value
    .group_segment_fixed_size: 0
    .kernarg_segment_align: 8
    .kernarg_segment_size: 120
    .language:       OpenCL C
    .language_version:
      - 2
      - 0
    .max_flat_workgroup_size: 256
    .name:           _ZN7rocprim17ROCPRIM_400000_NS6detail17trampoline_kernelINS0_14default_configENS1_29reduce_by_key_config_selectorIttN6thrust23THRUST_200600_302600_NS4plusItEEEEZZNS1_33reduce_by_key_impl_wrapped_configILNS1_25lookback_scan_determinismE0ES3_S9_NS6_6detail15normal_iteratorINS6_10device_ptrItEEEESG_SG_SG_PmS8_NS6_8equal_toItEEEE10hipError_tPvRmT2_T3_mT4_T5_T6_T7_T8_P12ihipStream_tbENKUlT_T0_E_clISt17integral_constantIbLb1EES10_IbLb0EEEEDaSW_SX_EUlSW_E_NS1_11comp_targetILNS1_3genE0ELNS1_11target_archE4294967295ELNS1_3gpuE0ELNS1_3repE0EEENS1_30default_config_static_selectorELNS0_4arch9wavefront6targetE1EEEvT1_
    .private_segment_fixed_size: 0
    .sgpr_count:     4
    .sgpr_spill_count: 0
    .symbol:         _ZN7rocprim17ROCPRIM_400000_NS6detail17trampoline_kernelINS0_14default_configENS1_29reduce_by_key_config_selectorIttN6thrust23THRUST_200600_302600_NS4plusItEEEEZZNS1_33reduce_by_key_impl_wrapped_configILNS1_25lookback_scan_determinismE0ES3_S9_NS6_6detail15normal_iteratorINS6_10device_ptrItEEEESG_SG_SG_PmS8_NS6_8equal_toItEEEE10hipError_tPvRmT2_T3_mT4_T5_T6_T7_T8_P12ihipStream_tbENKUlT_T0_E_clISt17integral_constantIbLb1EES10_IbLb0EEEEDaSW_SX_EUlSW_E_NS1_11comp_targetILNS1_3genE0ELNS1_11target_archE4294967295ELNS1_3gpuE0ELNS1_3repE0EEENS1_30default_config_static_selectorELNS0_4arch9wavefront6targetE1EEEvT1_.kd
    .uniform_work_group_size: 1
    .uses_dynamic_stack: false
    .vgpr_count:     0
    .vgpr_spill_count: 0
    .wavefront_size: 64
  - .agpr_count:     0
    .args:
      - .offset:         0
        .size:           120
        .value_kind:     by_value
    .group_segment_fixed_size: 0
    .kernarg_segment_align: 8
    .kernarg_segment_size: 120
    .language:       OpenCL C
    .language_version:
      - 2
      - 0
    .max_flat_workgroup_size: 256
    .name:           _ZN7rocprim17ROCPRIM_400000_NS6detail17trampoline_kernelINS0_14default_configENS1_29reduce_by_key_config_selectorIttN6thrust23THRUST_200600_302600_NS4plusItEEEEZZNS1_33reduce_by_key_impl_wrapped_configILNS1_25lookback_scan_determinismE0ES3_S9_NS6_6detail15normal_iteratorINS6_10device_ptrItEEEESG_SG_SG_PmS8_NS6_8equal_toItEEEE10hipError_tPvRmT2_T3_mT4_T5_T6_T7_T8_P12ihipStream_tbENKUlT_T0_E_clISt17integral_constantIbLb1EES10_IbLb0EEEEDaSW_SX_EUlSW_E_NS1_11comp_targetILNS1_3genE5ELNS1_11target_archE942ELNS1_3gpuE9ELNS1_3repE0EEENS1_30default_config_static_selectorELNS0_4arch9wavefront6targetE1EEEvT1_
    .private_segment_fixed_size: 0
    .sgpr_count:     4
    .sgpr_spill_count: 0
    .symbol:         _ZN7rocprim17ROCPRIM_400000_NS6detail17trampoline_kernelINS0_14default_configENS1_29reduce_by_key_config_selectorIttN6thrust23THRUST_200600_302600_NS4plusItEEEEZZNS1_33reduce_by_key_impl_wrapped_configILNS1_25lookback_scan_determinismE0ES3_S9_NS6_6detail15normal_iteratorINS6_10device_ptrItEEEESG_SG_SG_PmS8_NS6_8equal_toItEEEE10hipError_tPvRmT2_T3_mT4_T5_T6_T7_T8_P12ihipStream_tbENKUlT_T0_E_clISt17integral_constantIbLb1EES10_IbLb0EEEEDaSW_SX_EUlSW_E_NS1_11comp_targetILNS1_3genE5ELNS1_11target_archE942ELNS1_3gpuE9ELNS1_3repE0EEENS1_30default_config_static_selectorELNS0_4arch9wavefront6targetE1EEEvT1_.kd
    .uniform_work_group_size: 1
    .uses_dynamic_stack: false
    .vgpr_count:     0
    .vgpr_spill_count: 0
    .wavefront_size: 64
  - .agpr_count:     0
    .args:
      - .offset:         0
        .size:           120
        .value_kind:     by_value
    .group_segment_fixed_size: 7680
    .kernarg_segment_align: 8
    .kernarg_segment_size: 120
    .language:       OpenCL C
    .language_version:
      - 2
      - 0
    .max_flat_workgroup_size: 256
    .name:           _ZN7rocprim17ROCPRIM_400000_NS6detail17trampoline_kernelINS0_14default_configENS1_29reduce_by_key_config_selectorIttN6thrust23THRUST_200600_302600_NS4plusItEEEEZZNS1_33reduce_by_key_impl_wrapped_configILNS1_25lookback_scan_determinismE0ES3_S9_NS6_6detail15normal_iteratorINS6_10device_ptrItEEEESG_SG_SG_PmS8_NS6_8equal_toItEEEE10hipError_tPvRmT2_T3_mT4_T5_T6_T7_T8_P12ihipStream_tbENKUlT_T0_E_clISt17integral_constantIbLb1EES10_IbLb0EEEEDaSW_SX_EUlSW_E_NS1_11comp_targetILNS1_3genE4ELNS1_11target_archE910ELNS1_3gpuE8ELNS1_3repE0EEENS1_30default_config_static_selectorELNS0_4arch9wavefront6targetE1EEEvT1_
    .private_segment_fixed_size: 0
    .sgpr_count:     67
    .sgpr_spill_count: 0
    .symbol:         _ZN7rocprim17ROCPRIM_400000_NS6detail17trampoline_kernelINS0_14default_configENS1_29reduce_by_key_config_selectorIttN6thrust23THRUST_200600_302600_NS4plusItEEEEZZNS1_33reduce_by_key_impl_wrapped_configILNS1_25lookback_scan_determinismE0ES3_S9_NS6_6detail15normal_iteratorINS6_10device_ptrItEEEESG_SG_SG_PmS8_NS6_8equal_toItEEEE10hipError_tPvRmT2_T3_mT4_T5_T6_T7_T8_P12ihipStream_tbENKUlT_T0_E_clISt17integral_constantIbLb1EES10_IbLb0EEEEDaSW_SX_EUlSW_E_NS1_11comp_targetILNS1_3genE4ELNS1_11target_archE910ELNS1_3gpuE8ELNS1_3repE0EEENS1_30default_config_static_selectorELNS0_4arch9wavefront6targetE1EEEvT1_.kd
    .uniform_work_group_size: 1
    .uses_dynamic_stack: false
    .vgpr_count:     111
    .vgpr_spill_count: 0
    .wavefront_size: 64
  - .agpr_count:     0
    .args:
      - .offset:         0
        .size:           120
        .value_kind:     by_value
    .group_segment_fixed_size: 0
    .kernarg_segment_align: 8
    .kernarg_segment_size: 120
    .language:       OpenCL C
    .language_version:
      - 2
      - 0
    .max_flat_workgroup_size: 256
    .name:           _ZN7rocprim17ROCPRIM_400000_NS6detail17trampoline_kernelINS0_14default_configENS1_29reduce_by_key_config_selectorIttN6thrust23THRUST_200600_302600_NS4plusItEEEEZZNS1_33reduce_by_key_impl_wrapped_configILNS1_25lookback_scan_determinismE0ES3_S9_NS6_6detail15normal_iteratorINS6_10device_ptrItEEEESG_SG_SG_PmS8_NS6_8equal_toItEEEE10hipError_tPvRmT2_T3_mT4_T5_T6_T7_T8_P12ihipStream_tbENKUlT_T0_E_clISt17integral_constantIbLb1EES10_IbLb0EEEEDaSW_SX_EUlSW_E_NS1_11comp_targetILNS1_3genE3ELNS1_11target_archE908ELNS1_3gpuE7ELNS1_3repE0EEENS1_30default_config_static_selectorELNS0_4arch9wavefront6targetE1EEEvT1_
    .private_segment_fixed_size: 0
    .sgpr_count:     4
    .sgpr_spill_count: 0
    .symbol:         _ZN7rocprim17ROCPRIM_400000_NS6detail17trampoline_kernelINS0_14default_configENS1_29reduce_by_key_config_selectorIttN6thrust23THRUST_200600_302600_NS4plusItEEEEZZNS1_33reduce_by_key_impl_wrapped_configILNS1_25lookback_scan_determinismE0ES3_S9_NS6_6detail15normal_iteratorINS6_10device_ptrItEEEESG_SG_SG_PmS8_NS6_8equal_toItEEEE10hipError_tPvRmT2_T3_mT4_T5_T6_T7_T8_P12ihipStream_tbENKUlT_T0_E_clISt17integral_constantIbLb1EES10_IbLb0EEEEDaSW_SX_EUlSW_E_NS1_11comp_targetILNS1_3genE3ELNS1_11target_archE908ELNS1_3gpuE7ELNS1_3repE0EEENS1_30default_config_static_selectorELNS0_4arch9wavefront6targetE1EEEvT1_.kd
    .uniform_work_group_size: 1
    .uses_dynamic_stack: false
    .vgpr_count:     0
    .vgpr_spill_count: 0
    .wavefront_size: 64
  - .agpr_count:     0
    .args:
      - .offset:         0
        .size:           120
        .value_kind:     by_value
    .group_segment_fixed_size: 0
    .kernarg_segment_align: 8
    .kernarg_segment_size: 120
    .language:       OpenCL C
    .language_version:
      - 2
      - 0
    .max_flat_workgroup_size: 256
    .name:           _ZN7rocprim17ROCPRIM_400000_NS6detail17trampoline_kernelINS0_14default_configENS1_29reduce_by_key_config_selectorIttN6thrust23THRUST_200600_302600_NS4plusItEEEEZZNS1_33reduce_by_key_impl_wrapped_configILNS1_25lookback_scan_determinismE0ES3_S9_NS6_6detail15normal_iteratorINS6_10device_ptrItEEEESG_SG_SG_PmS8_NS6_8equal_toItEEEE10hipError_tPvRmT2_T3_mT4_T5_T6_T7_T8_P12ihipStream_tbENKUlT_T0_E_clISt17integral_constantIbLb1EES10_IbLb0EEEEDaSW_SX_EUlSW_E_NS1_11comp_targetILNS1_3genE2ELNS1_11target_archE906ELNS1_3gpuE6ELNS1_3repE0EEENS1_30default_config_static_selectorELNS0_4arch9wavefront6targetE1EEEvT1_
    .private_segment_fixed_size: 0
    .sgpr_count:     4
    .sgpr_spill_count: 0
    .symbol:         _ZN7rocprim17ROCPRIM_400000_NS6detail17trampoline_kernelINS0_14default_configENS1_29reduce_by_key_config_selectorIttN6thrust23THRUST_200600_302600_NS4plusItEEEEZZNS1_33reduce_by_key_impl_wrapped_configILNS1_25lookback_scan_determinismE0ES3_S9_NS6_6detail15normal_iteratorINS6_10device_ptrItEEEESG_SG_SG_PmS8_NS6_8equal_toItEEEE10hipError_tPvRmT2_T3_mT4_T5_T6_T7_T8_P12ihipStream_tbENKUlT_T0_E_clISt17integral_constantIbLb1EES10_IbLb0EEEEDaSW_SX_EUlSW_E_NS1_11comp_targetILNS1_3genE2ELNS1_11target_archE906ELNS1_3gpuE6ELNS1_3repE0EEENS1_30default_config_static_selectorELNS0_4arch9wavefront6targetE1EEEvT1_.kd
    .uniform_work_group_size: 1
    .uses_dynamic_stack: false
    .vgpr_count:     0
    .vgpr_spill_count: 0
    .wavefront_size: 64
  - .agpr_count:     0
    .args:
      - .offset:         0
        .size:           120
        .value_kind:     by_value
    .group_segment_fixed_size: 0
    .kernarg_segment_align: 8
    .kernarg_segment_size: 120
    .language:       OpenCL C
    .language_version:
      - 2
      - 0
    .max_flat_workgroup_size: 256
    .name:           _ZN7rocprim17ROCPRIM_400000_NS6detail17trampoline_kernelINS0_14default_configENS1_29reduce_by_key_config_selectorIttN6thrust23THRUST_200600_302600_NS4plusItEEEEZZNS1_33reduce_by_key_impl_wrapped_configILNS1_25lookback_scan_determinismE0ES3_S9_NS6_6detail15normal_iteratorINS6_10device_ptrItEEEESG_SG_SG_PmS8_NS6_8equal_toItEEEE10hipError_tPvRmT2_T3_mT4_T5_T6_T7_T8_P12ihipStream_tbENKUlT_T0_E_clISt17integral_constantIbLb1EES10_IbLb0EEEEDaSW_SX_EUlSW_E_NS1_11comp_targetILNS1_3genE10ELNS1_11target_archE1201ELNS1_3gpuE5ELNS1_3repE0EEENS1_30default_config_static_selectorELNS0_4arch9wavefront6targetE1EEEvT1_
    .private_segment_fixed_size: 0
    .sgpr_count:     4
    .sgpr_spill_count: 0
    .symbol:         _ZN7rocprim17ROCPRIM_400000_NS6detail17trampoline_kernelINS0_14default_configENS1_29reduce_by_key_config_selectorIttN6thrust23THRUST_200600_302600_NS4plusItEEEEZZNS1_33reduce_by_key_impl_wrapped_configILNS1_25lookback_scan_determinismE0ES3_S9_NS6_6detail15normal_iteratorINS6_10device_ptrItEEEESG_SG_SG_PmS8_NS6_8equal_toItEEEE10hipError_tPvRmT2_T3_mT4_T5_T6_T7_T8_P12ihipStream_tbENKUlT_T0_E_clISt17integral_constantIbLb1EES10_IbLb0EEEEDaSW_SX_EUlSW_E_NS1_11comp_targetILNS1_3genE10ELNS1_11target_archE1201ELNS1_3gpuE5ELNS1_3repE0EEENS1_30default_config_static_selectorELNS0_4arch9wavefront6targetE1EEEvT1_.kd
    .uniform_work_group_size: 1
    .uses_dynamic_stack: false
    .vgpr_count:     0
    .vgpr_spill_count: 0
    .wavefront_size: 64
  - .agpr_count:     0
    .args:
      - .offset:         0
        .size:           120
        .value_kind:     by_value
    .group_segment_fixed_size: 0
    .kernarg_segment_align: 8
    .kernarg_segment_size: 120
    .language:       OpenCL C
    .language_version:
      - 2
      - 0
    .max_flat_workgroup_size: 256
    .name:           _ZN7rocprim17ROCPRIM_400000_NS6detail17trampoline_kernelINS0_14default_configENS1_29reduce_by_key_config_selectorIttN6thrust23THRUST_200600_302600_NS4plusItEEEEZZNS1_33reduce_by_key_impl_wrapped_configILNS1_25lookback_scan_determinismE0ES3_S9_NS6_6detail15normal_iteratorINS6_10device_ptrItEEEESG_SG_SG_PmS8_NS6_8equal_toItEEEE10hipError_tPvRmT2_T3_mT4_T5_T6_T7_T8_P12ihipStream_tbENKUlT_T0_E_clISt17integral_constantIbLb1EES10_IbLb0EEEEDaSW_SX_EUlSW_E_NS1_11comp_targetILNS1_3genE10ELNS1_11target_archE1200ELNS1_3gpuE4ELNS1_3repE0EEENS1_30default_config_static_selectorELNS0_4arch9wavefront6targetE1EEEvT1_
    .private_segment_fixed_size: 0
    .sgpr_count:     4
    .sgpr_spill_count: 0
    .symbol:         _ZN7rocprim17ROCPRIM_400000_NS6detail17trampoline_kernelINS0_14default_configENS1_29reduce_by_key_config_selectorIttN6thrust23THRUST_200600_302600_NS4plusItEEEEZZNS1_33reduce_by_key_impl_wrapped_configILNS1_25lookback_scan_determinismE0ES3_S9_NS6_6detail15normal_iteratorINS6_10device_ptrItEEEESG_SG_SG_PmS8_NS6_8equal_toItEEEE10hipError_tPvRmT2_T3_mT4_T5_T6_T7_T8_P12ihipStream_tbENKUlT_T0_E_clISt17integral_constantIbLb1EES10_IbLb0EEEEDaSW_SX_EUlSW_E_NS1_11comp_targetILNS1_3genE10ELNS1_11target_archE1200ELNS1_3gpuE4ELNS1_3repE0EEENS1_30default_config_static_selectorELNS0_4arch9wavefront6targetE1EEEvT1_.kd
    .uniform_work_group_size: 1
    .uses_dynamic_stack: false
    .vgpr_count:     0
    .vgpr_spill_count: 0
    .wavefront_size: 64
  - .agpr_count:     0
    .args:
      - .offset:         0
        .size:           120
        .value_kind:     by_value
    .group_segment_fixed_size: 0
    .kernarg_segment_align: 8
    .kernarg_segment_size: 120
    .language:       OpenCL C
    .language_version:
      - 2
      - 0
    .max_flat_workgroup_size: 256
    .name:           _ZN7rocprim17ROCPRIM_400000_NS6detail17trampoline_kernelINS0_14default_configENS1_29reduce_by_key_config_selectorIttN6thrust23THRUST_200600_302600_NS4plusItEEEEZZNS1_33reduce_by_key_impl_wrapped_configILNS1_25lookback_scan_determinismE0ES3_S9_NS6_6detail15normal_iteratorINS6_10device_ptrItEEEESG_SG_SG_PmS8_NS6_8equal_toItEEEE10hipError_tPvRmT2_T3_mT4_T5_T6_T7_T8_P12ihipStream_tbENKUlT_T0_E_clISt17integral_constantIbLb1EES10_IbLb0EEEEDaSW_SX_EUlSW_E_NS1_11comp_targetILNS1_3genE9ELNS1_11target_archE1100ELNS1_3gpuE3ELNS1_3repE0EEENS1_30default_config_static_selectorELNS0_4arch9wavefront6targetE1EEEvT1_
    .private_segment_fixed_size: 0
    .sgpr_count:     4
    .sgpr_spill_count: 0
    .symbol:         _ZN7rocprim17ROCPRIM_400000_NS6detail17trampoline_kernelINS0_14default_configENS1_29reduce_by_key_config_selectorIttN6thrust23THRUST_200600_302600_NS4plusItEEEEZZNS1_33reduce_by_key_impl_wrapped_configILNS1_25lookback_scan_determinismE0ES3_S9_NS6_6detail15normal_iteratorINS6_10device_ptrItEEEESG_SG_SG_PmS8_NS6_8equal_toItEEEE10hipError_tPvRmT2_T3_mT4_T5_T6_T7_T8_P12ihipStream_tbENKUlT_T0_E_clISt17integral_constantIbLb1EES10_IbLb0EEEEDaSW_SX_EUlSW_E_NS1_11comp_targetILNS1_3genE9ELNS1_11target_archE1100ELNS1_3gpuE3ELNS1_3repE0EEENS1_30default_config_static_selectorELNS0_4arch9wavefront6targetE1EEEvT1_.kd
    .uniform_work_group_size: 1
    .uses_dynamic_stack: false
    .vgpr_count:     0
    .vgpr_spill_count: 0
    .wavefront_size: 64
  - .agpr_count:     0
    .args:
      - .offset:         0
        .size:           120
        .value_kind:     by_value
    .group_segment_fixed_size: 0
    .kernarg_segment_align: 8
    .kernarg_segment_size: 120
    .language:       OpenCL C
    .language_version:
      - 2
      - 0
    .max_flat_workgroup_size: 256
    .name:           _ZN7rocprim17ROCPRIM_400000_NS6detail17trampoline_kernelINS0_14default_configENS1_29reduce_by_key_config_selectorIttN6thrust23THRUST_200600_302600_NS4plusItEEEEZZNS1_33reduce_by_key_impl_wrapped_configILNS1_25lookback_scan_determinismE0ES3_S9_NS6_6detail15normal_iteratorINS6_10device_ptrItEEEESG_SG_SG_PmS8_NS6_8equal_toItEEEE10hipError_tPvRmT2_T3_mT4_T5_T6_T7_T8_P12ihipStream_tbENKUlT_T0_E_clISt17integral_constantIbLb1EES10_IbLb0EEEEDaSW_SX_EUlSW_E_NS1_11comp_targetILNS1_3genE8ELNS1_11target_archE1030ELNS1_3gpuE2ELNS1_3repE0EEENS1_30default_config_static_selectorELNS0_4arch9wavefront6targetE1EEEvT1_
    .private_segment_fixed_size: 0
    .sgpr_count:     4
    .sgpr_spill_count: 0
    .symbol:         _ZN7rocprim17ROCPRIM_400000_NS6detail17trampoline_kernelINS0_14default_configENS1_29reduce_by_key_config_selectorIttN6thrust23THRUST_200600_302600_NS4plusItEEEEZZNS1_33reduce_by_key_impl_wrapped_configILNS1_25lookback_scan_determinismE0ES3_S9_NS6_6detail15normal_iteratorINS6_10device_ptrItEEEESG_SG_SG_PmS8_NS6_8equal_toItEEEE10hipError_tPvRmT2_T3_mT4_T5_T6_T7_T8_P12ihipStream_tbENKUlT_T0_E_clISt17integral_constantIbLb1EES10_IbLb0EEEEDaSW_SX_EUlSW_E_NS1_11comp_targetILNS1_3genE8ELNS1_11target_archE1030ELNS1_3gpuE2ELNS1_3repE0EEENS1_30default_config_static_selectorELNS0_4arch9wavefront6targetE1EEEvT1_.kd
    .uniform_work_group_size: 1
    .uses_dynamic_stack: false
    .vgpr_count:     0
    .vgpr_spill_count: 0
    .wavefront_size: 64
  - .agpr_count:     0
    .args:
      - .address_space:  global
        .offset:         0
        .size:           8
        .value_kind:     global_buffer
      - .offset:         8
        .size:           4
        .value_kind:     by_value
      - .offset:         12
        .size:           1
        .value_kind:     by_value
      - .offset:         16
        .size:           4
        .value_kind:     by_value
      - .address_space:  global
        .offset:         24
        .size:           8
        .value_kind:     global_buffer
      - .address_space:  global
        .offset:         32
        .size:           8
        .value_kind:     global_buffer
      - .address_space:  global
        .offset:         40
        .size:           8
        .value_kind:     global_buffer
      - .offset:         48
        .size:           4
        .value_kind:     hidden_block_count_x
      - .offset:         52
        .size:           4
        .value_kind:     hidden_block_count_y
      - .offset:         56
        .size:           4
        .value_kind:     hidden_block_count_z
      - .offset:         60
        .size:           2
        .value_kind:     hidden_group_size_x
      - .offset:         62
        .size:           2
        .value_kind:     hidden_group_size_y
      - .offset:         64
        .size:           2
        .value_kind:     hidden_group_size_z
      - .offset:         66
        .size:           2
        .value_kind:     hidden_remainder_x
      - .offset:         68
        .size:           2
        .value_kind:     hidden_remainder_y
      - .offset:         70
        .size:           2
        .value_kind:     hidden_remainder_z
      - .offset:         88
        .size:           8
        .value_kind:     hidden_global_offset_x
      - .offset:         96
        .size:           8
        .value_kind:     hidden_global_offset_y
      - .offset:         104
        .size:           8
        .value_kind:     hidden_global_offset_z
      - .offset:         112
        .size:           2
        .value_kind:     hidden_grid_dims
    .group_segment_fixed_size: 0
    .kernarg_segment_align: 8
    .kernarg_segment_size: 304
    .language:       OpenCL C
    .language_version:
      - 2
      - 0
    .max_flat_workgroup_size: 256
    .name:           _ZN7rocprim17ROCPRIM_400000_NS6detail25reduce_by_key_init_kernelINS1_19lookback_scan_stateINS0_5tupleIJjtEEELb0ELb1EEEtNS1_16block_id_wrapperIjLb1EEEEEvT_jbjPmPT0_T1_
    .private_segment_fixed_size: 0
    .sgpr_count:     22
    .sgpr_spill_count: 0
    .symbol:         _ZN7rocprim17ROCPRIM_400000_NS6detail25reduce_by_key_init_kernelINS1_19lookback_scan_stateINS0_5tupleIJjtEEELb0ELb1EEEtNS1_16block_id_wrapperIjLb1EEEEEvT_jbjPmPT0_T1_.kd
    .uniform_work_group_size: 1
    .uses_dynamic_stack: false
    .vgpr_count:     10
    .vgpr_spill_count: 0
    .wavefront_size: 64
  - .agpr_count:     0
    .args:
      - .offset:         0
        .size:           120
        .value_kind:     by_value
    .group_segment_fixed_size: 0
    .kernarg_segment_align: 8
    .kernarg_segment_size: 120
    .language:       OpenCL C
    .language_version:
      - 2
      - 0
    .max_flat_workgroup_size: 256
    .name:           _ZN7rocprim17ROCPRIM_400000_NS6detail17trampoline_kernelINS0_14default_configENS1_29reduce_by_key_config_selectorIttN6thrust23THRUST_200600_302600_NS4plusItEEEEZZNS1_33reduce_by_key_impl_wrapped_configILNS1_25lookback_scan_determinismE0ES3_S9_NS6_6detail15normal_iteratorINS6_10device_ptrItEEEESG_SG_SG_PmS8_NS6_8equal_toItEEEE10hipError_tPvRmT2_T3_mT4_T5_T6_T7_T8_P12ihipStream_tbENKUlT_T0_E_clISt17integral_constantIbLb0EES10_IbLb1EEEEDaSW_SX_EUlSW_E_NS1_11comp_targetILNS1_3genE0ELNS1_11target_archE4294967295ELNS1_3gpuE0ELNS1_3repE0EEENS1_30default_config_static_selectorELNS0_4arch9wavefront6targetE1EEEvT1_
    .private_segment_fixed_size: 0
    .sgpr_count:     4
    .sgpr_spill_count: 0
    .symbol:         _ZN7rocprim17ROCPRIM_400000_NS6detail17trampoline_kernelINS0_14default_configENS1_29reduce_by_key_config_selectorIttN6thrust23THRUST_200600_302600_NS4plusItEEEEZZNS1_33reduce_by_key_impl_wrapped_configILNS1_25lookback_scan_determinismE0ES3_S9_NS6_6detail15normal_iteratorINS6_10device_ptrItEEEESG_SG_SG_PmS8_NS6_8equal_toItEEEE10hipError_tPvRmT2_T3_mT4_T5_T6_T7_T8_P12ihipStream_tbENKUlT_T0_E_clISt17integral_constantIbLb0EES10_IbLb1EEEEDaSW_SX_EUlSW_E_NS1_11comp_targetILNS1_3genE0ELNS1_11target_archE4294967295ELNS1_3gpuE0ELNS1_3repE0EEENS1_30default_config_static_selectorELNS0_4arch9wavefront6targetE1EEEvT1_.kd
    .uniform_work_group_size: 1
    .uses_dynamic_stack: false
    .vgpr_count:     0
    .vgpr_spill_count: 0
    .wavefront_size: 64
  - .agpr_count:     0
    .args:
      - .offset:         0
        .size:           120
        .value_kind:     by_value
    .group_segment_fixed_size: 0
    .kernarg_segment_align: 8
    .kernarg_segment_size: 120
    .language:       OpenCL C
    .language_version:
      - 2
      - 0
    .max_flat_workgroup_size: 256
    .name:           _ZN7rocprim17ROCPRIM_400000_NS6detail17trampoline_kernelINS0_14default_configENS1_29reduce_by_key_config_selectorIttN6thrust23THRUST_200600_302600_NS4plusItEEEEZZNS1_33reduce_by_key_impl_wrapped_configILNS1_25lookback_scan_determinismE0ES3_S9_NS6_6detail15normal_iteratorINS6_10device_ptrItEEEESG_SG_SG_PmS8_NS6_8equal_toItEEEE10hipError_tPvRmT2_T3_mT4_T5_T6_T7_T8_P12ihipStream_tbENKUlT_T0_E_clISt17integral_constantIbLb0EES10_IbLb1EEEEDaSW_SX_EUlSW_E_NS1_11comp_targetILNS1_3genE5ELNS1_11target_archE942ELNS1_3gpuE9ELNS1_3repE0EEENS1_30default_config_static_selectorELNS0_4arch9wavefront6targetE1EEEvT1_
    .private_segment_fixed_size: 0
    .sgpr_count:     4
    .sgpr_spill_count: 0
    .symbol:         _ZN7rocprim17ROCPRIM_400000_NS6detail17trampoline_kernelINS0_14default_configENS1_29reduce_by_key_config_selectorIttN6thrust23THRUST_200600_302600_NS4plusItEEEEZZNS1_33reduce_by_key_impl_wrapped_configILNS1_25lookback_scan_determinismE0ES3_S9_NS6_6detail15normal_iteratorINS6_10device_ptrItEEEESG_SG_SG_PmS8_NS6_8equal_toItEEEE10hipError_tPvRmT2_T3_mT4_T5_T6_T7_T8_P12ihipStream_tbENKUlT_T0_E_clISt17integral_constantIbLb0EES10_IbLb1EEEEDaSW_SX_EUlSW_E_NS1_11comp_targetILNS1_3genE5ELNS1_11target_archE942ELNS1_3gpuE9ELNS1_3repE0EEENS1_30default_config_static_selectorELNS0_4arch9wavefront6targetE1EEEvT1_.kd
    .uniform_work_group_size: 1
    .uses_dynamic_stack: false
    .vgpr_count:     0
    .vgpr_spill_count: 0
    .wavefront_size: 64
  - .agpr_count:     0
    .args:
      - .offset:         0
        .size:           120
        .value_kind:     by_value
    .group_segment_fixed_size: 7680
    .kernarg_segment_align: 8
    .kernarg_segment_size: 120
    .language:       OpenCL C
    .language_version:
      - 2
      - 0
    .max_flat_workgroup_size: 256
    .name:           _ZN7rocprim17ROCPRIM_400000_NS6detail17trampoline_kernelINS0_14default_configENS1_29reduce_by_key_config_selectorIttN6thrust23THRUST_200600_302600_NS4plusItEEEEZZNS1_33reduce_by_key_impl_wrapped_configILNS1_25lookback_scan_determinismE0ES3_S9_NS6_6detail15normal_iteratorINS6_10device_ptrItEEEESG_SG_SG_PmS8_NS6_8equal_toItEEEE10hipError_tPvRmT2_T3_mT4_T5_T6_T7_T8_P12ihipStream_tbENKUlT_T0_E_clISt17integral_constantIbLb0EES10_IbLb1EEEEDaSW_SX_EUlSW_E_NS1_11comp_targetILNS1_3genE4ELNS1_11target_archE910ELNS1_3gpuE8ELNS1_3repE0EEENS1_30default_config_static_selectorELNS0_4arch9wavefront6targetE1EEEvT1_
    .private_segment_fixed_size: 0
    .sgpr_count:     70
    .sgpr_spill_count: 0
    .symbol:         _ZN7rocprim17ROCPRIM_400000_NS6detail17trampoline_kernelINS0_14default_configENS1_29reduce_by_key_config_selectorIttN6thrust23THRUST_200600_302600_NS4plusItEEEEZZNS1_33reduce_by_key_impl_wrapped_configILNS1_25lookback_scan_determinismE0ES3_S9_NS6_6detail15normal_iteratorINS6_10device_ptrItEEEESG_SG_SG_PmS8_NS6_8equal_toItEEEE10hipError_tPvRmT2_T3_mT4_T5_T6_T7_T8_P12ihipStream_tbENKUlT_T0_E_clISt17integral_constantIbLb0EES10_IbLb1EEEEDaSW_SX_EUlSW_E_NS1_11comp_targetILNS1_3genE4ELNS1_11target_archE910ELNS1_3gpuE8ELNS1_3repE0EEENS1_30default_config_static_selectorELNS0_4arch9wavefront6targetE1EEEvT1_.kd
    .uniform_work_group_size: 1
    .uses_dynamic_stack: false
    .vgpr_count:     111
    .vgpr_spill_count: 0
    .wavefront_size: 64
  - .agpr_count:     0
    .args:
      - .offset:         0
        .size:           120
        .value_kind:     by_value
    .group_segment_fixed_size: 0
    .kernarg_segment_align: 8
    .kernarg_segment_size: 120
    .language:       OpenCL C
    .language_version:
      - 2
      - 0
    .max_flat_workgroup_size: 256
    .name:           _ZN7rocprim17ROCPRIM_400000_NS6detail17trampoline_kernelINS0_14default_configENS1_29reduce_by_key_config_selectorIttN6thrust23THRUST_200600_302600_NS4plusItEEEEZZNS1_33reduce_by_key_impl_wrapped_configILNS1_25lookback_scan_determinismE0ES3_S9_NS6_6detail15normal_iteratorINS6_10device_ptrItEEEESG_SG_SG_PmS8_NS6_8equal_toItEEEE10hipError_tPvRmT2_T3_mT4_T5_T6_T7_T8_P12ihipStream_tbENKUlT_T0_E_clISt17integral_constantIbLb0EES10_IbLb1EEEEDaSW_SX_EUlSW_E_NS1_11comp_targetILNS1_3genE3ELNS1_11target_archE908ELNS1_3gpuE7ELNS1_3repE0EEENS1_30default_config_static_selectorELNS0_4arch9wavefront6targetE1EEEvT1_
    .private_segment_fixed_size: 0
    .sgpr_count:     4
    .sgpr_spill_count: 0
    .symbol:         _ZN7rocprim17ROCPRIM_400000_NS6detail17trampoline_kernelINS0_14default_configENS1_29reduce_by_key_config_selectorIttN6thrust23THRUST_200600_302600_NS4plusItEEEEZZNS1_33reduce_by_key_impl_wrapped_configILNS1_25lookback_scan_determinismE0ES3_S9_NS6_6detail15normal_iteratorINS6_10device_ptrItEEEESG_SG_SG_PmS8_NS6_8equal_toItEEEE10hipError_tPvRmT2_T3_mT4_T5_T6_T7_T8_P12ihipStream_tbENKUlT_T0_E_clISt17integral_constantIbLb0EES10_IbLb1EEEEDaSW_SX_EUlSW_E_NS1_11comp_targetILNS1_3genE3ELNS1_11target_archE908ELNS1_3gpuE7ELNS1_3repE0EEENS1_30default_config_static_selectorELNS0_4arch9wavefront6targetE1EEEvT1_.kd
    .uniform_work_group_size: 1
    .uses_dynamic_stack: false
    .vgpr_count:     0
    .vgpr_spill_count: 0
    .wavefront_size: 64
  - .agpr_count:     0
    .args:
      - .offset:         0
        .size:           120
        .value_kind:     by_value
    .group_segment_fixed_size: 0
    .kernarg_segment_align: 8
    .kernarg_segment_size: 120
    .language:       OpenCL C
    .language_version:
      - 2
      - 0
    .max_flat_workgroup_size: 256
    .name:           _ZN7rocprim17ROCPRIM_400000_NS6detail17trampoline_kernelINS0_14default_configENS1_29reduce_by_key_config_selectorIttN6thrust23THRUST_200600_302600_NS4plusItEEEEZZNS1_33reduce_by_key_impl_wrapped_configILNS1_25lookback_scan_determinismE0ES3_S9_NS6_6detail15normal_iteratorINS6_10device_ptrItEEEESG_SG_SG_PmS8_NS6_8equal_toItEEEE10hipError_tPvRmT2_T3_mT4_T5_T6_T7_T8_P12ihipStream_tbENKUlT_T0_E_clISt17integral_constantIbLb0EES10_IbLb1EEEEDaSW_SX_EUlSW_E_NS1_11comp_targetILNS1_3genE2ELNS1_11target_archE906ELNS1_3gpuE6ELNS1_3repE0EEENS1_30default_config_static_selectorELNS0_4arch9wavefront6targetE1EEEvT1_
    .private_segment_fixed_size: 0
    .sgpr_count:     4
    .sgpr_spill_count: 0
    .symbol:         _ZN7rocprim17ROCPRIM_400000_NS6detail17trampoline_kernelINS0_14default_configENS1_29reduce_by_key_config_selectorIttN6thrust23THRUST_200600_302600_NS4plusItEEEEZZNS1_33reduce_by_key_impl_wrapped_configILNS1_25lookback_scan_determinismE0ES3_S9_NS6_6detail15normal_iteratorINS6_10device_ptrItEEEESG_SG_SG_PmS8_NS6_8equal_toItEEEE10hipError_tPvRmT2_T3_mT4_T5_T6_T7_T8_P12ihipStream_tbENKUlT_T0_E_clISt17integral_constantIbLb0EES10_IbLb1EEEEDaSW_SX_EUlSW_E_NS1_11comp_targetILNS1_3genE2ELNS1_11target_archE906ELNS1_3gpuE6ELNS1_3repE0EEENS1_30default_config_static_selectorELNS0_4arch9wavefront6targetE1EEEvT1_.kd
    .uniform_work_group_size: 1
    .uses_dynamic_stack: false
    .vgpr_count:     0
    .vgpr_spill_count: 0
    .wavefront_size: 64
  - .agpr_count:     0
    .args:
      - .offset:         0
        .size:           120
        .value_kind:     by_value
    .group_segment_fixed_size: 0
    .kernarg_segment_align: 8
    .kernarg_segment_size: 120
    .language:       OpenCL C
    .language_version:
      - 2
      - 0
    .max_flat_workgroup_size: 256
    .name:           _ZN7rocprim17ROCPRIM_400000_NS6detail17trampoline_kernelINS0_14default_configENS1_29reduce_by_key_config_selectorIttN6thrust23THRUST_200600_302600_NS4plusItEEEEZZNS1_33reduce_by_key_impl_wrapped_configILNS1_25lookback_scan_determinismE0ES3_S9_NS6_6detail15normal_iteratorINS6_10device_ptrItEEEESG_SG_SG_PmS8_NS6_8equal_toItEEEE10hipError_tPvRmT2_T3_mT4_T5_T6_T7_T8_P12ihipStream_tbENKUlT_T0_E_clISt17integral_constantIbLb0EES10_IbLb1EEEEDaSW_SX_EUlSW_E_NS1_11comp_targetILNS1_3genE10ELNS1_11target_archE1201ELNS1_3gpuE5ELNS1_3repE0EEENS1_30default_config_static_selectorELNS0_4arch9wavefront6targetE1EEEvT1_
    .private_segment_fixed_size: 0
    .sgpr_count:     4
    .sgpr_spill_count: 0
    .symbol:         _ZN7rocprim17ROCPRIM_400000_NS6detail17trampoline_kernelINS0_14default_configENS1_29reduce_by_key_config_selectorIttN6thrust23THRUST_200600_302600_NS4plusItEEEEZZNS1_33reduce_by_key_impl_wrapped_configILNS1_25lookback_scan_determinismE0ES3_S9_NS6_6detail15normal_iteratorINS6_10device_ptrItEEEESG_SG_SG_PmS8_NS6_8equal_toItEEEE10hipError_tPvRmT2_T3_mT4_T5_T6_T7_T8_P12ihipStream_tbENKUlT_T0_E_clISt17integral_constantIbLb0EES10_IbLb1EEEEDaSW_SX_EUlSW_E_NS1_11comp_targetILNS1_3genE10ELNS1_11target_archE1201ELNS1_3gpuE5ELNS1_3repE0EEENS1_30default_config_static_selectorELNS0_4arch9wavefront6targetE1EEEvT1_.kd
    .uniform_work_group_size: 1
    .uses_dynamic_stack: false
    .vgpr_count:     0
    .vgpr_spill_count: 0
    .wavefront_size: 64
  - .agpr_count:     0
    .args:
      - .offset:         0
        .size:           120
        .value_kind:     by_value
    .group_segment_fixed_size: 0
    .kernarg_segment_align: 8
    .kernarg_segment_size: 120
    .language:       OpenCL C
    .language_version:
      - 2
      - 0
    .max_flat_workgroup_size: 256
    .name:           _ZN7rocprim17ROCPRIM_400000_NS6detail17trampoline_kernelINS0_14default_configENS1_29reduce_by_key_config_selectorIttN6thrust23THRUST_200600_302600_NS4plusItEEEEZZNS1_33reduce_by_key_impl_wrapped_configILNS1_25lookback_scan_determinismE0ES3_S9_NS6_6detail15normal_iteratorINS6_10device_ptrItEEEESG_SG_SG_PmS8_NS6_8equal_toItEEEE10hipError_tPvRmT2_T3_mT4_T5_T6_T7_T8_P12ihipStream_tbENKUlT_T0_E_clISt17integral_constantIbLb0EES10_IbLb1EEEEDaSW_SX_EUlSW_E_NS1_11comp_targetILNS1_3genE10ELNS1_11target_archE1200ELNS1_3gpuE4ELNS1_3repE0EEENS1_30default_config_static_selectorELNS0_4arch9wavefront6targetE1EEEvT1_
    .private_segment_fixed_size: 0
    .sgpr_count:     4
    .sgpr_spill_count: 0
    .symbol:         _ZN7rocprim17ROCPRIM_400000_NS6detail17trampoline_kernelINS0_14default_configENS1_29reduce_by_key_config_selectorIttN6thrust23THRUST_200600_302600_NS4plusItEEEEZZNS1_33reduce_by_key_impl_wrapped_configILNS1_25lookback_scan_determinismE0ES3_S9_NS6_6detail15normal_iteratorINS6_10device_ptrItEEEESG_SG_SG_PmS8_NS6_8equal_toItEEEE10hipError_tPvRmT2_T3_mT4_T5_T6_T7_T8_P12ihipStream_tbENKUlT_T0_E_clISt17integral_constantIbLb0EES10_IbLb1EEEEDaSW_SX_EUlSW_E_NS1_11comp_targetILNS1_3genE10ELNS1_11target_archE1200ELNS1_3gpuE4ELNS1_3repE0EEENS1_30default_config_static_selectorELNS0_4arch9wavefront6targetE1EEEvT1_.kd
    .uniform_work_group_size: 1
    .uses_dynamic_stack: false
    .vgpr_count:     0
    .vgpr_spill_count: 0
    .wavefront_size: 64
  - .agpr_count:     0
    .args:
      - .offset:         0
        .size:           120
        .value_kind:     by_value
    .group_segment_fixed_size: 0
    .kernarg_segment_align: 8
    .kernarg_segment_size: 120
    .language:       OpenCL C
    .language_version:
      - 2
      - 0
    .max_flat_workgroup_size: 256
    .name:           _ZN7rocprim17ROCPRIM_400000_NS6detail17trampoline_kernelINS0_14default_configENS1_29reduce_by_key_config_selectorIttN6thrust23THRUST_200600_302600_NS4plusItEEEEZZNS1_33reduce_by_key_impl_wrapped_configILNS1_25lookback_scan_determinismE0ES3_S9_NS6_6detail15normal_iteratorINS6_10device_ptrItEEEESG_SG_SG_PmS8_NS6_8equal_toItEEEE10hipError_tPvRmT2_T3_mT4_T5_T6_T7_T8_P12ihipStream_tbENKUlT_T0_E_clISt17integral_constantIbLb0EES10_IbLb1EEEEDaSW_SX_EUlSW_E_NS1_11comp_targetILNS1_3genE9ELNS1_11target_archE1100ELNS1_3gpuE3ELNS1_3repE0EEENS1_30default_config_static_selectorELNS0_4arch9wavefront6targetE1EEEvT1_
    .private_segment_fixed_size: 0
    .sgpr_count:     4
    .sgpr_spill_count: 0
    .symbol:         _ZN7rocprim17ROCPRIM_400000_NS6detail17trampoline_kernelINS0_14default_configENS1_29reduce_by_key_config_selectorIttN6thrust23THRUST_200600_302600_NS4plusItEEEEZZNS1_33reduce_by_key_impl_wrapped_configILNS1_25lookback_scan_determinismE0ES3_S9_NS6_6detail15normal_iteratorINS6_10device_ptrItEEEESG_SG_SG_PmS8_NS6_8equal_toItEEEE10hipError_tPvRmT2_T3_mT4_T5_T6_T7_T8_P12ihipStream_tbENKUlT_T0_E_clISt17integral_constantIbLb0EES10_IbLb1EEEEDaSW_SX_EUlSW_E_NS1_11comp_targetILNS1_3genE9ELNS1_11target_archE1100ELNS1_3gpuE3ELNS1_3repE0EEENS1_30default_config_static_selectorELNS0_4arch9wavefront6targetE1EEEvT1_.kd
    .uniform_work_group_size: 1
    .uses_dynamic_stack: false
    .vgpr_count:     0
    .vgpr_spill_count: 0
    .wavefront_size: 64
  - .agpr_count:     0
    .args:
      - .offset:         0
        .size:           120
        .value_kind:     by_value
    .group_segment_fixed_size: 0
    .kernarg_segment_align: 8
    .kernarg_segment_size: 120
    .language:       OpenCL C
    .language_version:
      - 2
      - 0
    .max_flat_workgroup_size: 256
    .name:           _ZN7rocprim17ROCPRIM_400000_NS6detail17trampoline_kernelINS0_14default_configENS1_29reduce_by_key_config_selectorIttN6thrust23THRUST_200600_302600_NS4plusItEEEEZZNS1_33reduce_by_key_impl_wrapped_configILNS1_25lookback_scan_determinismE0ES3_S9_NS6_6detail15normal_iteratorINS6_10device_ptrItEEEESG_SG_SG_PmS8_NS6_8equal_toItEEEE10hipError_tPvRmT2_T3_mT4_T5_T6_T7_T8_P12ihipStream_tbENKUlT_T0_E_clISt17integral_constantIbLb0EES10_IbLb1EEEEDaSW_SX_EUlSW_E_NS1_11comp_targetILNS1_3genE8ELNS1_11target_archE1030ELNS1_3gpuE2ELNS1_3repE0EEENS1_30default_config_static_selectorELNS0_4arch9wavefront6targetE1EEEvT1_
    .private_segment_fixed_size: 0
    .sgpr_count:     4
    .sgpr_spill_count: 0
    .symbol:         _ZN7rocprim17ROCPRIM_400000_NS6detail17trampoline_kernelINS0_14default_configENS1_29reduce_by_key_config_selectorIttN6thrust23THRUST_200600_302600_NS4plusItEEEEZZNS1_33reduce_by_key_impl_wrapped_configILNS1_25lookback_scan_determinismE0ES3_S9_NS6_6detail15normal_iteratorINS6_10device_ptrItEEEESG_SG_SG_PmS8_NS6_8equal_toItEEEE10hipError_tPvRmT2_T3_mT4_T5_T6_T7_T8_P12ihipStream_tbENKUlT_T0_E_clISt17integral_constantIbLb0EES10_IbLb1EEEEDaSW_SX_EUlSW_E_NS1_11comp_targetILNS1_3genE8ELNS1_11target_archE1030ELNS1_3gpuE2ELNS1_3repE0EEENS1_30default_config_static_selectorELNS0_4arch9wavefront6targetE1EEEvT1_.kd
    .uniform_work_group_size: 1
    .uses_dynamic_stack: false
    .vgpr_count:     0
    .vgpr_spill_count: 0
    .wavefront_size: 64
  - .agpr_count:     0
    .args:
      - .offset:         0
        .size:           120
        .value_kind:     by_value
    .group_segment_fixed_size: 0
    .kernarg_segment_align: 8
    .kernarg_segment_size: 120
    .language:       OpenCL C
    .language_version:
      - 2
      - 0
    .max_flat_workgroup_size: 256
    .name:           _ZN7rocprim17ROCPRIM_400000_NS6detail17trampoline_kernelINS0_14default_configENS1_29reduce_by_key_config_selectorIttN6thrust23THRUST_200600_302600_NS4plusItEEEEZZNS1_33reduce_by_key_impl_wrapped_configILNS1_25lookback_scan_determinismE0ES3_S9_NS6_6detail15normal_iteratorINS6_10device_ptrItEEEESG_SG_SG_PmS8_22is_equal_div_10_reduceItEEE10hipError_tPvRmT2_T3_mT4_T5_T6_T7_T8_P12ihipStream_tbENKUlT_T0_E_clISt17integral_constantIbLb0EES11_EEDaSW_SX_EUlSW_E_NS1_11comp_targetILNS1_3genE0ELNS1_11target_archE4294967295ELNS1_3gpuE0ELNS1_3repE0EEENS1_30default_config_static_selectorELNS0_4arch9wavefront6targetE1EEEvT1_
    .private_segment_fixed_size: 0
    .sgpr_count:     4
    .sgpr_spill_count: 0
    .symbol:         _ZN7rocprim17ROCPRIM_400000_NS6detail17trampoline_kernelINS0_14default_configENS1_29reduce_by_key_config_selectorIttN6thrust23THRUST_200600_302600_NS4plusItEEEEZZNS1_33reduce_by_key_impl_wrapped_configILNS1_25lookback_scan_determinismE0ES3_S9_NS6_6detail15normal_iteratorINS6_10device_ptrItEEEESG_SG_SG_PmS8_22is_equal_div_10_reduceItEEE10hipError_tPvRmT2_T3_mT4_T5_T6_T7_T8_P12ihipStream_tbENKUlT_T0_E_clISt17integral_constantIbLb0EES11_EEDaSW_SX_EUlSW_E_NS1_11comp_targetILNS1_3genE0ELNS1_11target_archE4294967295ELNS1_3gpuE0ELNS1_3repE0EEENS1_30default_config_static_selectorELNS0_4arch9wavefront6targetE1EEEvT1_.kd
    .uniform_work_group_size: 1
    .uses_dynamic_stack: false
    .vgpr_count:     0
    .vgpr_spill_count: 0
    .wavefront_size: 64
  - .agpr_count:     0
    .args:
      - .offset:         0
        .size:           120
        .value_kind:     by_value
    .group_segment_fixed_size: 0
    .kernarg_segment_align: 8
    .kernarg_segment_size: 120
    .language:       OpenCL C
    .language_version:
      - 2
      - 0
    .max_flat_workgroup_size: 256
    .name:           _ZN7rocprim17ROCPRIM_400000_NS6detail17trampoline_kernelINS0_14default_configENS1_29reduce_by_key_config_selectorIttN6thrust23THRUST_200600_302600_NS4plusItEEEEZZNS1_33reduce_by_key_impl_wrapped_configILNS1_25lookback_scan_determinismE0ES3_S9_NS6_6detail15normal_iteratorINS6_10device_ptrItEEEESG_SG_SG_PmS8_22is_equal_div_10_reduceItEEE10hipError_tPvRmT2_T3_mT4_T5_T6_T7_T8_P12ihipStream_tbENKUlT_T0_E_clISt17integral_constantIbLb0EES11_EEDaSW_SX_EUlSW_E_NS1_11comp_targetILNS1_3genE5ELNS1_11target_archE942ELNS1_3gpuE9ELNS1_3repE0EEENS1_30default_config_static_selectorELNS0_4arch9wavefront6targetE1EEEvT1_
    .private_segment_fixed_size: 0
    .sgpr_count:     4
    .sgpr_spill_count: 0
    .symbol:         _ZN7rocprim17ROCPRIM_400000_NS6detail17trampoline_kernelINS0_14default_configENS1_29reduce_by_key_config_selectorIttN6thrust23THRUST_200600_302600_NS4plusItEEEEZZNS1_33reduce_by_key_impl_wrapped_configILNS1_25lookback_scan_determinismE0ES3_S9_NS6_6detail15normal_iteratorINS6_10device_ptrItEEEESG_SG_SG_PmS8_22is_equal_div_10_reduceItEEE10hipError_tPvRmT2_T3_mT4_T5_T6_T7_T8_P12ihipStream_tbENKUlT_T0_E_clISt17integral_constantIbLb0EES11_EEDaSW_SX_EUlSW_E_NS1_11comp_targetILNS1_3genE5ELNS1_11target_archE942ELNS1_3gpuE9ELNS1_3repE0EEENS1_30default_config_static_selectorELNS0_4arch9wavefront6targetE1EEEvT1_.kd
    .uniform_work_group_size: 1
    .uses_dynamic_stack: false
    .vgpr_count:     0
    .vgpr_spill_count: 0
    .wavefront_size: 64
  - .agpr_count:     0
    .args:
      - .offset:         0
        .size:           120
        .value_kind:     by_value
    .group_segment_fixed_size: 7680
    .kernarg_segment_align: 8
    .kernarg_segment_size: 120
    .language:       OpenCL C
    .language_version:
      - 2
      - 0
    .max_flat_workgroup_size: 256
    .name:           _ZN7rocprim17ROCPRIM_400000_NS6detail17trampoline_kernelINS0_14default_configENS1_29reduce_by_key_config_selectorIttN6thrust23THRUST_200600_302600_NS4plusItEEEEZZNS1_33reduce_by_key_impl_wrapped_configILNS1_25lookback_scan_determinismE0ES3_S9_NS6_6detail15normal_iteratorINS6_10device_ptrItEEEESG_SG_SG_PmS8_22is_equal_div_10_reduceItEEE10hipError_tPvRmT2_T3_mT4_T5_T6_T7_T8_P12ihipStream_tbENKUlT_T0_E_clISt17integral_constantIbLb0EES11_EEDaSW_SX_EUlSW_E_NS1_11comp_targetILNS1_3genE4ELNS1_11target_archE910ELNS1_3gpuE8ELNS1_3repE0EEENS1_30default_config_static_selectorELNS0_4arch9wavefront6targetE1EEEvT1_
    .private_segment_fixed_size: 0
    .sgpr_count:     67
    .sgpr_spill_count: 0
    .symbol:         _ZN7rocprim17ROCPRIM_400000_NS6detail17trampoline_kernelINS0_14default_configENS1_29reduce_by_key_config_selectorIttN6thrust23THRUST_200600_302600_NS4plusItEEEEZZNS1_33reduce_by_key_impl_wrapped_configILNS1_25lookback_scan_determinismE0ES3_S9_NS6_6detail15normal_iteratorINS6_10device_ptrItEEEESG_SG_SG_PmS8_22is_equal_div_10_reduceItEEE10hipError_tPvRmT2_T3_mT4_T5_T6_T7_T8_P12ihipStream_tbENKUlT_T0_E_clISt17integral_constantIbLb0EES11_EEDaSW_SX_EUlSW_E_NS1_11comp_targetILNS1_3genE4ELNS1_11target_archE910ELNS1_3gpuE8ELNS1_3repE0EEENS1_30default_config_static_selectorELNS0_4arch9wavefront6targetE1EEEvT1_.kd
    .uniform_work_group_size: 1
    .uses_dynamic_stack: false
    .vgpr_count:     111
    .vgpr_spill_count: 0
    .wavefront_size: 64
  - .agpr_count:     0
    .args:
      - .offset:         0
        .size:           120
        .value_kind:     by_value
    .group_segment_fixed_size: 0
    .kernarg_segment_align: 8
    .kernarg_segment_size: 120
    .language:       OpenCL C
    .language_version:
      - 2
      - 0
    .max_flat_workgroup_size: 256
    .name:           _ZN7rocprim17ROCPRIM_400000_NS6detail17trampoline_kernelINS0_14default_configENS1_29reduce_by_key_config_selectorIttN6thrust23THRUST_200600_302600_NS4plusItEEEEZZNS1_33reduce_by_key_impl_wrapped_configILNS1_25lookback_scan_determinismE0ES3_S9_NS6_6detail15normal_iteratorINS6_10device_ptrItEEEESG_SG_SG_PmS8_22is_equal_div_10_reduceItEEE10hipError_tPvRmT2_T3_mT4_T5_T6_T7_T8_P12ihipStream_tbENKUlT_T0_E_clISt17integral_constantIbLb0EES11_EEDaSW_SX_EUlSW_E_NS1_11comp_targetILNS1_3genE3ELNS1_11target_archE908ELNS1_3gpuE7ELNS1_3repE0EEENS1_30default_config_static_selectorELNS0_4arch9wavefront6targetE1EEEvT1_
    .private_segment_fixed_size: 0
    .sgpr_count:     4
    .sgpr_spill_count: 0
    .symbol:         _ZN7rocprim17ROCPRIM_400000_NS6detail17trampoline_kernelINS0_14default_configENS1_29reduce_by_key_config_selectorIttN6thrust23THRUST_200600_302600_NS4plusItEEEEZZNS1_33reduce_by_key_impl_wrapped_configILNS1_25lookback_scan_determinismE0ES3_S9_NS6_6detail15normal_iteratorINS6_10device_ptrItEEEESG_SG_SG_PmS8_22is_equal_div_10_reduceItEEE10hipError_tPvRmT2_T3_mT4_T5_T6_T7_T8_P12ihipStream_tbENKUlT_T0_E_clISt17integral_constantIbLb0EES11_EEDaSW_SX_EUlSW_E_NS1_11comp_targetILNS1_3genE3ELNS1_11target_archE908ELNS1_3gpuE7ELNS1_3repE0EEENS1_30default_config_static_selectorELNS0_4arch9wavefront6targetE1EEEvT1_.kd
    .uniform_work_group_size: 1
    .uses_dynamic_stack: false
    .vgpr_count:     0
    .vgpr_spill_count: 0
    .wavefront_size: 64
  - .agpr_count:     0
    .args:
      - .offset:         0
        .size:           120
        .value_kind:     by_value
    .group_segment_fixed_size: 0
    .kernarg_segment_align: 8
    .kernarg_segment_size: 120
    .language:       OpenCL C
    .language_version:
      - 2
      - 0
    .max_flat_workgroup_size: 256
    .name:           _ZN7rocprim17ROCPRIM_400000_NS6detail17trampoline_kernelINS0_14default_configENS1_29reduce_by_key_config_selectorIttN6thrust23THRUST_200600_302600_NS4plusItEEEEZZNS1_33reduce_by_key_impl_wrapped_configILNS1_25lookback_scan_determinismE0ES3_S9_NS6_6detail15normal_iteratorINS6_10device_ptrItEEEESG_SG_SG_PmS8_22is_equal_div_10_reduceItEEE10hipError_tPvRmT2_T3_mT4_T5_T6_T7_T8_P12ihipStream_tbENKUlT_T0_E_clISt17integral_constantIbLb0EES11_EEDaSW_SX_EUlSW_E_NS1_11comp_targetILNS1_3genE2ELNS1_11target_archE906ELNS1_3gpuE6ELNS1_3repE0EEENS1_30default_config_static_selectorELNS0_4arch9wavefront6targetE1EEEvT1_
    .private_segment_fixed_size: 0
    .sgpr_count:     4
    .sgpr_spill_count: 0
    .symbol:         _ZN7rocprim17ROCPRIM_400000_NS6detail17trampoline_kernelINS0_14default_configENS1_29reduce_by_key_config_selectorIttN6thrust23THRUST_200600_302600_NS4plusItEEEEZZNS1_33reduce_by_key_impl_wrapped_configILNS1_25lookback_scan_determinismE0ES3_S9_NS6_6detail15normal_iteratorINS6_10device_ptrItEEEESG_SG_SG_PmS8_22is_equal_div_10_reduceItEEE10hipError_tPvRmT2_T3_mT4_T5_T6_T7_T8_P12ihipStream_tbENKUlT_T0_E_clISt17integral_constantIbLb0EES11_EEDaSW_SX_EUlSW_E_NS1_11comp_targetILNS1_3genE2ELNS1_11target_archE906ELNS1_3gpuE6ELNS1_3repE0EEENS1_30default_config_static_selectorELNS0_4arch9wavefront6targetE1EEEvT1_.kd
    .uniform_work_group_size: 1
    .uses_dynamic_stack: false
    .vgpr_count:     0
    .vgpr_spill_count: 0
    .wavefront_size: 64
  - .agpr_count:     0
    .args:
      - .offset:         0
        .size:           120
        .value_kind:     by_value
    .group_segment_fixed_size: 0
    .kernarg_segment_align: 8
    .kernarg_segment_size: 120
    .language:       OpenCL C
    .language_version:
      - 2
      - 0
    .max_flat_workgroup_size: 256
    .name:           _ZN7rocprim17ROCPRIM_400000_NS6detail17trampoline_kernelINS0_14default_configENS1_29reduce_by_key_config_selectorIttN6thrust23THRUST_200600_302600_NS4plusItEEEEZZNS1_33reduce_by_key_impl_wrapped_configILNS1_25lookback_scan_determinismE0ES3_S9_NS6_6detail15normal_iteratorINS6_10device_ptrItEEEESG_SG_SG_PmS8_22is_equal_div_10_reduceItEEE10hipError_tPvRmT2_T3_mT4_T5_T6_T7_T8_P12ihipStream_tbENKUlT_T0_E_clISt17integral_constantIbLb0EES11_EEDaSW_SX_EUlSW_E_NS1_11comp_targetILNS1_3genE10ELNS1_11target_archE1201ELNS1_3gpuE5ELNS1_3repE0EEENS1_30default_config_static_selectorELNS0_4arch9wavefront6targetE1EEEvT1_
    .private_segment_fixed_size: 0
    .sgpr_count:     4
    .sgpr_spill_count: 0
    .symbol:         _ZN7rocprim17ROCPRIM_400000_NS6detail17trampoline_kernelINS0_14default_configENS1_29reduce_by_key_config_selectorIttN6thrust23THRUST_200600_302600_NS4plusItEEEEZZNS1_33reduce_by_key_impl_wrapped_configILNS1_25lookback_scan_determinismE0ES3_S9_NS6_6detail15normal_iteratorINS6_10device_ptrItEEEESG_SG_SG_PmS8_22is_equal_div_10_reduceItEEE10hipError_tPvRmT2_T3_mT4_T5_T6_T7_T8_P12ihipStream_tbENKUlT_T0_E_clISt17integral_constantIbLb0EES11_EEDaSW_SX_EUlSW_E_NS1_11comp_targetILNS1_3genE10ELNS1_11target_archE1201ELNS1_3gpuE5ELNS1_3repE0EEENS1_30default_config_static_selectorELNS0_4arch9wavefront6targetE1EEEvT1_.kd
    .uniform_work_group_size: 1
    .uses_dynamic_stack: false
    .vgpr_count:     0
    .vgpr_spill_count: 0
    .wavefront_size: 64
  - .agpr_count:     0
    .args:
      - .offset:         0
        .size:           120
        .value_kind:     by_value
    .group_segment_fixed_size: 0
    .kernarg_segment_align: 8
    .kernarg_segment_size: 120
    .language:       OpenCL C
    .language_version:
      - 2
      - 0
    .max_flat_workgroup_size: 256
    .name:           _ZN7rocprim17ROCPRIM_400000_NS6detail17trampoline_kernelINS0_14default_configENS1_29reduce_by_key_config_selectorIttN6thrust23THRUST_200600_302600_NS4plusItEEEEZZNS1_33reduce_by_key_impl_wrapped_configILNS1_25lookback_scan_determinismE0ES3_S9_NS6_6detail15normal_iteratorINS6_10device_ptrItEEEESG_SG_SG_PmS8_22is_equal_div_10_reduceItEEE10hipError_tPvRmT2_T3_mT4_T5_T6_T7_T8_P12ihipStream_tbENKUlT_T0_E_clISt17integral_constantIbLb0EES11_EEDaSW_SX_EUlSW_E_NS1_11comp_targetILNS1_3genE10ELNS1_11target_archE1200ELNS1_3gpuE4ELNS1_3repE0EEENS1_30default_config_static_selectorELNS0_4arch9wavefront6targetE1EEEvT1_
    .private_segment_fixed_size: 0
    .sgpr_count:     4
    .sgpr_spill_count: 0
    .symbol:         _ZN7rocprim17ROCPRIM_400000_NS6detail17trampoline_kernelINS0_14default_configENS1_29reduce_by_key_config_selectorIttN6thrust23THRUST_200600_302600_NS4plusItEEEEZZNS1_33reduce_by_key_impl_wrapped_configILNS1_25lookback_scan_determinismE0ES3_S9_NS6_6detail15normal_iteratorINS6_10device_ptrItEEEESG_SG_SG_PmS8_22is_equal_div_10_reduceItEEE10hipError_tPvRmT2_T3_mT4_T5_T6_T7_T8_P12ihipStream_tbENKUlT_T0_E_clISt17integral_constantIbLb0EES11_EEDaSW_SX_EUlSW_E_NS1_11comp_targetILNS1_3genE10ELNS1_11target_archE1200ELNS1_3gpuE4ELNS1_3repE0EEENS1_30default_config_static_selectorELNS0_4arch9wavefront6targetE1EEEvT1_.kd
    .uniform_work_group_size: 1
    .uses_dynamic_stack: false
    .vgpr_count:     0
    .vgpr_spill_count: 0
    .wavefront_size: 64
  - .agpr_count:     0
    .args:
      - .offset:         0
        .size:           120
        .value_kind:     by_value
    .group_segment_fixed_size: 0
    .kernarg_segment_align: 8
    .kernarg_segment_size: 120
    .language:       OpenCL C
    .language_version:
      - 2
      - 0
    .max_flat_workgroup_size: 256
    .name:           _ZN7rocprim17ROCPRIM_400000_NS6detail17trampoline_kernelINS0_14default_configENS1_29reduce_by_key_config_selectorIttN6thrust23THRUST_200600_302600_NS4plusItEEEEZZNS1_33reduce_by_key_impl_wrapped_configILNS1_25lookback_scan_determinismE0ES3_S9_NS6_6detail15normal_iteratorINS6_10device_ptrItEEEESG_SG_SG_PmS8_22is_equal_div_10_reduceItEEE10hipError_tPvRmT2_T3_mT4_T5_T6_T7_T8_P12ihipStream_tbENKUlT_T0_E_clISt17integral_constantIbLb0EES11_EEDaSW_SX_EUlSW_E_NS1_11comp_targetILNS1_3genE9ELNS1_11target_archE1100ELNS1_3gpuE3ELNS1_3repE0EEENS1_30default_config_static_selectorELNS0_4arch9wavefront6targetE1EEEvT1_
    .private_segment_fixed_size: 0
    .sgpr_count:     4
    .sgpr_spill_count: 0
    .symbol:         _ZN7rocprim17ROCPRIM_400000_NS6detail17trampoline_kernelINS0_14default_configENS1_29reduce_by_key_config_selectorIttN6thrust23THRUST_200600_302600_NS4plusItEEEEZZNS1_33reduce_by_key_impl_wrapped_configILNS1_25lookback_scan_determinismE0ES3_S9_NS6_6detail15normal_iteratorINS6_10device_ptrItEEEESG_SG_SG_PmS8_22is_equal_div_10_reduceItEEE10hipError_tPvRmT2_T3_mT4_T5_T6_T7_T8_P12ihipStream_tbENKUlT_T0_E_clISt17integral_constantIbLb0EES11_EEDaSW_SX_EUlSW_E_NS1_11comp_targetILNS1_3genE9ELNS1_11target_archE1100ELNS1_3gpuE3ELNS1_3repE0EEENS1_30default_config_static_selectorELNS0_4arch9wavefront6targetE1EEEvT1_.kd
    .uniform_work_group_size: 1
    .uses_dynamic_stack: false
    .vgpr_count:     0
    .vgpr_spill_count: 0
    .wavefront_size: 64
  - .agpr_count:     0
    .args:
      - .offset:         0
        .size:           120
        .value_kind:     by_value
    .group_segment_fixed_size: 0
    .kernarg_segment_align: 8
    .kernarg_segment_size: 120
    .language:       OpenCL C
    .language_version:
      - 2
      - 0
    .max_flat_workgroup_size: 256
    .name:           _ZN7rocprim17ROCPRIM_400000_NS6detail17trampoline_kernelINS0_14default_configENS1_29reduce_by_key_config_selectorIttN6thrust23THRUST_200600_302600_NS4plusItEEEEZZNS1_33reduce_by_key_impl_wrapped_configILNS1_25lookback_scan_determinismE0ES3_S9_NS6_6detail15normal_iteratorINS6_10device_ptrItEEEESG_SG_SG_PmS8_22is_equal_div_10_reduceItEEE10hipError_tPvRmT2_T3_mT4_T5_T6_T7_T8_P12ihipStream_tbENKUlT_T0_E_clISt17integral_constantIbLb0EES11_EEDaSW_SX_EUlSW_E_NS1_11comp_targetILNS1_3genE8ELNS1_11target_archE1030ELNS1_3gpuE2ELNS1_3repE0EEENS1_30default_config_static_selectorELNS0_4arch9wavefront6targetE1EEEvT1_
    .private_segment_fixed_size: 0
    .sgpr_count:     4
    .sgpr_spill_count: 0
    .symbol:         _ZN7rocprim17ROCPRIM_400000_NS6detail17trampoline_kernelINS0_14default_configENS1_29reduce_by_key_config_selectorIttN6thrust23THRUST_200600_302600_NS4plusItEEEEZZNS1_33reduce_by_key_impl_wrapped_configILNS1_25lookback_scan_determinismE0ES3_S9_NS6_6detail15normal_iteratorINS6_10device_ptrItEEEESG_SG_SG_PmS8_22is_equal_div_10_reduceItEEE10hipError_tPvRmT2_T3_mT4_T5_T6_T7_T8_P12ihipStream_tbENKUlT_T0_E_clISt17integral_constantIbLb0EES11_EEDaSW_SX_EUlSW_E_NS1_11comp_targetILNS1_3genE8ELNS1_11target_archE1030ELNS1_3gpuE2ELNS1_3repE0EEENS1_30default_config_static_selectorELNS0_4arch9wavefront6targetE1EEEvT1_.kd
    .uniform_work_group_size: 1
    .uses_dynamic_stack: false
    .vgpr_count:     0
    .vgpr_spill_count: 0
    .wavefront_size: 64
  - .agpr_count:     0
    .args:
      - .offset:         0
        .size:           120
        .value_kind:     by_value
    .group_segment_fixed_size: 0
    .kernarg_segment_align: 8
    .kernarg_segment_size: 120
    .language:       OpenCL C
    .language_version:
      - 2
      - 0
    .max_flat_workgroup_size: 256
    .name:           _ZN7rocprim17ROCPRIM_400000_NS6detail17trampoline_kernelINS0_14default_configENS1_29reduce_by_key_config_selectorIttN6thrust23THRUST_200600_302600_NS4plusItEEEEZZNS1_33reduce_by_key_impl_wrapped_configILNS1_25lookback_scan_determinismE0ES3_S9_NS6_6detail15normal_iteratorINS6_10device_ptrItEEEESG_SG_SG_PmS8_22is_equal_div_10_reduceItEEE10hipError_tPvRmT2_T3_mT4_T5_T6_T7_T8_P12ihipStream_tbENKUlT_T0_E_clISt17integral_constantIbLb1EES11_EEDaSW_SX_EUlSW_E_NS1_11comp_targetILNS1_3genE0ELNS1_11target_archE4294967295ELNS1_3gpuE0ELNS1_3repE0EEENS1_30default_config_static_selectorELNS0_4arch9wavefront6targetE1EEEvT1_
    .private_segment_fixed_size: 0
    .sgpr_count:     4
    .sgpr_spill_count: 0
    .symbol:         _ZN7rocprim17ROCPRIM_400000_NS6detail17trampoline_kernelINS0_14default_configENS1_29reduce_by_key_config_selectorIttN6thrust23THRUST_200600_302600_NS4plusItEEEEZZNS1_33reduce_by_key_impl_wrapped_configILNS1_25lookback_scan_determinismE0ES3_S9_NS6_6detail15normal_iteratorINS6_10device_ptrItEEEESG_SG_SG_PmS8_22is_equal_div_10_reduceItEEE10hipError_tPvRmT2_T3_mT4_T5_T6_T7_T8_P12ihipStream_tbENKUlT_T0_E_clISt17integral_constantIbLb1EES11_EEDaSW_SX_EUlSW_E_NS1_11comp_targetILNS1_3genE0ELNS1_11target_archE4294967295ELNS1_3gpuE0ELNS1_3repE0EEENS1_30default_config_static_selectorELNS0_4arch9wavefront6targetE1EEEvT1_.kd
    .uniform_work_group_size: 1
    .uses_dynamic_stack: false
    .vgpr_count:     0
    .vgpr_spill_count: 0
    .wavefront_size: 64
  - .agpr_count:     0
    .args:
      - .offset:         0
        .size:           120
        .value_kind:     by_value
    .group_segment_fixed_size: 0
    .kernarg_segment_align: 8
    .kernarg_segment_size: 120
    .language:       OpenCL C
    .language_version:
      - 2
      - 0
    .max_flat_workgroup_size: 256
    .name:           _ZN7rocprim17ROCPRIM_400000_NS6detail17trampoline_kernelINS0_14default_configENS1_29reduce_by_key_config_selectorIttN6thrust23THRUST_200600_302600_NS4plusItEEEEZZNS1_33reduce_by_key_impl_wrapped_configILNS1_25lookback_scan_determinismE0ES3_S9_NS6_6detail15normal_iteratorINS6_10device_ptrItEEEESG_SG_SG_PmS8_22is_equal_div_10_reduceItEEE10hipError_tPvRmT2_T3_mT4_T5_T6_T7_T8_P12ihipStream_tbENKUlT_T0_E_clISt17integral_constantIbLb1EES11_EEDaSW_SX_EUlSW_E_NS1_11comp_targetILNS1_3genE5ELNS1_11target_archE942ELNS1_3gpuE9ELNS1_3repE0EEENS1_30default_config_static_selectorELNS0_4arch9wavefront6targetE1EEEvT1_
    .private_segment_fixed_size: 0
    .sgpr_count:     4
    .sgpr_spill_count: 0
    .symbol:         _ZN7rocprim17ROCPRIM_400000_NS6detail17trampoline_kernelINS0_14default_configENS1_29reduce_by_key_config_selectorIttN6thrust23THRUST_200600_302600_NS4plusItEEEEZZNS1_33reduce_by_key_impl_wrapped_configILNS1_25lookback_scan_determinismE0ES3_S9_NS6_6detail15normal_iteratorINS6_10device_ptrItEEEESG_SG_SG_PmS8_22is_equal_div_10_reduceItEEE10hipError_tPvRmT2_T3_mT4_T5_T6_T7_T8_P12ihipStream_tbENKUlT_T0_E_clISt17integral_constantIbLb1EES11_EEDaSW_SX_EUlSW_E_NS1_11comp_targetILNS1_3genE5ELNS1_11target_archE942ELNS1_3gpuE9ELNS1_3repE0EEENS1_30default_config_static_selectorELNS0_4arch9wavefront6targetE1EEEvT1_.kd
    .uniform_work_group_size: 1
    .uses_dynamic_stack: false
    .vgpr_count:     0
    .vgpr_spill_count: 0
    .wavefront_size: 64
  - .agpr_count:     0
    .args:
      - .offset:         0
        .size:           120
        .value_kind:     by_value
    .group_segment_fixed_size: 7680
    .kernarg_segment_align: 8
    .kernarg_segment_size: 120
    .language:       OpenCL C
    .language_version:
      - 2
      - 0
    .max_flat_workgroup_size: 256
    .name:           _ZN7rocprim17ROCPRIM_400000_NS6detail17trampoline_kernelINS0_14default_configENS1_29reduce_by_key_config_selectorIttN6thrust23THRUST_200600_302600_NS4plusItEEEEZZNS1_33reduce_by_key_impl_wrapped_configILNS1_25lookback_scan_determinismE0ES3_S9_NS6_6detail15normal_iteratorINS6_10device_ptrItEEEESG_SG_SG_PmS8_22is_equal_div_10_reduceItEEE10hipError_tPvRmT2_T3_mT4_T5_T6_T7_T8_P12ihipStream_tbENKUlT_T0_E_clISt17integral_constantIbLb1EES11_EEDaSW_SX_EUlSW_E_NS1_11comp_targetILNS1_3genE4ELNS1_11target_archE910ELNS1_3gpuE8ELNS1_3repE0EEENS1_30default_config_static_selectorELNS0_4arch9wavefront6targetE1EEEvT1_
    .private_segment_fixed_size: 0
    .sgpr_count:     70
    .sgpr_spill_count: 0
    .symbol:         _ZN7rocprim17ROCPRIM_400000_NS6detail17trampoline_kernelINS0_14default_configENS1_29reduce_by_key_config_selectorIttN6thrust23THRUST_200600_302600_NS4plusItEEEEZZNS1_33reduce_by_key_impl_wrapped_configILNS1_25lookback_scan_determinismE0ES3_S9_NS6_6detail15normal_iteratorINS6_10device_ptrItEEEESG_SG_SG_PmS8_22is_equal_div_10_reduceItEEE10hipError_tPvRmT2_T3_mT4_T5_T6_T7_T8_P12ihipStream_tbENKUlT_T0_E_clISt17integral_constantIbLb1EES11_EEDaSW_SX_EUlSW_E_NS1_11comp_targetILNS1_3genE4ELNS1_11target_archE910ELNS1_3gpuE8ELNS1_3repE0EEENS1_30default_config_static_selectorELNS0_4arch9wavefront6targetE1EEEvT1_.kd
    .uniform_work_group_size: 1
    .uses_dynamic_stack: false
    .vgpr_count:     110
    .vgpr_spill_count: 0
    .wavefront_size: 64
  - .agpr_count:     0
    .args:
      - .offset:         0
        .size:           120
        .value_kind:     by_value
    .group_segment_fixed_size: 0
    .kernarg_segment_align: 8
    .kernarg_segment_size: 120
    .language:       OpenCL C
    .language_version:
      - 2
      - 0
    .max_flat_workgroup_size: 256
    .name:           _ZN7rocprim17ROCPRIM_400000_NS6detail17trampoline_kernelINS0_14default_configENS1_29reduce_by_key_config_selectorIttN6thrust23THRUST_200600_302600_NS4plusItEEEEZZNS1_33reduce_by_key_impl_wrapped_configILNS1_25lookback_scan_determinismE0ES3_S9_NS6_6detail15normal_iteratorINS6_10device_ptrItEEEESG_SG_SG_PmS8_22is_equal_div_10_reduceItEEE10hipError_tPvRmT2_T3_mT4_T5_T6_T7_T8_P12ihipStream_tbENKUlT_T0_E_clISt17integral_constantIbLb1EES11_EEDaSW_SX_EUlSW_E_NS1_11comp_targetILNS1_3genE3ELNS1_11target_archE908ELNS1_3gpuE7ELNS1_3repE0EEENS1_30default_config_static_selectorELNS0_4arch9wavefront6targetE1EEEvT1_
    .private_segment_fixed_size: 0
    .sgpr_count:     4
    .sgpr_spill_count: 0
    .symbol:         _ZN7rocprim17ROCPRIM_400000_NS6detail17trampoline_kernelINS0_14default_configENS1_29reduce_by_key_config_selectorIttN6thrust23THRUST_200600_302600_NS4plusItEEEEZZNS1_33reduce_by_key_impl_wrapped_configILNS1_25lookback_scan_determinismE0ES3_S9_NS6_6detail15normal_iteratorINS6_10device_ptrItEEEESG_SG_SG_PmS8_22is_equal_div_10_reduceItEEE10hipError_tPvRmT2_T3_mT4_T5_T6_T7_T8_P12ihipStream_tbENKUlT_T0_E_clISt17integral_constantIbLb1EES11_EEDaSW_SX_EUlSW_E_NS1_11comp_targetILNS1_3genE3ELNS1_11target_archE908ELNS1_3gpuE7ELNS1_3repE0EEENS1_30default_config_static_selectorELNS0_4arch9wavefront6targetE1EEEvT1_.kd
    .uniform_work_group_size: 1
    .uses_dynamic_stack: false
    .vgpr_count:     0
    .vgpr_spill_count: 0
    .wavefront_size: 64
  - .agpr_count:     0
    .args:
      - .offset:         0
        .size:           120
        .value_kind:     by_value
    .group_segment_fixed_size: 0
    .kernarg_segment_align: 8
    .kernarg_segment_size: 120
    .language:       OpenCL C
    .language_version:
      - 2
      - 0
    .max_flat_workgroup_size: 256
    .name:           _ZN7rocprim17ROCPRIM_400000_NS6detail17trampoline_kernelINS0_14default_configENS1_29reduce_by_key_config_selectorIttN6thrust23THRUST_200600_302600_NS4plusItEEEEZZNS1_33reduce_by_key_impl_wrapped_configILNS1_25lookback_scan_determinismE0ES3_S9_NS6_6detail15normal_iteratorINS6_10device_ptrItEEEESG_SG_SG_PmS8_22is_equal_div_10_reduceItEEE10hipError_tPvRmT2_T3_mT4_T5_T6_T7_T8_P12ihipStream_tbENKUlT_T0_E_clISt17integral_constantIbLb1EES11_EEDaSW_SX_EUlSW_E_NS1_11comp_targetILNS1_3genE2ELNS1_11target_archE906ELNS1_3gpuE6ELNS1_3repE0EEENS1_30default_config_static_selectorELNS0_4arch9wavefront6targetE1EEEvT1_
    .private_segment_fixed_size: 0
    .sgpr_count:     4
    .sgpr_spill_count: 0
    .symbol:         _ZN7rocprim17ROCPRIM_400000_NS6detail17trampoline_kernelINS0_14default_configENS1_29reduce_by_key_config_selectorIttN6thrust23THRUST_200600_302600_NS4plusItEEEEZZNS1_33reduce_by_key_impl_wrapped_configILNS1_25lookback_scan_determinismE0ES3_S9_NS6_6detail15normal_iteratorINS6_10device_ptrItEEEESG_SG_SG_PmS8_22is_equal_div_10_reduceItEEE10hipError_tPvRmT2_T3_mT4_T5_T6_T7_T8_P12ihipStream_tbENKUlT_T0_E_clISt17integral_constantIbLb1EES11_EEDaSW_SX_EUlSW_E_NS1_11comp_targetILNS1_3genE2ELNS1_11target_archE906ELNS1_3gpuE6ELNS1_3repE0EEENS1_30default_config_static_selectorELNS0_4arch9wavefront6targetE1EEEvT1_.kd
    .uniform_work_group_size: 1
    .uses_dynamic_stack: false
    .vgpr_count:     0
    .vgpr_spill_count: 0
    .wavefront_size: 64
  - .agpr_count:     0
    .args:
      - .offset:         0
        .size:           120
        .value_kind:     by_value
    .group_segment_fixed_size: 0
    .kernarg_segment_align: 8
    .kernarg_segment_size: 120
    .language:       OpenCL C
    .language_version:
      - 2
      - 0
    .max_flat_workgroup_size: 256
    .name:           _ZN7rocprim17ROCPRIM_400000_NS6detail17trampoline_kernelINS0_14default_configENS1_29reduce_by_key_config_selectorIttN6thrust23THRUST_200600_302600_NS4plusItEEEEZZNS1_33reduce_by_key_impl_wrapped_configILNS1_25lookback_scan_determinismE0ES3_S9_NS6_6detail15normal_iteratorINS6_10device_ptrItEEEESG_SG_SG_PmS8_22is_equal_div_10_reduceItEEE10hipError_tPvRmT2_T3_mT4_T5_T6_T7_T8_P12ihipStream_tbENKUlT_T0_E_clISt17integral_constantIbLb1EES11_EEDaSW_SX_EUlSW_E_NS1_11comp_targetILNS1_3genE10ELNS1_11target_archE1201ELNS1_3gpuE5ELNS1_3repE0EEENS1_30default_config_static_selectorELNS0_4arch9wavefront6targetE1EEEvT1_
    .private_segment_fixed_size: 0
    .sgpr_count:     4
    .sgpr_spill_count: 0
    .symbol:         _ZN7rocprim17ROCPRIM_400000_NS6detail17trampoline_kernelINS0_14default_configENS1_29reduce_by_key_config_selectorIttN6thrust23THRUST_200600_302600_NS4plusItEEEEZZNS1_33reduce_by_key_impl_wrapped_configILNS1_25lookback_scan_determinismE0ES3_S9_NS6_6detail15normal_iteratorINS6_10device_ptrItEEEESG_SG_SG_PmS8_22is_equal_div_10_reduceItEEE10hipError_tPvRmT2_T3_mT4_T5_T6_T7_T8_P12ihipStream_tbENKUlT_T0_E_clISt17integral_constantIbLb1EES11_EEDaSW_SX_EUlSW_E_NS1_11comp_targetILNS1_3genE10ELNS1_11target_archE1201ELNS1_3gpuE5ELNS1_3repE0EEENS1_30default_config_static_selectorELNS0_4arch9wavefront6targetE1EEEvT1_.kd
    .uniform_work_group_size: 1
    .uses_dynamic_stack: false
    .vgpr_count:     0
    .vgpr_spill_count: 0
    .wavefront_size: 64
  - .agpr_count:     0
    .args:
      - .offset:         0
        .size:           120
        .value_kind:     by_value
    .group_segment_fixed_size: 0
    .kernarg_segment_align: 8
    .kernarg_segment_size: 120
    .language:       OpenCL C
    .language_version:
      - 2
      - 0
    .max_flat_workgroup_size: 256
    .name:           _ZN7rocprim17ROCPRIM_400000_NS6detail17trampoline_kernelINS0_14default_configENS1_29reduce_by_key_config_selectorIttN6thrust23THRUST_200600_302600_NS4plusItEEEEZZNS1_33reduce_by_key_impl_wrapped_configILNS1_25lookback_scan_determinismE0ES3_S9_NS6_6detail15normal_iteratorINS6_10device_ptrItEEEESG_SG_SG_PmS8_22is_equal_div_10_reduceItEEE10hipError_tPvRmT2_T3_mT4_T5_T6_T7_T8_P12ihipStream_tbENKUlT_T0_E_clISt17integral_constantIbLb1EES11_EEDaSW_SX_EUlSW_E_NS1_11comp_targetILNS1_3genE10ELNS1_11target_archE1200ELNS1_3gpuE4ELNS1_3repE0EEENS1_30default_config_static_selectorELNS0_4arch9wavefront6targetE1EEEvT1_
    .private_segment_fixed_size: 0
    .sgpr_count:     4
    .sgpr_spill_count: 0
    .symbol:         _ZN7rocprim17ROCPRIM_400000_NS6detail17trampoline_kernelINS0_14default_configENS1_29reduce_by_key_config_selectorIttN6thrust23THRUST_200600_302600_NS4plusItEEEEZZNS1_33reduce_by_key_impl_wrapped_configILNS1_25lookback_scan_determinismE0ES3_S9_NS6_6detail15normal_iteratorINS6_10device_ptrItEEEESG_SG_SG_PmS8_22is_equal_div_10_reduceItEEE10hipError_tPvRmT2_T3_mT4_T5_T6_T7_T8_P12ihipStream_tbENKUlT_T0_E_clISt17integral_constantIbLb1EES11_EEDaSW_SX_EUlSW_E_NS1_11comp_targetILNS1_3genE10ELNS1_11target_archE1200ELNS1_3gpuE4ELNS1_3repE0EEENS1_30default_config_static_selectorELNS0_4arch9wavefront6targetE1EEEvT1_.kd
    .uniform_work_group_size: 1
    .uses_dynamic_stack: false
    .vgpr_count:     0
    .vgpr_spill_count: 0
    .wavefront_size: 64
  - .agpr_count:     0
    .args:
      - .offset:         0
        .size:           120
        .value_kind:     by_value
    .group_segment_fixed_size: 0
    .kernarg_segment_align: 8
    .kernarg_segment_size: 120
    .language:       OpenCL C
    .language_version:
      - 2
      - 0
    .max_flat_workgroup_size: 256
    .name:           _ZN7rocprim17ROCPRIM_400000_NS6detail17trampoline_kernelINS0_14default_configENS1_29reduce_by_key_config_selectorIttN6thrust23THRUST_200600_302600_NS4plusItEEEEZZNS1_33reduce_by_key_impl_wrapped_configILNS1_25lookback_scan_determinismE0ES3_S9_NS6_6detail15normal_iteratorINS6_10device_ptrItEEEESG_SG_SG_PmS8_22is_equal_div_10_reduceItEEE10hipError_tPvRmT2_T3_mT4_T5_T6_T7_T8_P12ihipStream_tbENKUlT_T0_E_clISt17integral_constantIbLb1EES11_EEDaSW_SX_EUlSW_E_NS1_11comp_targetILNS1_3genE9ELNS1_11target_archE1100ELNS1_3gpuE3ELNS1_3repE0EEENS1_30default_config_static_selectorELNS0_4arch9wavefront6targetE1EEEvT1_
    .private_segment_fixed_size: 0
    .sgpr_count:     4
    .sgpr_spill_count: 0
    .symbol:         _ZN7rocprim17ROCPRIM_400000_NS6detail17trampoline_kernelINS0_14default_configENS1_29reduce_by_key_config_selectorIttN6thrust23THRUST_200600_302600_NS4plusItEEEEZZNS1_33reduce_by_key_impl_wrapped_configILNS1_25lookback_scan_determinismE0ES3_S9_NS6_6detail15normal_iteratorINS6_10device_ptrItEEEESG_SG_SG_PmS8_22is_equal_div_10_reduceItEEE10hipError_tPvRmT2_T3_mT4_T5_T6_T7_T8_P12ihipStream_tbENKUlT_T0_E_clISt17integral_constantIbLb1EES11_EEDaSW_SX_EUlSW_E_NS1_11comp_targetILNS1_3genE9ELNS1_11target_archE1100ELNS1_3gpuE3ELNS1_3repE0EEENS1_30default_config_static_selectorELNS0_4arch9wavefront6targetE1EEEvT1_.kd
    .uniform_work_group_size: 1
    .uses_dynamic_stack: false
    .vgpr_count:     0
    .vgpr_spill_count: 0
    .wavefront_size: 64
  - .agpr_count:     0
    .args:
      - .offset:         0
        .size:           120
        .value_kind:     by_value
    .group_segment_fixed_size: 0
    .kernarg_segment_align: 8
    .kernarg_segment_size: 120
    .language:       OpenCL C
    .language_version:
      - 2
      - 0
    .max_flat_workgroup_size: 256
    .name:           _ZN7rocprim17ROCPRIM_400000_NS6detail17trampoline_kernelINS0_14default_configENS1_29reduce_by_key_config_selectorIttN6thrust23THRUST_200600_302600_NS4plusItEEEEZZNS1_33reduce_by_key_impl_wrapped_configILNS1_25lookback_scan_determinismE0ES3_S9_NS6_6detail15normal_iteratorINS6_10device_ptrItEEEESG_SG_SG_PmS8_22is_equal_div_10_reduceItEEE10hipError_tPvRmT2_T3_mT4_T5_T6_T7_T8_P12ihipStream_tbENKUlT_T0_E_clISt17integral_constantIbLb1EES11_EEDaSW_SX_EUlSW_E_NS1_11comp_targetILNS1_3genE8ELNS1_11target_archE1030ELNS1_3gpuE2ELNS1_3repE0EEENS1_30default_config_static_selectorELNS0_4arch9wavefront6targetE1EEEvT1_
    .private_segment_fixed_size: 0
    .sgpr_count:     4
    .sgpr_spill_count: 0
    .symbol:         _ZN7rocprim17ROCPRIM_400000_NS6detail17trampoline_kernelINS0_14default_configENS1_29reduce_by_key_config_selectorIttN6thrust23THRUST_200600_302600_NS4plusItEEEEZZNS1_33reduce_by_key_impl_wrapped_configILNS1_25lookback_scan_determinismE0ES3_S9_NS6_6detail15normal_iteratorINS6_10device_ptrItEEEESG_SG_SG_PmS8_22is_equal_div_10_reduceItEEE10hipError_tPvRmT2_T3_mT4_T5_T6_T7_T8_P12ihipStream_tbENKUlT_T0_E_clISt17integral_constantIbLb1EES11_EEDaSW_SX_EUlSW_E_NS1_11comp_targetILNS1_3genE8ELNS1_11target_archE1030ELNS1_3gpuE2ELNS1_3repE0EEENS1_30default_config_static_selectorELNS0_4arch9wavefront6targetE1EEEvT1_.kd
    .uniform_work_group_size: 1
    .uses_dynamic_stack: false
    .vgpr_count:     0
    .vgpr_spill_count: 0
    .wavefront_size: 64
  - .agpr_count:     0
    .args:
      - .offset:         0
        .size:           120
        .value_kind:     by_value
    .group_segment_fixed_size: 0
    .kernarg_segment_align: 8
    .kernarg_segment_size: 120
    .language:       OpenCL C
    .language_version:
      - 2
      - 0
    .max_flat_workgroup_size: 256
    .name:           _ZN7rocprim17ROCPRIM_400000_NS6detail17trampoline_kernelINS0_14default_configENS1_29reduce_by_key_config_selectorIttN6thrust23THRUST_200600_302600_NS4plusItEEEEZZNS1_33reduce_by_key_impl_wrapped_configILNS1_25lookback_scan_determinismE0ES3_S9_NS6_6detail15normal_iteratorINS6_10device_ptrItEEEESG_SG_SG_PmS8_22is_equal_div_10_reduceItEEE10hipError_tPvRmT2_T3_mT4_T5_T6_T7_T8_P12ihipStream_tbENKUlT_T0_E_clISt17integral_constantIbLb1EES10_IbLb0EEEEDaSW_SX_EUlSW_E_NS1_11comp_targetILNS1_3genE0ELNS1_11target_archE4294967295ELNS1_3gpuE0ELNS1_3repE0EEENS1_30default_config_static_selectorELNS0_4arch9wavefront6targetE1EEEvT1_
    .private_segment_fixed_size: 0
    .sgpr_count:     4
    .sgpr_spill_count: 0
    .symbol:         _ZN7rocprim17ROCPRIM_400000_NS6detail17trampoline_kernelINS0_14default_configENS1_29reduce_by_key_config_selectorIttN6thrust23THRUST_200600_302600_NS4plusItEEEEZZNS1_33reduce_by_key_impl_wrapped_configILNS1_25lookback_scan_determinismE0ES3_S9_NS6_6detail15normal_iteratorINS6_10device_ptrItEEEESG_SG_SG_PmS8_22is_equal_div_10_reduceItEEE10hipError_tPvRmT2_T3_mT4_T5_T6_T7_T8_P12ihipStream_tbENKUlT_T0_E_clISt17integral_constantIbLb1EES10_IbLb0EEEEDaSW_SX_EUlSW_E_NS1_11comp_targetILNS1_3genE0ELNS1_11target_archE4294967295ELNS1_3gpuE0ELNS1_3repE0EEENS1_30default_config_static_selectorELNS0_4arch9wavefront6targetE1EEEvT1_.kd
    .uniform_work_group_size: 1
    .uses_dynamic_stack: false
    .vgpr_count:     0
    .vgpr_spill_count: 0
    .wavefront_size: 64
  - .agpr_count:     0
    .args:
      - .offset:         0
        .size:           120
        .value_kind:     by_value
    .group_segment_fixed_size: 0
    .kernarg_segment_align: 8
    .kernarg_segment_size: 120
    .language:       OpenCL C
    .language_version:
      - 2
      - 0
    .max_flat_workgroup_size: 256
    .name:           _ZN7rocprim17ROCPRIM_400000_NS6detail17trampoline_kernelINS0_14default_configENS1_29reduce_by_key_config_selectorIttN6thrust23THRUST_200600_302600_NS4plusItEEEEZZNS1_33reduce_by_key_impl_wrapped_configILNS1_25lookback_scan_determinismE0ES3_S9_NS6_6detail15normal_iteratorINS6_10device_ptrItEEEESG_SG_SG_PmS8_22is_equal_div_10_reduceItEEE10hipError_tPvRmT2_T3_mT4_T5_T6_T7_T8_P12ihipStream_tbENKUlT_T0_E_clISt17integral_constantIbLb1EES10_IbLb0EEEEDaSW_SX_EUlSW_E_NS1_11comp_targetILNS1_3genE5ELNS1_11target_archE942ELNS1_3gpuE9ELNS1_3repE0EEENS1_30default_config_static_selectorELNS0_4arch9wavefront6targetE1EEEvT1_
    .private_segment_fixed_size: 0
    .sgpr_count:     4
    .sgpr_spill_count: 0
    .symbol:         _ZN7rocprim17ROCPRIM_400000_NS6detail17trampoline_kernelINS0_14default_configENS1_29reduce_by_key_config_selectorIttN6thrust23THRUST_200600_302600_NS4plusItEEEEZZNS1_33reduce_by_key_impl_wrapped_configILNS1_25lookback_scan_determinismE0ES3_S9_NS6_6detail15normal_iteratorINS6_10device_ptrItEEEESG_SG_SG_PmS8_22is_equal_div_10_reduceItEEE10hipError_tPvRmT2_T3_mT4_T5_T6_T7_T8_P12ihipStream_tbENKUlT_T0_E_clISt17integral_constantIbLb1EES10_IbLb0EEEEDaSW_SX_EUlSW_E_NS1_11comp_targetILNS1_3genE5ELNS1_11target_archE942ELNS1_3gpuE9ELNS1_3repE0EEENS1_30default_config_static_selectorELNS0_4arch9wavefront6targetE1EEEvT1_.kd
    .uniform_work_group_size: 1
    .uses_dynamic_stack: false
    .vgpr_count:     0
    .vgpr_spill_count: 0
    .wavefront_size: 64
  - .agpr_count:     0
    .args:
      - .offset:         0
        .size:           120
        .value_kind:     by_value
    .group_segment_fixed_size: 7680
    .kernarg_segment_align: 8
    .kernarg_segment_size: 120
    .language:       OpenCL C
    .language_version:
      - 2
      - 0
    .max_flat_workgroup_size: 256
    .name:           _ZN7rocprim17ROCPRIM_400000_NS6detail17trampoline_kernelINS0_14default_configENS1_29reduce_by_key_config_selectorIttN6thrust23THRUST_200600_302600_NS4plusItEEEEZZNS1_33reduce_by_key_impl_wrapped_configILNS1_25lookback_scan_determinismE0ES3_S9_NS6_6detail15normal_iteratorINS6_10device_ptrItEEEESG_SG_SG_PmS8_22is_equal_div_10_reduceItEEE10hipError_tPvRmT2_T3_mT4_T5_T6_T7_T8_P12ihipStream_tbENKUlT_T0_E_clISt17integral_constantIbLb1EES10_IbLb0EEEEDaSW_SX_EUlSW_E_NS1_11comp_targetILNS1_3genE4ELNS1_11target_archE910ELNS1_3gpuE8ELNS1_3repE0EEENS1_30default_config_static_selectorELNS0_4arch9wavefront6targetE1EEEvT1_
    .private_segment_fixed_size: 0
    .sgpr_count:     67
    .sgpr_spill_count: 0
    .symbol:         _ZN7rocprim17ROCPRIM_400000_NS6detail17trampoline_kernelINS0_14default_configENS1_29reduce_by_key_config_selectorIttN6thrust23THRUST_200600_302600_NS4plusItEEEEZZNS1_33reduce_by_key_impl_wrapped_configILNS1_25lookback_scan_determinismE0ES3_S9_NS6_6detail15normal_iteratorINS6_10device_ptrItEEEESG_SG_SG_PmS8_22is_equal_div_10_reduceItEEE10hipError_tPvRmT2_T3_mT4_T5_T6_T7_T8_P12ihipStream_tbENKUlT_T0_E_clISt17integral_constantIbLb1EES10_IbLb0EEEEDaSW_SX_EUlSW_E_NS1_11comp_targetILNS1_3genE4ELNS1_11target_archE910ELNS1_3gpuE8ELNS1_3repE0EEENS1_30default_config_static_selectorELNS0_4arch9wavefront6targetE1EEEvT1_.kd
    .uniform_work_group_size: 1
    .uses_dynamic_stack: false
    .vgpr_count:     110
    .vgpr_spill_count: 0
    .wavefront_size: 64
  - .agpr_count:     0
    .args:
      - .offset:         0
        .size:           120
        .value_kind:     by_value
    .group_segment_fixed_size: 0
    .kernarg_segment_align: 8
    .kernarg_segment_size: 120
    .language:       OpenCL C
    .language_version:
      - 2
      - 0
    .max_flat_workgroup_size: 256
    .name:           _ZN7rocprim17ROCPRIM_400000_NS6detail17trampoline_kernelINS0_14default_configENS1_29reduce_by_key_config_selectorIttN6thrust23THRUST_200600_302600_NS4plusItEEEEZZNS1_33reduce_by_key_impl_wrapped_configILNS1_25lookback_scan_determinismE0ES3_S9_NS6_6detail15normal_iteratorINS6_10device_ptrItEEEESG_SG_SG_PmS8_22is_equal_div_10_reduceItEEE10hipError_tPvRmT2_T3_mT4_T5_T6_T7_T8_P12ihipStream_tbENKUlT_T0_E_clISt17integral_constantIbLb1EES10_IbLb0EEEEDaSW_SX_EUlSW_E_NS1_11comp_targetILNS1_3genE3ELNS1_11target_archE908ELNS1_3gpuE7ELNS1_3repE0EEENS1_30default_config_static_selectorELNS0_4arch9wavefront6targetE1EEEvT1_
    .private_segment_fixed_size: 0
    .sgpr_count:     4
    .sgpr_spill_count: 0
    .symbol:         _ZN7rocprim17ROCPRIM_400000_NS6detail17trampoline_kernelINS0_14default_configENS1_29reduce_by_key_config_selectorIttN6thrust23THRUST_200600_302600_NS4plusItEEEEZZNS1_33reduce_by_key_impl_wrapped_configILNS1_25lookback_scan_determinismE0ES3_S9_NS6_6detail15normal_iteratorINS6_10device_ptrItEEEESG_SG_SG_PmS8_22is_equal_div_10_reduceItEEE10hipError_tPvRmT2_T3_mT4_T5_T6_T7_T8_P12ihipStream_tbENKUlT_T0_E_clISt17integral_constantIbLb1EES10_IbLb0EEEEDaSW_SX_EUlSW_E_NS1_11comp_targetILNS1_3genE3ELNS1_11target_archE908ELNS1_3gpuE7ELNS1_3repE0EEENS1_30default_config_static_selectorELNS0_4arch9wavefront6targetE1EEEvT1_.kd
    .uniform_work_group_size: 1
    .uses_dynamic_stack: false
    .vgpr_count:     0
    .vgpr_spill_count: 0
    .wavefront_size: 64
  - .agpr_count:     0
    .args:
      - .offset:         0
        .size:           120
        .value_kind:     by_value
    .group_segment_fixed_size: 0
    .kernarg_segment_align: 8
    .kernarg_segment_size: 120
    .language:       OpenCL C
    .language_version:
      - 2
      - 0
    .max_flat_workgroup_size: 256
    .name:           _ZN7rocprim17ROCPRIM_400000_NS6detail17trampoline_kernelINS0_14default_configENS1_29reduce_by_key_config_selectorIttN6thrust23THRUST_200600_302600_NS4plusItEEEEZZNS1_33reduce_by_key_impl_wrapped_configILNS1_25lookback_scan_determinismE0ES3_S9_NS6_6detail15normal_iteratorINS6_10device_ptrItEEEESG_SG_SG_PmS8_22is_equal_div_10_reduceItEEE10hipError_tPvRmT2_T3_mT4_T5_T6_T7_T8_P12ihipStream_tbENKUlT_T0_E_clISt17integral_constantIbLb1EES10_IbLb0EEEEDaSW_SX_EUlSW_E_NS1_11comp_targetILNS1_3genE2ELNS1_11target_archE906ELNS1_3gpuE6ELNS1_3repE0EEENS1_30default_config_static_selectorELNS0_4arch9wavefront6targetE1EEEvT1_
    .private_segment_fixed_size: 0
    .sgpr_count:     4
    .sgpr_spill_count: 0
    .symbol:         _ZN7rocprim17ROCPRIM_400000_NS6detail17trampoline_kernelINS0_14default_configENS1_29reduce_by_key_config_selectorIttN6thrust23THRUST_200600_302600_NS4plusItEEEEZZNS1_33reduce_by_key_impl_wrapped_configILNS1_25lookback_scan_determinismE0ES3_S9_NS6_6detail15normal_iteratorINS6_10device_ptrItEEEESG_SG_SG_PmS8_22is_equal_div_10_reduceItEEE10hipError_tPvRmT2_T3_mT4_T5_T6_T7_T8_P12ihipStream_tbENKUlT_T0_E_clISt17integral_constantIbLb1EES10_IbLb0EEEEDaSW_SX_EUlSW_E_NS1_11comp_targetILNS1_3genE2ELNS1_11target_archE906ELNS1_3gpuE6ELNS1_3repE0EEENS1_30default_config_static_selectorELNS0_4arch9wavefront6targetE1EEEvT1_.kd
    .uniform_work_group_size: 1
    .uses_dynamic_stack: false
    .vgpr_count:     0
    .vgpr_spill_count: 0
    .wavefront_size: 64
  - .agpr_count:     0
    .args:
      - .offset:         0
        .size:           120
        .value_kind:     by_value
    .group_segment_fixed_size: 0
    .kernarg_segment_align: 8
    .kernarg_segment_size: 120
    .language:       OpenCL C
    .language_version:
      - 2
      - 0
    .max_flat_workgroup_size: 256
    .name:           _ZN7rocprim17ROCPRIM_400000_NS6detail17trampoline_kernelINS0_14default_configENS1_29reduce_by_key_config_selectorIttN6thrust23THRUST_200600_302600_NS4plusItEEEEZZNS1_33reduce_by_key_impl_wrapped_configILNS1_25lookback_scan_determinismE0ES3_S9_NS6_6detail15normal_iteratorINS6_10device_ptrItEEEESG_SG_SG_PmS8_22is_equal_div_10_reduceItEEE10hipError_tPvRmT2_T3_mT4_T5_T6_T7_T8_P12ihipStream_tbENKUlT_T0_E_clISt17integral_constantIbLb1EES10_IbLb0EEEEDaSW_SX_EUlSW_E_NS1_11comp_targetILNS1_3genE10ELNS1_11target_archE1201ELNS1_3gpuE5ELNS1_3repE0EEENS1_30default_config_static_selectorELNS0_4arch9wavefront6targetE1EEEvT1_
    .private_segment_fixed_size: 0
    .sgpr_count:     4
    .sgpr_spill_count: 0
    .symbol:         _ZN7rocprim17ROCPRIM_400000_NS6detail17trampoline_kernelINS0_14default_configENS1_29reduce_by_key_config_selectorIttN6thrust23THRUST_200600_302600_NS4plusItEEEEZZNS1_33reduce_by_key_impl_wrapped_configILNS1_25lookback_scan_determinismE0ES3_S9_NS6_6detail15normal_iteratorINS6_10device_ptrItEEEESG_SG_SG_PmS8_22is_equal_div_10_reduceItEEE10hipError_tPvRmT2_T3_mT4_T5_T6_T7_T8_P12ihipStream_tbENKUlT_T0_E_clISt17integral_constantIbLb1EES10_IbLb0EEEEDaSW_SX_EUlSW_E_NS1_11comp_targetILNS1_3genE10ELNS1_11target_archE1201ELNS1_3gpuE5ELNS1_3repE0EEENS1_30default_config_static_selectorELNS0_4arch9wavefront6targetE1EEEvT1_.kd
    .uniform_work_group_size: 1
    .uses_dynamic_stack: false
    .vgpr_count:     0
    .vgpr_spill_count: 0
    .wavefront_size: 64
  - .agpr_count:     0
    .args:
      - .offset:         0
        .size:           120
        .value_kind:     by_value
    .group_segment_fixed_size: 0
    .kernarg_segment_align: 8
    .kernarg_segment_size: 120
    .language:       OpenCL C
    .language_version:
      - 2
      - 0
    .max_flat_workgroup_size: 256
    .name:           _ZN7rocprim17ROCPRIM_400000_NS6detail17trampoline_kernelINS0_14default_configENS1_29reduce_by_key_config_selectorIttN6thrust23THRUST_200600_302600_NS4plusItEEEEZZNS1_33reduce_by_key_impl_wrapped_configILNS1_25lookback_scan_determinismE0ES3_S9_NS6_6detail15normal_iteratorINS6_10device_ptrItEEEESG_SG_SG_PmS8_22is_equal_div_10_reduceItEEE10hipError_tPvRmT2_T3_mT4_T5_T6_T7_T8_P12ihipStream_tbENKUlT_T0_E_clISt17integral_constantIbLb1EES10_IbLb0EEEEDaSW_SX_EUlSW_E_NS1_11comp_targetILNS1_3genE10ELNS1_11target_archE1200ELNS1_3gpuE4ELNS1_3repE0EEENS1_30default_config_static_selectorELNS0_4arch9wavefront6targetE1EEEvT1_
    .private_segment_fixed_size: 0
    .sgpr_count:     4
    .sgpr_spill_count: 0
    .symbol:         _ZN7rocprim17ROCPRIM_400000_NS6detail17trampoline_kernelINS0_14default_configENS1_29reduce_by_key_config_selectorIttN6thrust23THRUST_200600_302600_NS4plusItEEEEZZNS1_33reduce_by_key_impl_wrapped_configILNS1_25lookback_scan_determinismE0ES3_S9_NS6_6detail15normal_iteratorINS6_10device_ptrItEEEESG_SG_SG_PmS8_22is_equal_div_10_reduceItEEE10hipError_tPvRmT2_T3_mT4_T5_T6_T7_T8_P12ihipStream_tbENKUlT_T0_E_clISt17integral_constantIbLb1EES10_IbLb0EEEEDaSW_SX_EUlSW_E_NS1_11comp_targetILNS1_3genE10ELNS1_11target_archE1200ELNS1_3gpuE4ELNS1_3repE0EEENS1_30default_config_static_selectorELNS0_4arch9wavefront6targetE1EEEvT1_.kd
    .uniform_work_group_size: 1
    .uses_dynamic_stack: false
    .vgpr_count:     0
    .vgpr_spill_count: 0
    .wavefront_size: 64
  - .agpr_count:     0
    .args:
      - .offset:         0
        .size:           120
        .value_kind:     by_value
    .group_segment_fixed_size: 0
    .kernarg_segment_align: 8
    .kernarg_segment_size: 120
    .language:       OpenCL C
    .language_version:
      - 2
      - 0
    .max_flat_workgroup_size: 256
    .name:           _ZN7rocprim17ROCPRIM_400000_NS6detail17trampoline_kernelINS0_14default_configENS1_29reduce_by_key_config_selectorIttN6thrust23THRUST_200600_302600_NS4plusItEEEEZZNS1_33reduce_by_key_impl_wrapped_configILNS1_25lookback_scan_determinismE0ES3_S9_NS6_6detail15normal_iteratorINS6_10device_ptrItEEEESG_SG_SG_PmS8_22is_equal_div_10_reduceItEEE10hipError_tPvRmT2_T3_mT4_T5_T6_T7_T8_P12ihipStream_tbENKUlT_T0_E_clISt17integral_constantIbLb1EES10_IbLb0EEEEDaSW_SX_EUlSW_E_NS1_11comp_targetILNS1_3genE9ELNS1_11target_archE1100ELNS1_3gpuE3ELNS1_3repE0EEENS1_30default_config_static_selectorELNS0_4arch9wavefront6targetE1EEEvT1_
    .private_segment_fixed_size: 0
    .sgpr_count:     4
    .sgpr_spill_count: 0
    .symbol:         _ZN7rocprim17ROCPRIM_400000_NS6detail17trampoline_kernelINS0_14default_configENS1_29reduce_by_key_config_selectorIttN6thrust23THRUST_200600_302600_NS4plusItEEEEZZNS1_33reduce_by_key_impl_wrapped_configILNS1_25lookback_scan_determinismE0ES3_S9_NS6_6detail15normal_iteratorINS6_10device_ptrItEEEESG_SG_SG_PmS8_22is_equal_div_10_reduceItEEE10hipError_tPvRmT2_T3_mT4_T5_T6_T7_T8_P12ihipStream_tbENKUlT_T0_E_clISt17integral_constantIbLb1EES10_IbLb0EEEEDaSW_SX_EUlSW_E_NS1_11comp_targetILNS1_3genE9ELNS1_11target_archE1100ELNS1_3gpuE3ELNS1_3repE0EEENS1_30default_config_static_selectorELNS0_4arch9wavefront6targetE1EEEvT1_.kd
    .uniform_work_group_size: 1
    .uses_dynamic_stack: false
    .vgpr_count:     0
    .vgpr_spill_count: 0
    .wavefront_size: 64
  - .agpr_count:     0
    .args:
      - .offset:         0
        .size:           120
        .value_kind:     by_value
    .group_segment_fixed_size: 0
    .kernarg_segment_align: 8
    .kernarg_segment_size: 120
    .language:       OpenCL C
    .language_version:
      - 2
      - 0
    .max_flat_workgroup_size: 256
    .name:           _ZN7rocprim17ROCPRIM_400000_NS6detail17trampoline_kernelINS0_14default_configENS1_29reduce_by_key_config_selectorIttN6thrust23THRUST_200600_302600_NS4plusItEEEEZZNS1_33reduce_by_key_impl_wrapped_configILNS1_25lookback_scan_determinismE0ES3_S9_NS6_6detail15normal_iteratorINS6_10device_ptrItEEEESG_SG_SG_PmS8_22is_equal_div_10_reduceItEEE10hipError_tPvRmT2_T3_mT4_T5_T6_T7_T8_P12ihipStream_tbENKUlT_T0_E_clISt17integral_constantIbLb1EES10_IbLb0EEEEDaSW_SX_EUlSW_E_NS1_11comp_targetILNS1_3genE8ELNS1_11target_archE1030ELNS1_3gpuE2ELNS1_3repE0EEENS1_30default_config_static_selectorELNS0_4arch9wavefront6targetE1EEEvT1_
    .private_segment_fixed_size: 0
    .sgpr_count:     4
    .sgpr_spill_count: 0
    .symbol:         _ZN7rocprim17ROCPRIM_400000_NS6detail17trampoline_kernelINS0_14default_configENS1_29reduce_by_key_config_selectorIttN6thrust23THRUST_200600_302600_NS4plusItEEEEZZNS1_33reduce_by_key_impl_wrapped_configILNS1_25lookback_scan_determinismE0ES3_S9_NS6_6detail15normal_iteratorINS6_10device_ptrItEEEESG_SG_SG_PmS8_22is_equal_div_10_reduceItEEE10hipError_tPvRmT2_T3_mT4_T5_T6_T7_T8_P12ihipStream_tbENKUlT_T0_E_clISt17integral_constantIbLb1EES10_IbLb0EEEEDaSW_SX_EUlSW_E_NS1_11comp_targetILNS1_3genE8ELNS1_11target_archE1030ELNS1_3gpuE2ELNS1_3repE0EEENS1_30default_config_static_selectorELNS0_4arch9wavefront6targetE1EEEvT1_.kd
    .uniform_work_group_size: 1
    .uses_dynamic_stack: false
    .vgpr_count:     0
    .vgpr_spill_count: 0
    .wavefront_size: 64
  - .agpr_count:     0
    .args:
      - .offset:         0
        .size:           120
        .value_kind:     by_value
    .group_segment_fixed_size: 0
    .kernarg_segment_align: 8
    .kernarg_segment_size: 120
    .language:       OpenCL C
    .language_version:
      - 2
      - 0
    .max_flat_workgroup_size: 256
    .name:           _ZN7rocprim17ROCPRIM_400000_NS6detail17trampoline_kernelINS0_14default_configENS1_29reduce_by_key_config_selectorIttN6thrust23THRUST_200600_302600_NS4plusItEEEEZZNS1_33reduce_by_key_impl_wrapped_configILNS1_25lookback_scan_determinismE0ES3_S9_NS6_6detail15normal_iteratorINS6_10device_ptrItEEEESG_SG_SG_PmS8_22is_equal_div_10_reduceItEEE10hipError_tPvRmT2_T3_mT4_T5_T6_T7_T8_P12ihipStream_tbENKUlT_T0_E_clISt17integral_constantIbLb0EES10_IbLb1EEEEDaSW_SX_EUlSW_E_NS1_11comp_targetILNS1_3genE0ELNS1_11target_archE4294967295ELNS1_3gpuE0ELNS1_3repE0EEENS1_30default_config_static_selectorELNS0_4arch9wavefront6targetE1EEEvT1_
    .private_segment_fixed_size: 0
    .sgpr_count:     4
    .sgpr_spill_count: 0
    .symbol:         _ZN7rocprim17ROCPRIM_400000_NS6detail17trampoline_kernelINS0_14default_configENS1_29reduce_by_key_config_selectorIttN6thrust23THRUST_200600_302600_NS4plusItEEEEZZNS1_33reduce_by_key_impl_wrapped_configILNS1_25lookback_scan_determinismE0ES3_S9_NS6_6detail15normal_iteratorINS6_10device_ptrItEEEESG_SG_SG_PmS8_22is_equal_div_10_reduceItEEE10hipError_tPvRmT2_T3_mT4_T5_T6_T7_T8_P12ihipStream_tbENKUlT_T0_E_clISt17integral_constantIbLb0EES10_IbLb1EEEEDaSW_SX_EUlSW_E_NS1_11comp_targetILNS1_3genE0ELNS1_11target_archE4294967295ELNS1_3gpuE0ELNS1_3repE0EEENS1_30default_config_static_selectorELNS0_4arch9wavefront6targetE1EEEvT1_.kd
    .uniform_work_group_size: 1
    .uses_dynamic_stack: false
    .vgpr_count:     0
    .vgpr_spill_count: 0
    .wavefront_size: 64
  - .agpr_count:     0
    .args:
      - .offset:         0
        .size:           120
        .value_kind:     by_value
    .group_segment_fixed_size: 0
    .kernarg_segment_align: 8
    .kernarg_segment_size: 120
    .language:       OpenCL C
    .language_version:
      - 2
      - 0
    .max_flat_workgroup_size: 256
    .name:           _ZN7rocprim17ROCPRIM_400000_NS6detail17trampoline_kernelINS0_14default_configENS1_29reduce_by_key_config_selectorIttN6thrust23THRUST_200600_302600_NS4plusItEEEEZZNS1_33reduce_by_key_impl_wrapped_configILNS1_25lookback_scan_determinismE0ES3_S9_NS6_6detail15normal_iteratorINS6_10device_ptrItEEEESG_SG_SG_PmS8_22is_equal_div_10_reduceItEEE10hipError_tPvRmT2_T3_mT4_T5_T6_T7_T8_P12ihipStream_tbENKUlT_T0_E_clISt17integral_constantIbLb0EES10_IbLb1EEEEDaSW_SX_EUlSW_E_NS1_11comp_targetILNS1_3genE5ELNS1_11target_archE942ELNS1_3gpuE9ELNS1_3repE0EEENS1_30default_config_static_selectorELNS0_4arch9wavefront6targetE1EEEvT1_
    .private_segment_fixed_size: 0
    .sgpr_count:     4
    .sgpr_spill_count: 0
    .symbol:         _ZN7rocprim17ROCPRIM_400000_NS6detail17trampoline_kernelINS0_14default_configENS1_29reduce_by_key_config_selectorIttN6thrust23THRUST_200600_302600_NS4plusItEEEEZZNS1_33reduce_by_key_impl_wrapped_configILNS1_25lookback_scan_determinismE0ES3_S9_NS6_6detail15normal_iteratorINS6_10device_ptrItEEEESG_SG_SG_PmS8_22is_equal_div_10_reduceItEEE10hipError_tPvRmT2_T3_mT4_T5_T6_T7_T8_P12ihipStream_tbENKUlT_T0_E_clISt17integral_constantIbLb0EES10_IbLb1EEEEDaSW_SX_EUlSW_E_NS1_11comp_targetILNS1_3genE5ELNS1_11target_archE942ELNS1_3gpuE9ELNS1_3repE0EEENS1_30default_config_static_selectorELNS0_4arch9wavefront6targetE1EEEvT1_.kd
    .uniform_work_group_size: 1
    .uses_dynamic_stack: false
    .vgpr_count:     0
    .vgpr_spill_count: 0
    .wavefront_size: 64
  - .agpr_count:     0
    .args:
      - .offset:         0
        .size:           120
        .value_kind:     by_value
    .group_segment_fixed_size: 7680
    .kernarg_segment_align: 8
    .kernarg_segment_size: 120
    .language:       OpenCL C
    .language_version:
      - 2
      - 0
    .max_flat_workgroup_size: 256
    .name:           _ZN7rocprim17ROCPRIM_400000_NS6detail17trampoline_kernelINS0_14default_configENS1_29reduce_by_key_config_selectorIttN6thrust23THRUST_200600_302600_NS4plusItEEEEZZNS1_33reduce_by_key_impl_wrapped_configILNS1_25lookback_scan_determinismE0ES3_S9_NS6_6detail15normal_iteratorINS6_10device_ptrItEEEESG_SG_SG_PmS8_22is_equal_div_10_reduceItEEE10hipError_tPvRmT2_T3_mT4_T5_T6_T7_T8_P12ihipStream_tbENKUlT_T0_E_clISt17integral_constantIbLb0EES10_IbLb1EEEEDaSW_SX_EUlSW_E_NS1_11comp_targetILNS1_3genE4ELNS1_11target_archE910ELNS1_3gpuE8ELNS1_3repE0EEENS1_30default_config_static_selectorELNS0_4arch9wavefront6targetE1EEEvT1_
    .private_segment_fixed_size: 0
    .sgpr_count:     70
    .sgpr_spill_count: 0
    .symbol:         _ZN7rocprim17ROCPRIM_400000_NS6detail17trampoline_kernelINS0_14default_configENS1_29reduce_by_key_config_selectorIttN6thrust23THRUST_200600_302600_NS4plusItEEEEZZNS1_33reduce_by_key_impl_wrapped_configILNS1_25lookback_scan_determinismE0ES3_S9_NS6_6detail15normal_iteratorINS6_10device_ptrItEEEESG_SG_SG_PmS8_22is_equal_div_10_reduceItEEE10hipError_tPvRmT2_T3_mT4_T5_T6_T7_T8_P12ihipStream_tbENKUlT_T0_E_clISt17integral_constantIbLb0EES10_IbLb1EEEEDaSW_SX_EUlSW_E_NS1_11comp_targetILNS1_3genE4ELNS1_11target_archE910ELNS1_3gpuE8ELNS1_3repE0EEENS1_30default_config_static_selectorELNS0_4arch9wavefront6targetE1EEEvT1_.kd
    .uniform_work_group_size: 1
    .uses_dynamic_stack: false
    .vgpr_count:     111
    .vgpr_spill_count: 0
    .wavefront_size: 64
  - .agpr_count:     0
    .args:
      - .offset:         0
        .size:           120
        .value_kind:     by_value
    .group_segment_fixed_size: 0
    .kernarg_segment_align: 8
    .kernarg_segment_size: 120
    .language:       OpenCL C
    .language_version:
      - 2
      - 0
    .max_flat_workgroup_size: 256
    .name:           _ZN7rocprim17ROCPRIM_400000_NS6detail17trampoline_kernelINS0_14default_configENS1_29reduce_by_key_config_selectorIttN6thrust23THRUST_200600_302600_NS4plusItEEEEZZNS1_33reduce_by_key_impl_wrapped_configILNS1_25lookback_scan_determinismE0ES3_S9_NS6_6detail15normal_iteratorINS6_10device_ptrItEEEESG_SG_SG_PmS8_22is_equal_div_10_reduceItEEE10hipError_tPvRmT2_T3_mT4_T5_T6_T7_T8_P12ihipStream_tbENKUlT_T0_E_clISt17integral_constantIbLb0EES10_IbLb1EEEEDaSW_SX_EUlSW_E_NS1_11comp_targetILNS1_3genE3ELNS1_11target_archE908ELNS1_3gpuE7ELNS1_3repE0EEENS1_30default_config_static_selectorELNS0_4arch9wavefront6targetE1EEEvT1_
    .private_segment_fixed_size: 0
    .sgpr_count:     4
    .sgpr_spill_count: 0
    .symbol:         _ZN7rocprim17ROCPRIM_400000_NS6detail17trampoline_kernelINS0_14default_configENS1_29reduce_by_key_config_selectorIttN6thrust23THRUST_200600_302600_NS4plusItEEEEZZNS1_33reduce_by_key_impl_wrapped_configILNS1_25lookback_scan_determinismE0ES3_S9_NS6_6detail15normal_iteratorINS6_10device_ptrItEEEESG_SG_SG_PmS8_22is_equal_div_10_reduceItEEE10hipError_tPvRmT2_T3_mT4_T5_T6_T7_T8_P12ihipStream_tbENKUlT_T0_E_clISt17integral_constantIbLb0EES10_IbLb1EEEEDaSW_SX_EUlSW_E_NS1_11comp_targetILNS1_3genE3ELNS1_11target_archE908ELNS1_3gpuE7ELNS1_3repE0EEENS1_30default_config_static_selectorELNS0_4arch9wavefront6targetE1EEEvT1_.kd
    .uniform_work_group_size: 1
    .uses_dynamic_stack: false
    .vgpr_count:     0
    .vgpr_spill_count: 0
    .wavefront_size: 64
  - .agpr_count:     0
    .args:
      - .offset:         0
        .size:           120
        .value_kind:     by_value
    .group_segment_fixed_size: 0
    .kernarg_segment_align: 8
    .kernarg_segment_size: 120
    .language:       OpenCL C
    .language_version:
      - 2
      - 0
    .max_flat_workgroup_size: 256
    .name:           _ZN7rocprim17ROCPRIM_400000_NS6detail17trampoline_kernelINS0_14default_configENS1_29reduce_by_key_config_selectorIttN6thrust23THRUST_200600_302600_NS4plusItEEEEZZNS1_33reduce_by_key_impl_wrapped_configILNS1_25lookback_scan_determinismE0ES3_S9_NS6_6detail15normal_iteratorINS6_10device_ptrItEEEESG_SG_SG_PmS8_22is_equal_div_10_reduceItEEE10hipError_tPvRmT2_T3_mT4_T5_T6_T7_T8_P12ihipStream_tbENKUlT_T0_E_clISt17integral_constantIbLb0EES10_IbLb1EEEEDaSW_SX_EUlSW_E_NS1_11comp_targetILNS1_3genE2ELNS1_11target_archE906ELNS1_3gpuE6ELNS1_3repE0EEENS1_30default_config_static_selectorELNS0_4arch9wavefront6targetE1EEEvT1_
    .private_segment_fixed_size: 0
    .sgpr_count:     4
    .sgpr_spill_count: 0
    .symbol:         _ZN7rocprim17ROCPRIM_400000_NS6detail17trampoline_kernelINS0_14default_configENS1_29reduce_by_key_config_selectorIttN6thrust23THRUST_200600_302600_NS4plusItEEEEZZNS1_33reduce_by_key_impl_wrapped_configILNS1_25lookback_scan_determinismE0ES3_S9_NS6_6detail15normal_iteratorINS6_10device_ptrItEEEESG_SG_SG_PmS8_22is_equal_div_10_reduceItEEE10hipError_tPvRmT2_T3_mT4_T5_T6_T7_T8_P12ihipStream_tbENKUlT_T0_E_clISt17integral_constantIbLb0EES10_IbLb1EEEEDaSW_SX_EUlSW_E_NS1_11comp_targetILNS1_3genE2ELNS1_11target_archE906ELNS1_3gpuE6ELNS1_3repE0EEENS1_30default_config_static_selectorELNS0_4arch9wavefront6targetE1EEEvT1_.kd
    .uniform_work_group_size: 1
    .uses_dynamic_stack: false
    .vgpr_count:     0
    .vgpr_spill_count: 0
    .wavefront_size: 64
  - .agpr_count:     0
    .args:
      - .offset:         0
        .size:           120
        .value_kind:     by_value
    .group_segment_fixed_size: 0
    .kernarg_segment_align: 8
    .kernarg_segment_size: 120
    .language:       OpenCL C
    .language_version:
      - 2
      - 0
    .max_flat_workgroup_size: 256
    .name:           _ZN7rocprim17ROCPRIM_400000_NS6detail17trampoline_kernelINS0_14default_configENS1_29reduce_by_key_config_selectorIttN6thrust23THRUST_200600_302600_NS4plusItEEEEZZNS1_33reduce_by_key_impl_wrapped_configILNS1_25lookback_scan_determinismE0ES3_S9_NS6_6detail15normal_iteratorINS6_10device_ptrItEEEESG_SG_SG_PmS8_22is_equal_div_10_reduceItEEE10hipError_tPvRmT2_T3_mT4_T5_T6_T7_T8_P12ihipStream_tbENKUlT_T0_E_clISt17integral_constantIbLb0EES10_IbLb1EEEEDaSW_SX_EUlSW_E_NS1_11comp_targetILNS1_3genE10ELNS1_11target_archE1201ELNS1_3gpuE5ELNS1_3repE0EEENS1_30default_config_static_selectorELNS0_4arch9wavefront6targetE1EEEvT1_
    .private_segment_fixed_size: 0
    .sgpr_count:     4
    .sgpr_spill_count: 0
    .symbol:         _ZN7rocprim17ROCPRIM_400000_NS6detail17trampoline_kernelINS0_14default_configENS1_29reduce_by_key_config_selectorIttN6thrust23THRUST_200600_302600_NS4plusItEEEEZZNS1_33reduce_by_key_impl_wrapped_configILNS1_25lookback_scan_determinismE0ES3_S9_NS6_6detail15normal_iteratorINS6_10device_ptrItEEEESG_SG_SG_PmS8_22is_equal_div_10_reduceItEEE10hipError_tPvRmT2_T3_mT4_T5_T6_T7_T8_P12ihipStream_tbENKUlT_T0_E_clISt17integral_constantIbLb0EES10_IbLb1EEEEDaSW_SX_EUlSW_E_NS1_11comp_targetILNS1_3genE10ELNS1_11target_archE1201ELNS1_3gpuE5ELNS1_3repE0EEENS1_30default_config_static_selectorELNS0_4arch9wavefront6targetE1EEEvT1_.kd
    .uniform_work_group_size: 1
    .uses_dynamic_stack: false
    .vgpr_count:     0
    .vgpr_spill_count: 0
    .wavefront_size: 64
  - .agpr_count:     0
    .args:
      - .offset:         0
        .size:           120
        .value_kind:     by_value
    .group_segment_fixed_size: 0
    .kernarg_segment_align: 8
    .kernarg_segment_size: 120
    .language:       OpenCL C
    .language_version:
      - 2
      - 0
    .max_flat_workgroup_size: 256
    .name:           _ZN7rocprim17ROCPRIM_400000_NS6detail17trampoline_kernelINS0_14default_configENS1_29reduce_by_key_config_selectorIttN6thrust23THRUST_200600_302600_NS4plusItEEEEZZNS1_33reduce_by_key_impl_wrapped_configILNS1_25lookback_scan_determinismE0ES3_S9_NS6_6detail15normal_iteratorINS6_10device_ptrItEEEESG_SG_SG_PmS8_22is_equal_div_10_reduceItEEE10hipError_tPvRmT2_T3_mT4_T5_T6_T7_T8_P12ihipStream_tbENKUlT_T0_E_clISt17integral_constantIbLb0EES10_IbLb1EEEEDaSW_SX_EUlSW_E_NS1_11comp_targetILNS1_3genE10ELNS1_11target_archE1200ELNS1_3gpuE4ELNS1_3repE0EEENS1_30default_config_static_selectorELNS0_4arch9wavefront6targetE1EEEvT1_
    .private_segment_fixed_size: 0
    .sgpr_count:     4
    .sgpr_spill_count: 0
    .symbol:         _ZN7rocprim17ROCPRIM_400000_NS6detail17trampoline_kernelINS0_14default_configENS1_29reduce_by_key_config_selectorIttN6thrust23THRUST_200600_302600_NS4plusItEEEEZZNS1_33reduce_by_key_impl_wrapped_configILNS1_25lookback_scan_determinismE0ES3_S9_NS6_6detail15normal_iteratorINS6_10device_ptrItEEEESG_SG_SG_PmS8_22is_equal_div_10_reduceItEEE10hipError_tPvRmT2_T3_mT4_T5_T6_T7_T8_P12ihipStream_tbENKUlT_T0_E_clISt17integral_constantIbLb0EES10_IbLb1EEEEDaSW_SX_EUlSW_E_NS1_11comp_targetILNS1_3genE10ELNS1_11target_archE1200ELNS1_3gpuE4ELNS1_3repE0EEENS1_30default_config_static_selectorELNS0_4arch9wavefront6targetE1EEEvT1_.kd
    .uniform_work_group_size: 1
    .uses_dynamic_stack: false
    .vgpr_count:     0
    .vgpr_spill_count: 0
    .wavefront_size: 64
  - .agpr_count:     0
    .args:
      - .offset:         0
        .size:           120
        .value_kind:     by_value
    .group_segment_fixed_size: 0
    .kernarg_segment_align: 8
    .kernarg_segment_size: 120
    .language:       OpenCL C
    .language_version:
      - 2
      - 0
    .max_flat_workgroup_size: 256
    .name:           _ZN7rocprim17ROCPRIM_400000_NS6detail17trampoline_kernelINS0_14default_configENS1_29reduce_by_key_config_selectorIttN6thrust23THRUST_200600_302600_NS4plusItEEEEZZNS1_33reduce_by_key_impl_wrapped_configILNS1_25lookback_scan_determinismE0ES3_S9_NS6_6detail15normal_iteratorINS6_10device_ptrItEEEESG_SG_SG_PmS8_22is_equal_div_10_reduceItEEE10hipError_tPvRmT2_T3_mT4_T5_T6_T7_T8_P12ihipStream_tbENKUlT_T0_E_clISt17integral_constantIbLb0EES10_IbLb1EEEEDaSW_SX_EUlSW_E_NS1_11comp_targetILNS1_3genE9ELNS1_11target_archE1100ELNS1_3gpuE3ELNS1_3repE0EEENS1_30default_config_static_selectorELNS0_4arch9wavefront6targetE1EEEvT1_
    .private_segment_fixed_size: 0
    .sgpr_count:     4
    .sgpr_spill_count: 0
    .symbol:         _ZN7rocprim17ROCPRIM_400000_NS6detail17trampoline_kernelINS0_14default_configENS1_29reduce_by_key_config_selectorIttN6thrust23THRUST_200600_302600_NS4plusItEEEEZZNS1_33reduce_by_key_impl_wrapped_configILNS1_25lookback_scan_determinismE0ES3_S9_NS6_6detail15normal_iteratorINS6_10device_ptrItEEEESG_SG_SG_PmS8_22is_equal_div_10_reduceItEEE10hipError_tPvRmT2_T3_mT4_T5_T6_T7_T8_P12ihipStream_tbENKUlT_T0_E_clISt17integral_constantIbLb0EES10_IbLb1EEEEDaSW_SX_EUlSW_E_NS1_11comp_targetILNS1_3genE9ELNS1_11target_archE1100ELNS1_3gpuE3ELNS1_3repE0EEENS1_30default_config_static_selectorELNS0_4arch9wavefront6targetE1EEEvT1_.kd
    .uniform_work_group_size: 1
    .uses_dynamic_stack: false
    .vgpr_count:     0
    .vgpr_spill_count: 0
    .wavefront_size: 64
  - .agpr_count:     0
    .args:
      - .offset:         0
        .size:           120
        .value_kind:     by_value
    .group_segment_fixed_size: 0
    .kernarg_segment_align: 8
    .kernarg_segment_size: 120
    .language:       OpenCL C
    .language_version:
      - 2
      - 0
    .max_flat_workgroup_size: 256
    .name:           _ZN7rocprim17ROCPRIM_400000_NS6detail17trampoline_kernelINS0_14default_configENS1_29reduce_by_key_config_selectorIttN6thrust23THRUST_200600_302600_NS4plusItEEEEZZNS1_33reduce_by_key_impl_wrapped_configILNS1_25lookback_scan_determinismE0ES3_S9_NS6_6detail15normal_iteratorINS6_10device_ptrItEEEESG_SG_SG_PmS8_22is_equal_div_10_reduceItEEE10hipError_tPvRmT2_T3_mT4_T5_T6_T7_T8_P12ihipStream_tbENKUlT_T0_E_clISt17integral_constantIbLb0EES10_IbLb1EEEEDaSW_SX_EUlSW_E_NS1_11comp_targetILNS1_3genE8ELNS1_11target_archE1030ELNS1_3gpuE2ELNS1_3repE0EEENS1_30default_config_static_selectorELNS0_4arch9wavefront6targetE1EEEvT1_
    .private_segment_fixed_size: 0
    .sgpr_count:     4
    .sgpr_spill_count: 0
    .symbol:         _ZN7rocprim17ROCPRIM_400000_NS6detail17trampoline_kernelINS0_14default_configENS1_29reduce_by_key_config_selectorIttN6thrust23THRUST_200600_302600_NS4plusItEEEEZZNS1_33reduce_by_key_impl_wrapped_configILNS1_25lookback_scan_determinismE0ES3_S9_NS6_6detail15normal_iteratorINS6_10device_ptrItEEEESG_SG_SG_PmS8_22is_equal_div_10_reduceItEEE10hipError_tPvRmT2_T3_mT4_T5_T6_T7_T8_P12ihipStream_tbENKUlT_T0_E_clISt17integral_constantIbLb0EES10_IbLb1EEEEDaSW_SX_EUlSW_E_NS1_11comp_targetILNS1_3genE8ELNS1_11target_archE1030ELNS1_3gpuE2ELNS1_3repE0EEENS1_30default_config_static_selectorELNS0_4arch9wavefront6targetE1EEEvT1_.kd
    .uniform_work_group_size: 1
    .uses_dynamic_stack: false
    .vgpr_count:     0
    .vgpr_spill_count: 0
    .wavefront_size: 64
  - .agpr_count:     0
    .args:
      - .offset:         0
        .size:           16
        .value_kind:     by_value
      - .offset:         16
        .size:           8
        .value_kind:     by_value
      - .offset:         24
        .size:           8
        .value_kind:     by_value
    .group_segment_fixed_size: 0
    .kernarg_segment_align: 8
    .kernarg_segment_size: 32
    .language:       OpenCL C
    .language_version:
      - 2
      - 0
    .max_flat_workgroup_size: 256
    .name:           _ZN6thrust23THRUST_200600_302600_NS11hip_rocprim14__parallel_for6kernelILj256ENS1_20__uninitialized_fill7functorINS0_10device_ptrIxEExEEmLj1EEEvT0_T1_SA_
    .private_segment_fixed_size: 0
    .sgpr_count:     20
    .sgpr_spill_count: 0
    .symbol:         _ZN6thrust23THRUST_200600_302600_NS11hip_rocprim14__parallel_for6kernelILj256ENS1_20__uninitialized_fill7functorINS0_10device_ptrIxEExEEmLj1EEEvT0_T1_SA_.kd
    .uniform_work_group_size: 1
    .uses_dynamic_stack: false
    .vgpr_count:     5
    .vgpr_spill_count: 0
    .wavefront_size: 64
  - .agpr_count:     0
    .args:
      - .offset:         0
        .size:           24
        .value_kind:     by_value
      - .offset:         24
        .size:           4
        .value_kind:     by_value
      - .offset:         28
        .size:           1
        .value_kind:     by_value
      - .offset:         32
        .size:           4
        .value_kind:     by_value
      - .address_space:  global
        .offset:         40
        .size:           8
        .value_kind:     global_buffer
      - .address_space:  global
        .offset:         48
        .size:           8
        .value_kind:     global_buffer
      - .offset:         56
        .size:           1
        .value_kind:     by_value
      - .offset:         64
        .size:           4
        .value_kind:     hidden_block_count_x
      - .offset:         68
        .size:           4
        .value_kind:     hidden_block_count_y
      - .offset:         72
        .size:           4
        .value_kind:     hidden_block_count_z
      - .offset:         76
        .size:           2
        .value_kind:     hidden_group_size_x
      - .offset:         78
        .size:           2
        .value_kind:     hidden_group_size_y
      - .offset:         80
        .size:           2
        .value_kind:     hidden_group_size_z
      - .offset:         82
        .size:           2
        .value_kind:     hidden_remainder_x
      - .offset:         84
        .size:           2
        .value_kind:     hidden_remainder_y
      - .offset:         86
        .size:           2
        .value_kind:     hidden_remainder_z
      - .offset:         104
        .size:           8
        .value_kind:     hidden_global_offset_x
      - .offset:         112
        .size:           8
        .value_kind:     hidden_global_offset_y
      - .offset:         120
        .size:           8
        .value_kind:     hidden_global_offset_z
      - .offset:         128
        .size:           2
        .value_kind:     hidden_grid_dims
    .group_segment_fixed_size: 0
    .kernarg_segment_align: 8
    .kernarg_segment_size: 320
    .language:       OpenCL C
    .language_version:
      - 2
      - 0
    .max_flat_workgroup_size: 256
    .name:           _ZN7rocprim17ROCPRIM_400000_NS6detail25reduce_by_key_init_kernelINS1_19lookback_scan_stateINS0_5tupleIJjxEEELb0ELb0EEExNS1_16block_id_wrapperIjLb0EEEEEvT_jbjPmPT0_T1_
    .private_segment_fixed_size: 0
    .sgpr_count:     22
    .sgpr_spill_count: 0
    .symbol:         _ZN7rocprim17ROCPRIM_400000_NS6detail25reduce_by_key_init_kernelINS1_19lookback_scan_stateINS0_5tupleIJjxEEELb0ELb0EEExNS1_16block_id_wrapperIjLb0EEEEEvT_jbjPmPT0_T1_.kd
    .uniform_work_group_size: 1
    .uses_dynamic_stack: false
    .vgpr_count:     7
    .vgpr_spill_count: 0
    .wavefront_size: 64
  - .agpr_count:     0
    .args:
      - .offset:         0
        .size:           136
        .value_kind:     by_value
    .group_segment_fixed_size: 0
    .kernarg_segment_align: 8
    .kernarg_segment_size: 136
    .language:       OpenCL C
    .language_version:
      - 2
      - 0
    .max_flat_workgroup_size: 256
    .name:           _ZN7rocprim17ROCPRIM_400000_NS6detail17trampoline_kernelINS0_14default_configENS1_29reduce_by_key_config_selectorIxxN6thrust23THRUST_200600_302600_NS4plusIxEEEEZZNS1_33reduce_by_key_impl_wrapped_configILNS1_25lookback_scan_determinismE0ES3_S9_NS6_6detail15normal_iteratorINS6_10device_ptrIxEEEESG_SG_SG_PmS8_NS6_8equal_toIxEEEE10hipError_tPvRmT2_T3_mT4_T5_T6_T7_T8_P12ihipStream_tbENKUlT_T0_E_clISt17integral_constantIbLb0EES11_EEDaSW_SX_EUlSW_E_NS1_11comp_targetILNS1_3genE0ELNS1_11target_archE4294967295ELNS1_3gpuE0ELNS1_3repE0EEENS1_30default_config_static_selectorELNS0_4arch9wavefront6targetE1EEEvT1_
    .private_segment_fixed_size: 0
    .sgpr_count:     4
    .sgpr_spill_count: 0
    .symbol:         _ZN7rocprim17ROCPRIM_400000_NS6detail17trampoline_kernelINS0_14default_configENS1_29reduce_by_key_config_selectorIxxN6thrust23THRUST_200600_302600_NS4plusIxEEEEZZNS1_33reduce_by_key_impl_wrapped_configILNS1_25lookback_scan_determinismE0ES3_S9_NS6_6detail15normal_iteratorINS6_10device_ptrIxEEEESG_SG_SG_PmS8_NS6_8equal_toIxEEEE10hipError_tPvRmT2_T3_mT4_T5_T6_T7_T8_P12ihipStream_tbENKUlT_T0_E_clISt17integral_constantIbLb0EES11_EEDaSW_SX_EUlSW_E_NS1_11comp_targetILNS1_3genE0ELNS1_11target_archE4294967295ELNS1_3gpuE0ELNS1_3repE0EEENS1_30default_config_static_selectorELNS0_4arch9wavefront6targetE1EEEvT1_.kd
    .uniform_work_group_size: 1
    .uses_dynamic_stack: false
    .vgpr_count:     0
    .vgpr_spill_count: 0
    .wavefront_size: 64
  - .agpr_count:     0
    .args:
      - .offset:         0
        .size:           136
        .value_kind:     by_value
    .group_segment_fixed_size: 0
    .kernarg_segment_align: 8
    .kernarg_segment_size: 136
    .language:       OpenCL C
    .language_version:
      - 2
      - 0
    .max_flat_workgroup_size: 256
    .name:           _ZN7rocprim17ROCPRIM_400000_NS6detail17trampoline_kernelINS0_14default_configENS1_29reduce_by_key_config_selectorIxxN6thrust23THRUST_200600_302600_NS4plusIxEEEEZZNS1_33reduce_by_key_impl_wrapped_configILNS1_25lookback_scan_determinismE0ES3_S9_NS6_6detail15normal_iteratorINS6_10device_ptrIxEEEESG_SG_SG_PmS8_NS6_8equal_toIxEEEE10hipError_tPvRmT2_T3_mT4_T5_T6_T7_T8_P12ihipStream_tbENKUlT_T0_E_clISt17integral_constantIbLb0EES11_EEDaSW_SX_EUlSW_E_NS1_11comp_targetILNS1_3genE5ELNS1_11target_archE942ELNS1_3gpuE9ELNS1_3repE0EEENS1_30default_config_static_selectorELNS0_4arch9wavefront6targetE1EEEvT1_
    .private_segment_fixed_size: 0
    .sgpr_count:     4
    .sgpr_spill_count: 0
    .symbol:         _ZN7rocprim17ROCPRIM_400000_NS6detail17trampoline_kernelINS0_14default_configENS1_29reduce_by_key_config_selectorIxxN6thrust23THRUST_200600_302600_NS4plusIxEEEEZZNS1_33reduce_by_key_impl_wrapped_configILNS1_25lookback_scan_determinismE0ES3_S9_NS6_6detail15normal_iteratorINS6_10device_ptrIxEEEESG_SG_SG_PmS8_NS6_8equal_toIxEEEE10hipError_tPvRmT2_T3_mT4_T5_T6_T7_T8_P12ihipStream_tbENKUlT_T0_E_clISt17integral_constantIbLb0EES11_EEDaSW_SX_EUlSW_E_NS1_11comp_targetILNS1_3genE5ELNS1_11target_archE942ELNS1_3gpuE9ELNS1_3repE0EEENS1_30default_config_static_selectorELNS0_4arch9wavefront6targetE1EEEvT1_.kd
    .uniform_work_group_size: 1
    .uses_dynamic_stack: false
    .vgpr_count:     0
    .vgpr_spill_count: 0
    .wavefront_size: 64
  - .agpr_count:     0
    .args:
      - .offset:         0
        .size:           136
        .value_kind:     by_value
    .group_segment_fixed_size: 30720
    .kernarg_segment_align: 8
    .kernarg_segment_size: 136
    .language:       OpenCL C
    .language_version:
      - 2
      - 0
    .max_flat_workgroup_size: 256
    .name:           _ZN7rocprim17ROCPRIM_400000_NS6detail17trampoline_kernelINS0_14default_configENS1_29reduce_by_key_config_selectorIxxN6thrust23THRUST_200600_302600_NS4plusIxEEEEZZNS1_33reduce_by_key_impl_wrapped_configILNS1_25lookback_scan_determinismE0ES3_S9_NS6_6detail15normal_iteratorINS6_10device_ptrIxEEEESG_SG_SG_PmS8_NS6_8equal_toIxEEEE10hipError_tPvRmT2_T3_mT4_T5_T6_T7_T8_P12ihipStream_tbENKUlT_T0_E_clISt17integral_constantIbLb0EES11_EEDaSW_SX_EUlSW_E_NS1_11comp_targetILNS1_3genE4ELNS1_11target_archE910ELNS1_3gpuE8ELNS1_3repE0EEENS1_30default_config_static_selectorELNS0_4arch9wavefront6targetE1EEEvT1_
    .private_segment_fixed_size: 0
    .sgpr_count:     69
    .sgpr_spill_count: 0
    .symbol:         _ZN7rocprim17ROCPRIM_400000_NS6detail17trampoline_kernelINS0_14default_configENS1_29reduce_by_key_config_selectorIxxN6thrust23THRUST_200600_302600_NS4plusIxEEEEZZNS1_33reduce_by_key_impl_wrapped_configILNS1_25lookback_scan_determinismE0ES3_S9_NS6_6detail15normal_iteratorINS6_10device_ptrIxEEEESG_SG_SG_PmS8_NS6_8equal_toIxEEEE10hipError_tPvRmT2_T3_mT4_T5_T6_T7_T8_P12ihipStream_tbENKUlT_T0_E_clISt17integral_constantIbLb0EES11_EEDaSW_SX_EUlSW_E_NS1_11comp_targetILNS1_3genE4ELNS1_11target_archE910ELNS1_3gpuE8ELNS1_3repE0EEENS1_30default_config_static_selectorELNS0_4arch9wavefront6targetE1EEEvT1_.kd
    .uniform_work_group_size: 1
    .uses_dynamic_stack: false
    .vgpr_count:     118
    .vgpr_spill_count: 0
    .wavefront_size: 64
  - .agpr_count:     0
    .args:
      - .offset:         0
        .size:           136
        .value_kind:     by_value
    .group_segment_fixed_size: 0
    .kernarg_segment_align: 8
    .kernarg_segment_size: 136
    .language:       OpenCL C
    .language_version:
      - 2
      - 0
    .max_flat_workgroup_size: 256
    .name:           _ZN7rocprim17ROCPRIM_400000_NS6detail17trampoline_kernelINS0_14default_configENS1_29reduce_by_key_config_selectorIxxN6thrust23THRUST_200600_302600_NS4plusIxEEEEZZNS1_33reduce_by_key_impl_wrapped_configILNS1_25lookback_scan_determinismE0ES3_S9_NS6_6detail15normal_iteratorINS6_10device_ptrIxEEEESG_SG_SG_PmS8_NS6_8equal_toIxEEEE10hipError_tPvRmT2_T3_mT4_T5_T6_T7_T8_P12ihipStream_tbENKUlT_T0_E_clISt17integral_constantIbLb0EES11_EEDaSW_SX_EUlSW_E_NS1_11comp_targetILNS1_3genE3ELNS1_11target_archE908ELNS1_3gpuE7ELNS1_3repE0EEENS1_30default_config_static_selectorELNS0_4arch9wavefront6targetE1EEEvT1_
    .private_segment_fixed_size: 0
    .sgpr_count:     4
    .sgpr_spill_count: 0
    .symbol:         _ZN7rocprim17ROCPRIM_400000_NS6detail17trampoline_kernelINS0_14default_configENS1_29reduce_by_key_config_selectorIxxN6thrust23THRUST_200600_302600_NS4plusIxEEEEZZNS1_33reduce_by_key_impl_wrapped_configILNS1_25lookback_scan_determinismE0ES3_S9_NS6_6detail15normal_iteratorINS6_10device_ptrIxEEEESG_SG_SG_PmS8_NS6_8equal_toIxEEEE10hipError_tPvRmT2_T3_mT4_T5_T6_T7_T8_P12ihipStream_tbENKUlT_T0_E_clISt17integral_constantIbLb0EES11_EEDaSW_SX_EUlSW_E_NS1_11comp_targetILNS1_3genE3ELNS1_11target_archE908ELNS1_3gpuE7ELNS1_3repE0EEENS1_30default_config_static_selectorELNS0_4arch9wavefront6targetE1EEEvT1_.kd
    .uniform_work_group_size: 1
    .uses_dynamic_stack: false
    .vgpr_count:     0
    .vgpr_spill_count: 0
    .wavefront_size: 64
  - .agpr_count:     0
    .args:
      - .offset:         0
        .size:           136
        .value_kind:     by_value
    .group_segment_fixed_size: 0
    .kernarg_segment_align: 8
    .kernarg_segment_size: 136
    .language:       OpenCL C
    .language_version:
      - 2
      - 0
    .max_flat_workgroup_size: 256
    .name:           _ZN7rocprim17ROCPRIM_400000_NS6detail17trampoline_kernelINS0_14default_configENS1_29reduce_by_key_config_selectorIxxN6thrust23THRUST_200600_302600_NS4plusIxEEEEZZNS1_33reduce_by_key_impl_wrapped_configILNS1_25lookback_scan_determinismE0ES3_S9_NS6_6detail15normal_iteratorINS6_10device_ptrIxEEEESG_SG_SG_PmS8_NS6_8equal_toIxEEEE10hipError_tPvRmT2_T3_mT4_T5_T6_T7_T8_P12ihipStream_tbENKUlT_T0_E_clISt17integral_constantIbLb0EES11_EEDaSW_SX_EUlSW_E_NS1_11comp_targetILNS1_3genE2ELNS1_11target_archE906ELNS1_3gpuE6ELNS1_3repE0EEENS1_30default_config_static_selectorELNS0_4arch9wavefront6targetE1EEEvT1_
    .private_segment_fixed_size: 0
    .sgpr_count:     4
    .sgpr_spill_count: 0
    .symbol:         _ZN7rocprim17ROCPRIM_400000_NS6detail17trampoline_kernelINS0_14default_configENS1_29reduce_by_key_config_selectorIxxN6thrust23THRUST_200600_302600_NS4plusIxEEEEZZNS1_33reduce_by_key_impl_wrapped_configILNS1_25lookback_scan_determinismE0ES3_S9_NS6_6detail15normal_iteratorINS6_10device_ptrIxEEEESG_SG_SG_PmS8_NS6_8equal_toIxEEEE10hipError_tPvRmT2_T3_mT4_T5_T6_T7_T8_P12ihipStream_tbENKUlT_T0_E_clISt17integral_constantIbLb0EES11_EEDaSW_SX_EUlSW_E_NS1_11comp_targetILNS1_3genE2ELNS1_11target_archE906ELNS1_3gpuE6ELNS1_3repE0EEENS1_30default_config_static_selectorELNS0_4arch9wavefront6targetE1EEEvT1_.kd
    .uniform_work_group_size: 1
    .uses_dynamic_stack: false
    .vgpr_count:     0
    .vgpr_spill_count: 0
    .wavefront_size: 64
  - .agpr_count:     0
    .args:
      - .offset:         0
        .size:           136
        .value_kind:     by_value
    .group_segment_fixed_size: 0
    .kernarg_segment_align: 8
    .kernarg_segment_size: 136
    .language:       OpenCL C
    .language_version:
      - 2
      - 0
    .max_flat_workgroup_size: 256
    .name:           _ZN7rocprim17ROCPRIM_400000_NS6detail17trampoline_kernelINS0_14default_configENS1_29reduce_by_key_config_selectorIxxN6thrust23THRUST_200600_302600_NS4plusIxEEEEZZNS1_33reduce_by_key_impl_wrapped_configILNS1_25lookback_scan_determinismE0ES3_S9_NS6_6detail15normal_iteratorINS6_10device_ptrIxEEEESG_SG_SG_PmS8_NS6_8equal_toIxEEEE10hipError_tPvRmT2_T3_mT4_T5_T6_T7_T8_P12ihipStream_tbENKUlT_T0_E_clISt17integral_constantIbLb0EES11_EEDaSW_SX_EUlSW_E_NS1_11comp_targetILNS1_3genE10ELNS1_11target_archE1201ELNS1_3gpuE5ELNS1_3repE0EEENS1_30default_config_static_selectorELNS0_4arch9wavefront6targetE1EEEvT1_
    .private_segment_fixed_size: 0
    .sgpr_count:     4
    .sgpr_spill_count: 0
    .symbol:         _ZN7rocprim17ROCPRIM_400000_NS6detail17trampoline_kernelINS0_14default_configENS1_29reduce_by_key_config_selectorIxxN6thrust23THRUST_200600_302600_NS4plusIxEEEEZZNS1_33reduce_by_key_impl_wrapped_configILNS1_25lookback_scan_determinismE0ES3_S9_NS6_6detail15normal_iteratorINS6_10device_ptrIxEEEESG_SG_SG_PmS8_NS6_8equal_toIxEEEE10hipError_tPvRmT2_T3_mT4_T5_T6_T7_T8_P12ihipStream_tbENKUlT_T0_E_clISt17integral_constantIbLb0EES11_EEDaSW_SX_EUlSW_E_NS1_11comp_targetILNS1_3genE10ELNS1_11target_archE1201ELNS1_3gpuE5ELNS1_3repE0EEENS1_30default_config_static_selectorELNS0_4arch9wavefront6targetE1EEEvT1_.kd
    .uniform_work_group_size: 1
    .uses_dynamic_stack: false
    .vgpr_count:     0
    .vgpr_spill_count: 0
    .wavefront_size: 64
  - .agpr_count:     0
    .args:
      - .offset:         0
        .size:           136
        .value_kind:     by_value
    .group_segment_fixed_size: 0
    .kernarg_segment_align: 8
    .kernarg_segment_size: 136
    .language:       OpenCL C
    .language_version:
      - 2
      - 0
    .max_flat_workgroup_size: 256
    .name:           _ZN7rocprim17ROCPRIM_400000_NS6detail17trampoline_kernelINS0_14default_configENS1_29reduce_by_key_config_selectorIxxN6thrust23THRUST_200600_302600_NS4plusIxEEEEZZNS1_33reduce_by_key_impl_wrapped_configILNS1_25lookback_scan_determinismE0ES3_S9_NS6_6detail15normal_iteratorINS6_10device_ptrIxEEEESG_SG_SG_PmS8_NS6_8equal_toIxEEEE10hipError_tPvRmT2_T3_mT4_T5_T6_T7_T8_P12ihipStream_tbENKUlT_T0_E_clISt17integral_constantIbLb0EES11_EEDaSW_SX_EUlSW_E_NS1_11comp_targetILNS1_3genE10ELNS1_11target_archE1200ELNS1_3gpuE4ELNS1_3repE0EEENS1_30default_config_static_selectorELNS0_4arch9wavefront6targetE1EEEvT1_
    .private_segment_fixed_size: 0
    .sgpr_count:     4
    .sgpr_spill_count: 0
    .symbol:         _ZN7rocprim17ROCPRIM_400000_NS6detail17trampoline_kernelINS0_14default_configENS1_29reduce_by_key_config_selectorIxxN6thrust23THRUST_200600_302600_NS4plusIxEEEEZZNS1_33reduce_by_key_impl_wrapped_configILNS1_25lookback_scan_determinismE0ES3_S9_NS6_6detail15normal_iteratorINS6_10device_ptrIxEEEESG_SG_SG_PmS8_NS6_8equal_toIxEEEE10hipError_tPvRmT2_T3_mT4_T5_T6_T7_T8_P12ihipStream_tbENKUlT_T0_E_clISt17integral_constantIbLb0EES11_EEDaSW_SX_EUlSW_E_NS1_11comp_targetILNS1_3genE10ELNS1_11target_archE1200ELNS1_3gpuE4ELNS1_3repE0EEENS1_30default_config_static_selectorELNS0_4arch9wavefront6targetE1EEEvT1_.kd
    .uniform_work_group_size: 1
    .uses_dynamic_stack: false
    .vgpr_count:     0
    .vgpr_spill_count: 0
    .wavefront_size: 64
  - .agpr_count:     0
    .args:
      - .offset:         0
        .size:           136
        .value_kind:     by_value
    .group_segment_fixed_size: 0
    .kernarg_segment_align: 8
    .kernarg_segment_size: 136
    .language:       OpenCL C
    .language_version:
      - 2
      - 0
    .max_flat_workgroup_size: 256
    .name:           _ZN7rocprim17ROCPRIM_400000_NS6detail17trampoline_kernelINS0_14default_configENS1_29reduce_by_key_config_selectorIxxN6thrust23THRUST_200600_302600_NS4plusIxEEEEZZNS1_33reduce_by_key_impl_wrapped_configILNS1_25lookback_scan_determinismE0ES3_S9_NS6_6detail15normal_iteratorINS6_10device_ptrIxEEEESG_SG_SG_PmS8_NS6_8equal_toIxEEEE10hipError_tPvRmT2_T3_mT4_T5_T6_T7_T8_P12ihipStream_tbENKUlT_T0_E_clISt17integral_constantIbLb0EES11_EEDaSW_SX_EUlSW_E_NS1_11comp_targetILNS1_3genE9ELNS1_11target_archE1100ELNS1_3gpuE3ELNS1_3repE0EEENS1_30default_config_static_selectorELNS0_4arch9wavefront6targetE1EEEvT1_
    .private_segment_fixed_size: 0
    .sgpr_count:     4
    .sgpr_spill_count: 0
    .symbol:         _ZN7rocprim17ROCPRIM_400000_NS6detail17trampoline_kernelINS0_14default_configENS1_29reduce_by_key_config_selectorIxxN6thrust23THRUST_200600_302600_NS4plusIxEEEEZZNS1_33reduce_by_key_impl_wrapped_configILNS1_25lookback_scan_determinismE0ES3_S9_NS6_6detail15normal_iteratorINS6_10device_ptrIxEEEESG_SG_SG_PmS8_NS6_8equal_toIxEEEE10hipError_tPvRmT2_T3_mT4_T5_T6_T7_T8_P12ihipStream_tbENKUlT_T0_E_clISt17integral_constantIbLb0EES11_EEDaSW_SX_EUlSW_E_NS1_11comp_targetILNS1_3genE9ELNS1_11target_archE1100ELNS1_3gpuE3ELNS1_3repE0EEENS1_30default_config_static_selectorELNS0_4arch9wavefront6targetE1EEEvT1_.kd
    .uniform_work_group_size: 1
    .uses_dynamic_stack: false
    .vgpr_count:     0
    .vgpr_spill_count: 0
    .wavefront_size: 64
  - .agpr_count:     0
    .args:
      - .offset:         0
        .size:           136
        .value_kind:     by_value
    .group_segment_fixed_size: 0
    .kernarg_segment_align: 8
    .kernarg_segment_size: 136
    .language:       OpenCL C
    .language_version:
      - 2
      - 0
    .max_flat_workgroup_size: 256
    .name:           _ZN7rocprim17ROCPRIM_400000_NS6detail17trampoline_kernelINS0_14default_configENS1_29reduce_by_key_config_selectorIxxN6thrust23THRUST_200600_302600_NS4plusIxEEEEZZNS1_33reduce_by_key_impl_wrapped_configILNS1_25lookback_scan_determinismE0ES3_S9_NS6_6detail15normal_iteratorINS6_10device_ptrIxEEEESG_SG_SG_PmS8_NS6_8equal_toIxEEEE10hipError_tPvRmT2_T3_mT4_T5_T6_T7_T8_P12ihipStream_tbENKUlT_T0_E_clISt17integral_constantIbLb0EES11_EEDaSW_SX_EUlSW_E_NS1_11comp_targetILNS1_3genE8ELNS1_11target_archE1030ELNS1_3gpuE2ELNS1_3repE0EEENS1_30default_config_static_selectorELNS0_4arch9wavefront6targetE1EEEvT1_
    .private_segment_fixed_size: 0
    .sgpr_count:     4
    .sgpr_spill_count: 0
    .symbol:         _ZN7rocprim17ROCPRIM_400000_NS6detail17trampoline_kernelINS0_14default_configENS1_29reduce_by_key_config_selectorIxxN6thrust23THRUST_200600_302600_NS4plusIxEEEEZZNS1_33reduce_by_key_impl_wrapped_configILNS1_25lookback_scan_determinismE0ES3_S9_NS6_6detail15normal_iteratorINS6_10device_ptrIxEEEESG_SG_SG_PmS8_NS6_8equal_toIxEEEE10hipError_tPvRmT2_T3_mT4_T5_T6_T7_T8_P12ihipStream_tbENKUlT_T0_E_clISt17integral_constantIbLb0EES11_EEDaSW_SX_EUlSW_E_NS1_11comp_targetILNS1_3genE8ELNS1_11target_archE1030ELNS1_3gpuE2ELNS1_3repE0EEENS1_30default_config_static_selectorELNS0_4arch9wavefront6targetE1EEEvT1_.kd
    .uniform_work_group_size: 1
    .uses_dynamic_stack: false
    .vgpr_count:     0
    .vgpr_spill_count: 0
    .wavefront_size: 64
  - .agpr_count:     0
    .args:
      - .offset:         0
        .size:           24
        .value_kind:     by_value
      - .offset:         24
        .size:           4
        .value_kind:     by_value
      - .offset:         28
        .size:           1
        .value_kind:     by_value
      - .offset:         32
        .size:           4
        .value_kind:     by_value
      - .address_space:  global
        .offset:         40
        .size:           8
        .value_kind:     global_buffer
      - .address_space:  global
        .offset:         48
        .size:           8
        .value_kind:     global_buffer
      - .address_space:  global
        .offset:         56
        .size:           8
        .value_kind:     global_buffer
      - .offset:         64
        .size:           4
        .value_kind:     hidden_block_count_x
      - .offset:         68
        .size:           4
        .value_kind:     hidden_block_count_y
      - .offset:         72
        .size:           4
        .value_kind:     hidden_block_count_z
      - .offset:         76
        .size:           2
        .value_kind:     hidden_group_size_x
      - .offset:         78
        .size:           2
        .value_kind:     hidden_group_size_y
      - .offset:         80
        .size:           2
        .value_kind:     hidden_group_size_z
      - .offset:         82
        .size:           2
        .value_kind:     hidden_remainder_x
      - .offset:         84
        .size:           2
        .value_kind:     hidden_remainder_y
      - .offset:         86
        .size:           2
        .value_kind:     hidden_remainder_z
      - .offset:         104
        .size:           8
        .value_kind:     hidden_global_offset_x
      - .offset:         112
        .size:           8
        .value_kind:     hidden_global_offset_y
      - .offset:         120
        .size:           8
        .value_kind:     hidden_global_offset_z
      - .offset:         128
        .size:           2
        .value_kind:     hidden_grid_dims
    .group_segment_fixed_size: 0
    .kernarg_segment_align: 8
    .kernarg_segment_size: 320
    .language:       OpenCL C
    .language_version:
      - 2
      - 0
    .max_flat_workgroup_size: 256
    .name:           _ZN7rocprim17ROCPRIM_400000_NS6detail25reduce_by_key_init_kernelINS1_19lookback_scan_stateINS0_5tupleIJjxEEELb1ELb0EEExNS1_16block_id_wrapperIjLb1EEEEEvT_jbjPmPT0_T1_
    .private_segment_fixed_size: 0
    .sgpr_count:     26
    .sgpr_spill_count: 0
    .symbol:         _ZN7rocprim17ROCPRIM_400000_NS6detail25reduce_by_key_init_kernelINS1_19lookback_scan_stateINS0_5tupleIJjxEEELb1ELb0EEExNS1_16block_id_wrapperIjLb1EEEEEvT_jbjPmPT0_T1_.kd
    .uniform_work_group_size: 1
    .uses_dynamic_stack: false
    .vgpr_count:     7
    .vgpr_spill_count: 0
    .wavefront_size: 64
  - .agpr_count:     0
    .args:
      - .offset:         0
        .size:           136
        .value_kind:     by_value
    .group_segment_fixed_size: 0
    .kernarg_segment_align: 8
    .kernarg_segment_size: 136
    .language:       OpenCL C
    .language_version:
      - 2
      - 0
    .max_flat_workgroup_size: 256
    .name:           _ZN7rocprim17ROCPRIM_400000_NS6detail17trampoline_kernelINS0_14default_configENS1_29reduce_by_key_config_selectorIxxN6thrust23THRUST_200600_302600_NS4plusIxEEEEZZNS1_33reduce_by_key_impl_wrapped_configILNS1_25lookback_scan_determinismE0ES3_S9_NS6_6detail15normal_iteratorINS6_10device_ptrIxEEEESG_SG_SG_PmS8_NS6_8equal_toIxEEEE10hipError_tPvRmT2_T3_mT4_T5_T6_T7_T8_P12ihipStream_tbENKUlT_T0_E_clISt17integral_constantIbLb1EES11_EEDaSW_SX_EUlSW_E_NS1_11comp_targetILNS1_3genE0ELNS1_11target_archE4294967295ELNS1_3gpuE0ELNS1_3repE0EEENS1_30default_config_static_selectorELNS0_4arch9wavefront6targetE1EEEvT1_
    .private_segment_fixed_size: 0
    .sgpr_count:     4
    .sgpr_spill_count: 0
    .symbol:         _ZN7rocprim17ROCPRIM_400000_NS6detail17trampoline_kernelINS0_14default_configENS1_29reduce_by_key_config_selectorIxxN6thrust23THRUST_200600_302600_NS4plusIxEEEEZZNS1_33reduce_by_key_impl_wrapped_configILNS1_25lookback_scan_determinismE0ES3_S9_NS6_6detail15normal_iteratorINS6_10device_ptrIxEEEESG_SG_SG_PmS8_NS6_8equal_toIxEEEE10hipError_tPvRmT2_T3_mT4_T5_T6_T7_T8_P12ihipStream_tbENKUlT_T0_E_clISt17integral_constantIbLb1EES11_EEDaSW_SX_EUlSW_E_NS1_11comp_targetILNS1_3genE0ELNS1_11target_archE4294967295ELNS1_3gpuE0ELNS1_3repE0EEENS1_30default_config_static_selectorELNS0_4arch9wavefront6targetE1EEEvT1_.kd
    .uniform_work_group_size: 1
    .uses_dynamic_stack: false
    .vgpr_count:     0
    .vgpr_spill_count: 0
    .wavefront_size: 64
  - .agpr_count:     0
    .args:
      - .offset:         0
        .size:           136
        .value_kind:     by_value
    .group_segment_fixed_size: 0
    .kernarg_segment_align: 8
    .kernarg_segment_size: 136
    .language:       OpenCL C
    .language_version:
      - 2
      - 0
    .max_flat_workgroup_size: 256
    .name:           _ZN7rocprim17ROCPRIM_400000_NS6detail17trampoline_kernelINS0_14default_configENS1_29reduce_by_key_config_selectorIxxN6thrust23THRUST_200600_302600_NS4plusIxEEEEZZNS1_33reduce_by_key_impl_wrapped_configILNS1_25lookback_scan_determinismE0ES3_S9_NS6_6detail15normal_iteratorINS6_10device_ptrIxEEEESG_SG_SG_PmS8_NS6_8equal_toIxEEEE10hipError_tPvRmT2_T3_mT4_T5_T6_T7_T8_P12ihipStream_tbENKUlT_T0_E_clISt17integral_constantIbLb1EES11_EEDaSW_SX_EUlSW_E_NS1_11comp_targetILNS1_3genE5ELNS1_11target_archE942ELNS1_3gpuE9ELNS1_3repE0EEENS1_30default_config_static_selectorELNS0_4arch9wavefront6targetE1EEEvT1_
    .private_segment_fixed_size: 0
    .sgpr_count:     4
    .sgpr_spill_count: 0
    .symbol:         _ZN7rocprim17ROCPRIM_400000_NS6detail17trampoline_kernelINS0_14default_configENS1_29reduce_by_key_config_selectorIxxN6thrust23THRUST_200600_302600_NS4plusIxEEEEZZNS1_33reduce_by_key_impl_wrapped_configILNS1_25lookback_scan_determinismE0ES3_S9_NS6_6detail15normal_iteratorINS6_10device_ptrIxEEEESG_SG_SG_PmS8_NS6_8equal_toIxEEEE10hipError_tPvRmT2_T3_mT4_T5_T6_T7_T8_P12ihipStream_tbENKUlT_T0_E_clISt17integral_constantIbLb1EES11_EEDaSW_SX_EUlSW_E_NS1_11comp_targetILNS1_3genE5ELNS1_11target_archE942ELNS1_3gpuE9ELNS1_3repE0EEENS1_30default_config_static_selectorELNS0_4arch9wavefront6targetE1EEEvT1_.kd
    .uniform_work_group_size: 1
    .uses_dynamic_stack: false
    .vgpr_count:     0
    .vgpr_spill_count: 0
    .wavefront_size: 64
  - .agpr_count:     0
    .args:
      - .offset:         0
        .size:           136
        .value_kind:     by_value
    .group_segment_fixed_size: 30720
    .kernarg_segment_align: 8
    .kernarg_segment_size: 136
    .language:       OpenCL C
    .language_version:
      - 2
      - 0
    .max_flat_workgroup_size: 256
    .name:           _ZN7rocprim17ROCPRIM_400000_NS6detail17trampoline_kernelINS0_14default_configENS1_29reduce_by_key_config_selectorIxxN6thrust23THRUST_200600_302600_NS4plusIxEEEEZZNS1_33reduce_by_key_impl_wrapped_configILNS1_25lookback_scan_determinismE0ES3_S9_NS6_6detail15normal_iteratorINS6_10device_ptrIxEEEESG_SG_SG_PmS8_NS6_8equal_toIxEEEE10hipError_tPvRmT2_T3_mT4_T5_T6_T7_T8_P12ihipStream_tbENKUlT_T0_E_clISt17integral_constantIbLb1EES11_EEDaSW_SX_EUlSW_E_NS1_11comp_targetILNS1_3genE4ELNS1_11target_archE910ELNS1_3gpuE8ELNS1_3repE0EEENS1_30default_config_static_selectorELNS0_4arch9wavefront6targetE1EEEvT1_
    .private_segment_fixed_size: 0
    .sgpr_count:     70
    .sgpr_spill_count: 0
    .symbol:         _ZN7rocprim17ROCPRIM_400000_NS6detail17trampoline_kernelINS0_14default_configENS1_29reduce_by_key_config_selectorIxxN6thrust23THRUST_200600_302600_NS4plusIxEEEEZZNS1_33reduce_by_key_impl_wrapped_configILNS1_25lookback_scan_determinismE0ES3_S9_NS6_6detail15normal_iteratorINS6_10device_ptrIxEEEESG_SG_SG_PmS8_NS6_8equal_toIxEEEE10hipError_tPvRmT2_T3_mT4_T5_T6_T7_T8_P12ihipStream_tbENKUlT_T0_E_clISt17integral_constantIbLb1EES11_EEDaSW_SX_EUlSW_E_NS1_11comp_targetILNS1_3genE4ELNS1_11target_archE910ELNS1_3gpuE8ELNS1_3repE0EEENS1_30default_config_static_selectorELNS0_4arch9wavefront6targetE1EEEvT1_.kd
    .uniform_work_group_size: 1
    .uses_dynamic_stack: false
    .vgpr_count:     118
    .vgpr_spill_count: 0
    .wavefront_size: 64
  - .agpr_count:     0
    .args:
      - .offset:         0
        .size:           136
        .value_kind:     by_value
    .group_segment_fixed_size: 0
    .kernarg_segment_align: 8
    .kernarg_segment_size: 136
    .language:       OpenCL C
    .language_version:
      - 2
      - 0
    .max_flat_workgroup_size: 256
    .name:           _ZN7rocprim17ROCPRIM_400000_NS6detail17trampoline_kernelINS0_14default_configENS1_29reduce_by_key_config_selectorIxxN6thrust23THRUST_200600_302600_NS4plusIxEEEEZZNS1_33reduce_by_key_impl_wrapped_configILNS1_25lookback_scan_determinismE0ES3_S9_NS6_6detail15normal_iteratorINS6_10device_ptrIxEEEESG_SG_SG_PmS8_NS6_8equal_toIxEEEE10hipError_tPvRmT2_T3_mT4_T5_T6_T7_T8_P12ihipStream_tbENKUlT_T0_E_clISt17integral_constantIbLb1EES11_EEDaSW_SX_EUlSW_E_NS1_11comp_targetILNS1_3genE3ELNS1_11target_archE908ELNS1_3gpuE7ELNS1_3repE0EEENS1_30default_config_static_selectorELNS0_4arch9wavefront6targetE1EEEvT1_
    .private_segment_fixed_size: 0
    .sgpr_count:     4
    .sgpr_spill_count: 0
    .symbol:         _ZN7rocprim17ROCPRIM_400000_NS6detail17trampoline_kernelINS0_14default_configENS1_29reduce_by_key_config_selectorIxxN6thrust23THRUST_200600_302600_NS4plusIxEEEEZZNS1_33reduce_by_key_impl_wrapped_configILNS1_25lookback_scan_determinismE0ES3_S9_NS6_6detail15normal_iteratorINS6_10device_ptrIxEEEESG_SG_SG_PmS8_NS6_8equal_toIxEEEE10hipError_tPvRmT2_T3_mT4_T5_T6_T7_T8_P12ihipStream_tbENKUlT_T0_E_clISt17integral_constantIbLb1EES11_EEDaSW_SX_EUlSW_E_NS1_11comp_targetILNS1_3genE3ELNS1_11target_archE908ELNS1_3gpuE7ELNS1_3repE0EEENS1_30default_config_static_selectorELNS0_4arch9wavefront6targetE1EEEvT1_.kd
    .uniform_work_group_size: 1
    .uses_dynamic_stack: false
    .vgpr_count:     0
    .vgpr_spill_count: 0
    .wavefront_size: 64
  - .agpr_count:     0
    .args:
      - .offset:         0
        .size:           136
        .value_kind:     by_value
    .group_segment_fixed_size: 0
    .kernarg_segment_align: 8
    .kernarg_segment_size: 136
    .language:       OpenCL C
    .language_version:
      - 2
      - 0
    .max_flat_workgroup_size: 256
    .name:           _ZN7rocprim17ROCPRIM_400000_NS6detail17trampoline_kernelINS0_14default_configENS1_29reduce_by_key_config_selectorIxxN6thrust23THRUST_200600_302600_NS4plusIxEEEEZZNS1_33reduce_by_key_impl_wrapped_configILNS1_25lookback_scan_determinismE0ES3_S9_NS6_6detail15normal_iteratorINS6_10device_ptrIxEEEESG_SG_SG_PmS8_NS6_8equal_toIxEEEE10hipError_tPvRmT2_T3_mT4_T5_T6_T7_T8_P12ihipStream_tbENKUlT_T0_E_clISt17integral_constantIbLb1EES11_EEDaSW_SX_EUlSW_E_NS1_11comp_targetILNS1_3genE2ELNS1_11target_archE906ELNS1_3gpuE6ELNS1_3repE0EEENS1_30default_config_static_selectorELNS0_4arch9wavefront6targetE1EEEvT1_
    .private_segment_fixed_size: 0
    .sgpr_count:     4
    .sgpr_spill_count: 0
    .symbol:         _ZN7rocprim17ROCPRIM_400000_NS6detail17trampoline_kernelINS0_14default_configENS1_29reduce_by_key_config_selectorIxxN6thrust23THRUST_200600_302600_NS4plusIxEEEEZZNS1_33reduce_by_key_impl_wrapped_configILNS1_25lookback_scan_determinismE0ES3_S9_NS6_6detail15normal_iteratorINS6_10device_ptrIxEEEESG_SG_SG_PmS8_NS6_8equal_toIxEEEE10hipError_tPvRmT2_T3_mT4_T5_T6_T7_T8_P12ihipStream_tbENKUlT_T0_E_clISt17integral_constantIbLb1EES11_EEDaSW_SX_EUlSW_E_NS1_11comp_targetILNS1_3genE2ELNS1_11target_archE906ELNS1_3gpuE6ELNS1_3repE0EEENS1_30default_config_static_selectorELNS0_4arch9wavefront6targetE1EEEvT1_.kd
    .uniform_work_group_size: 1
    .uses_dynamic_stack: false
    .vgpr_count:     0
    .vgpr_spill_count: 0
    .wavefront_size: 64
  - .agpr_count:     0
    .args:
      - .offset:         0
        .size:           136
        .value_kind:     by_value
    .group_segment_fixed_size: 0
    .kernarg_segment_align: 8
    .kernarg_segment_size: 136
    .language:       OpenCL C
    .language_version:
      - 2
      - 0
    .max_flat_workgroup_size: 256
    .name:           _ZN7rocprim17ROCPRIM_400000_NS6detail17trampoline_kernelINS0_14default_configENS1_29reduce_by_key_config_selectorIxxN6thrust23THRUST_200600_302600_NS4plusIxEEEEZZNS1_33reduce_by_key_impl_wrapped_configILNS1_25lookback_scan_determinismE0ES3_S9_NS6_6detail15normal_iteratorINS6_10device_ptrIxEEEESG_SG_SG_PmS8_NS6_8equal_toIxEEEE10hipError_tPvRmT2_T3_mT4_T5_T6_T7_T8_P12ihipStream_tbENKUlT_T0_E_clISt17integral_constantIbLb1EES11_EEDaSW_SX_EUlSW_E_NS1_11comp_targetILNS1_3genE10ELNS1_11target_archE1201ELNS1_3gpuE5ELNS1_3repE0EEENS1_30default_config_static_selectorELNS0_4arch9wavefront6targetE1EEEvT1_
    .private_segment_fixed_size: 0
    .sgpr_count:     4
    .sgpr_spill_count: 0
    .symbol:         _ZN7rocprim17ROCPRIM_400000_NS6detail17trampoline_kernelINS0_14default_configENS1_29reduce_by_key_config_selectorIxxN6thrust23THRUST_200600_302600_NS4plusIxEEEEZZNS1_33reduce_by_key_impl_wrapped_configILNS1_25lookback_scan_determinismE0ES3_S9_NS6_6detail15normal_iteratorINS6_10device_ptrIxEEEESG_SG_SG_PmS8_NS6_8equal_toIxEEEE10hipError_tPvRmT2_T3_mT4_T5_T6_T7_T8_P12ihipStream_tbENKUlT_T0_E_clISt17integral_constantIbLb1EES11_EEDaSW_SX_EUlSW_E_NS1_11comp_targetILNS1_3genE10ELNS1_11target_archE1201ELNS1_3gpuE5ELNS1_3repE0EEENS1_30default_config_static_selectorELNS0_4arch9wavefront6targetE1EEEvT1_.kd
    .uniform_work_group_size: 1
    .uses_dynamic_stack: false
    .vgpr_count:     0
    .vgpr_spill_count: 0
    .wavefront_size: 64
  - .agpr_count:     0
    .args:
      - .offset:         0
        .size:           136
        .value_kind:     by_value
    .group_segment_fixed_size: 0
    .kernarg_segment_align: 8
    .kernarg_segment_size: 136
    .language:       OpenCL C
    .language_version:
      - 2
      - 0
    .max_flat_workgroup_size: 256
    .name:           _ZN7rocprim17ROCPRIM_400000_NS6detail17trampoline_kernelINS0_14default_configENS1_29reduce_by_key_config_selectorIxxN6thrust23THRUST_200600_302600_NS4plusIxEEEEZZNS1_33reduce_by_key_impl_wrapped_configILNS1_25lookback_scan_determinismE0ES3_S9_NS6_6detail15normal_iteratorINS6_10device_ptrIxEEEESG_SG_SG_PmS8_NS6_8equal_toIxEEEE10hipError_tPvRmT2_T3_mT4_T5_T6_T7_T8_P12ihipStream_tbENKUlT_T0_E_clISt17integral_constantIbLb1EES11_EEDaSW_SX_EUlSW_E_NS1_11comp_targetILNS1_3genE10ELNS1_11target_archE1200ELNS1_3gpuE4ELNS1_3repE0EEENS1_30default_config_static_selectorELNS0_4arch9wavefront6targetE1EEEvT1_
    .private_segment_fixed_size: 0
    .sgpr_count:     4
    .sgpr_spill_count: 0
    .symbol:         _ZN7rocprim17ROCPRIM_400000_NS6detail17trampoline_kernelINS0_14default_configENS1_29reduce_by_key_config_selectorIxxN6thrust23THRUST_200600_302600_NS4plusIxEEEEZZNS1_33reduce_by_key_impl_wrapped_configILNS1_25lookback_scan_determinismE0ES3_S9_NS6_6detail15normal_iteratorINS6_10device_ptrIxEEEESG_SG_SG_PmS8_NS6_8equal_toIxEEEE10hipError_tPvRmT2_T3_mT4_T5_T6_T7_T8_P12ihipStream_tbENKUlT_T0_E_clISt17integral_constantIbLb1EES11_EEDaSW_SX_EUlSW_E_NS1_11comp_targetILNS1_3genE10ELNS1_11target_archE1200ELNS1_3gpuE4ELNS1_3repE0EEENS1_30default_config_static_selectorELNS0_4arch9wavefront6targetE1EEEvT1_.kd
    .uniform_work_group_size: 1
    .uses_dynamic_stack: false
    .vgpr_count:     0
    .vgpr_spill_count: 0
    .wavefront_size: 64
  - .agpr_count:     0
    .args:
      - .offset:         0
        .size:           136
        .value_kind:     by_value
    .group_segment_fixed_size: 0
    .kernarg_segment_align: 8
    .kernarg_segment_size: 136
    .language:       OpenCL C
    .language_version:
      - 2
      - 0
    .max_flat_workgroup_size: 256
    .name:           _ZN7rocprim17ROCPRIM_400000_NS6detail17trampoline_kernelINS0_14default_configENS1_29reduce_by_key_config_selectorIxxN6thrust23THRUST_200600_302600_NS4plusIxEEEEZZNS1_33reduce_by_key_impl_wrapped_configILNS1_25lookback_scan_determinismE0ES3_S9_NS6_6detail15normal_iteratorINS6_10device_ptrIxEEEESG_SG_SG_PmS8_NS6_8equal_toIxEEEE10hipError_tPvRmT2_T3_mT4_T5_T6_T7_T8_P12ihipStream_tbENKUlT_T0_E_clISt17integral_constantIbLb1EES11_EEDaSW_SX_EUlSW_E_NS1_11comp_targetILNS1_3genE9ELNS1_11target_archE1100ELNS1_3gpuE3ELNS1_3repE0EEENS1_30default_config_static_selectorELNS0_4arch9wavefront6targetE1EEEvT1_
    .private_segment_fixed_size: 0
    .sgpr_count:     4
    .sgpr_spill_count: 0
    .symbol:         _ZN7rocprim17ROCPRIM_400000_NS6detail17trampoline_kernelINS0_14default_configENS1_29reduce_by_key_config_selectorIxxN6thrust23THRUST_200600_302600_NS4plusIxEEEEZZNS1_33reduce_by_key_impl_wrapped_configILNS1_25lookback_scan_determinismE0ES3_S9_NS6_6detail15normal_iteratorINS6_10device_ptrIxEEEESG_SG_SG_PmS8_NS6_8equal_toIxEEEE10hipError_tPvRmT2_T3_mT4_T5_T6_T7_T8_P12ihipStream_tbENKUlT_T0_E_clISt17integral_constantIbLb1EES11_EEDaSW_SX_EUlSW_E_NS1_11comp_targetILNS1_3genE9ELNS1_11target_archE1100ELNS1_3gpuE3ELNS1_3repE0EEENS1_30default_config_static_selectorELNS0_4arch9wavefront6targetE1EEEvT1_.kd
    .uniform_work_group_size: 1
    .uses_dynamic_stack: false
    .vgpr_count:     0
    .vgpr_spill_count: 0
    .wavefront_size: 64
  - .agpr_count:     0
    .args:
      - .offset:         0
        .size:           136
        .value_kind:     by_value
    .group_segment_fixed_size: 0
    .kernarg_segment_align: 8
    .kernarg_segment_size: 136
    .language:       OpenCL C
    .language_version:
      - 2
      - 0
    .max_flat_workgroup_size: 256
    .name:           _ZN7rocprim17ROCPRIM_400000_NS6detail17trampoline_kernelINS0_14default_configENS1_29reduce_by_key_config_selectorIxxN6thrust23THRUST_200600_302600_NS4plusIxEEEEZZNS1_33reduce_by_key_impl_wrapped_configILNS1_25lookback_scan_determinismE0ES3_S9_NS6_6detail15normal_iteratorINS6_10device_ptrIxEEEESG_SG_SG_PmS8_NS6_8equal_toIxEEEE10hipError_tPvRmT2_T3_mT4_T5_T6_T7_T8_P12ihipStream_tbENKUlT_T0_E_clISt17integral_constantIbLb1EES11_EEDaSW_SX_EUlSW_E_NS1_11comp_targetILNS1_3genE8ELNS1_11target_archE1030ELNS1_3gpuE2ELNS1_3repE0EEENS1_30default_config_static_selectorELNS0_4arch9wavefront6targetE1EEEvT1_
    .private_segment_fixed_size: 0
    .sgpr_count:     4
    .sgpr_spill_count: 0
    .symbol:         _ZN7rocprim17ROCPRIM_400000_NS6detail17trampoline_kernelINS0_14default_configENS1_29reduce_by_key_config_selectorIxxN6thrust23THRUST_200600_302600_NS4plusIxEEEEZZNS1_33reduce_by_key_impl_wrapped_configILNS1_25lookback_scan_determinismE0ES3_S9_NS6_6detail15normal_iteratorINS6_10device_ptrIxEEEESG_SG_SG_PmS8_NS6_8equal_toIxEEEE10hipError_tPvRmT2_T3_mT4_T5_T6_T7_T8_P12ihipStream_tbENKUlT_T0_E_clISt17integral_constantIbLb1EES11_EEDaSW_SX_EUlSW_E_NS1_11comp_targetILNS1_3genE8ELNS1_11target_archE1030ELNS1_3gpuE2ELNS1_3repE0EEENS1_30default_config_static_selectorELNS0_4arch9wavefront6targetE1EEEvT1_.kd
    .uniform_work_group_size: 1
    .uses_dynamic_stack: false
    .vgpr_count:     0
    .vgpr_spill_count: 0
    .wavefront_size: 64
  - .agpr_count:     0
    .args:
      - .offset:         0
        .size:           24
        .value_kind:     by_value
      - .offset:         24
        .size:           4
        .value_kind:     by_value
      - .offset:         28
        .size:           1
        .value_kind:     by_value
      - .offset:         32
        .size:           4
        .value_kind:     by_value
      - .address_space:  global
        .offset:         40
        .size:           8
        .value_kind:     global_buffer
      - .address_space:  global
        .offset:         48
        .size:           8
        .value_kind:     global_buffer
      - .offset:         56
        .size:           1
        .value_kind:     by_value
      - .offset:         64
        .size:           4
        .value_kind:     hidden_block_count_x
      - .offset:         68
        .size:           4
        .value_kind:     hidden_block_count_y
      - .offset:         72
        .size:           4
        .value_kind:     hidden_block_count_z
      - .offset:         76
        .size:           2
        .value_kind:     hidden_group_size_x
      - .offset:         78
        .size:           2
        .value_kind:     hidden_group_size_y
      - .offset:         80
        .size:           2
        .value_kind:     hidden_group_size_z
      - .offset:         82
        .size:           2
        .value_kind:     hidden_remainder_x
      - .offset:         84
        .size:           2
        .value_kind:     hidden_remainder_y
      - .offset:         86
        .size:           2
        .value_kind:     hidden_remainder_z
      - .offset:         104
        .size:           8
        .value_kind:     hidden_global_offset_x
      - .offset:         112
        .size:           8
        .value_kind:     hidden_global_offset_y
      - .offset:         120
        .size:           8
        .value_kind:     hidden_global_offset_z
      - .offset:         128
        .size:           2
        .value_kind:     hidden_grid_dims
    .group_segment_fixed_size: 0
    .kernarg_segment_align: 8
    .kernarg_segment_size: 320
    .language:       OpenCL C
    .language_version:
      - 2
      - 0
    .max_flat_workgroup_size: 256
    .name:           _ZN7rocprim17ROCPRIM_400000_NS6detail25reduce_by_key_init_kernelINS1_19lookback_scan_stateINS0_5tupleIJjxEEELb1ELb0EEExNS1_16block_id_wrapperIjLb0EEEEEvT_jbjPmPT0_T1_
    .private_segment_fixed_size: 0
    .sgpr_count:     24
    .sgpr_spill_count: 0
    .symbol:         _ZN7rocprim17ROCPRIM_400000_NS6detail25reduce_by_key_init_kernelINS1_19lookback_scan_stateINS0_5tupleIJjxEEELb1ELb0EEExNS1_16block_id_wrapperIjLb0EEEEEvT_jbjPmPT0_T1_.kd
    .uniform_work_group_size: 1
    .uses_dynamic_stack: false
    .vgpr_count:     7
    .vgpr_spill_count: 0
    .wavefront_size: 64
  - .agpr_count:     0
    .args:
      - .offset:         0
        .size:           136
        .value_kind:     by_value
    .group_segment_fixed_size: 0
    .kernarg_segment_align: 8
    .kernarg_segment_size: 136
    .language:       OpenCL C
    .language_version:
      - 2
      - 0
    .max_flat_workgroup_size: 256
    .name:           _ZN7rocprim17ROCPRIM_400000_NS6detail17trampoline_kernelINS0_14default_configENS1_29reduce_by_key_config_selectorIxxN6thrust23THRUST_200600_302600_NS4plusIxEEEEZZNS1_33reduce_by_key_impl_wrapped_configILNS1_25lookback_scan_determinismE0ES3_S9_NS6_6detail15normal_iteratorINS6_10device_ptrIxEEEESG_SG_SG_PmS8_NS6_8equal_toIxEEEE10hipError_tPvRmT2_T3_mT4_T5_T6_T7_T8_P12ihipStream_tbENKUlT_T0_E_clISt17integral_constantIbLb1EES10_IbLb0EEEEDaSW_SX_EUlSW_E_NS1_11comp_targetILNS1_3genE0ELNS1_11target_archE4294967295ELNS1_3gpuE0ELNS1_3repE0EEENS1_30default_config_static_selectorELNS0_4arch9wavefront6targetE1EEEvT1_
    .private_segment_fixed_size: 0
    .sgpr_count:     4
    .sgpr_spill_count: 0
    .symbol:         _ZN7rocprim17ROCPRIM_400000_NS6detail17trampoline_kernelINS0_14default_configENS1_29reduce_by_key_config_selectorIxxN6thrust23THRUST_200600_302600_NS4plusIxEEEEZZNS1_33reduce_by_key_impl_wrapped_configILNS1_25lookback_scan_determinismE0ES3_S9_NS6_6detail15normal_iteratorINS6_10device_ptrIxEEEESG_SG_SG_PmS8_NS6_8equal_toIxEEEE10hipError_tPvRmT2_T3_mT4_T5_T6_T7_T8_P12ihipStream_tbENKUlT_T0_E_clISt17integral_constantIbLb1EES10_IbLb0EEEEDaSW_SX_EUlSW_E_NS1_11comp_targetILNS1_3genE0ELNS1_11target_archE4294967295ELNS1_3gpuE0ELNS1_3repE0EEENS1_30default_config_static_selectorELNS0_4arch9wavefront6targetE1EEEvT1_.kd
    .uniform_work_group_size: 1
    .uses_dynamic_stack: false
    .vgpr_count:     0
    .vgpr_spill_count: 0
    .wavefront_size: 64
  - .agpr_count:     0
    .args:
      - .offset:         0
        .size:           136
        .value_kind:     by_value
    .group_segment_fixed_size: 0
    .kernarg_segment_align: 8
    .kernarg_segment_size: 136
    .language:       OpenCL C
    .language_version:
      - 2
      - 0
    .max_flat_workgroup_size: 256
    .name:           _ZN7rocprim17ROCPRIM_400000_NS6detail17trampoline_kernelINS0_14default_configENS1_29reduce_by_key_config_selectorIxxN6thrust23THRUST_200600_302600_NS4plusIxEEEEZZNS1_33reduce_by_key_impl_wrapped_configILNS1_25lookback_scan_determinismE0ES3_S9_NS6_6detail15normal_iteratorINS6_10device_ptrIxEEEESG_SG_SG_PmS8_NS6_8equal_toIxEEEE10hipError_tPvRmT2_T3_mT4_T5_T6_T7_T8_P12ihipStream_tbENKUlT_T0_E_clISt17integral_constantIbLb1EES10_IbLb0EEEEDaSW_SX_EUlSW_E_NS1_11comp_targetILNS1_3genE5ELNS1_11target_archE942ELNS1_3gpuE9ELNS1_3repE0EEENS1_30default_config_static_selectorELNS0_4arch9wavefront6targetE1EEEvT1_
    .private_segment_fixed_size: 0
    .sgpr_count:     4
    .sgpr_spill_count: 0
    .symbol:         _ZN7rocprim17ROCPRIM_400000_NS6detail17trampoline_kernelINS0_14default_configENS1_29reduce_by_key_config_selectorIxxN6thrust23THRUST_200600_302600_NS4plusIxEEEEZZNS1_33reduce_by_key_impl_wrapped_configILNS1_25lookback_scan_determinismE0ES3_S9_NS6_6detail15normal_iteratorINS6_10device_ptrIxEEEESG_SG_SG_PmS8_NS6_8equal_toIxEEEE10hipError_tPvRmT2_T3_mT4_T5_T6_T7_T8_P12ihipStream_tbENKUlT_T0_E_clISt17integral_constantIbLb1EES10_IbLb0EEEEDaSW_SX_EUlSW_E_NS1_11comp_targetILNS1_3genE5ELNS1_11target_archE942ELNS1_3gpuE9ELNS1_3repE0EEENS1_30default_config_static_selectorELNS0_4arch9wavefront6targetE1EEEvT1_.kd
    .uniform_work_group_size: 1
    .uses_dynamic_stack: false
    .vgpr_count:     0
    .vgpr_spill_count: 0
    .wavefront_size: 64
  - .agpr_count:     0
    .args:
      - .offset:         0
        .size:           136
        .value_kind:     by_value
    .group_segment_fixed_size: 30720
    .kernarg_segment_align: 8
    .kernarg_segment_size: 136
    .language:       OpenCL C
    .language_version:
      - 2
      - 0
    .max_flat_workgroup_size: 256
    .name:           _ZN7rocprim17ROCPRIM_400000_NS6detail17trampoline_kernelINS0_14default_configENS1_29reduce_by_key_config_selectorIxxN6thrust23THRUST_200600_302600_NS4plusIxEEEEZZNS1_33reduce_by_key_impl_wrapped_configILNS1_25lookback_scan_determinismE0ES3_S9_NS6_6detail15normal_iteratorINS6_10device_ptrIxEEEESG_SG_SG_PmS8_NS6_8equal_toIxEEEE10hipError_tPvRmT2_T3_mT4_T5_T6_T7_T8_P12ihipStream_tbENKUlT_T0_E_clISt17integral_constantIbLb1EES10_IbLb0EEEEDaSW_SX_EUlSW_E_NS1_11comp_targetILNS1_3genE4ELNS1_11target_archE910ELNS1_3gpuE8ELNS1_3repE0EEENS1_30default_config_static_selectorELNS0_4arch9wavefront6targetE1EEEvT1_
    .private_segment_fixed_size: 0
    .sgpr_count:     69
    .sgpr_spill_count: 0
    .symbol:         _ZN7rocprim17ROCPRIM_400000_NS6detail17trampoline_kernelINS0_14default_configENS1_29reduce_by_key_config_selectorIxxN6thrust23THRUST_200600_302600_NS4plusIxEEEEZZNS1_33reduce_by_key_impl_wrapped_configILNS1_25lookback_scan_determinismE0ES3_S9_NS6_6detail15normal_iteratorINS6_10device_ptrIxEEEESG_SG_SG_PmS8_NS6_8equal_toIxEEEE10hipError_tPvRmT2_T3_mT4_T5_T6_T7_T8_P12ihipStream_tbENKUlT_T0_E_clISt17integral_constantIbLb1EES10_IbLb0EEEEDaSW_SX_EUlSW_E_NS1_11comp_targetILNS1_3genE4ELNS1_11target_archE910ELNS1_3gpuE8ELNS1_3repE0EEENS1_30default_config_static_selectorELNS0_4arch9wavefront6targetE1EEEvT1_.kd
    .uniform_work_group_size: 1
    .uses_dynamic_stack: false
    .vgpr_count:     118
    .vgpr_spill_count: 0
    .wavefront_size: 64
  - .agpr_count:     0
    .args:
      - .offset:         0
        .size:           136
        .value_kind:     by_value
    .group_segment_fixed_size: 0
    .kernarg_segment_align: 8
    .kernarg_segment_size: 136
    .language:       OpenCL C
    .language_version:
      - 2
      - 0
    .max_flat_workgroup_size: 256
    .name:           _ZN7rocprim17ROCPRIM_400000_NS6detail17trampoline_kernelINS0_14default_configENS1_29reduce_by_key_config_selectorIxxN6thrust23THRUST_200600_302600_NS4plusIxEEEEZZNS1_33reduce_by_key_impl_wrapped_configILNS1_25lookback_scan_determinismE0ES3_S9_NS6_6detail15normal_iteratorINS6_10device_ptrIxEEEESG_SG_SG_PmS8_NS6_8equal_toIxEEEE10hipError_tPvRmT2_T3_mT4_T5_T6_T7_T8_P12ihipStream_tbENKUlT_T0_E_clISt17integral_constantIbLb1EES10_IbLb0EEEEDaSW_SX_EUlSW_E_NS1_11comp_targetILNS1_3genE3ELNS1_11target_archE908ELNS1_3gpuE7ELNS1_3repE0EEENS1_30default_config_static_selectorELNS0_4arch9wavefront6targetE1EEEvT1_
    .private_segment_fixed_size: 0
    .sgpr_count:     4
    .sgpr_spill_count: 0
    .symbol:         _ZN7rocprim17ROCPRIM_400000_NS6detail17trampoline_kernelINS0_14default_configENS1_29reduce_by_key_config_selectorIxxN6thrust23THRUST_200600_302600_NS4plusIxEEEEZZNS1_33reduce_by_key_impl_wrapped_configILNS1_25lookback_scan_determinismE0ES3_S9_NS6_6detail15normal_iteratorINS6_10device_ptrIxEEEESG_SG_SG_PmS8_NS6_8equal_toIxEEEE10hipError_tPvRmT2_T3_mT4_T5_T6_T7_T8_P12ihipStream_tbENKUlT_T0_E_clISt17integral_constantIbLb1EES10_IbLb0EEEEDaSW_SX_EUlSW_E_NS1_11comp_targetILNS1_3genE3ELNS1_11target_archE908ELNS1_3gpuE7ELNS1_3repE0EEENS1_30default_config_static_selectorELNS0_4arch9wavefront6targetE1EEEvT1_.kd
    .uniform_work_group_size: 1
    .uses_dynamic_stack: false
    .vgpr_count:     0
    .vgpr_spill_count: 0
    .wavefront_size: 64
  - .agpr_count:     0
    .args:
      - .offset:         0
        .size:           136
        .value_kind:     by_value
    .group_segment_fixed_size: 0
    .kernarg_segment_align: 8
    .kernarg_segment_size: 136
    .language:       OpenCL C
    .language_version:
      - 2
      - 0
    .max_flat_workgroup_size: 256
    .name:           _ZN7rocprim17ROCPRIM_400000_NS6detail17trampoline_kernelINS0_14default_configENS1_29reduce_by_key_config_selectorIxxN6thrust23THRUST_200600_302600_NS4plusIxEEEEZZNS1_33reduce_by_key_impl_wrapped_configILNS1_25lookback_scan_determinismE0ES3_S9_NS6_6detail15normal_iteratorINS6_10device_ptrIxEEEESG_SG_SG_PmS8_NS6_8equal_toIxEEEE10hipError_tPvRmT2_T3_mT4_T5_T6_T7_T8_P12ihipStream_tbENKUlT_T0_E_clISt17integral_constantIbLb1EES10_IbLb0EEEEDaSW_SX_EUlSW_E_NS1_11comp_targetILNS1_3genE2ELNS1_11target_archE906ELNS1_3gpuE6ELNS1_3repE0EEENS1_30default_config_static_selectorELNS0_4arch9wavefront6targetE1EEEvT1_
    .private_segment_fixed_size: 0
    .sgpr_count:     4
    .sgpr_spill_count: 0
    .symbol:         _ZN7rocprim17ROCPRIM_400000_NS6detail17trampoline_kernelINS0_14default_configENS1_29reduce_by_key_config_selectorIxxN6thrust23THRUST_200600_302600_NS4plusIxEEEEZZNS1_33reduce_by_key_impl_wrapped_configILNS1_25lookback_scan_determinismE0ES3_S9_NS6_6detail15normal_iteratorINS6_10device_ptrIxEEEESG_SG_SG_PmS8_NS6_8equal_toIxEEEE10hipError_tPvRmT2_T3_mT4_T5_T6_T7_T8_P12ihipStream_tbENKUlT_T0_E_clISt17integral_constantIbLb1EES10_IbLb0EEEEDaSW_SX_EUlSW_E_NS1_11comp_targetILNS1_3genE2ELNS1_11target_archE906ELNS1_3gpuE6ELNS1_3repE0EEENS1_30default_config_static_selectorELNS0_4arch9wavefront6targetE1EEEvT1_.kd
    .uniform_work_group_size: 1
    .uses_dynamic_stack: false
    .vgpr_count:     0
    .vgpr_spill_count: 0
    .wavefront_size: 64
  - .agpr_count:     0
    .args:
      - .offset:         0
        .size:           136
        .value_kind:     by_value
    .group_segment_fixed_size: 0
    .kernarg_segment_align: 8
    .kernarg_segment_size: 136
    .language:       OpenCL C
    .language_version:
      - 2
      - 0
    .max_flat_workgroup_size: 256
    .name:           _ZN7rocprim17ROCPRIM_400000_NS6detail17trampoline_kernelINS0_14default_configENS1_29reduce_by_key_config_selectorIxxN6thrust23THRUST_200600_302600_NS4plusIxEEEEZZNS1_33reduce_by_key_impl_wrapped_configILNS1_25lookback_scan_determinismE0ES3_S9_NS6_6detail15normal_iteratorINS6_10device_ptrIxEEEESG_SG_SG_PmS8_NS6_8equal_toIxEEEE10hipError_tPvRmT2_T3_mT4_T5_T6_T7_T8_P12ihipStream_tbENKUlT_T0_E_clISt17integral_constantIbLb1EES10_IbLb0EEEEDaSW_SX_EUlSW_E_NS1_11comp_targetILNS1_3genE10ELNS1_11target_archE1201ELNS1_3gpuE5ELNS1_3repE0EEENS1_30default_config_static_selectorELNS0_4arch9wavefront6targetE1EEEvT1_
    .private_segment_fixed_size: 0
    .sgpr_count:     4
    .sgpr_spill_count: 0
    .symbol:         _ZN7rocprim17ROCPRIM_400000_NS6detail17trampoline_kernelINS0_14default_configENS1_29reduce_by_key_config_selectorIxxN6thrust23THRUST_200600_302600_NS4plusIxEEEEZZNS1_33reduce_by_key_impl_wrapped_configILNS1_25lookback_scan_determinismE0ES3_S9_NS6_6detail15normal_iteratorINS6_10device_ptrIxEEEESG_SG_SG_PmS8_NS6_8equal_toIxEEEE10hipError_tPvRmT2_T3_mT4_T5_T6_T7_T8_P12ihipStream_tbENKUlT_T0_E_clISt17integral_constantIbLb1EES10_IbLb0EEEEDaSW_SX_EUlSW_E_NS1_11comp_targetILNS1_3genE10ELNS1_11target_archE1201ELNS1_3gpuE5ELNS1_3repE0EEENS1_30default_config_static_selectorELNS0_4arch9wavefront6targetE1EEEvT1_.kd
    .uniform_work_group_size: 1
    .uses_dynamic_stack: false
    .vgpr_count:     0
    .vgpr_spill_count: 0
    .wavefront_size: 64
  - .agpr_count:     0
    .args:
      - .offset:         0
        .size:           136
        .value_kind:     by_value
    .group_segment_fixed_size: 0
    .kernarg_segment_align: 8
    .kernarg_segment_size: 136
    .language:       OpenCL C
    .language_version:
      - 2
      - 0
    .max_flat_workgroup_size: 256
    .name:           _ZN7rocprim17ROCPRIM_400000_NS6detail17trampoline_kernelINS0_14default_configENS1_29reduce_by_key_config_selectorIxxN6thrust23THRUST_200600_302600_NS4plusIxEEEEZZNS1_33reduce_by_key_impl_wrapped_configILNS1_25lookback_scan_determinismE0ES3_S9_NS6_6detail15normal_iteratorINS6_10device_ptrIxEEEESG_SG_SG_PmS8_NS6_8equal_toIxEEEE10hipError_tPvRmT2_T3_mT4_T5_T6_T7_T8_P12ihipStream_tbENKUlT_T0_E_clISt17integral_constantIbLb1EES10_IbLb0EEEEDaSW_SX_EUlSW_E_NS1_11comp_targetILNS1_3genE10ELNS1_11target_archE1200ELNS1_3gpuE4ELNS1_3repE0EEENS1_30default_config_static_selectorELNS0_4arch9wavefront6targetE1EEEvT1_
    .private_segment_fixed_size: 0
    .sgpr_count:     4
    .sgpr_spill_count: 0
    .symbol:         _ZN7rocprim17ROCPRIM_400000_NS6detail17trampoline_kernelINS0_14default_configENS1_29reduce_by_key_config_selectorIxxN6thrust23THRUST_200600_302600_NS4plusIxEEEEZZNS1_33reduce_by_key_impl_wrapped_configILNS1_25lookback_scan_determinismE0ES3_S9_NS6_6detail15normal_iteratorINS6_10device_ptrIxEEEESG_SG_SG_PmS8_NS6_8equal_toIxEEEE10hipError_tPvRmT2_T3_mT4_T5_T6_T7_T8_P12ihipStream_tbENKUlT_T0_E_clISt17integral_constantIbLb1EES10_IbLb0EEEEDaSW_SX_EUlSW_E_NS1_11comp_targetILNS1_3genE10ELNS1_11target_archE1200ELNS1_3gpuE4ELNS1_3repE0EEENS1_30default_config_static_selectorELNS0_4arch9wavefront6targetE1EEEvT1_.kd
    .uniform_work_group_size: 1
    .uses_dynamic_stack: false
    .vgpr_count:     0
    .vgpr_spill_count: 0
    .wavefront_size: 64
  - .agpr_count:     0
    .args:
      - .offset:         0
        .size:           136
        .value_kind:     by_value
    .group_segment_fixed_size: 0
    .kernarg_segment_align: 8
    .kernarg_segment_size: 136
    .language:       OpenCL C
    .language_version:
      - 2
      - 0
    .max_flat_workgroup_size: 256
    .name:           _ZN7rocprim17ROCPRIM_400000_NS6detail17trampoline_kernelINS0_14default_configENS1_29reduce_by_key_config_selectorIxxN6thrust23THRUST_200600_302600_NS4plusIxEEEEZZNS1_33reduce_by_key_impl_wrapped_configILNS1_25lookback_scan_determinismE0ES3_S9_NS6_6detail15normal_iteratorINS6_10device_ptrIxEEEESG_SG_SG_PmS8_NS6_8equal_toIxEEEE10hipError_tPvRmT2_T3_mT4_T5_T6_T7_T8_P12ihipStream_tbENKUlT_T0_E_clISt17integral_constantIbLb1EES10_IbLb0EEEEDaSW_SX_EUlSW_E_NS1_11comp_targetILNS1_3genE9ELNS1_11target_archE1100ELNS1_3gpuE3ELNS1_3repE0EEENS1_30default_config_static_selectorELNS0_4arch9wavefront6targetE1EEEvT1_
    .private_segment_fixed_size: 0
    .sgpr_count:     4
    .sgpr_spill_count: 0
    .symbol:         _ZN7rocprim17ROCPRIM_400000_NS6detail17trampoline_kernelINS0_14default_configENS1_29reduce_by_key_config_selectorIxxN6thrust23THRUST_200600_302600_NS4plusIxEEEEZZNS1_33reduce_by_key_impl_wrapped_configILNS1_25lookback_scan_determinismE0ES3_S9_NS6_6detail15normal_iteratorINS6_10device_ptrIxEEEESG_SG_SG_PmS8_NS6_8equal_toIxEEEE10hipError_tPvRmT2_T3_mT4_T5_T6_T7_T8_P12ihipStream_tbENKUlT_T0_E_clISt17integral_constantIbLb1EES10_IbLb0EEEEDaSW_SX_EUlSW_E_NS1_11comp_targetILNS1_3genE9ELNS1_11target_archE1100ELNS1_3gpuE3ELNS1_3repE0EEENS1_30default_config_static_selectorELNS0_4arch9wavefront6targetE1EEEvT1_.kd
    .uniform_work_group_size: 1
    .uses_dynamic_stack: false
    .vgpr_count:     0
    .vgpr_spill_count: 0
    .wavefront_size: 64
  - .agpr_count:     0
    .args:
      - .offset:         0
        .size:           136
        .value_kind:     by_value
    .group_segment_fixed_size: 0
    .kernarg_segment_align: 8
    .kernarg_segment_size: 136
    .language:       OpenCL C
    .language_version:
      - 2
      - 0
    .max_flat_workgroup_size: 256
    .name:           _ZN7rocprim17ROCPRIM_400000_NS6detail17trampoline_kernelINS0_14default_configENS1_29reduce_by_key_config_selectorIxxN6thrust23THRUST_200600_302600_NS4plusIxEEEEZZNS1_33reduce_by_key_impl_wrapped_configILNS1_25lookback_scan_determinismE0ES3_S9_NS6_6detail15normal_iteratorINS6_10device_ptrIxEEEESG_SG_SG_PmS8_NS6_8equal_toIxEEEE10hipError_tPvRmT2_T3_mT4_T5_T6_T7_T8_P12ihipStream_tbENKUlT_T0_E_clISt17integral_constantIbLb1EES10_IbLb0EEEEDaSW_SX_EUlSW_E_NS1_11comp_targetILNS1_3genE8ELNS1_11target_archE1030ELNS1_3gpuE2ELNS1_3repE0EEENS1_30default_config_static_selectorELNS0_4arch9wavefront6targetE1EEEvT1_
    .private_segment_fixed_size: 0
    .sgpr_count:     4
    .sgpr_spill_count: 0
    .symbol:         _ZN7rocprim17ROCPRIM_400000_NS6detail17trampoline_kernelINS0_14default_configENS1_29reduce_by_key_config_selectorIxxN6thrust23THRUST_200600_302600_NS4plusIxEEEEZZNS1_33reduce_by_key_impl_wrapped_configILNS1_25lookback_scan_determinismE0ES3_S9_NS6_6detail15normal_iteratorINS6_10device_ptrIxEEEESG_SG_SG_PmS8_NS6_8equal_toIxEEEE10hipError_tPvRmT2_T3_mT4_T5_T6_T7_T8_P12ihipStream_tbENKUlT_T0_E_clISt17integral_constantIbLb1EES10_IbLb0EEEEDaSW_SX_EUlSW_E_NS1_11comp_targetILNS1_3genE8ELNS1_11target_archE1030ELNS1_3gpuE2ELNS1_3repE0EEENS1_30default_config_static_selectorELNS0_4arch9wavefront6targetE1EEEvT1_.kd
    .uniform_work_group_size: 1
    .uses_dynamic_stack: false
    .vgpr_count:     0
    .vgpr_spill_count: 0
    .wavefront_size: 64
  - .agpr_count:     0
    .args:
      - .offset:         0
        .size:           24
        .value_kind:     by_value
      - .offset:         24
        .size:           4
        .value_kind:     by_value
      - .offset:         28
        .size:           1
        .value_kind:     by_value
      - .offset:         32
        .size:           4
        .value_kind:     by_value
      - .address_space:  global
        .offset:         40
        .size:           8
        .value_kind:     global_buffer
      - .address_space:  global
        .offset:         48
        .size:           8
        .value_kind:     global_buffer
      - .address_space:  global
        .offset:         56
        .size:           8
        .value_kind:     global_buffer
      - .offset:         64
        .size:           4
        .value_kind:     hidden_block_count_x
      - .offset:         68
        .size:           4
        .value_kind:     hidden_block_count_y
      - .offset:         72
        .size:           4
        .value_kind:     hidden_block_count_z
      - .offset:         76
        .size:           2
        .value_kind:     hidden_group_size_x
      - .offset:         78
        .size:           2
        .value_kind:     hidden_group_size_y
      - .offset:         80
        .size:           2
        .value_kind:     hidden_group_size_z
      - .offset:         82
        .size:           2
        .value_kind:     hidden_remainder_x
      - .offset:         84
        .size:           2
        .value_kind:     hidden_remainder_y
      - .offset:         86
        .size:           2
        .value_kind:     hidden_remainder_z
      - .offset:         104
        .size:           8
        .value_kind:     hidden_global_offset_x
      - .offset:         112
        .size:           8
        .value_kind:     hidden_global_offset_y
      - .offset:         120
        .size:           8
        .value_kind:     hidden_global_offset_z
      - .offset:         128
        .size:           2
        .value_kind:     hidden_grid_dims
    .group_segment_fixed_size: 0
    .kernarg_segment_align: 8
    .kernarg_segment_size: 320
    .language:       OpenCL C
    .language_version:
      - 2
      - 0
    .max_flat_workgroup_size: 256
    .name:           _ZN7rocprim17ROCPRIM_400000_NS6detail25reduce_by_key_init_kernelINS1_19lookback_scan_stateINS0_5tupleIJjxEEELb0ELb0EEExNS1_16block_id_wrapperIjLb1EEEEEvT_jbjPmPT0_T1_
    .private_segment_fixed_size: 0
    .sgpr_count:     24
    .sgpr_spill_count: 0
    .symbol:         _ZN7rocprim17ROCPRIM_400000_NS6detail25reduce_by_key_init_kernelINS1_19lookback_scan_stateINS0_5tupleIJjxEEELb0ELb0EEExNS1_16block_id_wrapperIjLb1EEEEEvT_jbjPmPT0_T1_.kd
    .uniform_work_group_size: 1
    .uses_dynamic_stack: false
    .vgpr_count:     7
    .vgpr_spill_count: 0
    .wavefront_size: 64
  - .agpr_count:     0
    .args:
      - .offset:         0
        .size:           136
        .value_kind:     by_value
    .group_segment_fixed_size: 0
    .kernarg_segment_align: 8
    .kernarg_segment_size: 136
    .language:       OpenCL C
    .language_version:
      - 2
      - 0
    .max_flat_workgroup_size: 256
    .name:           _ZN7rocprim17ROCPRIM_400000_NS6detail17trampoline_kernelINS0_14default_configENS1_29reduce_by_key_config_selectorIxxN6thrust23THRUST_200600_302600_NS4plusIxEEEEZZNS1_33reduce_by_key_impl_wrapped_configILNS1_25lookback_scan_determinismE0ES3_S9_NS6_6detail15normal_iteratorINS6_10device_ptrIxEEEESG_SG_SG_PmS8_NS6_8equal_toIxEEEE10hipError_tPvRmT2_T3_mT4_T5_T6_T7_T8_P12ihipStream_tbENKUlT_T0_E_clISt17integral_constantIbLb0EES10_IbLb1EEEEDaSW_SX_EUlSW_E_NS1_11comp_targetILNS1_3genE0ELNS1_11target_archE4294967295ELNS1_3gpuE0ELNS1_3repE0EEENS1_30default_config_static_selectorELNS0_4arch9wavefront6targetE1EEEvT1_
    .private_segment_fixed_size: 0
    .sgpr_count:     4
    .sgpr_spill_count: 0
    .symbol:         _ZN7rocprim17ROCPRIM_400000_NS6detail17trampoline_kernelINS0_14default_configENS1_29reduce_by_key_config_selectorIxxN6thrust23THRUST_200600_302600_NS4plusIxEEEEZZNS1_33reduce_by_key_impl_wrapped_configILNS1_25lookback_scan_determinismE0ES3_S9_NS6_6detail15normal_iteratorINS6_10device_ptrIxEEEESG_SG_SG_PmS8_NS6_8equal_toIxEEEE10hipError_tPvRmT2_T3_mT4_T5_T6_T7_T8_P12ihipStream_tbENKUlT_T0_E_clISt17integral_constantIbLb0EES10_IbLb1EEEEDaSW_SX_EUlSW_E_NS1_11comp_targetILNS1_3genE0ELNS1_11target_archE4294967295ELNS1_3gpuE0ELNS1_3repE0EEENS1_30default_config_static_selectorELNS0_4arch9wavefront6targetE1EEEvT1_.kd
    .uniform_work_group_size: 1
    .uses_dynamic_stack: false
    .vgpr_count:     0
    .vgpr_spill_count: 0
    .wavefront_size: 64
  - .agpr_count:     0
    .args:
      - .offset:         0
        .size:           136
        .value_kind:     by_value
    .group_segment_fixed_size: 0
    .kernarg_segment_align: 8
    .kernarg_segment_size: 136
    .language:       OpenCL C
    .language_version:
      - 2
      - 0
    .max_flat_workgroup_size: 256
    .name:           _ZN7rocprim17ROCPRIM_400000_NS6detail17trampoline_kernelINS0_14default_configENS1_29reduce_by_key_config_selectorIxxN6thrust23THRUST_200600_302600_NS4plusIxEEEEZZNS1_33reduce_by_key_impl_wrapped_configILNS1_25lookback_scan_determinismE0ES3_S9_NS6_6detail15normal_iteratorINS6_10device_ptrIxEEEESG_SG_SG_PmS8_NS6_8equal_toIxEEEE10hipError_tPvRmT2_T3_mT4_T5_T6_T7_T8_P12ihipStream_tbENKUlT_T0_E_clISt17integral_constantIbLb0EES10_IbLb1EEEEDaSW_SX_EUlSW_E_NS1_11comp_targetILNS1_3genE5ELNS1_11target_archE942ELNS1_3gpuE9ELNS1_3repE0EEENS1_30default_config_static_selectorELNS0_4arch9wavefront6targetE1EEEvT1_
    .private_segment_fixed_size: 0
    .sgpr_count:     4
    .sgpr_spill_count: 0
    .symbol:         _ZN7rocprim17ROCPRIM_400000_NS6detail17trampoline_kernelINS0_14default_configENS1_29reduce_by_key_config_selectorIxxN6thrust23THRUST_200600_302600_NS4plusIxEEEEZZNS1_33reduce_by_key_impl_wrapped_configILNS1_25lookback_scan_determinismE0ES3_S9_NS6_6detail15normal_iteratorINS6_10device_ptrIxEEEESG_SG_SG_PmS8_NS6_8equal_toIxEEEE10hipError_tPvRmT2_T3_mT4_T5_T6_T7_T8_P12ihipStream_tbENKUlT_T0_E_clISt17integral_constantIbLb0EES10_IbLb1EEEEDaSW_SX_EUlSW_E_NS1_11comp_targetILNS1_3genE5ELNS1_11target_archE942ELNS1_3gpuE9ELNS1_3repE0EEENS1_30default_config_static_selectorELNS0_4arch9wavefront6targetE1EEEvT1_.kd
    .uniform_work_group_size: 1
    .uses_dynamic_stack: false
    .vgpr_count:     0
    .vgpr_spill_count: 0
    .wavefront_size: 64
  - .agpr_count:     0
    .args:
      - .offset:         0
        .size:           136
        .value_kind:     by_value
    .group_segment_fixed_size: 30720
    .kernarg_segment_align: 8
    .kernarg_segment_size: 136
    .language:       OpenCL C
    .language_version:
      - 2
      - 0
    .max_flat_workgroup_size: 256
    .name:           _ZN7rocprim17ROCPRIM_400000_NS6detail17trampoline_kernelINS0_14default_configENS1_29reduce_by_key_config_selectorIxxN6thrust23THRUST_200600_302600_NS4plusIxEEEEZZNS1_33reduce_by_key_impl_wrapped_configILNS1_25lookback_scan_determinismE0ES3_S9_NS6_6detail15normal_iteratorINS6_10device_ptrIxEEEESG_SG_SG_PmS8_NS6_8equal_toIxEEEE10hipError_tPvRmT2_T3_mT4_T5_T6_T7_T8_P12ihipStream_tbENKUlT_T0_E_clISt17integral_constantIbLb0EES10_IbLb1EEEEDaSW_SX_EUlSW_E_NS1_11comp_targetILNS1_3genE4ELNS1_11target_archE910ELNS1_3gpuE8ELNS1_3repE0EEENS1_30default_config_static_selectorELNS0_4arch9wavefront6targetE1EEEvT1_
    .private_segment_fixed_size: 0
    .sgpr_count:     70
    .sgpr_spill_count: 0
    .symbol:         _ZN7rocprim17ROCPRIM_400000_NS6detail17trampoline_kernelINS0_14default_configENS1_29reduce_by_key_config_selectorIxxN6thrust23THRUST_200600_302600_NS4plusIxEEEEZZNS1_33reduce_by_key_impl_wrapped_configILNS1_25lookback_scan_determinismE0ES3_S9_NS6_6detail15normal_iteratorINS6_10device_ptrIxEEEESG_SG_SG_PmS8_NS6_8equal_toIxEEEE10hipError_tPvRmT2_T3_mT4_T5_T6_T7_T8_P12ihipStream_tbENKUlT_T0_E_clISt17integral_constantIbLb0EES10_IbLb1EEEEDaSW_SX_EUlSW_E_NS1_11comp_targetILNS1_3genE4ELNS1_11target_archE910ELNS1_3gpuE8ELNS1_3repE0EEENS1_30default_config_static_selectorELNS0_4arch9wavefront6targetE1EEEvT1_.kd
    .uniform_work_group_size: 1
    .uses_dynamic_stack: false
    .vgpr_count:     118
    .vgpr_spill_count: 0
    .wavefront_size: 64
  - .agpr_count:     0
    .args:
      - .offset:         0
        .size:           136
        .value_kind:     by_value
    .group_segment_fixed_size: 0
    .kernarg_segment_align: 8
    .kernarg_segment_size: 136
    .language:       OpenCL C
    .language_version:
      - 2
      - 0
    .max_flat_workgroup_size: 256
    .name:           _ZN7rocprim17ROCPRIM_400000_NS6detail17trampoline_kernelINS0_14default_configENS1_29reduce_by_key_config_selectorIxxN6thrust23THRUST_200600_302600_NS4plusIxEEEEZZNS1_33reduce_by_key_impl_wrapped_configILNS1_25lookback_scan_determinismE0ES3_S9_NS6_6detail15normal_iteratorINS6_10device_ptrIxEEEESG_SG_SG_PmS8_NS6_8equal_toIxEEEE10hipError_tPvRmT2_T3_mT4_T5_T6_T7_T8_P12ihipStream_tbENKUlT_T0_E_clISt17integral_constantIbLb0EES10_IbLb1EEEEDaSW_SX_EUlSW_E_NS1_11comp_targetILNS1_3genE3ELNS1_11target_archE908ELNS1_3gpuE7ELNS1_3repE0EEENS1_30default_config_static_selectorELNS0_4arch9wavefront6targetE1EEEvT1_
    .private_segment_fixed_size: 0
    .sgpr_count:     4
    .sgpr_spill_count: 0
    .symbol:         _ZN7rocprim17ROCPRIM_400000_NS6detail17trampoline_kernelINS0_14default_configENS1_29reduce_by_key_config_selectorIxxN6thrust23THRUST_200600_302600_NS4plusIxEEEEZZNS1_33reduce_by_key_impl_wrapped_configILNS1_25lookback_scan_determinismE0ES3_S9_NS6_6detail15normal_iteratorINS6_10device_ptrIxEEEESG_SG_SG_PmS8_NS6_8equal_toIxEEEE10hipError_tPvRmT2_T3_mT4_T5_T6_T7_T8_P12ihipStream_tbENKUlT_T0_E_clISt17integral_constantIbLb0EES10_IbLb1EEEEDaSW_SX_EUlSW_E_NS1_11comp_targetILNS1_3genE3ELNS1_11target_archE908ELNS1_3gpuE7ELNS1_3repE0EEENS1_30default_config_static_selectorELNS0_4arch9wavefront6targetE1EEEvT1_.kd
    .uniform_work_group_size: 1
    .uses_dynamic_stack: false
    .vgpr_count:     0
    .vgpr_spill_count: 0
    .wavefront_size: 64
  - .agpr_count:     0
    .args:
      - .offset:         0
        .size:           136
        .value_kind:     by_value
    .group_segment_fixed_size: 0
    .kernarg_segment_align: 8
    .kernarg_segment_size: 136
    .language:       OpenCL C
    .language_version:
      - 2
      - 0
    .max_flat_workgroup_size: 256
    .name:           _ZN7rocprim17ROCPRIM_400000_NS6detail17trampoline_kernelINS0_14default_configENS1_29reduce_by_key_config_selectorIxxN6thrust23THRUST_200600_302600_NS4plusIxEEEEZZNS1_33reduce_by_key_impl_wrapped_configILNS1_25lookback_scan_determinismE0ES3_S9_NS6_6detail15normal_iteratorINS6_10device_ptrIxEEEESG_SG_SG_PmS8_NS6_8equal_toIxEEEE10hipError_tPvRmT2_T3_mT4_T5_T6_T7_T8_P12ihipStream_tbENKUlT_T0_E_clISt17integral_constantIbLb0EES10_IbLb1EEEEDaSW_SX_EUlSW_E_NS1_11comp_targetILNS1_3genE2ELNS1_11target_archE906ELNS1_3gpuE6ELNS1_3repE0EEENS1_30default_config_static_selectorELNS0_4arch9wavefront6targetE1EEEvT1_
    .private_segment_fixed_size: 0
    .sgpr_count:     4
    .sgpr_spill_count: 0
    .symbol:         _ZN7rocprim17ROCPRIM_400000_NS6detail17trampoline_kernelINS0_14default_configENS1_29reduce_by_key_config_selectorIxxN6thrust23THRUST_200600_302600_NS4plusIxEEEEZZNS1_33reduce_by_key_impl_wrapped_configILNS1_25lookback_scan_determinismE0ES3_S9_NS6_6detail15normal_iteratorINS6_10device_ptrIxEEEESG_SG_SG_PmS8_NS6_8equal_toIxEEEE10hipError_tPvRmT2_T3_mT4_T5_T6_T7_T8_P12ihipStream_tbENKUlT_T0_E_clISt17integral_constantIbLb0EES10_IbLb1EEEEDaSW_SX_EUlSW_E_NS1_11comp_targetILNS1_3genE2ELNS1_11target_archE906ELNS1_3gpuE6ELNS1_3repE0EEENS1_30default_config_static_selectorELNS0_4arch9wavefront6targetE1EEEvT1_.kd
    .uniform_work_group_size: 1
    .uses_dynamic_stack: false
    .vgpr_count:     0
    .vgpr_spill_count: 0
    .wavefront_size: 64
  - .agpr_count:     0
    .args:
      - .offset:         0
        .size:           136
        .value_kind:     by_value
    .group_segment_fixed_size: 0
    .kernarg_segment_align: 8
    .kernarg_segment_size: 136
    .language:       OpenCL C
    .language_version:
      - 2
      - 0
    .max_flat_workgroup_size: 256
    .name:           _ZN7rocprim17ROCPRIM_400000_NS6detail17trampoline_kernelINS0_14default_configENS1_29reduce_by_key_config_selectorIxxN6thrust23THRUST_200600_302600_NS4plusIxEEEEZZNS1_33reduce_by_key_impl_wrapped_configILNS1_25lookback_scan_determinismE0ES3_S9_NS6_6detail15normal_iteratorINS6_10device_ptrIxEEEESG_SG_SG_PmS8_NS6_8equal_toIxEEEE10hipError_tPvRmT2_T3_mT4_T5_T6_T7_T8_P12ihipStream_tbENKUlT_T0_E_clISt17integral_constantIbLb0EES10_IbLb1EEEEDaSW_SX_EUlSW_E_NS1_11comp_targetILNS1_3genE10ELNS1_11target_archE1201ELNS1_3gpuE5ELNS1_3repE0EEENS1_30default_config_static_selectorELNS0_4arch9wavefront6targetE1EEEvT1_
    .private_segment_fixed_size: 0
    .sgpr_count:     4
    .sgpr_spill_count: 0
    .symbol:         _ZN7rocprim17ROCPRIM_400000_NS6detail17trampoline_kernelINS0_14default_configENS1_29reduce_by_key_config_selectorIxxN6thrust23THRUST_200600_302600_NS4plusIxEEEEZZNS1_33reduce_by_key_impl_wrapped_configILNS1_25lookback_scan_determinismE0ES3_S9_NS6_6detail15normal_iteratorINS6_10device_ptrIxEEEESG_SG_SG_PmS8_NS6_8equal_toIxEEEE10hipError_tPvRmT2_T3_mT4_T5_T6_T7_T8_P12ihipStream_tbENKUlT_T0_E_clISt17integral_constantIbLb0EES10_IbLb1EEEEDaSW_SX_EUlSW_E_NS1_11comp_targetILNS1_3genE10ELNS1_11target_archE1201ELNS1_3gpuE5ELNS1_3repE0EEENS1_30default_config_static_selectorELNS0_4arch9wavefront6targetE1EEEvT1_.kd
    .uniform_work_group_size: 1
    .uses_dynamic_stack: false
    .vgpr_count:     0
    .vgpr_spill_count: 0
    .wavefront_size: 64
  - .agpr_count:     0
    .args:
      - .offset:         0
        .size:           136
        .value_kind:     by_value
    .group_segment_fixed_size: 0
    .kernarg_segment_align: 8
    .kernarg_segment_size: 136
    .language:       OpenCL C
    .language_version:
      - 2
      - 0
    .max_flat_workgroup_size: 256
    .name:           _ZN7rocprim17ROCPRIM_400000_NS6detail17trampoline_kernelINS0_14default_configENS1_29reduce_by_key_config_selectorIxxN6thrust23THRUST_200600_302600_NS4plusIxEEEEZZNS1_33reduce_by_key_impl_wrapped_configILNS1_25lookback_scan_determinismE0ES3_S9_NS6_6detail15normal_iteratorINS6_10device_ptrIxEEEESG_SG_SG_PmS8_NS6_8equal_toIxEEEE10hipError_tPvRmT2_T3_mT4_T5_T6_T7_T8_P12ihipStream_tbENKUlT_T0_E_clISt17integral_constantIbLb0EES10_IbLb1EEEEDaSW_SX_EUlSW_E_NS1_11comp_targetILNS1_3genE10ELNS1_11target_archE1200ELNS1_3gpuE4ELNS1_3repE0EEENS1_30default_config_static_selectorELNS0_4arch9wavefront6targetE1EEEvT1_
    .private_segment_fixed_size: 0
    .sgpr_count:     4
    .sgpr_spill_count: 0
    .symbol:         _ZN7rocprim17ROCPRIM_400000_NS6detail17trampoline_kernelINS0_14default_configENS1_29reduce_by_key_config_selectorIxxN6thrust23THRUST_200600_302600_NS4plusIxEEEEZZNS1_33reduce_by_key_impl_wrapped_configILNS1_25lookback_scan_determinismE0ES3_S9_NS6_6detail15normal_iteratorINS6_10device_ptrIxEEEESG_SG_SG_PmS8_NS6_8equal_toIxEEEE10hipError_tPvRmT2_T3_mT4_T5_T6_T7_T8_P12ihipStream_tbENKUlT_T0_E_clISt17integral_constantIbLb0EES10_IbLb1EEEEDaSW_SX_EUlSW_E_NS1_11comp_targetILNS1_3genE10ELNS1_11target_archE1200ELNS1_3gpuE4ELNS1_3repE0EEENS1_30default_config_static_selectorELNS0_4arch9wavefront6targetE1EEEvT1_.kd
    .uniform_work_group_size: 1
    .uses_dynamic_stack: false
    .vgpr_count:     0
    .vgpr_spill_count: 0
    .wavefront_size: 64
  - .agpr_count:     0
    .args:
      - .offset:         0
        .size:           136
        .value_kind:     by_value
    .group_segment_fixed_size: 0
    .kernarg_segment_align: 8
    .kernarg_segment_size: 136
    .language:       OpenCL C
    .language_version:
      - 2
      - 0
    .max_flat_workgroup_size: 256
    .name:           _ZN7rocprim17ROCPRIM_400000_NS6detail17trampoline_kernelINS0_14default_configENS1_29reduce_by_key_config_selectorIxxN6thrust23THRUST_200600_302600_NS4plusIxEEEEZZNS1_33reduce_by_key_impl_wrapped_configILNS1_25lookback_scan_determinismE0ES3_S9_NS6_6detail15normal_iteratorINS6_10device_ptrIxEEEESG_SG_SG_PmS8_NS6_8equal_toIxEEEE10hipError_tPvRmT2_T3_mT4_T5_T6_T7_T8_P12ihipStream_tbENKUlT_T0_E_clISt17integral_constantIbLb0EES10_IbLb1EEEEDaSW_SX_EUlSW_E_NS1_11comp_targetILNS1_3genE9ELNS1_11target_archE1100ELNS1_3gpuE3ELNS1_3repE0EEENS1_30default_config_static_selectorELNS0_4arch9wavefront6targetE1EEEvT1_
    .private_segment_fixed_size: 0
    .sgpr_count:     4
    .sgpr_spill_count: 0
    .symbol:         _ZN7rocprim17ROCPRIM_400000_NS6detail17trampoline_kernelINS0_14default_configENS1_29reduce_by_key_config_selectorIxxN6thrust23THRUST_200600_302600_NS4plusIxEEEEZZNS1_33reduce_by_key_impl_wrapped_configILNS1_25lookback_scan_determinismE0ES3_S9_NS6_6detail15normal_iteratorINS6_10device_ptrIxEEEESG_SG_SG_PmS8_NS6_8equal_toIxEEEE10hipError_tPvRmT2_T3_mT4_T5_T6_T7_T8_P12ihipStream_tbENKUlT_T0_E_clISt17integral_constantIbLb0EES10_IbLb1EEEEDaSW_SX_EUlSW_E_NS1_11comp_targetILNS1_3genE9ELNS1_11target_archE1100ELNS1_3gpuE3ELNS1_3repE0EEENS1_30default_config_static_selectorELNS0_4arch9wavefront6targetE1EEEvT1_.kd
    .uniform_work_group_size: 1
    .uses_dynamic_stack: false
    .vgpr_count:     0
    .vgpr_spill_count: 0
    .wavefront_size: 64
  - .agpr_count:     0
    .args:
      - .offset:         0
        .size:           136
        .value_kind:     by_value
    .group_segment_fixed_size: 0
    .kernarg_segment_align: 8
    .kernarg_segment_size: 136
    .language:       OpenCL C
    .language_version:
      - 2
      - 0
    .max_flat_workgroup_size: 256
    .name:           _ZN7rocprim17ROCPRIM_400000_NS6detail17trampoline_kernelINS0_14default_configENS1_29reduce_by_key_config_selectorIxxN6thrust23THRUST_200600_302600_NS4plusIxEEEEZZNS1_33reduce_by_key_impl_wrapped_configILNS1_25lookback_scan_determinismE0ES3_S9_NS6_6detail15normal_iteratorINS6_10device_ptrIxEEEESG_SG_SG_PmS8_NS6_8equal_toIxEEEE10hipError_tPvRmT2_T3_mT4_T5_T6_T7_T8_P12ihipStream_tbENKUlT_T0_E_clISt17integral_constantIbLb0EES10_IbLb1EEEEDaSW_SX_EUlSW_E_NS1_11comp_targetILNS1_3genE8ELNS1_11target_archE1030ELNS1_3gpuE2ELNS1_3repE0EEENS1_30default_config_static_selectorELNS0_4arch9wavefront6targetE1EEEvT1_
    .private_segment_fixed_size: 0
    .sgpr_count:     4
    .sgpr_spill_count: 0
    .symbol:         _ZN7rocprim17ROCPRIM_400000_NS6detail17trampoline_kernelINS0_14default_configENS1_29reduce_by_key_config_selectorIxxN6thrust23THRUST_200600_302600_NS4plusIxEEEEZZNS1_33reduce_by_key_impl_wrapped_configILNS1_25lookback_scan_determinismE0ES3_S9_NS6_6detail15normal_iteratorINS6_10device_ptrIxEEEESG_SG_SG_PmS8_NS6_8equal_toIxEEEE10hipError_tPvRmT2_T3_mT4_T5_T6_T7_T8_P12ihipStream_tbENKUlT_T0_E_clISt17integral_constantIbLb0EES10_IbLb1EEEEDaSW_SX_EUlSW_E_NS1_11comp_targetILNS1_3genE8ELNS1_11target_archE1030ELNS1_3gpuE2ELNS1_3repE0EEENS1_30default_config_static_selectorELNS0_4arch9wavefront6targetE1EEEvT1_.kd
    .uniform_work_group_size: 1
    .uses_dynamic_stack: false
    .vgpr_count:     0
    .vgpr_spill_count: 0
    .wavefront_size: 64
  - .agpr_count:     0
    .args:
      - .offset:         0
        .size:           136
        .value_kind:     by_value
    .group_segment_fixed_size: 0
    .kernarg_segment_align: 8
    .kernarg_segment_size: 136
    .language:       OpenCL C
    .language_version:
      - 2
      - 0
    .max_flat_workgroup_size: 256
    .name:           _ZN7rocprim17ROCPRIM_400000_NS6detail17trampoline_kernelINS0_14default_configENS1_29reduce_by_key_config_selectorIxxN6thrust23THRUST_200600_302600_NS4plusIxEEEEZZNS1_33reduce_by_key_impl_wrapped_configILNS1_25lookback_scan_determinismE0ES3_S9_NS6_6detail15normal_iteratorINS6_10device_ptrIxEEEESG_SG_SG_PmS8_22is_equal_div_10_reduceIxEEE10hipError_tPvRmT2_T3_mT4_T5_T6_T7_T8_P12ihipStream_tbENKUlT_T0_E_clISt17integral_constantIbLb0EES11_EEDaSW_SX_EUlSW_E_NS1_11comp_targetILNS1_3genE0ELNS1_11target_archE4294967295ELNS1_3gpuE0ELNS1_3repE0EEENS1_30default_config_static_selectorELNS0_4arch9wavefront6targetE1EEEvT1_
    .private_segment_fixed_size: 0
    .sgpr_count:     4
    .sgpr_spill_count: 0
    .symbol:         _ZN7rocprim17ROCPRIM_400000_NS6detail17trampoline_kernelINS0_14default_configENS1_29reduce_by_key_config_selectorIxxN6thrust23THRUST_200600_302600_NS4plusIxEEEEZZNS1_33reduce_by_key_impl_wrapped_configILNS1_25lookback_scan_determinismE0ES3_S9_NS6_6detail15normal_iteratorINS6_10device_ptrIxEEEESG_SG_SG_PmS8_22is_equal_div_10_reduceIxEEE10hipError_tPvRmT2_T3_mT4_T5_T6_T7_T8_P12ihipStream_tbENKUlT_T0_E_clISt17integral_constantIbLb0EES11_EEDaSW_SX_EUlSW_E_NS1_11comp_targetILNS1_3genE0ELNS1_11target_archE4294967295ELNS1_3gpuE0ELNS1_3repE0EEENS1_30default_config_static_selectorELNS0_4arch9wavefront6targetE1EEEvT1_.kd
    .uniform_work_group_size: 1
    .uses_dynamic_stack: false
    .vgpr_count:     0
    .vgpr_spill_count: 0
    .wavefront_size: 64
  - .agpr_count:     0
    .args:
      - .offset:         0
        .size:           136
        .value_kind:     by_value
    .group_segment_fixed_size: 0
    .kernarg_segment_align: 8
    .kernarg_segment_size: 136
    .language:       OpenCL C
    .language_version:
      - 2
      - 0
    .max_flat_workgroup_size: 256
    .name:           _ZN7rocprim17ROCPRIM_400000_NS6detail17trampoline_kernelINS0_14default_configENS1_29reduce_by_key_config_selectorIxxN6thrust23THRUST_200600_302600_NS4plusIxEEEEZZNS1_33reduce_by_key_impl_wrapped_configILNS1_25lookback_scan_determinismE0ES3_S9_NS6_6detail15normal_iteratorINS6_10device_ptrIxEEEESG_SG_SG_PmS8_22is_equal_div_10_reduceIxEEE10hipError_tPvRmT2_T3_mT4_T5_T6_T7_T8_P12ihipStream_tbENKUlT_T0_E_clISt17integral_constantIbLb0EES11_EEDaSW_SX_EUlSW_E_NS1_11comp_targetILNS1_3genE5ELNS1_11target_archE942ELNS1_3gpuE9ELNS1_3repE0EEENS1_30default_config_static_selectorELNS0_4arch9wavefront6targetE1EEEvT1_
    .private_segment_fixed_size: 0
    .sgpr_count:     4
    .sgpr_spill_count: 0
    .symbol:         _ZN7rocprim17ROCPRIM_400000_NS6detail17trampoline_kernelINS0_14default_configENS1_29reduce_by_key_config_selectorIxxN6thrust23THRUST_200600_302600_NS4plusIxEEEEZZNS1_33reduce_by_key_impl_wrapped_configILNS1_25lookback_scan_determinismE0ES3_S9_NS6_6detail15normal_iteratorINS6_10device_ptrIxEEEESG_SG_SG_PmS8_22is_equal_div_10_reduceIxEEE10hipError_tPvRmT2_T3_mT4_T5_T6_T7_T8_P12ihipStream_tbENKUlT_T0_E_clISt17integral_constantIbLb0EES11_EEDaSW_SX_EUlSW_E_NS1_11comp_targetILNS1_3genE5ELNS1_11target_archE942ELNS1_3gpuE9ELNS1_3repE0EEENS1_30default_config_static_selectorELNS0_4arch9wavefront6targetE1EEEvT1_.kd
    .uniform_work_group_size: 1
    .uses_dynamic_stack: false
    .vgpr_count:     0
    .vgpr_spill_count: 0
    .wavefront_size: 64
  - .agpr_count:     0
    .args:
      - .offset:         0
        .size:           136
        .value_kind:     by_value
    .group_segment_fixed_size: 30720
    .kernarg_segment_align: 8
    .kernarg_segment_size: 136
    .language:       OpenCL C
    .language_version:
      - 2
      - 0
    .max_flat_workgroup_size: 256
    .name:           _ZN7rocprim17ROCPRIM_400000_NS6detail17trampoline_kernelINS0_14default_configENS1_29reduce_by_key_config_selectorIxxN6thrust23THRUST_200600_302600_NS4plusIxEEEEZZNS1_33reduce_by_key_impl_wrapped_configILNS1_25lookback_scan_determinismE0ES3_S9_NS6_6detail15normal_iteratorINS6_10device_ptrIxEEEESG_SG_SG_PmS8_22is_equal_div_10_reduceIxEEE10hipError_tPvRmT2_T3_mT4_T5_T6_T7_T8_P12ihipStream_tbENKUlT_T0_E_clISt17integral_constantIbLb0EES11_EEDaSW_SX_EUlSW_E_NS1_11comp_targetILNS1_3genE4ELNS1_11target_archE910ELNS1_3gpuE8ELNS1_3repE0EEENS1_30default_config_static_selectorELNS0_4arch9wavefront6targetE1EEEvT1_
    .private_segment_fixed_size: 0
    .sgpr_count:     69
    .sgpr_spill_count: 0
    .symbol:         _ZN7rocprim17ROCPRIM_400000_NS6detail17trampoline_kernelINS0_14default_configENS1_29reduce_by_key_config_selectorIxxN6thrust23THRUST_200600_302600_NS4plusIxEEEEZZNS1_33reduce_by_key_impl_wrapped_configILNS1_25lookback_scan_determinismE0ES3_S9_NS6_6detail15normal_iteratorINS6_10device_ptrIxEEEESG_SG_SG_PmS8_22is_equal_div_10_reduceIxEEE10hipError_tPvRmT2_T3_mT4_T5_T6_T7_T8_P12ihipStream_tbENKUlT_T0_E_clISt17integral_constantIbLb0EES11_EEDaSW_SX_EUlSW_E_NS1_11comp_targetILNS1_3genE4ELNS1_11target_archE910ELNS1_3gpuE8ELNS1_3repE0EEENS1_30default_config_static_selectorELNS0_4arch9wavefront6targetE1EEEvT1_.kd
    .uniform_work_group_size: 1
    .uses_dynamic_stack: false
    .vgpr_count:     116
    .vgpr_spill_count: 0
    .wavefront_size: 64
  - .agpr_count:     0
    .args:
      - .offset:         0
        .size:           136
        .value_kind:     by_value
    .group_segment_fixed_size: 0
    .kernarg_segment_align: 8
    .kernarg_segment_size: 136
    .language:       OpenCL C
    .language_version:
      - 2
      - 0
    .max_flat_workgroup_size: 256
    .name:           _ZN7rocprim17ROCPRIM_400000_NS6detail17trampoline_kernelINS0_14default_configENS1_29reduce_by_key_config_selectorIxxN6thrust23THRUST_200600_302600_NS4plusIxEEEEZZNS1_33reduce_by_key_impl_wrapped_configILNS1_25lookback_scan_determinismE0ES3_S9_NS6_6detail15normal_iteratorINS6_10device_ptrIxEEEESG_SG_SG_PmS8_22is_equal_div_10_reduceIxEEE10hipError_tPvRmT2_T3_mT4_T5_T6_T7_T8_P12ihipStream_tbENKUlT_T0_E_clISt17integral_constantIbLb0EES11_EEDaSW_SX_EUlSW_E_NS1_11comp_targetILNS1_3genE3ELNS1_11target_archE908ELNS1_3gpuE7ELNS1_3repE0EEENS1_30default_config_static_selectorELNS0_4arch9wavefront6targetE1EEEvT1_
    .private_segment_fixed_size: 0
    .sgpr_count:     4
    .sgpr_spill_count: 0
    .symbol:         _ZN7rocprim17ROCPRIM_400000_NS6detail17trampoline_kernelINS0_14default_configENS1_29reduce_by_key_config_selectorIxxN6thrust23THRUST_200600_302600_NS4plusIxEEEEZZNS1_33reduce_by_key_impl_wrapped_configILNS1_25lookback_scan_determinismE0ES3_S9_NS6_6detail15normal_iteratorINS6_10device_ptrIxEEEESG_SG_SG_PmS8_22is_equal_div_10_reduceIxEEE10hipError_tPvRmT2_T3_mT4_T5_T6_T7_T8_P12ihipStream_tbENKUlT_T0_E_clISt17integral_constantIbLb0EES11_EEDaSW_SX_EUlSW_E_NS1_11comp_targetILNS1_3genE3ELNS1_11target_archE908ELNS1_3gpuE7ELNS1_3repE0EEENS1_30default_config_static_selectorELNS0_4arch9wavefront6targetE1EEEvT1_.kd
    .uniform_work_group_size: 1
    .uses_dynamic_stack: false
    .vgpr_count:     0
    .vgpr_spill_count: 0
    .wavefront_size: 64
  - .agpr_count:     0
    .args:
      - .offset:         0
        .size:           136
        .value_kind:     by_value
    .group_segment_fixed_size: 0
    .kernarg_segment_align: 8
    .kernarg_segment_size: 136
    .language:       OpenCL C
    .language_version:
      - 2
      - 0
    .max_flat_workgroup_size: 256
    .name:           _ZN7rocprim17ROCPRIM_400000_NS6detail17trampoline_kernelINS0_14default_configENS1_29reduce_by_key_config_selectorIxxN6thrust23THRUST_200600_302600_NS4plusIxEEEEZZNS1_33reduce_by_key_impl_wrapped_configILNS1_25lookback_scan_determinismE0ES3_S9_NS6_6detail15normal_iteratorINS6_10device_ptrIxEEEESG_SG_SG_PmS8_22is_equal_div_10_reduceIxEEE10hipError_tPvRmT2_T3_mT4_T5_T6_T7_T8_P12ihipStream_tbENKUlT_T0_E_clISt17integral_constantIbLb0EES11_EEDaSW_SX_EUlSW_E_NS1_11comp_targetILNS1_3genE2ELNS1_11target_archE906ELNS1_3gpuE6ELNS1_3repE0EEENS1_30default_config_static_selectorELNS0_4arch9wavefront6targetE1EEEvT1_
    .private_segment_fixed_size: 0
    .sgpr_count:     4
    .sgpr_spill_count: 0
    .symbol:         _ZN7rocprim17ROCPRIM_400000_NS6detail17trampoline_kernelINS0_14default_configENS1_29reduce_by_key_config_selectorIxxN6thrust23THRUST_200600_302600_NS4plusIxEEEEZZNS1_33reduce_by_key_impl_wrapped_configILNS1_25lookback_scan_determinismE0ES3_S9_NS6_6detail15normal_iteratorINS6_10device_ptrIxEEEESG_SG_SG_PmS8_22is_equal_div_10_reduceIxEEE10hipError_tPvRmT2_T3_mT4_T5_T6_T7_T8_P12ihipStream_tbENKUlT_T0_E_clISt17integral_constantIbLb0EES11_EEDaSW_SX_EUlSW_E_NS1_11comp_targetILNS1_3genE2ELNS1_11target_archE906ELNS1_3gpuE6ELNS1_3repE0EEENS1_30default_config_static_selectorELNS0_4arch9wavefront6targetE1EEEvT1_.kd
    .uniform_work_group_size: 1
    .uses_dynamic_stack: false
    .vgpr_count:     0
    .vgpr_spill_count: 0
    .wavefront_size: 64
  - .agpr_count:     0
    .args:
      - .offset:         0
        .size:           136
        .value_kind:     by_value
    .group_segment_fixed_size: 0
    .kernarg_segment_align: 8
    .kernarg_segment_size: 136
    .language:       OpenCL C
    .language_version:
      - 2
      - 0
    .max_flat_workgroup_size: 256
    .name:           _ZN7rocprim17ROCPRIM_400000_NS6detail17trampoline_kernelINS0_14default_configENS1_29reduce_by_key_config_selectorIxxN6thrust23THRUST_200600_302600_NS4plusIxEEEEZZNS1_33reduce_by_key_impl_wrapped_configILNS1_25lookback_scan_determinismE0ES3_S9_NS6_6detail15normal_iteratorINS6_10device_ptrIxEEEESG_SG_SG_PmS8_22is_equal_div_10_reduceIxEEE10hipError_tPvRmT2_T3_mT4_T5_T6_T7_T8_P12ihipStream_tbENKUlT_T0_E_clISt17integral_constantIbLb0EES11_EEDaSW_SX_EUlSW_E_NS1_11comp_targetILNS1_3genE10ELNS1_11target_archE1201ELNS1_3gpuE5ELNS1_3repE0EEENS1_30default_config_static_selectorELNS0_4arch9wavefront6targetE1EEEvT1_
    .private_segment_fixed_size: 0
    .sgpr_count:     4
    .sgpr_spill_count: 0
    .symbol:         _ZN7rocprim17ROCPRIM_400000_NS6detail17trampoline_kernelINS0_14default_configENS1_29reduce_by_key_config_selectorIxxN6thrust23THRUST_200600_302600_NS4plusIxEEEEZZNS1_33reduce_by_key_impl_wrapped_configILNS1_25lookback_scan_determinismE0ES3_S9_NS6_6detail15normal_iteratorINS6_10device_ptrIxEEEESG_SG_SG_PmS8_22is_equal_div_10_reduceIxEEE10hipError_tPvRmT2_T3_mT4_T5_T6_T7_T8_P12ihipStream_tbENKUlT_T0_E_clISt17integral_constantIbLb0EES11_EEDaSW_SX_EUlSW_E_NS1_11comp_targetILNS1_3genE10ELNS1_11target_archE1201ELNS1_3gpuE5ELNS1_3repE0EEENS1_30default_config_static_selectorELNS0_4arch9wavefront6targetE1EEEvT1_.kd
    .uniform_work_group_size: 1
    .uses_dynamic_stack: false
    .vgpr_count:     0
    .vgpr_spill_count: 0
    .wavefront_size: 64
  - .agpr_count:     0
    .args:
      - .offset:         0
        .size:           136
        .value_kind:     by_value
    .group_segment_fixed_size: 0
    .kernarg_segment_align: 8
    .kernarg_segment_size: 136
    .language:       OpenCL C
    .language_version:
      - 2
      - 0
    .max_flat_workgroup_size: 256
    .name:           _ZN7rocprim17ROCPRIM_400000_NS6detail17trampoline_kernelINS0_14default_configENS1_29reduce_by_key_config_selectorIxxN6thrust23THRUST_200600_302600_NS4plusIxEEEEZZNS1_33reduce_by_key_impl_wrapped_configILNS1_25lookback_scan_determinismE0ES3_S9_NS6_6detail15normal_iteratorINS6_10device_ptrIxEEEESG_SG_SG_PmS8_22is_equal_div_10_reduceIxEEE10hipError_tPvRmT2_T3_mT4_T5_T6_T7_T8_P12ihipStream_tbENKUlT_T0_E_clISt17integral_constantIbLb0EES11_EEDaSW_SX_EUlSW_E_NS1_11comp_targetILNS1_3genE10ELNS1_11target_archE1200ELNS1_3gpuE4ELNS1_3repE0EEENS1_30default_config_static_selectorELNS0_4arch9wavefront6targetE1EEEvT1_
    .private_segment_fixed_size: 0
    .sgpr_count:     4
    .sgpr_spill_count: 0
    .symbol:         _ZN7rocprim17ROCPRIM_400000_NS6detail17trampoline_kernelINS0_14default_configENS1_29reduce_by_key_config_selectorIxxN6thrust23THRUST_200600_302600_NS4plusIxEEEEZZNS1_33reduce_by_key_impl_wrapped_configILNS1_25lookback_scan_determinismE0ES3_S9_NS6_6detail15normal_iteratorINS6_10device_ptrIxEEEESG_SG_SG_PmS8_22is_equal_div_10_reduceIxEEE10hipError_tPvRmT2_T3_mT4_T5_T6_T7_T8_P12ihipStream_tbENKUlT_T0_E_clISt17integral_constantIbLb0EES11_EEDaSW_SX_EUlSW_E_NS1_11comp_targetILNS1_3genE10ELNS1_11target_archE1200ELNS1_3gpuE4ELNS1_3repE0EEENS1_30default_config_static_selectorELNS0_4arch9wavefront6targetE1EEEvT1_.kd
    .uniform_work_group_size: 1
    .uses_dynamic_stack: false
    .vgpr_count:     0
    .vgpr_spill_count: 0
    .wavefront_size: 64
  - .agpr_count:     0
    .args:
      - .offset:         0
        .size:           136
        .value_kind:     by_value
    .group_segment_fixed_size: 0
    .kernarg_segment_align: 8
    .kernarg_segment_size: 136
    .language:       OpenCL C
    .language_version:
      - 2
      - 0
    .max_flat_workgroup_size: 256
    .name:           _ZN7rocprim17ROCPRIM_400000_NS6detail17trampoline_kernelINS0_14default_configENS1_29reduce_by_key_config_selectorIxxN6thrust23THRUST_200600_302600_NS4plusIxEEEEZZNS1_33reduce_by_key_impl_wrapped_configILNS1_25lookback_scan_determinismE0ES3_S9_NS6_6detail15normal_iteratorINS6_10device_ptrIxEEEESG_SG_SG_PmS8_22is_equal_div_10_reduceIxEEE10hipError_tPvRmT2_T3_mT4_T5_T6_T7_T8_P12ihipStream_tbENKUlT_T0_E_clISt17integral_constantIbLb0EES11_EEDaSW_SX_EUlSW_E_NS1_11comp_targetILNS1_3genE9ELNS1_11target_archE1100ELNS1_3gpuE3ELNS1_3repE0EEENS1_30default_config_static_selectorELNS0_4arch9wavefront6targetE1EEEvT1_
    .private_segment_fixed_size: 0
    .sgpr_count:     4
    .sgpr_spill_count: 0
    .symbol:         _ZN7rocprim17ROCPRIM_400000_NS6detail17trampoline_kernelINS0_14default_configENS1_29reduce_by_key_config_selectorIxxN6thrust23THRUST_200600_302600_NS4plusIxEEEEZZNS1_33reduce_by_key_impl_wrapped_configILNS1_25lookback_scan_determinismE0ES3_S9_NS6_6detail15normal_iteratorINS6_10device_ptrIxEEEESG_SG_SG_PmS8_22is_equal_div_10_reduceIxEEE10hipError_tPvRmT2_T3_mT4_T5_T6_T7_T8_P12ihipStream_tbENKUlT_T0_E_clISt17integral_constantIbLb0EES11_EEDaSW_SX_EUlSW_E_NS1_11comp_targetILNS1_3genE9ELNS1_11target_archE1100ELNS1_3gpuE3ELNS1_3repE0EEENS1_30default_config_static_selectorELNS0_4arch9wavefront6targetE1EEEvT1_.kd
    .uniform_work_group_size: 1
    .uses_dynamic_stack: false
    .vgpr_count:     0
    .vgpr_spill_count: 0
    .wavefront_size: 64
  - .agpr_count:     0
    .args:
      - .offset:         0
        .size:           136
        .value_kind:     by_value
    .group_segment_fixed_size: 0
    .kernarg_segment_align: 8
    .kernarg_segment_size: 136
    .language:       OpenCL C
    .language_version:
      - 2
      - 0
    .max_flat_workgroup_size: 256
    .name:           _ZN7rocprim17ROCPRIM_400000_NS6detail17trampoline_kernelINS0_14default_configENS1_29reduce_by_key_config_selectorIxxN6thrust23THRUST_200600_302600_NS4plusIxEEEEZZNS1_33reduce_by_key_impl_wrapped_configILNS1_25lookback_scan_determinismE0ES3_S9_NS6_6detail15normal_iteratorINS6_10device_ptrIxEEEESG_SG_SG_PmS8_22is_equal_div_10_reduceIxEEE10hipError_tPvRmT2_T3_mT4_T5_T6_T7_T8_P12ihipStream_tbENKUlT_T0_E_clISt17integral_constantIbLb0EES11_EEDaSW_SX_EUlSW_E_NS1_11comp_targetILNS1_3genE8ELNS1_11target_archE1030ELNS1_3gpuE2ELNS1_3repE0EEENS1_30default_config_static_selectorELNS0_4arch9wavefront6targetE1EEEvT1_
    .private_segment_fixed_size: 0
    .sgpr_count:     4
    .sgpr_spill_count: 0
    .symbol:         _ZN7rocprim17ROCPRIM_400000_NS6detail17trampoline_kernelINS0_14default_configENS1_29reduce_by_key_config_selectorIxxN6thrust23THRUST_200600_302600_NS4plusIxEEEEZZNS1_33reduce_by_key_impl_wrapped_configILNS1_25lookback_scan_determinismE0ES3_S9_NS6_6detail15normal_iteratorINS6_10device_ptrIxEEEESG_SG_SG_PmS8_22is_equal_div_10_reduceIxEEE10hipError_tPvRmT2_T3_mT4_T5_T6_T7_T8_P12ihipStream_tbENKUlT_T0_E_clISt17integral_constantIbLb0EES11_EEDaSW_SX_EUlSW_E_NS1_11comp_targetILNS1_3genE8ELNS1_11target_archE1030ELNS1_3gpuE2ELNS1_3repE0EEENS1_30default_config_static_selectorELNS0_4arch9wavefront6targetE1EEEvT1_.kd
    .uniform_work_group_size: 1
    .uses_dynamic_stack: false
    .vgpr_count:     0
    .vgpr_spill_count: 0
    .wavefront_size: 64
  - .agpr_count:     0
    .args:
      - .offset:         0
        .size:           136
        .value_kind:     by_value
    .group_segment_fixed_size: 0
    .kernarg_segment_align: 8
    .kernarg_segment_size: 136
    .language:       OpenCL C
    .language_version:
      - 2
      - 0
    .max_flat_workgroup_size: 256
    .name:           _ZN7rocprim17ROCPRIM_400000_NS6detail17trampoline_kernelINS0_14default_configENS1_29reduce_by_key_config_selectorIxxN6thrust23THRUST_200600_302600_NS4plusIxEEEEZZNS1_33reduce_by_key_impl_wrapped_configILNS1_25lookback_scan_determinismE0ES3_S9_NS6_6detail15normal_iteratorINS6_10device_ptrIxEEEESG_SG_SG_PmS8_22is_equal_div_10_reduceIxEEE10hipError_tPvRmT2_T3_mT4_T5_T6_T7_T8_P12ihipStream_tbENKUlT_T0_E_clISt17integral_constantIbLb1EES11_EEDaSW_SX_EUlSW_E_NS1_11comp_targetILNS1_3genE0ELNS1_11target_archE4294967295ELNS1_3gpuE0ELNS1_3repE0EEENS1_30default_config_static_selectorELNS0_4arch9wavefront6targetE1EEEvT1_
    .private_segment_fixed_size: 0
    .sgpr_count:     4
    .sgpr_spill_count: 0
    .symbol:         _ZN7rocprim17ROCPRIM_400000_NS6detail17trampoline_kernelINS0_14default_configENS1_29reduce_by_key_config_selectorIxxN6thrust23THRUST_200600_302600_NS4plusIxEEEEZZNS1_33reduce_by_key_impl_wrapped_configILNS1_25lookback_scan_determinismE0ES3_S9_NS6_6detail15normal_iteratorINS6_10device_ptrIxEEEESG_SG_SG_PmS8_22is_equal_div_10_reduceIxEEE10hipError_tPvRmT2_T3_mT4_T5_T6_T7_T8_P12ihipStream_tbENKUlT_T0_E_clISt17integral_constantIbLb1EES11_EEDaSW_SX_EUlSW_E_NS1_11comp_targetILNS1_3genE0ELNS1_11target_archE4294967295ELNS1_3gpuE0ELNS1_3repE0EEENS1_30default_config_static_selectorELNS0_4arch9wavefront6targetE1EEEvT1_.kd
    .uniform_work_group_size: 1
    .uses_dynamic_stack: false
    .vgpr_count:     0
    .vgpr_spill_count: 0
    .wavefront_size: 64
  - .agpr_count:     0
    .args:
      - .offset:         0
        .size:           136
        .value_kind:     by_value
    .group_segment_fixed_size: 0
    .kernarg_segment_align: 8
    .kernarg_segment_size: 136
    .language:       OpenCL C
    .language_version:
      - 2
      - 0
    .max_flat_workgroup_size: 256
    .name:           _ZN7rocprim17ROCPRIM_400000_NS6detail17trampoline_kernelINS0_14default_configENS1_29reduce_by_key_config_selectorIxxN6thrust23THRUST_200600_302600_NS4plusIxEEEEZZNS1_33reduce_by_key_impl_wrapped_configILNS1_25lookback_scan_determinismE0ES3_S9_NS6_6detail15normal_iteratorINS6_10device_ptrIxEEEESG_SG_SG_PmS8_22is_equal_div_10_reduceIxEEE10hipError_tPvRmT2_T3_mT4_T5_T6_T7_T8_P12ihipStream_tbENKUlT_T0_E_clISt17integral_constantIbLb1EES11_EEDaSW_SX_EUlSW_E_NS1_11comp_targetILNS1_3genE5ELNS1_11target_archE942ELNS1_3gpuE9ELNS1_3repE0EEENS1_30default_config_static_selectorELNS0_4arch9wavefront6targetE1EEEvT1_
    .private_segment_fixed_size: 0
    .sgpr_count:     4
    .sgpr_spill_count: 0
    .symbol:         _ZN7rocprim17ROCPRIM_400000_NS6detail17trampoline_kernelINS0_14default_configENS1_29reduce_by_key_config_selectorIxxN6thrust23THRUST_200600_302600_NS4plusIxEEEEZZNS1_33reduce_by_key_impl_wrapped_configILNS1_25lookback_scan_determinismE0ES3_S9_NS6_6detail15normal_iteratorINS6_10device_ptrIxEEEESG_SG_SG_PmS8_22is_equal_div_10_reduceIxEEE10hipError_tPvRmT2_T3_mT4_T5_T6_T7_T8_P12ihipStream_tbENKUlT_T0_E_clISt17integral_constantIbLb1EES11_EEDaSW_SX_EUlSW_E_NS1_11comp_targetILNS1_3genE5ELNS1_11target_archE942ELNS1_3gpuE9ELNS1_3repE0EEENS1_30default_config_static_selectorELNS0_4arch9wavefront6targetE1EEEvT1_.kd
    .uniform_work_group_size: 1
    .uses_dynamic_stack: false
    .vgpr_count:     0
    .vgpr_spill_count: 0
    .wavefront_size: 64
  - .agpr_count:     0
    .args:
      - .offset:         0
        .size:           136
        .value_kind:     by_value
    .group_segment_fixed_size: 30720
    .kernarg_segment_align: 8
    .kernarg_segment_size: 136
    .language:       OpenCL C
    .language_version:
      - 2
      - 0
    .max_flat_workgroup_size: 256
    .name:           _ZN7rocprim17ROCPRIM_400000_NS6detail17trampoline_kernelINS0_14default_configENS1_29reduce_by_key_config_selectorIxxN6thrust23THRUST_200600_302600_NS4plusIxEEEEZZNS1_33reduce_by_key_impl_wrapped_configILNS1_25lookback_scan_determinismE0ES3_S9_NS6_6detail15normal_iteratorINS6_10device_ptrIxEEEESG_SG_SG_PmS8_22is_equal_div_10_reduceIxEEE10hipError_tPvRmT2_T3_mT4_T5_T6_T7_T8_P12ihipStream_tbENKUlT_T0_E_clISt17integral_constantIbLb1EES11_EEDaSW_SX_EUlSW_E_NS1_11comp_targetILNS1_3genE4ELNS1_11target_archE910ELNS1_3gpuE8ELNS1_3repE0EEENS1_30default_config_static_selectorELNS0_4arch9wavefront6targetE1EEEvT1_
    .private_segment_fixed_size: 0
    .sgpr_count:     70
    .sgpr_spill_count: 0
    .symbol:         _ZN7rocprim17ROCPRIM_400000_NS6detail17trampoline_kernelINS0_14default_configENS1_29reduce_by_key_config_selectorIxxN6thrust23THRUST_200600_302600_NS4plusIxEEEEZZNS1_33reduce_by_key_impl_wrapped_configILNS1_25lookback_scan_determinismE0ES3_S9_NS6_6detail15normal_iteratorINS6_10device_ptrIxEEEESG_SG_SG_PmS8_22is_equal_div_10_reduceIxEEE10hipError_tPvRmT2_T3_mT4_T5_T6_T7_T8_P12ihipStream_tbENKUlT_T0_E_clISt17integral_constantIbLb1EES11_EEDaSW_SX_EUlSW_E_NS1_11comp_targetILNS1_3genE4ELNS1_11target_archE910ELNS1_3gpuE8ELNS1_3repE0EEENS1_30default_config_static_selectorELNS0_4arch9wavefront6targetE1EEEvT1_.kd
    .uniform_work_group_size: 1
    .uses_dynamic_stack: false
    .vgpr_count:     116
    .vgpr_spill_count: 0
    .wavefront_size: 64
  - .agpr_count:     0
    .args:
      - .offset:         0
        .size:           136
        .value_kind:     by_value
    .group_segment_fixed_size: 0
    .kernarg_segment_align: 8
    .kernarg_segment_size: 136
    .language:       OpenCL C
    .language_version:
      - 2
      - 0
    .max_flat_workgroup_size: 256
    .name:           _ZN7rocprim17ROCPRIM_400000_NS6detail17trampoline_kernelINS0_14default_configENS1_29reduce_by_key_config_selectorIxxN6thrust23THRUST_200600_302600_NS4plusIxEEEEZZNS1_33reduce_by_key_impl_wrapped_configILNS1_25lookback_scan_determinismE0ES3_S9_NS6_6detail15normal_iteratorINS6_10device_ptrIxEEEESG_SG_SG_PmS8_22is_equal_div_10_reduceIxEEE10hipError_tPvRmT2_T3_mT4_T5_T6_T7_T8_P12ihipStream_tbENKUlT_T0_E_clISt17integral_constantIbLb1EES11_EEDaSW_SX_EUlSW_E_NS1_11comp_targetILNS1_3genE3ELNS1_11target_archE908ELNS1_3gpuE7ELNS1_3repE0EEENS1_30default_config_static_selectorELNS0_4arch9wavefront6targetE1EEEvT1_
    .private_segment_fixed_size: 0
    .sgpr_count:     4
    .sgpr_spill_count: 0
    .symbol:         _ZN7rocprim17ROCPRIM_400000_NS6detail17trampoline_kernelINS0_14default_configENS1_29reduce_by_key_config_selectorIxxN6thrust23THRUST_200600_302600_NS4plusIxEEEEZZNS1_33reduce_by_key_impl_wrapped_configILNS1_25lookback_scan_determinismE0ES3_S9_NS6_6detail15normal_iteratorINS6_10device_ptrIxEEEESG_SG_SG_PmS8_22is_equal_div_10_reduceIxEEE10hipError_tPvRmT2_T3_mT4_T5_T6_T7_T8_P12ihipStream_tbENKUlT_T0_E_clISt17integral_constantIbLb1EES11_EEDaSW_SX_EUlSW_E_NS1_11comp_targetILNS1_3genE3ELNS1_11target_archE908ELNS1_3gpuE7ELNS1_3repE0EEENS1_30default_config_static_selectorELNS0_4arch9wavefront6targetE1EEEvT1_.kd
    .uniform_work_group_size: 1
    .uses_dynamic_stack: false
    .vgpr_count:     0
    .vgpr_spill_count: 0
    .wavefront_size: 64
  - .agpr_count:     0
    .args:
      - .offset:         0
        .size:           136
        .value_kind:     by_value
    .group_segment_fixed_size: 0
    .kernarg_segment_align: 8
    .kernarg_segment_size: 136
    .language:       OpenCL C
    .language_version:
      - 2
      - 0
    .max_flat_workgroup_size: 256
    .name:           _ZN7rocprim17ROCPRIM_400000_NS6detail17trampoline_kernelINS0_14default_configENS1_29reduce_by_key_config_selectorIxxN6thrust23THRUST_200600_302600_NS4plusIxEEEEZZNS1_33reduce_by_key_impl_wrapped_configILNS1_25lookback_scan_determinismE0ES3_S9_NS6_6detail15normal_iteratorINS6_10device_ptrIxEEEESG_SG_SG_PmS8_22is_equal_div_10_reduceIxEEE10hipError_tPvRmT2_T3_mT4_T5_T6_T7_T8_P12ihipStream_tbENKUlT_T0_E_clISt17integral_constantIbLb1EES11_EEDaSW_SX_EUlSW_E_NS1_11comp_targetILNS1_3genE2ELNS1_11target_archE906ELNS1_3gpuE6ELNS1_3repE0EEENS1_30default_config_static_selectorELNS0_4arch9wavefront6targetE1EEEvT1_
    .private_segment_fixed_size: 0
    .sgpr_count:     4
    .sgpr_spill_count: 0
    .symbol:         _ZN7rocprim17ROCPRIM_400000_NS6detail17trampoline_kernelINS0_14default_configENS1_29reduce_by_key_config_selectorIxxN6thrust23THRUST_200600_302600_NS4plusIxEEEEZZNS1_33reduce_by_key_impl_wrapped_configILNS1_25lookback_scan_determinismE0ES3_S9_NS6_6detail15normal_iteratorINS6_10device_ptrIxEEEESG_SG_SG_PmS8_22is_equal_div_10_reduceIxEEE10hipError_tPvRmT2_T3_mT4_T5_T6_T7_T8_P12ihipStream_tbENKUlT_T0_E_clISt17integral_constantIbLb1EES11_EEDaSW_SX_EUlSW_E_NS1_11comp_targetILNS1_3genE2ELNS1_11target_archE906ELNS1_3gpuE6ELNS1_3repE0EEENS1_30default_config_static_selectorELNS0_4arch9wavefront6targetE1EEEvT1_.kd
    .uniform_work_group_size: 1
    .uses_dynamic_stack: false
    .vgpr_count:     0
    .vgpr_spill_count: 0
    .wavefront_size: 64
  - .agpr_count:     0
    .args:
      - .offset:         0
        .size:           136
        .value_kind:     by_value
    .group_segment_fixed_size: 0
    .kernarg_segment_align: 8
    .kernarg_segment_size: 136
    .language:       OpenCL C
    .language_version:
      - 2
      - 0
    .max_flat_workgroup_size: 256
    .name:           _ZN7rocprim17ROCPRIM_400000_NS6detail17trampoline_kernelINS0_14default_configENS1_29reduce_by_key_config_selectorIxxN6thrust23THRUST_200600_302600_NS4plusIxEEEEZZNS1_33reduce_by_key_impl_wrapped_configILNS1_25lookback_scan_determinismE0ES3_S9_NS6_6detail15normal_iteratorINS6_10device_ptrIxEEEESG_SG_SG_PmS8_22is_equal_div_10_reduceIxEEE10hipError_tPvRmT2_T3_mT4_T5_T6_T7_T8_P12ihipStream_tbENKUlT_T0_E_clISt17integral_constantIbLb1EES11_EEDaSW_SX_EUlSW_E_NS1_11comp_targetILNS1_3genE10ELNS1_11target_archE1201ELNS1_3gpuE5ELNS1_3repE0EEENS1_30default_config_static_selectorELNS0_4arch9wavefront6targetE1EEEvT1_
    .private_segment_fixed_size: 0
    .sgpr_count:     4
    .sgpr_spill_count: 0
    .symbol:         _ZN7rocprim17ROCPRIM_400000_NS6detail17trampoline_kernelINS0_14default_configENS1_29reduce_by_key_config_selectorIxxN6thrust23THRUST_200600_302600_NS4plusIxEEEEZZNS1_33reduce_by_key_impl_wrapped_configILNS1_25lookback_scan_determinismE0ES3_S9_NS6_6detail15normal_iteratorINS6_10device_ptrIxEEEESG_SG_SG_PmS8_22is_equal_div_10_reduceIxEEE10hipError_tPvRmT2_T3_mT4_T5_T6_T7_T8_P12ihipStream_tbENKUlT_T0_E_clISt17integral_constantIbLb1EES11_EEDaSW_SX_EUlSW_E_NS1_11comp_targetILNS1_3genE10ELNS1_11target_archE1201ELNS1_3gpuE5ELNS1_3repE0EEENS1_30default_config_static_selectorELNS0_4arch9wavefront6targetE1EEEvT1_.kd
    .uniform_work_group_size: 1
    .uses_dynamic_stack: false
    .vgpr_count:     0
    .vgpr_spill_count: 0
    .wavefront_size: 64
  - .agpr_count:     0
    .args:
      - .offset:         0
        .size:           136
        .value_kind:     by_value
    .group_segment_fixed_size: 0
    .kernarg_segment_align: 8
    .kernarg_segment_size: 136
    .language:       OpenCL C
    .language_version:
      - 2
      - 0
    .max_flat_workgroup_size: 256
    .name:           _ZN7rocprim17ROCPRIM_400000_NS6detail17trampoline_kernelINS0_14default_configENS1_29reduce_by_key_config_selectorIxxN6thrust23THRUST_200600_302600_NS4plusIxEEEEZZNS1_33reduce_by_key_impl_wrapped_configILNS1_25lookback_scan_determinismE0ES3_S9_NS6_6detail15normal_iteratorINS6_10device_ptrIxEEEESG_SG_SG_PmS8_22is_equal_div_10_reduceIxEEE10hipError_tPvRmT2_T3_mT4_T5_T6_T7_T8_P12ihipStream_tbENKUlT_T0_E_clISt17integral_constantIbLb1EES11_EEDaSW_SX_EUlSW_E_NS1_11comp_targetILNS1_3genE10ELNS1_11target_archE1200ELNS1_3gpuE4ELNS1_3repE0EEENS1_30default_config_static_selectorELNS0_4arch9wavefront6targetE1EEEvT1_
    .private_segment_fixed_size: 0
    .sgpr_count:     4
    .sgpr_spill_count: 0
    .symbol:         _ZN7rocprim17ROCPRIM_400000_NS6detail17trampoline_kernelINS0_14default_configENS1_29reduce_by_key_config_selectorIxxN6thrust23THRUST_200600_302600_NS4plusIxEEEEZZNS1_33reduce_by_key_impl_wrapped_configILNS1_25lookback_scan_determinismE0ES3_S9_NS6_6detail15normal_iteratorINS6_10device_ptrIxEEEESG_SG_SG_PmS8_22is_equal_div_10_reduceIxEEE10hipError_tPvRmT2_T3_mT4_T5_T6_T7_T8_P12ihipStream_tbENKUlT_T0_E_clISt17integral_constantIbLb1EES11_EEDaSW_SX_EUlSW_E_NS1_11comp_targetILNS1_3genE10ELNS1_11target_archE1200ELNS1_3gpuE4ELNS1_3repE0EEENS1_30default_config_static_selectorELNS0_4arch9wavefront6targetE1EEEvT1_.kd
    .uniform_work_group_size: 1
    .uses_dynamic_stack: false
    .vgpr_count:     0
    .vgpr_spill_count: 0
    .wavefront_size: 64
  - .agpr_count:     0
    .args:
      - .offset:         0
        .size:           136
        .value_kind:     by_value
    .group_segment_fixed_size: 0
    .kernarg_segment_align: 8
    .kernarg_segment_size: 136
    .language:       OpenCL C
    .language_version:
      - 2
      - 0
    .max_flat_workgroup_size: 256
    .name:           _ZN7rocprim17ROCPRIM_400000_NS6detail17trampoline_kernelINS0_14default_configENS1_29reduce_by_key_config_selectorIxxN6thrust23THRUST_200600_302600_NS4plusIxEEEEZZNS1_33reduce_by_key_impl_wrapped_configILNS1_25lookback_scan_determinismE0ES3_S9_NS6_6detail15normal_iteratorINS6_10device_ptrIxEEEESG_SG_SG_PmS8_22is_equal_div_10_reduceIxEEE10hipError_tPvRmT2_T3_mT4_T5_T6_T7_T8_P12ihipStream_tbENKUlT_T0_E_clISt17integral_constantIbLb1EES11_EEDaSW_SX_EUlSW_E_NS1_11comp_targetILNS1_3genE9ELNS1_11target_archE1100ELNS1_3gpuE3ELNS1_3repE0EEENS1_30default_config_static_selectorELNS0_4arch9wavefront6targetE1EEEvT1_
    .private_segment_fixed_size: 0
    .sgpr_count:     4
    .sgpr_spill_count: 0
    .symbol:         _ZN7rocprim17ROCPRIM_400000_NS6detail17trampoline_kernelINS0_14default_configENS1_29reduce_by_key_config_selectorIxxN6thrust23THRUST_200600_302600_NS4plusIxEEEEZZNS1_33reduce_by_key_impl_wrapped_configILNS1_25lookback_scan_determinismE0ES3_S9_NS6_6detail15normal_iteratorINS6_10device_ptrIxEEEESG_SG_SG_PmS8_22is_equal_div_10_reduceIxEEE10hipError_tPvRmT2_T3_mT4_T5_T6_T7_T8_P12ihipStream_tbENKUlT_T0_E_clISt17integral_constantIbLb1EES11_EEDaSW_SX_EUlSW_E_NS1_11comp_targetILNS1_3genE9ELNS1_11target_archE1100ELNS1_3gpuE3ELNS1_3repE0EEENS1_30default_config_static_selectorELNS0_4arch9wavefront6targetE1EEEvT1_.kd
    .uniform_work_group_size: 1
    .uses_dynamic_stack: false
    .vgpr_count:     0
    .vgpr_spill_count: 0
    .wavefront_size: 64
  - .agpr_count:     0
    .args:
      - .offset:         0
        .size:           136
        .value_kind:     by_value
    .group_segment_fixed_size: 0
    .kernarg_segment_align: 8
    .kernarg_segment_size: 136
    .language:       OpenCL C
    .language_version:
      - 2
      - 0
    .max_flat_workgroup_size: 256
    .name:           _ZN7rocprim17ROCPRIM_400000_NS6detail17trampoline_kernelINS0_14default_configENS1_29reduce_by_key_config_selectorIxxN6thrust23THRUST_200600_302600_NS4plusIxEEEEZZNS1_33reduce_by_key_impl_wrapped_configILNS1_25lookback_scan_determinismE0ES3_S9_NS6_6detail15normal_iteratorINS6_10device_ptrIxEEEESG_SG_SG_PmS8_22is_equal_div_10_reduceIxEEE10hipError_tPvRmT2_T3_mT4_T5_T6_T7_T8_P12ihipStream_tbENKUlT_T0_E_clISt17integral_constantIbLb1EES11_EEDaSW_SX_EUlSW_E_NS1_11comp_targetILNS1_3genE8ELNS1_11target_archE1030ELNS1_3gpuE2ELNS1_3repE0EEENS1_30default_config_static_selectorELNS0_4arch9wavefront6targetE1EEEvT1_
    .private_segment_fixed_size: 0
    .sgpr_count:     4
    .sgpr_spill_count: 0
    .symbol:         _ZN7rocprim17ROCPRIM_400000_NS6detail17trampoline_kernelINS0_14default_configENS1_29reduce_by_key_config_selectorIxxN6thrust23THRUST_200600_302600_NS4plusIxEEEEZZNS1_33reduce_by_key_impl_wrapped_configILNS1_25lookback_scan_determinismE0ES3_S9_NS6_6detail15normal_iteratorINS6_10device_ptrIxEEEESG_SG_SG_PmS8_22is_equal_div_10_reduceIxEEE10hipError_tPvRmT2_T3_mT4_T5_T6_T7_T8_P12ihipStream_tbENKUlT_T0_E_clISt17integral_constantIbLb1EES11_EEDaSW_SX_EUlSW_E_NS1_11comp_targetILNS1_3genE8ELNS1_11target_archE1030ELNS1_3gpuE2ELNS1_3repE0EEENS1_30default_config_static_selectorELNS0_4arch9wavefront6targetE1EEEvT1_.kd
    .uniform_work_group_size: 1
    .uses_dynamic_stack: false
    .vgpr_count:     0
    .vgpr_spill_count: 0
    .wavefront_size: 64
  - .agpr_count:     0
    .args:
      - .offset:         0
        .size:           136
        .value_kind:     by_value
    .group_segment_fixed_size: 0
    .kernarg_segment_align: 8
    .kernarg_segment_size: 136
    .language:       OpenCL C
    .language_version:
      - 2
      - 0
    .max_flat_workgroup_size: 256
    .name:           _ZN7rocprim17ROCPRIM_400000_NS6detail17trampoline_kernelINS0_14default_configENS1_29reduce_by_key_config_selectorIxxN6thrust23THRUST_200600_302600_NS4plusIxEEEEZZNS1_33reduce_by_key_impl_wrapped_configILNS1_25lookback_scan_determinismE0ES3_S9_NS6_6detail15normal_iteratorINS6_10device_ptrIxEEEESG_SG_SG_PmS8_22is_equal_div_10_reduceIxEEE10hipError_tPvRmT2_T3_mT4_T5_T6_T7_T8_P12ihipStream_tbENKUlT_T0_E_clISt17integral_constantIbLb1EES10_IbLb0EEEEDaSW_SX_EUlSW_E_NS1_11comp_targetILNS1_3genE0ELNS1_11target_archE4294967295ELNS1_3gpuE0ELNS1_3repE0EEENS1_30default_config_static_selectorELNS0_4arch9wavefront6targetE1EEEvT1_
    .private_segment_fixed_size: 0
    .sgpr_count:     4
    .sgpr_spill_count: 0
    .symbol:         _ZN7rocprim17ROCPRIM_400000_NS6detail17trampoline_kernelINS0_14default_configENS1_29reduce_by_key_config_selectorIxxN6thrust23THRUST_200600_302600_NS4plusIxEEEEZZNS1_33reduce_by_key_impl_wrapped_configILNS1_25lookback_scan_determinismE0ES3_S9_NS6_6detail15normal_iteratorINS6_10device_ptrIxEEEESG_SG_SG_PmS8_22is_equal_div_10_reduceIxEEE10hipError_tPvRmT2_T3_mT4_T5_T6_T7_T8_P12ihipStream_tbENKUlT_T0_E_clISt17integral_constantIbLb1EES10_IbLb0EEEEDaSW_SX_EUlSW_E_NS1_11comp_targetILNS1_3genE0ELNS1_11target_archE4294967295ELNS1_3gpuE0ELNS1_3repE0EEENS1_30default_config_static_selectorELNS0_4arch9wavefront6targetE1EEEvT1_.kd
    .uniform_work_group_size: 1
    .uses_dynamic_stack: false
    .vgpr_count:     0
    .vgpr_spill_count: 0
    .wavefront_size: 64
  - .agpr_count:     0
    .args:
      - .offset:         0
        .size:           136
        .value_kind:     by_value
    .group_segment_fixed_size: 0
    .kernarg_segment_align: 8
    .kernarg_segment_size: 136
    .language:       OpenCL C
    .language_version:
      - 2
      - 0
    .max_flat_workgroup_size: 256
    .name:           _ZN7rocprim17ROCPRIM_400000_NS6detail17trampoline_kernelINS0_14default_configENS1_29reduce_by_key_config_selectorIxxN6thrust23THRUST_200600_302600_NS4plusIxEEEEZZNS1_33reduce_by_key_impl_wrapped_configILNS1_25lookback_scan_determinismE0ES3_S9_NS6_6detail15normal_iteratorINS6_10device_ptrIxEEEESG_SG_SG_PmS8_22is_equal_div_10_reduceIxEEE10hipError_tPvRmT2_T3_mT4_T5_T6_T7_T8_P12ihipStream_tbENKUlT_T0_E_clISt17integral_constantIbLb1EES10_IbLb0EEEEDaSW_SX_EUlSW_E_NS1_11comp_targetILNS1_3genE5ELNS1_11target_archE942ELNS1_3gpuE9ELNS1_3repE0EEENS1_30default_config_static_selectorELNS0_4arch9wavefront6targetE1EEEvT1_
    .private_segment_fixed_size: 0
    .sgpr_count:     4
    .sgpr_spill_count: 0
    .symbol:         _ZN7rocprim17ROCPRIM_400000_NS6detail17trampoline_kernelINS0_14default_configENS1_29reduce_by_key_config_selectorIxxN6thrust23THRUST_200600_302600_NS4plusIxEEEEZZNS1_33reduce_by_key_impl_wrapped_configILNS1_25lookback_scan_determinismE0ES3_S9_NS6_6detail15normal_iteratorINS6_10device_ptrIxEEEESG_SG_SG_PmS8_22is_equal_div_10_reduceIxEEE10hipError_tPvRmT2_T3_mT4_T5_T6_T7_T8_P12ihipStream_tbENKUlT_T0_E_clISt17integral_constantIbLb1EES10_IbLb0EEEEDaSW_SX_EUlSW_E_NS1_11comp_targetILNS1_3genE5ELNS1_11target_archE942ELNS1_3gpuE9ELNS1_3repE0EEENS1_30default_config_static_selectorELNS0_4arch9wavefront6targetE1EEEvT1_.kd
    .uniform_work_group_size: 1
    .uses_dynamic_stack: false
    .vgpr_count:     0
    .vgpr_spill_count: 0
    .wavefront_size: 64
  - .agpr_count:     0
    .args:
      - .offset:         0
        .size:           136
        .value_kind:     by_value
    .group_segment_fixed_size: 30720
    .kernarg_segment_align: 8
    .kernarg_segment_size: 136
    .language:       OpenCL C
    .language_version:
      - 2
      - 0
    .max_flat_workgroup_size: 256
    .name:           _ZN7rocprim17ROCPRIM_400000_NS6detail17trampoline_kernelINS0_14default_configENS1_29reduce_by_key_config_selectorIxxN6thrust23THRUST_200600_302600_NS4plusIxEEEEZZNS1_33reduce_by_key_impl_wrapped_configILNS1_25lookback_scan_determinismE0ES3_S9_NS6_6detail15normal_iteratorINS6_10device_ptrIxEEEESG_SG_SG_PmS8_22is_equal_div_10_reduceIxEEE10hipError_tPvRmT2_T3_mT4_T5_T6_T7_T8_P12ihipStream_tbENKUlT_T0_E_clISt17integral_constantIbLb1EES10_IbLb0EEEEDaSW_SX_EUlSW_E_NS1_11comp_targetILNS1_3genE4ELNS1_11target_archE910ELNS1_3gpuE8ELNS1_3repE0EEENS1_30default_config_static_selectorELNS0_4arch9wavefront6targetE1EEEvT1_
    .private_segment_fixed_size: 0
    .sgpr_count:     69
    .sgpr_spill_count: 0
    .symbol:         _ZN7rocprim17ROCPRIM_400000_NS6detail17trampoline_kernelINS0_14default_configENS1_29reduce_by_key_config_selectorIxxN6thrust23THRUST_200600_302600_NS4plusIxEEEEZZNS1_33reduce_by_key_impl_wrapped_configILNS1_25lookback_scan_determinismE0ES3_S9_NS6_6detail15normal_iteratorINS6_10device_ptrIxEEEESG_SG_SG_PmS8_22is_equal_div_10_reduceIxEEE10hipError_tPvRmT2_T3_mT4_T5_T6_T7_T8_P12ihipStream_tbENKUlT_T0_E_clISt17integral_constantIbLb1EES10_IbLb0EEEEDaSW_SX_EUlSW_E_NS1_11comp_targetILNS1_3genE4ELNS1_11target_archE910ELNS1_3gpuE8ELNS1_3repE0EEENS1_30default_config_static_selectorELNS0_4arch9wavefront6targetE1EEEvT1_.kd
    .uniform_work_group_size: 1
    .uses_dynamic_stack: false
    .vgpr_count:     116
    .vgpr_spill_count: 0
    .wavefront_size: 64
  - .agpr_count:     0
    .args:
      - .offset:         0
        .size:           136
        .value_kind:     by_value
    .group_segment_fixed_size: 0
    .kernarg_segment_align: 8
    .kernarg_segment_size: 136
    .language:       OpenCL C
    .language_version:
      - 2
      - 0
    .max_flat_workgroup_size: 256
    .name:           _ZN7rocprim17ROCPRIM_400000_NS6detail17trampoline_kernelINS0_14default_configENS1_29reduce_by_key_config_selectorIxxN6thrust23THRUST_200600_302600_NS4plusIxEEEEZZNS1_33reduce_by_key_impl_wrapped_configILNS1_25lookback_scan_determinismE0ES3_S9_NS6_6detail15normal_iteratorINS6_10device_ptrIxEEEESG_SG_SG_PmS8_22is_equal_div_10_reduceIxEEE10hipError_tPvRmT2_T3_mT4_T5_T6_T7_T8_P12ihipStream_tbENKUlT_T0_E_clISt17integral_constantIbLb1EES10_IbLb0EEEEDaSW_SX_EUlSW_E_NS1_11comp_targetILNS1_3genE3ELNS1_11target_archE908ELNS1_3gpuE7ELNS1_3repE0EEENS1_30default_config_static_selectorELNS0_4arch9wavefront6targetE1EEEvT1_
    .private_segment_fixed_size: 0
    .sgpr_count:     4
    .sgpr_spill_count: 0
    .symbol:         _ZN7rocprim17ROCPRIM_400000_NS6detail17trampoline_kernelINS0_14default_configENS1_29reduce_by_key_config_selectorIxxN6thrust23THRUST_200600_302600_NS4plusIxEEEEZZNS1_33reduce_by_key_impl_wrapped_configILNS1_25lookback_scan_determinismE0ES3_S9_NS6_6detail15normal_iteratorINS6_10device_ptrIxEEEESG_SG_SG_PmS8_22is_equal_div_10_reduceIxEEE10hipError_tPvRmT2_T3_mT4_T5_T6_T7_T8_P12ihipStream_tbENKUlT_T0_E_clISt17integral_constantIbLb1EES10_IbLb0EEEEDaSW_SX_EUlSW_E_NS1_11comp_targetILNS1_3genE3ELNS1_11target_archE908ELNS1_3gpuE7ELNS1_3repE0EEENS1_30default_config_static_selectorELNS0_4arch9wavefront6targetE1EEEvT1_.kd
    .uniform_work_group_size: 1
    .uses_dynamic_stack: false
    .vgpr_count:     0
    .vgpr_spill_count: 0
    .wavefront_size: 64
  - .agpr_count:     0
    .args:
      - .offset:         0
        .size:           136
        .value_kind:     by_value
    .group_segment_fixed_size: 0
    .kernarg_segment_align: 8
    .kernarg_segment_size: 136
    .language:       OpenCL C
    .language_version:
      - 2
      - 0
    .max_flat_workgroup_size: 256
    .name:           _ZN7rocprim17ROCPRIM_400000_NS6detail17trampoline_kernelINS0_14default_configENS1_29reduce_by_key_config_selectorIxxN6thrust23THRUST_200600_302600_NS4plusIxEEEEZZNS1_33reduce_by_key_impl_wrapped_configILNS1_25lookback_scan_determinismE0ES3_S9_NS6_6detail15normal_iteratorINS6_10device_ptrIxEEEESG_SG_SG_PmS8_22is_equal_div_10_reduceIxEEE10hipError_tPvRmT2_T3_mT4_T5_T6_T7_T8_P12ihipStream_tbENKUlT_T0_E_clISt17integral_constantIbLb1EES10_IbLb0EEEEDaSW_SX_EUlSW_E_NS1_11comp_targetILNS1_3genE2ELNS1_11target_archE906ELNS1_3gpuE6ELNS1_3repE0EEENS1_30default_config_static_selectorELNS0_4arch9wavefront6targetE1EEEvT1_
    .private_segment_fixed_size: 0
    .sgpr_count:     4
    .sgpr_spill_count: 0
    .symbol:         _ZN7rocprim17ROCPRIM_400000_NS6detail17trampoline_kernelINS0_14default_configENS1_29reduce_by_key_config_selectorIxxN6thrust23THRUST_200600_302600_NS4plusIxEEEEZZNS1_33reduce_by_key_impl_wrapped_configILNS1_25lookback_scan_determinismE0ES3_S9_NS6_6detail15normal_iteratorINS6_10device_ptrIxEEEESG_SG_SG_PmS8_22is_equal_div_10_reduceIxEEE10hipError_tPvRmT2_T3_mT4_T5_T6_T7_T8_P12ihipStream_tbENKUlT_T0_E_clISt17integral_constantIbLb1EES10_IbLb0EEEEDaSW_SX_EUlSW_E_NS1_11comp_targetILNS1_3genE2ELNS1_11target_archE906ELNS1_3gpuE6ELNS1_3repE0EEENS1_30default_config_static_selectorELNS0_4arch9wavefront6targetE1EEEvT1_.kd
    .uniform_work_group_size: 1
    .uses_dynamic_stack: false
    .vgpr_count:     0
    .vgpr_spill_count: 0
    .wavefront_size: 64
  - .agpr_count:     0
    .args:
      - .offset:         0
        .size:           136
        .value_kind:     by_value
    .group_segment_fixed_size: 0
    .kernarg_segment_align: 8
    .kernarg_segment_size: 136
    .language:       OpenCL C
    .language_version:
      - 2
      - 0
    .max_flat_workgroup_size: 256
    .name:           _ZN7rocprim17ROCPRIM_400000_NS6detail17trampoline_kernelINS0_14default_configENS1_29reduce_by_key_config_selectorIxxN6thrust23THRUST_200600_302600_NS4plusIxEEEEZZNS1_33reduce_by_key_impl_wrapped_configILNS1_25lookback_scan_determinismE0ES3_S9_NS6_6detail15normal_iteratorINS6_10device_ptrIxEEEESG_SG_SG_PmS8_22is_equal_div_10_reduceIxEEE10hipError_tPvRmT2_T3_mT4_T5_T6_T7_T8_P12ihipStream_tbENKUlT_T0_E_clISt17integral_constantIbLb1EES10_IbLb0EEEEDaSW_SX_EUlSW_E_NS1_11comp_targetILNS1_3genE10ELNS1_11target_archE1201ELNS1_3gpuE5ELNS1_3repE0EEENS1_30default_config_static_selectorELNS0_4arch9wavefront6targetE1EEEvT1_
    .private_segment_fixed_size: 0
    .sgpr_count:     4
    .sgpr_spill_count: 0
    .symbol:         _ZN7rocprim17ROCPRIM_400000_NS6detail17trampoline_kernelINS0_14default_configENS1_29reduce_by_key_config_selectorIxxN6thrust23THRUST_200600_302600_NS4plusIxEEEEZZNS1_33reduce_by_key_impl_wrapped_configILNS1_25lookback_scan_determinismE0ES3_S9_NS6_6detail15normal_iteratorINS6_10device_ptrIxEEEESG_SG_SG_PmS8_22is_equal_div_10_reduceIxEEE10hipError_tPvRmT2_T3_mT4_T5_T6_T7_T8_P12ihipStream_tbENKUlT_T0_E_clISt17integral_constantIbLb1EES10_IbLb0EEEEDaSW_SX_EUlSW_E_NS1_11comp_targetILNS1_3genE10ELNS1_11target_archE1201ELNS1_3gpuE5ELNS1_3repE0EEENS1_30default_config_static_selectorELNS0_4arch9wavefront6targetE1EEEvT1_.kd
    .uniform_work_group_size: 1
    .uses_dynamic_stack: false
    .vgpr_count:     0
    .vgpr_spill_count: 0
    .wavefront_size: 64
  - .agpr_count:     0
    .args:
      - .offset:         0
        .size:           136
        .value_kind:     by_value
    .group_segment_fixed_size: 0
    .kernarg_segment_align: 8
    .kernarg_segment_size: 136
    .language:       OpenCL C
    .language_version:
      - 2
      - 0
    .max_flat_workgroup_size: 256
    .name:           _ZN7rocprim17ROCPRIM_400000_NS6detail17trampoline_kernelINS0_14default_configENS1_29reduce_by_key_config_selectorIxxN6thrust23THRUST_200600_302600_NS4plusIxEEEEZZNS1_33reduce_by_key_impl_wrapped_configILNS1_25lookback_scan_determinismE0ES3_S9_NS6_6detail15normal_iteratorINS6_10device_ptrIxEEEESG_SG_SG_PmS8_22is_equal_div_10_reduceIxEEE10hipError_tPvRmT2_T3_mT4_T5_T6_T7_T8_P12ihipStream_tbENKUlT_T0_E_clISt17integral_constantIbLb1EES10_IbLb0EEEEDaSW_SX_EUlSW_E_NS1_11comp_targetILNS1_3genE10ELNS1_11target_archE1200ELNS1_3gpuE4ELNS1_3repE0EEENS1_30default_config_static_selectorELNS0_4arch9wavefront6targetE1EEEvT1_
    .private_segment_fixed_size: 0
    .sgpr_count:     4
    .sgpr_spill_count: 0
    .symbol:         _ZN7rocprim17ROCPRIM_400000_NS6detail17trampoline_kernelINS0_14default_configENS1_29reduce_by_key_config_selectorIxxN6thrust23THRUST_200600_302600_NS4plusIxEEEEZZNS1_33reduce_by_key_impl_wrapped_configILNS1_25lookback_scan_determinismE0ES3_S9_NS6_6detail15normal_iteratorINS6_10device_ptrIxEEEESG_SG_SG_PmS8_22is_equal_div_10_reduceIxEEE10hipError_tPvRmT2_T3_mT4_T5_T6_T7_T8_P12ihipStream_tbENKUlT_T0_E_clISt17integral_constantIbLb1EES10_IbLb0EEEEDaSW_SX_EUlSW_E_NS1_11comp_targetILNS1_3genE10ELNS1_11target_archE1200ELNS1_3gpuE4ELNS1_3repE0EEENS1_30default_config_static_selectorELNS0_4arch9wavefront6targetE1EEEvT1_.kd
    .uniform_work_group_size: 1
    .uses_dynamic_stack: false
    .vgpr_count:     0
    .vgpr_spill_count: 0
    .wavefront_size: 64
  - .agpr_count:     0
    .args:
      - .offset:         0
        .size:           136
        .value_kind:     by_value
    .group_segment_fixed_size: 0
    .kernarg_segment_align: 8
    .kernarg_segment_size: 136
    .language:       OpenCL C
    .language_version:
      - 2
      - 0
    .max_flat_workgroup_size: 256
    .name:           _ZN7rocprim17ROCPRIM_400000_NS6detail17trampoline_kernelINS0_14default_configENS1_29reduce_by_key_config_selectorIxxN6thrust23THRUST_200600_302600_NS4plusIxEEEEZZNS1_33reduce_by_key_impl_wrapped_configILNS1_25lookback_scan_determinismE0ES3_S9_NS6_6detail15normal_iteratorINS6_10device_ptrIxEEEESG_SG_SG_PmS8_22is_equal_div_10_reduceIxEEE10hipError_tPvRmT2_T3_mT4_T5_T6_T7_T8_P12ihipStream_tbENKUlT_T0_E_clISt17integral_constantIbLb1EES10_IbLb0EEEEDaSW_SX_EUlSW_E_NS1_11comp_targetILNS1_3genE9ELNS1_11target_archE1100ELNS1_3gpuE3ELNS1_3repE0EEENS1_30default_config_static_selectorELNS0_4arch9wavefront6targetE1EEEvT1_
    .private_segment_fixed_size: 0
    .sgpr_count:     4
    .sgpr_spill_count: 0
    .symbol:         _ZN7rocprim17ROCPRIM_400000_NS6detail17trampoline_kernelINS0_14default_configENS1_29reduce_by_key_config_selectorIxxN6thrust23THRUST_200600_302600_NS4plusIxEEEEZZNS1_33reduce_by_key_impl_wrapped_configILNS1_25lookback_scan_determinismE0ES3_S9_NS6_6detail15normal_iteratorINS6_10device_ptrIxEEEESG_SG_SG_PmS8_22is_equal_div_10_reduceIxEEE10hipError_tPvRmT2_T3_mT4_T5_T6_T7_T8_P12ihipStream_tbENKUlT_T0_E_clISt17integral_constantIbLb1EES10_IbLb0EEEEDaSW_SX_EUlSW_E_NS1_11comp_targetILNS1_3genE9ELNS1_11target_archE1100ELNS1_3gpuE3ELNS1_3repE0EEENS1_30default_config_static_selectorELNS0_4arch9wavefront6targetE1EEEvT1_.kd
    .uniform_work_group_size: 1
    .uses_dynamic_stack: false
    .vgpr_count:     0
    .vgpr_spill_count: 0
    .wavefront_size: 64
  - .agpr_count:     0
    .args:
      - .offset:         0
        .size:           136
        .value_kind:     by_value
    .group_segment_fixed_size: 0
    .kernarg_segment_align: 8
    .kernarg_segment_size: 136
    .language:       OpenCL C
    .language_version:
      - 2
      - 0
    .max_flat_workgroup_size: 256
    .name:           _ZN7rocprim17ROCPRIM_400000_NS6detail17trampoline_kernelINS0_14default_configENS1_29reduce_by_key_config_selectorIxxN6thrust23THRUST_200600_302600_NS4plusIxEEEEZZNS1_33reduce_by_key_impl_wrapped_configILNS1_25lookback_scan_determinismE0ES3_S9_NS6_6detail15normal_iteratorINS6_10device_ptrIxEEEESG_SG_SG_PmS8_22is_equal_div_10_reduceIxEEE10hipError_tPvRmT2_T3_mT4_T5_T6_T7_T8_P12ihipStream_tbENKUlT_T0_E_clISt17integral_constantIbLb1EES10_IbLb0EEEEDaSW_SX_EUlSW_E_NS1_11comp_targetILNS1_3genE8ELNS1_11target_archE1030ELNS1_3gpuE2ELNS1_3repE0EEENS1_30default_config_static_selectorELNS0_4arch9wavefront6targetE1EEEvT1_
    .private_segment_fixed_size: 0
    .sgpr_count:     4
    .sgpr_spill_count: 0
    .symbol:         _ZN7rocprim17ROCPRIM_400000_NS6detail17trampoline_kernelINS0_14default_configENS1_29reduce_by_key_config_selectorIxxN6thrust23THRUST_200600_302600_NS4plusIxEEEEZZNS1_33reduce_by_key_impl_wrapped_configILNS1_25lookback_scan_determinismE0ES3_S9_NS6_6detail15normal_iteratorINS6_10device_ptrIxEEEESG_SG_SG_PmS8_22is_equal_div_10_reduceIxEEE10hipError_tPvRmT2_T3_mT4_T5_T6_T7_T8_P12ihipStream_tbENKUlT_T0_E_clISt17integral_constantIbLb1EES10_IbLb0EEEEDaSW_SX_EUlSW_E_NS1_11comp_targetILNS1_3genE8ELNS1_11target_archE1030ELNS1_3gpuE2ELNS1_3repE0EEENS1_30default_config_static_selectorELNS0_4arch9wavefront6targetE1EEEvT1_.kd
    .uniform_work_group_size: 1
    .uses_dynamic_stack: false
    .vgpr_count:     0
    .vgpr_spill_count: 0
    .wavefront_size: 64
  - .agpr_count:     0
    .args:
      - .offset:         0
        .size:           136
        .value_kind:     by_value
    .group_segment_fixed_size: 0
    .kernarg_segment_align: 8
    .kernarg_segment_size: 136
    .language:       OpenCL C
    .language_version:
      - 2
      - 0
    .max_flat_workgroup_size: 256
    .name:           _ZN7rocprim17ROCPRIM_400000_NS6detail17trampoline_kernelINS0_14default_configENS1_29reduce_by_key_config_selectorIxxN6thrust23THRUST_200600_302600_NS4plusIxEEEEZZNS1_33reduce_by_key_impl_wrapped_configILNS1_25lookback_scan_determinismE0ES3_S9_NS6_6detail15normal_iteratorINS6_10device_ptrIxEEEESG_SG_SG_PmS8_22is_equal_div_10_reduceIxEEE10hipError_tPvRmT2_T3_mT4_T5_T6_T7_T8_P12ihipStream_tbENKUlT_T0_E_clISt17integral_constantIbLb0EES10_IbLb1EEEEDaSW_SX_EUlSW_E_NS1_11comp_targetILNS1_3genE0ELNS1_11target_archE4294967295ELNS1_3gpuE0ELNS1_3repE0EEENS1_30default_config_static_selectorELNS0_4arch9wavefront6targetE1EEEvT1_
    .private_segment_fixed_size: 0
    .sgpr_count:     4
    .sgpr_spill_count: 0
    .symbol:         _ZN7rocprim17ROCPRIM_400000_NS6detail17trampoline_kernelINS0_14default_configENS1_29reduce_by_key_config_selectorIxxN6thrust23THRUST_200600_302600_NS4plusIxEEEEZZNS1_33reduce_by_key_impl_wrapped_configILNS1_25lookback_scan_determinismE0ES3_S9_NS6_6detail15normal_iteratorINS6_10device_ptrIxEEEESG_SG_SG_PmS8_22is_equal_div_10_reduceIxEEE10hipError_tPvRmT2_T3_mT4_T5_T6_T7_T8_P12ihipStream_tbENKUlT_T0_E_clISt17integral_constantIbLb0EES10_IbLb1EEEEDaSW_SX_EUlSW_E_NS1_11comp_targetILNS1_3genE0ELNS1_11target_archE4294967295ELNS1_3gpuE0ELNS1_3repE0EEENS1_30default_config_static_selectorELNS0_4arch9wavefront6targetE1EEEvT1_.kd
    .uniform_work_group_size: 1
    .uses_dynamic_stack: false
    .vgpr_count:     0
    .vgpr_spill_count: 0
    .wavefront_size: 64
  - .agpr_count:     0
    .args:
      - .offset:         0
        .size:           136
        .value_kind:     by_value
    .group_segment_fixed_size: 0
    .kernarg_segment_align: 8
    .kernarg_segment_size: 136
    .language:       OpenCL C
    .language_version:
      - 2
      - 0
    .max_flat_workgroup_size: 256
    .name:           _ZN7rocprim17ROCPRIM_400000_NS6detail17trampoline_kernelINS0_14default_configENS1_29reduce_by_key_config_selectorIxxN6thrust23THRUST_200600_302600_NS4plusIxEEEEZZNS1_33reduce_by_key_impl_wrapped_configILNS1_25lookback_scan_determinismE0ES3_S9_NS6_6detail15normal_iteratorINS6_10device_ptrIxEEEESG_SG_SG_PmS8_22is_equal_div_10_reduceIxEEE10hipError_tPvRmT2_T3_mT4_T5_T6_T7_T8_P12ihipStream_tbENKUlT_T0_E_clISt17integral_constantIbLb0EES10_IbLb1EEEEDaSW_SX_EUlSW_E_NS1_11comp_targetILNS1_3genE5ELNS1_11target_archE942ELNS1_3gpuE9ELNS1_3repE0EEENS1_30default_config_static_selectorELNS0_4arch9wavefront6targetE1EEEvT1_
    .private_segment_fixed_size: 0
    .sgpr_count:     4
    .sgpr_spill_count: 0
    .symbol:         _ZN7rocprim17ROCPRIM_400000_NS6detail17trampoline_kernelINS0_14default_configENS1_29reduce_by_key_config_selectorIxxN6thrust23THRUST_200600_302600_NS4plusIxEEEEZZNS1_33reduce_by_key_impl_wrapped_configILNS1_25lookback_scan_determinismE0ES3_S9_NS6_6detail15normal_iteratorINS6_10device_ptrIxEEEESG_SG_SG_PmS8_22is_equal_div_10_reduceIxEEE10hipError_tPvRmT2_T3_mT4_T5_T6_T7_T8_P12ihipStream_tbENKUlT_T0_E_clISt17integral_constantIbLb0EES10_IbLb1EEEEDaSW_SX_EUlSW_E_NS1_11comp_targetILNS1_3genE5ELNS1_11target_archE942ELNS1_3gpuE9ELNS1_3repE0EEENS1_30default_config_static_selectorELNS0_4arch9wavefront6targetE1EEEvT1_.kd
    .uniform_work_group_size: 1
    .uses_dynamic_stack: false
    .vgpr_count:     0
    .vgpr_spill_count: 0
    .wavefront_size: 64
  - .agpr_count:     0
    .args:
      - .offset:         0
        .size:           136
        .value_kind:     by_value
    .group_segment_fixed_size: 30720
    .kernarg_segment_align: 8
    .kernarg_segment_size: 136
    .language:       OpenCL C
    .language_version:
      - 2
      - 0
    .max_flat_workgroup_size: 256
    .name:           _ZN7rocprim17ROCPRIM_400000_NS6detail17trampoline_kernelINS0_14default_configENS1_29reduce_by_key_config_selectorIxxN6thrust23THRUST_200600_302600_NS4plusIxEEEEZZNS1_33reduce_by_key_impl_wrapped_configILNS1_25lookback_scan_determinismE0ES3_S9_NS6_6detail15normal_iteratorINS6_10device_ptrIxEEEESG_SG_SG_PmS8_22is_equal_div_10_reduceIxEEE10hipError_tPvRmT2_T3_mT4_T5_T6_T7_T8_P12ihipStream_tbENKUlT_T0_E_clISt17integral_constantIbLb0EES10_IbLb1EEEEDaSW_SX_EUlSW_E_NS1_11comp_targetILNS1_3genE4ELNS1_11target_archE910ELNS1_3gpuE8ELNS1_3repE0EEENS1_30default_config_static_selectorELNS0_4arch9wavefront6targetE1EEEvT1_
    .private_segment_fixed_size: 0
    .sgpr_count:     70
    .sgpr_spill_count: 0
    .symbol:         _ZN7rocprim17ROCPRIM_400000_NS6detail17trampoline_kernelINS0_14default_configENS1_29reduce_by_key_config_selectorIxxN6thrust23THRUST_200600_302600_NS4plusIxEEEEZZNS1_33reduce_by_key_impl_wrapped_configILNS1_25lookback_scan_determinismE0ES3_S9_NS6_6detail15normal_iteratorINS6_10device_ptrIxEEEESG_SG_SG_PmS8_22is_equal_div_10_reduceIxEEE10hipError_tPvRmT2_T3_mT4_T5_T6_T7_T8_P12ihipStream_tbENKUlT_T0_E_clISt17integral_constantIbLb0EES10_IbLb1EEEEDaSW_SX_EUlSW_E_NS1_11comp_targetILNS1_3genE4ELNS1_11target_archE910ELNS1_3gpuE8ELNS1_3repE0EEENS1_30default_config_static_selectorELNS0_4arch9wavefront6targetE1EEEvT1_.kd
    .uniform_work_group_size: 1
    .uses_dynamic_stack: false
    .vgpr_count:     116
    .vgpr_spill_count: 0
    .wavefront_size: 64
  - .agpr_count:     0
    .args:
      - .offset:         0
        .size:           136
        .value_kind:     by_value
    .group_segment_fixed_size: 0
    .kernarg_segment_align: 8
    .kernarg_segment_size: 136
    .language:       OpenCL C
    .language_version:
      - 2
      - 0
    .max_flat_workgroup_size: 256
    .name:           _ZN7rocprim17ROCPRIM_400000_NS6detail17trampoline_kernelINS0_14default_configENS1_29reduce_by_key_config_selectorIxxN6thrust23THRUST_200600_302600_NS4plusIxEEEEZZNS1_33reduce_by_key_impl_wrapped_configILNS1_25lookback_scan_determinismE0ES3_S9_NS6_6detail15normal_iteratorINS6_10device_ptrIxEEEESG_SG_SG_PmS8_22is_equal_div_10_reduceIxEEE10hipError_tPvRmT2_T3_mT4_T5_T6_T7_T8_P12ihipStream_tbENKUlT_T0_E_clISt17integral_constantIbLb0EES10_IbLb1EEEEDaSW_SX_EUlSW_E_NS1_11comp_targetILNS1_3genE3ELNS1_11target_archE908ELNS1_3gpuE7ELNS1_3repE0EEENS1_30default_config_static_selectorELNS0_4arch9wavefront6targetE1EEEvT1_
    .private_segment_fixed_size: 0
    .sgpr_count:     4
    .sgpr_spill_count: 0
    .symbol:         _ZN7rocprim17ROCPRIM_400000_NS6detail17trampoline_kernelINS0_14default_configENS1_29reduce_by_key_config_selectorIxxN6thrust23THRUST_200600_302600_NS4plusIxEEEEZZNS1_33reduce_by_key_impl_wrapped_configILNS1_25lookback_scan_determinismE0ES3_S9_NS6_6detail15normal_iteratorINS6_10device_ptrIxEEEESG_SG_SG_PmS8_22is_equal_div_10_reduceIxEEE10hipError_tPvRmT2_T3_mT4_T5_T6_T7_T8_P12ihipStream_tbENKUlT_T0_E_clISt17integral_constantIbLb0EES10_IbLb1EEEEDaSW_SX_EUlSW_E_NS1_11comp_targetILNS1_3genE3ELNS1_11target_archE908ELNS1_3gpuE7ELNS1_3repE0EEENS1_30default_config_static_selectorELNS0_4arch9wavefront6targetE1EEEvT1_.kd
    .uniform_work_group_size: 1
    .uses_dynamic_stack: false
    .vgpr_count:     0
    .vgpr_spill_count: 0
    .wavefront_size: 64
  - .agpr_count:     0
    .args:
      - .offset:         0
        .size:           136
        .value_kind:     by_value
    .group_segment_fixed_size: 0
    .kernarg_segment_align: 8
    .kernarg_segment_size: 136
    .language:       OpenCL C
    .language_version:
      - 2
      - 0
    .max_flat_workgroup_size: 256
    .name:           _ZN7rocprim17ROCPRIM_400000_NS6detail17trampoline_kernelINS0_14default_configENS1_29reduce_by_key_config_selectorIxxN6thrust23THRUST_200600_302600_NS4plusIxEEEEZZNS1_33reduce_by_key_impl_wrapped_configILNS1_25lookback_scan_determinismE0ES3_S9_NS6_6detail15normal_iteratorINS6_10device_ptrIxEEEESG_SG_SG_PmS8_22is_equal_div_10_reduceIxEEE10hipError_tPvRmT2_T3_mT4_T5_T6_T7_T8_P12ihipStream_tbENKUlT_T0_E_clISt17integral_constantIbLb0EES10_IbLb1EEEEDaSW_SX_EUlSW_E_NS1_11comp_targetILNS1_3genE2ELNS1_11target_archE906ELNS1_3gpuE6ELNS1_3repE0EEENS1_30default_config_static_selectorELNS0_4arch9wavefront6targetE1EEEvT1_
    .private_segment_fixed_size: 0
    .sgpr_count:     4
    .sgpr_spill_count: 0
    .symbol:         _ZN7rocprim17ROCPRIM_400000_NS6detail17trampoline_kernelINS0_14default_configENS1_29reduce_by_key_config_selectorIxxN6thrust23THRUST_200600_302600_NS4plusIxEEEEZZNS1_33reduce_by_key_impl_wrapped_configILNS1_25lookback_scan_determinismE0ES3_S9_NS6_6detail15normal_iteratorINS6_10device_ptrIxEEEESG_SG_SG_PmS8_22is_equal_div_10_reduceIxEEE10hipError_tPvRmT2_T3_mT4_T5_T6_T7_T8_P12ihipStream_tbENKUlT_T0_E_clISt17integral_constantIbLb0EES10_IbLb1EEEEDaSW_SX_EUlSW_E_NS1_11comp_targetILNS1_3genE2ELNS1_11target_archE906ELNS1_3gpuE6ELNS1_3repE0EEENS1_30default_config_static_selectorELNS0_4arch9wavefront6targetE1EEEvT1_.kd
    .uniform_work_group_size: 1
    .uses_dynamic_stack: false
    .vgpr_count:     0
    .vgpr_spill_count: 0
    .wavefront_size: 64
  - .agpr_count:     0
    .args:
      - .offset:         0
        .size:           136
        .value_kind:     by_value
    .group_segment_fixed_size: 0
    .kernarg_segment_align: 8
    .kernarg_segment_size: 136
    .language:       OpenCL C
    .language_version:
      - 2
      - 0
    .max_flat_workgroup_size: 256
    .name:           _ZN7rocprim17ROCPRIM_400000_NS6detail17trampoline_kernelINS0_14default_configENS1_29reduce_by_key_config_selectorIxxN6thrust23THRUST_200600_302600_NS4plusIxEEEEZZNS1_33reduce_by_key_impl_wrapped_configILNS1_25lookback_scan_determinismE0ES3_S9_NS6_6detail15normal_iteratorINS6_10device_ptrIxEEEESG_SG_SG_PmS8_22is_equal_div_10_reduceIxEEE10hipError_tPvRmT2_T3_mT4_T5_T6_T7_T8_P12ihipStream_tbENKUlT_T0_E_clISt17integral_constantIbLb0EES10_IbLb1EEEEDaSW_SX_EUlSW_E_NS1_11comp_targetILNS1_3genE10ELNS1_11target_archE1201ELNS1_3gpuE5ELNS1_3repE0EEENS1_30default_config_static_selectorELNS0_4arch9wavefront6targetE1EEEvT1_
    .private_segment_fixed_size: 0
    .sgpr_count:     4
    .sgpr_spill_count: 0
    .symbol:         _ZN7rocprim17ROCPRIM_400000_NS6detail17trampoline_kernelINS0_14default_configENS1_29reduce_by_key_config_selectorIxxN6thrust23THRUST_200600_302600_NS4plusIxEEEEZZNS1_33reduce_by_key_impl_wrapped_configILNS1_25lookback_scan_determinismE0ES3_S9_NS6_6detail15normal_iteratorINS6_10device_ptrIxEEEESG_SG_SG_PmS8_22is_equal_div_10_reduceIxEEE10hipError_tPvRmT2_T3_mT4_T5_T6_T7_T8_P12ihipStream_tbENKUlT_T0_E_clISt17integral_constantIbLb0EES10_IbLb1EEEEDaSW_SX_EUlSW_E_NS1_11comp_targetILNS1_3genE10ELNS1_11target_archE1201ELNS1_3gpuE5ELNS1_3repE0EEENS1_30default_config_static_selectorELNS0_4arch9wavefront6targetE1EEEvT1_.kd
    .uniform_work_group_size: 1
    .uses_dynamic_stack: false
    .vgpr_count:     0
    .vgpr_spill_count: 0
    .wavefront_size: 64
  - .agpr_count:     0
    .args:
      - .offset:         0
        .size:           136
        .value_kind:     by_value
    .group_segment_fixed_size: 0
    .kernarg_segment_align: 8
    .kernarg_segment_size: 136
    .language:       OpenCL C
    .language_version:
      - 2
      - 0
    .max_flat_workgroup_size: 256
    .name:           _ZN7rocprim17ROCPRIM_400000_NS6detail17trampoline_kernelINS0_14default_configENS1_29reduce_by_key_config_selectorIxxN6thrust23THRUST_200600_302600_NS4plusIxEEEEZZNS1_33reduce_by_key_impl_wrapped_configILNS1_25lookback_scan_determinismE0ES3_S9_NS6_6detail15normal_iteratorINS6_10device_ptrIxEEEESG_SG_SG_PmS8_22is_equal_div_10_reduceIxEEE10hipError_tPvRmT2_T3_mT4_T5_T6_T7_T8_P12ihipStream_tbENKUlT_T0_E_clISt17integral_constantIbLb0EES10_IbLb1EEEEDaSW_SX_EUlSW_E_NS1_11comp_targetILNS1_3genE10ELNS1_11target_archE1200ELNS1_3gpuE4ELNS1_3repE0EEENS1_30default_config_static_selectorELNS0_4arch9wavefront6targetE1EEEvT1_
    .private_segment_fixed_size: 0
    .sgpr_count:     4
    .sgpr_spill_count: 0
    .symbol:         _ZN7rocprim17ROCPRIM_400000_NS6detail17trampoline_kernelINS0_14default_configENS1_29reduce_by_key_config_selectorIxxN6thrust23THRUST_200600_302600_NS4plusIxEEEEZZNS1_33reduce_by_key_impl_wrapped_configILNS1_25lookback_scan_determinismE0ES3_S9_NS6_6detail15normal_iteratorINS6_10device_ptrIxEEEESG_SG_SG_PmS8_22is_equal_div_10_reduceIxEEE10hipError_tPvRmT2_T3_mT4_T5_T6_T7_T8_P12ihipStream_tbENKUlT_T0_E_clISt17integral_constantIbLb0EES10_IbLb1EEEEDaSW_SX_EUlSW_E_NS1_11comp_targetILNS1_3genE10ELNS1_11target_archE1200ELNS1_3gpuE4ELNS1_3repE0EEENS1_30default_config_static_selectorELNS0_4arch9wavefront6targetE1EEEvT1_.kd
    .uniform_work_group_size: 1
    .uses_dynamic_stack: false
    .vgpr_count:     0
    .vgpr_spill_count: 0
    .wavefront_size: 64
  - .agpr_count:     0
    .args:
      - .offset:         0
        .size:           136
        .value_kind:     by_value
    .group_segment_fixed_size: 0
    .kernarg_segment_align: 8
    .kernarg_segment_size: 136
    .language:       OpenCL C
    .language_version:
      - 2
      - 0
    .max_flat_workgroup_size: 256
    .name:           _ZN7rocprim17ROCPRIM_400000_NS6detail17trampoline_kernelINS0_14default_configENS1_29reduce_by_key_config_selectorIxxN6thrust23THRUST_200600_302600_NS4plusIxEEEEZZNS1_33reduce_by_key_impl_wrapped_configILNS1_25lookback_scan_determinismE0ES3_S9_NS6_6detail15normal_iteratorINS6_10device_ptrIxEEEESG_SG_SG_PmS8_22is_equal_div_10_reduceIxEEE10hipError_tPvRmT2_T3_mT4_T5_T6_T7_T8_P12ihipStream_tbENKUlT_T0_E_clISt17integral_constantIbLb0EES10_IbLb1EEEEDaSW_SX_EUlSW_E_NS1_11comp_targetILNS1_3genE9ELNS1_11target_archE1100ELNS1_3gpuE3ELNS1_3repE0EEENS1_30default_config_static_selectorELNS0_4arch9wavefront6targetE1EEEvT1_
    .private_segment_fixed_size: 0
    .sgpr_count:     4
    .sgpr_spill_count: 0
    .symbol:         _ZN7rocprim17ROCPRIM_400000_NS6detail17trampoline_kernelINS0_14default_configENS1_29reduce_by_key_config_selectorIxxN6thrust23THRUST_200600_302600_NS4plusIxEEEEZZNS1_33reduce_by_key_impl_wrapped_configILNS1_25lookback_scan_determinismE0ES3_S9_NS6_6detail15normal_iteratorINS6_10device_ptrIxEEEESG_SG_SG_PmS8_22is_equal_div_10_reduceIxEEE10hipError_tPvRmT2_T3_mT4_T5_T6_T7_T8_P12ihipStream_tbENKUlT_T0_E_clISt17integral_constantIbLb0EES10_IbLb1EEEEDaSW_SX_EUlSW_E_NS1_11comp_targetILNS1_3genE9ELNS1_11target_archE1100ELNS1_3gpuE3ELNS1_3repE0EEENS1_30default_config_static_selectorELNS0_4arch9wavefront6targetE1EEEvT1_.kd
    .uniform_work_group_size: 1
    .uses_dynamic_stack: false
    .vgpr_count:     0
    .vgpr_spill_count: 0
    .wavefront_size: 64
  - .agpr_count:     0
    .args:
      - .offset:         0
        .size:           136
        .value_kind:     by_value
    .group_segment_fixed_size: 0
    .kernarg_segment_align: 8
    .kernarg_segment_size: 136
    .language:       OpenCL C
    .language_version:
      - 2
      - 0
    .max_flat_workgroup_size: 256
    .name:           _ZN7rocprim17ROCPRIM_400000_NS6detail17trampoline_kernelINS0_14default_configENS1_29reduce_by_key_config_selectorIxxN6thrust23THRUST_200600_302600_NS4plusIxEEEEZZNS1_33reduce_by_key_impl_wrapped_configILNS1_25lookback_scan_determinismE0ES3_S9_NS6_6detail15normal_iteratorINS6_10device_ptrIxEEEESG_SG_SG_PmS8_22is_equal_div_10_reduceIxEEE10hipError_tPvRmT2_T3_mT4_T5_T6_T7_T8_P12ihipStream_tbENKUlT_T0_E_clISt17integral_constantIbLb0EES10_IbLb1EEEEDaSW_SX_EUlSW_E_NS1_11comp_targetILNS1_3genE8ELNS1_11target_archE1030ELNS1_3gpuE2ELNS1_3repE0EEENS1_30default_config_static_selectorELNS0_4arch9wavefront6targetE1EEEvT1_
    .private_segment_fixed_size: 0
    .sgpr_count:     4
    .sgpr_spill_count: 0
    .symbol:         _ZN7rocprim17ROCPRIM_400000_NS6detail17trampoline_kernelINS0_14default_configENS1_29reduce_by_key_config_selectorIxxN6thrust23THRUST_200600_302600_NS4plusIxEEEEZZNS1_33reduce_by_key_impl_wrapped_configILNS1_25lookback_scan_determinismE0ES3_S9_NS6_6detail15normal_iteratorINS6_10device_ptrIxEEEESG_SG_SG_PmS8_22is_equal_div_10_reduceIxEEE10hipError_tPvRmT2_T3_mT4_T5_T6_T7_T8_P12ihipStream_tbENKUlT_T0_E_clISt17integral_constantIbLb0EES10_IbLb1EEEEDaSW_SX_EUlSW_E_NS1_11comp_targetILNS1_3genE8ELNS1_11target_archE1030ELNS1_3gpuE2ELNS1_3repE0EEENS1_30default_config_static_selectorELNS0_4arch9wavefront6targetE1EEEvT1_.kd
    .uniform_work_group_size: 1
    .uses_dynamic_stack: false
    .vgpr_count:     0
    .vgpr_spill_count: 0
    .wavefront_size: 64
  - .agpr_count:     0
    .args:
      - .address_space:  global
        .offset:         0
        .size:           8
        .value_kind:     global_buffer
      - .offset:         8
        .size:           4
        .value_kind:     by_value
      - .offset:         12
        .size:           1
        .value_kind:     by_value
      - .offset:         16
        .size:           4
        .value_kind:     by_value
      - .address_space:  global
        .offset:         24
        .size:           8
        .value_kind:     global_buffer
      - .address_space:  global
        .offset:         32
        .size:           8
        .value_kind:     global_buffer
      - .offset:         40
        .size:           1
        .value_kind:     by_value
      - .offset:         48
        .size:           4
        .value_kind:     hidden_block_count_x
      - .offset:         52
        .size:           4
        .value_kind:     hidden_block_count_y
      - .offset:         56
        .size:           4
        .value_kind:     hidden_block_count_z
      - .offset:         60
        .size:           2
        .value_kind:     hidden_group_size_x
      - .offset:         62
        .size:           2
        .value_kind:     hidden_group_size_y
      - .offset:         64
        .size:           2
        .value_kind:     hidden_group_size_z
      - .offset:         66
        .size:           2
        .value_kind:     hidden_remainder_x
      - .offset:         68
        .size:           2
        .value_kind:     hidden_remainder_y
      - .offset:         70
        .size:           2
        .value_kind:     hidden_remainder_z
      - .offset:         88
        .size:           8
        .value_kind:     hidden_global_offset_x
      - .offset:         96
        .size:           8
        .value_kind:     hidden_global_offset_y
      - .offset:         104
        .size:           8
        .value_kind:     hidden_global_offset_z
      - .offset:         112
        .size:           2
        .value_kind:     hidden_grid_dims
    .group_segment_fixed_size: 0
    .kernarg_segment_align: 8
    .kernarg_segment_size: 304
    .language:       OpenCL C
    .language_version:
      - 2
      - 0
    .max_flat_workgroup_size: 256
    .name:           _ZN7rocprim17ROCPRIM_400000_NS6detail25reduce_by_key_init_kernelINS1_19lookback_scan_stateINS0_5tupleIJjiEEELb0ELb1EEEiNS1_16block_id_wrapperIjLb0EEEEEvT_jbjPmPT0_T1_
    .private_segment_fixed_size: 0
    .sgpr_count:     20
    .sgpr_spill_count: 0
    .symbol:         _ZN7rocprim17ROCPRIM_400000_NS6detail25reduce_by_key_init_kernelINS1_19lookback_scan_stateINS0_5tupleIJjiEEELb0ELb1EEEiNS1_16block_id_wrapperIjLb0EEEEEvT_jbjPmPT0_T1_.kd
    .uniform_work_group_size: 1
    .uses_dynamic_stack: false
    .vgpr_count:     10
    .vgpr_spill_count: 0
    .wavefront_size: 64
  - .agpr_count:     0
    .args:
      - .offset:         0
        .size:           120
        .value_kind:     by_value
    .group_segment_fixed_size: 0
    .kernarg_segment_align: 8
    .kernarg_segment_size: 120
    .language:       OpenCL C
    .language_version:
      - 2
      - 0
    .max_flat_workgroup_size: 256
    .name:           _ZN7rocprim17ROCPRIM_400000_NS6detail17trampoline_kernelINS0_14default_configENS1_29reduce_by_key_config_selectorIiiN6thrust23THRUST_200600_302600_NS4plusIiEEEEZZNS1_33reduce_by_key_impl_wrapped_configILNS1_25lookback_scan_determinismE0ES3_S9_NS6_6detail15normal_iteratorINS6_10device_ptrIiEEEESG_SG_SG_PmS8_NS6_8equal_toIiEEEE10hipError_tPvRmT2_T3_mT4_T5_T6_T7_T8_P12ihipStream_tbENKUlT_T0_E_clISt17integral_constantIbLb0EES11_EEDaSW_SX_EUlSW_E_NS1_11comp_targetILNS1_3genE0ELNS1_11target_archE4294967295ELNS1_3gpuE0ELNS1_3repE0EEENS1_30default_config_static_selectorELNS0_4arch9wavefront6targetE1EEEvT1_
    .private_segment_fixed_size: 0
    .sgpr_count:     4
    .sgpr_spill_count: 0
    .symbol:         _ZN7rocprim17ROCPRIM_400000_NS6detail17trampoline_kernelINS0_14default_configENS1_29reduce_by_key_config_selectorIiiN6thrust23THRUST_200600_302600_NS4plusIiEEEEZZNS1_33reduce_by_key_impl_wrapped_configILNS1_25lookback_scan_determinismE0ES3_S9_NS6_6detail15normal_iteratorINS6_10device_ptrIiEEEESG_SG_SG_PmS8_NS6_8equal_toIiEEEE10hipError_tPvRmT2_T3_mT4_T5_T6_T7_T8_P12ihipStream_tbENKUlT_T0_E_clISt17integral_constantIbLb0EES11_EEDaSW_SX_EUlSW_E_NS1_11comp_targetILNS1_3genE0ELNS1_11target_archE4294967295ELNS1_3gpuE0ELNS1_3repE0EEENS1_30default_config_static_selectorELNS0_4arch9wavefront6targetE1EEEvT1_.kd
    .uniform_work_group_size: 1
    .uses_dynamic_stack: false
    .vgpr_count:     0
    .vgpr_spill_count: 0
    .wavefront_size: 64
  - .agpr_count:     0
    .args:
      - .offset:         0
        .size:           120
        .value_kind:     by_value
    .group_segment_fixed_size: 0
    .kernarg_segment_align: 8
    .kernarg_segment_size: 120
    .language:       OpenCL C
    .language_version:
      - 2
      - 0
    .max_flat_workgroup_size: 256
    .name:           _ZN7rocprim17ROCPRIM_400000_NS6detail17trampoline_kernelINS0_14default_configENS1_29reduce_by_key_config_selectorIiiN6thrust23THRUST_200600_302600_NS4plusIiEEEEZZNS1_33reduce_by_key_impl_wrapped_configILNS1_25lookback_scan_determinismE0ES3_S9_NS6_6detail15normal_iteratorINS6_10device_ptrIiEEEESG_SG_SG_PmS8_NS6_8equal_toIiEEEE10hipError_tPvRmT2_T3_mT4_T5_T6_T7_T8_P12ihipStream_tbENKUlT_T0_E_clISt17integral_constantIbLb0EES11_EEDaSW_SX_EUlSW_E_NS1_11comp_targetILNS1_3genE5ELNS1_11target_archE942ELNS1_3gpuE9ELNS1_3repE0EEENS1_30default_config_static_selectorELNS0_4arch9wavefront6targetE1EEEvT1_
    .private_segment_fixed_size: 0
    .sgpr_count:     4
    .sgpr_spill_count: 0
    .symbol:         _ZN7rocprim17ROCPRIM_400000_NS6detail17trampoline_kernelINS0_14default_configENS1_29reduce_by_key_config_selectorIiiN6thrust23THRUST_200600_302600_NS4plusIiEEEEZZNS1_33reduce_by_key_impl_wrapped_configILNS1_25lookback_scan_determinismE0ES3_S9_NS6_6detail15normal_iteratorINS6_10device_ptrIiEEEESG_SG_SG_PmS8_NS6_8equal_toIiEEEE10hipError_tPvRmT2_T3_mT4_T5_T6_T7_T8_P12ihipStream_tbENKUlT_T0_E_clISt17integral_constantIbLb0EES11_EEDaSW_SX_EUlSW_E_NS1_11comp_targetILNS1_3genE5ELNS1_11target_archE942ELNS1_3gpuE9ELNS1_3repE0EEENS1_30default_config_static_selectorELNS0_4arch9wavefront6targetE1EEEvT1_.kd
    .uniform_work_group_size: 1
    .uses_dynamic_stack: false
    .vgpr_count:     0
    .vgpr_spill_count: 0
    .wavefront_size: 64
  - .agpr_count:     0
    .args:
      - .offset:         0
        .size:           120
        .value_kind:     by_value
    .group_segment_fixed_size: 15360
    .kernarg_segment_align: 8
    .kernarg_segment_size: 120
    .language:       OpenCL C
    .language_version:
      - 2
      - 0
    .max_flat_workgroup_size: 256
    .name:           _ZN7rocprim17ROCPRIM_400000_NS6detail17trampoline_kernelINS0_14default_configENS1_29reduce_by_key_config_selectorIiiN6thrust23THRUST_200600_302600_NS4plusIiEEEEZZNS1_33reduce_by_key_impl_wrapped_configILNS1_25lookback_scan_determinismE0ES3_S9_NS6_6detail15normal_iteratorINS6_10device_ptrIiEEEESG_SG_SG_PmS8_NS6_8equal_toIiEEEE10hipError_tPvRmT2_T3_mT4_T5_T6_T7_T8_P12ihipStream_tbENKUlT_T0_E_clISt17integral_constantIbLb0EES11_EEDaSW_SX_EUlSW_E_NS1_11comp_targetILNS1_3genE4ELNS1_11target_archE910ELNS1_3gpuE8ELNS1_3repE0EEENS1_30default_config_static_selectorELNS0_4arch9wavefront6targetE1EEEvT1_
    .private_segment_fixed_size: 0
    .sgpr_count:     68
    .sgpr_spill_count: 0
    .symbol:         _ZN7rocprim17ROCPRIM_400000_NS6detail17trampoline_kernelINS0_14default_configENS1_29reduce_by_key_config_selectorIiiN6thrust23THRUST_200600_302600_NS4plusIiEEEEZZNS1_33reduce_by_key_impl_wrapped_configILNS1_25lookback_scan_determinismE0ES3_S9_NS6_6detail15normal_iteratorINS6_10device_ptrIiEEEESG_SG_SG_PmS8_NS6_8equal_toIiEEEE10hipError_tPvRmT2_T3_mT4_T5_T6_T7_T8_P12ihipStream_tbENKUlT_T0_E_clISt17integral_constantIbLb0EES11_EEDaSW_SX_EUlSW_E_NS1_11comp_targetILNS1_3genE4ELNS1_11target_archE910ELNS1_3gpuE8ELNS1_3repE0EEENS1_30default_config_static_selectorELNS0_4arch9wavefront6targetE1EEEvT1_.kd
    .uniform_work_group_size: 1
    .uses_dynamic_stack: false
    .vgpr_count:     106
    .vgpr_spill_count: 0
    .wavefront_size: 64
  - .agpr_count:     0
    .args:
      - .offset:         0
        .size:           120
        .value_kind:     by_value
    .group_segment_fixed_size: 0
    .kernarg_segment_align: 8
    .kernarg_segment_size: 120
    .language:       OpenCL C
    .language_version:
      - 2
      - 0
    .max_flat_workgroup_size: 256
    .name:           _ZN7rocprim17ROCPRIM_400000_NS6detail17trampoline_kernelINS0_14default_configENS1_29reduce_by_key_config_selectorIiiN6thrust23THRUST_200600_302600_NS4plusIiEEEEZZNS1_33reduce_by_key_impl_wrapped_configILNS1_25lookback_scan_determinismE0ES3_S9_NS6_6detail15normal_iteratorINS6_10device_ptrIiEEEESG_SG_SG_PmS8_NS6_8equal_toIiEEEE10hipError_tPvRmT2_T3_mT4_T5_T6_T7_T8_P12ihipStream_tbENKUlT_T0_E_clISt17integral_constantIbLb0EES11_EEDaSW_SX_EUlSW_E_NS1_11comp_targetILNS1_3genE3ELNS1_11target_archE908ELNS1_3gpuE7ELNS1_3repE0EEENS1_30default_config_static_selectorELNS0_4arch9wavefront6targetE1EEEvT1_
    .private_segment_fixed_size: 0
    .sgpr_count:     4
    .sgpr_spill_count: 0
    .symbol:         _ZN7rocprim17ROCPRIM_400000_NS6detail17trampoline_kernelINS0_14default_configENS1_29reduce_by_key_config_selectorIiiN6thrust23THRUST_200600_302600_NS4plusIiEEEEZZNS1_33reduce_by_key_impl_wrapped_configILNS1_25lookback_scan_determinismE0ES3_S9_NS6_6detail15normal_iteratorINS6_10device_ptrIiEEEESG_SG_SG_PmS8_NS6_8equal_toIiEEEE10hipError_tPvRmT2_T3_mT4_T5_T6_T7_T8_P12ihipStream_tbENKUlT_T0_E_clISt17integral_constantIbLb0EES11_EEDaSW_SX_EUlSW_E_NS1_11comp_targetILNS1_3genE3ELNS1_11target_archE908ELNS1_3gpuE7ELNS1_3repE0EEENS1_30default_config_static_selectorELNS0_4arch9wavefront6targetE1EEEvT1_.kd
    .uniform_work_group_size: 1
    .uses_dynamic_stack: false
    .vgpr_count:     0
    .vgpr_spill_count: 0
    .wavefront_size: 64
  - .agpr_count:     0
    .args:
      - .offset:         0
        .size:           120
        .value_kind:     by_value
    .group_segment_fixed_size: 0
    .kernarg_segment_align: 8
    .kernarg_segment_size: 120
    .language:       OpenCL C
    .language_version:
      - 2
      - 0
    .max_flat_workgroup_size: 256
    .name:           _ZN7rocprim17ROCPRIM_400000_NS6detail17trampoline_kernelINS0_14default_configENS1_29reduce_by_key_config_selectorIiiN6thrust23THRUST_200600_302600_NS4plusIiEEEEZZNS1_33reduce_by_key_impl_wrapped_configILNS1_25lookback_scan_determinismE0ES3_S9_NS6_6detail15normal_iteratorINS6_10device_ptrIiEEEESG_SG_SG_PmS8_NS6_8equal_toIiEEEE10hipError_tPvRmT2_T3_mT4_T5_T6_T7_T8_P12ihipStream_tbENKUlT_T0_E_clISt17integral_constantIbLb0EES11_EEDaSW_SX_EUlSW_E_NS1_11comp_targetILNS1_3genE2ELNS1_11target_archE906ELNS1_3gpuE6ELNS1_3repE0EEENS1_30default_config_static_selectorELNS0_4arch9wavefront6targetE1EEEvT1_
    .private_segment_fixed_size: 0
    .sgpr_count:     4
    .sgpr_spill_count: 0
    .symbol:         _ZN7rocprim17ROCPRIM_400000_NS6detail17trampoline_kernelINS0_14default_configENS1_29reduce_by_key_config_selectorIiiN6thrust23THRUST_200600_302600_NS4plusIiEEEEZZNS1_33reduce_by_key_impl_wrapped_configILNS1_25lookback_scan_determinismE0ES3_S9_NS6_6detail15normal_iteratorINS6_10device_ptrIiEEEESG_SG_SG_PmS8_NS6_8equal_toIiEEEE10hipError_tPvRmT2_T3_mT4_T5_T6_T7_T8_P12ihipStream_tbENKUlT_T0_E_clISt17integral_constantIbLb0EES11_EEDaSW_SX_EUlSW_E_NS1_11comp_targetILNS1_3genE2ELNS1_11target_archE906ELNS1_3gpuE6ELNS1_3repE0EEENS1_30default_config_static_selectorELNS0_4arch9wavefront6targetE1EEEvT1_.kd
    .uniform_work_group_size: 1
    .uses_dynamic_stack: false
    .vgpr_count:     0
    .vgpr_spill_count: 0
    .wavefront_size: 64
  - .agpr_count:     0
    .args:
      - .offset:         0
        .size:           120
        .value_kind:     by_value
    .group_segment_fixed_size: 0
    .kernarg_segment_align: 8
    .kernarg_segment_size: 120
    .language:       OpenCL C
    .language_version:
      - 2
      - 0
    .max_flat_workgroup_size: 256
    .name:           _ZN7rocprim17ROCPRIM_400000_NS6detail17trampoline_kernelINS0_14default_configENS1_29reduce_by_key_config_selectorIiiN6thrust23THRUST_200600_302600_NS4plusIiEEEEZZNS1_33reduce_by_key_impl_wrapped_configILNS1_25lookback_scan_determinismE0ES3_S9_NS6_6detail15normal_iteratorINS6_10device_ptrIiEEEESG_SG_SG_PmS8_NS6_8equal_toIiEEEE10hipError_tPvRmT2_T3_mT4_T5_T6_T7_T8_P12ihipStream_tbENKUlT_T0_E_clISt17integral_constantIbLb0EES11_EEDaSW_SX_EUlSW_E_NS1_11comp_targetILNS1_3genE10ELNS1_11target_archE1201ELNS1_3gpuE5ELNS1_3repE0EEENS1_30default_config_static_selectorELNS0_4arch9wavefront6targetE1EEEvT1_
    .private_segment_fixed_size: 0
    .sgpr_count:     4
    .sgpr_spill_count: 0
    .symbol:         _ZN7rocprim17ROCPRIM_400000_NS6detail17trampoline_kernelINS0_14default_configENS1_29reduce_by_key_config_selectorIiiN6thrust23THRUST_200600_302600_NS4plusIiEEEEZZNS1_33reduce_by_key_impl_wrapped_configILNS1_25lookback_scan_determinismE0ES3_S9_NS6_6detail15normal_iteratorINS6_10device_ptrIiEEEESG_SG_SG_PmS8_NS6_8equal_toIiEEEE10hipError_tPvRmT2_T3_mT4_T5_T6_T7_T8_P12ihipStream_tbENKUlT_T0_E_clISt17integral_constantIbLb0EES11_EEDaSW_SX_EUlSW_E_NS1_11comp_targetILNS1_3genE10ELNS1_11target_archE1201ELNS1_3gpuE5ELNS1_3repE0EEENS1_30default_config_static_selectorELNS0_4arch9wavefront6targetE1EEEvT1_.kd
    .uniform_work_group_size: 1
    .uses_dynamic_stack: false
    .vgpr_count:     0
    .vgpr_spill_count: 0
    .wavefront_size: 64
  - .agpr_count:     0
    .args:
      - .offset:         0
        .size:           120
        .value_kind:     by_value
    .group_segment_fixed_size: 0
    .kernarg_segment_align: 8
    .kernarg_segment_size: 120
    .language:       OpenCL C
    .language_version:
      - 2
      - 0
    .max_flat_workgroup_size: 256
    .name:           _ZN7rocprim17ROCPRIM_400000_NS6detail17trampoline_kernelINS0_14default_configENS1_29reduce_by_key_config_selectorIiiN6thrust23THRUST_200600_302600_NS4plusIiEEEEZZNS1_33reduce_by_key_impl_wrapped_configILNS1_25lookback_scan_determinismE0ES3_S9_NS6_6detail15normal_iteratorINS6_10device_ptrIiEEEESG_SG_SG_PmS8_NS6_8equal_toIiEEEE10hipError_tPvRmT2_T3_mT4_T5_T6_T7_T8_P12ihipStream_tbENKUlT_T0_E_clISt17integral_constantIbLb0EES11_EEDaSW_SX_EUlSW_E_NS1_11comp_targetILNS1_3genE10ELNS1_11target_archE1200ELNS1_3gpuE4ELNS1_3repE0EEENS1_30default_config_static_selectorELNS0_4arch9wavefront6targetE1EEEvT1_
    .private_segment_fixed_size: 0
    .sgpr_count:     4
    .sgpr_spill_count: 0
    .symbol:         _ZN7rocprim17ROCPRIM_400000_NS6detail17trampoline_kernelINS0_14default_configENS1_29reduce_by_key_config_selectorIiiN6thrust23THRUST_200600_302600_NS4plusIiEEEEZZNS1_33reduce_by_key_impl_wrapped_configILNS1_25lookback_scan_determinismE0ES3_S9_NS6_6detail15normal_iteratorINS6_10device_ptrIiEEEESG_SG_SG_PmS8_NS6_8equal_toIiEEEE10hipError_tPvRmT2_T3_mT4_T5_T6_T7_T8_P12ihipStream_tbENKUlT_T0_E_clISt17integral_constantIbLb0EES11_EEDaSW_SX_EUlSW_E_NS1_11comp_targetILNS1_3genE10ELNS1_11target_archE1200ELNS1_3gpuE4ELNS1_3repE0EEENS1_30default_config_static_selectorELNS0_4arch9wavefront6targetE1EEEvT1_.kd
    .uniform_work_group_size: 1
    .uses_dynamic_stack: false
    .vgpr_count:     0
    .vgpr_spill_count: 0
    .wavefront_size: 64
  - .agpr_count:     0
    .args:
      - .offset:         0
        .size:           120
        .value_kind:     by_value
    .group_segment_fixed_size: 0
    .kernarg_segment_align: 8
    .kernarg_segment_size: 120
    .language:       OpenCL C
    .language_version:
      - 2
      - 0
    .max_flat_workgroup_size: 256
    .name:           _ZN7rocprim17ROCPRIM_400000_NS6detail17trampoline_kernelINS0_14default_configENS1_29reduce_by_key_config_selectorIiiN6thrust23THRUST_200600_302600_NS4plusIiEEEEZZNS1_33reduce_by_key_impl_wrapped_configILNS1_25lookback_scan_determinismE0ES3_S9_NS6_6detail15normal_iteratorINS6_10device_ptrIiEEEESG_SG_SG_PmS8_NS6_8equal_toIiEEEE10hipError_tPvRmT2_T3_mT4_T5_T6_T7_T8_P12ihipStream_tbENKUlT_T0_E_clISt17integral_constantIbLb0EES11_EEDaSW_SX_EUlSW_E_NS1_11comp_targetILNS1_3genE9ELNS1_11target_archE1100ELNS1_3gpuE3ELNS1_3repE0EEENS1_30default_config_static_selectorELNS0_4arch9wavefront6targetE1EEEvT1_
    .private_segment_fixed_size: 0
    .sgpr_count:     4
    .sgpr_spill_count: 0
    .symbol:         _ZN7rocprim17ROCPRIM_400000_NS6detail17trampoline_kernelINS0_14default_configENS1_29reduce_by_key_config_selectorIiiN6thrust23THRUST_200600_302600_NS4plusIiEEEEZZNS1_33reduce_by_key_impl_wrapped_configILNS1_25lookback_scan_determinismE0ES3_S9_NS6_6detail15normal_iteratorINS6_10device_ptrIiEEEESG_SG_SG_PmS8_NS6_8equal_toIiEEEE10hipError_tPvRmT2_T3_mT4_T5_T6_T7_T8_P12ihipStream_tbENKUlT_T0_E_clISt17integral_constantIbLb0EES11_EEDaSW_SX_EUlSW_E_NS1_11comp_targetILNS1_3genE9ELNS1_11target_archE1100ELNS1_3gpuE3ELNS1_3repE0EEENS1_30default_config_static_selectorELNS0_4arch9wavefront6targetE1EEEvT1_.kd
    .uniform_work_group_size: 1
    .uses_dynamic_stack: false
    .vgpr_count:     0
    .vgpr_spill_count: 0
    .wavefront_size: 64
  - .agpr_count:     0
    .args:
      - .offset:         0
        .size:           120
        .value_kind:     by_value
    .group_segment_fixed_size: 0
    .kernarg_segment_align: 8
    .kernarg_segment_size: 120
    .language:       OpenCL C
    .language_version:
      - 2
      - 0
    .max_flat_workgroup_size: 256
    .name:           _ZN7rocprim17ROCPRIM_400000_NS6detail17trampoline_kernelINS0_14default_configENS1_29reduce_by_key_config_selectorIiiN6thrust23THRUST_200600_302600_NS4plusIiEEEEZZNS1_33reduce_by_key_impl_wrapped_configILNS1_25lookback_scan_determinismE0ES3_S9_NS6_6detail15normal_iteratorINS6_10device_ptrIiEEEESG_SG_SG_PmS8_NS6_8equal_toIiEEEE10hipError_tPvRmT2_T3_mT4_T5_T6_T7_T8_P12ihipStream_tbENKUlT_T0_E_clISt17integral_constantIbLb0EES11_EEDaSW_SX_EUlSW_E_NS1_11comp_targetILNS1_3genE8ELNS1_11target_archE1030ELNS1_3gpuE2ELNS1_3repE0EEENS1_30default_config_static_selectorELNS0_4arch9wavefront6targetE1EEEvT1_
    .private_segment_fixed_size: 0
    .sgpr_count:     4
    .sgpr_spill_count: 0
    .symbol:         _ZN7rocprim17ROCPRIM_400000_NS6detail17trampoline_kernelINS0_14default_configENS1_29reduce_by_key_config_selectorIiiN6thrust23THRUST_200600_302600_NS4plusIiEEEEZZNS1_33reduce_by_key_impl_wrapped_configILNS1_25lookback_scan_determinismE0ES3_S9_NS6_6detail15normal_iteratorINS6_10device_ptrIiEEEESG_SG_SG_PmS8_NS6_8equal_toIiEEEE10hipError_tPvRmT2_T3_mT4_T5_T6_T7_T8_P12ihipStream_tbENKUlT_T0_E_clISt17integral_constantIbLb0EES11_EEDaSW_SX_EUlSW_E_NS1_11comp_targetILNS1_3genE8ELNS1_11target_archE1030ELNS1_3gpuE2ELNS1_3repE0EEENS1_30default_config_static_selectorELNS0_4arch9wavefront6targetE1EEEvT1_.kd
    .uniform_work_group_size: 1
    .uses_dynamic_stack: false
    .vgpr_count:     0
    .vgpr_spill_count: 0
    .wavefront_size: 64
  - .agpr_count:     0
    .args:
      - .address_space:  global
        .offset:         0
        .size:           8
        .value_kind:     global_buffer
      - .offset:         8
        .size:           4
        .value_kind:     by_value
      - .offset:         12
        .size:           1
        .value_kind:     by_value
      - .offset:         16
        .size:           4
        .value_kind:     by_value
      - .address_space:  global
        .offset:         24
        .size:           8
        .value_kind:     global_buffer
      - .address_space:  global
        .offset:         32
        .size:           8
        .value_kind:     global_buffer
      - .address_space:  global
        .offset:         40
        .size:           8
        .value_kind:     global_buffer
      - .offset:         48
        .size:           4
        .value_kind:     hidden_block_count_x
      - .offset:         52
        .size:           4
        .value_kind:     hidden_block_count_y
      - .offset:         56
        .size:           4
        .value_kind:     hidden_block_count_z
      - .offset:         60
        .size:           2
        .value_kind:     hidden_group_size_x
      - .offset:         62
        .size:           2
        .value_kind:     hidden_group_size_y
      - .offset:         64
        .size:           2
        .value_kind:     hidden_group_size_z
      - .offset:         66
        .size:           2
        .value_kind:     hidden_remainder_x
      - .offset:         68
        .size:           2
        .value_kind:     hidden_remainder_y
      - .offset:         70
        .size:           2
        .value_kind:     hidden_remainder_z
      - .offset:         88
        .size:           8
        .value_kind:     hidden_global_offset_x
      - .offset:         96
        .size:           8
        .value_kind:     hidden_global_offset_y
      - .offset:         104
        .size:           8
        .value_kind:     hidden_global_offset_z
      - .offset:         112
        .size:           2
        .value_kind:     hidden_grid_dims
    .group_segment_fixed_size: 0
    .kernarg_segment_align: 8
    .kernarg_segment_size: 304
    .language:       OpenCL C
    .language_version:
      - 2
      - 0
    .max_flat_workgroup_size: 256
    .name:           _ZN7rocprim17ROCPRIM_400000_NS6detail25reduce_by_key_init_kernelINS1_19lookback_scan_stateINS0_5tupleIJjiEEELb1ELb1EEEiNS1_16block_id_wrapperIjLb1EEEEEvT_jbjPmPT0_T1_
    .private_segment_fixed_size: 0
    .sgpr_count:     22
    .sgpr_spill_count: 0
    .symbol:         _ZN7rocprim17ROCPRIM_400000_NS6detail25reduce_by_key_init_kernelINS1_19lookback_scan_stateINS0_5tupleIJjiEEELb1ELb1EEEiNS1_16block_id_wrapperIjLb1EEEEEvT_jbjPmPT0_T1_.kd
    .uniform_work_group_size: 1
    .uses_dynamic_stack: false
    .vgpr_count:     10
    .vgpr_spill_count: 0
    .wavefront_size: 64
  - .agpr_count:     0
    .args:
      - .offset:         0
        .size:           120
        .value_kind:     by_value
    .group_segment_fixed_size: 0
    .kernarg_segment_align: 8
    .kernarg_segment_size: 120
    .language:       OpenCL C
    .language_version:
      - 2
      - 0
    .max_flat_workgroup_size: 256
    .name:           _ZN7rocprim17ROCPRIM_400000_NS6detail17trampoline_kernelINS0_14default_configENS1_29reduce_by_key_config_selectorIiiN6thrust23THRUST_200600_302600_NS4plusIiEEEEZZNS1_33reduce_by_key_impl_wrapped_configILNS1_25lookback_scan_determinismE0ES3_S9_NS6_6detail15normal_iteratorINS6_10device_ptrIiEEEESG_SG_SG_PmS8_NS6_8equal_toIiEEEE10hipError_tPvRmT2_T3_mT4_T5_T6_T7_T8_P12ihipStream_tbENKUlT_T0_E_clISt17integral_constantIbLb1EES11_EEDaSW_SX_EUlSW_E_NS1_11comp_targetILNS1_3genE0ELNS1_11target_archE4294967295ELNS1_3gpuE0ELNS1_3repE0EEENS1_30default_config_static_selectorELNS0_4arch9wavefront6targetE1EEEvT1_
    .private_segment_fixed_size: 0
    .sgpr_count:     4
    .sgpr_spill_count: 0
    .symbol:         _ZN7rocprim17ROCPRIM_400000_NS6detail17trampoline_kernelINS0_14default_configENS1_29reduce_by_key_config_selectorIiiN6thrust23THRUST_200600_302600_NS4plusIiEEEEZZNS1_33reduce_by_key_impl_wrapped_configILNS1_25lookback_scan_determinismE0ES3_S9_NS6_6detail15normal_iteratorINS6_10device_ptrIiEEEESG_SG_SG_PmS8_NS6_8equal_toIiEEEE10hipError_tPvRmT2_T3_mT4_T5_T6_T7_T8_P12ihipStream_tbENKUlT_T0_E_clISt17integral_constantIbLb1EES11_EEDaSW_SX_EUlSW_E_NS1_11comp_targetILNS1_3genE0ELNS1_11target_archE4294967295ELNS1_3gpuE0ELNS1_3repE0EEENS1_30default_config_static_selectorELNS0_4arch9wavefront6targetE1EEEvT1_.kd
    .uniform_work_group_size: 1
    .uses_dynamic_stack: false
    .vgpr_count:     0
    .vgpr_spill_count: 0
    .wavefront_size: 64
  - .agpr_count:     0
    .args:
      - .offset:         0
        .size:           120
        .value_kind:     by_value
    .group_segment_fixed_size: 0
    .kernarg_segment_align: 8
    .kernarg_segment_size: 120
    .language:       OpenCL C
    .language_version:
      - 2
      - 0
    .max_flat_workgroup_size: 256
    .name:           _ZN7rocprim17ROCPRIM_400000_NS6detail17trampoline_kernelINS0_14default_configENS1_29reduce_by_key_config_selectorIiiN6thrust23THRUST_200600_302600_NS4plusIiEEEEZZNS1_33reduce_by_key_impl_wrapped_configILNS1_25lookback_scan_determinismE0ES3_S9_NS6_6detail15normal_iteratorINS6_10device_ptrIiEEEESG_SG_SG_PmS8_NS6_8equal_toIiEEEE10hipError_tPvRmT2_T3_mT4_T5_T6_T7_T8_P12ihipStream_tbENKUlT_T0_E_clISt17integral_constantIbLb1EES11_EEDaSW_SX_EUlSW_E_NS1_11comp_targetILNS1_3genE5ELNS1_11target_archE942ELNS1_3gpuE9ELNS1_3repE0EEENS1_30default_config_static_selectorELNS0_4arch9wavefront6targetE1EEEvT1_
    .private_segment_fixed_size: 0
    .sgpr_count:     4
    .sgpr_spill_count: 0
    .symbol:         _ZN7rocprim17ROCPRIM_400000_NS6detail17trampoline_kernelINS0_14default_configENS1_29reduce_by_key_config_selectorIiiN6thrust23THRUST_200600_302600_NS4plusIiEEEEZZNS1_33reduce_by_key_impl_wrapped_configILNS1_25lookback_scan_determinismE0ES3_S9_NS6_6detail15normal_iteratorINS6_10device_ptrIiEEEESG_SG_SG_PmS8_NS6_8equal_toIiEEEE10hipError_tPvRmT2_T3_mT4_T5_T6_T7_T8_P12ihipStream_tbENKUlT_T0_E_clISt17integral_constantIbLb1EES11_EEDaSW_SX_EUlSW_E_NS1_11comp_targetILNS1_3genE5ELNS1_11target_archE942ELNS1_3gpuE9ELNS1_3repE0EEENS1_30default_config_static_selectorELNS0_4arch9wavefront6targetE1EEEvT1_.kd
    .uniform_work_group_size: 1
    .uses_dynamic_stack: false
    .vgpr_count:     0
    .vgpr_spill_count: 0
    .wavefront_size: 64
  - .agpr_count:     0
    .args:
      - .offset:         0
        .size:           120
        .value_kind:     by_value
    .group_segment_fixed_size: 15360
    .kernarg_segment_align: 8
    .kernarg_segment_size: 120
    .language:       OpenCL C
    .language_version:
      - 2
      - 0
    .max_flat_workgroup_size: 256
    .name:           _ZN7rocprim17ROCPRIM_400000_NS6detail17trampoline_kernelINS0_14default_configENS1_29reduce_by_key_config_selectorIiiN6thrust23THRUST_200600_302600_NS4plusIiEEEEZZNS1_33reduce_by_key_impl_wrapped_configILNS1_25lookback_scan_determinismE0ES3_S9_NS6_6detail15normal_iteratorINS6_10device_ptrIiEEEESG_SG_SG_PmS8_NS6_8equal_toIiEEEE10hipError_tPvRmT2_T3_mT4_T5_T6_T7_T8_P12ihipStream_tbENKUlT_T0_E_clISt17integral_constantIbLb1EES11_EEDaSW_SX_EUlSW_E_NS1_11comp_targetILNS1_3genE4ELNS1_11target_archE910ELNS1_3gpuE8ELNS1_3repE0EEENS1_30default_config_static_selectorELNS0_4arch9wavefront6targetE1EEEvT1_
    .private_segment_fixed_size: 0
    .sgpr_count:     70
    .sgpr_spill_count: 0
    .symbol:         _ZN7rocprim17ROCPRIM_400000_NS6detail17trampoline_kernelINS0_14default_configENS1_29reduce_by_key_config_selectorIiiN6thrust23THRUST_200600_302600_NS4plusIiEEEEZZNS1_33reduce_by_key_impl_wrapped_configILNS1_25lookback_scan_determinismE0ES3_S9_NS6_6detail15normal_iteratorINS6_10device_ptrIiEEEESG_SG_SG_PmS8_NS6_8equal_toIiEEEE10hipError_tPvRmT2_T3_mT4_T5_T6_T7_T8_P12ihipStream_tbENKUlT_T0_E_clISt17integral_constantIbLb1EES11_EEDaSW_SX_EUlSW_E_NS1_11comp_targetILNS1_3genE4ELNS1_11target_archE910ELNS1_3gpuE8ELNS1_3repE0EEENS1_30default_config_static_selectorELNS0_4arch9wavefront6targetE1EEEvT1_.kd
    .uniform_work_group_size: 1
    .uses_dynamic_stack: false
    .vgpr_count:     106
    .vgpr_spill_count: 0
    .wavefront_size: 64
  - .agpr_count:     0
    .args:
      - .offset:         0
        .size:           120
        .value_kind:     by_value
    .group_segment_fixed_size: 0
    .kernarg_segment_align: 8
    .kernarg_segment_size: 120
    .language:       OpenCL C
    .language_version:
      - 2
      - 0
    .max_flat_workgroup_size: 256
    .name:           _ZN7rocprim17ROCPRIM_400000_NS6detail17trampoline_kernelINS0_14default_configENS1_29reduce_by_key_config_selectorIiiN6thrust23THRUST_200600_302600_NS4plusIiEEEEZZNS1_33reduce_by_key_impl_wrapped_configILNS1_25lookback_scan_determinismE0ES3_S9_NS6_6detail15normal_iteratorINS6_10device_ptrIiEEEESG_SG_SG_PmS8_NS6_8equal_toIiEEEE10hipError_tPvRmT2_T3_mT4_T5_T6_T7_T8_P12ihipStream_tbENKUlT_T0_E_clISt17integral_constantIbLb1EES11_EEDaSW_SX_EUlSW_E_NS1_11comp_targetILNS1_3genE3ELNS1_11target_archE908ELNS1_3gpuE7ELNS1_3repE0EEENS1_30default_config_static_selectorELNS0_4arch9wavefront6targetE1EEEvT1_
    .private_segment_fixed_size: 0
    .sgpr_count:     4
    .sgpr_spill_count: 0
    .symbol:         _ZN7rocprim17ROCPRIM_400000_NS6detail17trampoline_kernelINS0_14default_configENS1_29reduce_by_key_config_selectorIiiN6thrust23THRUST_200600_302600_NS4plusIiEEEEZZNS1_33reduce_by_key_impl_wrapped_configILNS1_25lookback_scan_determinismE0ES3_S9_NS6_6detail15normal_iteratorINS6_10device_ptrIiEEEESG_SG_SG_PmS8_NS6_8equal_toIiEEEE10hipError_tPvRmT2_T3_mT4_T5_T6_T7_T8_P12ihipStream_tbENKUlT_T0_E_clISt17integral_constantIbLb1EES11_EEDaSW_SX_EUlSW_E_NS1_11comp_targetILNS1_3genE3ELNS1_11target_archE908ELNS1_3gpuE7ELNS1_3repE0EEENS1_30default_config_static_selectorELNS0_4arch9wavefront6targetE1EEEvT1_.kd
    .uniform_work_group_size: 1
    .uses_dynamic_stack: false
    .vgpr_count:     0
    .vgpr_spill_count: 0
    .wavefront_size: 64
  - .agpr_count:     0
    .args:
      - .offset:         0
        .size:           120
        .value_kind:     by_value
    .group_segment_fixed_size: 0
    .kernarg_segment_align: 8
    .kernarg_segment_size: 120
    .language:       OpenCL C
    .language_version:
      - 2
      - 0
    .max_flat_workgroup_size: 256
    .name:           _ZN7rocprim17ROCPRIM_400000_NS6detail17trampoline_kernelINS0_14default_configENS1_29reduce_by_key_config_selectorIiiN6thrust23THRUST_200600_302600_NS4plusIiEEEEZZNS1_33reduce_by_key_impl_wrapped_configILNS1_25lookback_scan_determinismE0ES3_S9_NS6_6detail15normal_iteratorINS6_10device_ptrIiEEEESG_SG_SG_PmS8_NS6_8equal_toIiEEEE10hipError_tPvRmT2_T3_mT4_T5_T6_T7_T8_P12ihipStream_tbENKUlT_T0_E_clISt17integral_constantIbLb1EES11_EEDaSW_SX_EUlSW_E_NS1_11comp_targetILNS1_3genE2ELNS1_11target_archE906ELNS1_3gpuE6ELNS1_3repE0EEENS1_30default_config_static_selectorELNS0_4arch9wavefront6targetE1EEEvT1_
    .private_segment_fixed_size: 0
    .sgpr_count:     4
    .sgpr_spill_count: 0
    .symbol:         _ZN7rocprim17ROCPRIM_400000_NS6detail17trampoline_kernelINS0_14default_configENS1_29reduce_by_key_config_selectorIiiN6thrust23THRUST_200600_302600_NS4plusIiEEEEZZNS1_33reduce_by_key_impl_wrapped_configILNS1_25lookback_scan_determinismE0ES3_S9_NS6_6detail15normal_iteratorINS6_10device_ptrIiEEEESG_SG_SG_PmS8_NS6_8equal_toIiEEEE10hipError_tPvRmT2_T3_mT4_T5_T6_T7_T8_P12ihipStream_tbENKUlT_T0_E_clISt17integral_constantIbLb1EES11_EEDaSW_SX_EUlSW_E_NS1_11comp_targetILNS1_3genE2ELNS1_11target_archE906ELNS1_3gpuE6ELNS1_3repE0EEENS1_30default_config_static_selectorELNS0_4arch9wavefront6targetE1EEEvT1_.kd
    .uniform_work_group_size: 1
    .uses_dynamic_stack: false
    .vgpr_count:     0
    .vgpr_spill_count: 0
    .wavefront_size: 64
  - .agpr_count:     0
    .args:
      - .offset:         0
        .size:           120
        .value_kind:     by_value
    .group_segment_fixed_size: 0
    .kernarg_segment_align: 8
    .kernarg_segment_size: 120
    .language:       OpenCL C
    .language_version:
      - 2
      - 0
    .max_flat_workgroup_size: 256
    .name:           _ZN7rocprim17ROCPRIM_400000_NS6detail17trampoline_kernelINS0_14default_configENS1_29reduce_by_key_config_selectorIiiN6thrust23THRUST_200600_302600_NS4plusIiEEEEZZNS1_33reduce_by_key_impl_wrapped_configILNS1_25lookback_scan_determinismE0ES3_S9_NS6_6detail15normal_iteratorINS6_10device_ptrIiEEEESG_SG_SG_PmS8_NS6_8equal_toIiEEEE10hipError_tPvRmT2_T3_mT4_T5_T6_T7_T8_P12ihipStream_tbENKUlT_T0_E_clISt17integral_constantIbLb1EES11_EEDaSW_SX_EUlSW_E_NS1_11comp_targetILNS1_3genE10ELNS1_11target_archE1201ELNS1_3gpuE5ELNS1_3repE0EEENS1_30default_config_static_selectorELNS0_4arch9wavefront6targetE1EEEvT1_
    .private_segment_fixed_size: 0
    .sgpr_count:     4
    .sgpr_spill_count: 0
    .symbol:         _ZN7rocprim17ROCPRIM_400000_NS6detail17trampoline_kernelINS0_14default_configENS1_29reduce_by_key_config_selectorIiiN6thrust23THRUST_200600_302600_NS4plusIiEEEEZZNS1_33reduce_by_key_impl_wrapped_configILNS1_25lookback_scan_determinismE0ES3_S9_NS6_6detail15normal_iteratorINS6_10device_ptrIiEEEESG_SG_SG_PmS8_NS6_8equal_toIiEEEE10hipError_tPvRmT2_T3_mT4_T5_T6_T7_T8_P12ihipStream_tbENKUlT_T0_E_clISt17integral_constantIbLb1EES11_EEDaSW_SX_EUlSW_E_NS1_11comp_targetILNS1_3genE10ELNS1_11target_archE1201ELNS1_3gpuE5ELNS1_3repE0EEENS1_30default_config_static_selectorELNS0_4arch9wavefront6targetE1EEEvT1_.kd
    .uniform_work_group_size: 1
    .uses_dynamic_stack: false
    .vgpr_count:     0
    .vgpr_spill_count: 0
    .wavefront_size: 64
  - .agpr_count:     0
    .args:
      - .offset:         0
        .size:           120
        .value_kind:     by_value
    .group_segment_fixed_size: 0
    .kernarg_segment_align: 8
    .kernarg_segment_size: 120
    .language:       OpenCL C
    .language_version:
      - 2
      - 0
    .max_flat_workgroup_size: 256
    .name:           _ZN7rocprim17ROCPRIM_400000_NS6detail17trampoline_kernelINS0_14default_configENS1_29reduce_by_key_config_selectorIiiN6thrust23THRUST_200600_302600_NS4plusIiEEEEZZNS1_33reduce_by_key_impl_wrapped_configILNS1_25lookback_scan_determinismE0ES3_S9_NS6_6detail15normal_iteratorINS6_10device_ptrIiEEEESG_SG_SG_PmS8_NS6_8equal_toIiEEEE10hipError_tPvRmT2_T3_mT4_T5_T6_T7_T8_P12ihipStream_tbENKUlT_T0_E_clISt17integral_constantIbLb1EES11_EEDaSW_SX_EUlSW_E_NS1_11comp_targetILNS1_3genE10ELNS1_11target_archE1200ELNS1_3gpuE4ELNS1_3repE0EEENS1_30default_config_static_selectorELNS0_4arch9wavefront6targetE1EEEvT1_
    .private_segment_fixed_size: 0
    .sgpr_count:     4
    .sgpr_spill_count: 0
    .symbol:         _ZN7rocprim17ROCPRIM_400000_NS6detail17trampoline_kernelINS0_14default_configENS1_29reduce_by_key_config_selectorIiiN6thrust23THRUST_200600_302600_NS4plusIiEEEEZZNS1_33reduce_by_key_impl_wrapped_configILNS1_25lookback_scan_determinismE0ES3_S9_NS6_6detail15normal_iteratorINS6_10device_ptrIiEEEESG_SG_SG_PmS8_NS6_8equal_toIiEEEE10hipError_tPvRmT2_T3_mT4_T5_T6_T7_T8_P12ihipStream_tbENKUlT_T0_E_clISt17integral_constantIbLb1EES11_EEDaSW_SX_EUlSW_E_NS1_11comp_targetILNS1_3genE10ELNS1_11target_archE1200ELNS1_3gpuE4ELNS1_3repE0EEENS1_30default_config_static_selectorELNS0_4arch9wavefront6targetE1EEEvT1_.kd
    .uniform_work_group_size: 1
    .uses_dynamic_stack: false
    .vgpr_count:     0
    .vgpr_spill_count: 0
    .wavefront_size: 64
  - .agpr_count:     0
    .args:
      - .offset:         0
        .size:           120
        .value_kind:     by_value
    .group_segment_fixed_size: 0
    .kernarg_segment_align: 8
    .kernarg_segment_size: 120
    .language:       OpenCL C
    .language_version:
      - 2
      - 0
    .max_flat_workgroup_size: 256
    .name:           _ZN7rocprim17ROCPRIM_400000_NS6detail17trampoline_kernelINS0_14default_configENS1_29reduce_by_key_config_selectorIiiN6thrust23THRUST_200600_302600_NS4plusIiEEEEZZNS1_33reduce_by_key_impl_wrapped_configILNS1_25lookback_scan_determinismE0ES3_S9_NS6_6detail15normal_iteratorINS6_10device_ptrIiEEEESG_SG_SG_PmS8_NS6_8equal_toIiEEEE10hipError_tPvRmT2_T3_mT4_T5_T6_T7_T8_P12ihipStream_tbENKUlT_T0_E_clISt17integral_constantIbLb1EES11_EEDaSW_SX_EUlSW_E_NS1_11comp_targetILNS1_3genE9ELNS1_11target_archE1100ELNS1_3gpuE3ELNS1_3repE0EEENS1_30default_config_static_selectorELNS0_4arch9wavefront6targetE1EEEvT1_
    .private_segment_fixed_size: 0
    .sgpr_count:     4
    .sgpr_spill_count: 0
    .symbol:         _ZN7rocprim17ROCPRIM_400000_NS6detail17trampoline_kernelINS0_14default_configENS1_29reduce_by_key_config_selectorIiiN6thrust23THRUST_200600_302600_NS4plusIiEEEEZZNS1_33reduce_by_key_impl_wrapped_configILNS1_25lookback_scan_determinismE0ES3_S9_NS6_6detail15normal_iteratorINS6_10device_ptrIiEEEESG_SG_SG_PmS8_NS6_8equal_toIiEEEE10hipError_tPvRmT2_T3_mT4_T5_T6_T7_T8_P12ihipStream_tbENKUlT_T0_E_clISt17integral_constantIbLb1EES11_EEDaSW_SX_EUlSW_E_NS1_11comp_targetILNS1_3genE9ELNS1_11target_archE1100ELNS1_3gpuE3ELNS1_3repE0EEENS1_30default_config_static_selectorELNS0_4arch9wavefront6targetE1EEEvT1_.kd
    .uniform_work_group_size: 1
    .uses_dynamic_stack: false
    .vgpr_count:     0
    .vgpr_spill_count: 0
    .wavefront_size: 64
  - .agpr_count:     0
    .args:
      - .offset:         0
        .size:           120
        .value_kind:     by_value
    .group_segment_fixed_size: 0
    .kernarg_segment_align: 8
    .kernarg_segment_size: 120
    .language:       OpenCL C
    .language_version:
      - 2
      - 0
    .max_flat_workgroup_size: 256
    .name:           _ZN7rocprim17ROCPRIM_400000_NS6detail17trampoline_kernelINS0_14default_configENS1_29reduce_by_key_config_selectorIiiN6thrust23THRUST_200600_302600_NS4plusIiEEEEZZNS1_33reduce_by_key_impl_wrapped_configILNS1_25lookback_scan_determinismE0ES3_S9_NS6_6detail15normal_iteratorINS6_10device_ptrIiEEEESG_SG_SG_PmS8_NS6_8equal_toIiEEEE10hipError_tPvRmT2_T3_mT4_T5_T6_T7_T8_P12ihipStream_tbENKUlT_T0_E_clISt17integral_constantIbLb1EES11_EEDaSW_SX_EUlSW_E_NS1_11comp_targetILNS1_3genE8ELNS1_11target_archE1030ELNS1_3gpuE2ELNS1_3repE0EEENS1_30default_config_static_selectorELNS0_4arch9wavefront6targetE1EEEvT1_
    .private_segment_fixed_size: 0
    .sgpr_count:     4
    .sgpr_spill_count: 0
    .symbol:         _ZN7rocprim17ROCPRIM_400000_NS6detail17trampoline_kernelINS0_14default_configENS1_29reduce_by_key_config_selectorIiiN6thrust23THRUST_200600_302600_NS4plusIiEEEEZZNS1_33reduce_by_key_impl_wrapped_configILNS1_25lookback_scan_determinismE0ES3_S9_NS6_6detail15normal_iteratorINS6_10device_ptrIiEEEESG_SG_SG_PmS8_NS6_8equal_toIiEEEE10hipError_tPvRmT2_T3_mT4_T5_T6_T7_T8_P12ihipStream_tbENKUlT_T0_E_clISt17integral_constantIbLb1EES11_EEDaSW_SX_EUlSW_E_NS1_11comp_targetILNS1_3genE8ELNS1_11target_archE1030ELNS1_3gpuE2ELNS1_3repE0EEENS1_30default_config_static_selectorELNS0_4arch9wavefront6targetE1EEEvT1_.kd
    .uniform_work_group_size: 1
    .uses_dynamic_stack: false
    .vgpr_count:     0
    .vgpr_spill_count: 0
    .wavefront_size: 64
  - .agpr_count:     0
    .args:
      - .address_space:  global
        .offset:         0
        .size:           8
        .value_kind:     global_buffer
      - .offset:         8
        .size:           4
        .value_kind:     by_value
      - .offset:         12
        .size:           1
        .value_kind:     by_value
      - .offset:         16
        .size:           4
        .value_kind:     by_value
      - .address_space:  global
        .offset:         24
        .size:           8
        .value_kind:     global_buffer
      - .address_space:  global
        .offset:         32
        .size:           8
        .value_kind:     global_buffer
      - .offset:         40
        .size:           1
        .value_kind:     by_value
      - .offset:         48
        .size:           4
        .value_kind:     hidden_block_count_x
      - .offset:         52
        .size:           4
        .value_kind:     hidden_block_count_y
      - .offset:         56
        .size:           4
        .value_kind:     hidden_block_count_z
      - .offset:         60
        .size:           2
        .value_kind:     hidden_group_size_x
      - .offset:         62
        .size:           2
        .value_kind:     hidden_group_size_y
      - .offset:         64
        .size:           2
        .value_kind:     hidden_group_size_z
      - .offset:         66
        .size:           2
        .value_kind:     hidden_remainder_x
      - .offset:         68
        .size:           2
        .value_kind:     hidden_remainder_y
      - .offset:         70
        .size:           2
        .value_kind:     hidden_remainder_z
      - .offset:         88
        .size:           8
        .value_kind:     hidden_global_offset_x
      - .offset:         96
        .size:           8
        .value_kind:     hidden_global_offset_y
      - .offset:         104
        .size:           8
        .value_kind:     hidden_global_offset_z
      - .offset:         112
        .size:           2
        .value_kind:     hidden_grid_dims
    .group_segment_fixed_size: 0
    .kernarg_segment_align: 8
    .kernarg_segment_size: 304
    .language:       OpenCL C
    .language_version:
      - 2
      - 0
    .max_flat_workgroup_size: 256
    .name:           _ZN7rocprim17ROCPRIM_400000_NS6detail25reduce_by_key_init_kernelINS1_19lookback_scan_stateINS0_5tupleIJjiEEELb1ELb1EEEiNS1_16block_id_wrapperIjLb0EEEEEvT_jbjPmPT0_T1_
    .private_segment_fixed_size: 0
    .sgpr_count:     20
    .sgpr_spill_count: 0
    .symbol:         _ZN7rocprim17ROCPRIM_400000_NS6detail25reduce_by_key_init_kernelINS1_19lookback_scan_stateINS0_5tupleIJjiEEELb1ELb1EEEiNS1_16block_id_wrapperIjLb0EEEEEvT_jbjPmPT0_T1_.kd
    .uniform_work_group_size: 1
    .uses_dynamic_stack: false
    .vgpr_count:     10
    .vgpr_spill_count: 0
    .wavefront_size: 64
  - .agpr_count:     0
    .args:
      - .offset:         0
        .size:           120
        .value_kind:     by_value
    .group_segment_fixed_size: 0
    .kernarg_segment_align: 8
    .kernarg_segment_size: 120
    .language:       OpenCL C
    .language_version:
      - 2
      - 0
    .max_flat_workgroup_size: 256
    .name:           _ZN7rocprim17ROCPRIM_400000_NS6detail17trampoline_kernelINS0_14default_configENS1_29reduce_by_key_config_selectorIiiN6thrust23THRUST_200600_302600_NS4plusIiEEEEZZNS1_33reduce_by_key_impl_wrapped_configILNS1_25lookback_scan_determinismE0ES3_S9_NS6_6detail15normal_iteratorINS6_10device_ptrIiEEEESG_SG_SG_PmS8_NS6_8equal_toIiEEEE10hipError_tPvRmT2_T3_mT4_T5_T6_T7_T8_P12ihipStream_tbENKUlT_T0_E_clISt17integral_constantIbLb1EES10_IbLb0EEEEDaSW_SX_EUlSW_E_NS1_11comp_targetILNS1_3genE0ELNS1_11target_archE4294967295ELNS1_3gpuE0ELNS1_3repE0EEENS1_30default_config_static_selectorELNS0_4arch9wavefront6targetE1EEEvT1_
    .private_segment_fixed_size: 0
    .sgpr_count:     4
    .sgpr_spill_count: 0
    .symbol:         _ZN7rocprim17ROCPRIM_400000_NS6detail17trampoline_kernelINS0_14default_configENS1_29reduce_by_key_config_selectorIiiN6thrust23THRUST_200600_302600_NS4plusIiEEEEZZNS1_33reduce_by_key_impl_wrapped_configILNS1_25lookback_scan_determinismE0ES3_S9_NS6_6detail15normal_iteratorINS6_10device_ptrIiEEEESG_SG_SG_PmS8_NS6_8equal_toIiEEEE10hipError_tPvRmT2_T3_mT4_T5_T6_T7_T8_P12ihipStream_tbENKUlT_T0_E_clISt17integral_constantIbLb1EES10_IbLb0EEEEDaSW_SX_EUlSW_E_NS1_11comp_targetILNS1_3genE0ELNS1_11target_archE4294967295ELNS1_3gpuE0ELNS1_3repE0EEENS1_30default_config_static_selectorELNS0_4arch9wavefront6targetE1EEEvT1_.kd
    .uniform_work_group_size: 1
    .uses_dynamic_stack: false
    .vgpr_count:     0
    .vgpr_spill_count: 0
    .wavefront_size: 64
  - .agpr_count:     0
    .args:
      - .offset:         0
        .size:           120
        .value_kind:     by_value
    .group_segment_fixed_size: 0
    .kernarg_segment_align: 8
    .kernarg_segment_size: 120
    .language:       OpenCL C
    .language_version:
      - 2
      - 0
    .max_flat_workgroup_size: 256
    .name:           _ZN7rocprim17ROCPRIM_400000_NS6detail17trampoline_kernelINS0_14default_configENS1_29reduce_by_key_config_selectorIiiN6thrust23THRUST_200600_302600_NS4plusIiEEEEZZNS1_33reduce_by_key_impl_wrapped_configILNS1_25lookback_scan_determinismE0ES3_S9_NS6_6detail15normal_iteratorINS6_10device_ptrIiEEEESG_SG_SG_PmS8_NS6_8equal_toIiEEEE10hipError_tPvRmT2_T3_mT4_T5_T6_T7_T8_P12ihipStream_tbENKUlT_T0_E_clISt17integral_constantIbLb1EES10_IbLb0EEEEDaSW_SX_EUlSW_E_NS1_11comp_targetILNS1_3genE5ELNS1_11target_archE942ELNS1_3gpuE9ELNS1_3repE0EEENS1_30default_config_static_selectorELNS0_4arch9wavefront6targetE1EEEvT1_
    .private_segment_fixed_size: 0
    .sgpr_count:     4
    .sgpr_spill_count: 0
    .symbol:         _ZN7rocprim17ROCPRIM_400000_NS6detail17trampoline_kernelINS0_14default_configENS1_29reduce_by_key_config_selectorIiiN6thrust23THRUST_200600_302600_NS4plusIiEEEEZZNS1_33reduce_by_key_impl_wrapped_configILNS1_25lookback_scan_determinismE0ES3_S9_NS6_6detail15normal_iteratorINS6_10device_ptrIiEEEESG_SG_SG_PmS8_NS6_8equal_toIiEEEE10hipError_tPvRmT2_T3_mT4_T5_T6_T7_T8_P12ihipStream_tbENKUlT_T0_E_clISt17integral_constantIbLb1EES10_IbLb0EEEEDaSW_SX_EUlSW_E_NS1_11comp_targetILNS1_3genE5ELNS1_11target_archE942ELNS1_3gpuE9ELNS1_3repE0EEENS1_30default_config_static_selectorELNS0_4arch9wavefront6targetE1EEEvT1_.kd
    .uniform_work_group_size: 1
    .uses_dynamic_stack: false
    .vgpr_count:     0
    .vgpr_spill_count: 0
    .wavefront_size: 64
  - .agpr_count:     0
    .args:
      - .offset:         0
        .size:           120
        .value_kind:     by_value
    .group_segment_fixed_size: 15360
    .kernarg_segment_align: 8
    .kernarg_segment_size: 120
    .language:       OpenCL C
    .language_version:
      - 2
      - 0
    .max_flat_workgroup_size: 256
    .name:           _ZN7rocprim17ROCPRIM_400000_NS6detail17trampoline_kernelINS0_14default_configENS1_29reduce_by_key_config_selectorIiiN6thrust23THRUST_200600_302600_NS4plusIiEEEEZZNS1_33reduce_by_key_impl_wrapped_configILNS1_25lookback_scan_determinismE0ES3_S9_NS6_6detail15normal_iteratorINS6_10device_ptrIiEEEESG_SG_SG_PmS8_NS6_8equal_toIiEEEE10hipError_tPvRmT2_T3_mT4_T5_T6_T7_T8_P12ihipStream_tbENKUlT_T0_E_clISt17integral_constantIbLb1EES10_IbLb0EEEEDaSW_SX_EUlSW_E_NS1_11comp_targetILNS1_3genE4ELNS1_11target_archE910ELNS1_3gpuE8ELNS1_3repE0EEENS1_30default_config_static_selectorELNS0_4arch9wavefront6targetE1EEEvT1_
    .private_segment_fixed_size: 0
    .sgpr_count:     68
    .sgpr_spill_count: 0
    .symbol:         _ZN7rocprim17ROCPRIM_400000_NS6detail17trampoline_kernelINS0_14default_configENS1_29reduce_by_key_config_selectorIiiN6thrust23THRUST_200600_302600_NS4plusIiEEEEZZNS1_33reduce_by_key_impl_wrapped_configILNS1_25lookback_scan_determinismE0ES3_S9_NS6_6detail15normal_iteratorINS6_10device_ptrIiEEEESG_SG_SG_PmS8_NS6_8equal_toIiEEEE10hipError_tPvRmT2_T3_mT4_T5_T6_T7_T8_P12ihipStream_tbENKUlT_T0_E_clISt17integral_constantIbLb1EES10_IbLb0EEEEDaSW_SX_EUlSW_E_NS1_11comp_targetILNS1_3genE4ELNS1_11target_archE910ELNS1_3gpuE8ELNS1_3repE0EEENS1_30default_config_static_selectorELNS0_4arch9wavefront6targetE1EEEvT1_.kd
    .uniform_work_group_size: 1
    .uses_dynamic_stack: false
    .vgpr_count:     106
    .vgpr_spill_count: 0
    .wavefront_size: 64
  - .agpr_count:     0
    .args:
      - .offset:         0
        .size:           120
        .value_kind:     by_value
    .group_segment_fixed_size: 0
    .kernarg_segment_align: 8
    .kernarg_segment_size: 120
    .language:       OpenCL C
    .language_version:
      - 2
      - 0
    .max_flat_workgroup_size: 256
    .name:           _ZN7rocprim17ROCPRIM_400000_NS6detail17trampoline_kernelINS0_14default_configENS1_29reduce_by_key_config_selectorIiiN6thrust23THRUST_200600_302600_NS4plusIiEEEEZZNS1_33reduce_by_key_impl_wrapped_configILNS1_25lookback_scan_determinismE0ES3_S9_NS6_6detail15normal_iteratorINS6_10device_ptrIiEEEESG_SG_SG_PmS8_NS6_8equal_toIiEEEE10hipError_tPvRmT2_T3_mT4_T5_T6_T7_T8_P12ihipStream_tbENKUlT_T0_E_clISt17integral_constantIbLb1EES10_IbLb0EEEEDaSW_SX_EUlSW_E_NS1_11comp_targetILNS1_3genE3ELNS1_11target_archE908ELNS1_3gpuE7ELNS1_3repE0EEENS1_30default_config_static_selectorELNS0_4arch9wavefront6targetE1EEEvT1_
    .private_segment_fixed_size: 0
    .sgpr_count:     4
    .sgpr_spill_count: 0
    .symbol:         _ZN7rocprim17ROCPRIM_400000_NS6detail17trampoline_kernelINS0_14default_configENS1_29reduce_by_key_config_selectorIiiN6thrust23THRUST_200600_302600_NS4plusIiEEEEZZNS1_33reduce_by_key_impl_wrapped_configILNS1_25lookback_scan_determinismE0ES3_S9_NS6_6detail15normal_iteratorINS6_10device_ptrIiEEEESG_SG_SG_PmS8_NS6_8equal_toIiEEEE10hipError_tPvRmT2_T3_mT4_T5_T6_T7_T8_P12ihipStream_tbENKUlT_T0_E_clISt17integral_constantIbLb1EES10_IbLb0EEEEDaSW_SX_EUlSW_E_NS1_11comp_targetILNS1_3genE3ELNS1_11target_archE908ELNS1_3gpuE7ELNS1_3repE0EEENS1_30default_config_static_selectorELNS0_4arch9wavefront6targetE1EEEvT1_.kd
    .uniform_work_group_size: 1
    .uses_dynamic_stack: false
    .vgpr_count:     0
    .vgpr_spill_count: 0
    .wavefront_size: 64
  - .agpr_count:     0
    .args:
      - .offset:         0
        .size:           120
        .value_kind:     by_value
    .group_segment_fixed_size: 0
    .kernarg_segment_align: 8
    .kernarg_segment_size: 120
    .language:       OpenCL C
    .language_version:
      - 2
      - 0
    .max_flat_workgroup_size: 256
    .name:           _ZN7rocprim17ROCPRIM_400000_NS6detail17trampoline_kernelINS0_14default_configENS1_29reduce_by_key_config_selectorIiiN6thrust23THRUST_200600_302600_NS4plusIiEEEEZZNS1_33reduce_by_key_impl_wrapped_configILNS1_25lookback_scan_determinismE0ES3_S9_NS6_6detail15normal_iteratorINS6_10device_ptrIiEEEESG_SG_SG_PmS8_NS6_8equal_toIiEEEE10hipError_tPvRmT2_T3_mT4_T5_T6_T7_T8_P12ihipStream_tbENKUlT_T0_E_clISt17integral_constantIbLb1EES10_IbLb0EEEEDaSW_SX_EUlSW_E_NS1_11comp_targetILNS1_3genE2ELNS1_11target_archE906ELNS1_3gpuE6ELNS1_3repE0EEENS1_30default_config_static_selectorELNS0_4arch9wavefront6targetE1EEEvT1_
    .private_segment_fixed_size: 0
    .sgpr_count:     4
    .sgpr_spill_count: 0
    .symbol:         _ZN7rocprim17ROCPRIM_400000_NS6detail17trampoline_kernelINS0_14default_configENS1_29reduce_by_key_config_selectorIiiN6thrust23THRUST_200600_302600_NS4plusIiEEEEZZNS1_33reduce_by_key_impl_wrapped_configILNS1_25lookback_scan_determinismE0ES3_S9_NS6_6detail15normal_iteratorINS6_10device_ptrIiEEEESG_SG_SG_PmS8_NS6_8equal_toIiEEEE10hipError_tPvRmT2_T3_mT4_T5_T6_T7_T8_P12ihipStream_tbENKUlT_T0_E_clISt17integral_constantIbLb1EES10_IbLb0EEEEDaSW_SX_EUlSW_E_NS1_11comp_targetILNS1_3genE2ELNS1_11target_archE906ELNS1_3gpuE6ELNS1_3repE0EEENS1_30default_config_static_selectorELNS0_4arch9wavefront6targetE1EEEvT1_.kd
    .uniform_work_group_size: 1
    .uses_dynamic_stack: false
    .vgpr_count:     0
    .vgpr_spill_count: 0
    .wavefront_size: 64
  - .agpr_count:     0
    .args:
      - .offset:         0
        .size:           120
        .value_kind:     by_value
    .group_segment_fixed_size: 0
    .kernarg_segment_align: 8
    .kernarg_segment_size: 120
    .language:       OpenCL C
    .language_version:
      - 2
      - 0
    .max_flat_workgroup_size: 256
    .name:           _ZN7rocprim17ROCPRIM_400000_NS6detail17trampoline_kernelINS0_14default_configENS1_29reduce_by_key_config_selectorIiiN6thrust23THRUST_200600_302600_NS4plusIiEEEEZZNS1_33reduce_by_key_impl_wrapped_configILNS1_25lookback_scan_determinismE0ES3_S9_NS6_6detail15normal_iteratorINS6_10device_ptrIiEEEESG_SG_SG_PmS8_NS6_8equal_toIiEEEE10hipError_tPvRmT2_T3_mT4_T5_T6_T7_T8_P12ihipStream_tbENKUlT_T0_E_clISt17integral_constantIbLb1EES10_IbLb0EEEEDaSW_SX_EUlSW_E_NS1_11comp_targetILNS1_3genE10ELNS1_11target_archE1201ELNS1_3gpuE5ELNS1_3repE0EEENS1_30default_config_static_selectorELNS0_4arch9wavefront6targetE1EEEvT1_
    .private_segment_fixed_size: 0
    .sgpr_count:     4
    .sgpr_spill_count: 0
    .symbol:         _ZN7rocprim17ROCPRIM_400000_NS6detail17trampoline_kernelINS0_14default_configENS1_29reduce_by_key_config_selectorIiiN6thrust23THRUST_200600_302600_NS4plusIiEEEEZZNS1_33reduce_by_key_impl_wrapped_configILNS1_25lookback_scan_determinismE0ES3_S9_NS6_6detail15normal_iteratorINS6_10device_ptrIiEEEESG_SG_SG_PmS8_NS6_8equal_toIiEEEE10hipError_tPvRmT2_T3_mT4_T5_T6_T7_T8_P12ihipStream_tbENKUlT_T0_E_clISt17integral_constantIbLb1EES10_IbLb0EEEEDaSW_SX_EUlSW_E_NS1_11comp_targetILNS1_3genE10ELNS1_11target_archE1201ELNS1_3gpuE5ELNS1_3repE0EEENS1_30default_config_static_selectorELNS0_4arch9wavefront6targetE1EEEvT1_.kd
    .uniform_work_group_size: 1
    .uses_dynamic_stack: false
    .vgpr_count:     0
    .vgpr_spill_count: 0
    .wavefront_size: 64
  - .agpr_count:     0
    .args:
      - .offset:         0
        .size:           120
        .value_kind:     by_value
    .group_segment_fixed_size: 0
    .kernarg_segment_align: 8
    .kernarg_segment_size: 120
    .language:       OpenCL C
    .language_version:
      - 2
      - 0
    .max_flat_workgroup_size: 256
    .name:           _ZN7rocprim17ROCPRIM_400000_NS6detail17trampoline_kernelINS0_14default_configENS1_29reduce_by_key_config_selectorIiiN6thrust23THRUST_200600_302600_NS4plusIiEEEEZZNS1_33reduce_by_key_impl_wrapped_configILNS1_25lookback_scan_determinismE0ES3_S9_NS6_6detail15normal_iteratorINS6_10device_ptrIiEEEESG_SG_SG_PmS8_NS6_8equal_toIiEEEE10hipError_tPvRmT2_T3_mT4_T5_T6_T7_T8_P12ihipStream_tbENKUlT_T0_E_clISt17integral_constantIbLb1EES10_IbLb0EEEEDaSW_SX_EUlSW_E_NS1_11comp_targetILNS1_3genE10ELNS1_11target_archE1200ELNS1_3gpuE4ELNS1_3repE0EEENS1_30default_config_static_selectorELNS0_4arch9wavefront6targetE1EEEvT1_
    .private_segment_fixed_size: 0
    .sgpr_count:     4
    .sgpr_spill_count: 0
    .symbol:         _ZN7rocprim17ROCPRIM_400000_NS6detail17trampoline_kernelINS0_14default_configENS1_29reduce_by_key_config_selectorIiiN6thrust23THRUST_200600_302600_NS4plusIiEEEEZZNS1_33reduce_by_key_impl_wrapped_configILNS1_25lookback_scan_determinismE0ES3_S9_NS6_6detail15normal_iteratorINS6_10device_ptrIiEEEESG_SG_SG_PmS8_NS6_8equal_toIiEEEE10hipError_tPvRmT2_T3_mT4_T5_T6_T7_T8_P12ihipStream_tbENKUlT_T0_E_clISt17integral_constantIbLb1EES10_IbLb0EEEEDaSW_SX_EUlSW_E_NS1_11comp_targetILNS1_3genE10ELNS1_11target_archE1200ELNS1_3gpuE4ELNS1_3repE0EEENS1_30default_config_static_selectorELNS0_4arch9wavefront6targetE1EEEvT1_.kd
    .uniform_work_group_size: 1
    .uses_dynamic_stack: false
    .vgpr_count:     0
    .vgpr_spill_count: 0
    .wavefront_size: 64
  - .agpr_count:     0
    .args:
      - .offset:         0
        .size:           120
        .value_kind:     by_value
    .group_segment_fixed_size: 0
    .kernarg_segment_align: 8
    .kernarg_segment_size: 120
    .language:       OpenCL C
    .language_version:
      - 2
      - 0
    .max_flat_workgroup_size: 256
    .name:           _ZN7rocprim17ROCPRIM_400000_NS6detail17trampoline_kernelINS0_14default_configENS1_29reduce_by_key_config_selectorIiiN6thrust23THRUST_200600_302600_NS4plusIiEEEEZZNS1_33reduce_by_key_impl_wrapped_configILNS1_25lookback_scan_determinismE0ES3_S9_NS6_6detail15normal_iteratorINS6_10device_ptrIiEEEESG_SG_SG_PmS8_NS6_8equal_toIiEEEE10hipError_tPvRmT2_T3_mT4_T5_T6_T7_T8_P12ihipStream_tbENKUlT_T0_E_clISt17integral_constantIbLb1EES10_IbLb0EEEEDaSW_SX_EUlSW_E_NS1_11comp_targetILNS1_3genE9ELNS1_11target_archE1100ELNS1_3gpuE3ELNS1_3repE0EEENS1_30default_config_static_selectorELNS0_4arch9wavefront6targetE1EEEvT1_
    .private_segment_fixed_size: 0
    .sgpr_count:     4
    .sgpr_spill_count: 0
    .symbol:         _ZN7rocprim17ROCPRIM_400000_NS6detail17trampoline_kernelINS0_14default_configENS1_29reduce_by_key_config_selectorIiiN6thrust23THRUST_200600_302600_NS4plusIiEEEEZZNS1_33reduce_by_key_impl_wrapped_configILNS1_25lookback_scan_determinismE0ES3_S9_NS6_6detail15normal_iteratorINS6_10device_ptrIiEEEESG_SG_SG_PmS8_NS6_8equal_toIiEEEE10hipError_tPvRmT2_T3_mT4_T5_T6_T7_T8_P12ihipStream_tbENKUlT_T0_E_clISt17integral_constantIbLb1EES10_IbLb0EEEEDaSW_SX_EUlSW_E_NS1_11comp_targetILNS1_3genE9ELNS1_11target_archE1100ELNS1_3gpuE3ELNS1_3repE0EEENS1_30default_config_static_selectorELNS0_4arch9wavefront6targetE1EEEvT1_.kd
    .uniform_work_group_size: 1
    .uses_dynamic_stack: false
    .vgpr_count:     0
    .vgpr_spill_count: 0
    .wavefront_size: 64
  - .agpr_count:     0
    .args:
      - .offset:         0
        .size:           120
        .value_kind:     by_value
    .group_segment_fixed_size: 0
    .kernarg_segment_align: 8
    .kernarg_segment_size: 120
    .language:       OpenCL C
    .language_version:
      - 2
      - 0
    .max_flat_workgroup_size: 256
    .name:           _ZN7rocprim17ROCPRIM_400000_NS6detail17trampoline_kernelINS0_14default_configENS1_29reduce_by_key_config_selectorIiiN6thrust23THRUST_200600_302600_NS4plusIiEEEEZZNS1_33reduce_by_key_impl_wrapped_configILNS1_25lookback_scan_determinismE0ES3_S9_NS6_6detail15normal_iteratorINS6_10device_ptrIiEEEESG_SG_SG_PmS8_NS6_8equal_toIiEEEE10hipError_tPvRmT2_T3_mT4_T5_T6_T7_T8_P12ihipStream_tbENKUlT_T0_E_clISt17integral_constantIbLb1EES10_IbLb0EEEEDaSW_SX_EUlSW_E_NS1_11comp_targetILNS1_3genE8ELNS1_11target_archE1030ELNS1_3gpuE2ELNS1_3repE0EEENS1_30default_config_static_selectorELNS0_4arch9wavefront6targetE1EEEvT1_
    .private_segment_fixed_size: 0
    .sgpr_count:     4
    .sgpr_spill_count: 0
    .symbol:         _ZN7rocprim17ROCPRIM_400000_NS6detail17trampoline_kernelINS0_14default_configENS1_29reduce_by_key_config_selectorIiiN6thrust23THRUST_200600_302600_NS4plusIiEEEEZZNS1_33reduce_by_key_impl_wrapped_configILNS1_25lookback_scan_determinismE0ES3_S9_NS6_6detail15normal_iteratorINS6_10device_ptrIiEEEESG_SG_SG_PmS8_NS6_8equal_toIiEEEE10hipError_tPvRmT2_T3_mT4_T5_T6_T7_T8_P12ihipStream_tbENKUlT_T0_E_clISt17integral_constantIbLb1EES10_IbLb0EEEEDaSW_SX_EUlSW_E_NS1_11comp_targetILNS1_3genE8ELNS1_11target_archE1030ELNS1_3gpuE2ELNS1_3repE0EEENS1_30default_config_static_selectorELNS0_4arch9wavefront6targetE1EEEvT1_.kd
    .uniform_work_group_size: 1
    .uses_dynamic_stack: false
    .vgpr_count:     0
    .vgpr_spill_count: 0
    .wavefront_size: 64
  - .agpr_count:     0
    .args:
      - .address_space:  global
        .offset:         0
        .size:           8
        .value_kind:     global_buffer
      - .offset:         8
        .size:           4
        .value_kind:     by_value
      - .offset:         12
        .size:           1
        .value_kind:     by_value
      - .offset:         16
        .size:           4
        .value_kind:     by_value
      - .address_space:  global
        .offset:         24
        .size:           8
        .value_kind:     global_buffer
      - .address_space:  global
        .offset:         32
        .size:           8
        .value_kind:     global_buffer
      - .address_space:  global
        .offset:         40
        .size:           8
        .value_kind:     global_buffer
      - .offset:         48
        .size:           4
        .value_kind:     hidden_block_count_x
      - .offset:         52
        .size:           4
        .value_kind:     hidden_block_count_y
      - .offset:         56
        .size:           4
        .value_kind:     hidden_block_count_z
      - .offset:         60
        .size:           2
        .value_kind:     hidden_group_size_x
      - .offset:         62
        .size:           2
        .value_kind:     hidden_group_size_y
      - .offset:         64
        .size:           2
        .value_kind:     hidden_group_size_z
      - .offset:         66
        .size:           2
        .value_kind:     hidden_remainder_x
      - .offset:         68
        .size:           2
        .value_kind:     hidden_remainder_y
      - .offset:         70
        .size:           2
        .value_kind:     hidden_remainder_z
      - .offset:         88
        .size:           8
        .value_kind:     hidden_global_offset_x
      - .offset:         96
        .size:           8
        .value_kind:     hidden_global_offset_y
      - .offset:         104
        .size:           8
        .value_kind:     hidden_global_offset_z
      - .offset:         112
        .size:           2
        .value_kind:     hidden_grid_dims
    .group_segment_fixed_size: 0
    .kernarg_segment_align: 8
    .kernarg_segment_size: 304
    .language:       OpenCL C
    .language_version:
      - 2
      - 0
    .max_flat_workgroup_size: 256
    .name:           _ZN7rocprim17ROCPRIM_400000_NS6detail25reduce_by_key_init_kernelINS1_19lookback_scan_stateINS0_5tupleIJjiEEELb0ELb1EEEiNS1_16block_id_wrapperIjLb1EEEEEvT_jbjPmPT0_T1_
    .private_segment_fixed_size: 0
    .sgpr_count:     22
    .sgpr_spill_count: 0
    .symbol:         _ZN7rocprim17ROCPRIM_400000_NS6detail25reduce_by_key_init_kernelINS1_19lookback_scan_stateINS0_5tupleIJjiEEELb0ELb1EEEiNS1_16block_id_wrapperIjLb1EEEEEvT_jbjPmPT0_T1_.kd
    .uniform_work_group_size: 1
    .uses_dynamic_stack: false
    .vgpr_count:     10
    .vgpr_spill_count: 0
    .wavefront_size: 64
  - .agpr_count:     0
    .args:
      - .offset:         0
        .size:           120
        .value_kind:     by_value
    .group_segment_fixed_size: 0
    .kernarg_segment_align: 8
    .kernarg_segment_size: 120
    .language:       OpenCL C
    .language_version:
      - 2
      - 0
    .max_flat_workgroup_size: 256
    .name:           _ZN7rocprim17ROCPRIM_400000_NS6detail17trampoline_kernelINS0_14default_configENS1_29reduce_by_key_config_selectorIiiN6thrust23THRUST_200600_302600_NS4plusIiEEEEZZNS1_33reduce_by_key_impl_wrapped_configILNS1_25lookback_scan_determinismE0ES3_S9_NS6_6detail15normal_iteratorINS6_10device_ptrIiEEEESG_SG_SG_PmS8_NS6_8equal_toIiEEEE10hipError_tPvRmT2_T3_mT4_T5_T6_T7_T8_P12ihipStream_tbENKUlT_T0_E_clISt17integral_constantIbLb0EES10_IbLb1EEEEDaSW_SX_EUlSW_E_NS1_11comp_targetILNS1_3genE0ELNS1_11target_archE4294967295ELNS1_3gpuE0ELNS1_3repE0EEENS1_30default_config_static_selectorELNS0_4arch9wavefront6targetE1EEEvT1_
    .private_segment_fixed_size: 0
    .sgpr_count:     4
    .sgpr_spill_count: 0
    .symbol:         _ZN7rocprim17ROCPRIM_400000_NS6detail17trampoline_kernelINS0_14default_configENS1_29reduce_by_key_config_selectorIiiN6thrust23THRUST_200600_302600_NS4plusIiEEEEZZNS1_33reduce_by_key_impl_wrapped_configILNS1_25lookback_scan_determinismE0ES3_S9_NS6_6detail15normal_iteratorINS6_10device_ptrIiEEEESG_SG_SG_PmS8_NS6_8equal_toIiEEEE10hipError_tPvRmT2_T3_mT4_T5_T6_T7_T8_P12ihipStream_tbENKUlT_T0_E_clISt17integral_constantIbLb0EES10_IbLb1EEEEDaSW_SX_EUlSW_E_NS1_11comp_targetILNS1_3genE0ELNS1_11target_archE4294967295ELNS1_3gpuE0ELNS1_3repE0EEENS1_30default_config_static_selectorELNS0_4arch9wavefront6targetE1EEEvT1_.kd
    .uniform_work_group_size: 1
    .uses_dynamic_stack: false
    .vgpr_count:     0
    .vgpr_spill_count: 0
    .wavefront_size: 64
  - .agpr_count:     0
    .args:
      - .offset:         0
        .size:           120
        .value_kind:     by_value
    .group_segment_fixed_size: 0
    .kernarg_segment_align: 8
    .kernarg_segment_size: 120
    .language:       OpenCL C
    .language_version:
      - 2
      - 0
    .max_flat_workgroup_size: 256
    .name:           _ZN7rocprim17ROCPRIM_400000_NS6detail17trampoline_kernelINS0_14default_configENS1_29reduce_by_key_config_selectorIiiN6thrust23THRUST_200600_302600_NS4plusIiEEEEZZNS1_33reduce_by_key_impl_wrapped_configILNS1_25lookback_scan_determinismE0ES3_S9_NS6_6detail15normal_iteratorINS6_10device_ptrIiEEEESG_SG_SG_PmS8_NS6_8equal_toIiEEEE10hipError_tPvRmT2_T3_mT4_T5_T6_T7_T8_P12ihipStream_tbENKUlT_T0_E_clISt17integral_constantIbLb0EES10_IbLb1EEEEDaSW_SX_EUlSW_E_NS1_11comp_targetILNS1_3genE5ELNS1_11target_archE942ELNS1_3gpuE9ELNS1_3repE0EEENS1_30default_config_static_selectorELNS0_4arch9wavefront6targetE1EEEvT1_
    .private_segment_fixed_size: 0
    .sgpr_count:     4
    .sgpr_spill_count: 0
    .symbol:         _ZN7rocprim17ROCPRIM_400000_NS6detail17trampoline_kernelINS0_14default_configENS1_29reduce_by_key_config_selectorIiiN6thrust23THRUST_200600_302600_NS4plusIiEEEEZZNS1_33reduce_by_key_impl_wrapped_configILNS1_25lookback_scan_determinismE0ES3_S9_NS6_6detail15normal_iteratorINS6_10device_ptrIiEEEESG_SG_SG_PmS8_NS6_8equal_toIiEEEE10hipError_tPvRmT2_T3_mT4_T5_T6_T7_T8_P12ihipStream_tbENKUlT_T0_E_clISt17integral_constantIbLb0EES10_IbLb1EEEEDaSW_SX_EUlSW_E_NS1_11comp_targetILNS1_3genE5ELNS1_11target_archE942ELNS1_3gpuE9ELNS1_3repE0EEENS1_30default_config_static_selectorELNS0_4arch9wavefront6targetE1EEEvT1_.kd
    .uniform_work_group_size: 1
    .uses_dynamic_stack: false
    .vgpr_count:     0
    .vgpr_spill_count: 0
    .wavefront_size: 64
  - .agpr_count:     0
    .args:
      - .offset:         0
        .size:           120
        .value_kind:     by_value
    .group_segment_fixed_size: 15360
    .kernarg_segment_align: 8
    .kernarg_segment_size: 120
    .language:       OpenCL C
    .language_version:
      - 2
      - 0
    .max_flat_workgroup_size: 256
    .name:           _ZN7rocprim17ROCPRIM_400000_NS6detail17trampoline_kernelINS0_14default_configENS1_29reduce_by_key_config_selectorIiiN6thrust23THRUST_200600_302600_NS4plusIiEEEEZZNS1_33reduce_by_key_impl_wrapped_configILNS1_25lookback_scan_determinismE0ES3_S9_NS6_6detail15normal_iteratorINS6_10device_ptrIiEEEESG_SG_SG_PmS8_NS6_8equal_toIiEEEE10hipError_tPvRmT2_T3_mT4_T5_T6_T7_T8_P12ihipStream_tbENKUlT_T0_E_clISt17integral_constantIbLb0EES10_IbLb1EEEEDaSW_SX_EUlSW_E_NS1_11comp_targetILNS1_3genE4ELNS1_11target_archE910ELNS1_3gpuE8ELNS1_3repE0EEENS1_30default_config_static_selectorELNS0_4arch9wavefront6targetE1EEEvT1_
    .private_segment_fixed_size: 0
    .sgpr_count:     70
    .sgpr_spill_count: 0
    .symbol:         _ZN7rocprim17ROCPRIM_400000_NS6detail17trampoline_kernelINS0_14default_configENS1_29reduce_by_key_config_selectorIiiN6thrust23THRUST_200600_302600_NS4plusIiEEEEZZNS1_33reduce_by_key_impl_wrapped_configILNS1_25lookback_scan_determinismE0ES3_S9_NS6_6detail15normal_iteratorINS6_10device_ptrIiEEEESG_SG_SG_PmS8_NS6_8equal_toIiEEEE10hipError_tPvRmT2_T3_mT4_T5_T6_T7_T8_P12ihipStream_tbENKUlT_T0_E_clISt17integral_constantIbLb0EES10_IbLb1EEEEDaSW_SX_EUlSW_E_NS1_11comp_targetILNS1_3genE4ELNS1_11target_archE910ELNS1_3gpuE8ELNS1_3repE0EEENS1_30default_config_static_selectorELNS0_4arch9wavefront6targetE1EEEvT1_.kd
    .uniform_work_group_size: 1
    .uses_dynamic_stack: false
    .vgpr_count:     106
    .vgpr_spill_count: 0
    .wavefront_size: 64
  - .agpr_count:     0
    .args:
      - .offset:         0
        .size:           120
        .value_kind:     by_value
    .group_segment_fixed_size: 0
    .kernarg_segment_align: 8
    .kernarg_segment_size: 120
    .language:       OpenCL C
    .language_version:
      - 2
      - 0
    .max_flat_workgroup_size: 256
    .name:           _ZN7rocprim17ROCPRIM_400000_NS6detail17trampoline_kernelINS0_14default_configENS1_29reduce_by_key_config_selectorIiiN6thrust23THRUST_200600_302600_NS4plusIiEEEEZZNS1_33reduce_by_key_impl_wrapped_configILNS1_25lookback_scan_determinismE0ES3_S9_NS6_6detail15normal_iteratorINS6_10device_ptrIiEEEESG_SG_SG_PmS8_NS6_8equal_toIiEEEE10hipError_tPvRmT2_T3_mT4_T5_T6_T7_T8_P12ihipStream_tbENKUlT_T0_E_clISt17integral_constantIbLb0EES10_IbLb1EEEEDaSW_SX_EUlSW_E_NS1_11comp_targetILNS1_3genE3ELNS1_11target_archE908ELNS1_3gpuE7ELNS1_3repE0EEENS1_30default_config_static_selectorELNS0_4arch9wavefront6targetE1EEEvT1_
    .private_segment_fixed_size: 0
    .sgpr_count:     4
    .sgpr_spill_count: 0
    .symbol:         _ZN7rocprim17ROCPRIM_400000_NS6detail17trampoline_kernelINS0_14default_configENS1_29reduce_by_key_config_selectorIiiN6thrust23THRUST_200600_302600_NS4plusIiEEEEZZNS1_33reduce_by_key_impl_wrapped_configILNS1_25lookback_scan_determinismE0ES3_S9_NS6_6detail15normal_iteratorINS6_10device_ptrIiEEEESG_SG_SG_PmS8_NS6_8equal_toIiEEEE10hipError_tPvRmT2_T3_mT4_T5_T6_T7_T8_P12ihipStream_tbENKUlT_T0_E_clISt17integral_constantIbLb0EES10_IbLb1EEEEDaSW_SX_EUlSW_E_NS1_11comp_targetILNS1_3genE3ELNS1_11target_archE908ELNS1_3gpuE7ELNS1_3repE0EEENS1_30default_config_static_selectorELNS0_4arch9wavefront6targetE1EEEvT1_.kd
    .uniform_work_group_size: 1
    .uses_dynamic_stack: false
    .vgpr_count:     0
    .vgpr_spill_count: 0
    .wavefront_size: 64
  - .agpr_count:     0
    .args:
      - .offset:         0
        .size:           120
        .value_kind:     by_value
    .group_segment_fixed_size: 0
    .kernarg_segment_align: 8
    .kernarg_segment_size: 120
    .language:       OpenCL C
    .language_version:
      - 2
      - 0
    .max_flat_workgroup_size: 256
    .name:           _ZN7rocprim17ROCPRIM_400000_NS6detail17trampoline_kernelINS0_14default_configENS1_29reduce_by_key_config_selectorIiiN6thrust23THRUST_200600_302600_NS4plusIiEEEEZZNS1_33reduce_by_key_impl_wrapped_configILNS1_25lookback_scan_determinismE0ES3_S9_NS6_6detail15normal_iteratorINS6_10device_ptrIiEEEESG_SG_SG_PmS8_NS6_8equal_toIiEEEE10hipError_tPvRmT2_T3_mT4_T5_T6_T7_T8_P12ihipStream_tbENKUlT_T0_E_clISt17integral_constantIbLb0EES10_IbLb1EEEEDaSW_SX_EUlSW_E_NS1_11comp_targetILNS1_3genE2ELNS1_11target_archE906ELNS1_3gpuE6ELNS1_3repE0EEENS1_30default_config_static_selectorELNS0_4arch9wavefront6targetE1EEEvT1_
    .private_segment_fixed_size: 0
    .sgpr_count:     4
    .sgpr_spill_count: 0
    .symbol:         _ZN7rocprim17ROCPRIM_400000_NS6detail17trampoline_kernelINS0_14default_configENS1_29reduce_by_key_config_selectorIiiN6thrust23THRUST_200600_302600_NS4plusIiEEEEZZNS1_33reduce_by_key_impl_wrapped_configILNS1_25lookback_scan_determinismE0ES3_S9_NS6_6detail15normal_iteratorINS6_10device_ptrIiEEEESG_SG_SG_PmS8_NS6_8equal_toIiEEEE10hipError_tPvRmT2_T3_mT4_T5_T6_T7_T8_P12ihipStream_tbENKUlT_T0_E_clISt17integral_constantIbLb0EES10_IbLb1EEEEDaSW_SX_EUlSW_E_NS1_11comp_targetILNS1_3genE2ELNS1_11target_archE906ELNS1_3gpuE6ELNS1_3repE0EEENS1_30default_config_static_selectorELNS0_4arch9wavefront6targetE1EEEvT1_.kd
    .uniform_work_group_size: 1
    .uses_dynamic_stack: false
    .vgpr_count:     0
    .vgpr_spill_count: 0
    .wavefront_size: 64
  - .agpr_count:     0
    .args:
      - .offset:         0
        .size:           120
        .value_kind:     by_value
    .group_segment_fixed_size: 0
    .kernarg_segment_align: 8
    .kernarg_segment_size: 120
    .language:       OpenCL C
    .language_version:
      - 2
      - 0
    .max_flat_workgroup_size: 256
    .name:           _ZN7rocprim17ROCPRIM_400000_NS6detail17trampoline_kernelINS0_14default_configENS1_29reduce_by_key_config_selectorIiiN6thrust23THRUST_200600_302600_NS4plusIiEEEEZZNS1_33reduce_by_key_impl_wrapped_configILNS1_25lookback_scan_determinismE0ES3_S9_NS6_6detail15normal_iteratorINS6_10device_ptrIiEEEESG_SG_SG_PmS8_NS6_8equal_toIiEEEE10hipError_tPvRmT2_T3_mT4_T5_T6_T7_T8_P12ihipStream_tbENKUlT_T0_E_clISt17integral_constantIbLb0EES10_IbLb1EEEEDaSW_SX_EUlSW_E_NS1_11comp_targetILNS1_3genE10ELNS1_11target_archE1201ELNS1_3gpuE5ELNS1_3repE0EEENS1_30default_config_static_selectorELNS0_4arch9wavefront6targetE1EEEvT1_
    .private_segment_fixed_size: 0
    .sgpr_count:     4
    .sgpr_spill_count: 0
    .symbol:         _ZN7rocprim17ROCPRIM_400000_NS6detail17trampoline_kernelINS0_14default_configENS1_29reduce_by_key_config_selectorIiiN6thrust23THRUST_200600_302600_NS4plusIiEEEEZZNS1_33reduce_by_key_impl_wrapped_configILNS1_25lookback_scan_determinismE0ES3_S9_NS6_6detail15normal_iteratorINS6_10device_ptrIiEEEESG_SG_SG_PmS8_NS6_8equal_toIiEEEE10hipError_tPvRmT2_T3_mT4_T5_T6_T7_T8_P12ihipStream_tbENKUlT_T0_E_clISt17integral_constantIbLb0EES10_IbLb1EEEEDaSW_SX_EUlSW_E_NS1_11comp_targetILNS1_3genE10ELNS1_11target_archE1201ELNS1_3gpuE5ELNS1_3repE0EEENS1_30default_config_static_selectorELNS0_4arch9wavefront6targetE1EEEvT1_.kd
    .uniform_work_group_size: 1
    .uses_dynamic_stack: false
    .vgpr_count:     0
    .vgpr_spill_count: 0
    .wavefront_size: 64
  - .agpr_count:     0
    .args:
      - .offset:         0
        .size:           120
        .value_kind:     by_value
    .group_segment_fixed_size: 0
    .kernarg_segment_align: 8
    .kernarg_segment_size: 120
    .language:       OpenCL C
    .language_version:
      - 2
      - 0
    .max_flat_workgroup_size: 256
    .name:           _ZN7rocprim17ROCPRIM_400000_NS6detail17trampoline_kernelINS0_14default_configENS1_29reduce_by_key_config_selectorIiiN6thrust23THRUST_200600_302600_NS4plusIiEEEEZZNS1_33reduce_by_key_impl_wrapped_configILNS1_25lookback_scan_determinismE0ES3_S9_NS6_6detail15normal_iteratorINS6_10device_ptrIiEEEESG_SG_SG_PmS8_NS6_8equal_toIiEEEE10hipError_tPvRmT2_T3_mT4_T5_T6_T7_T8_P12ihipStream_tbENKUlT_T0_E_clISt17integral_constantIbLb0EES10_IbLb1EEEEDaSW_SX_EUlSW_E_NS1_11comp_targetILNS1_3genE10ELNS1_11target_archE1200ELNS1_3gpuE4ELNS1_3repE0EEENS1_30default_config_static_selectorELNS0_4arch9wavefront6targetE1EEEvT1_
    .private_segment_fixed_size: 0
    .sgpr_count:     4
    .sgpr_spill_count: 0
    .symbol:         _ZN7rocprim17ROCPRIM_400000_NS6detail17trampoline_kernelINS0_14default_configENS1_29reduce_by_key_config_selectorIiiN6thrust23THRUST_200600_302600_NS4plusIiEEEEZZNS1_33reduce_by_key_impl_wrapped_configILNS1_25lookback_scan_determinismE0ES3_S9_NS6_6detail15normal_iteratorINS6_10device_ptrIiEEEESG_SG_SG_PmS8_NS6_8equal_toIiEEEE10hipError_tPvRmT2_T3_mT4_T5_T6_T7_T8_P12ihipStream_tbENKUlT_T0_E_clISt17integral_constantIbLb0EES10_IbLb1EEEEDaSW_SX_EUlSW_E_NS1_11comp_targetILNS1_3genE10ELNS1_11target_archE1200ELNS1_3gpuE4ELNS1_3repE0EEENS1_30default_config_static_selectorELNS0_4arch9wavefront6targetE1EEEvT1_.kd
    .uniform_work_group_size: 1
    .uses_dynamic_stack: false
    .vgpr_count:     0
    .vgpr_spill_count: 0
    .wavefront_size: 64
  - .agpr_count:     0
    .args:
      - .offset:         0
        .size:           120
        .value_kind:     by_value
    .group_segment_fixed_size: 0
    .kernarg_segment_align: 8
    .kernarg_segment_size: 120
    .language:       OpenCL C
    .language_version:
      - 2
      - 0
    .max_flat_workgroup_size: 256
    .name:           _ZN7rocprim17ROCPRIM_400000_NS6detail17trampoline_kernelINS0_14default_configENS1_29reduce_by_key_config_selectorIiiN6thrust23THRUST_200600_302600_NS4plusIiEEEEZZNS1_33reduce_by_key_impl_wrapped_configILNS1_25lookback_scan_determinismE0ES3_S9_NS6_6detail15normal_iteratorINS6_10device_ptrIiEEEESG_SG_SG_PmS8_NS6_8equal_toIiEEEE10hipError_tPvRmT2_T3_mT4_T5_T6_T7_T8_P12ihipStream_tbENKUlT_T0_E_clISt17integral_constantIbLb0EES10_IbLb1EEEEDaSW_SX_EUlSW_E_NS1_11comp_targetILNS1_3genE9ELNS1_11target_archE1100ELNS1_3gpuE3ELNS1_3repE0EEENS1_30default_config_static_selectorELNS0_4arch9wavefront6targetE1EEEvT1_
    .private_segment_fixed_size: 0
    .sgpr_count:     4
    .sgpr_spill_count: 0
    .symbol:         _ZN7rocprim17ROCPRIM_400000_NS6detail17trampoline_kernelINS0_14default_configENS1_29reduce_by_key_config_selectorIiiN6thrust23THRUST_200600_302600_NS4plusIiEEEEZZNS1_33reduce_by_key_impl_wrapped_configILNS1_25lookback_scan_determinismE0ES3_S9_NS6_6detail15normal_iteratorINS6_10device_ptrIiEEEESG_SG_SG_PmS8_NS6_8equal_toIiEEEE10hipError_tPvRmT2_T3_mT4_T5_T6_T7_T8_P12ihipStream_tbENKUlT_T0_E_clISt17integral_constantIbLb0EES10_IbLb1EEEEDaSW_SX_EUlSW_E_NS1_11comp_targetILNS1_3genE9ELNS1_11target_archE1100ELNS1_3gpuE3ELNS1_3repE0EEENS1_30default_config_static_selectorELNS0_4arch9wavefront6targetE1EEEvT1_.kd
    .uniform_work_group_size: 1
    .uses_dynamic_stack: false
    .vgpr_count:     0
    .vgpr_spill_count: 0
    .wavefront_size: 64
  - .agpr_count:     0
    .args:
      - .offset:         0
        .size:           120
        .value_kind:     by_value
    .group_segment_fixed_size: 0
    .kernarg_segment_align: 8
    .kernarg_segment_size: 120
    .language:       OpenCL C
    .language_version:
      - 2
      - 0
    .max_flat_workgroup_size: 256
    .name:           _ZN7rocprim17ROCPRIM_400000_NS6detail17trampoline_kernelINS0_14default_configENS1_29reduce_by_key_config_selectorIiiN6thrust23THRUST_200600_302600_NS4plusIiEEEEZZNS1_33reduce_by_key_impl_wrapped_configILNS1_25lookback_scan_determinismE0ES3_S9_NS6_6detail15normal_iteratorINS6_10device_ptrIiEEEESG_SG_SG_PmS8_NS6_8equal_toIiEEEE10hipError_tPvRmT2_T3_mT4_T5_T6_T7_T8_P12ihipStream_tbENKUlT_T0_E_clISt17integral_constantIbLb0EES10_IbLb1EEEEDaSW_SX_EUlSW_E_NS1_11comp_targetILNS1_3genE8ELNS1_11target_archE1030ELNS1_3gpuE2ELNS1_3repE0EEENS1_30default_config_static_selectorELNS0_4arch9wavefront6targetE1EEEvT1_
    .private_segment_fixed_size: 0
    .sgpr_count:     4
    .sgpr_spill_count: 0
    .symbol:         _ZN7rocprim17ROCPRIM_400000_NS6detail17trampoline_kernelINS0_14default_configENS1_29reduce_by_key_config_selectorIiiN6thrust23THRUST_200600_302600_NS4plusIiEEEEZZNS1_33reduce_by_key_impl_wrapped_configILNS1_25lookback_scan_determinismE0ES3_S9_NS6_6detail15normal_iteratorINS6_10device_ptrIiEEEESG_SG_SG_PmS8_NS6_8equal_toIiEEEE10hipError_tPvRmT2_T3_mT4_T5_T6_T7_T8_P12ihipStream_tbENKUlT_T0_E_clISt17integral_constantIbLb0EES10_IbLb1EEEEDaSW_SX_EUlSW_E_NS1_11comp_targetILNS1_3genE8ELNS1_11target_archE1030ELNS1_3gpuE2ELNS1_3repE0EEENS1_30default_config_static_selectorELNS0_4arch9wavefront6targetE1EEEvT1_.kd
    .uniform_work_group_size: 1
    .uses_dynamic_stack: false
    .vgpr_count:     0
    .vgpr_spill_count: 0
    .wavefront_size: 64
  - .agpr_count:     0
    .args:
      - .offset:         0
        .size:           120
        .value_kind:     by_value
    .group_segment_fixed_size: 0
    .kernarg_segment_align: 8
    .kernarg_segment_size: 120
    .language:       OpenCL C
    .language_version:
      - 2
      - 0
    .max_flat_workgroup_size: 256
    .name:           _ZN7rocprim17ROCPRIM_400000_NS6detail17trampoline_kernelINS0_14default_configENS1_29reduce_by_key_config_selectorIiiN6thrust23THRUST_200600_302600_NS4plusIiEEEEZZNS1_33reduce_by_key_impl_wrapped_configILNS1_25lookback_scan_determinismE0ES3_S9_NS6_6detail15normal_iteratorINS6_10device_ptrIiEEEESG_SG_SG_PmS8_22is_equal_div_10_reduceIiEEE10hipError_tPvRmT2_T3_mT4_T5_T6_T7_T8_P12ihipStream_tbENKUlT_T0_E_clISt17integral_constantIbLb0EES11_EEDaSW_SX_EUlSW_E_NS1_11comp_targetILNS1_3genE0ELNS1_11target_archE4294967295ELNS1_3gpuE0ELNS1_3repE0EEENS1_30default_config_static_selectorELNS0_4arch9wavefront6targetE1EEEvT1_
    .private_segment_fixed_size: 0
    .sgpr_count:     4
    .sgpr_spill_count: 0
    .symbol:         _ZN7rocprim17ROCPRIM_400000_NS6detail17trampoline_kernelINS0_14default_configENS1_29reduce_by_key_config_selectorIiiN6thrust23THRUST_200600_302600_NS4plusIiEEEEZZNS1_33reduce_by_key_impl_wrapped_configILNS1_25lookback_scan_determinismE0ES3_S9_NS6_6detail15normal_iteratorINS6_10device_ptrIiEEEESG_SG_SG_PmS8_22is_equal_div_10_reduceIiEEE10hipError_tPvRmT2_T3_mT4_T5_T6_T7_T8_P12ihipStream_tbENKUlT_T0_E_clISt17integral_constantIbLb0EES11_EEDaSW_SX_EUlSW_E_NS1_11comp_targetILNS1_3genE0ELNS1_11target_archE4294967295ELNS1_3gpuE0ELNS1_3repE0EEENS1_30default_config_static_selectorELNS0_4arch9wavefront6targetE1EEEvT1_.kd
    .uniform_work_group_size: 1
    .uses_dynamic_stack: false
    .vgpr_count:     0
    .vgpr_spill_count: 0
    .wavefront_size: 64
  - .agpr_count:     0
    .args:
      - .offset:         0
        .size:           120
        .value_kind:     by_value
    .group_segment_fixed_size: 0
    .kernarg_segment_align: 8
    .kernarg_segment_size: 120
    .language:       OpenCL C
    .language_version:
      - 2
      - 0
    .max_flat_workgroup_size: 256
    .name:           _ZN7rocprim17ROCPRIM_400000_NS6detail17trampoline_kernelINS0_14default_configENS1_29reduce_by_key_config_selectorIiiN6thrust23THRUST_200600_302600_NS4plusIiEEEEZZNS1_33reduce_by_key_impl_wrapped_configILNS1_25lookback_scan_determinismE0ES3_S9_NS6_6detail15normal_iteratorINS6_10device_ptrIiEEEESG_SG_SG_PmS8_22is_equal_div_10_reduceIiEEE10hipError_tPvRmT2_T3_mT4_T5_T6_T7_T8_P12ihipStream_tbENKUlT_T0_E_clISt17integral_constantIbLb0EES11_EEDaSW_SX_EUlSW_E_NS1_11comp_targetILNS1_3genE5ELNS1_11target_archE942ELNS1_3gpuE9ELNS1_3repE0EEENS1_30default_config_static_selectorELNS0_4arch9wavefront6targetE1EEEvT1_
    .private_segment_fixed_size: 0
    .sgpr_count:     4
    .sgpr_spill_count: 0
    .symbol:         _ZN7rocprim17ROCPRIM_400000_NS6detail17trampoline_kernelINS0_14default_configENS1_29reduce_by_key_config_selectorIiiN6thrust23THRUST_200600_302600_NS4plusIiEEEEZZNS1_33reduce_by_key_impl_wrapped_configILNS1_25lookback_scan_determinismE0ES3_S9_NS6_6detail15normal_iteratorINS6_10device_ptrIiEEEESG_SG_SG_PmS8_22is_equal_div_10_reduceIiEEE10hipError_tPvRmT2_T3_mT4_T5_T6_T7_T8_P12ihipStream_tbENKUlT_T0_E_clISt17integral_constantIbLb0EES11_EEDaSW_SX_EUlSW_E_NS1_11comp_targetILNS1_3genE5ELNS1_11target_archE942ELNS1_3gpuE9ELNS1_3repE0EEENS1_30default_config_static_selectorELNS0_4arch9wavefront6targetE1EEEvT1_.kd
    .uniform_work_group_size: 1
    .uses_dynamic_stack: false
    .vgpr_count:     0
    .vgpr_spill_count: 0
    .wavefront_size: 64
  - .agpr_count:     0
    .args:
      - .offset:         0
        .size:           120
        .value_kind:     by_value
    .group_segment_fixed_size: 15360
    .kernarg_segment_align: 8
    .kernarg_segment_size: 120
    .language:       OpenCL C
    .language_version:
      - 2
      - 0
    .max_flat_workgroup_size: 256
    .name:           _ZN7rocprim17ROCPRIM_400000_NS6detail17trampoline_kernelINS0_14default_configENS1_29reduce_by_key_config_selectorIiiN6thrust23THRUST_200600_302600_NS4plusIiEEEEZZNS1_33reduce_by_key_impl_wrapped_configILNS1_25lookback_scan_determinismE0ES3_S9_NS6_6detail15normal_iteratorINS6_10device_ptrIiEEEESG_SG_SG_PmS8_22is_equal_div_10_reduceIiEEE10hipError_tPvRmT2_T3_mT4_T5_T6_T7_T8_P12ihipStream_tbENKUlT_T0_E_clISt17integral_constantIbLb0EES11_EEDaSW_SX_EUlSW_E_NS1_11comp_targetILNS1_3genE4ELNS1_11target_archE910ELNS1_3gpuE8ELNS1_3repE0EEENS1_30default_config_static_selectorELNS0_4arch9wavefront6targetE1EEEvT1_
    .private_segment_fixed_size: 0
    .sgpr_count:     68
    .sgpr_spill_count: 0
    .symbol:         _ZN7rocprim17ROCPRIM_400000_NS6detail17trampoline_kernelINS0_14default_configENS1_29reduce_by_key_config_selectorIiiN6thrust23THRUST_200600_302600_NS4plusIiEEEEZZNS1_33reduce_by_key_impl_wrapped_configILNS1_25lookback_scan_determinismE0ES3_S9_NS6_6detail15normal_iteratorINS6_10device_ptrIiEEEESG_SG_SG_PmS8_22is_equal_div_10_reduceIiEEE10hipError_tPvRmT2_T3_mT4_T5_T6_T7_T8_P12ihipStream_tbENKUlT_T0_E_clISt17integral_constantIbLb0EES11_EEDaSW_SX_EUlSW_E_NS1_11comp_targetILNS1_3genE4ELNS1_11target_archE910ELNS1_3gpuE8ELNS1_3repE0EEENS1_30default_config_static_selectorELNS0_4arch9wavefront6targetE1EEEvT1_.kd
    .uniform_work_group_size: 1
    .uses_dynamic_stack: false
    .vgpr_count:     106
    .vgpr_spill_count: 0
    .wavefront_size: 64
  - .agpr_count:     0
    .args:
      - .offset:         0
        .size:           120
        .value_kind:     by_value
    .group_segment_fixed_size: 0
    .kernarg_segment_align: 8
    .kernarg_segment_size: 120
    .language:       OpenCL C
    .language_version:
      - 2
      - 0
    .max_flat_workgroup_size: 256
    .name:           _ZN7rocprim17ROCPRIM_400000_NS6detail17trampoline_kernelINS0_14default_configENS1_29reduce_by_key_config_selectorIiiN6thrust23THRUST_200600_302600_NS4plusIiEEEEZZNS1_33reduce_by_key_impl_wrapped_configILNS1_25lookback_scan_determinismE0ES3_S9_NS6_6detail15normal_iteratorINS6_10device_ptrIiEEEESG_SG_SG_PmS8_22is_equal_div_10_reduceIiEEE10hipError_tPvRmT2_T3_mT4_T5_T6_T7_T8_P12ihipStream_tbENKUlT_T0_E_clISt17integral_constantIbLb0EES11_EEDaSW_SX_EUlSW_E_NS1_11comp_targetILNS1_3genE3ELNS1_11target_archE908ELNS1_3gpuE7ELNS1_3repE0EEENS1_30default_config_static_selectorELNS0_4arch9wavefront6targetE1EEEvT1_
    .private_segment_fixed_size: 0
    .sgpr_count:     4
    .sgpr_spill_count: 0
    .symbol:         _ZN7rocprim17ROCPRIM_400000_NS6detail17trampoline_kernelINS0_14default_configENS1_29reduce_by_key_config_selectorIiiN6thrust23THRUST_200600_302600_NS4plusIiEEEEZZNS1_33reduce_by_key_impl_wrapped_configILNS1_25lookback_scan_determinismE0ES3_S9_NS6_6detail15normal_iteratorINS6_10device_ptrIiEEEESG_SG_SG_PmS8_22is_equal_div_10_reduceIiEEE10hipError_tPvRmT2_T3_mT4_T5_T6_T7_T8_P12ihipStream_tbENKUlT_T0_E_clISt17integral_constantIbLb0EES11_EEDaSW_SX_EUlSW_E_NS1_11comp_targetILNS1_3genE3ELNS1_11target_archE908ELNS1_3gpuE7ELNS1_3repE0EEENS1_30default_config_static_selectorELNS0_4arch9wavefront6targetE1EEEvT1_.kd
    .uniform_work_group_size: 1
    .uses_dynamic_stack: false
    .vgpr_count:     0
    .vgpr_spill_count: 0
    .wavefront_size: 64
  - .agpr_count:     0
    .args:
      - .offset:         0
        .size:           120
        .value_kind:     by_value
    .group_segment_fixed_size: 0
    .kernarg_segment_align: 8
    .kernarg_segment_size: 120
    .language:       OpenCL C
    .language_version:
      - 2
      - 0
    .max_flat_workgroup_size: 256
    .name:           _ZN7rocprim17ROCPRIM_400000_NS6detail17trampoline_kernelINS0_14default_configENS1_29reduce_by_key_config_selectorIiiN6thrust23THRUST_200600_302600_NS4plusIiEEEEZZNS1_33reduce_by_key_impl_wrapped_configILNS1_25lookback_scan_determinismE0ES3_S9_NS6_6detail15normal_iteratorINS6_10device_ptrIiEEEESG_SG_SG_PmS8_22is_equal_div_10_reduceIiEEE10hipError_tPvRmT2_T3_mT4_T5_T6_T7_T8_P12ihipStream_tbENKUlT_T0_E_clISt17integral_constantIbLb0EES11_EEDaSW_SX_EUlSW_E_NS1_11comp_targetILNS1_3genE2ELNS1_11target_archE906ELNS1_3gpuE6ELNS1_3repE0EEENS1_30default_config_static_selectorELNS0_4arch9wavefront6targetE1EEEvT1_
    .private_segment_fixed_size: 0
    .sgpr_count:     4
    .sgpr_spill_count: 0
    .symbol:         _ZN7rocprim17ROCPRIM_400000_NS6detail17trampoline_kernelINS0_14default_configENS1_29reduce_by_key_config_selectorIiiN6thrust23THRUST_200600_302600_NS4plusIiEEEEZZNS1_33reduce_by_key_impl_wrapped_configILNS1_25lookback_scan_determinismE0ES3_S9_NS6_6detail15normal_iteratorINS6_10device_ptrIiEEEESG_SG_SG_PmS8_22is_equal_div_10_reduceIiEEE10hipError_tPvRmT2_T3_mT4_T5_T6_T7_T8_P12ihipStream_tbENKUlT_T0_E_clISt17integral_constantIbLb0EES11_EEDaSW_SX_EUlSW_E_NS1_11comp_targetILNS1_3genE2ELNS1_11target_archE906ELNS1_3gpuE6ELNS1_3repE0EEENS1_30default_config_static_selectorELNS0_4arch9wavefront6targetE1EEEvT1_.kd
    .uniform_work_group_size: 1
    .uses_dynamic_stack: false
    .vgpr_count:     0
    .vgpr_spill_count: 0
    .wavefront_size: 64
  - .agpr_count:     0
    .args:
      - .offset:         0
        .size:           120
        .value_kind:     by_value
    .group_segment_fixed_size: 0
    .kernarg_segment_align: 8
    .kernarg_segment_size: 120
    .language:       OpenCL C
    .language_version:
      - 2
      - 0
    .max_flat_workgroup_size: 256
    .name:           _ZN7rocprim17ROCPRIM_400000_NS6detail17trampoline_kernelINS0_14default_configENS1_29reduce_by_key_config_selectorIiiN6thrust23THRUST_200600_302600_NS4plusIiEEEEZZNS1_33reduce_by_key_impl_wrapped_configILNS1_25lookback_scan_determinismE0ES3_S9_NS6_6detail15normal_iteratorINS6_10device_ptrIiEEEESG_SG_SG_PmS8_22is_equal_div_10_reduceIiEEE10hipError_tPvRmT2_T3_mT4_T5_T6_T7_T8_P12ihipStream_tbENKUlT_T0_E_clISt17integral_constantIbLb0EES11_EEDaSW_SX_EUlSW_E_NS1_11comp_targetILNS1_3genE10ELNS1_11target_archE1201ELNS1_3gpuE5ELNS1_3repE0EEENS1_30default_config_static_selectorELNS0_4arch9wavefront6targetE1EEEvT1_
    .private_segment_fixed_size: 0
    .sgpr_count:     4
    .sgpr_spill_count: 0
    .symbol:         _ZN7rocprim17ROCPRIM_400000_NS6detail17trampoline_kernelINS0_14default_configENS1_29reduce_by_key_config_selectorIiiN6thrust23THRUST_200600_302600_NS4plusIiEEEEZZNS1_33reduce_by_key_impl_wrapped_configILNS1_25lookback_scan_determinismE0ES3_S9_NS6_6detail15normal_iteratorINS6_10device_ptrIiEEEESG_SG_SG_PmS8_22is_equal_div_10_reduceIiEEE10hipError_tPvRmT2_T3_mT4_T5_T6_T7_T8_P12ihipStream_tbENKUlT_T0_E_clISt17integral_constantIbLb0EES11_EEDaSW_SX_EUlSW_E_NS1_11comp_targetILNS1_3genE10ELNS1_11target_archE1201ELNS1_3gpuE5ELNS1_3repE0EEENS1_30default_config_static_selectorELNS0_4arch9wavefront6targetE1EEEvT1_.kd
    .uniform_work_group_size: 1
    .uses_dynamic_stack: false
    .vgpr_count:     0
    .vgpr_spill_count: 0
    .wavefront_size: 64
  - .agpr_count:     0
    .args:
      - .offset:         0
        .size:           120
        .value_kind:     by_value
    .group_segment_fixed_size: 0
    .kernarg_segment_align: 8
    .kernarg_segment_size: 120
    .language:       OpenCL C
    .language_version:
      - 2
      - 0
    .max_flat_workgroup_size: 256
    .name:           _ZN7rocprim17ROCPRIM_400000_NS6detail17trampoline_kernelINS0_14default_configENS1_29reduce_by_key_config_selectorIiiN6thrust23THRUST_200600_302600_NS4plusIiEEEEZZNS1_33reduce_by_key_impl_wrapped_configILNS1_25lookback_scan_determinismE0ES3_S9_NS6_6detail15normal_iteratorINS6_10device_ptrIiEEEESG_SG_SG_PmS8_22is_equal_div_10_reduceIiEEE10hipError_tPvRmT2_T3_mT4_T5_T6_T7_T8_P12ihipStream_tbENKUlT_T0_E_clISt17integral_constantIbLb0EES11_EEDaSW_SX_EUlSW_E_NS1_11comp_targetILNS1_3genE10ELNS1_11target_archE1200ELNS1_3gpuE4ELNS1_3repE0EEENS1_30default_config_static_selectorELNS0_4arch9wavefront6targetE1EEEvT1_
    .private_segment_fixed_size: 0
    .sgpr_count:     4
    .sgpr_spill_count: 0
    .symbol:         _ZN7rocprim17ROCPRIM_400000_NS6detail17trampoline_kernelINS0_14default_configENS1_29reduce_by_key_config_selectorIiiN6thrust23THRUST_200600_302600_NS4plusIiEEEEZZNS1_33reduce_by_key_impl_wrapped_configILNS1_25lookback_scan_determinismE0ES3_S9_NS6_6detail15normal_iteratorINS6_10device_ptrIiEEEESG_SG_SG_PmS8_22is_equal_div_10_reduceIiEEE10hipError_tPvRmT2_T3_mT4_T5_T6_T7_T8_P12ihipStream_tbENKUlT_T0_E_clISt17integral_constantIbLb0EES11_EEDaSW_SX_EUlSW_E_NS1_11comp_targetILNS1_3genE10ELNS1_11target_archE1200ELNS1_3gpuE4ELNS1_3repE0EEENS1_30default_config_static_selectorELNS0_4arch9wavefront6targetE1EEEvT1_.kd
    .uniform_work_group_size: 1
    .uses_dynamic_stack: false
    .vgpr_count:     0
    .vgpr_spill_count: 0
    .wavefront_size: 64
  - .agpr_count:     0
    .args:
      - .offset:         0
        .size:           120
        .value_kind:     by_value
    .group_segment_fixed_size: 0
    .kernarg_segment_align: 8
    .kernarg_segment_size: 120
    .language:       OpenCL C
    .language_version:
      - 2
      - 0
    .max_flat_workgroup_size: 256
    .name:           _ZN7rocprim17ROCPRIM_400000_NS6detail17trampoline_kernelINS0_14default_configENS1_29reduce_by_key_config_selectorIiiN6thrust23THRUST_200600_302600_NS4plusIiEEEEZZNS1_33reduce_by_key_impl_wrapped_configILNS1_25lookback_scan_determinismE0ES3_S9_NS6_6detail15normal_iteratorINS6_10device_ptrIiEEEESG_SG_SG_PmS8_22is_equal_div_10_reduceIiEEE10hipError_tPvRmT2_T3_mT4_T5_T6_T7_T8_P12ihipStream_tbENKUlT_T0_E_clISt17integral_constantIbLb0EES11_EEDaSW_SX_EUlSW_E_NS1_11comp_targetILNS1_3genE9ELNS1_11target_archE1100ELNS1_3gpuE3ELNS1_3repE0EEENS1_30default_config_static_selectorELNS0_4arch9wavefront6targetE1EEEvT1_
    .private_segment_fixed_size: 0
    .sgpr_count:     4
    .sgpr_spill_count: 0
    .symbol:         _ZN7rocprim17ROCPRIM_400000_NS6detail17trampoline_kernelINS0_14default_configENS1_29reduce_by_key_config_selectorIiiN6thrust23THRUST_200600_302600_NS4plusIiEEEEZZNS1_33reduce_by_key_impl_wrapped_configILNS1_25lookback_scan_determinismE0ES3_S9_NS6_6detail15normal_iteratorINS6_10device_ptrIiEEEESG_SG_SG_PmS8_22is_equal_div_10_reduceIiEEE10hipError_tPvRmT2_T3_mT4_T5_T6_T7_T8_P12ihipStream_tbENKUlT_T0_E_clISt17integral_constantIbLb0EES11_EEDaSW_SX_EUlSW_E_NS1_11comp_targetILNS1_3genE9ELNS1_11target_archE1100ELNS1_3gpuE3ELNS1_3repE0EEENS1_30default_config_static_selectorELNS0_4arch9wavefront6targetE1EEEvT1_.kd
    .uniform_work_group_size: 1
    .uses_dynamic_stack: false
    .vgpr_count:     0
    .vgpr_spill_count: 0
    .wavefront_size: 64
  - .agpr_count:     0
    .args:
      - .offset:         0
        .size:           120
        .value_kind:     by_value
    .group_segment_fixed_size: 0
    .kernarg_segment_align: 8
    .kernarg_segment_size: 120
    .language:       OpenCL C
    .language_version:
      - 2
      - 0
    .max_flat_workgroup_size: 256
    .name:           _ZN7rocprim17ROCPRIM_400000_NS6detail17trampoline_kernelINS0_14default_configENS1_29reduce_by_key_config_selectorIiiN6thrust23THRUST_200600_302600_NS4plusIiEEEEZZNS1_33reduce_by_key_impl_wrapped_configILNS1_25lookback_scan_determinismE0ES3_S9_NS6_6detail15normal_iteratorINS6_10device_ptrIiEEEESG_SG_SG_PmS8_22is_equal_div_10_reduceIiEEE10hipError_tPvRmT2_T3_mT4_T5_T6_T7_T8_P12ihipStream_tbENKUlT_T0_E_clISt17integral_constantIbLb0EES11_EEDaSW_SX_EUlSW_E_NS1_11comp_targetILNS1_3genE8ELNS1_11target_archE1030ELNS1_3gpuE2ELNS1_3repE0EEENS1_30default_config_static_selectorELNS0_4arch9wavefront6targetE1EEEvT1_
    .private_segment_fixed_size: 0
    .sgpr_count:     4
    .sgpr_spill_count: 0
    .symbol:         _ZN7rocprim17ROCPRIM_400000_NS6detail17trampoline_kernelINS0_14default_configENS1_29reduce_by_key_config_selectorIiiN6thrust23THRUST_200600_302600_NS4plusIiEEEEZZNS1_33reduce_by_key_impl_wrapped_configILNS1_25lookback_scan_determinismE0ES3_S9_NS6_6detail15normal_iteratorINS6_10device_ptrIiEEEESG_SG_SG_PmS8_22is_equal_div_10_reduceIiEEE10hipError_tPvRmT2_T3_mT4_T5_T6_T7_T8_P12ihipStream_tbENKUlT_T0_E_clISt17integral_constantIbLb0EES11_EEDaSW_SX_EUlSW_E_NS1_11comp_targetILNS1_3genE8ELNS1_11target_archE1030ELNS1_3gpuE2ELNS1_3repE0EEENS1_30default_config_static_selectorELNS0_4arch9wavefront6targetE1EEEvT1_.kd
    .uniform_work_group_size: 1
    .uses_dynamic_stack: false
    .vgpr_count:     0
    .vgpr_spill_count: 0
    .wavefront_size: 64
  - .agpr_count:     0
    .args:
      - .offset:         0
        .size:           120
        .value_kind:     by_value
    .group_segment_fixed_size: 0
    .kernarg_segment_align: 8
    .kernarg_segment_size: 120
    .language:       OpenCL C
    .language_version:
      - 2
      - 0
    .max_flat_workgroup_size: 256
    .name:           _ZN7rocprim17ROCPRIM_400000_NS6detail17trampoline_kernelINS0_14default_configENS1_29reduce_by_key_config_selectorIiiN6thrust23THRUST_200600_302600_NS4plusIiEEEEZZNS1_33reduce_by_key_impl_wrapped_configILNS1_25lookback_scan_determinismE0ES3_S9_NS6_6detail15normal_iteratorINS6_10device_ptrIiEEEESG_SG_SG_PmS8_22is_equal_div_10_reduceIiEEE10hipError_tPvRmT2_T3_mT4_T5_T6_T7_T8_P12ihipStream_tbENKUlT_T0_E_clISt17integral_constantIbLb1EES11_EEDaSW_SX_EUlSW_E_NS1_11comp_targetILNS1_3genE0ELNS1_11target_archE4294967295ELNS1_3gpuE0ELNS1_3repE0EEENS1_30default_config_static_selectorELNS0_4arch9wavefront6targetE1EEEvT1_
    .private_segment_fixed_size: 0
    .sgpr_count:     4
    .sgpr_spill_count: 0
    .symbol:         _ZN7rocprim17ROCPRIM_400000_NS6detail17trampoline_kernelINS0_14default_configENS1_29reduce_by_key_config_selectorIiiN6thrust23THRUST_200600_302600_NS4plusIiEEEEZZNS1_33reduce_by_key_impl_wrapped_configILNS1_25lookback_scan_determinismE0ES3_S9_NS6_6detail15normal_iteratorINS6_10device_ptrIiEEEESG_SG_SG_PmS8_22is_equal_div_10_reduceIiEEE10hipError_tPvRmT2_T3_mT4_T5_T6_T7_T8_P12ihipStream_tbENKUlT_T0_E_clISt17integral_constantIbLb1EES11_EEDaSW_SX_EUlSW_E_NS1_11comp_targetILNS1_3genE0ELNS1_11target_archE4294967295ELNS1_3gpuE0ELNS1_3repE0EEENS1_30default_config_static_selectorELNS0_4arch9wavefront6targetE1EEEvT1_.kd
    .uniform_work_group_size: 1
    .uses_dynamic_stack: false
    .vgpr_count:     0
    .vgpr_spill_count: 0
    .wavefront_size: 64
  - .agpr_count:     0
    .args:
      - .offset:         0
        .size:           120
        .value_kind:     by_value
    .group_segment_fixed_size: 0
    .kernarg_segment_align: 8
    .kernarg_segment_size: 120
    .language:       OpenCL C
    .language_version:
      - 2
      - 0
    .max_flat_workgroup_size: 256
    .name:           _ZN7rocprim17ROCPRIM_400000_NS6detail17trampoline_kernelINS0_14default_configENS1_29reduce_by_key_config_selectorIiiN6thrust23THRUST_200600_302600_NS4plusIiEEEEZZNS1_33reduce_by_key_impl_wrapped_configILNS1_25lookback_scan_determinismE0ES3_S9_NS6_6detail15normal_iteratorINS6_10device_ptrIiEEEESG_SG_SG_PmS8_22is_equal_div_10_reduceIiEEE10hipError_tPvRmT2_T3_mT4_T5_T6_T7_T8_P12ihipStream_tbENKUlT_T0_E_clISt17integral_constantIbLb1EES11_EEDaSW_SX_EUlSW_E_NS1_11comp_targetILNS1_3genE5ELNS1_11target_archE942ELNS1_3gpuE9ELNS1_3repE0EEENS1_30default_config_static_selectorELNS0_4arch9wavefront6targetE1EEEvT1_
    .private_segment_fixed_size: 0
    .sgpr_count:     4
    .sgpr_spill_count: 0
    .symbol:         _ZN7rocprim17ROCPRIM_400000_NS6detail17trampoline_kernelINS0_14default_configENS1_29reduce_by_key_config_selectorIiiN6thrust23THRUST_200600_302600_NS4plusIiEEEEZZNS1_33reduce_by_key_impl_wrapped_configILNS1_25lookback_scan_determinismE0ES3_S9_NS6_6detail15normal_iteratorINS6_10device_ptrIiEEEESG_SG_SG_PmS8_22is_equal_div_10_reduceIiEEE10hipError_tPvRmT2_T3_mT4_T5_T6_T7_T8_P12ihipStream_tbENKUlT_T0_E_clISt17integral_constantIbLb1EES11_EEDaSW_SX_EUlSW_E_NS1_11comp_targetILNS1_3genE5ELNS1_11target_archE942ELNS1_3gpuE9ELNS1_3repE0EEENS1_30default_config_static_selectorELNS0_4arch9wavefront6targetE1EEEvT1_.kd
    .uniform_work_group_size: 1
    .uses_dynamic_stack: false
    .vgpr_count:     0
    .vgpr_spill_count: 0
    .wavefront_size: 64
  - .agpr_count:     0
    .args:
      - .offset:         0
        .size:           120
        .value_kind:     by_value
    .group_segment_fixed_size: 15360
    .kernarg_segment_align: 8
    .kernarg_segment_size: 120
    .language:       OpenCL C
    .language_version:
      - 2
      - 0
    .max_flat_workgroup_size: 256
    .name:           _ZN7rocprim17ROCPRIM_400000_NS6detail17trampoline_kernelINS0_14default_configENS1_29reduce_by_key_config_selectorIiiN6thrust23THRUST_200600_302600_NS4plusIiEEEEZZNS1_33reduce_by_key_impl_wrapped_configILNS1_25lookback_scan_determinismE0ES3_S9_NS6_6detail15normal_iteratorINS6_10device_ptrIiEEEESG_SG_SG_PmS8_22is_equal_div_10_reduceIiEEE10hipError_tPvRmT2_T3_mT4_T5_T6_T7_T8_P12ihipStream_tbENKUlT_T0_E_clISt17integral_constantIbLb1EES11_EEDaSW_SX_EUlSW_E_NS1_11comp_targetILNS1_3genE4ELNS1_11target_archE910ELNS1_3gpuE8ELNS1_3repE0EEENS1_30default_config_static_selectorELNS0_4arch9wavefront6targetE1EEEvT1_
    .private_segment_fixed_size: 0
    .sgpr_count:     70
    .sgpr_spill_count: 0
    .symbol:         _ZN7rocprim17ROCPRIM_400000_NS6detail17trampoline_kernelINS0_14default_configENS1_29reduce_by_key_config_selectorIiiN6thrust23THRUST_200600_302600_NS4plusIiEEEEZZNS1_33reduce_by_key_impl_wrapped_configILNS1_25lookback_scan_determinismE0ES3_S9_NS6_6detail15normal_iteratorINS6_10device_ptrIiEEEESG_SG_SG_PmS8_22is_equal_div_10_reduceIiEEE10hipError_tPvRmT2_T3_mT4_T5_T6_T7_T8_P12ihipStream_tbENKUlT_T0_E_clISt17integral_constantIbLb1EES11_EEDaSW_SX_EUlSW_E_NS1_11comp_targetILNS1_3genE4ELNS1_11target_archE910ELNS1_3gpuE8ELNS1_3repE0EEENS1_30default_config_static_selectorELNS0_4arch9wavefront6targetE1EEEvT1_.kd
    .uniform_work_group_size: 1
    .uses_dynamic_stack: false
    .vgpr_count:     108
    .vgpr_spill_count: 0
    .wavefront_size: 64
  - .agpr_count:     0
    .args:
      - .offset:         0
        .size:           120
        .value_kind:     by_value
    .group_segment_fixed_size: 0
    .kernarg_segment_align: 8
    .kernarg_segment_size: 120
    .language:       OpenCL C
    .language_version:
      - 2
      - 0
    .max_flat_workgroup_size: 256
    .name:           _ZN7rocprim17ROCPRIM_400000_NS6detail17trampoline_kernelINS0_14default_configENS1_29reduce_by_key_config_selectorIiiN6thrust23THRUST_200600_302600_NS4plusIiEEEEZZNS1_33reduce_by_key_impl_wrapped_configILNS1_25lookback_scan_determinismE0ES3_S9_NS6_6detail15normal_iteratorINS6_10device_ptrIiEEEESG_SG_SG_PmS8_22is_equal_div_10_reduceIiEEE10hipError_tPvRmT2_T3_mT4_T5_T6_T7_T8_P12ihipStream_tbENKUlT_T0_E_clISt17integral_constantIbLb1EES11_EEDaSW_SX_EUlSW_E_NS1_11comp_targetILNS1_3genE3ELNS1_11target_archE908ELNS1_3gpuE7ELNS1_3repE0EEENS1_30default_config_static_selectorELNS0_4arch9wavefront6targetE1EEEvT1_
    .private_segment_fixed_size: 0
    .sgpr_count:     4
    .sgpr_spill_count: 0
    .symbol:         _ZN7rocprim17ROCPRIM_400000_NS6detail17trampoline_kernelINS0_14default_configENS1_29reduce_by_key_config_selectorIiiN6thrust23THRUST_200600_302600_NS4plusIiEEEEZZNS1_33reduce_by_key_impl_wrapped_configILNS1_25lookback_scan_determinismE0ES3_S9_NS6_6detail15normal_iteratorINS6_10device_ptrIiEEEESG_SG_SG_PmS8_22is_equal_div_10_reduceIiEEE10hipError_tPvRmT2_T3_mT4_T5_T6_T7_T8_P12ihipStream_tbENKUlT_T0_E_clISt17integral_constantIbLb1EES11_EEDaSW_SX_EUlSW_E_NS1_11comp_targetILNS1_3genE3ELNS1_11target_archE908ELNS1_3gpuE7ELNS1_3repE0EEENS1_30default_config_static_selectorELNS0_4arch9wavefront6targetE1EEEvT1_.kd
    .uniform_work_group_size: 1
    .uses_dynamic_stack: false
    .vgpr_count:     0
    .vgpr_spill_count: 0
    .wavefront_size: 64
  - .agpr_count:     0
    .args:
      - .offset:         0
        .size:           120
        .value_kind:     by_value
    .group_segment_fixed_size: 0
    .kernarg_segment_align: 8
    .kernarg_segment_size: 120
    .language:       OpenCL C
    .language_version:
      - 2
      - 0
    .max_flat_workgroup_size: 256
    .name:           _ZN7rocprim17ROCPRIM_400000_NS6detail17trampoline_kernelINS0_14default_configENS1_29reduce_by_key_config_selectorIiiN6thrust23THRUST_200600_302600_NS4plusIiEEEEZZNS1_33reduce_by_key_impl_wrapped_configILNS1_25lookback_scan_determinismE0ES3_S9_NS6_6detail15normal_iteratorINS6_10device_ptrIiEEEESG_SG_SG_PmS8_22is_equal_div_10_reduceIiEEE10hipError_tPvRmT2_T3_mT4_T5_T6_T7_T8_P12ihipStream_tbENKUlT_T0_E_clISt17integral_constantIbLb1EES11_EEDaSW_SX_EUlSW_E_NS1_11comp_targetILNS1_3genE2ELNS1_11target_archE906ELNS1_3gpuE6ELNS1_3repE0EEENS1_30default_config_static_selectorELNS0_4arch9wavefront6targetE1EEEvT1_
    .private_segment_fixed_size: 0
    .sgpr_count:     4
    .sgpr_spill_count: 0
    .symbol:         _ZN7rocprim17ROCPRIM_400000_NS6detail17trampoline_kernelINS0_14default_configENS1_29reduce_by_key_config_selectorIiiN6thrust23THRUST_200600_302600_NS4plusIiEEEEZZNS1_33reduce_by_key_impl_wrapped_configILNS1_25lookback_scan_determinismE0ES3_S9_NS6_6detail15normal_iteratorINS6_10device_ptrIiEEEESG_SG_SG_PmS8_22is_equal_div_10_reduceIiEEE10hipError_tPvRmT2_T3_mT4_T5_T6_T7_T8_P12ihipStream_tbENKUlT_T0_E_clISt17integral_constantIbLb1EES11_EEDaSW_SX_EUlSW_E_NS1_11comp_targetILNS1_3genE2ELNS1_11target_archE906ELNS1_3gpuE6ELNS1_3repE0EEENS1_30default_config_static_selectorELNS0_4arch9wavefront6targetE1EEEvT1_.kd
    .uniform_work_group_size: 1
    .uses_dynamic_stack: false
    .vgpr_count:     0
    .vgpr_spill_count: 0
    .wavefront_size: 64
  - .agpr_count:     0
    .args:
      - .offset:         0
        .size:           120
        .value_kind:     by_value
    .group_segment_fixed_size: 0
    .kernarg_segment_align: 8
    .kernarg_segment_size: 120
    .language:       OpenCL C
    .language_version:
      - 2
      - 0
    .max_flat_workgroup_size: 256
    .name:           _ZN7rocprim17ROCPRIM_400000_NS6detail17trampoline_kernelINS0_14default_configENS1_29reduce_by_key_config_selectorIiiN6thrust23THRUST_200600_302600_NS4plusIiEEEEZZNS1_33reduce_by_key_impl_wrapped_configILNS1_25lookback_scan_determinismE0ES3_S9_NS6_6detail15normal_iteratorINS6_10device_ptrIiEEEESG_SG_SG_PmS8_22is_equal_div_10_reduceIiEEE10hipError_tPvRmT2_T3_mT4_T5_T6_T7_T8_P12ihipStream_tbENKUlT_T0_E_clISt17integral_constantIbLb1EES11_EEDaSW_SX_EUlSW_E_NS1_11comp_targetILNS1_3genE10ELNS1_11target_archE1201ELNS1_3gpuE5ELNS1_3repE0EEENS1_30default_config_static_selectorELNS0_4arch9wavefront6targetE1EEEvT1_
    .private_segment_fixed_size: 0
    .sgpr_count:     4
    .sgpr_spill_count: 0
    .symbol:         _ZN7rocprim17ROCPRIM_400000_NS6detail17trampoline_kernelINS0_14default_configENS1_29reduce_by_key_config_selectorIiiN6thrust23THRUST_200600_302600_NS4plusIiEEEEZZNS1_33reduce_by_key_impl_wrapped_configILNS1_25lookback_scan_determinismE0ES3_S9_NS6_6detail15normal_iteratorINS6_10device_ptrIiEEEESG_SG_SG_PmS8_22is_equal_div_10_reduceIiEEE10hipError_tPvRmT2_T3_mT4_T5_T6_T7_T8_P12ihipStream_tbENKUlT_T0_E_clISt17integral_constantIbLb1EES11_EEDaSW_SX_EUlSW_E_NS1_11comp_targetILNS1_3genE10ELNS1_11target_archE1201ELNS1_3gpuE5ELNS1_3repE0EEENS1_30default_config_static_selectorELNS0_4arch9wavefront6targetE1EEEvT1_.kd
    .uniform_work_group_size: 1
    .uses_dynamic_stack: false
    .vgpr_count:     0
    .vgpr_spill_count: 0
    .wavefront_size: 64
  - .agpr_count:     0
    .args:
      - .offset:         0
        .size:           120
        .value_kind:     by_value
    .group_segment_fixed_size: 0
    .kernarg_segment_align: 8
    .kernarg_segment_size: 120
    .language:       OpenCL C
    .language_version:
      - 2
      - 0
    .max_flat_workgroup_size: 256
    .name:           _ZN7rocprim17ROCPRIM_400000_NS6detail17trampoline_kernelINS0_14default_configENS1_29reduce_by_key_config_selectorIiiN6thrust23THRUST_200600_302600_NS4plusIiEEEEZZNS1_33reduce_by_key_impl_wrapped_configILNS1_25lookback_scan_determinismE0ES3_S9_NS6_6detail15normal_iteratorINS6_10device_ptrIiEEEESG_SG_SG_PmS8_22is_equal_div_10_reduceIiEEE10hipError_tPvRmT2_T3_mT4_T5_T6_T7_T8_P12ihipStream_tbENKUlT_T0_E_clISt17integral_constantIbLb1EES11_EEDaSW_SX_EUlSW_E_NS1_11comp_targetILNS1_3genE10ELNS1_11target_archE1200ELNS1_3gpuE4ELNS1_3repE0EEENS1_30default_config_static_selectorELNS0_4arch9wavefront6targetE1EEEvT1_
    .private_segment_fixed_size: 0
    .sgpr_count:     4
    .sgpr_spill_count: 0
    .symbol:         _ZN7rocprim17ROCPRIM_400000_NS6detail17trampoline_kernelINS0_14default_configENS1_29reduce_by_key_config_selectorIiiN6thrust23THRUST_200600_302600_NS4plusIiEEEEZZNS1_33reduce_by_key_impl_wrapped_configILNS1_25lookback_scan_determinismE0ES3_S9_NS6_6detail15normal_iteratorINS6_10device_ptrIiEEEESG_SG_SG_PmS8_22is_equal_div_10_reduceIiEEE10hipError_tPvRmT2_T3_mT4_T5_T6_T7_T8_P12ihipStream_tbENKUlT_T0_E_clISt17integral_constantIbLb1EES11_EEDaSW_SX_EUlSW_E_NS1_11comp_targetILNS1_3genE10ELNS1_11target_archE1200ELNS1_3gpuE4ELNS1_3repE0EEENS1_30default_config_static_selectorELNS0_4arch9wavefront6targetE1EEEvT1_.kd
    .uniform_work_group_size: 1
    .uses_dynamic_stack: false
    .vgpr_count:     0
    .vgpr_spill_count: 0
    .wavefront_size: 64
  - .agpr_count:     0
    .args:
      - .offset:         0
        .size:           120
        .value_kind:     by_value
    .group_segment_fixed_size: 0
    .kernarg_segment_align: 8
    .kernarg_segment_size: 120
    .language:       OpenCL C
    .language_version:
      - 2
      - 0
    .max_flat_workgroup_size: 256
    .name:           _ZN7rocprim17ROCPRIM_400000_NS6detail17trampoline_kernelINS0_14default_configENS1_29reduce_by_key_config_selectorIiiN6thrust23THRUST_200600_302600_NS4plusIiEEEEZZNS1_33reduce_by_key_impl_wrapped_configILNS1_25lookback_scan_determinismE0ES3_S9_NS6_6detail15normal_iteratorINS6_10device_ptrIiEEEESG_SG_SG_PmS8_22is_equal_div_10_reduceIiEEE10hipError_tPvRmT2_T3_mT4_T5_T6_T7_T8_P12ihipStream_tbENKUlT_T0_E_clISt17integral_constantIbLb1EES11_EEDaSW_SX_EUlSW_E_NS1_11comp_targetILNS1_3genE9ELNS1_11target_archE1100ELNS1_3gpuE3ELNS1_3repE0EEENS1_30default_config_static_selectorELNS0_4arch9wavefront6targetE1EEEvT1_
    .private_segment_fixed_size: 0
    .sgpr_count:     4
    .sgpr_spill_count: 0
    .symbol:         _ZN7rocprim17ROCPRIM_400000_NS6detail17trampoline_kernelINS0_14default_configENS1_29reduce_by_key_config_selectorIiiN6thrust23THRUST_200600_302600_NS4plusIiEEEEZZNS1_33reduce_by_key_impl_wrapped_configILNS1_25lookback_scan_determinismE0ES3_S9_NS6_6detail15normal_iteratorINS6_10device_ptrIiEEEESG_SG_SG_PmS8_22is_equal_div_10_reduceIiEEE10hipError_tPvRmT2_T3_mT4_T5_T6_T7_T8_P12ihipStream_tbENKUlT_T0_E_clISt17integral_constantIbLb1EES11_EEDaSW_SX_EUlSW_E_NS1_11comp_targetILNS1_3genE9ELNS1_11target_archE1100ELNS1_3gpuE3ELNS1_3repE0EEENS1_30default_config_static_selectorELNS0_4arch9wavefront6targetE1EEEvT1_.kd
    .uniform_work_group_size: 1
    .uses_dynamic_stack: false
    .vgpr_count:     0
    .vgpr_spill_count: 0
    .wavefront_size: 64
  - .agpr_count:     0
    .args:
      - .offset:         0
        .size:           120
        .value_kind:     by_value
    .group_segment_fixed_size: 0
    .kernarg_segment_align: 8
    .kernarg_segment_size: 120
    .language:       OpenCL C
    .language_version:
      - 2
      - 0
    .max_flat_workgroup_size: 256
    .name:           _ZN7rocprim17ROCPRIM_400000_NS6detail17trampoline_kernelINS0_14default_configENS1_29reduce_by_key_config_selectorIiiN6thrust23THRUST_200600_302600_NS4plusIiEEEEZZNS1_33reduce_by_key_impl_wrapped_configILNS1_25lookback_scan_determinismE0ES3_S9_NS6_6detail15normal_iteratorINS6_10device_ptrIiEEEESG_SG_SG_PmS8_22is_equal_div_10_reduceIiEEE10hipError_tPvRmT2_T3_mT4_T5_T6_T7_T8_P12ihipStream_tbENKUlT_T0_E_clISt17integral_constantIbLb1EES11_EEDaSW_SX_EUlSW_E_NS1_11comp_targetILNS1_3genE8ELNS1_11target_archE1030ELNS1_3gpuE2ELNS1_3repE0EEENS1_30default_config_static_selectorELNS0_4arch9wavefront6targetE1EEEvT1_
    .private_segment_fixed_size: 0
    .sgpr_count:     4
    .sgpr_spill_count: 0
    .symbol:         _ZN7rocprim17ROCPRIM_400000_NS6detail17trampoline_kernelINS0_14default_configENS1_29reduce_by_key_config_selectorIiiN6thrust23THRUST_200600_302600_NS4plusIiEEEEZZNS1_33reduce_by_key_impl_wrapped_configILNS1_25lookback_scan_determinismE0ES3_S9_NS6_6detail15normal_iteratorINS6_10device_ptrIiEEEESG_SG_SG_PmS8_22is_equal_div_10_reduceIiEEE10hipError_tPvRmT2_T3_mT4_T5_T6_T7_T8_P12ihipStream_tbENKUlT_T0_E_clISt17integral_constantIbLb1EES11_EEDaSW_SX_EUlSW_E_NS1_11comp_targetILNS1_3genE8ELNS1_11target_archE1030ELNS1_3gpuE2ELNS1_3repE0EEENS1_30default_config_static_selectorELNS0_4arch9wavefront6targetE1EEEvT1_.kd
    .uniform_work_group_size: 1
    .uses_dynamic_stack: false
    .vgpr_count:     0
    .vgpr_spill_count: 0
    .wavefront_size: 64
  - .agpr_count:     0
    .args:
      - .offset:         0
        .size:           120
        .value_kind:     by_value
    .group_segment_fixed_size: 0
    .kernarg_segment_align: 8
    .kernarg_segment_size: 120
    .language:       OpenCL C
    .language_version:
      - 2
      - 0
    .max_flat_workgroup_size: 256
    .name:           _ZN7rocprim17ROCPRIM_400000_NS6detail17trampoline_kernelINS0_14default_configENS1_29reduce_by_key_config_selectorIiiN6thrust23THRUST_200600_302600_NS4plusIiEEEEZZNS1_33reduce_by_key_impl_wrapped_configILNS1_25lookback_scan_determinismE0ES3_S9_NS6_6detail15normal_iteratorINS6_10device_ptrIiEEEESG_SG_SG_PmS8_22is_equal_div_10_reduceIiEEE10hipError_tPvRmT2_T3_mT4_T5_T6_T7_T8_P12ihipStream_tbENKUlT_T0_E_clISt17integral_constantIbLb1EES10_IbLb0EEEEDaSW_SX_EUlSW_E_NS1_11comp_targetILNS1_3genE0ELNS1_11target_archE4294967295ELNS1_3gpuE0ELNS1_3repE0EEENS1_30default_config_static_selectorELNS0_4arch9wavefront6targetE1EEEvT1_
    .private_segment_fixed_size: 0
    .sgpr_count:     4
    .sgpr_spill_count: 0
    .symbol:         _ZN7rocprim17ROCPRIM_400000_NS6detail17trampoline_kernelINS0_14default_configENS1_29reduce_by_key_config_selectorIiiN6thrust23THRUST_200600_302600_NS4plusIiEEEEZZNS1_33reduce_by_key_impl_wrapped_configILNS1_25lookback_scan_determinismE0ES3_S9_NS6_6detail15normal_iteratorINS6_10device_ptrIiEEEESG_SG_SG_PmS8_22is_equal_div_10_reduceIiEEE10hipError_tPvRmT2_T3_mT4_T5_T6_T7_T8_P12ihipStream_tbENKUlT_T0_E_clISt17integral_constantIbLb1EES10_IbLb0EEEEDaSW_SX_EUlSW_E_NS1_11comp_targetILNS1_3genE0ELNS1_11target_archE4294967295ELNS1_3gpuE0ELNS1_3repE0EEENS1_30default_config_static_selectorELNS0_4arch9wavefront6targetE1EEEvT1_.kd
    .uniform_work_group_size: 1
    .uses_dynamic_stack: false
    .vgpr_count:     0
    .vgpr_spill_count: 0
    .wavefront_size: 64
  - .agpr_count:     0
    .args:
      - .offset:         0
        .size:           120
        .value_kind:     by_value
    .group_segment_fixed_size: 0
    .kernarg_segment_align: 8
    .kernarg_segment_size: 120
    .language:       OpenCL C
    .language_version:
      - 2
      - 0
    .max_flat_workgroup_size: 256
    .name:           _ZN7rocprim17ROCPRIM_400000_NS6detail17trampoline_kernelINS0_14default_configENS1_29reduce_by_key_config_selectorIiiN6thrust23THRUST_200600_302600_NS4plusIiEEEEZZNS1_33reduce_by_key_impl_wrapped_configILNS1_25lookback_scan_determinismE0ES3_S9_NS6_6detail15normal_iteratorINS6_10device_ptrIiEEEESG_SG_SG_PmS8_22is_equal_div_10_reduceIiEEE10hipError_tPvRmT2_T3_mT4_T5_T6_T7_T8_P12ihipStream_tbENKUlT_T0_E_clISt17integral_constantIbLb1EES10_IbLb0EEEEDaSW_SX_EUlSW_E_NS1_11comp_targetILNS1_3genE5ELNS1_11target_archE942ELNS1_3gpuE9ELNS1_3repE0EEENS1_30default_config_static_selectorELNS0_4arch9wavefront6targetE1EEEvT1_
    .private_segment_fixed_size: 0
    .sgpr_count:     4
    .sgpr_spill_count: 0
    .symbol:         _ZN7rocprim17ROCPRIM_400000_NS6detail17trampoline_kernelINS0_14default_configENS1_29reduce_by_key_config_selectorIiiN6thrust23THRUST_200600_302600_NS4plusIiEEEEZZNS1_33reduce_by_key_impl_wrapped_configILNS1_25lookback_scan_determinismE0ES3_S9_NS6_6detail15normal_iteratorINS6_10device_ptrIiEEEESG_SG_SG_PmS8_22is_equal_div_10_reduceIiEEE10hipError_tPvRmT2_T3_mT4_T5_T6_T7_T8_P12ihipStream_tbENKUlT_T0_E_clISt17integral_constantIbLb1EES10_IbLb0EEEEDaSW_SX_EUlSW_E_NS1_11comp_targetILNS1_3genE5ELNS1_11target_archE942ELNS1_3gpuE9ELNS1_3repE0EEENS1_30default_config_static_selectorELNS0_4arch9wavefront6targetE1EEEvT1_.kd
    .uniform_work_group_size: 1
    .uses_dynamic_stack: false
    .vgpr_count:     0
    .vgpr_spill_count: 0
    .wavefront_size: 64
  - .agpr_count:     0
    .args:
      - .offset:         0
        .size:           120
        .value_kind:     by_value
    .group_segment_fixed_size: 15360
    .kernarg_segment_align: 8
    .kernarg_segment_size: 120
    .language:       OpenCL C
    .language_version:
      - 2
      - 0
    .max_flat_workgroup_size: 256
    .name:           _ZN7rocprim17ROCPRIM_400000_NS6detail17trampoline_kernelINS0_14default_configENS1_29reduce_by_key_config_selectorIiiN6thrust23THRUST_200600_302600_NS4plusIiEEEEZZNS1_33reduce_by_key_impl_wrapped_configILNS1_25lookback_scan_determinismE0ES3_S9_NS6_6detail15normal_iteratorINS6_10device_ptrIiEEEESG_SG_SG_PmS8_22is_equal_div_10_reduceIiEEE10hipError_tPvRmT2_T3_mT4_T5_T6_T7_T8_P12ihipStream_tbENKUlT_T0_E_clISt17integral_constantIbLb1EES10_IbLb0EEEEDaSW_SX_EUlSW_E_NS1_11comp_targetILNS1_3genE4ELNS1_11target_archE910ELNS1_3gpuE8ELNS1_3repE0EEENS1_30default_config_static_selectorELNS0_4arch9wavefront6targetE1EEEvT1_
    .private_segment_fixed_size: 0
    .sgpr_count:     68
    .sgpr_spill_count: 0
    .symbol:         _ZN7rocprim17ROCPRIM_400000_NS6detail17trampoline_kernelINS0_14default_configENS1_29reduce_by_key_config_selectorIiiN6thrust23THRUST_200600_302600_NS4plusIiEEEEZZNS1_33reduce_by_key_impl_wrapped_configILNS1_25lookback_scan_determinismE0ES3_S9_NS6_6detail15normal_iteratorINS6_10device_ptrIiEEEESG_SG_SG_PmS8_22is_equal_div_10_reduceIiEEE10hipError_tPvRmT2_T3_mT4_T5_T6_T7_T8_P12ihipStream_tbENKUlT_T0_E_clISt17integral_constantIbLb1EES10_IbLb0EEEEDaSW_SX_EUlSW_E_NS1_11comp_targetILNS1_3genE4ELNS1_11target_archE910ELNS1_3gpuE8ELNS1_3repE0EEENS1_30default_config_static_selectorELNS0_4arch9wavefront6targetE1EEEvT1_.kd
    .uniform_work_group_size: 1
    .uses_dynamic_stack: false
    .vgpr_count:     108
    .vgpr_spill_count: 0
    .wavefront_size: 64
  - .agpr_count:     0
    .args:
      - .offset:         0
        .size:           120
        .value_kind:     by_value
    .group_segment_fixed_size: 0
    .kernarg_segment_align: 8
    .kernarg_segment_size: 120
    .language:       OpenCL C
    .language_version:
      - 2
      - 0
    .max_flat_workgroup_size: 256
    .name:           _ZN7rocprim17ROCPRIM_400000_NS6detail17trampoline_kernelINS0_14default_configENS1_29reduce_by_key_config_selectorIiiN6thrust23THRUST_200600_302600_NS4plusIiEEEEZZNS1_33reduce_by_key_impl_wrapped_configILNS1_25lookback_scan_determinismE0ES3_S9_NS6_6detail15normal_iteratorINS6_10device_ptrIiEEEESG_SG_SG_PmS8_22is_equal_div_10_reduceIiEEE10hipError_tPvRmT2_T3_mT4_T5_T6_T7_T8_P12ihipStream_tbENKUlT_T0_E_clISt17integral_constantIbLb1EES10_IbLb0EEEEDaSW_SX_EUlSW_E_NS1_11comp_targetILNS1_3genE3ELNS1_11target_archE908ELNS1_3gpuE7ELNS1_3repE0EEENS1_30default_config_static_selectorELNS0_4arch9wavefront6targetE1EEEvT1_
    .private_segment_fixed_size: 0
    .sgpr_count:     4
    .sgpr_spill_count: 0
    .symbol:         _ZN7rocprim17ROCPRIM_400000_NS6detail17trampoline_kernelINS0_14default_configENS1_29reduce_by_key_config_selectorIiiN6thrust23THRUST_200600_302600_NS4plusIiEEEEZZNS1_33reduce_by_key_impl_wrapped_configILNS1_25lookback_scan_determinismE0ES3_S9_NS6_6detail15normal_iteratorINS6_10device_ptrIiEEEESG_SG_SG_PmS8_22is_equal_div_10_reduceIiEEE10hipError_tPvRmT2_T3_mT4_T5_T6_T7_T8_P12ihipStream_tbENKUlT_T0_E_clISt17integral_constantIbLb1EES10_IbLb0EEEEDaSW_SX_EUlSW_E_NS1_11comp_targetILNS1_3genE3ELNS1_11target_archE908ELNS1_3gpuE7ELNS1_3repE0EEENS1_30default_config_static_selectorELNS0_4arch9wavefront6targetE1EEEvT1_.kd
    .uniform_work_group_size: 1
    .uses_dynamic_stack: false
    .vgpr_count:     0
    .vgpr_spill_count: 0
    .wavefront_size: 64
  - .agpr_count:     0
    .args:
      - .offset:         0
        .size:           120
        .value_kind:     by_value
    .group_segment_fixed_size: 0
    .kernarg_segment_align: 8
    .kernarg_segment_size: 120
    .language:       OpenCL C
    .language_version:
      - 2
      - 0
    .max_flat_workgroup_size: 256
    .name:           _ZN7rocprim17ROCPRIM_400000_NS6detail17trampoline_kernelINS0_14default_configENS1_29reduce_by_key_config_selectorIiiN6thrust23THRUST_200600_302600_NS4plusIiEEEEZZNS1_33reduce_by_key_impl_wrapped_configILNS1_25lookback_scan_determinismE0ES3_S9_NS6_6detail15normal_iteratorINS6_10device_ptrIiEEEESG_SG_SG_PmS8_22is_equal_div_10_reduceIiEEE10hipError_tPvRmT2_T3_mT4_T5_T6_T7_T8_P12ihipStream_tbENKUlT_T0_E_clISt17integral_constantIbLb1EES10_IbLb0EEEEDaSW_SX_EUlSW_E_NS1_11comp_targetILNS1_3genE2ELNS1_11target_archE906ELNS1_3gpuE6ELNS1_3repE0EEENS1_30default_config_static_selectorELNS0_4arch9wavefront6targetE1EEEvT1_
    .private_segment_fixed_size: 0
    .sgpr_count:     4
    .sgpr_spill_count: 0
    .symbol:         _ZN7rocprim17ROCPRIM_400000_NS6detail17trampoline_kernelINS0_14default_configENS1_29reduce_by_key_config_selectorIiiN6thrust23THRUST_200600_302600_NS4plusIiEEEEZZNS1_33reduce_by_key_impl_wrapped_configILNS1_25lookback_scan_determinismE0ES3_S9_NS6_6detail15normal_iteratorINS6_10device_ptrIiEEEESG_SG_SG_PmS8_22is_equal_div_10_reduceIiEEE10hipError_tPvRmT2_T3_mT4_T5_T6_T7_T8_P12ihipStream_tbENKUlT_T0_E_clISt17integral_constantIbLb1EES10_IbLb0EEEEDaSW_SX_EUlSW_E_NS1_11comp_targetILNS1_3genE2ELNS1_11target_archE906ELNS1_3gpuE6ELNS1_3repE0EEENS1_30default_config_static_selectorELNS0_4arch9wavefront6targetE1EEEvT1_.kd
    .uniform_work_group_size: 1
    .uses_dynamic_stack: false
    .vgpr_count:     0
    .vgpr_spill_count: 0
    .wavefront_size: 64
  - .agpr_count:     0
    .args:
      - .offset:         0
        .size:           120
        .value_kind:     by_value
    .group_segment_fixed_size: 0
    .kernarg_segment_align: 8
    .kernarg_segment_size: 120
    .language:       OpenCL C
    .language_version:
      - 2
      - 0
    .max_flat_workgroup_size: 256
    .name:           _ZN7rocprim17ROCPRIM_400000_NS6detail17trampoline_kernelINS0_14default_configENS1_29reduce_by_key_config_selectorIiiN6thrust23THRUST_200600_302600_NS4plusIiEEEEZZNS1_33reduce_by_key_impl_wrapped_configILNS1_25lookback_scan_determinismE0ES3_S9_NS6_6detail15normal_iteratorINS6_10device_ptrIiEEEESG_SG_SG_PmS8_22is_equal_div_10_reduceIiEEE10hipError_tPvRmT2_T3_mT4_T5_T6_T7_T8_P12ihipStream_tbENKUlT_T0_E_clISt17integral_constantIbLb1EES10_IbLb0EEEEDaSW_SX_EUlSW_E_NS1_11comp_targetILNS1_3genE10ELNS1_11target_archE1201ELNS1_3gpuE5ELNS1_3repE0EEENS1_30default_config_static_selectorELNS0_4arch9wavefront6targetE1EEEvT1_
    .private_segment_fixed_size: 0
    .sgpr_count:     4
    .sgpr_spill_count: 0
    .symbol:         _ZN7rocprim17ROCPRIM_400000_NS6detail17trampoline_kernelINS0_14default_configENS1_29reduce_by_key_config_selectorIiiN6thrust23THRUST_200600_302600_NS4plusIiEEEEZZNS1_33reduce_by_key_impl_wrapped_configILNS1_25lookback_scan_determinismE0ES3_S9_NS6_6detail15normal_iteratorINS6_10device_ptrIiEEEESG_SG_SG_PmS8_22is_equal_div_10_reduceIiEEE10hipError_tPvRmT2_T3_mT4_T5_T6_T7_T8_P12ihipStream_tbENKUlT_T0_E_clISt17integral_constantIbLb1EES10_IbLb0EEEEDaSW_SX_EUlSW_E_NS1_11comp_targetILNS1_3genE10ELNS1_11target_archE1201ELNS1_3gpuE5ELNS1_3repE0EEENS1_30default_config_static_selectorELNS0_4arch9wavefront6targetE1EEEvT1_.kd
    .uniform_work_group_size: 1
    .uses_dynamic_stack: false
    .vgpr_count:     0
    .vgpr_spill_count: 0
    .wavefront_size: 64
  - .agpr_count:     0
    .args:
      - .offset:         0
        .size:           120
        .value_kind:     by_value
    .group_segment_fixed_size: 0
    .kernarg_segment_align: 8
    .kernarg_segment_size: 120
    .language:       OpenCL C
    .language_version:
      - 2
      - 0
    .max_flat_workgroup_size: 256
    .name:           _ZN7rocprim17ROCPRIM_400000_NS6detail17trampoline_kernelINS0_14default_configENS1_29reduce_by_key_config_selectorIiiN6thrust23THRUST_200600_302600_NS4plusIiEEEEZZNS1_33reduce_by_key_impl_wrapped_configILNS1_25lookback_scan_determinismE0ES3_S9_NS6_6detail15normal_iteratorINS6_10device_ptrIiEEEESG_SG_SG_PmS8_22is_equal_div_10_reduceIiEEE10hipError_tPvRmT2_T3_mT4_T5_T6_T7_T8_P12ihipStream_tbENKUlT_T0_E_clISt17integral_constantIbLb1EES10_IbLb0EEEEDaSW_SX_EUlSW_E_NS1_11comp_targetILNS1_3genE10ELNS1_11target_archE1200ELNS1_3gpuE4ELNS1_3repE0EEENS1_30default_config_static_selectorELNS0_4arch9wavefront6targetE1EEEvT1_
    .private_segment_fixed_size: 0
    .sgpr_count:     4
    .sgpr_spill_count: 0
    .symbol:         _ZN7rocprim17ROCPRIM_400000_NS6detail17trampoline_kernelINS0_14default_configENS1_29reduce_by_key_config_selectorIiiN6thrust23THRUST_200600_302600_NS4plusIiEEEEZZNS1_33reduce_by_key_impl_wrapped_configILNS1_25lookback_scan_determinismE0ES3_S9_NS6_6detail15normal_iteratorINS6_10device_ptrIiEEEESG_SG_SG_PmS8_22is_equal_div_10_reduceIiEEE10hipError_tPvRmT2_T3_mT4_T5_T6_T7_T8_P12ihipStream_tbENKUlT_T0_E_clISt17integral_constantIbLb1EES10_IbLb0EEEEDaSW_SX_EUlSW_E_NS1_11comp_targetILNS1_3genE10ELNS1_11target_archE1200ELNS1_3gpuE4ELNS1_3repE0EEENS1_30default_config_static_selectorELNS0_4arch9wavefront6targetE1EEEvT1_.kd
    .uniform_work_group_size: 1
    .uses_dynamic_stack: false
    .vgpr_count:     0
    .vgpr_spill_count: 0
    .wavefront_size: 64
  - .agpr_count:     0
    .args:
      - .offset:         0
        .size:           120
        .value_kind:     by_value
    .group_segment_fixed_size: 0
    .kernarg_segment_align: 8
    .kernarg_segment_size: 120
    .language:       OpenCL C
    .language_version:
      - 2
      - 0
    .max_flat_workgroup_size: 256
    .name:           _ZN7rocprim17ROCPRIM_400000_NS6detail17trampoline_kernelINS0_14default_configENS1_29reduce_by_key_config_selectorIiiN6thrust23THRUST_200600_302600_NS4plusIiEEEEZZNS1_33reduce_by_key_impl_wrapped_configILNS1_25lookback_scan_determinismE0ES3_S9_NS6_6detail15normal_iteratorINS6_10device_ptrIiEEEESG_SG_SG_PmS8_22is_equal_div_10_reduceIiEEE10hipError_tPvRmT2_T3_mT4_T5_T6_T7_T8_P12ihipStream_tbENKUlT_T0_E_clISt17integral_constantIbLb1EES10_IbLb0EEEEDaSW_SX_EUlSW_E_NS1_11comp_targetILNS1_3genE9ELNS1_11target_archE1100ELNS1_3gpuE3ELNS1_3repE0EEENS1_30default_config_static_selectorELNS0_4arch9wavefront6targetE1EEEvT1_
    .private_segment_fixed_size: 0
    .sgpr_count:     4
    .sgpr_spill_count: 0
    .symbol:         _ZN7rocprim17ROCPRIM_400000_NS6detail17trampoline_kernelINS0_14default_configENS1_29reduce_by_key_config_selectorIiiN6thrust23THRUST_200600_302600_NS4plusIiEEEEZZNS1_33reduce_by_key_impl_wrapped_configILNS1_25lookback_scan_determinismE0ES3_S9_NS6_6detail15normal_iteratorINS6_10device_ptrIiEEEESG_SG_SG_PmS8_22is_equal_div_10_reduceIiEEE10hipError_tPvRmT2_T3_mT4_T5_T6_T7_T8_P12ihipStream_tbENKUlT_T0_E_clISt17integral_constantIbLb1EES10_IbLb0EEEEDaSW_SX_EUlSW_E_NS1_11comp_targetILNS1_3genE9ELNS1_11target_archE1100ELNS1_3gpuE3ELNS1_3repE0EEENS1_30default_config_static_selectorELNS0_4arch9wavefront6targetE1EEEvT1_.kd
    .uniform_work_group_size: 1
    .uses_dynamic_stack: false
    .vgpr_count:     0
    .vgpr_spill_count: 0
    .wavefront_size: 64
  - .agpr_count:     0
    .args:
      - .offset:         0
        .size:           120
        .value_kind:     by_value
    .group_segment_fixed_size: 0
    .kernarg_segment_align: 8
    .kernarg_segment_size: 120
    .language:       OpenCL C
    .language_version:
      - 2
      - 0
    .max_flat_workgroup_size: 256
    .name:           _ZN7rocprim17ROCPRIM_400000_NS6detail17trampoline_kernelINS0_14default_configENS1_29reduce_by_key_config_selectorIiiN6thrust23THRUST_200600_302600_NS4plusIiEEEEZZNS1_33reduce_by_key_impl_wrapped_configILNS1_25lookback_scan_determinismE0ES3_S9_NS6_6detail15normal_iteratorINS6_10device_ptrIiEEEESG_SG_SG_PmS8_22is_equal_div_10_reduceIiEEE10hipError_tPvRmT2_T3_mT4_T5_T6_T7_T8_P12ihipStream_tbENKUlT_T0_E_clISt17integral_constantIbLb1EES10_IbLb0EEEEDaSW_SX_EUlSW_E_NS1_11comp_targetILNS1_3genE8ELNS1_11target_archE1030ELNS1_3gpuE2ELNS1_3repE0EEENS1_30default_config_static_selectorELNS0_4arch9wavefront6targetE1EEEvT1_
    .private_segment_fixed_size: 0
    .sgpr_count:     4
    .sgpr_spill_count: 0
    .symbol:         _ZN7rocprim17ROCPRIM_400000_NS6detail17trampoline_kernelINS0_14default_configENS1_29reduce_by_key_config_selectorIiiN6thrust23THRUST_200600_302600_NS4plusIiEEEEZZNS1_33reduce_by_key_impl_wrapped_configILNS1_25lookback_scan_determinismE0ES3_S9_NS6_6detail15normal_iteratorINS6_10device_ptrIiEEEESG_SG_SG_PmS8_22is_equal_div_10_reduceIiEEE10hipError_tPvRmT2_T3_mT4_T5_T6_T7_T8_P12ihipStream_tbENKUlT_T0_E_clISt17integral_constantIbLb1EES10_IbLb0EEEEDaSW_SX_EUlSW_E_NS1_11comp_targetILNS1_3genE8ELNS1_11target_archE1030ELNS1_3gpuE2ELNS1_3repE0EEENS1_30default_config_static_selectorELNS0_4arch9wavefront6targetE1EEEvT1_.kd
    .uniform_work_group_size: 1
    .uses_dynamic_stack: false
    .vgpr_count:     0
    .vgpr_spill_count: 0
    .wavefront_size: 64
  - .agpr_count:     0
    .args:
      - .offset:         0
        .size:           120
        .value_kind:     by_value
    .group_segment_fixed_size: 0
    .kernarg_segment_align: 8
    .kernarg_segment_size: 120
    .language:       OpenCL C
    .language_version:
      - 2
      - 0
    .max_flat_workgroup_size: 256
    .name:           _ZN7rocprim17ROCPRIM_400000_NS6detail17trampoline_kernelINS0_14default_configENS1_29reduce_by_key_config_selectorIiiN6thrust23THRUST_200600_302600_NS4plusIiEEEEZZNS1_33reduce_by_key_impl_wrapped_configILNS1_25lookback_scan_determinismE0ES3_S9_NS6_6detail15normal_iteratorINS6_10device_ptrIiEEEESG_SG_SG_PmS8_22is_equal_div_10_reduceIiEEE10hipError_tPvRmT2_T3_mT4_T5_T6_T7_T8_P12ihipStream_tbENKUlT_T0_E_clISt17integral_constantIbLb0EES10_IbLb1EEEEDaSW_SX_EUlSW_E_NS1_11comp_targetILNS1_3genE0ELNS1_11target_archE4294967295ELNS1_3gpuE0ELNS1_3repE0EEENS1_30default_config_static_selectorELNS0_4arch9wavefront6targetE1EEEvT1_
    .private_segment_fixed_size: 0
    .sgpr_count:     4
    .sgpr_spill_count: 0
    .symbol:         _ZN7rocprim17ROCPRIM_400000_NS6detail17trampoline_kernelINS0_14default_configENS1_29reduce_by_key_config_selectorIiiN6thrust23THRUST_200600_302600_NS4plusIiEEEEZZNS1_33reduce_by_key_impl_wrapped_configILNS1_25lookback_scan_determinismE0ES3_S9_NS6_6detail15normal_iteratorINS6_10device_ptrIiEEEESG_SG_SG_PmS8_22is_equal_div_10_reduceIiEEE10hipError_tPvRmT2_T3_mT4_T5_T6_T7_T8_P12ihipStream_tbENKUlT_T0_E_clISt17integral_constantIbLb0EES10_IbLb1EEEEDaSW_SX_EUlSW_E_NS1_11comp_targetILNS1_3genE0ELNS1_11target_archE4294967295ELNS1_3gpuE0ELNS1_3repE0EEENS1_30default_config_static_selectorELNS0_4arch9wavefront6targetE1EEEvT1_.kd
    .uniform_work_group_size: 1
    .uses_dynamic_stack: false
    .vgpr_count:     0
    .vgpr_spill_count: 0
    .wavefront_size: 64
  - .agpr_count:     0
    .args:
      - .offset:         0
        .size:           120
        .value_kind:     by_value
    .group_segment_fixed_size: 0
    .kernarg_segment_align: 8
    .kernarg_segment_size: 120
    .language:       OpenCL C
    .language_version:
      - 2
      - 0
    .max_flat_workgroup_size: 256
    .name:           _ZN7rocprim17ROCPRIM_400000_NS6detail17trampoline_kernelINS0_14default_configENS1_29reduce_by_key_config_selectorIiiN6thrust23THRUST_200600_302600_NS4plusIiEEEEZZNS1_33reduce_by_key_impl_wrapped_configILNS1_25lookback_scan_determinismE0ES3_S9_NS6_6detail15normal_iteratorINS6_10device_ptrIiEEEESG_SG_SG_PmS8_22is_equal_div_10_reduceIiEEE10hipError_tPvRmT2_T3_mT4_T5_T6_T7_T8_P12ihipStream_tbENKUlT_T0_E_clISt17integral_constantIbLb0EES10_IbLb1EEEEDaSW_SX_EUlSW_E_NS1_11comp_targetILNS1_3genE5ELNS1_11target_archE942ELNS1_3gpuE9ELNS1_3repE0EEENS1_30default_config_static_selectorELNS0_4arch9wavefront6targetE1EEEvT1_
    .private_segment_fixed_size: 0
    .sgpr_count:     4
    .sgpr_spill_count: 0
    .symbol:         _ZN7rocprim17ROCPRIM_400000_NS6detail17trampoline_kernelINS0_14default_configENS1_29reduce_by_key_config_selectorIiiN6thrust23THRUST_200600_302600_NS4plusIiEEEEZZNS1_33reduce_by_key_impl_wrapped_configILNS1_25lookback_scan_determinismE0ES3_S9_NS6_6detail15normal_iteratorINS6_10device_ptrIiEEEESG_SG_SG_PmS8_22is_equal_div_10_reduceIiEEE10hipError_tPvRmT2_T3_mT4_T5_T6_T7_T8_P12ihipStream_tbENKUlT_T0_E_clISt17integral_constantIbLb0EES10_IbLb1EEEEDaSW_SX_EUlSW_E_NS1_11comp_targetILNS1_3genE5ELNS1_11target_archE942ELNS1_3gpuE9ELNS1_3repE0EEENS1_30default_config_static_selectorELNS0_4arch9wavefront6targetE1EEEvT1_.kd
    .uniform_work_group_size: 1
    .uses_dynamic_stack: false
    .vgpr_count:     0
    .vgpr_spill_count: 0
    .wavefront_size: 64
  - .agpr_count:     0
    .args:
      - .offset:         0
        .size:           120
        .value_kind:     by_value
    .group_segment_fixed_size: 15360
    .kernarg_segment_align: 8
    .kernarg_segment_size: 120
    .language:       OpenCL C
    .language_version:
      - 2
      - 0
    .max_flat_workgroup_size: 256
    .name:           _ZN7rocprim17ROCPRIM_400000_NS6detail17trampoline_kernelINS0_14default_configENS1_29reduce_by_key_config_selectorIiiN6thrust23THRUST_200600_302600_NS4plusIiEEEEZZNS1_33reduce_by_key_impl_wrapped_configILNS1_25lookback_scan_determinismE0ES3_S9_NS6_6detail15normal_iteratorINS6_10device_ptrIiEEEESG_SG_SG_PmS8_22is_equal_div_10_reduceIiEEE10hipError_tPvRmT2_T3_mT4_T5_T6_T7_T8_P12ihipStream_tbENKUlT_T0_E_clISt17integral_constantIbLb0EES10_IbLb1EEEEDaSW_SX_EUlSW_E_NS1_11comp_targetILNS1_3genE4ELNS1_11target_archE910ELNS1_3gpuE8ELNS1_3repE0EEENS1_30default_config_static_selectorELNS0_4arch9wavefront6targetE1EEEvT1_
    .private_segment_fixed_size: 0
    .sgpr_count:     70
    .sgpr_spill_count: 0
    .symbol:         _ZN7rocprim17ROCPRIM_400000_NS6detail17trampoline_kernelINS0_14default_configENS1_29reduce_by_key_config_selectorIiiN6thrust23THRUST_200600_302600_NS4plusIiEEEEZZNS1_33reduce_by_key_impl_wrapped_configILNS1_25lookback_scan_determinismE0ES3_S9_NS6_6detail15normal_iteratorINS6_10device_ptrIiEEEESG_SG_SG_PmS8_22is_equal_div_10_reduceIiEEE10hipError_tPvRmT2_T3_mT4_T5_T6_T7_T8_P12ihipStream_tbENKUlT_T0_E_clISt17integral_constantIbLb0EES10_IbLb1EEEEDaSW_SX_EUlSW_E_NS1_11comp_targetILNS1_3genE4ELNS1_11target_archE910ELNS1_3gpuE8ELNS1_3repE0EEENS1_30default_config_static_selectorELNS0_4arch9wavefront6targetE1EEEvT1_.kd
    .uniform_work_group_size: 1
    .uses_dynamic_stack: false
    .vgpr_count:     106
    .vgpr_spill_count: 0
    .wavefront_size: 64
  - .agpr_count:     0
    .args:
      - .offset:         0
        .size:           120
        .value_kind:     by_value
    .group_segment_fixed_size: 0
    .kernarg_segment_align: 8
    .kernarg_segment_size: 120
    .language:       OpenCL C
    .language_version:
      - 2
      - 0
    .max_flat_workgroup_size: 256
    .name:           _ZN7rocprim17ROCPRIM_400000_NS6detail17trampoline_kernelINS0_14default_configENS1_29reduce_by_key_config_selectorIiiN6thrust23THRUST_200600_302600_NS4plusIiEEEEZZNS1_33reduce_by_key_impl_wrapped_configILNS1_25lookback_scan_determinismE0ES3_S9_NS6_6detail15normal_iteratorINS6_10device_ptrIiEEEESG_SG_SG_PmS8_22is_equal_div_10_reduceIiEEE10hipError_tPvRmT2_T3_mT4_T5_T6_T7_T8_P12ihipStream_tbENKUlT_T0_E_clISt17integral_constantIbLb0EES10_IbLb1EEEEDaSW_SX_EUlSW_E_NS1_11comp_targetILNS1_3genE3ELNS1_11target_archE908ELNS1_3gpuE7ELNS1_3repE0EEENS1_30default_config_static_selectorELNS0_4arch9wavefront6targetE1EEEvT1_
    .private_segment_fixed_size: 0
    .sgpr_count:     4
    .sgpr_spill_count: 0
    .symbol:         _ZN7rocprim17ROCPRIM_400000_NS6detail17trampoline_kernelINS0_14default_configENS1_29reduce_by_key_config_selectorIiiN6thrust23THRUST_200600_302600_NS4plusIiEEEEZZNS1_33reduce_by_key_impl_wrapped_configILNS1_25lookback_scan_determinismE0ES3_S9_NS6_6detail15normal_iteratorINS6_10device_ptrIiEEEESG_SG_SG_PmS8_22is_equal_div_10_reduceIiEEE10hipError_tPvRmT2_T3_mT4_T5_T6_T7_T8_P12ihipStream_tbENKUlT_T0_E_clISt17integral_constantIbLb0EES10_IbLb1EEEEDaSW_SX_EUlSW_E_NS1_11comp_targetILNS1_3genE3ELNS1_11target_archE908ELNS1_3gpuE7ELNS1_3repE0EEENS1_30default_config_static_selectorELNS0_4arch9wavefront6targetE1EEEvT1_.kd
    .uniform_work_group_size: 1
    .uses_dynamic_stack: false
    .vgpr_count:     0
    .vgpr_spill_count: 0
    .wavefront_size: 64
  - .agpr_count:     0
    .args:
      - .offset:         0
        .size:           120
        .value_kind:     by_value
    .group_segment_fixed_size: 0
    .kernarg_segment_align: 8
    .kernarg_segment_size: 120
    .language:       OpenCL C
    .language_version:
      - 2
      - 0
    .max_flat_workgroup_size: 256
    .name:           _ZN7rocprim17ROCPRIM_400000_NS6detail17trampoline_kernelINS0_14default_configENS1_29reduce_by_key_config_selectorIiiN6thrust23THRUST_200600_302600_NS4plusIiEEEEZZNS1_33reduce_by_key_impl_wrapped_configILNS1_25lookback_scan_determinismE0ES3_S9_NS6_6detail15normal_iteratorINS6_10device_ptrIiEEEESG_SG_SG_PmS8_22is_equal_div_10_reduceIiEEE10hipError_tPvRmT2_T3_mT4_T5_T6_T7_T8_P12ihipStream_tbENKUlT_T0_E_clISt17integral_constantIbLb0EES10_IbLb1EEEEDaSW_SX_EUlSW_E_NS1_11comp_targetILNS1_3genE2ELNS1_11target_archE906ELNS1_3gpuE6ELNS1_3repE0EEENS1_30default_config_static_selectorELNS0_4arch9wavefront6targetE1EEEvT1_
    .private_segment_fixed_size: 0
    .sgpr_count:     4
    .sgpr_spill_count: 0
    .symbol:         _ZN7rocprim17ROCPRIM_400000_NS6detail17trampoline_kernelINS0_14default_configENS1_29reduce_by_key_config_selectorIiiN6thrust23THRUST_200600_302600_NS4plusIiEEEEZZNS1_33reduce_by_key_impl_wrapped_configILNS1_25lookback_scan_determinismE0ES3_S9_NS6_6detail15normal_iteratorINS6_10device_ptrIiEEEESG_SG_SG_PmS8_22is_equal_div_10_reduceIiEEE10hipError_tPvRmT2_T3_mT4_T5_T6_T7_T8_P12ihipStream_tbENKUlT_T0_E_clISt17integral_constantIbLb0EES10_IbLb1EEEEDaSW_SX_EUlSW_E_NS1_11comp_targetILNS1_3genE2ELNS1_11target_archE906ELNS1_3gpuE6ELNS1_3repE0EEENS1_30default_config_static_selectorELNS0_4arch9wavefront6targetE1EEEvT1_.kd
    .uniform_work_group_size: 1
    .uses_dynamic_stack: false
    .vgpr_count:     0
    .vgpr_spill_count: 0
    .wavefront_size: 64
  - .agpr_count:     0
    .args:
      - .offset:         0
        .size:           120
        .value_kind:     by_value
    .group_segment_fixed_size: 0
    .kernarg_segment_align: 8
    .kernarg_segment_size: 120
    .language:       OpenCL C
    .language_version:
      - 2
      - 0
    .max_flat_workgroup_size: 256
    .name:           _ZN7rocprim17ROCPRIM_400000_NS6detail17trampoline_kernelINS0_14default_configENS1_29reduce_by_key_config_selectorIiiN6thrust23THRUST_200600_302600_NS4plusIiEEEEZZNS1_33reduce_by_key_impl_wrapped_configILNS1_25lookback_scan_determinismE0ES3_S9_NS6_6detail15normal_iteratorINS6_10device_ptrIiEEEESG_SG_SG_PmS8_22is_equal_div_10_reduceIiEEE10hipError_tPvRmT2_T3_mT4_T5_T6_T7_T8_P12ihipStream_tbENKUlT_T0_E_clISt17integral_constantIbLb0EES10_IbLb1EEEEDaSW_SX_EUlSW_E_NS1_11comp_targetILNS1_3genE10ELNS1_11target_archE1201ELNS1_3gpuE5ELNS1_3repE0EEENS1_30default_config_static_selectorELNS0_4arch9wavefront6targetE1EEEvT1_
    .private_segment_fixed_size: 0
    .sgpr_count:     4
    .sgpr_spill_count: 0
    .symbol:         _ZN7rocprim17ROCPRIM_400000_NS6detail17trampoline_kernelINS0_14default_configENS1_29reduce_by_key_config_selectorIiiN6thrust23THRUST_200600_302600_NS4plusIiEEEEZZNS1_33reduce_by_key_impl_wrapped_configILNS1_25lookback_scan_determinismE0ES3_S9_NS6_6detail15normal_iteratorINS6_10device_ptrIiEEEESG_SG_SG_PmS8_22is_equal_div_10_reduceIiEEE10hipError_tPvRmT2_T3_mT4_T5_T6_T7_T8_P12ihipStream_tbENKUlT_T0_E_clISt17integral_constantIbLb0EES10_IbLb1EEEEDaSW_SX_EUlSW_E_NS1_11comp_targetILNS1_3genE10ELNS1_11target_archE1201ELNS1_3gpuE5ELNS1_3repE0EEENS1_30default_config_static_selectorELNS0_4arch9wavefront6targetE1EEEvT1_.kd
    .uniform_work_group_size: 1
    .uses_dynamic_stack: false
    .vgpr_count:     0
    .vgpr_spill_count: 0
    .wavefront_size: 64
  - .agpr_count:     0
    .args:
      - .offset:         0
        .size:           120
        .value_kind:     by_value
    .group_segment_fixed_size: 0
    .kernarg_segment_align: 8
    .kernarg_segment_size: 120
    .language:       OpenCL C
    .language_version:
      - 2
      - 0
    .max_flat_workgroup_size: 256
    .name:           _ZN7rocprim17ROCPRIM_400000_NS6detail17trampoline_kernelINS0_14default_configENS1_29reduce_by_key_config_selectorIiiN6thrust23THRUST_200600_302600_NS4plusIiEEEEZZNS1_33reduce_by_key_impl_wrapped_configILNS1_25lookback_scan_determinismE0ES3_S9_NS6_6detail15normal_iteratorINS6_10device_ptrIiEEEESG_SG_SG_PmS8_22is_equal_div_10_reduceIiEEE10hipError_tPvRmT2_T3_mT4_T5_T6_T7_T8_P12ihipStream_tbENKUlT_T0_E_clISt17integral_constantIbLb0EES10_IbLb1EEEEDaSW_SX_EUlSW_E_NS1_11comp_targetILNS1_3genE10ELNS1_11target_archE1200ELNS1_3gpuE4ELNS1_3repE0EEENS1_30default_config_static_selectorELNS0_4arch9wavefront6targetE1EEEvT1_
    .private_segment_fixed_size: 0
    .sgpr_count:     4
    .sgpr_spill_count: 0
    .symbol:         _ZN7rocprim17ROCPRIM_400000_NS6detail17trampoline_kernelINS0_14default_configENS1_29reduce_by_key_config_selectorIiiN6thrust23THRUST_200600_302600_NS4plusIiEEEEZZNS1_33reduce_by_key_impl_wrapped_configILNS1_25lookback_scan_determinismE0ES3_S9_NS6_6detail15normal_iteratorINS6_10device_ptrIiEEEESG_SG_SG_PmS8_22is_equal_div_10_reduceIiEEE10hipError_tPvRmT2_T3_mT4_T5_T6_T7_T8_P12ihipStream_tbENKUlT_T0_E_clISt17integral_constantIbLb0EES10_IbLb1EEEEDaSW_SX_EUlSW_E_NS1_11comp_targetILNS1_3genE10ELNS1_11target_archE1200ELNS1_3gpuE4ELNS1_3repE0EEENS1_30default_config_static_selectorELNS0_4arch9wavefront6targetE1EEEvT1_.kd
    .uniform_work_group_size: 1
    .uses_dynamic_stack: false
    .vgpr_count:     0
    .vgpr_spill_count: 0
    .wavefront_size: 64
  - .agpr_count:     0
    .args:
      - .offset:         0
        .size:           120
        .value_kind:     by_value
    .group_segment_fixed_size: 0
    .kernarg_segment_align: 8
    .kernarg_segment_size: 120
    .language:       OpenCL C
    .language_version:
      - 2
      - 0
    .max_flat_workgroup_size: 256
    .name:           _ZN7rocprim17ROCPRIM_400000_NS6detail17trampoline_kernelINS0_14default_configENS1_29reduce_by_key_config_selectorIiiN6thrust23THRUST_200600_302600_NS4plusIiEEEEZZNS1_33reduce_by_key_impl_wrapped_configILNS1_25lookback_scan_determinismE0ES3_S9_NS6_6detail15normal_iteratorINS6_10device_ptrIiEEEESG_SG_SG_PmS8_22is_equal_div_10_reduceIiEEE10hipError_tPvRmT2_T3_mT4_T5_T6_T7_T8_P12ihipStream_tbENKUlT_T0_E_clISt17integral_constantIbLb0EES10_IbLb1EEEEDaSW_SX_EUlSW_E_NS1_11comp_targetILNS1_3genE9ELNS1_11target_archE1100ELNS1_3gpuE3ELNS1_3repE0EEENS1_30default_config_static_selectorELNS0_4arch9wavefront6targetE1EEEvT1_
    .private_segment_fixed_size: 0
    .sgpr_count:     4
    .sgpr_spill_count: 0
    .symbol:         _ZN7rocprim17ROCPRIM_400000_NS6detail17trampoline_kernelINS0_14default_configENS1_29reduce_by_key_config_selectorIiiN6thrust23THRUST_200600_302600_NS4plusIiEEEEZZNS1_33reduce_by_key_impl_wrapped_configILNS1_25lookback_scan_determinismE0ES3_S9_NS6_6detail15normal_iteratorINS6_10device_ptrIiEEEESG_SG_SG_PmS8_22is_equal_div_10_reduceIiEEE10hipError_tPvRmT2_T3_mT4_T5_T6_T7_T8_P12ihipStream_tbENKUlT_T0_E_clISt17integral_constantIbLb0EES10_IbLb1EEEEDaSW_SX_EUlSW_E_NS1_11comp_targetILNS1_3genE9ELNS1_11target_archE1100ELNS1_3gpuE3ELNS1_3repE0EEENS1_30default_config_static_selectorELNS0_4arch9wavefront6targetE1EEEvT1_.kd
    .uniform_work_group_size: 1
    .uses_dynamic_stack: false
    .vgpr_count:     0
    .vgpr_spill_count: 0
    .wavefront_size: 64
  - .agpr_count:     0
    .args:
      - .offset:         0
        .size:           120
        .value_kind:     by_value
    .group_segment_fixed_size: 0
    .kernarg_segment_align: 8
    .kernarg_segment_size: 120
    .language:       OpenCL C
    .language_version:
      - 2
      - 0
    .max_flat_workgroup_size: 256
    .name:           _ZN7rocprim17ROCPRIM_400000_NS6detail17trampoline_kernelINS0_14default_configENS1_29reduce_by_key_config_selectorIiiN6thrust23THRUST_200600_302600_NS4plusIiEEEEZZNS1_33reduce_by_key_impl_wrapped_configILNS1_25lookback_scan_determinismE0ES3_S9_NS6_6detail15normal_iteratorINS6_10device_ptrIiEEEESG_SG_SG_PmS8_22is_equal_div_10_reduceIiEEE10hipError_tPvRmT2_T3_mT4_T5_T6_T7_T8_P12ihipStream_tbENKUlT_T0_E_clISt17integral_constantIbLb0EES10_IbLb1EEEEDaSW_SX_EUlSW_E_NS1_11comp_targetILNS1_3genE8ELNS1_11target_archE1030ELNS1_3gpuE2ELNS1_3repE0EEENS1_30default_config_static_selectorELNS0_4arch9wavefront6targetE1EEEvT1_
    .private_segment_fixed_size: 0
    .sgpr_count:     4
    .sgpr_spill_count: 0
    .symbol:         _ZN7rocprim17ROCPRIM_400000_NS6detail17trampoline_kernelINS0_14default_configENS1_29reduce_by_key_config_selectorIiiN6thrust23THRUST_200600_302600_NS4plusIiEEEEZZNS1_33reduce_by_key_impl_wrapped_configILNS1_25lookback_scan_determinismE0ES3_S9_NS6_6detail15normal_iteratorINS6_10device_ptrIiEEEESG_SG_SG_PmS8_22is_equal_div_10_reduceIiEEE10hipError_tPvRmT2_T3_mT4_T5_T6_T7_T8_P12ihipStream_tbENKUlT_T0_E_clISt17integral_constantIbLb0EES10_IbLb1EEEEDaSW_SX_EUlSW_E_NS1_11comp_targetILNS1_3genE8ELNS1_11target_archE1030ELNS1_3gpuE2ELNS1_3repE0EEENS1_30default_config_static_selectorELNS0_4arch9wavefront6targetE1EEEvT1_.kd
    .uniform_work_group_size: 1
    .uses_dynamic_stack: false
    .vgpr_count:     0
    .vgpr_spill_count: 0
    .wavefront_size: 64
  - .agpr_count:     0
    .args:
      - .offset:         0
        .size:           16
        .value_kind:     by_value
      - .offset:         16
        .size:           8
        .value_kind:     by_value
      - .offset:         24
        .size:           8
        .value_kind:     by_value
    .group_segment_fixed_size: 0
    .kernarg_segment_align: 8
    .kernarg_segment_size: 32
    .language:       OpenCL C
    .language_version:
      - 2
      - 0
    .max_flat_workgroup_size: 256
    .name:           _ZN6thrust23THRUST_200600_302600_NS11hip_rocprim14__parallel_for6kernelILj256ENS1_20__uninitialized_fill7functorINS0_10device_ptrIsEEsEEmLj1EEEvT0_T1_SA_
    .private_segment_fixed_size: 0
    .sgpr_count:     16
    .sgpr_spill_count: 0
    .symbol:         _ZN6thrust23THRUST_200600_302600_NS11hip_rocprim14__parallel_for6kernelILj256ENS1_20__uninitialized_fill7functorINS0_10device_ptrIsEEsEEmLj1EEEvT0_T1_SA_.kd
    .uniform_work_group_size: 1
    .uses_dynamic_stack: false
    .vgpr_count:     4
    .vgpr_spill_count: 0
    .wavefront_size: 64
  - .agpr_count:     0
    .args:
      - .address_space:  global
        .offset:         0
        .size:           8
        .value_kind:     global_buffer
      - .offset:         8
        .size:           4
        .value_kind:     by_value
      - .offset:         12
        .size:           1
        .value_kind:     by_value
      - .offset:         16
        .size:           4
        .value_kind:     by_value
      - .address_space:  global
        .offset:         24
        .size:           8
        .value_kind:     global_buffer
      - .address_space:  global
        .offset:         32
        .size:           8
        .value_kind:     global_buffer
      - .offset:         40
        .size:           1
        .value_kind:     by_value
      - .offset:         48
        .size:           4
        .value_kind:     hidden_block_count_x
      - .offset:         52
        .size:           4
        .value_kind:     hidden_block_count_y
      - .offset:         56
        .size:           4
        .value_kind:     hidden_block_count_z
      - .offset:         60
        .size:           2
        .value_kind:     hidden_group_size_x
      - .offset:         62
        .size:           2
        .value_kind:     hidden_group_size_y
      - .offset:         64
        .size:           2
        .value_kind:     hidden_group_size_z
      - .offset:         66
        .size:           2
        .value_kind:     hidden_remainder_x
      - .offset:         68
        .size:           2
        .value_kind:     hidden_remainder_y
      - .offset:         70
        .size:           2
        .value_kind:     hidden_remainder_z
      - .offset:         88
        .size:           8
        .value_kind:     hidden_global_offset_x
      - .offset:         96
        .size:           8
        .value_kind:     hidden_global_offset_y
      - .offset:         104
        .size:           8
        .value_kind:     hidden_global_offset_z
      - .offset:         112
        .size:           2
        .value_kind:     hidden_grid_dims
    .group_segment_fixed_size: 0
    .kernarg_segment_align: 8
    .kernarg_segment_size: 304
    .language:       OpenCL C
    .language_version:
      - 2
      - 0
    .max_flat_workgroup_size: 256
    .name:           _ZN7rocprim17ROCPRIM_400000_NS6detail25reduce_by_key_init_kernelINS1_19lookback_scan_stateINS0_5tupleIJjsEEELb0ELb1EEEsNS1_16block_id_wrapperIjLb0EEEEEvT_jbjPmPT0_T1_
    .private_segment_fixed_size: 0
    .sgpr_count:     20
    .sgpr_spill_count: 0
    .symbol:         _ZN7rocprim17ROCPRIM_400000_NS6detail25reduce_by_key_init_kernelINS1_19lookback_scan_stateINS0_5tupleIJjsEEELb0ELb1EEEsNS1_16block_id_wrapperIjLb0EEEEEvT_jbjPmPT0_T1_.kd
    .uniform_work_group_size: 1
    .uses_dynamic_stack: false
    .vgpr_count:     10
    .vgpr_spill_count: 0
    .wavefront_size: 64
  - .agpr_count:     0
    .args:
      - .offset:         0
        .size:           120
        .value_kind:     by_value
    .group_segment_fixed_size: 0
    .kernarg_segment_align: 8
    .kernarg_segment_size: 120
    .language:       OpenCL C
    .language_version:
      - 2
      - 0
    .max_flat_workgroup_size: 256
    .name:           _ZN7rocprim17ROCPRIM_400000_NS6detail17trampoline_kernelINS0_14default_configENS1_29reduce_by_key_config_selectorIssN6thrust23THRUST_200600_302600_NS4plusIsEEEEZZNS1_33reduce_by_key_impl_wrapped_configILNS1_25lookback_scan_determinismE0ES3_S9_NS6_6detail15normal_iteratorINS6_10device_ptrIsEEEESG_SG_SG_PmS8_NS6_8equal_toIsEEEE10hipError_tPvRmT2_T3_mT4_T5_T6_T7_T8_P12ihipStream_tbENKUlT_T0_E_clISt17integral_constantIbLb0EES11_EEDaSW_SX_EUlSW_E_NS1_11comp_targetILNS1_3genE0ELNS1_11target_archE4294967295ELNS1_3gpuE0ELNS1_3repE0EEENS1_30default_config_static_selectorELNS0_4arch9wavefront6targetE1EEEvT1_
    .private_segment_fixed_size: 0
    .sgpr_count:     4
    .sgpr_spill_count: 0
    .symbol:         _ZN7rocprim17ROCPRIM_400000_NS6detail17trampoline_kernelINS0_14default_configENS1_29reduce_by_key_config_selectorIssN6thrust23THRUST_200600_302600_NS4plusIsEEEEZZNS1_33reduce_by_key_impl_wrapped_configILNS1_25lookback_scan_determinismE0ES3_S9_NS6_6detail15normal_iteratorINS6_10device_ptrIsEEEESG_SG_SG_PmS8_NS6_8equal_toIsEEEE10hipError_tPvRmT2_T3_mT4_T5_T6_T7_T8_P12ihipStream_tbENKUlT_T0_E_clISt17integral_constantIbLb0EES11_EEDaSW_SX_EUlSW_E_NS1_11comp_targetILNS1_3genE0ELNS1_11target_archE4294967295ELNS1_3gpuE0ELNS1_3repE0EEENS1_30default_config_static_selectorELNS0_4arch9wavefront6targetE1EEEvT1_.kd
    .uniform_work_group_size: 1
    .uses_dynamic_stack: false
    .vgpr_count:     0
    .vgpr_spill_count: 0
    .wavefront_size: 64
  - .agpr_count:     0
    .args:
      - .offset:         0
        .size:           120
        .value_kind:     by_value
    .group_segment_fixed_size: 0
    .kernarg_segment_align: 8
    .kernarg_segment_size: 120
    .language:       OpenCL C
    .language_version:
      - 2
      - 0
    .max_flat_workgroup_size: 256
    .name:           _ZN7rocprim17ROCPRIM_400000_NS6detail17trampoline_kernelINS0_14default_configENS1_29reduce_by_key_config_selectorIssN6thrust23THRUST_200600_302600_NS4plusIsEEEEZZNS1_33reduce_by_key_impl_wrapped_configILNS1_25lookback_scan_determinismE0ES3_S9_NS6_6detail15normal_iteratorINS6_10device_ptrIsEEEESG_SG_SG_PmS8_NS6_8equal_toIsEEEE10hipError_tPvRmT2_T3_mT4_T5_T6_T7_T8_P12ihipStream_tbENKUlT_T0_E_clISt17integral_constantIbLb0EES11_EEDaSW_SX_EUlSW_E_NS1_11comp_targetILNS1_3genE5ELNS1_11target_archE942ELNS1_3gpuE9ELNS1_3repE0EEENS1_30default_config_static_selectorELNS0_4arch9wavefront6targetE1EEEvT1_
    .private_segment_fixed_size: 0
    .sgpr_count:     4
    .sgpr_spill_count: 0
    .symbol:         _ZN7rocprim17ROCPRIM_400000_NS6detail17trampoline_kernelINS0_14default_configENS1_29reduce_by_key_config_selectorIssN6thrust23THRUST_200600_302600_NS4plusIsEEEEZZNS1_33reduce_by_key_impl_wrapped_configILNS1_25lookback_scan_determinismE0ES3_S9_NS6_6detail15normal_iteratorINS6_10device_ptrIsEEEESG_SG_SG_PmS8_NS6_8equal_toIsEEEE10hipError_tPvRmT2_T3_mT4_T5_T6_T7_T8_P12ihipStream_tbENKUlT_T0_E_clISt17integral_constantIbLb0EES11_EEDaSW_SX_EUlSW_E_NS1_11comp_targetILNS1_3genE5ELNS1_11target_archE942ELNS1_3gpuE9ELNS1_3repE0EEENS1_30default_config_static_selectorELNS0_4arch9wavefront6targetE1EEEvT1_.kd
    .uniform_work_group_size: 1
    .uses_dynamic_stack: false
    .vgpr_count:     0
    .vgpr_spill_count: 0
    .wavefront_size: 64
  - .agpr_count:     0
    .args:
      - .offset:         0
        .size:           120
        .value_kind:     by_value
    .group_segment_fixed_size: 7680
    .kernarg_segment_align: 8
    .kernarg_segment_size: 120
    .language:       OpenCL C
    .language_version:
      - 2
      - 0
    .max_flat_workgroup_size: 256
    .name:           _ZN7rocprim17ROCPRIM_400000_NS6detail17trampoline_kernelINS0_14default_configENS1_29reduce_by_key_config_selectorIssN6thrust23THRUST_200600_302600_NS4plusIsEEEEZZNS1_33reduce_by_key_impl_wrapped_configILNS1_25lookback_scan_determinismE0ES3_S9_NS6_6detail15normal_iteratorINS6_10device_ptrIsEEEESG_SG_SG_PmS8_NS6_8equal_toIsEEEE10hipError_tPvRmT2_T3_mT4_T5_T6_T7_T8_P12ihipStream_tbENKUlT_T0_E_clISt17integral_constantIbLb0EES11_EEDaSW_SX_EUlSW_E_NS1_11comp_targetILNS1_3genE4ELNS1_11target_archE910ELNS1_3gpuE8ELNS1_3repE0EEENS1_30default_config_static_selectorELNS0_4arch9wavefront6targetE1EEEvT1_
    .private_segment_fixed_size: 0
    .sgpr_count:     67
    .sgpr_spill_count: 0
    .symbol:         _ZN7rocprim17ROCPRIM_400000_NS6detail17trampoline_kernelINS0_14default_configENS1_29reduce_by_key_config_selectorIssN6thrust23THRUST_200600_302600_NS4plusIsEEEEZZNS1_33reduce_by_key_impl_wrapped_configILNS1_25lookback_scan_determinismE0ES3_S9_NS6_6detail15normal_iteratorINS6_10device_ptrIsEEEESG_SG_SG_PmS8_NS6_8equal_toIsEEEE10hipError_tPvRmT2_T3_mT4_T5_T6_T7_T8_P12ihipStream_tbENKUlT_T0_E_clISt17integral_constantIbLb0EES11_EEDaSW_SX_EUlSW_E_NS1_11comp_targetILNS1_3genE4ELNS1_11target_archE910ELNS1_3gpuE8ELNS1_3repE0EEENS1_30default_config_static_selectorELNS0_4arch9wavefront6targetE1EEEvT1_.kd
    .uniform_work_group_size: 1
    .uses_dynamic_stack: false
    .vgpr_count:     111
    .vgpr_spill_count: 0
    .wavefront_size: 64
  - .agpr_count:     0
    .args:
      - .offset:         0
        .size:           120
        .value_kind:     by_value
    .group_segment_fixed_size: 0
    .kernarg_segment_align: 8
    .kernarg_segment_size: 120
    .language:       OpenCL C
    .language_version:
      - 2
      - 0
    .max_flat_workgroup_size: 256
    .name:           _ZN7rocprim17ROCPRIM_400000_NS6detail17trampoline_kernelINS0_14default_configENS1_29reduce_by_key_config_selectorIssN6thrust23THRUST_200600_302600_NS4plusIsEEEEZZNS1_33reduce_by_key_impl_wrapped_configILNS1_25lookback_scan_determinismE0ES3_S9_NS6_6detail15normal_iteratorINS6_10device_ptrIsEEEESG_SG_SG_PmS8_NS6_8equal_toIsEEEE10hipError_tPvRmT2_T3_mT4_T5_T6_T7_T8_P12ihipStream_tbENKUlT_T0_E_clISt17integral_constantIbLb0EES11_EEDaSW_SX_EUlSW_E_NS1_11comp_targetILNS1_3genE3ELNS1_11target_archE908ELNS1_3gpuE7ELNS1_3repE0EEENS1_30default_config_static_selectorELNS0_4arch9wavefront6targetE1EEEvT1_
    .private_segment_fixed_size: 0
    .sgpr_count:     4
    .sgpr_spill_count: 0
    .symbol:         _ZN7rocprim17ROCPRIM_400000_NS6detail17trampoline_kernelINS0_14default_configENS1_29reduce_by_key_config_selectorIssN6thrust23THRUST_200600_302600_NS4plusIsEEEEZZNS1_33reduce_by_key_impl_wrapped_configILNS1_25lookback_scan_determinismE0ES3_S9_NS6_6detail15normal_iteratorINS6_10device_ptrIsEEEESG_SG_SG_PmS8_NS6_8equal_toIsEEEE10hipError_tPvRmT2_T3_mT4_T5_T6_T7_T8_P12ihipStream_tbENKUlT_T0_E_clISt17integral_constantIbLb0EES11_EEDaSW_SX_EUlSW_E_NS1_11comp_targetILNS1_3genE3ELNS1_11target_archE908ELNS1_3gpuE7ELNS1_3repE0EEENS1_30default_config_static_selectorELNS0_4arch9wavefront6targetE1EEEvT1_.kd
    .uniform_work_group_size: 1
    .uses_dynamic_stack: false
    .vgpr_count:     0
    .vgpr_spill_count: 0
    .wavefront_size: 64
  - .agpr_count:     0
    .args:
      - .offset:         0
        .size:           120
        .value_kind:     by_value
    .group_segment_fixed_size: 0
    .kernarg_segment_align: 8
    .kernarg_segment_size: 120
    .language:       OpenCL C
    .language_version:
      - 2
      - 0
    .max_flat_workgroup_size: 256
    .name:           _ZN7rocprim17ROCPRIM_400000_NS6detail17trampoline_kernelINS0_14default_configENS1_29reduce_by_key_config_selectorIssN6thrust23THRUST_200600_302600_NS4plusIsEEEEZZNS1_33reduce_by_key_impl_wrapped_configILNS1_25lookback_scan_determinismE0ES3_S9_NS6_6detail15normal_iteratorINS6_10device_ptrIsEEEESG_SG_SG_PmS8_NS6_8equal_toIsEEEE10hipError_tPvRmT2_T3_mT4_T5_T6_T7_T8_P12ihipStream_tbENKUlT_T0_E_clISt17integral_constantIbLb0EES11_EEDaSW_SX_EUlSW_E_NS1_11comp_targetILNS1_3genE2ELNS1_11target_archE906ELNS1_3gpuE6ELNS1_3repE0EEENS1_30default_config_static_selectorELNS0_4arch9wavefront6targetE1EEEvT1_
    .private_segment_fixed_size: 0
    .sgpr_count:     4
    .sgpr_spill_count: 0
    .symbol:         _ZN7rocprim17ROCPRIM_400000_NS6detail17trampoline_kernelINS0_14default_configENS1_29reduce_by_key_config_selectorIssN6thrust23THRUST_200600_302600_NS4plusIsEEEEZZNS1_33reduce_by_key_impl_wrapped_configILNS1_25lookback_scan_determinismE0ES3_S9_NS6_6detail15normal_iteratorINS6_10device_ptrIsEEEESG_SG_SG_PmS8_NS6_8equal_toIsEEEE10hipError_tPvRmT2_T3_mT4_T5_T6_T7_T8_P12ihipStream_tbENKUlT_T0_E_clISt17integral_constantIbLb0EES11_EEDaSW_SX_EUlSW_E_NS1_11comp_targetILNS1_3genE2ELNS1_11target_archE906ELNS1_3gpuE6ELNS1_3repE0EEENS1_30default_config_static_selectorELNS0_4arch9wavefront6targetE1EEEvT1_.kd
    .uniform_work_group_size: 1
    .uses_dynamic_stack: false
    .vgpr_count:     0
    .vgpr_spill_count: 0
    .wavefront_size: 64
  - .agpr_count:     0
    .args:
      - .offset:         0
        .size:           120
        .value_kind:     by_value
    .group_segment_fixed_size: 0
    .kernarg_segment_align: 8
    .kernarg_segment_size: 120
    .language:       OpenCL C
    .language_version:
      - 2
      - 0
    .max_flat_workgroup_size: 256
    .name:           _ZN7rocprim17ROCPRIM_400000_NS6detail17trampoline_kernelINS0_14default_configENS1_29reduce_by_key_config_selectorIssN6thrust23THRUST_200600_302600_NS4plusIsEEEEZZNS1_33reduce_by_key_impl_wrapped_configILNS1_25lookback_scan_determinismE0ES3_S9_NS6_6detail15normal_iteratorINS6_10device_ptrIsEEEESG_SG_SG_PmS8_NS6_8equal_toIsEEEE10hipError_tPvRmT2_T3_mT4_T5_T6_T7_T8_P12ihipStream_tbENKUlT_T0_E_clISt17integral_constantIbLb0EES11_EEDaSW_SX_EUlSW_E_NS1_11comp_targetILNS1_3genE10ELNS1_11target_archE1201ELNS1_3gpuE5ELNS1_3repE0EEENS1_30default_config_static_selectorELNS0_4arch9wavefront6targetE1EEEvT1_
    .private_segment_fixed_size: 0
    .sgpr_count:     4
    .sgpr_spill_count: 0
    .symbol:         _ZN7rocprim17ROCPRIM_400000_NS6detail17trampoline_kernelINS0_14default_configENS1_29reduce_by_key_config_selectorIssN6thrust23THRUST_200600_302600_NS4plusIsEEEEZZNS1_33reduce_by_key_impl_wrapped_configILNS1_25lookback_scan_determinismE0ES3_S9_NS6_6detail15normal_iteratorINS6_10device_ptrIsEEEESG_SG_SG_PmS8_NS6_8equal_toIsEEEE10hipError_tPvRmT2_T3_mT4_T5_T6_T7_T8_P12ihipStream_tbENKUlT_T0_E_clISt17integral_constantIbLb0EES11_EEDaSW_SX_EUlSW_E_NS1_11comp_targetILNS1_3genE10ELNS1_11target_archE1201ELNS1_3gpuE5ELNS1_3repE0EEENS1_30default_config_static_selectorELNS0_4arch9wavefront6targetE1EEEvT1_.kd
    .uniform_work_group_size: 1
    .uses_dynamic_stack: false
    .vgpr_count:     0
    .vgpr_spill_count: 0
    .wavefront_size: 64
  - .agpr_count:     0
    .args:
      - .offset:         0
        .size:           120
        .value_kind:     by_value
    .group_segment_fixed_size: 0
    .kernarg_segment_align: 8
    .kernarg_segment_size: 120
    .language:       OpenCL C
    .language_version:
      - 2
      - 0
    .max_flat_workgroup_size: 256
    .name:           _ZN7rocprim17ROCPRIM_400000_NS6detail17trampoline_kernelINS0_14default_configENS1_29reduce_by_key_config_selectorIssN6thrust23THRUST_200600_302600_NS4plusIsEEEEZZNS1_33reduce_by_key_impl_wrapped_configILNS1_25lookback_scan_determinismE0ES3_S9_NS6_6detail15normal_iteratorINS6_10device_ptrIsEEEESG_SG_SG_PmS8_NS6_8equal_toIsEEEE10hipError_tPvRmT2_T3_mT4_T5_T6_T7_T8_P12ihipStream_tbENKUlT_T0_E_clISt17integral_constantIbLb0EES11_EEDaSW_SX_EUlSW_E_NS1_11comp_targetILNS1_3genE10ELNS1_11target_archE1200ELNS1_3gpuE4ELNS1_3repE0EEENS1_30default_config_static_selectorELNS0_4arch9wavefront6targetE1EEEvT1_
    .private_segment_fixed_size: 0
    .sgpr_count:     4
    .sgpr_spill_count: 0
    .symbol:         _ZN7rocprim17ROCPRIM_400000_NS6detail17trampoline_kernelINS0_14default_configENS1_29reduce_by_key_config_selectorIssN6thrust23THRUST_200600_302600_NS4plusIsEEEEZZNS1_33reduce_by_key_impl_wrapped_configILNS1_25lookback_scan_determinismE0ES3_S9_NS6_6detail15normal_iteratorINS6_10device_ptrIsEEEESG_SG_SG_PmS8_NS6_8equal_toIsEEEE10hipError_tPvRmT2_T3_mT4_T5_T6_T7_T8_P12ihipStream_tbENKUlT_T0_E_clISt17integral_constantIbLb0EES11_EEDaSW_SX_EUlSW_E_NS1_11comp_targetILNS1_3genE10ELNS1_11target_archE1200ELNS1_3gpuE4ELNS1_3repE0EEENS1_30default_config_static_selectorELNS0_4arch9wavefront6targetE1EEEvT1_.kd
    .uniform_work_group_size: 1
    .uses_dynamic_stack: false
    .vgpr_count:     0
    .vgpr_spill_count: 0
    .wavefront_size: 64
  - .agpr_count:     0
    .args:
      - .offset:         0
        .size:           120
        .value_kind:     by_value
    .group_segment_fixed_size: 0
    .kernarg_segment_align: 8
    .kernarg_segment_size: 120
    .language:       OpenCL C
    .language_version:
      - 2
      - 0
    .max_flat_workgroup_size: 256
    .name:           _ZN7rocprim17ROCPRIM_400000_NS6detail17trampoline_kernelINS0_14default_configENS1_29reduce_by_key_config_selectorIssN6thrust23THRUST_200600_302600_NS4plusIsEEEEZZNS1_33reduce_by_key_impl_wrapped_configILNS1_25lookback_scan_determinismE0ES3_S9_NS6_6detail15normal_iteratorINS6_10device_ptrIsEEEESG_SG_SG_PmS8_NS6_8equal_toIsEEEE10hipError_tPvRmT2_T3_mT4_T5_T6_T7_T8_P12ihipStream_tbENKUlT_T0_E_clISt17integral_constantIbLb0EES11_EEDaSW_SX_EUlSW_E_NS1_11comp_targetILNS1_3genE9ELNS1_11target_archE1100ELNS1_3gpuE3ELNS1_3repE0EEENS1_30default_config_static_selectorELNS0_4arch9wavefront6targetE1EEEvT1_
    .private_segment_fixed_size: 0
    .sgpr_count:     4
    .sgpr_spill_count: 0
    .symbol:         _ZN7rocprim17ROCPRIM_400000_NS6detail17trampoline_kernelINS0_14default_configENS1_29reduce_by_key_config_selectorIssN6thrust23THRUST_200600_302600_NS4plusIsEEEEZZNS1_33reduce_by_key_impl_wrapped_configILNS1_25lookback_scan_determinismE0ES3_S9_NS6_6detail15normal_iteratorINS6_10device_ptrIsEEEESG_SG_SG_PmS8_NS6_8equal_toIsEEEE10hipError_tPvRmT2_T3_mT4_T5_T6_T7_T8_P12ihipStream_tbENKUlT_T0_E_clISt17integral_constantIbLb0EES11_EEDaSW_SX_EUlSW_E_NS1_11comp_targetILNS1_3genE9ELNS1_11target_archE1100ELNS1_3gpuE3ELNS1_3repE0EEENS1_30default_config_static_selectorELNS0_4arch9wavefront6targetE1EEEvT1_.kd
    .uniform_work_group_size: 1
    .uses_dynamic_stack: false
    .vgpr_count:     0
    .vgpr_spill_count: 0
    .wavefront_size: 64
  - .agpr_count:     0
    .args:
      - .offset:         0
        .size:           120
        .value_kind:     by_value
    .group_segment_fixed_size: 0
    .kernarg_segment_align: 8
    .kernarg_segment_size: 120
    .language:       OpenCL C
    .language_version:
      - 2
      - 0
    .max_flat_workgroup_size: 256
    .name:           _ZN7rocprim17ROCPRIM_400000_NS6detail17trampoline_kernelINS0_14default_configENS1_29reduce_by_key_config_selectorIssN6thrust23THRUST_200600_302600_NS4plusIsEEEEZZNS1_33reduce_by_key_impl_wrapped_configILNS1_25lookback_scan_determinismE0ES3_S9_NS6_6detail15normal_iteratorINS6_10device_ptrIsEEEESG_SG_SG_PmS8_NS6_8equal_toIsEEEE10hipError_tPvRmT2_T3_mT4_T5_T6_T7_T8_P12ihipStream_tbENKUlT_T0_E_clISt17integral_constantIbLb0EES11_EEDaSW_SX_EUlSW_E_NS1_11comp_targetILNS1_3genE8ELNS1_11target_archE1030ELNS1_3gpuE2ELNS1_3repE0EEENS1_30default_config_static_selectorELNS0_4arch9wavefront6targetE1EEEvT1_
    .private_segment_fixed_size: 0
    .sgpr_count:     4
    .sgpr_spill_count: 0
    .symbol:         _ZN7rocprim17ROCPRIM_400000_NS6detail17trampoline_kernelINS0_14default_configENS1_29reduce_by_key_config_selectorIssN6thrust23THRUST_200600_302600_NS4plusIsEEEEZZNS1_33reduce_by_key_impl_wrapped_configILNS1_25lookback_scan_determinismE0ES3_S9_NS6_6detail15normal_iteratorINS6_10device_ptrIsEEEESG_SG_SG_PmS8_NS6_8equal_toIsEEEE10hipError_tPvRmT2_T3_mT4_T5_T6_T7_T8_P12ihipStream_tbENKUlT_T0_E_clISt17integral_constantIbLb0EES11_EEDaSW_SX_EUlSW_E_NS1_11comp_targetILNS1_3genE8ELNS1_11target_archE1030ELNS1_3gpuE2ELNS1_3repE0EEENS1_30default_config_static_selectorELNS0_4arch9wavefront6targetE1EEEvT1_.kd
    .uniform_work_group_size: 1
    .uses_dynamic_stack: false
    .vgpr_count:     0
    .vgpr_spill_count: 0
    .wavefront_size: 64
  - .agpr_count:     0
    .args:
      - .address_space:  global
        .offset:         0
        .size:           8
        .value_kind:     global_buffer
      - .offset:         8
        .size:           4
        .value_kind:     by_value
      - .offset:         12
        .size:           1
        .value_kind:     by_value
      - .offset:         16
        .size:           4
        .value_kind:     by_value
      - .address_space:  global
        .offset:         24
        .size:           8
        .value_kind:     global_buffer
      - .address_space:  global
        .offset:         32
        .size:           8
        .value_kind:     global_buffer
      - .address_space:  global
        .offset:         40
        .size:           8
        .value_kind:     global_buffer
      - .offset:         48
        .size:           4
        .value_kind:     hidden_block_count_x
      - .offset:         52
        .size:           4
        .value_kind:     hidden_block_count_y
      - .offset:         56
        .size:           4
        .value_kind:     hidden_block_count_z
      - .offset:         60
        .size:           2
        .value_kind:     hidden_group_size_x
      - .offset:         62
        .size:           2
        .value_kind:     hidden_group_size_y
      - .offset:         64
        .size:           2
        .value_kind:     hidden_group_size_z
      - .offset:         66
        .size:           2
        .value_kind:     hidden_remainder_x
      - .offset:         68
        .size:           2
        .value_kind:     hidden_remainder_y
      - .offset:         70
        .size:           2
        .value_kind:     hidden_remainder_z
      - .offset:         88
        .size:           8
        .value_kind:     hidden_global_offset_x
      - .offset:         96
        .size:           8
        .value_kind:     hidden_global_offset_y
      - .offset:         104
        .size:           8
        .value_kind:     hidden_global_offset_z
      - .offset:         112
        .size:           2
        .value_kind:     hidden_grid_dims
    .group_segment_fixed_size: 0
    .kernarg_segment_align: 8
    .kernarg_segment_size: 304
    .language:       OpenCL C
    .language_version:
      - 2
      - 0
    .max_flat_workgroup_size: 256
    .name:           _ZN7rocprim17ROCPRIM_400000_NS6detail25reduce_by_key_init_kernelINS1_19lookback_scan_stateINS0_5tupleIJjsEEELb1ELb1EEEsNS1_16block_id_wrapperIjLb1EEEEEvT_jbjPmPT0_T1_
    .private_segment_fixed_size: 0
    .sgpr_count:     22
    .sgpr_spill_count: 0
    .symbol:         _ZN7rocprim17ROCPRIM_400000_NS6detail25reduce_by_key_init_kernelINS1_19lookback_scan_stateINS0_5tupleIJjsEEELb1ELb1EEEsNS1_16block_id_wrapperIjLb1EEEEEvT_jbjPmPT0_T1_.kd
    .uniform_work_group_size: 1
    .uses_dynamic_stack: false
    .vgpr_count:     10
    .vgpr_spill_count: 0
    .wavefront_size: 64
  - .agpr_count:     0
    .args:
      - .offset:         0
        .size:           120
        .value_kind:     by_value
    .group_segment_fixed_size: 0
    .kernarg_segment_align: 8
    .kernarg_segment_size: 120
    .language:       OpenCL C
    .language_version:
      - 2
      - 0
    .max_flat_workgroup_size: 256
    .name:           _ZN7rocprim17ROCPRIM_400000_NS6detail17trampoline_kernelINS0_14default_configENS1_29reduce_by_key_config_selectorIssN6thrust23THRUST_200600_302600_NS4plusIsEEEEZZNS1_33reduce_by_key_impl_wrapped_configILNS1_25lookback_scan_determinismE0ES3_S9_NS6_6detail15normal_iteratorINS6_10device_ptrIsEEEESG_SG_SG_PmS8_NS6_8equal_toIsEEEE10hipError_tPvRmT2_T3_mT4_T5_T6_T7_T8_P12ihipStream_tbENKUlT_T0_E_clISt17integral_constantIbLb1EES11_EEDaSW_SX_EUlSW_E_NS1_11comp_targetILNS1_3genE0ELNS1_11target_archE4294967295ELNS1_3gpuE0ELNS1_3repE0EEENS1_30default_config_static_selectorELNS0_4arch9wavefront6targetE1EEEvT1_
    .private_segment_fixed_size: 0
    .sgpr_count:     4
    .sgpr_spill_count: 0
    .symbol:         _ZN7rocprim17ROCPRIM_400000_NS6detail17trampoline_kernelINS0_14default_configENS1_29reduce_by_key_config_selectorIssN6thrust23THRUST_200600_302600_NS4plusIsEEEEZZNS1_33reduce_by_key_impl_wrapped_configILNS1_25lookback_scan_determinismE0ES3_S9_NS6_6detail15normal_iteratorINS6_10device_ptrIsEEEESG_SG_SG_PmS8_NS6_8equal_toIsEEEE10hipError_tPvRmT2_T3_mT4_T5_T6_T7_T8_P12ihipStream_tbENKUlT_T0_E_clISt17integral_constantIbLb1EES11_EEDaSW_SX_EUlSW_E_NS1_11comp_targetILNS1_3genE0ELNS1_11target_archE4294967295ELNS1_3gpuE0ELNS1_3repE0EEENS1_30default_config_static_selectorELNS0_4arch9wavefront6targetE1EEEvT1_.kd
    .uniform_work_group_size: 1
    .uses_dynamic_stack: false
    .vgpr_count:     0
    .vgpr_spill_count: 0
    .wavefront_size: 64
  - .agpr_count:     0
    .args:
      - .offset:         0
        .size:           120
        .value_kind:     by_value
    .group_segment_fixed_size: 0
    .kernarg_segment_align: 8
    .kernarg_segment_size: 120
    .language:       OpenCL C
    .language_version:
      - 2
      - 0
    .max_flat_workgroup_size: 256
    .name:           _ZN7rocprim17ROCPRIM_400000_NS6detail17trampoline_kernelINS0_14default_configENS1_29reduce_by_key_config_selectorIssN6thrust23THRUST_200600_302600_NS4plusIsEEEEZZNS1_33reduce_by_key_impl_wrapped_configILNS1_25lookback_scan_determinismE0ES3_S9_NS6_6detail15normal_iteratorINS6_10device_ptrIsEEEESG_SG_SG_PmS8_NS6_8equal_toIsEEEE10hipError_tPvRmT2_T3_mT4_T5_T6_T7_T8_P12ihipStream_tbENKUlT_T0_E_clISt17integral_constantIbLb1EES11_EEDaSW_SX_EUlSW_E_NS1_11comp_targetILNS1_3genE5ELNS1_11target_archE942ELNS1_3gpuE9ELNS1_3repE0EEENS1_30default_config_static_selectorELNS0_4arch9wavefront6targetE1EEEvT1_
    .private_segment_fixed_size: 0
    .sgpr_count:     4
    .sgpr_spill_count: 0
    .symbol:         _ZN7rocprim17ROCPRIM_400000_NS6detail17trampoline_kernelINS0_14default_configENS1_29reduce_by_key_config_selectorIssN6thrust23THRUST_200600_302600_NS4plusIsEEEEZZNS1_33reduce_by_key_impl_wrapped_configILNS1_25lookback_scan_determinismE0ES3_S9_NS6_6detail15normal_iteratorINS6_10device_ptrIsEEEESG_SG_SG_PmS8_NS6_8equal_toIsEEEE10hipError_tPvRmT2_T3_mT4_T5_T6_T7_T8_P12ihipStream_tbENKUlT_T0_E_clISt17integral_constantIbLb1EES11_EEDaSW_SX_EUlSW_E_NS1_11comp_targetILNS1_3genE5ELNS1_11target_archE942ELNS1_3gpuE9ELNS1_3repE0EEENS1_30default_config_static_selectorELNS0_4arch9wavefront6targetE1EEEvT1_.kd
    .uniform_work_group_size: 1
    .uses_dynamic_stack: false
    .vgpr_count:     0
    .vgpr_spill_count: 0
    .wavefront_size: 64
  - .agpr_count:     0
    .args:
      - .offset:         0
        .size:           120
        .value_kind:     by_value
    .group_segment_fixed_size: 7680
    .kernarg_segment_align: 8
    .kernarg_segment_size: 120
    .language:       OpenCL C
    .language_version:
      - 2
      - 0
    .max_flat_workgroup_size: 256
    .name:           _ZN7rocprim17ROCPRIM_400000_NS6detail17trampoline_kernelINS0_14default_configENS1_29reduce_by_key_config_selectorIssN6thrust23THRUST_200600_302600_NS4plusIsEEEEZZNS1_33reduce_by_key_impl_wrapped_configILNS1_25lookback_scan_determinismE0ES3_S9_NS6_6detail15normal_iteratorINS6_10device_ptrIsEEEESG_SG_SG_PmS8_NS6_8equal_toIsEEEE10hipError_tPvRmT2_T3_mT4_T5_T6_T7_T8_P12ihipStream_tbENKUlT_T0_E_clISt17integral_constantIbLb1EES11_EEDaSW_SX_EUlSW_E_NS1_11comp_targetILNS1_3genE4ELNS1_11target_archE910ELNS1_3gpuE8ELNS1_3repE0EEENS1_30default_config_static_selectorELNS0_4arch9wavefront6targetE1EEEvT1_
    .private_segment_fixed_size: 0
    .sgpr_count:     70
    .sgpr_spill_count: 0
    .symbol:         _ZN7rocprim17ROCPRIM_400000_NS6detail17trampoline_kernelINS0_14default_configENS1_29reduce_by_key_config_selectorIssN6thrust23THRUST_200600_302600_NS4plusIsEEEEZZNS1_33reduce_by_key_impl_wrapped_configILNS1_25lookback_scan_determinismE0ES3_S9_NS6_6detail15normal_iteratorINS6_10device_ptrIsEEEESG_SG_SG_PmS8_NS6_8equal_toIsEEEE10hipError_tPvRmT2_T3_mT4_T5_T6_T7_T8_P12ihipStream_tbENKUlT_T0_E_clISt17integral_constantIbLb1EES11_EEDaSW_SX_EUlSW_E_NS1_11comp_targetILNS1_3genE4ELNS1_11target_archE910ELNS1_3gpuE8ELNS1_3repE0EEENS1_30default_config_static_selectorELNS0_4arch9wavefront6targetE1EEEvT1_.kd
    .uniform_work_group_size: 1
    .uses_dynamic_stack: false
    .vgpr_count:     111
    .vgpr_spill_count: 0
    .wavefront_size: 64
  - .agpr_count:     0
    .args:
      - .offset:         0
        .size:           120
        .value_kind:     by_value
    .group_segment_fixed_size: 0
    .kernarg_segment_align: 8
    .kernarg_segment_size: 120
    .language:       OpenCL C
    .language_version:
      - 2
      - 0
    .max_flat_workgroup_size: 256
    .name:           _ZN7rocprim17ROCPRIM_400000_NS6detail17trampoline_kernelINS0_14default_configENS1_29reduce_by_key_config_selectorIssN6thrust23THRUST_200600_302600_NS4plusIsEEEEZZNS1_33reduce_by_key_impl_wrapped_configILNS1_25lookback_scan_determinismE0ES3_S9_NS6_6detail15normal_iteratorINS6_10device_ptrIsEEEESG_SG_SG_PmS8_NS6_8equal_toIsEEEE10hipError_tPvRmT2_T3_mT4_T5_T6_T7_T8_P12ihipStream_tbENKUlT_T0_E_clISt17integral_constantIbLb1EES11_EEDaSW_SX_EUlSW_E_NS1_11comp_targetILNS1_3genE3ELNS1_11target_archE908ELNS1_3gpuE7ELNS1_3repE0EEENS1_30default_config_static_selectorELNS0_4arch9wavefront6targetE1EEEvT1_
    .private_segment_fixed_size: 0
    .sgpr_count:     4
    .sgpr_spill_count: 0
    .symbol:         _ZN7rocprim17ROCPRIM_400000_NS6detail17trampoline_kernelINS0_14default_configENS1_29reduce_by_key_config_selectorIssN6thrust23THRUST_200600_302600_NS4plusIsEEEEZZNS1_33reduce_by_key_impl_wrapped_configILNS1_25lookback_scan_determinismE0ES3_S9_NS6_6detail15normal_iteratorINS6_10device_ptrIsEEEESG_SG_SG_PmS8_NS6_8equal_toIsEEEE10hipError_tPvRmT2_T3_mT4_T5_T6_T7_T8_P12ihipStream_tbENKUlT_T0_E_clISt17integral_constantIbLb1EES11_EEDaSW_SX_EUlSW_E_NS1_11comp_targetILNS1_3genE3ELNS1_11target_archE908ELNS1_3gpuE7ELNS1_3repE0EEENS1_30default_config_static_selectorELNS0_4arch9wavefront6targetE1EEEvT1_.kd
    .uniform_work_group_size: 1
    .uses_dynamic_stack: false
    .vgpr_count:     0
    .vgpr_spill_count: 0
    .wavefront_size: 64
  - .agpr_count:     0
    .args:
      - .offset:         0
        .size:           120
        .value_kind:     by_value
    .group_segment_fixed_size: 0
    .kernarg_segment_align: 8
    .kernarg_segment_size: 120
    .language:       OpenCL C
    .language_version:
      - 2
      - 0
    .max_flat_workgroup_size: 256
    .name:           _ZN7rocprim17ROCPRIM_400000_NS6detail17trampoline_kernelINS0_14default_configENS1_29reduce_by_key_config_selectorIssN6thrust23THRUST_200600_302600_NS4plusIsEEEEZZNS1_33reduce_by_key_impl_wrapped_configILNS1_25lookback_scan_determinismE0ES3_S9_NS6_6detail15normal_iteratorINS6_10device_ptrIsEEEESG_SG_SG_PmS8_NS6_8equal_toIsEEEE10hipError_tPvRmT2_T3_mT4_T5_T6_T7_T8_P12ihipStream_tbENKUlT_T0_E_clISt17integral_constantIbLb1EES11_EEDaSW_SX_EUlSW_E_NS1_11comp_targetILNS1_3genE2ELNS1_11target_archE906ELNS1_3gpuE6ELNS1_3repE0EEENS1_30default_config_static_selectorELNS0_4arch9wavefront6targetE1EEEvT1_
    .private_segment_fixed_size: 0
    .sgpr_count:     4
    .sgpr_spill_count: 0
    .symbol:         _ZN7rocprim17ROCPRIM_400000_NS6detail17trampoline_kernelINS0_14default_configENS1_29reduce_by_key_config_selectorIssN6thrust23THRUST_200600_302600_NS4plusIsEEEEZZNS1_33reduce_by_key_impl_wrapped_configILNS1_25lookback_scan_determinismE0ES3_S9_NS6_6detail15normal_iteratorINS6_10device_ptrIsEEEESG_SG_SG_PmS8_NS6_8equal_toIsEEEE10hipError_tPvRmT2_T3_mT4_T5_T6_T7_T8_P12ihipStream_tbENKUlT_T0_E_clISt17integral_constantIbLb1EES11_EEDaSW_SX_EUlSW_E_NS1_11comp_targetILNS1_3genE2ELNS1_11target_archE906ELNS1_3gpuE6ELNS1_3repE0EEENS1_30default_config_static_selectorELNS0_4arch9wavefront6targetE1EEEvT1_.kd
    .uniform_work_group_size: 1
    .uses_dynamic_stack: false
    .vgpr_count:     0
    .vgpr_spill_count: 0
    .wavefront_size: 64
  - .agpr_count:     0
    .args:
      - .offset:         0
        .size:           120
        .value_kind:     by_value
    .group_segment_fixed_size: 0
    .kernarg_segment_align: 8
    .kernarg_segment_size: 120
    .language:       OpenCL C
    .language_version:
      - 2
      - 0
    .max_flat_workgroup_size: 256
    .name:           _ZN7rocprim17ROCPRIM_400000_NS6detail17trampoline_kernelINS0_14default_configENS1_29reduce_by_key_config_selectorIssN6thrust23THRUST_200600_302600_NS4plusIsEEEEZZNS1_33reduce_by_key_impl_wrapped_configILNS1_25lookback_scan_determinismE0ES3_S9_NS6_6detail15normal_iteratorINS6_10device_ptrIsEEEESG_SG_SG_PmS8_NS6_8equal_toIsEEEE10hipError_tPvRmT2_T3_mT4_T5_T6_T7_T8_P12ihipStream_tbENKUlT_T0_E_clISt17integral_constantIbLb1EES11_EEDaSW_SX_EUlSW_E_NS1_11comp_targetILNS1_3genE10ELNS1_11target_archE1201ELNS1_3gpuE5ELNS1_3repE0EEENS1_30default_config_static_selectorELNS0_4arch9wavefront6targetE1EEEvT1_
    .private_segment_fixed_size: 0
    .sgpr_count:     4
    .sgpr_spill_count: 0
    .symbol:         _ZN7rocprim17ROCPRIM_400000_NS6detail17trampoline_kernelINS0_14default_configENS1_29reduce_by_key_config_selectorIssN6thrust23THRUST_200600_302600_NS4plusIsEEEEZZNS1_33reduce_by_key_impl_wrapped_configILNS1_25lookback_scan_determinismE0ES3_S9_NS6_6detail15normal_iteratorINS6_10device_ptrIsEEEESG_SG_SG_PmS8_NS6_8equal_toIsEEEE10hipError_tPvRmT2_T3_mT4_T5_T6_T7_T8_P12ihipStream_tbENKUlT_T0_E_clISt17integral_constantIbLb1EES11_EEDaSW_SX_EUlSW_E_NS1_11comp_targetILNS1_3genE10ELNS1_11target_archE1201ELNS1_3gpuE5ELNS1_3repE0EEENS1_30default_config_static_selectorELNS0_4arch9wavefront6targetE1EEEvT1_.kd
    .uniform_work_group_size: 1
    .uses_dynamic_stack: false
    .vgpr_count:     0
    .vgpr_spill_count: 0
    .wavefront_size: 64
  - .agpr_count:     0
    .args:
      - .offset:         0
        .size:           120
        .value_kind:     by_value
    .group_segment_fixed_size: 0
    .kernarg_segment_align: 8
    .kernarg_segment_size: 120
    .language:       OpenCL C
    .language_version:
      - 2
      - 0
    .max_flat_workgroup_size: 256
    .name:           _ZN7rocprim17ROCPRIM_400000_NS6detail17trampoline_kernelINS0_14default_configENS1_29reduce_by_key_config_selectorIssN6thrust23THRUST_200600_302600_NS4plusIsEEEEZZNS1_33reduce_by_key_impl_wrapped_configILNS1_25lookback_scan_determinismE0ES3_S9_NS6_6detail15normal_iteratorINS6_10device_ptrIsEEEESG_SG_SG_PmS8_NS6_8equal_toIsEEEE10hipError_tPvRmT2_T3_mT4_T5_T6_T7_T8_P12ihipStream_tbENKUlT_T0_E_clISt17integral_constantIbLb1EES11_EEDaSW_SX_EUlSW_E_NS1_11comp_targetILNS1_3genE10ELNS1_11target_archE1200ELNS1_3gpuE4ELNS1_3repE0EEENS1_30default_config_static_selectorELNS0_4arch9wavefront6targetE1EEEvT1_
    .private_segment_fixed_size: 0
    .sgpr_count:     4
    .sgpr_spill_count: 0
    .symbol:         _ZN7rocprim17ROCPRIM_400000_NS6detail17trampoline_kernelINS0_14default_configENS1_29reduce_by_key_config_selectorIssN6thrust23THRUST_200600_302600_NS4plusIsEEEEZZNS1_33reduce_by_key_impl_wrapped_configILNS1_25lookback_scan_determinismE0ES3_S9_NS6_6detail15normal_iteratorINS6_10device_ptrIsEEEESG_SG_SG_PmS8_NS6_8equal_toIsEEEE10hipError_tPvRmT2_T3_mT4_T5_T6_T7_T8_P12ihipStream_tbENKUlT_T0_E_clISt17integral_constantIbLb1EES11_EEDaSW_SX_EUlSW_E_NS1_11comp_targetILNS1_3genE10ELNS1_11target_archE1200ELNS1_3gpuE4ELNS1_3repE0EEENS1_30default_config_static_selectorELNS0_4arch9wavefront6targetE1EEEvT1_.kd
    .uniform_work_group_size: 1
    .uses_dynamic_stack: false
    .vgpr_count:     0
    .vgpr_spill_count: 0
    .wavefront_size: 64
  - .agpr_count:     0
    .args:
      - .offset:         0
        .size:           120
        .value_kind:     by_value
    .group_segment_fixed_size: 0
    .kernarg_segment_align: 8
    .kernarg_segment_size: 120
    .language:       OpenCL C
    .language_version:
      - 2
      - 0
    .max_flat_workgroup_size: 256
    .name:           _ZN7rocprim17ROCPRIM_400000_NS6detail17trampoline_kernelINS0_14default_configENS1_29reduce_by_key_config_selectorIssN6thrust23THRUST_200600_302600_NS4plusIsEEEEZZNS1_33reduce_by_key_impl_wrapped_configILNS1_25lookback_scan_determinismE0ES3_S9_NS6_6detail15normal_iteratorINS6_10device_ptrIsEEEESG_SG_SG_PmS8_NS6_8equal_toIsEEEE10hipError_tPvRmT2_T3_mT4_T5_T6_T7_T8_P12ihipStream_tbENKUlT_T0_E_clISt17integral_constantIbLb1EES11_EEDaSW_SX_EUlSW_E_NS1_11comp_targetILNS1_3genE9ELNS1_11target_archE1100ELNS1_3gpuE3ELNS1_3repE0EEENS1_30default_config_static_selectorELNS0_4arch9wavefront6targetE1EEEvT1_
    .private_segment_fixed_size: 0
    .sgpr_count:     4
    .sgpr_spill_count: 0
    .symbol:         _ZN7rocprim17ROCPRIM_400000_NS6detail17trampoline_kernelINS0_14default_configENS1_29reduce_by_key_config_selectorIssN6thrust23THRUST_200600_302600_NS4plusIsEEEEZZNS1_33reduce_by_key_impl_wrapped_configILNS1_25lookback_scan_determinismE0ES3_S9_NS6_6detail15normal_iteratorINS6_10device_ptrIsEEEESG_SG_SG_PmS8_NS6_8equal_toIsEEEE10hipError_tPvRmT2_T3_mT4_T5_T6_T7_T8_P12ihipStream_tbENKUlT_T0_E_clISt17integral_constantIbLb1EES11_EEDaSW_SX_EUlSW_E_NS1_11comp_targetILNS1_3genE9ELNS1_11target_archE1100ELNS1_3gpuE3ELNS1_3repE0EEENS1_30default_config_static_selectorELNS0_4arch9wavefront6targetE1EEEvT1_.kd
    .uniform_work_group_size: 1
    .uses_dynamic_stack: false
    .vgpr_count:     0
    .vgpr_spill_count: 0
    .wavefront_size: 64
  - .agpr_count:     0
    .args:
      - .offset:         0
        .size:           120
        .value_kind:     by_value
    .group_segment_fixed_size: 0
    .kernarg_segment_align: 8
    .kernarg_segment_size: 120
    .language:       OpenCL C
    .language_version:
      - 2
      - 0
    .max_flat_workgroup_size: 256
    .name:           _ZN7rocprim17ROCPRIM_400000_NS6detail17trampoline_kernelINS0_14default_configENS1_29reduce_by_key_config_selectorIssN6thrust23THRUST_200600_302600_NS4plusIsEEEEZZNS1_33reduce_by_key_impl_wrapped_configILNS1_25lookback_scan_determinismE0ES3_S9_NS6_6detail15normal_iteratorINS6_10device_ptrIsEEEESG_SG_SG_PmS8_NS6_8equal_toIsEEEE10hipError_tPvRmT2_T3_mT4_T5_T6_T7_T8_P12ihipStream_tbENKUlT_T0_E_clISt17integral_constantIbLb1EES11_EEDaSW_SX_EUlSW_E_NS1_11comp_targetILNS1_3genE8ELNS1_11target_archE1030ELNS1_3gpuE2ELNS1_3repE0EEENS1_30default_config_static_selectorELNS0_4arch9wavefront6targetE1EEEvT1_
    .private_segment_fixed_size: 0
    .sgpr_count:     4
    .sgpr_spill_count: 0
    .symbol:         _ZN7rocprim17ROCPRIM_400000_NS6detail17trampoline_kernelINS0_14default_configENS1_29reduce_by_key_config_selectorIssN6thrust23THRUST_200600_302600_NS4plusIsEEEEZZNS1_33reduce_by_key_impl_wrapped_configILNS1_25lookback_scan_determinismE0ES3_S9_NS6_6detail15normal_iteratorINS6_10device_ptrIsEEEESG_SG_SG_PmS8_NS6_8equal_toIsEEEE10hipError_tPvRmT2_T3_mT4_T5_T6_T7_T8_P12ihipStream_tbENKUlT_T0_E_clISt17integral_constantIbLb1EES11_EEDaSW_SX_EUlSW_E_NS1_11comp_targetILNS1_3genE8ELNS1_11target_archE1030ELNS1_3gpuE2ELNS1_3repE0EEENS1_30default_config_static_selectorELNS0_4arch9wavefront6targetE1EEEvT1_.kd
    .uniform_work_group_size: 1
    .uses_dynamic_stack: false
    .vgpr_count:     0
    .vgpr_spill_count: 0
    .wavefront_size: 64
  - .agpr_count:     0
    .args:
      - .address_space:  global
        .offset:         0
        .size:           8
        .value_kind:     global_buffer
      - .offset:         8
        .size:           4
        .value_kind:     by_value
      - .offset:         12
        .size:           1
        .value_kind:     by_value
      - .offset:         16
        .size:           4
        .value_kind:     by_value
      - .address_space:  global
        .offset:         24
        .size:           8
        .value_kind:     global_buffer
      - .address_space:  global
        .offset:         32
        .size:           8
        .value_kind:     global_buffer
      - .offset:         40
        .size:           1
        .value_kind:     by_value
      - .offset:         48
        .size:           4
        .value_kind:     hidden_block_count_x
      - .offset:         52
        .size:           4
        .value_kind:     hidden_block_count_y
      - .offset:         56
        .size:           4
        .value_kind:     hidden_block_count_z
      - .offset:         60
        .size:           2
        .value_kind:     hidden_group_size_x
      - .offset:         62
        .size:           2
        .value_kind:     hidden_group_size_y
      - .offset:         64
        .size:           2
        .value_kind:     hidden_group_size_z
      - .offset:         66
        .size:           2
        .value_kind:     hidden_remainder_x
      - .offset:         68
        .size:           2
        .value_kind:     hidden_remainder_y
      - .offset:         70
        .size:           2
        .value_kind:     hidden_remainder_z
      - .offset:         88
        .size:           8
        .value_kind:     hidden_global_offset_x
      - .offset:         96
        .size:           8
        .value_kind:     hidden_global_offset_y
      - .offset:         104
        .size:           8
        .value_kind:     hidden_global_offset_z
      - .offset:         112
        .size:           2
        .value_kind:     hidden_grid_dims
    .group_segment_fixed_size: 0
    .kernarg_segment_align: 8
    .kernarg_segment_size: 304
    .language:       OpenCL C
    .language_version:
      - 2
      - 0
    .max_flat_workgroup_size: 256
    .name:           _ZN7rocprim17ROCPRIM_400000_NS6detail25reduce_by_key_init_kernelINS1_19lookback_scan_stateINS0_5tupleIJjsEEELb1ELb1EEEsNS1_16block_id_wrapperIjLb0EEEEEvT_jbjPmPT0_T1_
    .private_segment_fixed_size: 0
    .sgpr_count:     20
    .sgpr_spill_count: 0
    .symbol:         _ZN7rocprim17ROCPRIM_400000_NS6detail25reduce_by_key_init_kernelINS1_19lookback_scan_stateINS0_5tupleIJjsEEELb1ELb1EEEsNS1_16block_id_wrapperIjLb0EEEEEvT_jbjPmPT0_T1_.kd
    .uniform_work_group_size: 1
    .uses_dynamic_stack: false
    .vgpr_count:     10
    .vgpr_spill_count: 0
    .wavefront_size: 64
  - .agpr_count:     0
    .args:
      - .offset:         0
        .size:           120
        .value_kind:     by_value
    .group_segment_fixed_size: 0
    .kernarg_segment_align: 8
    .kernarg_segment_size: 120
    .language:       OpenCL C
    .language_version:
      - 2
      - 0
    .max_flat_workgroup_size: 256
    .name:           _ZN7rocprim17ROCPRIM_400000_NS6detail17trampoline_kernelINS0_14default_configENS1_29reduce_by_key_config_selectorIssN6thrust23THRUST_200600_302600_NS4plusIsEEEEZZNS1_33reduce_by_key_impl_wrapped_configILNS1_25lookback_scan_determinismE0ES3_S9_NS6_6detail15normal_iteratorINS6_10device_ptrIsEEEESG_SG_SG_PmS8_NS6_8equal_toIsEEEE10hipError_tPvRmT2_T3_mT4_T5_T6_T7_T8_P12ihipStream_tbENKUlT_T0_E_clISt17integral_constantIbLb1EES10_IbLb0EEEEDaSW_SX_EUlSW_E_NS1_11comp_targetILNS1_3genE0ELNS1_11target_archE4294967295ELNS1_3gpuE0ELNS1_3repE0EEENS1_30default_config_static_selectorELNS0_4arch9wavefront6targetE1EEEvT1_
    .private_segment_fixed_size: 0
    .sgpr_count:     4
    .sgpr_spill_count: 0
    .symbol:         _ZN7rocprim17ROCPRIM_400000_NS6detail17trampoline_kernelINS0_14default_configENS1_29reduce_by_key_config_selectorIssN6thrust23THRUST_200600_302600_NS4plusIsEEEEZZNS1_33reduce_by_key_impl_wrapped_configILNS1_25lookback_scan_determinismE0ES3_S9_NS6_6detail15normal_iteratorINS6_10device_ptrIsEEEESG_SG_SG_PmS8_NS6_8equal_toIsEEEE10hipError_tPvRmT2_T3_mT4_T5_T6_T7_T8_P12ihipStream_tbENKUlT_T0_E_clISt17integral_constantIbLb1EES10_IbLb0EEEEDaSW_SX_EUlSW_E_NS1_11comp_targetILNS1_3genE0ELNS1_11target_archE4294967295ELNS1_3gpuE0ELNS1_3repE0EEENS1_30default_config_static_selectorELNS0_4arch9wavefront6targetE1EEEvT1_.kd
    .uniform_work_group_size: 1
    .uses_dynamic_stack: false
    .vgpr_count:     0
    .vgpr_spill_count: 0
    .wavefront_size: 64
  - .agpr_count:     0
    .args:
      - .offset:         0
        .size:           120
        .value_kind:     by_value
    .group_segment_fixed_size: 0
    .kernarg_segment_align: 8
    .kernarg_segment_size: 120
    .language:       OpenCL C
    .language_version:
      - 2
      - 0
    .max_flat_workgroup_size: 256
    .name:           _ZN7rocprim17ROCPRIM_400000_NS6detail17trampoline_kernelINS0_14default_configENS1_29reduce_by_key_config_selectorIssN6thrust23THRUST_200600_302600_NS4plusIsEEEEZZNS1_33reduce_by_key_impl_wrapped_configILNS1_25lookback_scan_determinismE0ES3_S9_NS6_6detail15normal_iteratorINS6_10device_ptrIsEEEESG_SG_SG_PmS8_NS6_8equal_toIsEEEE10hipError_tPvRmT2_T3_mT4_T5_T6_T7_T8_P12ihipStream_tbENKUlT_T0_E_clISt17integral_constantIbLb1EES10_IbLb0EEEEDaSW_SX_EUlSW_E_NS1_11comp_targetILNS1_3genE5ELNS1_11target_archE942ELNS1_3gpuE9ELNS1_3repE0EEENS1_30default_config_static_selectorELNS0_4arch9wavefront6targetE1EEEvT1_
    .private_segment_fixed_size: 0
    .sgpr_count:     4
    .sgpr_spill_count: 0
    .symbol:         _ZN7rocprim17ROCPRIM_400000_NS6detail17trampoline_kernelINS0_14default_configENS1_29reduce_by_key_config_selectorIssN6thrust23THRUST_200600_302600_NS4plusIsEEEEZZNS1_33reduce_by_key_impl_wrapped_configILNS1_25lookback_scan_determinismE0ES3_S9_NS6_6detail15normal_iteratorINS6_10device_ptrIsEEEESG_SG_SG_PmS8_NS6_8equal_toIsEEEE10hipError_tPvRmT2_T3_mT4_T5_T6_T7_T8_P12ihipStream_tbENKUlT_T0_E_clISt17integral_constantIbLb1EES10_IbLb0EEEEDaSW_SX_EUlSW_E_NS1_11comp_targetILNS1_3genE5ELNS1_11target_archE942ELNS1_3gpuE9ELNS1_3repE0EEENS1_30default_config_static_selectorELNS0_4arch9wavefront6targetE1EEEvT1_.kd
    .uniform_work_group_size: 1
    .uses_dynamic_stack: false
    .vgpr_count:     0
    .vgpr_spill_count: 0
    .wavefront_size: 64
  - .agpr_count:     0
    .args:
      - .offset:         0
        .size:           120
        .value_kind:     by_value
    .group_segment_fixed_size: 7680
    .kernarg_segment_align: 8
    .kernarg_segment_size: 120
    .language:       OpenCL C
    .language_version:
      - 2
      - 0
    .max_flat_workgroup_size: 256
    .name:           _ZN7rocprim17ROCPRIM_400000_NS6detail17trampoline_kernelINS0_14default_configENS1_29reduce_by_key_config_selectorIssN6thrust23THRUST_200600_302600_NS4plusIsEEEEZZNS1_33reduce_by_key_impl_wrapped_configILNS1_25lookback_scan_determinismE0ES3_S9_NS6_6detail15normal_iteratorINS6_10device_ptrIsEEEESG_SG_SG_PmS8_NS6_8equal_toIsEEEE10hipError_tPvRmT2_T3_mT4_T5_T6_T7_T8_P12ihipStream_tbENKUlT_T0_E_clISt17integral_constantIbLb1EES10_IbLb0EEEEDaSW_SX_EUlSW_E_NS1_11comp_targetILNS1_3genE4ELNS1_11target_archE910ELNS1_3gpuE8ELNS1_3repE0EEENS1_30default_config_static_selectorELNS0_4arch9wavefront6targetE1EEEvT1_
    .private_segment_fixed_size: 0
    .sgpr_count:     67
    .sgpr_spill_count: 0
    .symbol:         _ZN7rocprim17ROCPRIM_400000_NS6detail17trampoline_kernelINS0_14default_configENS1_29reduce_by_key_config_selectorIssN6thrust23THRUST_200600_302600_NS4plusIsEEEEZZNS1_33reduce_by_key_impl_wrapped_configILNS1_25lookback_scan_determinismE0ES3_S9_NS6_6detail15normal_iteratorINS6_10device_ptrIsEEEESG_SG_SG_PmS8_NS6_8equal_toIsEEEE10hipError_tPvRmT2_T3_mT4_T5_T6_T7_T8_P12ihipStream_tbENKUlT_T0_E_clISt17integral_constantIbLb1EES10_IbLb0EEEEDaSW_SX_EUlSW_E_NS1_11comp_targetILNS1_3genE4ELNS1_11target_archE910ELNS1_3gpuE8ELNS1_3repE0EEENS1_30default_config_static_selectorELNS0_4arch9wavefront6targetE1EEEvT1_.kd
    .uniform_work_group_size: 1
    .uses_dynamic_stack: false
    .vgpr_count:     111
    .vgpr_spill_count: 0
    .wavefront_size: 64
  - .agpr_count:     0
    .args:
      - .offset:         0
        .size:           120
        .value_kind:     by_value
    .group_segment_fixed_size: 0
    .kernarg_segment_align: 8
    .kernarg_segment_size: 120
    .language:       OpenCL C
    .language_version:
      - 2
      - 0
    .max_flat_workgroup_size: 256
    .name:           _ZN7rocprim17ROCPRIM_400000_NS6detail17trampoline_kernelINS0_14default_configENS1_29reduce_by_key_config_selectorIssN6thrust23THRUST_200600_302600_NS4plusIsEEEEZZNS1_33reduce_by_key_impl_wrapped_configILNS1_25lookback_scan_determinismE0ES3_S9_NS6_6detail15normal_iteratorINS6_10device_ptrIsEEEESG_SG_SG_PmS8_NS6_8equal_toIsEEEE10hipError_tPvRmT2_T3_mT4_T5_T6_T7_T8_P12ihipStream_tbENKUlT_T0_E_clISt17integral_constantIbLb1EES10_IbLb0EEEEDaSW_SX_EUlSW_E_NS1_11comp_targetILNS1_3genE3ELNS1_11target_archE908ELNS1_3gpuE7ELNS1_3repE0EEENS1_30default_config_static_selectorELNS0_4arch9wavefront6targetE1EEEvT1_
    .private_segment_fixed_size: 0
    .sgpr_count:     4
    .sgpr_spill_count: 0
    .symbol:         _ZN7rocprim17ROCPRIM_400000_NS6detail17trampoline_kernelINS0_14default_configENS1_29reduce_by_key_config_selectorIssN6thrust23THRUST_200600_302600_NS4plusIsEEEEZZNS1_33reduce_by_key_impl_wrapped_configILNS1_25lookback_scan_determinismE0ES3_S9_NS6_6detail15normal_iteratorINS6_10device_ptrIsEEEESG_SG_SG_PmS8_NS6_8equal_toIsEEEE10hipError_tPvRmT2_T3_mT4_T5_T6_T7_T8_P12ihipStream_tbENKUlT_T0_E_clISt17integral_constantIbLb1EES10_IbLb0EEEEDaSW_SX_EUlSW_E_NS1_11comp_targetILNS1_3genE3ELNS1_11target_archE908ELNS1_3gpuE7ELNS1_3repE0EEENS1_30default_config_static_selectorELNS0_4arch9wavefront6targetE1EEEvT1_.kd
    .uniform_work_group_size: 1
    .uses_dynamic_stack: false
    .vgpr_count:     0
    .vgpr_spill_count: 0
    .wavefront_size: 64
  - .agpr_count:     0
    .args:
      - .offset:         0
        .size:           120
        .value_kind:     by_value
    .group_segment_fixed_size: 0
    .kernarg_segment_align: 8
    .kernarg_segment_size: 120
    .language:       OpenCL C
    .language_version:
      - 2
      - 0
    .max_flat_workgroup_size: 256
    .name:           _ZN7rocprim17ROCPRIM_400000_NS6detail17trampoline_kernelINS0_14default_configENS1_29reduce_by_key_config_selectorIssN6thrust23THRUST_200600_302600_NS4plusIsEEEEZZNS1_33reduce_by_key_impl_wrapped_configILNS1_25lookback_scan_determinismE0ES3_S9_NS6_6detail15normal_iteratorINS6_10device_ptrIsEEEESG_SG_SG_PmS8_NS6_8equal_toIsEEEE10hipError_tPvRmT2_T3_mT4_T5_T6_T7_T8_P12ihipStream_tbENKUlT_T0_E_clISt17integral_constantIbLb1EES10_IbLb0EEEEDaSW_SX_EUlSW_E_NS1_11comp_targetILNS1_3genE2ELNS1_11target_archE906ELNS1_3gpuE6ELNS1_3repE0EEENS1_30default_config_static_selectorELNS0_4arch9wavefront6targetE1EEEvT1_
    .private_segment_fixed_size: 0
    .sgpr_count:     4
    .sgpr_spill_count: 0
    .symbol:         _ZN7rocprim17ROCPRIM_400000_NS6detail17trampoline_kernelINS0_14default_configENS1_29reduce_by_key_config_selectorIssN6thrust23THRUST_200600_302600_NS4plusIsEEEEZZNS1_33reduce_by_key_impl_wrapped_configILNS1_25lookback_scan_determinismE0ES3_S9_NS6_6detail15normal_iteratorINS6_10device_ptrIsEEEESG_SG_SG_PmS8_NS6_8equal_toIsEEEE10hipError_tPvRmT2_T3_mT4_T5_T6_T7_T8_P12ihipStream_tbENKUlT_T0_E_clISt17integral_constantIbLb1EES10_IbLb0EEEEDaSW_SX_EUlSW_E_NS1_11comp_targetILNS1_3genE2ELNS1_11target_archE906ELNS1_3gpuE6ELNS1_3repE0EEENS1_30default_config_static_selectorELNS0_4arch9wavefront6targetE1EEEvT1_.kd
    .uniform_work_group_size: 1
    .uses_dynamic_stack: false
    .vgpr_count:     0
    .vgpr_spill_count: 0
    .wavefront_size: 64
  - .agpr_count:     0
    .args:
      - .offset:         0
        .size:           120
        .value_kind:     by_value
    .group_segment_fixed_size: 0
    .kernarg_segment_align: 8
    .kernarg_segment_size: 120
    .language:       OpenCL C
    .language_version:
      - 2
      - 0
    .max_flat_workgroup_size: 256
    .name:           _ZN7rocprim17ROCPRIM_400000_NS6detail17trampoline_kernelINS0_14default_configENS1_29reduce_by_key_config_selectorIssN6thrust23THRUST_200600_302600_NS4plusIsEEEEZZNS1_33reduce_by_key_impl_wrapped_configILNS1_25lookback_scan_determinismE0ES3_S9_NS6_6detail15normal_iteratorINS6_10device_ptrIsEEEESG_SG_SG_PmS8_NS6_8equal_toIsEEEE10hipError_tPvRmT2_T3_mT4_T5_T6_T7_T8_P12ihipStream_tbENKUlT_T0_E_clISt17integral_constantIbLb1EES10_IbLb0EEEEDaSW_SX_EUlSW_E_NS1_11comp_targetILNS1_3genE10ELNS1_11target_archE1201ELNS1_3gpuE5ELNS1_3repE0EEENS1_30default_config_static_selectorELNS0_4arch9wavefront6targetE1EEEvT1_
    .private_segment_fixed_size: 0
    .sgpr_count:     4
    .sgpr_spill_count: 0
    .symbol:         _ZN7rocprim17ROCPRIM_400000_NS6detail17trampoline_kernelINS0_14default_configENS1_29reduce_by_key_config_selectorIssN6thrust23THRUST_200600_302600_NS4plusIsEEEEZZNS1_33reduce_by_key_impl_wrapped_configILNS1_25lookback_scan_determinismE0ES3_S9_NS6_6detail15normal_iteratorINS6_10device_ptrIsEEEESG_SG_SG_PmS8_NS6_8equal_toIsEEEE10hipError_tPvRmT2_T3_mT4_T5_T6_T7_T8_P12ihipStream_tbENKUlT_T0_E_clISt17integral_constantIbLb1EES10_IbLb0EEEEDaSW_SX_EUlSW_E_NS1_11comp_targetILNS1_3genE10ELNS1_11target_archE1201ELNS1_3gpuE5ELNS1_3repE0EEENS1_30default_config_static_selectorELNS0_4arch9wavefront6targetE1EEEvT1_.kd
    .uniform_work_group_size: 1
    .uses_dynamic_stack: false
    .vgpr_count:     0
    .vgpr_spill_count: 0
    .wavefront_size: 64
  - .agpr_count:     0
    .args:
      - .offset:         0
        .size:           120
        .value_kind:     by_value
    .group_segment_fixed_size: 0
    .kernarg_segment_align: 8
    .kernarg_segment_size: 120
    .language:       OpenCL C
    .language_version:
      - 2
      - 0
    .max_flat_workgroup_size: 256
    .name:           _ZN7rocprim17ROCPRIM_400000_NS6detail17trampoline_kernelINS0_14default_configENS1_29reduce_by_key_config_selectorIssN6thrust23THRUST_200600_302600_NS4plusIsEEEEZZNS1_33reduce_by_key_impl_wrapped_configILNS1_25lookback_scan_determinismE0ES3_S9_NS6_6detail15normal_iteratorINS6_10device_ptrIsEEEESG_SG_SG_PmS8_NS6_8equal_toIsEEEE10hipError_tPvRmT2_T3_mT4_T5_T6_T7_T8_P12ihipStream_tbENKUlT_T0_E_clISt17integral_constantIbLb1EES10_IbLb0EEEEDaSW_SX_EUlSW_E_NS1_11comp_targetILNS1_3genE10ELNS1_11target_archE1200ELNS1_3gpuE4ELNS1_3repE0EEENS1_30default_config_static_selectorELNS0_4arch9wavefront6targetE1EEEvT1_
    .private_segment_fixed_size: 0
    .sgpr_count:     4
    .sgpr_spill_count: 0
    .symbol:         _ZN7rocprim17ROCPRIM_400000_NS6detail17trampoline_kernelINS0_14default_configENS1_29reduce_by_key_config_selectorIssN6thrust23THRUST_200600_302600_NS4plusIsEEEEZZNS1_33reduce_by_key_impl_wrapped_configILNS1_25lookback_scan_determinismE0ES3_S9_NS6_6detail15normal_iteratorINS6_10device_ptrIsEEEESG_SG_SG_PmS8_NS6_8equal_toIsEEEE10hipError_tPvRmT2_T3_mT4_T5_T6_T7_T8_P12ihipStream_tbENKUlT_T0_E_clISt17integral_constantIbLb1EES10_IbLb0EEEEDaSW_SX_EUlSW_E_NS1_11comp_targetILNS1_3genE10ELNS1_11target_archE1200ELNS1_3gpuE4ELNS1_3repE0EEENS1_30default_config_static_selectorELNS0_4arch9wavefront6targetE1EEEvT1_.kd
    .uniform_work_group_size: 1
    .uses_dynamic_stack: false
    .vgpr_count:     0
    .vgpr_spill_count: 0
    .wavefront_size: 64
  - .agpr_count:     0
    .args:
      - .offset:         0
        .size:           120
        .value_kind:     by_value
    .group_segment_fixed_size: 0
    .kernarg_segment_align: 8
    .kernarg_segment_size: 120
    .language:       OpenCL C
    .language_version:
      - 2
      - 0
    .max_flat_workgroup_size: 256
    .name:           _ZN7rocprim17ROCPRIM_400000_NS6detail17trampoline_kernelINS0_14default_configENS1_29reduce_by_key_config_selectorIssN6thrust23THRUST_200600_302600_NS4plusIsEEEEZZNS1_33reduce_by_key_impl_wrapped_configILNS1_25lookback_scan_determinismE0ES3_S9_NS6_6detail15normal_iteratorINS6_10device_ptrIsEEEESG_SG_SG_PmS8_NS6_8equal_toIsEEEE10hipError_tPvRmT2_T3_mT4_T5_T6_T7_T8_P12ihipStream_tbENKUlT_T0_E_clISt17integral_constantIbLb1EES10_IbLb0EEEEDaSW_SX_EUlSW_E_NS1_11comp_targetILNS1_3genE9ELNS1_11target_archE1100ELNS1_3gpuE3ELNS1_3repE0EEENS1_30default_config_static_selectorELNS0_4arch9wavefront6targetE1EEEvT1_
    .private_segment_fixed_size: 0
    .sgpr_count:     4
    .sgpr_spill_count: 0
    .symbol:         _ZN7rocprim17ROCPRIM_400000_NS6detail17trampoline_kernelINS0_14default_configENS1_29reduce_by_key_config_selectorIssN6thrust23THRUST_200600_302600_NS4plusIsEEEEZZNS1_33reduce_by_key_impl_wrapped_configILNS1_25lookback_scan_determinismE0ES3_S9_NS6_6detail15normal_iteratorINS6_10device_ptrIsEEEESG_SG_SG_PmS8_NS6_8equal_toIsEEEE10hipError_tPvRmT2_T3_mT4_T5_T6_T7_T8_P12ihipStream_tbENKUlT_T0_E_clISt17integral_constantIbLb1EES10_IbLb0EEEEDaSW_SX_EUlSW_E_NS1_11comp_targetILNS1_3genE9ELNS1_11target_archE1100ELNS1_3gpuE3ELNS1_3repE0EEENS1_30default_config_static_selectorELNS0_4arch9wavefront6targetE1EEEvT1_.kd
    .uniform_work_group_size: 1
    .uses_dynamic_stack: false
    .vgpr_count:     0
    .vgpr_spill_count: 0
    .wavefront_size: 64
  - .agpr_count:     0
    .args:
      - .offset:         0
        .size:           120
        .value_kind:     by_value
    .group_segment_fixed_size: 0
    .kernarg_segment_align: 8
    .kernarg_segment_size: 120
    .language:       OpenCL C
    .language_version:
      - 2
      - 0
    .max_flat_workgroup_size: 256
    .name:           _ZN7rocprim17ROCPRIM_400000_NS6detail17trampoline_kernelINS0_14default_configENS1_29reduce_by_key_config_selectorIssN6thrust23THRUST_200600_302600_NS4plusIsEEEEZZNS1_33reduce_by_key_impl_wrapped_configILNS1_25lookback_scan_determinismE0ES3_S9_NS6_6detail15normal_iteratorINS6_10device_ptrIsEEEESG_SG_SG_PmS8_NS6_8equal_toIsEEEE10hipError_tPvRmT2_T3_mT4_T5_T6_T7_T8_P12ihipStream_tbENKUlT_T0_E_clISt17integral_constantIbLb1EES10_IbLb0EEEEDaSW_SX_EUlSW_E_NS1_11comp_targetILNS1_3genE8ELNS1_11target_archE1030ELNS1_3gpuE2ELNS1_3repE0EEENS1_30default_config_static_selectorELNS0_4arch9wavefront6targetE1EEEvT1_
    .private_segment_fixed_size: 0
    .sgpr_count:     4
    .sgpr_spill_count: 0
    .symbol:         _ZN7rocprim17ROCPRIM_400000_NS6detail17trampoline_kernelINS0_14default_configENS1_29reduce_by_key_config_selectorIssN6thrust23THRUST_200600_302600_NS4plusIsEEEEZZNS1_33reduce_by_key_impl_wrapped_configILNS1_25lookback_scan_determinismE0ES3_S9_NS6_6detail15normal_iteratorINS6_10device_ptrIsEEEESG_SG_SG_PmS8_NS6_8equal_toIsEEEE10hipError_tPvRmT2_T3_mT4_T5_T6_T7_T8_P12ihipStream_tbENKUlT_T0_E_clISt17integral_constantIbLb1EES10_IbLb0EEEEDaSW_SX_EUlSW_E_NS1_11comp_targetILNS1_3genE8ELNS1_11target_archE1030ELNS1_3gpuE2ELNS1_3repE0EEENS1_30default_config_static_selectorELNS0_4arch9wavefront6targetE1EEEvT1_.kd
    .uniform_work_group_size: 1
    .uses_dynamic_stack: false
    .vgpr_count:     0
    .vgpr_spill_count: 0
    .wavefront_size: 64
  - .agpr_count:     0
    .args:
      - .address_space:  global
        .offset:         0
        .size:           8
        .value_kind:     global_buffer
      - .offset:         8
        .size:           4
        .value_kind:     by_value
      - .offset:         12
        .size:           1
        .value_kind:     by_value
      - .offset:         16
        .size:           4
        .value_kind:     by_value
      - .address_space:  global
        .offset:         24
        .size:           8
        .value_kind:     global_buffer
      - .address_space:  global
        .offset:         32
        .size:           8
        .value_kind:     global_buffer
      - .address_space:  global
        .offset:         40
        .size:           8
        .value_kind:     global_buffer
      - .offset:         48
        .size:           4
        .value_kind:     hidden_block_count_x
      - .offset:         52
        .size:           4
        .value_kind:     hidden_block_count_y
      - .offset:         56
        .size:           4
        .value_kind:     hidden_block_count_z
      - .offset:         60
        .size:           2
        .value_kind:     hidden_group_size_x
      - .offset:         62
        .size:           2
        .value_kind:     hidden_group_size_y
      - .offset:         64
        .size:           2
        .value_kind:     hidden_group_size_z
      - .offset:         66
        .size:           2
        .value_kind:     hidden_remainder_x
      - .offset:         68
        .size:           2
        .value_kind:     hidden_remainder_y
      - .offset:         70
        .size:           2
        .value_kind:     hidden_remainder_z
      - .offset:         88
        .size:           8
        .value_kind:     hidden_global_offset_x
      - .offset:         96
        .size:           8
        .value_kind:     hidden_global_offset_y
      - .offset:         104
        .size:           8
        .value_kind:     hidden_global_offset_z
      - .offset:         112
        .size:           2
        .value_kind:     hidden_grid_dims
    .group_segment_fixed_size: 0
    .kernarg_segment_align: 8
    .kernarg_segment_size: 304
    .language:       OpenCL C
    .language_version:
      - 2
      - 0
    .max_flat_workgroup_size: 256
    .name:           _ZN7rocprim17ROCPRIM_400000_NS6detail25reduce_by_key_init_kernelINS1_19lookback_scan_stateINS0_5tupleIJjsEEELb0ELb1EEEsNS1_16block_id_wrapperIjLb1EEEEEvT_jbjPmPT0_T1_
    .private_segment_fixed_size: 0
    .sgpr_count:     22
    .sgpr_spill_count: 0
    .symbol:         _ZN7rocprim17ROCPRIM_400000_NS6detail25reduce_by_key_init_kernelINS1_19lookback_scan_stateINS0_5tupleIJjsEEELb0ELb1EEEsNS1_16block_id_wrapperIjLb1EEEEEvT_jbjPmPT0_T1_.kd
    .uniform_work_group_size: 1
    .uses_dynamic_stack: false
    .vgpr_count:     10
    .vgpr_spill_count: 0
    .wavefront_size: 64
  - .agpr_count:     0
    .args:
      - .offset:         0
        .size:           120
        .value_kind:     by_value
    .group_segment_fixed_size: 0
    .kernarg_segment_align: 8
    .kernarg_segment_size: 120
    .language:       OpenCL C
    .language_version:
      - 2
      - 0
    .max_flat_workgroup_size: 256
    .name:           _ZN7rocprim17ROCPRIM_400000_NS6detail17trampoline_kernelINS0_14default_configENS1_29reduce_by_key_config_selectorIssN6thrust23THRUST_200600_302600_NS4plusIsEEEEZZNS1_33reduce_by_key_impl_wrapped_configILNS1_25lookback_scan_determinismE0ES3_S9_NS6_6detail15normal_iteratorINS6_10device_ptrIsEEEESG_SG_SG_PmS8_NS6_8equal_toIsEEEE10hipError_tPvRmT2_T3_mT4_T5_T6_T7_T8_P12ihipStream_tbENKUlT_T0_E_clISt17integral_constantIbLb0EES10_IbLb1EEEEDaSW_SX_EUlSW_E_NS1_11comp_targetILNS1_3genE0ELNS1_11target_archE4294967295ELNS1_3gpuE0ELNS1_3repE0EEENS1_30default_config_static_selectorELNS0_4arch9wavefront6targetE1EEEvT1_
    .private_segment_fixed_size: 0
    .sgpr_count:     4
    .sgpr_spill_count: 0
    .symbol:         _ZN7rocprim17ROCPRIM_400000_NS6detail17trampoline_kernelINS0_14default_configENS1_29reduce_by_key_config_selectorIssN6thrust23THRUST_200600_302600_NS4plusIsEEEEZZNS1_33reduce_by_key_impl_wrapped_configILNS1_25lookback_scan_determinismE0ES3_S9_NS6_6detail15normal_iteratorINS6_10device_ptrIsEEEESG_SG_SG_PmS8_NS6_8equal_toIsEEEE10hipError_tPvRmT2_T3_mT4_T5_T6_T7_T8_P12ihipStream_tbENKUlT_T0_E_clISt17integral_constantIbLb0EES10_IbLb1EEEEDaSW_SX_EUlSW_E_NS1_11comp_targetILNS1_3genE0ELNS1_11target_archE4294967295ELNS1_3gpuE0ELNS1_3repE0EEENS1_30default_config_static_selectorELNS0_4arch9wavefront6targetE1EEEvT1_.kd
    .uniform_work_group_size: 1
    .uses_dynamic_stack: false
    .vgpr_count:     0
    .vgpr_spill_count: 0
    .wavefront_size: 64
  - .agpr_count:     0
    .args:
      - .offset:         0
        .size:           120
        .value_kind:     by_value
    .group_segment_fixed_size: 0
    .kernarg_segment_align: 8
    .kernarg_segment_size: 120
    .language:       OpenCL C
    .language_version:
      - 2
      - 0
    .max_flat_workgroup_size: 256
    .name:           _ZN7rocprim17ROCPRIM_400000_NS6detail17trampoline_kernelINS0_14default_configENS1_29reduce_by_key_config_selectorIssN6thrust23THRUST_200600_302600_NS4plusIsEEEEZZNS1_33reduce_by_key_impl_wrapped_configILNS1_25lookback_scan_determinismE0ES3_S9_NS6_6detail15normal_iteratorINS6_10device_ptrIsEEEESG_SG_SG_PmS8_NS6_8equal_toIsEEEE10hipError_tPvRmT2_T3_mT4_T5_T6_T7_T8_P12ihipStream_tbENKUlT_T0_E_clISt17integral_constantIbLb0EES10_IbLb1EEEEDaSW_SX_EUlSW_E_NS1_11comp_targetILNS1_3genE5ELNS1_11target_archE942ELNS1_3gpuE9ELNS1_3repE0EEENS1_30default_config_static_selectorELNS0_4arch9wavefront6targetE1EEEvT1_
    .private_segment_fixed_size: 0
    .sgpr_count:     4
    .sgpr_spill_count: 0
    .symbol:         _ZN7rocprim17ROCPRIM_400000_NS6detail17trampoline_kernelINS0_14default_configENS1_29reduce_by_key_config_selectorIssN6thrust23THRUST_200600_302600_NS4plusIsEEEEZZNS1_33reduce_by_key_impl_wrapped_configILNS1_25lookback_scan_determinismE0ES3_S9_NS6_6detail15normal_iteratorINS6_10device_ptrIsEEEESG_SG_SG_PmS8_NS6_8equal_toIsEEEE10hipError_tPvRmT2_T3_mT4_T5_T6_T7_T8_P12ihipStream_tbENKUlT_T0_E_clISt17integral_constantIbLb0EES10_IbLb1EEEEDaSW_SX_EUlSW_E_NS1_11comp_targetILNS1_3genE5ELNS1_11target_archE942ELNS1_3gpuE9ELNS1_3repE0EEENS1_30default_config_static_selectorELNS0_4arch9wavefront6targetE1EEEvT1_.kd
    .uniform_work_group_size: 1
    .uses_dynamic_stack: false
    .vgpr_count:     0
    .vgpr_spill_count: 0
    .wavefront_size: 64
  - .agpr_count:     0
    .args:
      - .offset:         0
        .size:           120
        .value_kind:     by_value
    .group_segment_fixed_size: 7680
    .kernarg_segment_align: 8
    .kernarg_segment_size: 120
    .language:       OpenCL C
    .language_version:
      - 2
      - 0
    .max_flat_workgroup_size: 256
    .name:           _ZN7rocprim17ROCPRIM_400000_NS6detail17trampoline_kernelINS0_14default_configENS1_29reduce_by_key_config_selectorIssN6thrust23THRUST_200600_302600_NS4plusIsEEEEZZNS1_33reduce_by_key_impl_wrapped_configILNS1_25lookback_scan_determinismE0ES3_S9_NS6_6detail15normal_iteratorINS6_10device_ptrIsEEEESG_SG_SG_PmS8_NS6_8equal_toIsEEEE10hipError_tPvRmT2_T3_mT4_T5_T6_T7_T8_P12ihipStream_tbENKUlT_T0_E_clISt17integral_constantIbLb0EES10_IbLb1EEEEDaSW_SX_EUlSW_E_NS1_11comp_targetILNS1_3genE4ELNS1_11target_archE910ELNS1_3gpuE8ELNS1_3repE0EEENS1_30default_config_static_selectorELNS0_4arch9wavefront6targetE1EEEvT1_
    .private_segment_fixed_size: 0
    .sgpr_count:     70
    .sgpr_spill_count: 0
    .symbol:         _ZN7rocprim17ROCPRIM_400000_NS6detail17trampoline_kernelINS0_14default_configENS1_29reduce_by_key_config_selectorIssN6thrust23THRUST_200600_302600_NS4plusIsEEEEZZNS1_33reduce_by_key_impl_wrapped_configILNS1_25lookback_scan_determinismE0ES3_S9_NS6_6detail15normal_iteratorINS6_10device_ptrIsEEEESG_SG_SG_PmS8_NS6_8equal_toIsEEEE10hipError_tPvRmT2_T3_mT4_T5_T6_T7_T8_P12ihipStream_tbENKUlT_T0_E_clISt17integral_constantIbLb0EES10_IbLb1EEEEDaSW_SX_EUlSW_E_NS1_11comp_targetILNS1_3genE4ELNS1_11target_archE910ELNS1_3gpuE8ELNS1_3repE0EEENS1_30default_config_static_selectorELNS0_4arch9wavefront6targetE1EEEvT1_.kd
    .uniform_work_group_size: 1
    .uses_dynamic_stack: false
    .vgpr_count:     111
    .vgpr_spill_count: 0
    .wavefront_size: 64
  - .agpr_count:     0
    .args:
      - .offset:         0
        .size:           120
        .value_kind:     by_value
    .group_segment_fixed_size: 0
    .kernarg_segment_align: 8
    .kernarg_segment_size: 120
    .language:       OpenCL C
    .language_version:
      - 2
      - 0
    .max_flat_workgroup_size: 256
    .name:           _ZN7rocprim17ROCPRIM_400000_NS6detail17trampoline_kernelINS0_14default_configENS1_29reduce_by_key_config_selectorIssN6thrust23THRUST_200600_302600_NS4plusIsEEEEZZNS1_33reduce_by_key_impl_wrapped_configILNS1_25lookback_scan_determinismE0ES3_S9_NS6_6detail15normal_iteratorINS6_10device_ptrIsEEEESG_SG_SG_PmS8_NS6_8equal_toIsEEEE10hipError_tPvRmT2_T3_mT4_T5_T6_T7_T8_P12ihipStream_tbENKUlT_T0_E_clISt17integral_constantIbLb0EES10_IbLb1EEEEDaSW_SX_EUlSW_E_NS1_11comp_targetILNS1_3genE3ELNS1_11target_archE908ELNS1_3gpuE7ELNS1_3repE0EEENS1_30default_config_static_selectorELNS0_4arch9wavefront6targetE1EEEvT1_
    .private_segment_fixed_size: 0
    .sgpr_count:     4
    .sgpr_spill_count: 0
    .symbol:         _ZN7rocprim17ROCPRIM_400000_NS6detail17trampoline_kernelINS0_14default_configENS1_29reduce_by_key_config_selectorIssN6thrust23THRUST_200600_302600_NS4plusIsEEEEZZNS1_33reduce_by_key_impl_wrapped_configILNS1_25lookback_scan_determinismE0ES3_S9_NS6_6detail15normal_iteratorINS6_10device_ptrIsEEEESG_SG_SG_PmS8_NS6_8equal_toIsEEEE10hipError_tPvRmT2_T3_mT4_T5_T6_T7_T8_P12ihipStream_tbENKUlT_T0_E_clISt17integral_constantIbLb0EES10_IbLb1EEEEDaSW_SX_EUlSW_E_NS1_11comp_targetILNS1_3genE3ELNS1_11target_archE908ELNS1_3gpuE7ELNS1_3repE0EEENS1_30default_config_static_selectorELNS0_4arch9wavefront6targetE1EEEvT1_.kd
    .uniform_work_group_size: 1
    .uses_dynamic_stack: false
    .vgpr_count:     0
    .vgpr_spill_count: 0
    .wavefront_size: 64
  - .agpr_count:     0
    .args:
      - .offset:         0
        .size:           120
        .value_kind:     by_value
    .group_segment_fixed_size: 0
    .kernarg_segment_align: 8
    .kernarg_segment_size: 120
    .language:       OpenCL C
    .language_version:
      - 2
      - 0
    .max_flat_workgroup_size: 256
    .name:           _ZN7rocprim17ROCPRIM_400000_NS6detail17trampoline_kernelINS0_14default_configENS1_29reduce_by_key_config_selectorIssN6thrust23THRUST_200600_302600_NS4plusIsEEEEZZNS1_33reduce_by_key_impl_wrapped_configILNS1_25lookback_scan_determinismE0ES3_S9_NS6_6detail15normal_iteratorINS6_10device_ptrIsEEEESG_SG_SG_PmS8_NS6_8equal_toIsEEEE10hipError_tPvRmT2_T3_mT4_T5_T6_T7_T8_P12ihipStream_tbENKUlT_T0_E_clISt17integral_constantIbLb0EES10_IbLb1EEEEDaSW_SX_EUlSW_E_NS1_11comp_targetILNS1_3genE2ELNS1_11target_archE906ELNS1_3gpuE6ELNS1_3repE0EEENS1_30default_config_static_selectorELNS0_4arch9wavefront6targetE1EEEvT1_
    .private_segment_fixed_size: 0
    .sgpr_count:     4
    .sgpr_spill_count: 0
    .symbol:         _ZN7rocprim17ROCPRIM_400000_NS6detail17trampoline_kernelINS0_14default_configENS1_29reduce_by_key_config_selectorIssN6thrust23THRUST_200600_302600_NS4plusIsEEEEZZNS1_33reduce_by_key_impl_wrapped_configILNS1_25lookback_scan_determinismE0ES3_S9_NS6_6detail15normal_iteratorINS6_10device_ptrIsEEEESG_SG_SG_PmS8_NS6_8equal_toIsEEEE10hipError_tPvRmT2_T3_mT4_T5_T6_T7_T8_P12ihipStream_tbENKUlT_T0_E_clISt17integral_constantIbLb0EES10_IbLb1EEEEDaSW_SX_EUlSW_E_NS1_11comp_targetILNS1_3genE2ELNS1_11target_archE906ELNS1_3gpuE6ELNS1_3repE0EEENS1_30default_config_static_selectorELNS0_4arch9wavefront6targetE1EEEvT1_.kd
    .uniform_work_group_size: 1
    .uses_dynamic_stack: false
    .vgpr_count:     0
    .vgpr_spill_count: 0
    .wavefront_size: 64
  - .agpr_count:     0
    .args:
      - .offset:         0
        .size:           120
        .value_kind:     by_value
    .group_segment_fixed_size: 0
    .kernarg_segment_align: 8
    .kernarg_segment_size: 120
    .language:       OpenCL C
    .language_version:
      - 2
      - 0
    .max_flat_workgroup_size: 256
    .name:           _ZN7rocprim17ROCPRIM_400000_NS6detail17trampoline_kernelINS0_14default_configENS1_29reduce_by_key_config_selectorIssN6thrust23THRUST_200600_302600_NS4plusIsEEEEZZNS1_33reduce_by_key_impl_wrapped_configILNS1_25lookback_scan_determinismE0ES3_S9_NS6_6detail15normal_iteratorINS6_10device_ptrIsEEEESG_SG_SG_PmS8_NS6_8equal_toIsEEEE10hipError_tPvRmT2_T3_mT4_T5_T6_T7_T8_P12ihipStream_tbENKUlT_T0_E_clISt17integral_constantIbLb0EES10_IbLb1EEEEDaSW_SX_EUlSW_E_NS1_11comp_targetILNS1_3genE10ELNS1_11target_archE1201ELNS1_3gpuE5ELNS1_3repE0EEENS1_30default_config_static_selectorELNS0_4arch9wavefront6targetE1EEEvT1_
    .private_segment_fixed_size: 0
    .sgpr_count:     4
    .sgpr_spill_count: 0
    .symbol:         _ZN7rocprim17ROCPRIM_400000_NS6detail17trampoline_kernelINS0_14default_configENS1_29reduce_by_key_config_selectorIssN6thrust23THRUST_200600_302600_NS4plusIsEEEEZZNS1_33reduce_by_key_impl_wrapped_configILNS1_25lookback_scan_determinismE0ES3_S9_NS6_6detail15normal_iteratorINS6_10device_ptrIsEEEESG_SG_SG_PmS8_NS6_8equal_toIsEEEE10hipError_tPvRmT2_T3_mT4_T5_T6_T7_T8_P12ihipStream_tbENKUlT_T0_E_clISt17integral_constantIbLb0EES10_IbLb1EEEEDaSW_SX_EUlSW_E_NS1_11comp_targetILNS1_3genE10ELNS1_11target_archE1201ELNS1_3gpuE5ELNS1_3repE0EEENS1_30default_config_static_selectorELNS0_4arch9wavefront6targetE1EEEvT1_.kd
    .uniform_work_group_size: 1
    .uses_dynamic_stack: false
    .vgpr_count:     0
    .vgpr_spill_count: 0
    .wavefront_size: 64
  - .agpr_count:     0
    .args:
      - .offset:         0
        .size:           120
        .value_kind:     by_value
    .group_segment_fixed_size: 0
    .kernarg_segment_align: 8
    .kernarg_segment_size: 120
    .language:       OpenCL C
    .language_version:
      - 2
      - 0
    .max_flat_workgroup_size: 256
    .name:           _ZN7rocprim17ROCPRIM_400000_NS6detail17trampoline_kernelINS0_14default_configENS1_29reduce_by_key_config_selectorIssN6thrust23THRUST_200600_302600_NS4plusIsEEEEZZNS1_33reduce_by_key_impl_wrapped_configILNS1_25lookback_scan_determinismE0ES3_S9_NS6_6detail15normal_iteratorINS6_10device_ptrIsEEEESG_SG_SG_PmS8_NS6_8equal_toIsEEEE10hipError_tPvRmT2_T3_mT4_T5_T6_T7_T8_P12ihipStream_tbENKUlT_T0_E_clISt17integral_constantIbLb0EES10_IbLb1EEEEDaSW_SX_EUlSW_E_NS1_11comp_targetILNS1_3genE10ELNS1_11target_archE1200ELNS1_3gpuE4ELNS1_3repE0EEENS1_30default_config_static_selectorELNS0_4arch9wavefront6targetE1EEEvT1_
    .private_segment_fixed_size: 0
    .sgpr_count:     4
    .sgpr_spill_count: 0
    .symbol:         _ZN7rocprim17ROCPRIM_400000_NS6detail17trampoline_kernelINS0_14default_configENS1_29reduce_by_key_config_selectorIssN6thrust23THRUST_200600_302600_NS4plusIsEEEEZZNS1_33reduce_by_key_impl_wrapped_configILNS1_25lookback_scan_determinismE0ES3_S9_NS6_6detail15normal_iteratorINS6_10device_ptrIsEEEESG_SG_SG_PmS8_NS6_8equal_toIsEEEE10hipError_tPvRmT2_T3_mT4_T5_T6_T7_T8_P12ihipStream_tbENKUlT_T0_E_clISt17integral_constantIbLb0EES10_IbLb1EEEEDaSW_SX_EUlSW_E_NS1_11comp_targetILNS1_3genE10ELNS1_11target_archE1200ELNS1_3gpuE4ELNS1_3repE0EEENS1_30default_config_static_selectorELNS0_4arch9wavefront6targetE1EEEvT1_.kd
    .uniform_work_group_size: 1
    .uses_dynamic_stack: false
    .vgpr_count:     0
    .vgpr_spill_count: 0
    .wavefront_size: 64
  - .agpr_count:     0
    .args:
      - .offset:         0
        .size:           120
        .value_kind:     by_value
    .group_segment_fixed_size: 0
    .kernarg_segment_align: 8
    .kernarg_segment_size: 120
    .language:       OpenCL C
    .language_version:
      - 2
      - 0
    .max_flat_workgroup_size: 256
    .name:           _ZN7rocprim17ROCPRIM_400000_NS6detail17trampoline_kernelINS0_14default_configENS1_29reduce_by_key_config_selectorIssN6thrust23THRUST_200600_302600_NS4plusIsEEEEZZNS1_33reduce_by_key_impl_wrapped_configILNS1_25lookback_scan_determinismE0ES3_S9_NS6_6detail15normal_iteratorINS6_10device_ptrIsEEEESG_SG_SG_PmS8_NS6_8equal_toIsEEEE10hipError_tPvRmT2_T3_mT4_T5_T6_T7_T8_P12ihipStream_tbENKUlT_T0_E_clISt17integral_constantIbLb0EES10_IbLb1EEEEDaSW_SX_EUlSW_E_NS1_11comp_targetILNS1_3genE9ELNS1_11target_archE1100ELNS1_3gpuE3ELNS1_3repE0EEENS1_30default_config_static_selectorELNS0_4arch9wavefront6targetE1EEEvT1_
    .private_segment_fixed_size: 0
    .sgpr_count:     4
    .sgpr_spill_count: 0
    .symbol:         _ZN7rocprim17ROCPRIM_400000_NS6detail17trampoline_kernelINS0_14default_configENS1_29reduce_by_key_config_selectorIssN6thrust23THRUST_200600_302600_NS4plusIsEEEEZZNS1_33reduce_by_key_impl_wrapped_configILNS1_25lookback_scan_determinismE0ES3_S9_NS6_6detail15normal_iteratorINS6_10device_ptrIsEEEESG_SG_SG_PmS8_NS6_8equal_toIsEEEE10hipError_tPvRmT2_T3_mT4_T5_T6_T7_T8_P12ihipStream_tbENKUlT_T0_E_clISt17integral_constantIbLb0EES10_IbLb1EEEEDaSW_SX_EUlSW_E_NS1_11comp_targetILNS1_3genE9ELNS1_11target_archE1100ELNS1_3gpuE3ELNS1_3repE0EEENS1_30default_config_static_selectorELNS0_4arch9wavefront6targetE1EEEvT1_.kd
    .uniform_work_group_size: 1
    .uses_dynamic_stack: false
    .vgpr_count:     0
    .vgpr_spill_count: 0
    .wavefront_size: 64
  - .agpr_count:     0
    .args:
      - .offset:         0
        .size:           120
        .value_kind:     by_value
    .group_segment_fixed_size: 0
    .kernarg_segment_align: 8
    .kernarg_segment_size: 120
    .language:       OpenCL C
    .language_version:
      - 2
      - 0
    .max_flat_workgroup_size: 256
    .name:           _ZN7rocprim17ROCPRIM_400000_NS6detail17trampoline_kernelINS0_14default_configENS1_29reduce_by_key_config_selectorIssN6thrust23THRUST_200600_302600_NS4plusIsEEEEZZNS1_33reduce_by_key_impl_wrapped_configILNS1_25lookback_scan_determinismE0ES3_S9_NS6_6detail15normal_iteratorINS6_10device_ptrIsEEEESG_SG_SG_PmS8_NS6_8equal_toIsEEEE10hipError_tPvRmT2_T3_mT4_T5_T6_T7_T8_P12ihipStream_tbENKUlT_T0_E_clISt17integral_constantIbLb0EES10_IbLb1EEEEDaSW_SX_EUlSW_E_NS1_11comp_targetILNS1_3genE8ELNS1_11target_archE1030ELNS1_3gpuE2ELNS1_3repE0EEENS1_30default_config_static_selectorELNS0_4arch9wavefront6targetE1EEEvT1_
    .private_segment_fixed_size: 0
    .sgpr_count:     4
    .sgpr_spill_count: 0
    .symbol:         _ZN7rocprim17ROCPRIM_400000_NS6detail17trampoline_kernelINS0_14default_configENS1_29reduce_by_key_config_selectorIssN6thrust23THRUST_200600_302600_NS4plusIsEEEEZZNS1_33reduce_by_key_impl_wrapped_configILNS1_25lookback_scan_determinismE0ES3_S9_NS6_6detail15normal_iteratorINS6_10device_ptrIsEEEESG_SG_SG_PmS8_NS6_8equal_toIsEEEE10hipError_tPvRmT2_T3_mT4_T5_T6_T7_T8_P12ihipStream_tbENKUlT_T0_E_clISt17integral_constantIbLb0EES10_IbLb1EEEEDaSW_SX_EUlSW_E_NS1_11comp_targetILNS1_3genE8ELNS1_11target_archE1030ELNS1_3gpuE2ELNS1_3repE0EEENS1_30default_config_static_selectorELNS0_4arch9wavefront6targetE1EEEvT1_.kd
    .uniform_work_group_size: 1
    .uses_dynamic_stack: false
    .vgpr_count:     0
    .vgpr_spill_count: 0
    .wavefront_size: 64
  - .agpr_count:     0
    .args:
      - .offset:         0
        .size:           120
        .value_kind:     by_value
    .group_segment_fixed_size: 0
    .kernarg_segment_align: 8
    .kernarg_segment_size: 120
    .language:       OpenCL C
    .language_version:
      - 2
      - 0
    .max_flat_workgroup_size: 256
    .name:           _ZN7rocprim17ROCPRIM_400000_NS6detail17trampoline_kernelINS0_14default_configENS1_29reduce_by_key_config_selectorIssN6thrust23THRUST_200600_302600_NS4plusIsEEEEZZNS1_33reduce_by_key_impl_wrapped_configILNS1_25lookback_scan_determinismE0ES3_S9_NS6_6detail15normal_iteratorINS6_10device_ptrIsEEEESG_SG_SG_PmS8_22is_equal_div_10_reduceIsEEE10hipError_tPvRmT2_T3_mT4_T5_T6_T7_T8_P12ihipStream_tbENKUlT_T0_E_clISt17integral_constantIbLb0EES11_EEDaSW_SX_EUlSW_E_NS1_11comp_targetILNS1_3genE0ELNS1_11target_archE4294967295ELNS1_3gpuE0ELNS1_3repE0EEENS1_30default_config_static_selectorELNS0_4arch9wavefront6targetE1EEEvT1_
    .private_segment_fixed_size: 0
    .sgpr_count:     4
    .sgpr_spill_count: 0
    .symbol:         _ZN7rocprim17ROCPRIM_400000_NS6detail17trampoline_kernelINS0_14default_configENS1_29reduce_by_key_config_selectorIssN6thrust23THRUST_200600_302600_NS4plusIsEEEEZZNS1_33reduce_by_key_impl_wrapped_configILNS1_25lookback_scan_determinismE0ES3_S9_NS6_6detail15normal_iteratorINS6_10device_ptrIsEEEESG_SG_SG_PmS8_22is_equal_div_10_reduceIsEEE10hipError_tPvRmT2_T3_mT4_T5_T6_T7_T8_P12ihipStream_tbENKUlT_T0_E_clISt17integral_constantIbLb0EES11_EEDaSW_SX_EUlSW_E_NS1_11comp_targetILNS1_3genE0ELNS1_11target_archE4294967295ELNS1_3gpuE0ELNS1_3repE0EEENS1_30default_config_static_selectorELNS0_4arch9wavefront6targetE1EEEvT1_.kd
    .uniform_work_group_size: 1
    .uses_dynamic_stack: false
    .vgpr_count:     0
    .vgpr_spill_count: 0
    .wavefront_size: 64
  - .agpr_count:     0
    .args:
      - .offset:         0
        .size:           120
        .value_kind:     by_value
    .group_segment_fixed_size: 0
    .kernarg_segment_align: 8
    .kernarg_segment_size: 120
    .language:       OpenCL C
    .language_version:
      - 2
      - 0
    .max_flat_workgroup_size: 256
    .name:           _ZN7rocprim17ROCPRIM_400000_NS6detail17trampoline_kernelINS0_14default_configENS1_29reduce_by_key_config_selectorIssN6thrust23THRUST_200600_302600_NS4plusIsEEEEZZNS1_33reduce_by_key_impl_wrapped_configILNS1_25lookback_scan_determinismE0ES3_S9_NS6_6detail15normal_iteratorINS6_10device_ptrIsEEEESG_SG_SG_PmS8_22is_equal_div_10_reduceIsEEE10hipError_tPvRmT2_T3_mT4_T5_T6_T7_T8_P12ihipStream_tbENKUlT_T0_E_clISt17integral_constantIbLb0EES11_EEDaSW_SX_EUlSW_E_NS1_11comp_targetILNS1_3genE5ELNS1_11target_archE942ELNS1_3gpuE9ELNS1_3repE0EEENS1_30default_config_static_selectorELNS0_4arch9wavefront6targetE1EEEvT1_
    .private_segment_fixed_size: 0
    .sgpr_count:     4
    .sgpr_spill_count: 0
    .symbol:         _ZN7rocprim17ROCPRIM_400000_NS6detail17trampoline_kernelINS0_14default_configENS1_29reduce_by_key_config_selectorIssN6thrust23THRUST_200600_302600_NS4plusIsEEEEZZNS1_33reduce_by_key_impl_wrapped_configILNS1_25lookback_scan_determinismE0ES3_S9_NS6_6detail15normal_iteratorINS6_10device_ptrIsEEEESG_SG_SG_PmS8_22is_equal_div_10_reduceIsEEE10hipError_tPvRmT2_T3_mT4_T5_T6_T7_T8_P12ihipStream_tbENKUlT_T0_E_clISt17integral_constantIbLb0EES11_EEDaSW_SX_EUlSW_E_NS1_11comp_targetILNS1_3genE5ELNS1_11target_archE942ELNS1_3gpuE9ELNS1_3repE0EEENS1_30default_config_static_selectorELNS0_4arch9wavefront6targetE1EEEvT1_.kd
    .uniform_work_group_size: 1
    .uses_dynamic_stack: false
    .vgpr_count:     0
    .vgpr_spill_count: 0
    .wavefront_size: 64
  - .agpr_count:     0
    .args:
      - .offset:         0
        .size:           120
        .value_kind:     by_value
    .group_segment_fixed_size: 7680
    .kernarg_segment_align: 8
    .kernarg_segment_size: 120
    .language:       OpenCL C
    .language_version:
      - 2
      - 0
    .max_flat_workgroup_size: 256
    .name:           _ZN7rocprim17ROCPRIM_400000_NS6detail17trampoline_kernelINS0_14default_configENS1_29reduce_by_key_config_selectorIssN6thrust23THRUST_200600_302600_NS4plusIsEEEEZZNS1_33reduce_by_key_impl_wrapped_configILNS1_25lookback_scan_determinismE0ES3_S9_NS6_6detail15normal_iteratorINS6_10device_ptrIsEEEESG_SG_SG_PmS8_22is_equal_div_10_reduceIsEEE10hipError_tPvRmT2_T3_mT4_T5_T6_T7_T8_P12ihipStream_tbENKUlT_T0_E_clISt17integral_constantIbLb0EES11_EEDaSW_SX_EUlSW_E_NS1_11comp_targetILNS1_3genE4ELNS1_11target_archE910ELNS1_3gpuE8ELNS1_3repE0EEENS1_30default_config_static_selectorELNS0_4arch9wavefront6targetE1EEEvT1_
    .private_segment_fixed_size: 0
    .sgpr_count:     67
    .sgpr_spill_count: 0
    .symbol:         _ZN7rocprim17ROCPRIM_400000_NS6detail17trampoline_kernelINS0_14default_configENS1_29reduce_by_key_config_selectorIssN6thrust23THRUST_200600_302600_NS4plusIsEEEEZZNS1_33reduce_by_key_impl_wrapped_configILNS1_25lookback_scan_determinismE0ES3_S9_NS6_6detail15normal_iteratorINS6_10device_ptrIsEEEESG_SG_SG_PmS8_22is_equal_div_10_reduceIsEEE10hipError_tPvRmT2_T3_mT4_T5_T6_T7_T8_P12ihipStream_tbENKUlT_T0_E_clISt17integral_constantIbLb0EES11_EEDaSW_SX_EUlSW_E_NS1_11comp_targetILNS1_3genE4ELNS1_11target_archE910ELNS1_3gpuE8ELNS1_3repE0EEENS1_30default_config_static_selectorELNS0_4arch9wavefront6targetE1EEEvT1_.kd
    .uniform_work_group_size: 1
    .uses_dynamic_stack: false
    .vgpr_count:     111
    .vgpr_spill_count: 0
    .wavefront_size: 64
  - .agpr_count:     0
    .args:
      - .offset:         0
        .size:           120
        .value_kind:     by_value
    .group_segment_fixed_size: 0
    .kernarg_segment_align: 8
    .kernarg_segment_size: 120
    .language:       OpenCL C
    .language_version:
      - 2
      - 0
    .max_flat_workgroup_size: 256
    .name:           _ZN7rocprim17ROCPRIM_400000_NS6detail17trampoline_kernelINS0_14default_configENS1_29reduce_by_key_config_selectorIssN6thrust23THRUST_200600_302600_NS4plusIsEEEEZZNS1_33reduce_by_key_impl_wrapped_configILNS1_25lookback_scan_determinismE0ES3_S9_NS6_6detail15normal_iteratorINS6_10device_ptrIsEEEESG_SG_SG_PmS8_22is_equal_div_10_reduceIsEEE10hipError_tPvRmT2_T3_mT4_T5_T6_T7_T8_P12ihipStream_tbENKUlT_T0_E_clISt17integral_constantIbLb0EES11_EEDaSW_SX_EUlSW_E_NS1_11comp_targetILNS1_3genE3ELNS1_11target_archE908ELNS1_3gpuE7ELNS1_3repE0EEENS1_30default_config_static_selectorELNS0_4arch9wavefront6targetE1EEEvT1_
    .private_segment_fixed_size: 0
    .sgpr_count:     4
    .sgpr_spill_count: 0
    .symbol:         _ZN7rocprim17ROCPRIM_400000_NS6detail17trampoline_kernelINS0_14default_configENS1_29reduce_by_key_config_selectorIssN6thrust23THRUST_200600_302600_NS4plusIsEEEEZZNS1_33reduce_by_key_impl_wrapped_configILNS1_25lookback_scan_determinismE0ES3_S9_NS6_6detail15normal_iteratorINS6_10device_ptrIsEEEESG_SG_SG_PmS8_22is_equal_div_10_reduceIsEEE10hipError_tPvRmT2_T3_mT4_T5_T6_T7_T8_P12ihipStream_tbENKUlT_T0_E_clISt17integral_constantIbLb0EES11_EEDaSW_SX_EUlSW_E_NS1_11comp_targetILNS1_3genE3ELNS1_11target_archE908ELNS1_3gpuE7ELNS1_3repE0EEENS1_30default_config_static_selectorELNS0_4arch9wavefront6targetE1EEEvT1_.kd
    .uniform_work_group_size: 1
    .uses_dynamic_stack: false
    .vgpr_count:     0
    .vgpr_spill_count: 0
    .wavefront_size: 64
  - .agpr_count:     0
    .args:
      - .offset:         0
        .size:           120
        .value_kind:     by_value
    .group_segment_fixed_size: 0
    .kernarg_segment_align: 8
    .kernarg_segment_size: 120
    .language:       OpenCL C
    .language_version:
      - 2
      - 0
    .max_flat_workgroup_size: 256
    .name:           _ZN7rocprim17ROCPRIM_400000_NS6detail17trampoline_kernelINS0_14default_configENS1_29reduce_by_key_config_selectorIssN6thrust23THRUST_200600_302600_NS4plusIsEEEEZZNS1_33reduce_by_key_impl_wrapped_configILNS1_25lookback_scan_determinismE0ES3_S9_NS6_6detail15normal_iteratorINS6_10device_ptrIsEEEESG_SG_SG_PmS8_22is_equal_div_10_reduceIsEEE10hipError_tPvRmT2_T3_mT4_T5_T6_T7_T8_P12ihipStream_tbENKUlT_T0_E_clISt17integral_constantIbLb0EES11_EEDaSW_SX_EUlSW_E_NS1_11comp_targetILNS1_3genE2ELNS1_11target_archE906ELNS1_3gpuE6ELNS1_3repE0EEENS1_30default_config_static_selectorELNS0_4arch9wavefront6targetE1EEEvT1_
    .private_segment_fixed_size: 0
    .sgpr_count:     4
    .sgpr_spill_count: 0
    .symbol:         _ZN7rocprim17ROCPRIM_400000_NS6detail17trampoline_kernelINS0_14default_configENS1_29reduce_by_key_config_selectorIssN6thrust23THRUST_200600_302600_NS4plusIsEEEEZZNS1_33reduce_by_key_impl_wrapped_configILNS1_25lookback_scan_determinismE0ES3_S9_NS6_6detail15normal_iteratorINS6_10device_ptrIsEEEESG_SG_SG_PmS8_22is_equal_div_10_reduceIsEEE10hipError_tPvRmT2_T3_mT4_T5_T6_T7_T8_P12ihipStream_tbENKUlT_T0_E_clISt17integral_constantIbLb0EES11_EEDaSW_SX_EUlSW_E_NS1_11comp_targetILNS1_3genE2ELNS1_11target_archE906ELNS1_3gpuE6ELNS1_3repE0EEENS1_30default_config_static_selectorELNS0_4arch9wavefront6targetE1EEEvT1_.kd
    .uniform_work_group_size: 1
    .uses_dynamic_stack: false
    .vgpr_count:     0
    .vgpr_spill_count: 0
    .wavefront_size: 64
  - .agpr_count:     0
    .args:
      - .offset:         0
        .size:           120
        .value_kind:     by_value
    .group_segment_fixed_size: 0
    .kernarg_segment_align: 8
    .kernarg_segment_size: 120
    .language:       OpenCL C
    .language_version:
      - 2
      - 0
    .max_flat_workgroup_size: 256
    .name:           _ZN7rocprim17ROCPRIM_400000_NS6detail17trampoline_kernelINS0_14default_configENS1_29reduce_by_key_config_selectorIssN6thrust23THRUST_200600_302600_NS4plusIsEEEEZZNS1_33reduce_by_key_impl_wrapped_configILNS1_25lookback_scan_determinismE0ES3_S9_NS6_6detail15normal_iteratorINS6_10device_ptrIsEEEESG_SG_SG_PmS8_22is_equal_div_10_reduceIsEEE10hipError_tPvRmT2_T3_mT4_T5_T6_T7_T8_P12ihipStream_tbENKUlT_T0_E_clISt17integral_constantIbLb0EES11_EEDaSW_SX_EUlSW_E_NS1_11comp_targetILNS1_3genE10ELNS1_11target_archE1201ELNS1_3gpuE5ELNS1_3repE0EEENS1_30default_config_static_selectorELNS0_4arch9wavefront6targetE1EEEvT1_
    .private_segment_fixed_size: 0
    .sgpr_count:     4
    .sgpr_spill_count: 0
    .symbol:         _ZN7rocprim17ROCPRIM_400000_NS6detail17trampoline_kernelINS0_14default_configENS1_29reduce_by_key_config_selectorIssN6thrust23THRUST_200600_302600_NS4plusIsEEEEZZNS1_33reduce_by_key_impl_wrapped_configILNS1_25lookback_scan_determinismE0ES3_S9_NS6_6detail15normal_iteratorINS6_10device_ptrIsEEEESG_SG_SG_PmS8_22is_equal_div_10_reduceIsEEE10hipError_tPvRmT2_T3_mT4_T5_T6_T7_T8_P12ihipStream_tbENKUlT_T0_E_clISt17integral_constantIbLb0EES11_EEDaSW_SX_EUlSW_E_NS1_11comp_targetILNS1_3genE10ELNS1_11target_archE1201ELNS1_3gpuE5ELNS1_3repE0EEENS1_30default_config_static_selectorELNS0_4arch9wavefront6targetE1EEEvT1_.kd
    .uniform_work_group_size: 1
    .uses_dynamic_stack: false
    .vgpr_count:     0
    .vgpr_spill_count: 0
    .wavefront_size: 64
  - .agpr_count:     0
    .args:
      - .offset:         0
        .size:           120
        .value_kind:     by_value
    .group_segment_fixed_size: 0
    .kernarg_segment_align: 8
    .kernarg_segment_size: 120
    .language:       OpenCL C
    .language_version:
      - 2
      - 0
    .max_flat_workgroup_size: 256
    .name:           _ZN7rocprim17ROCPRIM_400000_NS6detail17trampoline_kernelINS0_14default_configENS1_29reduce_by_key_config_selectorIssN6thrust23THRUST_200600_302600_NS4plusIsEEEEZZNS1_33reduce_by_key_impl_wrapped_configILNS1_25lookback_scan_determinismE0ES3_S9_NS6_6detail15normal_iteratorINS6_10device_ptrIsEEEESG_SG_SG_PmS8_22is_equal_div_10_reduceIsEEE10hipError_tPvRmT2_T3_mT4_T5_T6_T7_T8_P12ihipStream_tbENKUlT_T0_E_clISt17integral_constantIbLb0EES11_EEDaSW_SX_EUlSW_E_NS1_11comp_targetILNS1_3genE10ELNS1_11target_archE1200ELNS1_3gpuE4ELNS1_3repE0EEENS1_30default_config_static_selectorELNS0_4arch9wavefront6targetE1EEEvT1_
    .private_segment_fixed_size: 0
    .sgpr_count:     4
    .sgpr_spill_count: 0
    .symbol:         _ZN7rocprim17ROCPRIM_400000_NS6detail17trampoline_kernelINS0_14default_configENS1_29reduce_by_key_config_selectorIssN6thrust23THRUST_200600_302600_NS4plusIsEEEEZZNS1_33reduce_by_key_impl_wrapped_configILNS1_25lookback_scan_determinismE0ES3_S9_NS6_6detail15normal_iteratorINS6_10device_ptrIsEEEESG_SG_SG_PmS8_22is_equal_div_10_reduceIsEEE10hipError_tPvRmT2_T3_mT4_T5_T6_T7_T8_P12ihipStream_tbENKUlT_T0_E_clISt17integral_constantIbLb0EES11_EEDaSW_SX_EUlSW_E_NS1_11comp_targetILNS1_3genE10ELNS1_11target_archE1200ELNS1_3gpuE4ELNS1_3repE0EEENS1_30default_config_static_selectorELNS0_4arch9wavefront6targetE1EEEvT1_.kd
    .uniform_work_group_size: 1
    .uses_dynamic_stack: false
    .vgpr_count:     0
    .vgpr_spill_count: 0
    .wavefront_size: 64
  - .agpr_count:     0
    .args:
      - .offset:         0
        .size:           120
        .value_kind:     by_value
    .group_segment_fixed_size: 0
    .kernarg_segment_align: 8
    .kernarg_segment_size: 120
    .language:       OpenCL C
    .language_version:
      - 2
      - 0
    .max_flat_workgroup_size: 256
    .name:           _ZN7rocprim17ROCPRIM_400000_NS6detail17trampoline_kernelINS0_14default_configENS1_29reduce_by_key_config_selectorIssN6thrust23THRUST_200600_302600_NS4plusIsEEEEZZNS1_33reduce_by_key_impl_wrapped_configILNS1_25lookback_scan_determinismE0ES3_S9_NS6_6detail15normal_iteratorINS6_10device_ptrIsEEEESG_SG_SG_PmS8_22is_equal_div_10_reduceIsEEE10hipError_tPvRmT2_T3_mT4_T5_T6_T7_T8_P12ihipStream_tbENKUlT_T0_E_clISt17integral_constantIbLb0EES11_EEDaSW_SX_EUlSW_E_NS1_11comp_targetILNS1_3genE9ELNS1_11target_archE1100ELNS1_3gpuE3ELNS1_3repE0EEENS1_30default_config_static_selectorELNS0_4arch9wavefront6targetE1EEEvT1_
    .private_segment_fixed_size: 0
    .sgpr_count:     4
    .sgpr_spill_count: 0
    .symbol:         _ZN7rocprim17ROCPRIM_400000_NS6detail17trampoline_kernelINS0_14default_configENS1_29reduce_by_key_config_selectorIssN6thrust23THRUST_200600_302600_NS4plusIsEEEEZZNS1_33reduce_by_key_impl_wrapped_configILNS1_25lookback_scan_determinismE0ES3_S9_NS6_6detail15normal_iteratorINS6_10device_ptrIsEEEESG_SG_SG_PmS8_22is_equal_div_10_reduceIsEEE10hipError_tPvRmT2_T3_mT4_T5_T6_T7_T8_P12ihipStream_tbENKUlT_T0_E_clISt17integral_constantIbLb0EES11_EEDaSW_SX_EUlSW_E_NS1_11comp_targetILNS1_3genE9ELNS1_11target_archE1100ELNS1_3gpuE3ELNS1_3repE0EEENS1_30default_config_static_selectorELNS0_4arch9wavefront6targetE1EEEvT1_.kd
    .uniform_work_group_size: 1
    .uses_dynamic_stack: false
    .vgpr_count:     0
    .vgpr_spill_count: 0
    .wavefront_size: 64
  - .agpr_count:     0
    .args:
      - .offset:         0
        .size:           120
        .value_kind:     by_value
    .group_segment_fixed_size: 0
    .kernarg_segment_align: 8
    .kernarg_segment_size: 120
    .language:       OpenCL C
    .language_version:
      - 2
      - 0
    .max_flat_workgroup_size: 256
    .name:           _ZN7rocprim17ROCPRIM_400000_NS6detail17trampoline_kernelINS0_14default_configENS1_29reduce_by_key_config_selectorIssN6thrust23THRUST_200600_302600_NS4plusIsEEEEZZNS1_33reduce_by_key_impl_wrapped_configILNS1_25lookback_scan_determinismE0ES3_S9_NS6_6detail15normal_iteratorINS6_10device_ptrIsEEEESG_SG_SG_PmS8_22is_equal_div_10_reduceIsEEE10hipError_tPvRmT2_T3_mT4_T5_T6_T7_T8_P12ihipStream_tbENKUlT_T0_E_clISt17integral_constantIbLb0EES11_EEDaSW_SX_EUlSW_E_NS1_11comp_targetILNS1_3genE8ELNS1_11target_archE1030ELNS1_3gpuE2ELNS1_3repE0EEENS1_30default_config_static_selectorELNS0_4arch9wavefront6targetE1EEEvT1_
    .private_segment_fixed_size: 0
    .sgpr_count:     4
    .sgpr_spill_count: 0
    .symbol:         _ZN7rocprim17ROCPRIM_400000_NS6detail17trampoline_kernelINS0_14default_configENS1_29reduce_by_key_config_selectorIssN6thrust23THRUST_200600_302600_NS4plusIsEEEEZZNS1_33reduce_by_key_impl_wrapped_configILNS1_25lookback_scan_determinismE0ES3_S9_NS6_6detail15normal_iteratorINS6_10device_ptrIsEEEESG_SG_SG_PmS8_22is_equal_div_10_reduceIsEEE10hipError_tPvRmT2_T3_mT4_T5_T6_T7_T8_P12ihipStream_tbENKUlT_T0_E_clISt17integral_constantIbLb0EES11_EEDaSW_SX_EUlSW_E_NS1_11comp_targetILNS1_3genE8ELNS1_11target_archE1030ELNS1_3gpuE2ELNS1_3repE0EEENS1_30default_config_static_selectorELNS0_4arch9wavefront6targetE1EEEvT1_.kd
    .uniform_work_group_size: 1
    .uses_dynamic_stack: false
    .vgpr_count:     0
    .vgpr_spill_count: 0
    .wavefront_size: 64
  - .agpr_count:     0
    .args:
      - .offset:         0
        .size:           120
        .value_kind:     by_value
    .group_segment_fixed_size: 0
    .kernarg_segment_align: 8
    .kernarg_segment_size: 120
    .language:       OpenCL C
    .language_version:
      - 2
      - 0
    .max_flat_workgroup_size: 256
    .name:           _ZN7rocprim17ROCPRIM_400000_NS6detail17trampoline_kernelINS0_14default_configENS1_29reduce_by_key_config_selectorIssN6thrust23THRUST_200600_302600_NS4plusIsEEEEZZNS1_33reduce_by_key_impl_wrapped_configILNS1_25lookback_scan_determinismE0ES3_S9_NS6_6detail15normal_iteratorINS6_10device_ptrIsEEEESG_SG_SG_PmS8_22is_equal_div_10_reduceIsEEE10hipError_tPvRmT2_T3_mT4_T5_T6_T7_T8_P12ihipStream_tbENKUlT_T0_E_clISt17integral_constantIbLb1EES11_EEDaSW_SX_EUlSW_E_NS1_11comp_targetILNS1_3genE0ELNS1_11target_archE4294967295ELNS1_3gpuE0ELNS1_3repE0EEENS1_30default_config_static_selectorELNS0_4arch9wavefront6targetE1EEEvT1_
    .private_segment_fixed_size: 0
    .sgpr_count:     4
    .sgpr_spill_count: 0
    .symbol:         _ZN7rocprim17ROCPRIM_400000_NS6detail17trampoline_kernelINS0_14default_configENS1_29reduce_by_key_config_selectorIssN6thrust23THRUST_200600_302600_NS4plusIsEEEEZZNS1_33reduce_by_key_impl_wrapped_configILNS1_25lookback_scan_determinismE0ES3_S9_NS6_6detail15normal_iteratorINS6_10device_ptrIsEEEESG_SG_SG_PmS8_22is_equal_div_10_reduceIsEEE10hipError_tPvRmT2_T3_mT4_T5_T6_T7_T8_P12ihipStream_tbENKUlT_T0_E_clISt17integral_constantIbLb1EES11_EEDaSW_SX_EUlSW_E_NS1_11comp_targetILNS1_3genE0ELNS1_11target_archE4294967295ELNS1_3gpuE0ELNS1_3repE0EEENS1_30default_config_static_selectorELNS0_4arch9wavefront6targetE1EEEvT1_.kd
    .uniform_work_group_size: 1
    .uses_dynamic_stack: false
    .vgpr_count:     0
    .vgpr_spill_count: 0
    .wavefront_size: 64
  - .agpr_count:     0
    .args:
      - .offset:         0
        .size:           120
        .value_kind:     by_value
    .group_segment_fixed_size: 0
    .kernarg_segment_align: 8
    .kernarg_segment_size: 120
    .language:       OpenCL C
    .language_version:
      - 2
      - 0
    .max_flat_workgroup_size: 256
    .name:           _ZN7rocprim17ROCPRIM_400000_NS6detail17trampoline_kernelINS0_14default_configENS1_29reduce_by_key_config_selectorIssN6thrust23THRUST_200600_302600_NS4plusIsEEEEZZNS1_33reduce_by_key_impl_wrapped_configILNS1_25lookback_scan_determinismE0ES3_S9_NS6_6detail15normal_iteratorINS6_10device_ptrIsEEEESG_SG_SG_PmS8_22is_equal_div_10_reduceIsEEE10hipError_tPvRmT2_T3_mT4_T5_T6_T7_T8_P12ihipStream_tbENKUlT_T0_E_clISt17integral_constantIbLb1EES11_EEDaSW_SX_EUlSW_E_NS1_11comp_targetILNS1_3genE5ELNS1_11target_archE942ELNS1_3gpuE9ELNS1_3repE0EEENS1_30default_config_static_selectorELNS0_4arch9wavefront6targetE1EEEvT1_
    .private_segment_fixed_size: 0
    .sgpr_count:     4
    .sgpr_spill_count: 0
    .symbol:         _ZN7rocprim17ROCPRIM_400000_NS6detail17trampoline_kernelINS0_14default_configENS1_29reduce_by_key_config_selectorIssN6thrust23THRUST_200600_302600_NS4plusIsEEEEZZNS1_33reduce_by_key_impl_wrapped_configILNS1_25lookback_scan_determinismE0ES3_S9_NS6_6detail15normal_iteratorINS6_10device_ptrIsEEEESG_SG_SG_PmS8_22is_equal_div_10_reduceIsEEE10hipError_tPvRmT2_T3_mT4_T5_T6_T7_T8_P12ihipStream_tbENKUlT_T0_E_clISt17integral_constantIbLb1EES11_EEDaSW_SX_EUlSW_E_NS1_11comp_targetILNS1_3genE5ELNS1_11target_archE942ELNS1_3gpuE9ELNS1_3repE0EEENS1_30default_config_static_selectorELNS0_4arch9wavefront6targetE1EEEvT1_.kd
    .uniform_work_group_size: 1
    .uses_dynamic_stack: false
    .vgpr_count:     0
    .vgpr_spill_count: 0
    .wavefront_size: 64
  - .agpr_count:     0
    .args:
      - .offset:         0
        .size:           120
        .value_kind:     by_value
    .group_segment_fixed_size: 7680
    .kernarg_segment_align: 8
    .kernarg_segment_size: 120
    .language:       OpenCL C
    .language_version:
      - 2
      - 0
    .max_flat_workgroup_size: 256
    .name:           _ZN7rocprim17ROCPRIM_400000_NS6detail17trampoline_kernelINS0_14default_configENS1_29reduce_by_key_config_selectorIssN6thrust23THRUST_200600_302600_NS4plusIsEEEEZZNS1_33reduce_by_key_impl_wrapped_configILNS1_25lookback_scan_determinismE0ES3_S9_NS6_6detail15normal_iteratorINS6_10device_ptrIsEEEESG_SG_SG_PmS8_22is_equal_div_10_reduceIsEEE10hipError_tPvRmT2_T3_mT4_T5_T6_T7_T8_P12ihipStream_tbENKUlT_T0_E_clISt17integral_constantIbLb1EES11_EEDaSW_SX_EUlSW_E_NS1_11comp_targetILNS1_3genE4ELNS1_11target_archE910ELNS1_3gpuE8ELNS1_3repE0EEENS1_30default_config_static_selectorELNS0_4arch9wavefront6targetE1EEEvT1_
    .private_segment_fixed_size: 0
    .sgpr_count:     70
    .sgpr_spill_count: 0
    .symbol:         _ZN7rocprim17ROCPRIM_400000_NS6detail17trampoline_kernelINS0_14default_configENS1_29reduce_by_key_config_selectorIssN6thrust23THRUST_200600_302600_NS4plusIsEEEEZZNS1_33reduce_by_key_impl_wrapped_configILNS1_25lookback_scan_determinismE0ES3_S9_NS6_6detail15normal_iteratorINS6_10device_ptrIsEEEESG_SG_SG_PmS8_22is_equal_div_10_reduceIsEEE10hipError_tPvRmT2_T3_mT4_T5_T6_T7_T8_P12ihipStream_tbENKUlT_T0_E_clISt17integral_constantIbLb1EES11_EEDaSW_SX_EUlSW_E_NS1_11comp_targetILNS1_3genE4ELNS1_11target_archE910ELNS1_3gpuE8ELNS1_3repE0EEENS1_30default_config_static_selectorELNS0_4arch9wavefront6targetE1EEEvT1_.kd
    .uniform_work_group_size: 1
    .uses_dynamic_stack: false
    .vgpr_count:     110
    .vgpr_spill_count: 0
    .wavefront_size: 64
  - .agpr_count:     0
    .args:
      - .offset:         0
        .size:           120
        .value_kind:     by_value
    .group_segment_fixed_size: 0
    .kernarg_segment_align: 8
    .kernarg_segment_size: 120
    .language:       OpenCL C
    .language_version:
      - 2
      - 0
    .max_flat_workgroup_size: 256
    .name:           _ZN7rocprim17ROCPRIM_400000_NS6detail17trampoline_kernelINS0_14default_configENS1_29reduce_by_key_config_selectorIssN6thrust23THRUST_200600_302600_NS4plusIsEEEEZZNS1_33reduce_by_key_impl_wrapped_configILNS1_25lookback_scan_determinismE0ES3_S9_NS6_6detail15normal_iteratorINS6_10device_ptrIsEEEESG_SG_SG_PmS8_22is_equal_div_10_reduceIsEEE10hipError_tPvRmT2_T3_mT4_T5_T6_T7_T8_P12ihipStream_tbENKUlT_T0_E_clISt17integral_constantIbLb1EES11_EEDaSW_SX_EUlSW_E_NS1_11comp_targetILNS1_3genE3ELNS1_11target_archE908ELNS1_3gpuE7ELNS1_3repE0EEENS1_30default_config_static_selectorELNS0_4arch9wavefront6targetE1EEEvT1_
    .private_segment_fixed_size: 0
    .sgpr_count:     4
    .sgpr_spill_count: 0
    .symbol:         _ZN7rocprim17ROCPRIM_400000_NS6detail17trampoline_kernelINS0_14default_configENS1_29reduce_by_key_config_selectorIssN6thrust23THRUST_200600_302600_NS4plusIsEEEEZZNS1_33reduce_by_key_impl_wrapped_configILNS1_25lookback_scan_determinismE0ES3_S9_NS6_6detail15normal_iteratorINS6_10device_ptrIsEEEESG_SG_SG_PmS8_22is_equal_div_10_reduceIsEEE10hipError_tPvRmT2_T3_mT4_T5_T6_T7_T8_P12ihipStream_tbENKUlT_T0_E_clISt17integral_constantIbLb1EES11_EEDaSW_SX_EUlSW_E_NS1_11comp_targetILNS1_3genE3ELNS1_11target_archE908ELNS1_3gpuE7ELNS1_3repE0EEENS1_30default_config_static_selectorELNS0_4arch9wavefront6targetE1EEEvT1_.kd
    .uniform_work_group_size: 1
    .uses_dynamic_stack: false
    .vgpr_count:     0
    .vgpr_spill_count: 0
    .wavefront_size: 64
  - .agpr_count:     0
    .args:
      - .offset:         0
        .size:           120
        .value_kind:     by_value
    .group_segment_fixed_size: 0
    .kernarg_segment_align: 8
    .kernarg_segment_size: 120
    .language:       OpenCL C
    .language_version:
      - 2
      - 0
    .max_flat_workgroup_size: 256
    .name:           _ZN7rocprim17ROCPRIM_400000_NS6detail17trampoline_kernelINS0_14default_configENS1_29reduce_by_key_config_selectorIssN6thrust23THRUST_200600_302600_NS4plusIsEEEEZZNS1_33reduce_by_key_impl_wrapped_configILNS1_25lookback_scan_determinismE0ES3_S9_NS6_6detail15normal_iteratorINS6_10device_ptrIsEEEESG_SG_SG_PmS8_22is_equal_div_10_reduceIsEEE10hipError_tPvRmT2_T3_mT4_T5_T6_T7_T8_P12ihipStream_tbENKUlT_T0_E_clISt17integral_constantIbLb1EES11_EEDaSW_SX_EUlSW_E_NS1_11comp_targetILNS1_3genE2ELNS1_11target_archE906ELNS1_3gpuE6ELNS1_3repE0EEENS1_30default_config_static_selectorELNS0_4arch9wavefront6targetE1EEEvT1_
    .private_segment_fixed_size: 0
    .sgpr_count:     4
    .sgpr_spill_count: 0
    .symbol:         _ZN7rocprim17ROCPRIM_400000_NS6detail17trampoline_kernelINS0_14default_configENS1_29reduce_by_key_config_selectorIssN6thrust23THRUST_200600_302600_NS4plusIsEEEEZZNS1_33reduce_by_key_impl_wrapped_configILNS1_25lookback_scan_determinismE0ES3_S9_NS6_6detail15normal_iteratorINS6_10device_ptrIsEEEESG_SG_SG_PmS8_22is_equal_div_10_reduceIsEEE10hipError_tPvRmT2_T3_mT4_T5_T6_T7_T8_P12ihipStream_tbENKUlT_T0_E_clISt17integral_constantIbLb1EES11_EEDaSW_SX_EUlSW_E_NS1_11comp_targetILNS1_3genE2ELNS1_11target_archE906ELNS1_3gpuE6ELNS1_3repE0EEENS1_30default_config_static_selectorELNS0_4arch9wavefront6targetE1EEEvT1_.kd
    .uniform_work_group_size: 1
    .uses_dynamic_stack: false
    .vgpr_count:     0
    .vgpr_spill_count: 0
    .wavefront_size: 64
  - .agpr_count:     0
    .args:
      - .offset:         0
        .size:           120
        .value_kind:     by_value
    .group_segment_fixed_size: 0
    .kernarg_segment_align: 8
    .kernarg_segment_size: 120
    .language:       OpenCL C
    .language_version:
      - 2
      - 0
    .max_flat_workgroup_size: 256
    .name:           _ZN7rocprim17ROCPRIM_400000_NS6detail17trampoline_kernelINS0_14default_configENS1_29reduce_by_key_config_selectorIssN6thrust23THRUST_200600_302600_NS4plusIsEEEEZZNS1_33reduce_by_key_impl_wrapped_configILNS1_25lookback_scan_determinismE0ES3_S9_NS6_6detail15normal_iteratorINS6_10device_ptrIsEEEESG_SG_SG_PmS8_22is_equal_div_10_reduceIsEEE10hipError_tPvRmT2_T3_mT4_T5_T6_T7_T8_P12ihipStream_tbENKUlT_T0_E_clISt17integral_constantIbLb1EES11_EEDaSW_SX_EUlSW_E_NS1_11comp_targetILNS1_3genE10ELNS1_11target_archE1201ELNS1_3gpuE5ELNS1_3repE0EEENS1_30default_config_static_selectorELNS0_4arch9wavefront6targetE1EEEvT1_
    .private_segment_fixed_size: 0
    .sgpr_count:     4
    .sgpr_spill_count: 0
    .symbol:         _ZN7rocprim17ROCPRIM_400000_NS6detail17trampoline_kernelINS0_14default_configENS1_29reduce_by_key_config_selectorIssN6thrust23THRUST_200600_302600_NS4plusIsEEEEZZNS1_33reduce_by_key_impl_wrapped_configILNS1_25lookback_scan_determinismE0ES3_S9_NS6_6detail15normal_iteratorINS6_10device_ptrIsEEEESG_SG_SG_PmS8_22is_equal_div_10_reduceIsEEE10hipError_tPvRmT2_T3_mT4_T5_T6_T7_T8_P12ihipStream_tbENKUlT_T0_E_clISt17integral_constantIbLb1EES11_EEDaSW_SX_EUlSW_E_NS1_11comp_targetILNS1_3genE10ELNS1_11target_archE1201ELNS1_3gpuE5ELNS1_3repE0EEENS1_30default_config_static_selectorELNS0_4arch9wavefront6targetE1EEEvT1_.kd
    .uniform_work_group_size: 1
    .uses_dynamic_stack: false
    .vgpr_count:     0
    .vgpr_spill_count: 0
    .wavefront_size: 64
  - .agpr_count:     0
    .args:
      - .offset:         0
        .size:           120
        .value_kind:     by_value
    .group_segment_fixed_size: 0
    .kernarg_segment_align: 8
    .kernarg_segment_size: 120
    .language:       OpenCL C
    .language_version:
      - 2
      - 0
    .max_flat_workgroup_size: 256
    .name:           _ZN7rocprim17ROCPRIM_400000_NS6detail17trampoline_kernelINS0_14default_configENS1_29reduce_by_key_config_selectorIssN6thrust23THRUST_200600_302600_NS4plusIsEEEEZZNS1_33reduce_by_key_impl_wrapped_configILNS1_25lookback_scan_determinismE0ES3_S9_NS6_6detail15normal_iteratorINS6_10device_ptrIsEEEESG_SG_SG_PmS8_22is_equal_div_10_reduceIsEEE10hipError_tPvRmT2_T3_mT4_T5_T6_T7_T8_P12ihipStream_tbENKUlT_T0_E_clISt17integral_constantIbLb1EES11_EEDaSW_SX_EUlSW_E_NS1_11comp_targetILNS1_3genE10ELNS1_11target_archE1200ELNS1_3gpuE4ELNS1_3repE0EEENS1_30default_config_static_selectorELNS0_4arch9wavefront6targetE1EEEvT1_
    .private_segment_fixed_size: 0
    .sgpr_count:     4
    .sgpr_spill_count: 0
    .symbol:         _ZN7rocprim17ROCPRIM_400000_NS6detail17trampoline_kernelINS0_14default_configENS1_29reduce_by_key_config_selectorIssN6thrust23THRUST_200600_302600_NS4plusIsEEEEZZNS1_33reduce_by_key_impl_wrapped_configILNS1_25lookback_scan_determinismE0ES3_S9_NS6_6detail15normal_iteratorINS6_10device_ptrIsEEEESG_SG_SG_PmS8_22is_equal_div_10_reduceIsEEE10hipError_tPvRmT2_T3_mT4_T5_T6_T7_T8_P12ihipStream_tbENKUlT_T0_E_clISt17integral_constantIbLb1EES11_EEDaSW_SX_EUlSW_E_NS1_11comp_targetILNS1_3genE10ELNS1_11target_archE1200ELNS1_3gpuE4ELNS1_3repE0EEENS1_30default_config_static_selectorELNS0_4arch9wavefront6targetE1EEEvT1_.kd
    .uniform_work_group_size: 1
    .uses_dynamic_stack: false
    .vgpr_count:     0
    .vgpr_spill_count: 0
    .wavefront_size: 64
  - .agpr_count:     0
    .args:
      - .offset:         0
        .size:           120
        .value_kind:     by_value
    .group_segment_fixed_size: 0
    .kernarg_segment_align: 8
    .kernarg_segment_size: 120
    .language:       OpenCL C
    .language_version:
      - 2
      - 0
    .max_flat_workgroup_size: 256
    .name:           _ZN7rocprim17ROCPRIM_400000_NS6detail17trampoline_kernelINS0_14default_configENS1_29reduce_by_key_config_selectorIssN6thrust23THRUST_200600_302600_NS4plusIsEEEEZZNS1_33reduce_by_key_impl_wrapped_configILNS1_25lookback_scan_determinismE0ES3_S9_NS6_6detail15normal_iteratorINS6_10device_ptrIsEEEESG_SG_SG_PmS8_22is_equal_div_10_reduceIsEEE10hipError_tPvRmT2_T3_mT4_T5_T6_T7_T8_P12ihipStream_tbENKUlT_T0_E_clISt17integral_constantIbLb1EES11_EEDaSW_SX_EUlSW_E_NS1_11comp_targetILNS1_3genE9ELNS1_11target_archE1100ELNS1_3gpuE3ELNS1_3repE0EEENS1_30default_config_static_selectorELNS0_4arch9wavefront6targetE1EEEvT1_
    .private_segment_fixed_size: 0
    .sgpr_count:     4
    .sgpr_spill_count: 0
    .symbol:         _ZN7rocprim17ROCPRIM_400000_NS6detail17trampoline_kernelINS0_14default_configENS1_29reduce_by_key_config_selectorIssN6thrust23THRUST_200600_302600_NS4plusIsEEEEZZNS1_33reduce_by_key_impl_wrapped_configILNS1_25lookback_scan_determinismE0ES3_S9_NS6_6detail15normal_iteratorINS6_10device_ptrIsEEEESG_SG_SG_PmS8_22is_equal_div_10_reduceIsEEE10hipError_tPvRmT2_T3_mT4_T5_T6_T7_T8_P12ihipStream_tbENKUlT_T0_E_clISt17integral_constantIbLb1EES11_EEDaSW_SX_EUlSW_E_NS1_11comp_targetILNS1_3genE9ELNS1_11target_archE1100ELNS1_3gpuE3ELNS1_3repE0EEENS1_30default_config_static_selectorELNS0_4arch9wavefront6targetE1EEEvT1_.kd
    .uniform_work_group_size: 1
    .uses_dynamic_stack: false
    .vgpr_count:     0
    .vgpr_spill_count: 0
    .wavefront_size: 64
  - .agpr_count:     0
    .args:
      - .offset:         0
        .size:           120
        .value_kind:     by_value
    .group_segment_fixed_size: 0
    .kernarg_segment_align: 8
    .kernarg_segment_size: 120
    .language:       OpenCL C
    .language_version:
      - 2
      - 0
    .max_flat_workgroup_size: 256
    .name:           _ZN7rocprim17ROCPRIM_400000_NS6detail17trampoline_kernelINS0_14default_configENS1_29reduce_by_key_config_selectorIssN6thrust23THRUST_200600_302600_NS4plusIsEEEEZZNS1_33reduce_by_key_impl_wrapped_configILNS1_25lookback_scan_determinismE0ES3_S9_NS6_6detail15normal_iteratorINS6_10device_ptrIsEEEESG_SG_SG_PmS8_22is_equal_div_10_reduceIsEEE10hipError_tPvRmT2_T3_mT4_T5_T6_T7_T8_P12ihipStream_tbENKUlT_T0_E_clISt17integral_constantIbLb1EES11_EEDaSW_SX_EUlSW_E_NS1_11comp_targetILNS1_3genE8ELNS1_11target_archE1030ELNS1_3gpuE2ELNS1_3repE0EEENS1_30default_config_static_selectorELNS0_4arch9wavefront6targetE1EEEvT1_
    .private_segment_fixed_size: 0
    .sgpr_count:     4
    .sgpr_spill_count: 0
    .symbol:         _ZN7rocprim17ROCPRIM_400000_NS6detail17trampoline_kernelINS0_14default_configENS1_29reduce_by_key_config_selectorIssN6thrust23THRUST_200600_302600_NS4plusIsEEEEZZNS1_33reduce_by_key_impl_wrapped_configILNS1_25lookback_scan_determinismE0ES3_S9_NS6_6detail15normal_iteratorINS6_10device_ptrIsEEEESG_SG_SG_PmS8_22is_equal_div_10_reduceIsEEE10hipError_tPvRmT2_T3_mT4_T5_T6_T7_T8_P12ihipStream_tbENKUlT_T0_E_clISt17integral_constantIbLb1EES11_EEDaSW_SX_EUlSW_E_NS1_11comp_targetILNS1_3genE8ELNS1_11target_archE1030ELNS1_3gpuE2ELNS1_3repE0EEENS1_30default_config_static_selectorELNS0_4arch9wavefront6targetE1EEEvT1_.kd
    .uniform_work_group_size: 1
    .uses_dynamic_stack: false
    .vgpr_count:     0
    .vgpr_spill_count: 0
    .wavefront_size: 64
  - .agpr_count:     0
    .args:
      - .offset:         0
        .size:           120
        .value_kind:     by_value
    .group_segment_fixed_size: 0
    .kernarg_segment_align: 8
    .kernarg_segment_size: 120
    .language:       OpenCL C
    .language_version:
      - 2
      - 0
    .max_flat_workgroup_size: 256
    .name:           _ZN7rocprim17ROCPRIM_400000_NS6detail17trampoline_kernelINS0_14default_configENS1_29reduce_by_key_config_selectorIssN6thrust23THRUST_200600_302600_NS4plusIsEEEEZZNS1_33reduce_by_key_impl_wrapped_configILNS1_25lookback_scan_determinismE0ES3_S9_NS6_6detail15normal_iteratorINS6_10device_ptrIsEEEESG_SG_SG_PmS8_22is_equal_div_10_reduceIsEEE10hipError_tPvRmT2_T3_mT4_T5_T6_T7_T8_P12ihipStream_tbENKUlT_T0_E_clISt17integral_constantIbLb1EES10_IbLb0EEEEDaSW_SX_EUlSW_E_NS1_11comp_targetILNS1_3genE0ELNS1_11target_archE4294967295ELNS1_3gpuE0ELNS1_3repE0EEENS1_30default_config_static_selectorELNS0_4arch9wavefront6targetE1EEEvT1_
    .private_segment_fixed_size: 0
    .sgpr_count:     4
    .sgpr_spill_count: 0
    .symbol:         _ZN7rocprim17ROCPRIM_400000_NS6detail17trampoline_kernelINS0_14default_configENS1_29reduce_by_key_config_selectorIssN6thrust23THRUST_200600_302600_NS4plusIsEEEEZZNS1_33reduce_by_key_impl_wrapped_configILNS1_25lookback_scan_determinismE0ES3_S9_NS6_6detail15normal_iteratorINS6_10device_ptrIsEEEESG_SG_SG_PmS8_22is_equal_div_10_reduceIsEEE10hipError_tPvRmT2_T3_mT4_T5_T6_T7_T8_P12ihipStream_tbENKUlT_T0_E_clISt17integral_constantIbLb1EES10_IbLb0EEEEDaSW_SX_EUlSW_E_NS1_11comp_targetILNS1_3genE0ELNS1_11target_archE4294967295ELNS1_3gpuE0ELNS1_3repE0EEENS1_30default_config_static_selectorELNS0_4arch9wavefront6targetE1EEEvT1_.kd
    .uniform_work_group_size: 1
    .uses_dynamic_stack: false
    .vgpr_count:     0
    .vgpr_spill_count: 0
    .wavefront_size: 64
  - .agpr_count:     0
    .args:
      - .offset:         0
        .size:           120
        .value_kind:     by_value
    .group_segment_fixed_size: 0
    .kernarg_segment_align: 8
    .kernarg_segment_size: 120
    .language:       OpenCL C
    .language_version:
      - 2
      - 0
    .max_flat_workgroup_size: 256
    .name:           _ZN7rocprim17ROCPRIM_400000_NS6detail17trampoline_kernelINS0_14default_configENS1_29reduce_by_key_config_selectorIssN6thrust23THRUST_200600_302600_NS4plusIsEEEEZZNS1_33reduce_by_key_impl_wrapped_configILNS1_25lookback_scan_determinismE0ES3_S9_NS6_6detail15normal_iteratorINS6_10device_ptrIsEEEESG_SG_SG_PmS8_22is_equal_div_10_reduceIsEEE10hipError_tPvRmT2_T3_mT4_T5_T6_T7_T8_P12ihipStream_tbENKUlT_T0_E_clISt17integral_constantIbLb1EES10_IbLb0EEEEDaSW_SX_EUlSW_E_NS1_11comp_targetILNS1_3genE5ELNS1_11target_archE942ELNS1_3gpuE9ELNS1_3repE0EEENS1_30default_config_static_selectorELNS0_4arch9wavefront6targetE1EEEvT1_
    .private_segment_fixed_size: 0
    .sgpr_count:     4
    .sgpr_spill_count: 0
    .symbol:         _ZN7rocprim17ROCPRIM_400000_NS6detail17trampoline_kernelINS0_14default_configENS1_29reduce_by_key_config_selectorIssN6thrust23THRUST_200600_302600_NS4plusIsEEEEZZNS1_33reduce_by_key_impl_wrapped_configILNS1_25lookback_scan_determinismE0ES3_S9_NS6_6detail15normal_iteratorINS6_10device_ptrIsEEEESG_SG_SG_PmS8_22is_equal_div_10_reduceIsEEE10hipError_tPvRmT2_T3_mT4_T5_T6_T7_T8_P12ihipStream_tbENKUlT_T0_E_clISt17integral_constantIbLb1EES10_IbLb0EEEEDaSW_SX_EUlSW_E_NS1_11comp_targetILNS1_3genE5ELNS1_11target_archE942ELNS1_3gpuE9ELNS1_3repE0EEENS1_30default_config_static_selectorELNS0_4arch9wavefront6targetE1EEEvT1_.kd
    .uniform_work_group_size: 1
    .uses_dynamic_stack: false
    .vgpr_count:     0
    .vgpr_spill_count: 0
    .wavefront_size: 64
  - .agpr_count:     0
    .args:
      - .offset:         0
        .size:           120
        .value_kind:     by_value
    .group_segment_fixed_size: 7680
    .kernarg_segment_align: 8
    .kernarg_segment_size: 120
    .language:       OpenCL C
    .language_version:
      - 2
      - 0
    .max_flat_workgroup_size: 256
    .name:           _ZN7rocprim17ROCPRIM_400000_NS6detail17trampoline_kernelINS0_14default_configENS1_29reduce_by_key_config_selectorIssN6thrust23THRUST_200600_302600_NS4plusIsEEEEZZNS1_33reduce_by_key_impl_wrapped_configILNS1_25lookback_scan_determinismE0ES3_S9_NS6_6detail15normal_iteratorINS6_10device_ptrIsEEEESG_SG_SG_PmS8_22is_equal_div_10_reduceIsEEE10hipError_tPvRmT2_T3_mT4_T5_T6_T7_T8_P12ihipStream_tbENKUlT_T0_E_clISt17integral_constantIbLb1EES10_IbLb0EEEEDaSW_SX_EUlSW_E_NS1_11comp_targetILNS1_3genE4ELNS1_11target_archE910ELNS1_3gpuE8ELNS1_3repE0EEENS1_30default_config_static_selectorELNS0_4arch9wavefront6targetE1EEEvT1_
    .private_segment_fixed_size: 0
    .sgpr_count:     67
    .sgpr_spill_count: 0
    .symbol:         _ZN7rocprim17ROCPRIM_400000_NS6detail17trampoline_kernelINS0_14default_configENS1_29reduce_by_key_config_selectorIssN6thrust23THRUST_200600_302600_NS4plusIsEEEEZZNS1_33reduce_by_key_impl_wrapped_configILNS1_25lookback_scan_determinismE0ES3_S9_NS6_6detail15normal_iteratorINS6_10device_ptrIsEEEESG_SG_SG_PmS8_22is_equal_div_10_reduceIsEEE10hipError_tPvRmT2_T3_mT4_T5_T6_T7_T8_P12ihipStream_tbENKUlT_T0_E_clISt17integral_constantIbLb1EES10_IbLb0EEEEDaSW_SX_EUlSW_E_NS1_11comp_targetILNS1_3genE4ELNS1_11target_archE910ELNS1_3gpuE8ELNS1_3repE0EEENS1_30default_config_static_selectorELNS0_4arch9wavefront6targetE1EEEvT1_.kd
    .uniform_work_group_size: 1
    .uses_dynamic_stack: false
    .vgpr_count:     110
    .vgpr_spill_count: 0
    .wavefront_size: 64
  - .agpr_count:     0
    .args:
      - .offset:         0
        .size:           120
        .value_kind:     by_value
    .group_segment_fixed_size: 0
    .kernarg_segment_align: 8
    .kernarg_segment_size: 120
    .language:       OpenCL C
    .language_version:
      - 2
      - 0
    .max_flat_workgroup_size: 256
    .name:           _ZN7rocprim17ROCPRIM_400000_NS6detail17trampoline_kernelINS0_14default_configENS1_29reduce_by_key_config_selectorIssN6thrust23THRUST_200600_302600_NS4plusIsEEEEZZNS1_33reduce_by_key_impl_wrapped_configILNS1_25lookback_scan_determinismE0ES3_S9_NS6_6detail15normal_iteratorINS6_10device_ptrIsEEEESG_SG_SG_PmS8_22is_equal_div_10_reduceIsEEE10hipError_tPvRmT2_T3_mT4_T5_T6_T7_T8_P12ihipStream_tbENKUlT_T0_E_clISt17integral_constantIbLb1EES10_IbLb0EEEEDaSW_SX_EUlSW_E_NS1_11comp_targetILNS1_3genE3ELNS1_11target_archE908ELNS1_3gpuE7ELNS1_3repE0EEENS1_30default_config_static_selectorELNS0_4arch9wavefront6targetE1EEEvT1_
    .private_segment_fixed_size: 0
    .sgpr_count:     4
    .sgpr_spill_count: 0
    .symbol:         _ZN7rocprim17ROCPRIM_400000_NS6detail17trampoline_kernelINS0_14default_configENS1_29reduce_by_key_config_selectorIssN6thrust23THRUST_200600_302600_NS4plusIsEEEEZZNS1_33reduce_by_key_impl_wrapped_configILNS1_25lookback_scan_determinismE0ES3_S9_NS6_6detail15normal_iteratorINS6_10device_ptrIsEEEESG_SG_SG_PmS8_22is_equal_div_10_reduceIsEEE10hipError_tPvRmT2_T3_mT4_T5_T6_T7_T8_P12ihipStream_tbENKUlT_T0_E_clISt17integral_constantIbLb1EES10_IbLb0EEEEDaSW_SX_EUlSW_E_NS1_11comp_targetILNS1_3genE3ELNS1_11target_archE908ELNS1_3gpuE7ELNS1_3repE0EEENS1_30default_config_static_selectorELNS0_4arch9wavefront6targetE1EEEvT1_.kd
    .uniform_work_group_size: 1
    .uses_dynamic_stack: false
    .vgpr_count:     0
    .vgpr_spill_count: 0
    .wavefront_size: 64
  - .agpr_count:     0
    .args:
      - .offset:         0
        .size:           120
        .value_kind:     by_value
    .group_segment_fixed_size: 0
    .kernarg_segment_align: 8
    .kernarg_segment_size: 120
    .language:       OpenCL C
    .language_version:
      - 2
      - 0
    .max_flat_workgroup_size: 256
    .name:           _ZN7rocprim17ROCPRIM_400000_NS6detail17trampoline_kernelINS0_14default_configENS1_29reduce_by_key_config_selectorIssN6thrust23THRUST_200600_302600_NS4plusIsEEEEZZNS1_33reduce_by_key_impl_wrapped_configILNS1_25lookback_scan_determinismE0ES3_S9_NS6_6detail15normal_iteratorINS6_10device_ptrIsEEEESG_SG_SG_PmS8_22is_equal_div_10_reduceIsEEE10hipError_tPvRmT2_T3_mT4_T5_T6_T7_T8_P12ihipStream_tbENKUlT_T0_E_clISt17integral_constantIbLb1EES10_IbLb0EEEEDaSW_SX_EUlSW_E_NS1_11comp_targetILNS1_3genE2ELNS1_11target_archE906ELNS1_3gpuE6ELNS1_3repE0EEENS1_30default_config_static_selectorELNS0_4arch9wavefront6targetE1EEEvT1_
    .private_segment_fixed_size: 0
    .sgpr_count:     4
    .sgpr_spill_count: 0
    .symbol:         _ZN7rocprim17ROCPRIM_400000_NS6detail17trampoline_kernelINS0_14default_configENS1_29reduce_by_key_config_selectorIssN6thrust23THRUST_200600_302600_NS4plusIsEEEEZZNS1_33reduce_by_key_impl_wrapped_configILNS1_25lookback_scan_determinismE0ES3_S9_NS6_6detail15normal_iteratorINS6_10device_ptrIsEEEESG_SG_SG_PmS8_22is_equal_div_10_reduceIsEEE10hipError_tPvRmT2_T3_mT4_T5_T6_T7_T8_P12ihipStream_tbENKUlT_T0_E_clISt17integral_constantIbLb1EES10_IbLb0EEEEDaSW_SX_EUlSW_E_NS1_11comp_targetILNS1_3genE2ELNS1_11target_archE906ELNS1_3gpuE6ELNS1_3repE0EEENS1_30default_config_static_selectorELNS0_4arch9wavefront6targetE1EEEvT1_.kd
    .uniform_work_group_size: 1
    .uses_dynamic_stack: false
    .vgpr_count:     0
    .vgpr_spill_count: 0
    .wavefront_size: 64
  - .agpr_count:     0
    .args:
      - .offset:         0
        .size:           120
        .value_kind:     by_value
    .group_segment_fixed_size: 0
    .kernarg_segment_align: 8
    .kernarg_segment_size: 120
    .language:       OpenCL C
    .language_version:
      - 2
      - 0
    .max_flat_workgroup_size: 256
    .name:           _ZN7rocprim17ROCPRIM_400000_NS6detail17trampoline_kernelINS0_14default_configENS1_29reduce_by_key_config_selectorIssN6thrust23THRUST_200600_302600_NS4plusIsEEEEZZNS1_33reduce_by_key_impl_wrapped_configILNS1_25lookback_scan_determinismE0ES3_S9_NS6_6detail15normal_iteratorINS6_10device_ptrIsEEEESG_SG_SG_PmS8_22is_equal_div_10_reduceIsEEE10hipError_tPvRmT2_T3_mT4_T5_T6_T7_T8_P12ihipStream_tbENKUlT_T0_E_clISt17integral_constantIbLb1EES10_IbLb0EEEEDaSW_SX_EUlSW_E_NS1_11comp_targetILNS1_3genE10ELNS1_11target_archE1201ELNS1_3gpuE5ELNS1_3repE0EEENS1_30default_config_static_selectorELNS0_4arch9wavefront6targetE1EEEvT1_
    .private_segment_fixed_size: 0
    .sgpr_count:     4
    .sgpr_spill_count: 0
    .symbol:         _ZN7rocprim17ROCPRIM_400000_NS6detail17trampoline_kernelINS0_14default_configENS1_29reduce_by_key_config_selectorIssN6thrust23THRUST_200600_302600_NS4plusIsEEEEZZNS1_33reduce_by_key_impl_wrapped_configILNS1_25lookback_scan_determinismE0ES3_S9_NS6_6detail15normal_iteratorINS6_10device_ptrIsEEEESG_SG_SG_PmS8_22is_equal_div_10_reduceIsEEE10hipError_tPvRmT2_T3_mT4_T5_T6_T7_T8_P12ihipStream_tbENKUlT_T0_E_clISt17integral_constantIbLb1EES10_IbLb0EEEEDaSW_SX_EUlSW_E_NS1_11comp_targetILNS1_3genE10ELNS1_11target_archE1201ELNS1_3gpuE5ELNS1_3repE0EEENS1_30default_config_static_selectorELNS0_4arch9wavefront6targetE1EEEvT1_.kd
    .uniform_work_group_size: 1
    .uses_dynamic_stack: false
    .vgpr_count:     0
    .vgpr_spill_count: 0
    .wavefront_size: 64
  - .agpr_count:     0
    .args:
      - .offset:         0
        .size:           120
        .value_kind:     by_value
    .group_segment_fixed_size: 0
    .kernarg_segment_align: 8
    .kernarg_segment_size: 120
    .language:       OpenCL C
    .language_version:
      - 2
      - 0
    .max_flat_workgroup_size: 256
    .name:           _ZN7rocprim17ROCPRIM_400000_NS6detail17trampoline_kernelINS0_14default_configENS1_29reduce_by_key_config_selectorIssN6thrust23THRUST_200600_302600_NS4plusIsEEEEZZNS1_33reduce_by_key_impl_wrapped_configILNS1_25lookback_scan_determinismE0ES3_S9_NS6_6detail15normal_iteratorINS6_10device_ptrIsEEEESG_SG_SG_PmS8_22is_equal_div_10_reduceIsEEE10hipError_tPvRmT2_T3_mT4_T5_T6_T7_T8_P12ihipStream_tbENKUlT_T0_E_clISt17integral_constantIbLb1EES10_IbLb0EEEEDaSW_SX_EUlSW_E_NS1_11comp_targetILNS1_3genE10ELNS1_11target_archE1200ELNS1_3gpuE4ELNS1_3repE0EEENS1_30default_config_static_selectorELNS0_4arch9wavefront6targetE1EEEvT1_
    .private_segment_fixed_size: 0
    .sgpr_count:     4
    .sgpr_spill_count: 0
    .symbol:         _ZN7rocprim17ROCPRIM_400000_NS6detail17trampoline_kernelINS0_14default_configENS1_29reduce_by_key_config_selectorIssN6thrust23THRUST_200600_302600_NS4plusIsEEEEZZNS1_33reduce_by_key_impl_wrapped_configILNS1_25lookback_scan_determinismE0ES3_S9_NS6_6detail15normal_iteratorINS6_10device_ptrIsEEEESG_SG_SG_PmS8_22is_equal_div_10_reduceIsEEE10hipError_tPvRmT2_T3_mT4_T5_T6_T7_T8_P12ihipStream_tbENKUlT_T0_E_clISt17integral_constantIbLb1EES10_IbLb0EEEEDaSW_SX_EUlSW_E_NS1_11comp_targetILNS1_3genE10ELNS1_11target_archE1200ELNS1_3gpuE4ELNS1_3repE0EEENS1_30default_config_static_selectorELNS0_4arch9wavefront6targetE1EEEvT1_.kd
    .uniform_work_group_size: 1
    .uses_dynamic_stack: false
    .vgpr_count:     0
    .vgpr_spill_count: 0
    .wavefront_size: 64
  - .agpr_count:     0
    .args:
      - .offset:         0
        .size:           120
        .value_kind:     by_value
    .group_segment_fixed_size: 0
    .kernarg_segment_align: 8
    .kernarg_segment_size: 120
    .language:       OpenCL C
    .language_version:
      - 2
      - 0
    .max_flat_workgroup_size: 256
    .name:           _ZN7rocprim17ROCPRIM_400000_NS6detail17trampoline_kernelINS0_14default_configENS1_29reduce_by_key_config_selectorIssN6thrust23THRUST_200600_302600_NS4plusIsEEEEZZNS1_33reduce_by_key_impl_wrapped_configILNS1_25lookback_scan_determinismE0ES3_S9_NS6_6detail15normal_iteratorINS6_10device_ptrIsEEEESG_SG_SG_PmS8_22is_equal_div_10_reduceIsEEE10hipError_tPvRmT2_T3_mT4_T5_T6_T7_T8_P12ihipStream_tbENKUlT_T0_E_clISt17integral_constantIbLb1EES10_IbLb0EEEEDaSW_SX_EUlSW_E_NS1_11comp_targetILNS1_3genE9ELNS1_11target_archE1100ELNS1_3gpuE3ELNS1_3repE0EEENS1_30default_config_static_selectorELNS0_4arch9wavefront6targetE1EEEvT1_
    .private_segment_fixed_size: 0
    .sgpr_count:     4
    .sgpr_spill_count: 0
    .symbol:         _ZN7rocprim17ROCPRIM_400000_NS6detail17trampoline_kernelINS0_14default_configENS1_29reduce_by_key_config_selectorIssN6thrust23THRUST_200600_302600_NS4plusIsEEEEZZNS1_33reduce_by_key_impl_wrapped_configILNS1_25lookback_scan_determinismE0ES3_S9_NS6_6detail15normal_iteratorINS6_10device_ptrIsEEEESG_SG_SG_PmS8_22is_equal_div_10_reduceIsEEE10hipError_tPvRmT2_T3_mT4_T5_T6_T7_T8_P12ihipStream_tbENKUlT_T0_E_clISt17integral_constantIbLb1EES10_IbLb0EEEEDaSW_SX_EUlSW_E_NS1_11comp_targetILNS1_3genE9ELNS1_11target_archE1100ELNS1_3gpuE3ELNS1_3repE0EEENS1_30default_config_static_selectorELNS0_4arch9wavefront6targetE1EEEvT1_.kd
    .uniform_work_group_size: 1
    .uses_dynamic_stack: false
    .vgpr_count:     0
    .vgpr_spill_count: 0
    .wavefront_size: 64
  - .agpr_count:     0
    .args:
      - .offset:         0
        .size:           120
        .value_kind:     by_value
    .group_segment_fixed_size: 0
    .kernarg_segment_align: 8
    .kernarg_segment_size: 120
    .language:       OpenCL C
    .language_version:
      - 2
      - 0
    .max_flat_workgroup_size: 256
    .name:           _ZN7rocprim17ROCPRIM_400000_NS6detail17trampoline_kernelINS0_14default_configENS1_29reduce_by_key_config_selectorIssN6thrust23THRUST_200600_302600_NS4plusIsEEEEZZNS1_33reduce_by_key_impl_wrapped_configILNS1_25lookback_scan_determinismE0ES3_S9_NS6_6detail15normal_iteratorINS6_10device_ptrIsEEEESG_SG_SG_PmS8_22is_equal_div_10_reduceIsEEE10hipError_tPvRmT2_T3_mT4_T5_T6_T7_T8_P12ihipStream_tbENKUlT_T0_E_clISt17integral_constantIbLb1EES10_IbLb0EEEEDaSW_SX_EUlSW_E_NS1_11comp_targetILNS1_3genE8ELNS1_11target_archE1030ELNS1_3gpuE2ELNS1_3repE0EEENS1_30default_config_static_selectorELNS0_4arch9wavefront6targetE1EEEvT1_
    .private_segment_fixed_size: 0
    .sgpr_count:     4
    .sgpr_spill_count: 0
    .symbol:         _ZN7rocprim17ROCPRIM_400000_NS6detail17trampoline_kernelINS0_14default_configENS1_29reduce_by_key_config_selectorIssN6thrust23THRUST_200600_302600_NS4plusIsEEEEZZNS1_33reduce_by_key_impl_wrapped_configILNS1_25lookback_scan_determinismE0ES3_S9_NS6_6detail15normal_iteratorINS6_10device_ptrIsEEEESG_SG_SG_PmS8_22is_equal_div_10_reduceIsEEE10hipError_tPvRmT2_T3_mT4_T5_T6_T7_T8_P12ihipStream_tbENKUlT_T0_E_clISt17integral_constantIbLb1EES10_IbLb0EEEEDaSW_SX_EUlSW_E_NS1_11comp_targetILNS1_3genE8ELNS1_11target_archE1030ELNS1_3gpuE2ELNS1_3repE0EEENS1_30default_config_static_selectorELNS0_4arch9wavefront6targetE1EEEvT1_.kd
    .uniform_work_group_size: 1
    .uses_dynamic_stack: false
    .vgpr_count:     0
    .vgpr_spill_count: 0
    .wavefront_size: 64
  - .agpr_count:     0
    .args:
      - .offset:         0
        .size:           120
        .value_kind:     by_value
    .group_segment_fixed_size: 0
    .kernarg_segment_align: 8
    .kernarg_segment_size: 120
    .language:       OpenCL C
    .language_version:
      - 2
      - 0
    .max_flat_workgroup_size: 256
    .name:           _ZN7rocprim17ROCPRIM_400000_NS6detail17trampoline_kernelINS0_14default_configENS1_29reduce_by_key_config_selectorIssN6thrust23THRUST_200600_302600_NS4plusIsEEEEZZNS1_33reduce_by_key_impl_wrapped_configILNS1_25lookback_scan_determinismE0ES3_S9_NS6_6detail15normal_iteratorINS6_10device_ptrIsEEEESG_SG_SG_PmS8_22is_equal_div_10_reduceIsEEE10hipError_tPvRmT2_T3_mT4_T5_T6_T7_T8_P12ihipStream_tbENKUlT_T0_E_clISt17integral_constantIbLb0EES10_IbLb1EEEEDaSW_SX_EUlSW_E_NS1_11comp_targetILNS1_3genE0ELNS1_11target_archE4294967295ELNS1_3gpuE0ELNS1_3repE0EEENS1_30default_config_static_selectorELNS0_4arch9wavefront6targetE1EEEvT1_
    .private_segment_fixed_size: 0
    .sgpr_count:     4
    .sgpr_spill_count: 0
    .symbol:         _ZN7rocprim17ROCPRIM_400000_NS6detail17trampoline_kernelINS0_14default_configENS1_29reduce_by_key_config_selectorIssN6thrust23THRUST_200600_302600_NS4plusIsEEEEZZNS1_33reduce_by_key_impl_wrapped_configILNS1_25lookback_scan_determinismE0ES3_S9_NS6_6detail15normal_iteratorINS6_10device_ptrIsEEEESG_SG_SG_PmS8_22is_equal_div_10_reduceIsEEE10hipError_tPvRmT2_T3_mT4_T5_T6_T7_T8_P12ihipStream_tbENKUlT_T0_E_clISt17integral_constantIbLb0EES10_IbLb1EEEEDaSW_SX_EUlSW_E_NS1_11comp_targetILNS1_3genE0ELNS1_11target_archE4294967295ELNS1_3gpuE0ELNS1_3repE0EEENS1_30default_config_static_selectorELNS0_4arch9wavefront6targetE1EEEvT1_.kd
    .uniform_work_group_size: 1
    .uses_dynamic_stack: false
    .vgpr_count:     0
    .vgpr_spill_count: 0
    .wavefront_size: 64
  - .agpr_count:     0
    .args:
      - .offset:         0
        .size:           120
        .value_kind:     by_value
    .group_segment_fixed_size: 0
    .kernarg_segment_align: 8
    .kernarg_segment_size: 120
    .language:       OpenCL C
    .language_version:
      - 2
      - 0
    .max_flat_workgroup_size: 256
    .name:           _ZN7rocprim17ROCPRIM_400000_NS6detail17trampoline_kernelINS0_14default_configENS1_29reduce_by_key_config_selectorIssN6thrust23THRUST_200600_302600_NS4plusIsEEEEZZNS1_33reduce_by_key_impl_wrapped_configILNS1_25lookback_scan_determinismE0ES3_S9_NS6_6detail15normal_iteratorINS6_10device_ptrIsEEEESG_SG_SG_PmS8_22is_equal_div_10_reduceIsEEE10hipError_tPvRmT2_T3_mT4_T5_T6_T7_T8_P12ihipStream_tbENKUlT_T0_E_clISt17integral_constantIbLb0EES10_IbLb1EEEEDaSW_SX_EUlSW_E_NS1_11comp_targetILNS1_3genE5ELNS1_11target_archE942ELNS1_3gpuE9ELNS1_3repE0EEENS1_30default_config_static_selectorELNS0_4arch9wavefront6targetE1EEEvT1_
    .private_segment_fixed_size: 0
    .sgpr_count:     4
    .sgpr_spill_count: 0
    .symbol:         _ZN7rocprim17ROCPRIM_400000_NS6detail17trampoline_kernelINS0_14default_configENS1_29reduce_by_key_config_selectorIssN6thrust23THRUST_200600_302600_NS4plusIsEEEEZZNS1_33reduce_by_key_impl_wrapped_configILNS1_25lookback_scan_determinismE0ES3_S9_NS6_6detail15normal_iteratorINS6_10device_ptrIsEEEESG_SG_SG_PmS8_22is_equal_div_10_reduceIsEEE10hipError_tPvRmT2_T3_mT4_T5_T6_T7_T8_P12ihipStream_tbENKUlT_T0_E_clISt17integral_constantIbLb0EES10_IbLb1EEEEDaSW_SX_EUlSW_E_NS1_11comp_targetILNS1_3genE5ELNS1_11target_archE942ELNS1_3gpuE9ELNS1_3repE0EEENS1_30default_config_static_selectorELNS0_4arch9wavefront6targetE1EEEvT1_.kd
    .uniform_work_group_size: 1
    .uses_dynamic_stack: false
    .vgpr_count:     0
    .vgpr_spill_count: 0
    .wavefront_size: 64
  - .agpr_count:     0
    .args:
      - .offset:         0
        .size:           120
        .value_kind:     by_value
    .group_segment_fixed_size: 7680
    .kernarg_segment_align: 8
    .kernarg_segment_size: 120
    .language:       OpenCL C
    .language_version:
      - 2
      - 0
    .max_flat_workgroup_size: 256
    .name:           _ZN7rocprim17ROCPRIM_400000_NS6detail17trampoline_kernelINS0_14default_configENS1_29reduce_by_key_config_selectorIssN6thrust23THRUST_200600_302600_NS4plusIsEEEEZZNS1_33reduce_by_key_impl_wrapped_configILNS1_25lookback_scan_determinismE0ES3_S9_NS6_6detail15normal_iteratorINS6_10device_ptrIsEEEESG_SG_SG_PmS8_22is_equal_div_10_reduceIsEEE10hipError_tPvRmT2_T3_mT4_T5_T6_T7_T8_P12ihipStream_tbENKUlT_T0_E_clISt17integral_constantIbLb0EES10_IbLb1EEEEDaSW_SX_EUlSW_E_NS1_11comp_targetILNS1_3genE4ELNS1_11target_archE910ELNS1_3gpuE8ELNS1_3repE0EEENS1_30default_config_static_selectorELNS0_4arch9wavefront6targetE1EEEvT1_
    .private_segment_fixed_size: 0
    .sgpr_count:     70
    .sgpr_spill_count: 0
    .symbol:         _ZN7rocprim17ROCPRIM_400000_NS6detail17trampoline_kernelINS0_14default_configENS1_29reduce_by_key_config_selectorIssN6thrust23THRUST_200600_302600_NS4plusIsEEEEZZNS1_33reduce_by_key_impl_wrapped_configILNS1_25lookback_scan_determinismE0ES3_S9_NS6_6detail15normal_iteratorINS6_10device_ptrIsEEEESG_SG_SG_PmS8_22is_equal_div_10_reduceIsEEE10hipError_tPvRmT2_T3_mT4_T5_T6_T7_T8_P12ihipStream_tbENKUlT_T0_E_clISt17integral_constantIbLb0EES10_IbLb1EEEEDaSW_SX_EUlSW_E_NS1_11comp_targetILNS1_3genE4ELNS1_11target_archE910ELNS1_3gpuE8ELNS1_3repE0EEENS1_30default_config_static_selectorELNS0_4arch9wavefront6targetE1EEEvT1_.kd
    .uniform_work_group_size: 1
    .uses_dynamic_stack: false
    .vgpr_count:     111
    .vgpr_spill_count: 0
    .wavefront_size: 64
  - .agpr_count:     0
    .args:
      - .offset:         0
        .size:           120
        .value_kind:     by_value
    .group_segment_fixed_size: 0
    .kernarg_segment_align: 8
    .kernarg_segment_size: 120
    .language:       OpenCL C
    .language_version:
      - 2
      - 0
    .max_flat_workgroup_size: 256
    .name:           _ZN7rocprim17ROCPRIM_400000_NS6detail17trampoline_kernelINS0_14default_configENS1_29reduce_by_key_config_selectorIssN6thrust23THRUST_200600_302600_NS4plusIsEEEEZZNS1_33reduce_by_key_impl_wrapped_configILNS1_25lookback_scan_determinismE0ES3_S9_NS6_6detail15normal_iteratorINS6_10device_ptrIsEEEESG_SG_SG_PmS8_22is_equal_div_10_reduceIsEEE10hipError_tPvRmT2_T3_mT4_T5_T6_T7_T8_P12ihipStream_tbENKUlT_T0_E_clISt17integral_constantIbLb0EES10_IbLb1EEEEDaSW_SX_EUlSW_E_NS1_11comp_targetILNS1_3genE3ELNS1_11target_archE908ELNS1_3gpuE7ELNS1_3repE0EEENS1_30default_config_static_selectorELNS0_4arch9wavefront6targetE1EEEvT1_
    .private_segment_fixed_size: 0
    .sgpr_count:     4
    .sgpr_spill_count: 0
    .symbol:         _ZN7rocprim17ROCPRIM_400000_NS6detail17trampoline_kernelINS0_14default_configENS1_29reduce_by_key_config_selectorIssN6thrust23THRUST_200600_302600_NS4plusIsEEEEZZNS1_33reduce_by_key_impl_wrapped_configILNS1_25lookback_scan_determinismE0ES3_S9_NS6_6detail15normal_iteratorINS6_10device_ptrIsEEEESG_SG_SG_PmS8_22is_equal_div_10_reduceIsEEE10hipError_tPvRmT2_T3_mT4_T5_T6_T7_T8_P12ihipStream_tbENKUlT_T0_E_clISt17integral_constantIbLb0EES10_IbLb1EEEEDaSW_SX_EUlSW_E_NS1_11comp_targetILNS1_3genE3ELNS1_11target_archE908ELNS1_3gpuE7ELNS1_3repE0EEENS1_30default_config_static_selectorELNS0_4arch9wavefront6targetE1EEEvT1_.kd
    .uniform_work_group_size: 1
    .uses_dynamic_stack: false
    .vgpr_count:     0
    .vgpr_spill_count: 0
    .wavefront_size: 64
  - .agpr_count:     0
    .args:
      - .offset:         0
        .size:           120
        .value_kind:     by_value
    .group_segment_fixed_size: 0
    .kernarg_segment_align: 8
    .kernarg_segment_size: 120
    .language:       OpenCL C
    .language_version:
      - 2
      - 0
    .max_flat_workgroup_size: 256
    .name:           _ZN7rocprim17ROCPRIM_400000_NS6detail17trampoline_kernelINS0_14default_configENS1_29reduce_by_key_config_selectorIssN6thrust23THRUST_200600_302600_NS4plusIsEEEEZZNS1_33reduce_by_key_impl_wrapped_configILNS1_25lookback_scan_determinismE0ES3_S9_NS6_6detail15normal_iteratorINS6_10device_ptrIsEEEESG_SG_SG_PmS8_22is_equal_div_10_reduceIsEEE10hipError_tPvRmT2_T3_mT4_T5_T6_T7_T8_P12ihipStream_tbENKUlT_T0_E_clISt17integral_constantIbLb0EES10_IbLb1EEEEDaSW_SX_EUlSW_E_NS1_11comp_targetILNS1_3genE2ELNS1_11target_archE906ELNS1_3gpuE6ELNS1_3repE0EEENS1_30default_config_static_selectorELNS0_4arch9wavefront6targetE1EEEvT1_
    .private_segment_fixed_size: 0
    .sgpr_count:     4
    .sgpr_spill_count: 0
    .symbol:         _ZN7rocprim17ROCPRIM_400000_NS6detail17trampoline_kernelINS0_14default_configENS1_29reduce_by_key_config_selectorIssN6thrust23THRUST_200600_302600_NS4plusIsEEEEZZNS1_33reduce_by_key_impl_wrapped_configILNS1_25lookback_scan_determinismE0ES3_S9_NS6_6detail15normal_iteratorINS6_10device_ptrIsEEEESG_SG_SG_PmS8_22is_equal_div_10_reduceIsEEE10hipError_tPvRmT2_T3_mT4_T5_T6_T7_T8_P12ihipStream_tbENKUlT_T0_E_clISt17integral_constantIbLb0EES10_IbLb1EEEEDaSW_SX_EUlSW_E_NS1_11comp_targetILNS1_3genE2ELNS1_11target_archE906ELNS1_3gpuE6ELNS1_3repE0EEENS1_30default_config_static_selectorELNS0_4arch9wavefront6targetE1EEEvT1_.kd
    .uniform_work_group_size: 1
    .uses_dynamic_stack: false
    .vgpr_count:     0
    .vgpr_spill_count: 0
    .wavefront_size: 64
  - .agpr_count:     0
    .args:
      - .offset:         0
        .size:           120
        .value_kind:     by_value
    .group_segment_fixed_size: 0
    .kernarg_segment_align: 8
    .kernarg_segment_size: 120
    .language:       OpenCL C
    .language_version:
      - 2
      - 0
    .max_flat_workgroup_size: 256
    .name:           _ZN7rocprim17ROCPRIM_400000_NS6detail17trampoline_kernelINS0_14default_configENS1_29reduce_by_key_config_selectorIssN6thrust23THRUST_200600_302600_NS4plusIsEEEEZZNS1_33reduce_by_key_impl_wrapped_configILNS1_25lookback_scan_determinismE0ES3_S9_NS6_6detail15normal_iteratorINS6_10device_ptrIsEEEESG_SG_SG_PmS8_22is_equal_div_10_reduceIsEEE10hipError_tPvRmT2_T3_mT4_T5_T6_T7_T8_P12ihipStream_tbENKUlT_T0_E_clISt17integral_constantIbLb0EES10_IbLb1EEEEDaSW_SX_EUlSW_E_NS1_11comp_targetILNS1_3genE10ELNS1_11target_archE1201ELNS1_3gpuE5ELNS1_3repE0EEENS1_30default_config_static_selectorELNS0_4arch9wavefront6targetE1EEEvT1_
    .private_segment_fixed_size: 0
    .sgpr_count:     4
    .sgpr_spill_count: 0
    .symbol:         _ZN7rocprim17ROCPRIM_400000_NS6detail17trampoline_kernelINS0_14default_configENS1_29reduce_by_key_config_selectorIssN6thrust23THRUST_200600_302600_NS4plusIsEEEEZZNS1_33reduce_by_key_impl_wrapped_configILNS1_25lookback_scan_determinismE0ES3_S9_NS6_6detail15normal_iteratorINS6_10device_ptrIsEEEESG_SG_SG_PmS8_22is_equal_div_10_reduceIsEEE10hipError_tPvRmT2_T3_mT4_T5_T6_T7_T8_P12ihipStream_tbENKUlT_T0_E_clISt17integral_constantIbLb0EES10_IbLb1EEEEDaSW_SX_EUlSW_E_NS1_11comp_targetILNS1_3genE10ELNS1_11target_archE1201ELNS1_3gpuE5ELNS1_3repE0EEENS1_30default_config_static_selectorELNS0_4arch9wavefront6targetE1EEEvT1_.kd
    .uniform_work_group_size: 1
    .uses_dynamic_stack: false
    .vgpr_count:     0
    .vgpr_spill_count: 0
    .wavefront_size: 64
  - .agpr_count:     0
    .args:
      - .offset:         0
        .size:           120
        .value_kind:     by_value
    .group_segment_fixed_size: 0
    .kernarg_segment_align: 8
    .kernarg_segment_size: 120
    .language:       OpenCL C
    .language_version:
      - 2
      - 0
    .max_flat_workgroup_size: 256
    .name:           _ZN7rocprim17ROCPRIM_400000_NS6detail17trampoline_kernelINS0_14default_configENS1_29reduce_by_key_config_selectorIssN6thrust23THRUST_200600_302600_NS4plusIsEEEEZZNS1_33reduce_by_key_impl_wrapped_configILNS1_25lookback_scan_determinismE0ES3_S9_NS6_6detail15normal_iteratorINS6_10device_ptrIsEEEESG_SG_SG_PmS8_22is_equal_div_10_reduceIsEEE10hipError_tPvRmT2_T3_mT4_T5_T6_T7_T8_P12ihipStream_tbENKUlT_T0_E_clISt17integral_constantIbLb0EES10_IbLb1EEEEDaSW_SX_EUlSW_E_NS1_11comp_targetILNS1_3genE10ELNS1_11target_archE1200ELNS1_3gpuE4ELNS1_3repE0EEENS1_30default_config_static_selectorELNS0_4arch9wavefront6targetE1EEEvT1_
    .private_segment_fixed_size: 0
    .sgpr_count:     4
    .sgpr_spill_count: 0
    .symbol:         _ZN7rocprim17ROCPRIM_400000_NS6detail17trampoline_kernelINS0_14default_configENS1_29reduce_by_key_config_selectorIssN6thrust23THRUST_200600_302600_NS4plusIsEEEEZZNS1_33reduce_by_key_impl_wrapped_configILNS1_25lookback_scan_determinismE0ES3_S9_NS6_6detail15normal_iteratorINS6_10device_ptrIsEEEESG_SG_SG_PmS8_22is_equal_div_10_reduceIsEEE10hipError_tPvRmT2_T3_mT4_T5_T6_T7_T8_P12ihipStream_tbENKUlT_T0_E_clISt17integral_constantIbLb0EES10_IbLb1EEEEDaSW_SX_EUlSW_E_NS1_11comp_targetILNS1_3genE10ELNS1_11target_archE1200ELNS1_3gpuE4ELNS1_3repE0EEENS1_30default_config_static_selectorELNS0_4arch9wavefront6targetE1EEEvT1_.kd
    .uniform_work_group_size: 1
    .uses_dynamic_stack: false
    .vgpr_count:     0
    .vgpr_spill_count: 0
    .wavefront_size: 64
  - .agpr_count:     0
    .args:
      - .offset:         0
        .size:           120
        .value_kind:     by_value
    .group_segment_fixed_size: 0
    .kernarg_segment_align: 8
    .kernarg_segment_size: 120
    .language:       OpenCL C
    .language_version:
      - 2
      - 0
    .max_flat_workgroup_size: 256
    .name:           _ZN7rocprim17ROCPRIM_400000_NS6detail17trampoline_kernelINS0_14default_configENS1_29reduce_by_key_config_selectorIssN6thrust23THRUST_200600_302600_NS4plusIsEEEEZZNS1_33reduce_by_key_impl_wrapped_configILNS1_25lookback_scan_determinismE0ES3_S9_NS6_6detail15normal_iteratorINS6_10device_ptrIsEEEESG_SG_SG_PmS8_22is_equal_div_10_reduceIsEEE10hipError_tPvRmT2_T3_mT4_T5_T6_T7_T8_P12ihipStream_tbENKUlT_T0_E_clISt17integral_constantIbLb0EES10_IbLb1EEEEDaSW_SX_EUlSW_E_NS1_11comp_targetILNS1_3genE9ELNS1_11target_archE1100ELNS1_3gpuE3ELNS1_3repE0EEENS1_30default_config_static_selectorELNS0_4arch9wavefront6targetE1EEEvT1_
    .private_segment_fixed_size: 0
    .sgpr_count:     4
    .sgpr_spill_count: 0
    .symbol:         _ZN7rocprim17ROCPRIM_400000_NS6detail17trampoline_kernelINS0_14default_configENS1_29reduce_by_key_config_selectorIssN6thrust23THRUST_200600_302600_NS4plusIsEEEEZZNS1_33reduce_by_key_impl_wrapped_configILNS1_25lookback_scan_determinismE0ES3_S9_NS6_6detail15normal_iteratorINS6_10device_ptrIsEEEESG_SG_SG_PmS8_22is_equal_div_10_reduceIsEEE10hipError_tPvRmT2_T3_mT4_T5_T6_T7_T8_P12ihipStream_tbENKUlT_T0_E_clISt17integral_constantIbLb0EES10_IbLb1EEEEDaSW_SX_EUlSW_E_NS1_11comp_targetILNS1_3genE9ELNS1_11target_archE1100ELNS1_3gpuE3ELNS1_3repE0EEENS1_30default_config_static_selectorELNS0_4arch9wavefront6targetE1EEEvT1_.kd
    .uniform_work_group_size: 1
    .uses_dynamic_stack: false
    .vgpr_count:     0
    .vgpr_spill_count: 0
    .wavefront_size: 64
  - .agpr_count:     0
    .args:
      - .offset:         0
        .size:           120
        .value_kind:     by_value
    .group_segment_fixed_size: 0
    .kernarg_segment_align: 8
    .kernarg_segment_size: 120
    .language:       OpenCL C
    .language_version:
      - 2
      - 0
    .max_flat_workgroup_size: 256
    .name:           _ZN7rocprim17ROCPRIM_400000_NS6detail17trampoline_kernelINS0_14default_configENS1_29reduce_by_key_config_selectorIssN6thrust23THRUST_200600_302600_NS4plusIsEEEEZZNS1_33reduce_by_key_impl_wrapped_configILNS1_25lookback_scan_determinismE0ES3_S9_NS6_6detail15normal_iteratorINS6_10device_ptrIsEEEESG_SG_SG_PmS8_22is_equal_div_10_reduceIsEEE10hipError_tPvRmT2_T3_mT4_T5_T6_T7_T8_P12ihipStream_tbENKUlT_T0_E_clISt17integral_constantIbLb0EES10_IbLb1EEEEDaSW_SX_EUlSW_E_NS1_11comp_targetILNS1_3genE8ELNS1_11target_archE1030ELNS1_3gpuE2ELNS1_3repE0EEENS1_30default_config_static_selectorELNS0_4arch9wavefront6targetE1EEEvT1_
    .private_segment_fixed_size: 0
    .sgpr_count:     4
    .sgpr_spill_count: 0
    .symbol:         _ZN7rocprim17ROCPRIM_400000_NS6detail17trampoline_kernelINS0_14default_configENS1_29reduce_by_key_config_selectorIssN6thrust23THRUST_200600_302600_NS4plusIsEEEEZZNS1_33reduce_by_key_impl_wrapped_configILNS1_25lookback_scan_determinismE0ES3_S9_NS6_6detail15normal_iteratorINS6_10device_ptrIsEEEESG_SG_SG_PmS8_22is_equal_div_10_reduceIsEEE10hipError_tPvRmT2_T3_mT4_T5_T6_T7_T8_P12ihipStream_tbENKUlT_T0_E_clISt17integral_constantIbLb0EES10_IbLb1EEEEDaSW_SX_EUlSW_E_NS1_11comp_targetILNS1_3genE8ELNS1_11target_archE1030ELNS1_3gpuE2ELNS1_3repE0EEENS1_30default_config_static_selectorELNS0_4arch9wavefront6targetE1EEEvT1_.kd
    .uniform_work_group_size: 1
    .uses_dynamic_stack: false
    .vgpr_count:     0
    .vgpr_spill_count: 0
    .wavefront_size: 64
  - .agpr_count:     0
    .args:
      - .offset:         0
        .size:           120
        .value_kind:     by_value
    .group_segment_fixed_size: 0
    .kernarg_segment_align: 8
    .kernarg_segment_size: 120
    .language:       OpenCL C
    .language_version:
      - 2
      - 0
    .max_flat_workgroup_size: 256
    .name:           _ZN7rocprim17ROCPRIM_400000_NS6detail17trampoline_kernelINS0_14default_configENS1_29reduce_by_key_config_selectorIyjN6thrust23THRUST_200600_302600_NS4plusIjEEEEZZNS1_33reduce_by_key_impl_wrapped_configILNS1_25lookback_scan_determinismE0ES3_S9_NS6_6detail15normal_iteratorINS6_10device_ptrIyEEEENSD_INSE_IjEEEESG_SI_PmS8_NS6_8equal_toIyEEEE10hipError_tPvRmT2_T3_mT4_T5_T6_T7_T8_P12ihipStream_tbENKUlT_T0_E_clISt17integral_constantIbLb0EES13_EEDaSY_SZ_EUlSY_E_NS1_11comp_targetILNS1_3genE0ELNS1_11target_archE4294967295ELNS1_3gpuE0ELNS1_3repE0EEENS1_30default_config_static_selectorELNS0_4arch9wavefront6targetE1EEEvT1_
    .private_segment_fixed_size: 0
    .sgpr_count:     4
    .sgpr_spill_count: 0
    .symbol:         _ZN7rocprim17ROCPRIM_400000_NS6detail17trampoline_kernelINS0_14default_configENS1_29reduce_by_key_config_selectorIyjN6thrust23THRUST_200600_302600_NS4plusIjEEEEZZNS1_33reduce_by_key_impl_wrapped_configILNS1_25lookback_scan_determinismE0ES3_S9_NS6_6detail15normal_iteratorINS6_10device_ptrIyEEEENSD_INSE_IjEEEESG_SI_PmS8_NS6_8equal_toIyEEEE10hipError_tPvRmT2_T3_mT4_T5_T6_T7_T8_P12ihipStream_tbENKUlT_T0_E_clISt17integral_constantIbLb0EES13_EEDaSY_SZ_EUlSY_E_NS1_11comp_targetILNS1_3genE0ELNS1_11target_archE4294967295ELNS1_3gpuE0ELNS1_3repE0EEENS1_30default_config_static_selectorELNS0_4arch9wavefront6targetE1EEEvT1_.kd
    .uniform_work_group_size: 1
    .uses_dynamic_stack: false
    .vgpr_count:     0
    .vgpr_spill_count: 0
    .wavefront_size: 64
  - .agpr_count:     0
    .args:
      - .offset:         0
        .size:           120
        .value_kind:     by_value
    .group_segment_fixed_size: 0
    .kernarg_segment_align: 8
    .kernarg_segment_size: 120
    .language:       OpenCL C
    .language_version:
      - 2
      - 0
    .max_flat_workgroup_size: 256
    .name:           _ZN7rocprim17ROCPRIM_400000_NS6detail17trampoline_kernelINS0_14default_configENS1_29reduce_by_key_config_selectorIyjN6thrust23THRUST_200600_302600_NS4plusIjEEEEZZNS1_33reduce_by_key_impl_wrapped_configILNS1_25lookback_scan_determinismE0ES3_S9_NS6_6detail15normal_iteratorINS6_10device_ptrIyEEEENSD_INSE_IjEEEESG_SI_PmS8_NS6_8equal_toIyEEEE10hipError_tPvRmT2_T3_mT4_T5_T6_T7_T8_P12ihipStream_tbENKUlT_T0_E_clISt17integral_constantIbLb0EES13_EEDaSY_SZ_EUlSY_E_NS1_11comp_targetILNS1_3genE5ELNS1_11target_archE942ELNS1_3gpuE9ELNS1_3repE0EEENS1_30default_config_static_selectorELNS0_4arch9wavefront6targetE1EEEvT1_
    .private_segment_fixed_size: 0
    .sgpr_count:     4
    .sgpr_spill_count: 0
    .symbol:         _ZN7rocprim17ROCPRIM_400000_NS6detail17trampoline_kernelINS0_14default_configENS1_29reduce_by_key_config_selectorIyjN6thrust23THRUST_200600_302600_NS4plusIjEEEEZZNS1_33reduce_by_key_impl_wrapped_configILNS1_25lookback_scan_determinismE0ES3_S9_NS6_6detail15normal_iteratorINS6_10device_ptrIyEEEENSD_INSE_IjEEEESG_SI_PmS8_NS6_8equal_toIyEEEE10hipError_tPvRmT2_T3_mT4_T5_T6_T7_T8_P12ihipStream_tbENKUlT_T0_E_clISt17integral_constantIbLb0EES13_EEDaSY_SZ_EUlSY_E_NS1_11comp_targetILNS1_3genE5ELNS1_11target_archE942ELNS1_3gpuE9ELNS1_3repE0EEENS1_30default_config_static_selectorELNS0_4arch9wavefront6targetE1EEEvT1_.kd
    .uniform_work_group_size: 1
    .uses_dynamic_stack: false
    .vgpr_count:     0
    .vgpr_spill_count: 0
    .wavefront_size: 64
  - .agpr_count:     0
    .args:
      - .offset:         0
        .size:           120
        .value_kind:     by_value
    .group_segment_fixed_size: 30720
    .kernarg_segment_align: 8
    .kernarg_segment_size: 120
    .language:       OpenCL C
    .language_version:
      - 2
      - 0
    .max_flat_workgroup_size: 256
    .name:           _ZN7rocprim17ROCPRIM_400000_NS6detail17trampoline_kernelINS0_14default_configENS1_29reduce_by_key_config_selectorIyjN6thrust23THRUST_200600_302600_NS4plusIjEEEEZZNS1_33reduce_by_key_impl_wrapped_configILNS1_25lookback_scan_determinismE0ES3_S9_NS6_6detail15normal_iteratorINS6_10device_ptrIyEEEENSD_INSE_IjEEEESG_SI_PmS8_NS6_8equal_toIyEEEE10hipError_tPvRmT2_T3_mT4_T5_T6_T7_T8_P12ihipStream_tbENKUlT_T0_E_clISt17integral_constantIbLb0EES13_EEDaSY_SZ_EUlSY_E_NS1_11comp_targetILNS1_3genE4ELNS1_11target_archE910ELNS1_3gpuE8ELNS1_3repE0EEENS1_30default_config_static_selectorELNS0_4arch9wavefront6targetE1EEEvT1_
    .private_segment_fixed_size: 0
    .sgpr_count:     68
    .sgpr_spill_count: 0
    .symbol:         _ZN7rocprim17ROCPRIM_400000_NS6detail17trampoline_kernelINS0_14default_configENS1_29reduce_by_key_config_selectorIyjN6thrust23THRUST_200600_302600_NS4plusIjEEEEZZNS1_33reduce_by_key_impl_wrapped_configILNS1_25lookback_scan_determinismE0ES3_S9_NS6_6detail15normal_iteratorINS6_10device_ptrIyEEEENSD_INSE_IjEEEESG_SI_PmS8_NS6_8equal_toIyEEEE10hipError_tPvRmT2_T3_mT4_T5_T6_T7_T8_P12ihipStream_tbENKUlT_T0_E_clISt17integral_constantIbLb0EES13_EEDaSY_SZ_EUlSY_E_NS1_11comp_targetILNS1_3genE4ELNS1_11target_archE910ELNS1_3gpuE8ELNS1_3repE0EEENS1_30default_config_static_selectorELNS0_4arch9wavefront6targetE1EEEvT1_.kd
    .uniform_work_group_size: 1
    .uses_dynamic_stack: false
    .vgpr_count:     102
    .vgpr_spill_count: 0
    .wavefront_size: 64
  - .agpr_count:     0
    .args:
      - .offset:         0
        .size:           120
        .value_kind:     by_value
    .group_segment_fixed_size: 0
    .kernarg_segment_align: 8
    .kernarg_segment_size: 120
    .language:       OpenCL C
    .language_version:
      - 2
      - 0
    .max_flat_workgroup_size: 256
    .name:           _ZN7rocprim17ROCPRIM_400000_NS6detail17trampoline_kernelINS0_14default_configENS1_29reduce_by_key_config_selectorIyjN6thrust23THRUST_200600_302600_NS4plusIjEEEEZZNS1_33reduce_by_key_impl_wrapped_configILNS1_25lookback_scan_determinismE0ES3_S9_NS6_6detail15normal_iteratorINS6_10device_ptrIyEEEENSD_INSE_IjEEEESG_SI_PmS8_NS6_8equal_toIyEEEE10hipError_tPvRmT2_T3_mT4_T5_T6_T7_T8_P12ihipStream_tbENKUlT_T0_E_clISt17integral_constantIbLb0EES13_EEDaSY_SZ_EUlSY_E_NS1_11comp_targetILNS1_3genE3ELNS1_11target_archE908ELNS1_3gpuE7ELNS1_3repE0EEENS1_30default_config_static_selectorELNS0_4arch9wavefront6targetE1EEEvT1_
    .private_segment_fixed_size: 0
    .sgpr_count:     4
    .sgpr_spill_count: 0
    .symbol:         _ZN7rocprim17ROCPRIM_400000_NS6detail17trampoline_kernelINS0_14default_configENS1_29reduce_by_key_config_selectorIyjN6thrust23THRUST_200600_302600_NS4plusIjEEEEZZNS1_33reduce_by_key_impl_wrapped_configILNS1_25lookback_scan_determinismE0ES3_S9_NS6_6detail15normal_iteratorINS6_10device_ptrIyEEEENSD_INSE_IjEEEESG_SI_PmS8_NS6_8equal_toIyEEEE10hipError_tPvRmT2_T3_mT4_T5_T6_T7_T8_P12ihipStream_tbENKUlT_T0_E_clISt17integral_constantIbLb0EES13_EEDaSY_SZ_EUlSY_E_NS1_11comp_targetILNS1_3genE3ELNS1_11target_archE908ELNS1_3gpuE7ELNS1_3repE0EEENS1_30default_config_static_selectorELNS0_4arch9wavefront6targetE1EEEvT1_.kd
    .uniform_work_group_size: 1
    .uses_dynamic_stack: false
    .vgpr_count:     0
    .vgpr_spill_count: 0
    .wavefront_size: 64
  - .agpr_count:     0
    .args:
      - .offset:         0
        .size:           120
        .value_kind:     by_value
    .group_segment_fixed_size: 0
    .kernarg_segment_align: 8
    .kernarg_segment_size: 120
    .language:       OpenCL C
    .language_version:
      - 2
      - 0
    .max_flat_workgroup_size: 256
    .name:           _ZN7rocprim17ROCPRIM_400000_NS6detail17trampoline_kernelINS0_14default_configENS1_29reduce_by_key_config_selectorIyjN6thrust23THRUST_200600_302600_NS4plusIjEEEEZZNS1_33reduce_by_key_impl_wrapped_configILNS1_25lookback_scan_determinismE0ES3_S9_NS6_6detail15normal_iteratorINS6_10device_ptrIyEEEENSD_INSE_IjEEEESG_SI_PmS8_NS6_8equal_toIyEEEE10hipError_tPvRmT2_T3_mT4_T5_T6_T7_T8_P12ihipStream_tbENKUlT_T0_E_clISt17integral_constantIbLb0EES13_EEDaSY_SZ_EUlSY_E_NS1_11comp_targetILNS1_3genE2ELNS1_11target_archE906ELNS1_3gpuE6ELNS1_3repE0EEENS1_30default_config_static_selectorELNS0_4arch9wavefront6targetE1EEEvT1_
    .private_segment_fixed_size: 0
    .sgpr_count:     4
    .sgpr_spill_count: 0
    .symbol:         _ZN7rocprim17ROCPRIM_400000_NS6detail17trampoline_kernelINS0_14default_configENS1_29reduce_by_key_config_selectorIyjN6thrust23THRUST_200600_302600_NS4plusIjEEEEZZNS1_33reduce_by_key_impl_wrapped_configILNS1_25lookback_scan_determinismE0ES3_S9_NS6_6detail15normal_iteratorINS6_10device_ptrIyEEEENSD_INSE_IjEEEESG_SI_PmS8_NS6_8equal_toIyEEEE10hipError_tPvRmT2_T3_mT4_T5_T6_T7_T8_P12ihipStream_tbENKUlT_T0_E_clISt17integral_constantIbLb0EES13_EEDaSY_SZ_EUlSY_E_NS1_11comp_targetILNS1_3genE2ELNS1_11target_archE906ELNS1_3gpuE6ELNS1_3repE0EEENS1_30default_config_static_selectorELNS0_4arch9wavefront6targetE1EEEvT1_.kd
    .uniform_work_group_size: 1
    .uses_dynamic_stack: false
    .vgpr_count:     0
    .vgpr_spill_count: 0
    .wavefront_size: 64
  - .agpr_count:     0
    .args:
      - .offset:         0
        .size:           120
        .value_kind:     by_value
    .group_segment_fixed_size: 0
    .kernarg_segment_align: 8
    .kernarg_segment_size: 120
    .language:       OpenCL C
    .language_version:
      - 2
      - 0
    .max_flat_workgroup_size: 256
    .name:           _ZN7rocprim17ROCPRIM_400000_NS6detail17trampoline_kernelINS0_14default_configENS1_29reduce_by_key_config_selectorIyjN6thrust23THRUST_200600_302600_NS4plusIjEEEEZZNS1_33reduce_by_key_impl_wrapped_configILNS1_25lookback_scan_determinismE0ES3_S9_NS6_6detail15normal_iteratorINS6_10device_ptrIyEEEENSD_INSE_IjEEEESG_SI_PmS8_NS6_8equal_toIyEEEE10hipError_tPvRmT2_T3_mT4_T5_T6_T7_T8_P12ihipStream_tbENKUlT_T0_E_clISt17integral_constantIbLb0EES13_EEDaSY_SZ_EUlSY_E_NS1_11comp_targetILNS1_3genE10ELNS1_11target_archE1201ELNS1_3gpuE5ELNS1_3repE0EEENS1_30default_config_static_selectorELNS0_4arch9wavefront6targetE1EEEvT1_
    .private_segment_fixed_size: 0
    .sgpr_count:     4
    .sgpr_spill_count: 0
    .symbol:         _ZN7rocprim17ROCPRIM_400000_NS6detail17trampoline_kernelINS0_14default_configENS1_29reduce_by_key_config_selectorIyjN6thrust23THRUST_200600_302600_NS4plusIjEEEEZZNS1_33reduce_by_key_impl_wrapped_configILNS1_25lookback_scan_determinismE0ES3_S9_NS6_6detail15normal_iteratorINS6_10device_ptrIyEEEENSD_INSE_IjEEEESG_SI_PmS8_NS6_8equal_toIyEEEE10hipError_tPvRmT2_T3_mT4_T5_T6_T7_T8_P12ihipStream_tbENKUlT_T0_E_clISt17integral_constantIbLb0EES13_EEDaSY_SZ_EUlSY_E_NS1_11comp_targetILNS1_3genE10ELNS1_11target_archE1201ELNS1_3gpuE5ELNS1_3repE0EEENS1_30default_config_static_selectorELNS0_4arch9wavefront6targetE1EEEvT1_.kd
    .uniform_work_group_size: 1
    .uses_dynamic_stack: false
    .vgpr_count:     0
    .vgpr_spill_count: 0
    .wavefront_size: 64
  - .agpr_count:     0
    .args:
      - .offset:         0
        .size:           120
        .value_kind:     by_value
    .group_segment_fixed_size: 0
    .kernarg_segment_align: 8
    .kernarg_segment_size: 120
    .language:       OpenCL C
    .language_version:
      - 2
      - 0
    .max_flat_workgroup_size: 256
    .name:           _ZN7rocprim17ROCPRIM_400000_NS6detail17trampoline_kernelINS0_14default_configENS1_29reduce_by_key_config_selectorIyjN6thrust23THRUST_200600_302600_NS4plusIjEEEEZZNS1_33reduce_by_key_impl_wrapped_configILNS1_25lookback_scan_determinismE0ES3_S9_NS6_6detail15normal_iteratorINS6_10device_ptrIyEEEENSD_INSE_IjEEEESG_SI_PmS8_NS6_8equal_toIyEEEE10hipError_tPvRmT2_T3_mT4_T5_T6_T7_T8_P12ihipStream_tbENKUlT_T0_E_clISt17integral_constantIbLb0EES13_EEDaSY_SZ_EUlSY_E_NS1_11comp_targetILNS1_3genE10ELNS1_11target_archE1200ELNS1_3gpuE4ELNS1_3repE0EEENS1_30default_config_static_selectorELNS0_4arch9wavefront6targetE1EEEvT1_
    .private_segment_fixed_size: 0
    .sgpr_count:     4
    .sgpr_spill_count: 0
    .symbol:         _ZN7rocprim17ROCPRIM_400000_NS6detail17trampoline_kernelINS0_14default_configENS1_29reduce_by_key_config_selectorIyjN6thrust23THRUST_200600_302600_NS4plusIjEEEEZZNS1_33reduce_by_key_impl_wrapped_configILNS1_25lookback_scan_determinismE0ES3_S9_NS6_6detail15normal_iteratorINS6_10device_ptrIyEEEENSD_INSE_IjEEEESG_SI_PmS8_NS6_8equal_toIyEEEE10hipError_tPvRmT2_T3_mT4_T5_T6_T7_T8_P12ihipStream_tbENKUlT_T0_E_clISt17integral_constantIbLb0EES13_EEDaSY_SZ_EUlSY_E_NS1_11comp_targetILNS1_3genE10ELNS1_11target_archE1200ELNS1_3gpuE4ELNS1_3repE0EEENS1_30default_config_static_selectorELNS0_4arch9wavefront6targetE1EEEvT1_.kd
    .uniform_work_group_size: 1
    .uses_dynamic_stack: false
    .vgpr_count:     0
    .vgpr_spill_count: 0
    .wavefront_size: 64
  - .agpr_count:     0
    .args:
      - .offset:         0
        .size:           120
        .value_kind:     by_value
    .group_segment_fixed_size: 0
    .kernarg_segment_align: 8
    .kernarg_segment_size: 120
    .language:       OpenCL C
    .language_version:
      - 2
      - 0
    .max_flat_workgroup_size: 256
    .name:           _ZN7rocprim17ROCPRIM_400000_NS6detail17trampoline_kernelINS0_14default_configENS1_29reduce_by_key_config_selectorIyjN6thrust23THRUST_200600_302600_NS4plusIjEEEEZZNS1_33reduce_by_key_impl_wrapped_configILNS1_25lookback_scan_determinismE0ES3_S9_NS6_6detail15normal_iteratorINS6_10device_ptrIyEEEENSD_INSE_IjEEEESG_SI_PmS8_NS6_8equal_toIyEEEE10hipError_tPvRmT2_T3_mT4_T5_T6_T7_T8_P12ihipStream_tbENKUlT_T0_E_clISt17integral_constantIbLb0EES13_EEDaSY_SZ_EUlSY_E_NS1_11comp_targetILNS1_3genE9ELNS1_11target_archE1100ELNS1_3gpuE3ELNS1_3repE0EEENS1_30default_config_static_selectorELNS0_4arch9wavefront6targetE1EEEvT1_
    .private_segment_fixed_size: 0
    .sgpr_count:     4
    .sgpr_spill_count: 0
    .symbol:         _ZN7rocprim17ROCPRIM_400000_NS6detail17trampoline_kernelINS0_14default_configENS1_29reduce_by_key_config_selectorIyjN6thrust23THRUST_200600_302600_NS4plusIjEEEEZZNS1_33reduce_by_key_impl_wrapped_configILNS1_25lookback_scan_determinismE0ES3_S9_NS6_6detail15normal_iteratorINS6_10device_ptrIyEEEENSD_INSE_IjEEEESG_SI_PmS8_NS6_8equal_toIyEEEE10hipError_tPvRmT2_T3_mT4_T5_T6_T7_T8_P12ihipStream_tbENKUlT_T0_E_clISt17integral_constantIbLb0EES13_EEDaSY_SZ_EUlSY_E_NS1_11comp_targetILNS1_3genE9ELNS1_11target_archE1100ELNS1_3gpuE3ELNS1_3repE0EEENS1_30default_config_static_selectorELNS0_4arch9wavefront6targetE1EEEvT1_.kd
    .uniform_work_group_size: 1
    .uses_dynamic_stack: false
    .vgpr_count:     0
    .vgpr_spill_count: 0
    .wavefront_size: 64
  - .agpr_count:     0
    .args:
      - .offset:         0
        .size:           120
        .value_kind:     by_value
    .group_segment_fixed_size: 0
    .kernarg_segment_align: 8
    .kernarg_segment_size: 120
    .language:       OpenCL C
    .language_version:
      - 2
      - 0
    .max_flat_workgroup_size: 256
    .name:           _ZN7rocprim17ROCPRIM_400000_NS6detail17trampoline_kernelINS0_14default_configENS1_29reduce_by_key_config_selectorIyjN6thrust23THRUST_200600_302600_NS4plusIjEEEEZZNS1_33reduce_by_key_impl_wrapped_configILNS1_25lookback_scan_determinismE0ES3_S9_NS6_6detail15normal_iteratorINS6_10device_ptrIyEEEENSD_INSE_IjEEEESG_SI_PmS8_NS6_8equal_toIyEEEE10hipError_tPvRmT2_T3_mT4_T5_T6_T7_T8_P12ihipStream_tbENKUlT_T0_E_clISt17integral_constantIbLb0EES13_EEDaSY_SZ_EUlSY_E_NS1_11comp_targetILNS1_3genE8ELNS1_11target_archE1030ELNS1_3gpuE2ELNS1_3repE0EEENS1_30default_config_static_selectorELNS0_4arch9wavefront6targetE1EEEvT1_
    .private_segment_fixed_size: 0
    .sgpr_count:     4
    .sgpr_spill_count: 0
    .symbol:         _ZN7rocprim17ROCPRIM_400000_NS6detail17trampoline_kernelINS0_14default_configENS1_29reduce_by_key_config_selectorIyjN6thrust23THRUST_200600_302600_NS4plusIjEEEEZZNS1_33reduce_by_key_impl_wrapped_configILNS1_25lookback_scan_determinismE0ES3_S9_NS6_6detail15normal_iteratorINS6_10device_ptrIyEEEENSD_INSE_IjEEEESG_SI_PmS8_NS6_8equal_toIyEEEE10hipError_tPvRmT2_T3_mT4_T5_T6_T7_T8_P12ihipStream_tbENKUlT_T0_E_clISt17integral_constantIbLb0EES13_EEDaSY_SZ_EUlSY_E_NS1_11comp_targetILNS1_3genE8ELNS1_11target_archE1030ELNS1_3gpuE2ELNS1_3repE0EEENS1_30default_config_static_selectorELNS0_4arch9wavefront6targetE1EEEvT1_.kd
    .uniform_work_group_size: 1
    .uses_dynamic_stack: false
    .vgpr_count:     0
    .vgpr_spill_count: 0
    .wavefront_size: 64
  - .agpr_count:     0
    .args:
      - .offset:         0
        .size:           120
        .value_kind:     by_value
    .group_segment_fixed_size: 0
    .kernarg_segment_align: 8
    .kernarg_segment_size: 120
    .language:       OpenCL C
    .language_version:
      - 2
      - 0
    .max_flat_workgroup_size: 256
    .name:           _ZN7rocprim17ROCPRIM_400000_NS6detail17trampoline_kernelINS0_14default_configENS1_29reduce_by_key_config_selectorIyjN6thrust23THRUST_200600_302600_NS4plusIjEEEEZZNS1_33reduce_by_key_impl_wrapped_configILNS1_25lookback_scan_determinismE0ES3_S9_NS6_6detail15normal_iteratorINS6_10device_ptrIyEEEENSD_INSE_IjEEEESG_SI_PmS8_NS6_8equal_toIyEEEE10hipError_tPvRmT2_T3_mT4_T5_T6_T7_T8_P12ihipStream_tbENKUlT_T0_E_clISt17integral_constantIbLb1EES13_EEDaSY_SZ_EUlSY_E_NS1_11comp_targetILNS1_3genE0ELNS1_11target_archE4294967295ELNS1_3gpuE0ELNS1_3repE0EEENS1_30default_config_static_selectorELNS0_4arch9wavefront6targetE1EEEvT1_
    .private_segment_fixed_size: 0
    .sgpr_count:     4
    .sgpr_spill_count: 0
    .symbol:         _ZN7rocprim17ROCPRIM_400000_NS6detail17trampoline_kernelINS0_14default_configENS1_29reduce_by_key_config_selectorIyjN6thrust23THRUST_200600_302600_NS4plusIjEEEEZZNS1_33reduce_by_key_impl_wrapped_configILNS1_25lookback_scan_determinismE0ES3_S9_NS6_6detail15normal_iteratorINS6_10device_ptrIyEEEENSD_INSE_IjEEEESG_SI_PmS8_NS6_8equal_toIyEEEE10hipError_tPvRmT2_T3_mT4_T5_T6_T7_T8_P12ihipStream_tbENKUlT_T0_E_clISt17integral_constantIbLb1EES13_EEDaSY_SZ_EUlSY_E_NS1_11comp_targetILNS1_3genE0ELNS1_11target_archE4294967295ELNS1_3gpuE0ELNS1_3repE0EEENS1_30default_config_static_selectorELNS0_4arch9wavefront6targetE1EEEvT1_.kd
    .uniform_work_group_size: 1
    .uses_dynamic_stack: false
    .vgpr_count:     0
    .vgpr_spill_count: 0
    .wavefront_size: 64
  - .agpr_count:     0
    .args:
      - .offset:         0
        .size:           120
        .value_kind:     by_value
    .group_segment_fixed_size: 0
    .kernarg_segment_align: 8
    .kernarg_segment_size: 120
    .language:       OpenCL C
    .language_version:
      - 2
      - 0
    .max_flat_workgroup_size: 256
    .name:           _ZN7rocprim17ROCPRIM_400000_NS6detail17trampoline_kernelINS0_14default_configENS1_29reduce_by_key_config_selectorIyjN6thrust23THRUST_200600_302600_NS4plusIjEEEEZZNS1_33reduce_by_key_impl_wrapped_configILNS1_25lookback_scan_determinismE0ES3_S9_NS6_6detail15normal_iteratorINS6_10device_ptrIyEEEENSD_INSE_IjEEEESG_SI_PmS8_NS6_8equal_toIyEEEE10hipError_tPvRmT2_T3_mT4_T5_T6_T7_T8_P12ihipStream_tbENKUlT_T0_E_clISt17integral_constantIbLb1EES13_EEDaSY_SZ_EUlSY_E_NS1_11comp_targetILNS1_3genE5ELNS1_11target_archE942ELNS1_3gpuE9ELNS1_3repE0EEENS1_30default_config_static_selectorELNS0_4arch9wavefront6targetE1EEEvT1_
    .private_segment_fixed_size: 0
    .sgpr_count:     4
    .sgpr_spill_count: 0
    .symbol:         _ZN7rocprim17ROCPRIM_400000_NS6detail17trampoline_kernelINS0_14default_configENS1_29reduce_by_key_config_selectorIyjN6thrust23THRUST_200600_302600_NS4plusIjEEEEZZNS1_33reduce_by_key_impl_wrapped_configILNS1_25lookback_scan_determinismE0ES3_S9_NS6_6detail15normal_iteratorINS6_10device_ptrIyEEEENSD_INSE_IjEEEESG_SI_PmS8_NS6_8equal_toIyEEEE10hipError_tPvRmT2_T3_mT4_T5_T6_T7_T8_P12ihipStream_tbENKUlT_T0_E_clISt17integral_constantIbLb1EES13_EEDaSY_SZ_EUlSY_E_NS1_11comp_targetILNS1_3genE5ELNS1_11target_archE942ELNS1_3gpuE9ELNS1_3repE0EEENS1_30default_config_static_selectorELNS0_4arch9wavefront6targetE1EEEvT1_.kd
    .uniform_work_group_size: 1
    .uses_dynamic_stack: false
    .vgpr_count:     0
    .vgpr_spill_count: 0
    .wavefront_size: 64
  - .agpr_count:     0
    .args:
      - .offset:         0
        .size:           120
        .value_kind:     by_value
    .group_segment_fixed_size: 30720
    .kernarg_segment_align: 8
    .kernarg_segment_size: 120
    .language:       OpenCL C
    .language_version:
      - 2
      - 0
    .max_flat_workgroup_size: 256
    .name:           _ZN7rocprim17ROCPRIM_400000_NS6detail17trampoline_kernelINS0_14default_configENS1_29reduce_by_key_config_selectorIyjN6thrust23THRUST_200600_302600_NS4plusIjEEEEZZNS1_33reduce_by_key_impl_wrapped_configILNS1_25lookback_scan_determinismE0ES3_S9_NS6_6detail15normal_iteratorINS6_10device_ptrIyEEEENSD_INSE_IjEEEESG_SI_PmS8_NS6_8equal_toIyEEEE10hipError_tPvRmT2_T3_mT4_T5_T6_T7_T8_P12ihipStream_tbENKUlT_T0_E_clISt17integral_constantIbLb1EES13_EEDaSY_SZ_EUlSY_E_NS1_11comp_targetILNS1_3genE4ELNS1_11target_archE910ELNS1_3gpuE8ELNS1_3repE0EEENS1_30default_config_static_selectorELNS0_4arch9wavefront6targetE1EEEvT1_
    .private_segment_fixed_size: 0
    .sgpr_count:     70
    .sgpr_spill_count: 0
    .symbol:         _ZN7rocprim17ROCPRIM_400000_NS6detail17trampoline_kernelINS0_14default_configENS1_29reduce_by_key_config_selectorIyjN6thrust23THRUST_200600_302600_NS4plusIjEEEEZZNS1_33reduce_by_key_impl_wrapped_configILNS1_25lookback_scan_determinismE0ES3_S9_NS6_6detail15normal_iteratorINS6_10device_ptrIyEEEENSD_INSE_IjEEEESG_SI_PmS8_NS6_8equal_toIyEEEE10hipError_tPvRmT2_T3_mT4_T5_T6_T7_T8_P12ihipStream_tbENKUlT_T0_E_clISt17integral_constantIbLb1EES13_EEDaSY_SZ_EUlSY_E_NS1_11comp_targetILNS1_3genE4ELNS1_11target_archE910ELNS1_3gpuE8ELNS1_3repE0EEENS1_30default_config_static_selectorELNS0_4arch9wavefront6targetE1EEEvT1_.kd
    .uniform_work_group_size: 1
    .uses_dynamic_stack: false
    .vgpr_count:     102
    .vgpr_spill_count: 0
    .wavefront_size: 64
  - .agpr_count:     0
    .args:
      - .offset:         0
        .size:           120
        .value_kind:     by_value
    .group_segment_fixed_size: 0
    .kernarg_segment_align: 8
    .kernarg_segment_size: 120
    .language:       OpenCL C
    .language_version:
      - 2
      - 0
    .max_flat_workgroup_size: 256
    .name:           _ZN7rocprim17ROCPRIM_400000_NS6detail17trampoline_kernelINS0_14default_configENS1_29reduce_by_key_config_selectorIyjN6thrust23THRUST_200600_302600_NS4plusIjEEEEZZNS1_33reduce_by_key_impl_wrapped_configILNS1_25lookback_scan_determinismE0ES3_S9_NS6_6detail15normal_iteratorINS6_10device_ptrIyEEEENSD_INSE_IjEEEESG_SI_PmS8_NS6_8equal_toIyEEEE10hipError_tPvRmT2_T3_mT4_T5_T6_T7_T8_P12ihipStream_tbENKUlT_T0_E_clISt17integral_constantIbLb1EES13_EEDaSY_SZ_EUlSY_E_NS1_11comp_targetILNS1_3genE3ELNS1_11target_archE908ELNS1_3gpuE7ELNS1_3repE0EEENS1_30default_config_static_selectorELNS0_4arch9wavefront6targetE1EEEvT1_
    .private_segment_fixed_size: 0
    .sgpr_count:     4
    .sgpr_spill_count: 0
    .symbol:         _ZN7rocprim17ROCPRIM_400000_NS6detail17trampoline_kernelINS0_14default_configENS1_29reduce_by_key_config_selectorIyjN6thrust23THRUST_200600_302600_NS4plusIjEEEEZZNS1_33reduce_by_key_impl_wrapped_configILNS1_25lookback_scan_determinismE0ES3_S9_NS6_6detail15normal_iteratorINS6_10device_ptrIyEEEENSD_INSE_IjEEEESG_SI_PmS8_NS6_8equal_toIyEEEE10hipError_tPvRmT2_T3_mT4_T5_T6_T7_T8_P12ihipStream_tbENKUlT_T0_E_clISt17integral_constantIbLb1EES13_EEDaSY_SZ_EUlSY_E_NS1_11comp_targetILNS1_3genE3ELNS1_11target_archE908ELNS1_3gpuE7ELNS1_3repE0EEENS1_30default_config_static_selectorELNS0_4arch9wavefront6targetE1EEEvT1_.kd
    .uniform_work_group_size: 1
    .uses_dynamic_stack: false
    .vgpr_count:     0
    .vgpr_spill_count: 0
    .wavefront_size: 64
  - .agpr_count:     0
    .args:
      - .offset:         0
        .size:           120
        .value_kind:     by_value
    .group_segment_fixed_size: 0
    .kernarg_segment_align: 8
    .kernarg_segment_size: 120
    .language:       OpenCL C
    .language_version:
      - 2
      - 0
    .max_flat_workgroup_size: 256
    .name:           _ZN7rocprim17ROCPRIM_400000_NS6detail17trampoline_kernelINS0_14default_configENS1_29reduce_by_key_config_selectorIyjN6thrust23THRUST_200600_302600_NS4plusIjEEEEZZNS1_33reduce_by_key_impl_wrapped_configILNS1_25lookback_scan_determinismE0ES3_S9_NS6_6detail15normal_iteratorINS6_10device_ptrIyEEEENSD_INSE_IjEEEESG_SI_PmS8_NS6_8equal_toIyEEEE10hipError_tPvRmT2_T3_mT4_T5_T6_T7_T8_P12ihipStream_tbENKUlT_T0_E_clISt17integral_constantIbLb1EES13_EEDaSY_SZ_EUlSY_E_NS1_11comp_targetILNS1_3genE2ELNS1_11target_archE906ELNS1_3gpuE6ELNS1_3repE0EEENS1_30default_config_static_selectorELNS0_4arch9wavefront6targetE1EEEvT1_
    .private_segment_fixed_size: 0
    .sgpr_count:     4
    .sgpr_spill_count: 0
    .symbol:         _ZN7rocprim17ROCPRIM_400000_NS6detail17trampoline_kernelINS0_14default_configENS1_29reduce_by_key_config_selectorIyjN6thrust23THRUST_200600_302600_NS4plusIjEEEEZZNS1_33reduce_by_key_impl_wrapped_configILNS1_25lookback_scan_determinismE0ES3_S9_NS6_6detail15normal_iteratorINS6_10device_ptrIyEEEENSD_INSE_IjEEEESG_SI_PmS8_NS6_8equal_toIyEEEE10hipError_tPvRmT2_T3_mT4_T5_T6_T7_T8_P12ihipStream_tbENKUlT_T0_E_clISt17integral_constantIbLb1EES13_EEDaSY_SZ_EUlSY_E_NS1_11comp_targetILNS1_3genE2ELNS1_11target_archE906ELNS1_3gpuE6ELNS1_3repE0EEENS1_30default_config_static_selectorELNS0_4arch9wavefront6targetE1EEEvT1_.kd
    .uniform_work_group_size: 1
    .uses_dynamic_stack: false
    .vgpr_count:     0
    .vgpr_spill_count: 0
    .wavefront_size: 64
  - .agpr_count:     0
    .args:
      - .offset:         0
        .size:           120
        .value_kind:     by_value
    .group_segment_fixed_size: 0
    .kernarg_segment_align: 8
    .kernarg_segment_size: 120
    .language:       OpenCL C
    .language_version:
      - 2
      - 0
    .max_flat_workgroup_size: 256
    .name:           _ZN7rocprim17ROCPRIM_400000_NS6detail17trampoline_kernelINS0_14default_configENS1_29reduce_by_key_config_selectorIyjN6thrust23THRUST_200600_302600_NS4plusIjEEEEZZNS1_33reduce_by_key_impl_wrapped_configILNS1_25lookback_scan_determinismE0ES3_S9_NS6_6detail15normal_iteratorINS6_10device_ptrIyEEEENSD_INSE_IjEEEESG_SI_PmS8_NS6_8equal_toIyEEEE10hipError_tPvRmT2_T3_mT4_T5_T6_T7_T8_P12ihipStream_tbENKUlT_T0_E_clISt17integral_constantIbLb1EES13_EEDaSY_SZ_EUlSY_E_NS1_11comp_targetILNS1_3genE10ELNS1_11target_archE1201ELNS1_3gpuE5ELNS1_3repE0EEENS1_30default_config_static_selectorELNS0_4arch9wavefront6targetE1EEEvT1_
    .private_segment_fixed_size: 0
    .sgpr_count:     4
    .sgpr_spill_count: 0
    .symbol:         _ZN7rocprim17ROCPRIM_400000_NS6detail17trampoline_kernelINS0_14default_configENS1_29reduce_by_key_config_selectorIyjN6thrust23THRUST_200600_302600_NS4plusIjEEEEZZNS1_33reduce_by_key_impl_wrapped_configILNS1_25lookback_scan_determinismE0ES3_S9_NS6_6detail15normal_iteratorINS6_10device_ptrIyEEEENSD_INSE_IjEEEESG_SI_PmS8_NS6_8equal_toIyEEEE10hipError_tPvRmT2_T3_mT4_T5_T6_T7_T8_P12ihipStream_tbENKUlT_T0_E_clISt17integral_constantIbLb1EES13_EEDaSY_SZ_EUlSY_E_NS1_11comp_targetILNS1_3genE10ELNS1_11target_archE1201ELNS1_3gpuE5ELNS1_3repE0EEENS1_30default_config_static_selectorELNS0_4arch9wavefront6targetE1EEEvT1_.kd
    .uniform_work_group_size: 1
    .uses_dynamic_stack: false
    .vgpr_count:     0
    .vgpr_spill_count: 0
    .wavefront_size: 64
  - .agpr_count:     0
    .args:
      - .offset:         0
        .size:           120
        .value_kind:     by_value
    .group_segment_fixed_size: 0
    .kernarg_segment_align: 8
    .kernarg_segment_size: 120
    .language:       OpenCL C
    .language_version:
      - 2
      - 0
    .max_flat_workgroup_size: 256
    .name:           _ZN7rocprim17ROCPRIM_400000_NS6detail17trampoline_kernelINS0_14default_configENS1_29reduce_by_key_config_selectorIyjN6thrust23THRUST_200600_302600_NS4plusIjEEEEZZNS1_33reduce_by_key_impl_wrapped_configILNS1_25lookback_scan_determinismE0ES3_S9_NS6_6detail15normal_iteratorINS6_10device_ptrIyEEEENSD_INSE_IjEEEESG_SI_PmS8_NS6_8equal_toIyEEEE10hipError_tPvRmT2_T3_mT4_T5_T6_T7_T8_P12ihipStream_tbENKUlT_T0_E_clISt17integral_constantIbLb1EES13_EEDaSY_SZ_EUlSY_E_NS1_11comp_targetILNS1_3genE10ELNS1_11target_archE1200ELNS1_3gpuE4ELNS1_3repE0EEENS1_30default_config_static_selectorELNS0_4arch9wavefront6targetE1EEEvT1_
    .private_segment_fixed_size: 0
    .sgpr_count:     4
    .sgpr_spill_count: 0
    .symbol:         _ZN7rocprim17ROCPRIM_400000_NS6detail17trampoline_kernelINS0_14default_configENS1_29reduce_by_key_config_selectorIyjN6thrust23THRUST_200600_302600_NS4plusIjEEEEZZNS1_33reduce_by_key_impl_wrapped_configILNS1_25lookback_scan_determinismE0ES3_S9_NS6_6detail15normal_iteratorINS6_10device_ptrIyEEEENSD_INSE_IjEEEESG_SI_PmS8_NS6_8equal_toIyEEEE10hipError_tPvRmT2_T3_mT4_T5_T6_T7_T8_P12ihipStream_tbENKUlT_T0_E_clISt17integral_constantIbLb1EES13_EEDaSY_SZ_EUlSY_E_NS1_11comp_targetILNS1_3genE10ELNS1_11target_archE1200ELNS1_3gpuE4ELNS1_3repE0EEENS1_30default_config_static_selectorELNS0_4arch9wavefront6targetE1EEEvT1_.kd
    .uniform_work_group_size: 1
    .uses_dynamic_stack: false
    .vgpr_count:     0
    .vgpr_spill_count: 0
    .wavefront_size: 64
  - .agpr_count:     0
    .args:
      - .offset:         0
        .size:           120
        .value_kind:     by_value
    .group_segment_fixed_size: 0
    .kernarg_segment_align: 8
    .kernarg_segment_size: 120
    .language:       OpenCL C
    .language_version:
      - 2
      - 0
    .max_flat_workgroup_size: 256
    .name:           _ZN7rocprim17ROCPRIM_400000_NS6detail17trampoline_kernelINS0_14default_configENS1_29reduce_by_key_config_selectorIyjN6thrust23THRUST_200600_302600_NS4plusIjEEEEZZNS1_33reduce_by_key_impl_wrapped_configILNS1_25lookback_scan_determinismE0ES3_S9_NS6_6detail15normal_iteratorINS6_10device_ptrIyEEEENSD_INSE_IjEEEESG_SI_PmS8_NS6_8equal_toIyEEEE10hipError_tPvRmT2_T3_mT4_T5_T6_T7_T8_P12ihipStream_tbENKUlT_T0_E_clISt17integral_constantIbLb1EES13_EEDaSY_SZ_EUlSY_E_NS1_11comp_targetILNS1_3genE9ELNS1_11target_archE1100ELNS1_3gpuE3ELNS1_3repE0EEENS1_30default_config_static_selectorELNS0_4arch9wavefront6targetE1EEEvT1_
    .private_segment_fixed_size: 0
    .sgpr_count:     4
    .sgpr_spill_count: 0
    .symbol:         _ZN7rocprim17ROCPRIM_400000_NS6detail17trampoline_kernelINS0_14default_configENS1_29reduce_by_key_config_selectorIyjN6thrust23THRUST_200600_302600_NS4plusIjEEEEZZNS1_33reduce_by_key_impl_wrapped_configILNS1_25lookback_scan_determinismE0ES3_S9_NS6_6detail15normal_iteratorINS6_10device_ptrIyEEEENSD_INSE_IjEEEESG_SI_PmS8_NS6_8equal_toIyEEEE10hipError_tPvRmT2_T3_mT4_T5_T6_T7_T8_P12ihipStream_tbENKUlT_T0_E_clISt17integral_constantIbLb1EES13_EEDaSY_SZ_EUlSY_E_NS1_11comp_targetILNS1_3genE9ELNS1_11target_archE1100ELNS1_3gpuE3ELNS1_3repE0EEENS1_30default_config_static_selectorELNS0_4arch9wavefront6targetE1EEEvT1_.kd
    .uniform_work_group_size: 1
    .uses_dynamic_stack: false
    .vgpr_count:     0
    .vgpr_spill_count: 0
    .wavefront_size: 64
  - .agpr_count:     0
    .args:
      - .offset:         0
        .size:           120
        .value_kind:     by_value
    .group_segment_fixed_size: 0
    .kernarg_segment_align: 8
    .kernarg_segment_size: 120
    .language:       OpenCL C
    .language_version:
      - 2
      - 0
    .max_flat_workgroup_size: 256
    .name:           _ZN7rocprim17ROCPRIM_400000_NS6detail17trampoline_kernelINS0_14default_configENS1_29reduce_by_key_config_selectorIyjN6thrust23THRUST_200600_302600_NS4plusIjEEEEZZNS1_33reduce_by_key_impl_wrapped_configILNS1_25lookback_scan_determinismE0ES3_S9_NS6_6detail15normal_iteratorINS6_10device_ptrIyEEEENSD_INSE_IjEEEESG_SI_PmS8_NS6_8equal_toIyEEEE10hipError_tPvRmT2_T3_mT4_T5_T6_T7_T8_P12ihipStream_tbENKUlT_T0_E_clISt17integral_constantIbLb1EES13_EEDaSY_SZ_EUlSY_E_NS1_11comp_targetILNS1_3genE8ELNS1_11target_archE1030ELNS1_3gpuE2ELNS1_3repE0EEENS1_30default_config_static_selectorELNS0_4arch9wavefront6targetE1EEEvT1_
    .private_segment_fixed_size: 0
    .sgpr_count:     4
    .sgpr_spill_count: 0
    .symbol:         _ZN7rocprim17ROCPRIM_400000_NS6detail17trampoline_kernelINS0_14default_configENS1_29reduce_by_key_config_selectorIyjN6thrust23THRUST_200600_302600_NS4plusIjEEEEZZNS1_33reduce_by_key_impl_wrapped_configILNS1_25lookback_scan_determinismE0ES3_S9_NS6_6detail15normal_iteratorINS6_10device_ptrIyEEEENSD_INSE_IjEEEESG_SI_PmS8_NS6_8equal_toIyEEEE10hipError_tPvRmT2_T3_mT4_T5_T6_T7_T8_P12ihipStream_tbENKUlT_T0_E_clISt17integral_constantIbLb1EES13_EEDaSY_SZ_EUlSY_E_NS1_11comp_targetILNS1_3genE8ELNS1_11target_archE1030ELNS1_3gpuE2ELNS1_3repE0EEENS1_30default_config_static_selectorELNS0_4arch9wavefront6targetE1EEEvT1_.kd
    .uniform_work_group_size: 1
    .uses_dynamic_stack: false
    .vgpr_count:     0
    .vgpr_spill_count: 0
    .wavefront_size: 64
  - .agpr_count:     0
    .args:
      - .offset:         0
        .size:           120
        .value_kind:     by_value
    .group_segment_fixed_size: 0
    .kernarg_segment_align: 8
    .kernarg_segment_size: 120
    .language:       OpenCL C
    .language_version:
      - 2
      - 0
    .max_flat_workgroup_size: 256
    .name:           _ZN7rocprim17ROCPRIM_400000_NS6detail17trampoline_kernelINS0_14default_configENS1_29reduce_by_key_config_selectorIyjN6thrust23THRUST_200600_302600_NS4plusIjEEEEZZNS1_33reduce_by_key_impl_wrapped_configILNS1_25lookback_scan_determinismE0ES3_S9_NS6_6detail15normal_iteratorINS6_10device_ptrIyEEEENSD_INSE_IjEEEESG_SI_PmS8_NS6_8equal_toIyEEEE10hipError_tPvRmT2_T3_mT4_T5_T6_T7_T8_P12ihipStream_tbENKUlT_T0_E_clISt17integral_constantIbLb1EES12_IbLb0EEEEDaSY_SZ_EUlSY_E_NS1_11comp_targetILNS1_3genE0ELNS1_11target_archE4294967295ELNS1_3gpuE0ELNS1_3repE0EEENS1_30default_config_static_selectorELNS0_4arch9wavefront6targetE1EEEvT1_
    .private_segment_fixed_size: 0
    .sgpr_count:     4
    .sgpr_spill_count: 0
    .symbol:         _ZN7rocprim17ROCPRIM_400000_NS6detail17trampoline_kernelINS0_14default_configENS1_29reduce_by_key_config_selectorIyjN6thrust23THRUST_200600_302600_NS4plusIjEEEEZZNS1_33reduce_by_key_impl_wrapped_configILNS1_25lookback_scan_determinismE0ES3_S9_NS6_6detail15normal_iteratorINS6_10device_ptrIyEEEENSD_INSE_IjEEEESG_SI_PmS8_NS6_8equal_toIyEEEE10hipError_tPvRmT2_T3_mT4_T5_T6_T7_T8_P12ihipStream_tbENKUlT_T0_E_clISt17integral_constantIbLb1EES12_IbLb0EEEEDaSY_SZ_EUlSY_E_NS1_11comp_targetILNS1_3genE0ELNS1_11target_archE4294967295ELNS1_3gpuE0ELNS1_3repE0EEENS1_30default_config_static_selectorELNS0_4arch9wavefront6targetE1EEEvT1_.kd
    .uniform_work_group_size: 1
    .uses_dynamic_stack: false
    .vgpr_count:     0
    .vgpr_spill_count: 0
    .wavefront_size: 64
  - .agpr_count:     0
    .args:
      - .offset:         0
        .size:           120
        .value_kind:     by_value
    .group_segment_fixed_size: 0
    .kernarg_segment_align: 8
    .kernarg_segment_size: 120
    .language:       OpenCL C
    .language_version:
      - 2
      - 0
    .max_flat_workgroup_size: 256
    .name:           _ZN7rocprim17ROCPRIM_400000_NS6detail17trampoline_kernelINS0_14default_configENS1_29reduce_by_key_config_selectorIyjN6thrust23THRUST_200600_302600_NS4plusIjEEEEZZNS1_33reduce_by_key_impl_wrapped_configILNS1_25lookback_scan_determinismE0ES3_S9_NS6_6detail15normal_iteratorINS6_10device_ptrIyEEEENSD_INSE_IjEEEESG_SI_PmS8_NS6_8equal_toIyEEEE10hipError_tPvRmT2_T3_mT4_T5_T6_T7_T8_P12ihipStream_tbENKUlT_T0_E_clISt17integral_constantIbLb1EES12_IbLb0EEEEDaSY_SZ_EUlSY_E_NS1_11comp_targetILNS1_3genE5ELNS1_11target_archE942ELNS1_3gpuE9ELNS1_3repE0EEENS1_30default_config_static_selectorELNS0_4arch9wavefront6targetE1EEEvT1_
    .private_segment_fixed_size: 0
    .sgpr_count:     4
    .sgpr_spill_count: 0
    .symbol:         _ZN7rocprim17ROCPRIM_400000_NS6detail17trampoline_kernelINS0_14default_configENS1_29reduce_by_key_config_selectorIyjN6thrust23THRUST_200600_302600_NS4plusIjEEEEZZNS1_33reduce_by_key_impl_wrapped_configILNS1_25lookback_scan_determinismE0ES3_S9_NS6_6detail15normal_iteratorINS6_10device_ptrIyEEEENSD_INSE_IjEEEESG_SI_PmS8_NS6_8equal_toIyEEEE10hipError_tPvRmT2_T3_mT4_T5_T6_T7_T8_P12ihipStream_tbENKUlT_T0_E_clISt17integral_constantIbLb1EES12_IbLb0EEEEDaSY_SZ_EUlSY_E_NS1_11comp_targetILNS1_3genE5ELNS1_11target_archE942ELNS1_3gpuE9ELNS1_3repE0EEENS1_30default_config_static_selectorELNS0_4arch9wavefront6targetE1EEEvT1_.kd
    .uniform_work_group_size: 1
    .uses_dynamic_stack: false
    .vgpr_count:     0
    .vgpr_spill_count: 0
    .wavefront_size: 64
  - .agpr_count:     0
    .args:
      - .offset:         0
        .size:           120
        .value_kind:     by_value
    .group_segment_fixed_size: 30720
    .kernarg_segment_align: 8
    .kernarg_segment_size: 120
    .language:       OpenCL C
    .language_version:
      - 2
      - 0
    .max_flat_workgroup_size: 256
    .name:           _ZN7rocprim17ROCPRIM_400000_NS6detail17trampoline_kernelINS0_14default_configENS1_29reduce_by_key_config_selectorIyjN6thrust23THRUST_200600_302600_NS4plusIjEEEEZZNS1_33reduce_by_key_impl_wrapped_configILNS1_25lookback_scan_determinismE0ES3_S9_NS6_6detail15normal_iteratorINS6_10device_ptrIyEEEENSD_INSE_IjEEEESG_SI_PmS8_NS6_8equal_toIyEEEE10hipError_tPvRmT2_T3_mT4_T5_T6_T7_T8_P12ihipStream_tbENKUlT_T0_E_clISt17integral_constantIbLb1EES12_IbLb0EEEEDaSY_SZ_EUlSY_E_NS1_11comp_targetILNS1_3genE4ELNS1_11target_archE910ELNS1_3gpuE8ELNS1_3repE0EEENS1_30default_config_static_selectorELNS0_4arch9wavefront6targetE1EEEvT1_
    .private_segment_fixed_size: 0
    .sgpr_count:     68
    .sgpr_spill_count: 0
    .symbol:         _ZN7rocprim17ROCPRIM_400000_NS6detail17trampoline_kernelINS0_14default_configENS1_29reduce_by_key_config_selectorIyjN6thrust23THRUST_200600_302600_NS4plusIjEEEEZZNS1_33reduce_by_key_impl_wrapped_configILNS1_25lookback_scan_determinismE0ES3_S9_NS6_6detail15normal_iteratorINS6_10device_ptrIyEEEENSD_INSE_IjEEEESG_SI_PmS8_NS6_8equal_toIyEEEE10hipError_tPvRmT2_T3_mT4_T5_T6_T7_T8_P12ihipStream_tbENKUlT_T0_E_clISt17integral_constantIbLb1EES12_IbLb0EEEEDaSY_SZ_EUlSY_E_NS1_11comp_targetILNS1_3genE4ELNS1_11target_archE910ELNS1_3gpuE8ELNS1_3repE0EEENS1_30default_config_static_selectorELNS0_4arch9wavefront6targetE1EEEvT1_.kd
    .uniform_work_group_size: 1
    .uses_dynamic_stack: false
    .vgpr_count:     102
    .vgpr_spill_count: 0
    .wavefront_size: 64
  - .agpr_count:     0
    .args:
      - .offset:         0
        .size:           120
        .value_kind:     by_value
    .group_segment_fixed_size: 0
    .kernarg_segment_align: 8
    .kernarg_segment_size: 120
    .language:       OpenCL C
    .language_version:
      - 2
      - 0
    .max_flat_workgroup_size: 256
    .name:           _ZN7rocprim17ROCPRIM_400000_NS6detail17trampoline_kernelINS0_14default_configENS1_29reduce_by_key_config_selectorIyjN6thrust23THRUST_200600_302600_NS4plusIjEEEEZZNS1_33reduce_by_key_impl_wrapped_configILNS1_25lookback_scan_determinismE0ES3_S9_NS6_6detail15normal_iteratorINS6_10device_ptrIyEEEENSD_INSE_IjEEEESG_SI_PmS8_NS6_8equal_toIyEEEE10hipError_tPvRmT2_T3_mT4_T5_T6_T7_T8_P12ihipStream_tbENKUlT_T0_E_clISt17integral_constantIbLb1EES12_IbLb0EEEEDaSY_SZ_EUlSY_E_NS1_11comp_targetILNS1_3genE3ELNS1_11target_archE908ELNS1_3gpuE7ELNS1_3repE0EEENS1_30default_config_static_selectorELNS0_4arch9wavefront6targetE1EEEvT1_
    .private_segment_fixed_size: 0
    .sgpr_count:     4
    .sgpr_spill_count: 0
    .symbol:         _ZN7rocprim17ROCPRIM_400000_NS6detail17trampoline_kernelINS0_14default_configENS1_29reduce_by_key_config_selectorIyjN6thrust23THRUST_200600_302600_NS4plusIjEEEEZZNS1_33reduce_by_key_impl_wrapped_configILNS1_25lookback_scan_determinismE0ES3_S9_NS6_6detail15normal_iteratorINS6_10device_ptrIyEEEENSD_INSE_IjEEEESG_SI_PmS8_NS6_8equal_toIyEEEE10hipError_tPvRmT2_T3_mT4_T5_T6_T7_T8_P12ihipStream_tbENKUlT_T0_E_clISt17integral_constantIbLb1EES12_IbLb0EEEEDaSY_SZ_EUlSY_E_NS1_11comp_targetILNS1_3genE3ELNS1_11target_archE908ELNS1_3gpuE7ELNS1_3repE0EEENS1_30default_config_static_selectorELNS0_4arch9wavefront6targetE1EEEvT1_.kd
    .uniform_work_group_size: 1
    .uses_dynamic_stack: false
    .vgpr_count:     0
    .vgpr_spill_count: 0
    .wavefront_size: 64
  - .agpr_count:     0
    .args:
      - .offset:         0
        .size:           120
        .value_kind:     by_value
    .group_segment_fixed_size: 0
    .kernarg_segment_align: 8
    .kernarg_segment_size: 120
    .language:       OpenCL C
    .language_version:
      - 2
      - 0
    .max_flat_workgroup_size: 256
    .name:           _ZN7rocprim17ROCPRIM_400000_NS6detail17trampoline_kernelINS0_14default_configENS1_29reduce_by_key_config_selectorIyjN6thrust23THRUST_200600_302600_NS4plusIjEEEEZZNS1_33reduce_by_key_impl_wrapped_configILNS1_25lookback_scan_determinismE0ES3_S9_NS6_6detail15normal_iteratorINS6_10device_ptrIyEEEENSD_INSE_IjEEEESG_SI_PmS8_NS6_8equal_toIyEEEE10hipError_tPvRmT2_T3_mT4_T5_T6_T7_T8_P12ihipStream_tbENKUlT_T0_E_clISt17integral_constantIbLb1EES12_IbLb0EEEEDaSY_SZ_EUlSY_E_NS1_11comp_targetILNS1_3genE2ELNS1_11target_archE906ELNS1_3gpuE6ELNS1_3repE0EEENS1_30default_config_static_selectorELNS0_4arch9wavefront6targetE1EEEvT1_
    .private_segment_fixed_size: 0
    .sgpr_count:     4
    .sgpr_spill_count: 0
    .symbol:         _ZN7rocprim17ROCPRIM_400000_NS6detail17trampoline_kernelINS0_14default_configENS1_29reduce_by_key_config_selectorIyjN6thrust23THRUST_200600_302600_NS4plusIjEEEEZZNS1_33reduce_by_key_impl_wrapped_configILNS1_25lookback_scan_determinismE0ES3_S9_NS6_6detail15normal_iteratorINS6_10device_ptrIyEEEENSD_INSE_IjEEEESG_SI_PmS8_NS6_8equal_toIyEEEE10hipError_tPvRmT2_T3_mT4_T5_T6_T7_T8_P12ihipStream_tbENKUlT_T0_E_clISt17integral_constantIbLb1EES12_IbLb0EEEEDaSY_SZ_EUlSY_E_NS1_11comp_targetILNS1_3genE2ELNS1_11target_archE906ELNS1_3gpuE6ELNS1_3repE0EEENS1_30default_config_static_selectorELNS0_4arch9wavefront6targetE1EEEvT1_.kd
    .uniform_work_group_size: 1
    .uses_dynamic_stack: false
    .vgpr_count:     0
    .vgpr_spill_count: 0
    .wavefront_size: 64
  - .agpr_count:     0
    .args:
      - .offset:         0
        .size:           120
        .value_kind:     by_value
    .group_segment_fixed_size: 0
    .kernarg_segment_align: 8
    .kernarg_segment_size: 120
    .language:       OpenCL C
    .language_version:
      - 2
      - 0
    .max_flat_workgroup_size: 256
    .name:           _ZN7rocprim17ROCPRIM_400000_NS6detail17trampoline_kernelINS0_14default_configENS1_29reduce_by_key_config_selectorIyjN6thrust23THRUST_200600_302600_NS4plusIjEEEEZZNS1_33reduce_by_key_impl_wrapped_configILNS1_25lookback_scan_determinismE0ES3_S9_NS6_6detail15normal_iteratorINS6_10device_ptrIyEEEENSD_INSE_IjEEEESG_SI_PmS8_NS6_8equal_toIyEEEE10hipError_tPvRmT2_T3_mT4_T5_T6_T7_T8_P12ihipStream_tbENKUlT_T0_E_clISt17integral_constantIbLb1EES12_IbLb0EEEEDaSY_SZ_EUlSY_E_NS1_11comp_targetILNS1_3genE10ELNS1_11target_archE1201ELNS1_3gpuE5ELNS1_3repE0EEENS1_30default_config_static_selectorELNS0_4arch9wavefront6targetE1EEEvT1_
    .private_segment_fixed_size: 0
    .sgpr_count:     4
    .sgpr_spill_count: 0
    .symbol:         _ZN7rocprim17ROCPRIM_400000_NS6detail17trampoline_kernelINS0_14default_configENS1_29reduce_by_key_config_selectorIyjN6thrust23THRUST_200600_302600_NS4plusIjEEEEZZNS1_33reduce_by_key_impl_wrapped_configILNS1_25lookback_scan_determinismE0ES3_S9_NS6_6detail15normal_iteratorINS6_10device_ptrIyEEEENSD_INSE_IjEEEESG_SI_PmS8_NS6_8equal_toIyEEEE10hipError_tPvRmT2_T3_mT4_T5_T6_T7_T8_P12ihipStream_tbENKUlT_T0_E_clISt17integral_constantIbLb1EES12_IbLb0EEEEDaSY_SZ_EUlSY_E_NS1_11comp_targetILNS1_3genE10ELNS1_11target_archE1201ELNS1_3gpuE5ELNS1_3repE0EEENS1_30default_config_static_selectorELNS0_4arch9wavefront6targetE1EEEvT1_.kd
    .uniform_work_group_size: 1
    .uses_dynamic_stack: false
    .vgpr_count:     0
    .vgpr_spill_count: 0
    .wavefront_size: 64
  - .agpr_count:     0
    .args:
      - .offset:         0
        .size:           120
        .value_kind:     by_value
    .group_segment_fixed_size: 0
    .kernarg_segment_align: 8
    .kernarg_segment_size: 120
    .language:       OpenCL C
    .language_version:
      - 2
      - 0
    .max_flat_workgroup_size: 256
    .name:           _ZN7rocprim17ROCPRIM_400000_NS6detail17trampoline_kernelINS0_14default_configENS1_29reduce_by_key_config_selectorIyjN6thrust23THRUST_200600_302600_NS4plusIjEEEEZZNS1_33reduce_by_key_impl_wrapped_configILNS1_25lookback_scan_determinismE0ES3_S9_NS6_6detail15normal_iteratorINS6_10device_ptrIyEEEENSD_INSE_IjEEEESG_SI_PmS8_NS6_8equal_toIyEEEE10hipError_tPvRmT2_T3_mT4_T5_T6_T7_T8_P12ihipStream_tbENKUlT_T0_E_clISt17integral_constantIbLb1EES12_IbLb0EEEEDaSY_SZ_EUlSY_E_NS1_11comp_targetILNS1_3genE10ELNS1_11target_archE1200ELNS1_3gpuE4ELNS1_3repE0EEENS1_30default_config_static_selectorELNS0_4arch9wavefront6targetE1EEEvT1_
    .private_segment_fixed_size: 0
    .sgpr_count:     4
    .sgpr_spill_count: 0
    .symbol:         _ZN7rocprim17ROCPRIM_400000_NS6detail17trampoline_kernelINS0_14default_configENS1_29reduce_by_key_config_selectorIyjN6thrust23THRUST_200600_302600_NS4plusIjEEEEZZNS1_33reduce_by_key_impl_wrapped_configILNS1_25lookback_scan_determinismE0ES3_S9_NS6_6detail15normal_iteratorINS6_10device_ptrIyEEEENSD_INSE_IjEEEESG_SI_PmS8_NS6_8equal_toIyEEEE10hipError_tPvRmT2_T3_mT4_T5_T6_T7_T8_P12ihipStream_tbENKUlT_T0_E_clISt17integral_constantIbLb1EES12_IbLb0EEEEDaSY_SZ_EUlSY_E_NS1_11comp_targetILNS1_3genE10ELNS1_11target_archE1200ELNS1_3gpuE4ELNS1_3repE0EEENS1_30default_config_static_selectorELNS0_4arch9wavefront6targetE1EEEvT1_.kd
    .uniform_work_group_size: 1
    .uses_dynamic_stack: false
    .vgpr_count:     0
    .vgpr_spill_count: 0
    .wavefront_size: 64
  - .agpr_count:     0
    .args:
      - .offset:         0
        .size:           120
        .value_kind:     by_value
    .group_segment_fixed_size: 0
    .kernarg_segment_align: 8
    .kernarg_segment_size: 120
    .language:       OpenCL C
    .language_version:
      - 2
      - 0
    .max_flat_workgroup_size: 256
    .name:           _ZN7rocprim17ROCPRIM_400000_NS6detail17trampoline_kernelINS0_14default_configENS1_29reduce_by_key_config_selectorIyjN6thrust23THRUST_200600_302600_NS4plusIjEEEEZZNS1_33reduce_by_key_impl_wrapped_configILNS1_25lookback_scan_determinismE0ES3_S9_NS6_6detail15normal_iteratorINS6_10device_ptrIyEEEENSD_INSE_IjEEEESG_SI_PmS8_NS6_8equal_toIyEEEE10hipError_tPvRmT2_T3_mT4_T5_T6_T7_T8_P12ihipStream_tbENKUlT_T0_E_clISt17integral_constantIbLb1EES12_IbLb0EEEEDaSY_SZ_EUlSY_E_NS1_11comp_targetILNS1_3genE9ELNS1_11target_archE1100ELNS1_3gpuE3ELNS1_3repE0EEENS1_30default_config_static_selectorELNS0_4arch9wavefront6targetE1EEEvT1_
    .private_segment_fixed_size: 0
    .sgpr_count:     4
    .sgpr_spill_count: 0
    .symbol:         _ZN7rocprim17ROCPRIM_400000_NS6detail17trampoline_kernelINS0_14default_configENS1_29reduce_by_key_config_selectorIyjN6thrust23THRUST_200600_302600_NS4plusIjEEEEZZNS1_33reduce_by_key_impl_wrapped_configILNS1_25lookback_scan_determinismE0ES3_S9_NS6_6detail15normal_iteratorINS6_10device_ptrIyEEEENSD_INSE_IjEEEESG_SI_PmS8_NS6_8equal_toIyEEEE10hipError_tPvRmT2_T3_mT4_T5_T6_T7_T8_P12ihipStream_tbENKUlT_T0_E_clISt17integral_constantIbLb1EES12_IbLb0EEEEDaSY_SZ_EUlSY_E_NS1_11comp_targetILNS1_3genE9ELNS1_11target_archE1100ELNS1_3gpuE3ELNS1_3repE0EEENS1_30default_config_static_selectorELNS0_4arch9wavefront6targetE1EEEvT1_.kd
    .uniform_work_group_size: 1
    .uses_dynamic_stack: false
    .vgpr_count:     0
    .vgpr_spill_count: 0
    .wavefront_size: 64
  - .agpr_count:     0
    .args:
      - .offset:         0
        .size:           120
        .value_kind:     by_value
    .group_segment_fixed_size: 0
    .kernarg_segment_align: 8
    .kernarg_segment_size: 120
    .language:       OpenCL C
    .language_version:
      - 2
      - 0
    .max_flat_workgroup_size: 256
    .name:           _ZN7rocprim17ROCPRIM_400000_NS6detail17trampoline_kernelINS0_14default_configENS1_29reduce_by_key_config_selectorIyjN6thrust23THRUST_200600_302600_NS4plusIjEEEEZZNS1_33reduce_by_key_impl_wrapped_configILNS1_25lookback_scan_determinismE0ES3_S9_NS6_6detail15normal_iteratorINS6_10device_ptrIyEEEENSD_INSE_IjEEEESG_SI_PmS8_NS6_8equal_toIyEEEE10hipError_tPvRmT2_T3_mT4_T5_T6_T7_T8_P12ihipStream_tbENKUlT_T0_E_clISt17integral_constantIbLb1EES12_IbLb0EEEEDaSY_SZ_EUlSY_E_NS1_11comp_targetILNS1_3genE8ELNS1_11target_archE1030ELNS1_3gpuE2ELNS1_3repE0EEENS1_30default_config_static_selectorELNS0_4arch9wavefront6targetE1EEEvT1_
    .private_segment_fixed_size: 0
    .sgpr_count:     4
    .sgpr_spill_count: 0
    .symbol:         _ZN7rocprim17ROCPRIM_400000_NS6detail17trampoline_kernelINS0_14default_configENS1_29reduce_by_key_config_selectorIyjN6thrust23THRUST_200600_302600_NS4plusIjEEEEZZNS1_33reduce_by_key_impl_wrapped_configILNS1_25lookback_scan_determinismE0ES3_S9_NS6_6detail15normal_iteratorINS6_10device_ptrIyEEEENSD_INSE_IjEEEESG_SI_PmS8_NS6_8equal_toIyEEEE10hipError_tPvRmT2_T3_mT4_T5_T6_T7_T8_P12ihipStream_tbENKUlT_T0_E_clISt17integral_constantIbLb1EES12_IbLb0EEEEDaSY_SZ_EUlSY_E_NS1_11comp_targetILNS1_3genE8ELNS1_11target_archE1030ELNS1_3gpuE2ELNS1_3repE0EEENS1_30default_config_static_selectorELNS0_4arch9wavefront6targetE1EEEvT1_.kd
    .uniform_work_group_size: 1
    .uses_dynamic_stack: false
    .vgpr_count:     0
    .vgpr_spill_count: 0
    .wavefront_size: 64
  - .agpr_count:     0
    .args:
      - .offset:         0
        .size:           120
        .value_kind:     by_value
    .group_segment_fixed_size: 0
    .kernarg_segment_align: 8
    .kernarg_segment_size: 120
    .language:       OpenCL C
    .language_version:
      - 2
      - 0
    .max_flat_workgroup_size: 256
    .name:           _ZN7rocprim17ROCPRIM_400000_NS6detail17trampoline_kernelINS0_14default_configENS1_29reduce_by_key_config_selectorIyjN6thrust23THRUST_200600_302600_NS4plusIjEEEEZZNS1_33reduce_by_key_impl_wrapped_configILNS1_25lookback_scan_determinismE0ES3_S9_NS6_6detail15normal_iteratorINS6_10device_ptrIyEEEENSD_INSE_IjEEEESG_SI_PmS8_NS6_8equal_toIyEEEE10hipError_tPvRmT2_T3_mT4_T5_T6_T7_T8_P12ihipStream_tbENKUlT_T0_E_clISt17integral_constantIbLb0EES12_IbLb1EEEEDaSY_SZ_EUlSY_E_NS1_11comp_targetILNS1_3genE0ELNS1_11target_archE4294967295ELNS1_3gpuE0ELNS1_3repE0EEENS1_30default_config_static_selectorELNS0_4arch9wavefront6targetE1EEEvT1_
    .private_segment_fixed_size: 0
    .sgpr_count:     4
    .sgpr_spill_count: 0
    .symbol:         _ZN7rocprim17ROCPRIM_400000_NS6detail17trampoline_kernelINS0_14default_configENS1_29reduce_by_key_config_selectorIyjN6thrust23THRUST_200600_302600_NS4plusIjEEEEZZNS1_33reduce_by_key_impl_wrapped_configILNS1_25lookback_scan_determinismE0ES3_S9_NS6_6detail15normal_iteratorINS6_10device_ptrIyEEEENSD_INSE_IjEEEESG_SI_PmS8_NS6_8equal_toIyEEEE10hipError_tPvRmT2_T3_mT4_T5_T6_T7_T8_P12ihipStream_tbENKUlT_T0_E_clISt17integral_constantIbLb0EES12_IbLb1EEEEDaSY_SZ_EUlSY_E_NS1_11comp_targetILNS1_3genE0ELNS1_11target_archE4294967295ELNS1_3gpuE0ELNS1_3repE0EEENS1_30default_config_static_selectorELNS0_4arch9wavefront6targetE1EEEvT1_.kd
    .uniform_work_group_size: 1
    .uses_dynamic_stack: false
    .vgpr_count:     0
    .vgpr_spill_count: 0
    .wavefront_size: 64
  - .agpr_count:     0
    .args:
      - .offset:         0
        .size:           120
        .value_kind:     by_value
    .group_segment_fixed_size: 0
    .kernarg_segment_align: 8
    .kernarg_segment_size: 120
    .language:       OpenCL C
    .language_version:
      - 2
      - 0
    .max_flat_workgroup_size: 256
    .name:           _ZN7rocprim17ROCPRIM_400000_NS6detail17trampoline_kernelINS0_14default_configENS1_29reduce_by_key_config_selectorIyjN6thrust23THRUST_200600_302600_NS4plusIjEEEEZZNS1_33reduce_by_key_impl_wrapped_configILNS1_25lookback_scan_determinismE0ES3_S9_NS6_6detail15normal_iteratorINS6_10device_ptrIyEEEENSD_INSE_IjEEEESG_SI_PmS8_NS6_8equal_toIyEEEE10hipError_tPvRmT2_T3_mT4_T5_T6_T7_T8_P12ihipStream_tbENKUlT_T0_E_clISt17integral_constantIbLb0EES12_IbLb1EEEEDaSY_SZ_EUlSY_E_NS1_11comp_targetILNS1_3genE5ELNS1_11target_archE942ELNS1_3gpuE9ELNS1_3repE0EEENS1_30default_config_static_selectorELNS0_4arch9wavefront6targetE1EEEvT1_
    .private_segment_fixed_size: 0
    .sgpr_count:     4
    .sgpr_spill_count: 0
    .symbol:         _ZN7rocprim17ROCPRIM_400000_NS6detail17trampoline_kernelINS0_14default_configENS1_29reduce_by_key_config_selectorIyjN6thrust23THRUST_200600_302600_NS4plusIjEEEEZZNS1_33reduce_by_key_impl_wrapped_configILNS1_25lookback_scan_determinismE0ES3_S9_NS6_6detail15normal_iteratorINS6_10device_ptrIyEEEENSD_INSE_IjEEEESG_SI_PmS8_NS6_8equal_toIyEEEE10hipError_tPvRmT2_T3_mT4_T5_T6_T7_T8_P12ihipStream_tbENKUlT_T0_E_clISt17integral_constantIbLb0EES12_IbLb1EEEEDaSY_SZ_EUlSY_E_NS1_11comp_targetILNS1_3genE5ELNS1_11target_archE942ELNS1_3gpuE9ELNS1_3repE0EEENS1_30default_config_static_selectorELNS0_4arch9wavefront6targetE1EEEvT1_.kd
    .uniform_work_group_size: 1
    .uses_dynamic_stack: false
    .vgpr_count:     0
    .vgpr_spill_count: 0
    .wavefront_size: 64
  - .agpr_count:     0
    .args:
      - .offset:         0
        .size:           120
        .value_kind:     by_value
    .group_segment_fixed_size: 30720
    .kernarg_segment_align: 8
    .kernarg_segment_size: 120
    .language:       OpenCL C
    .language_version:
      - 2
      - 0
    .max_flat_workgroup_size: 256
    .name:           _ZN7rocprim17ROCPRIM_400000_NS6detail17trampoline_kernelINS0_14default_configENS1_29reduce_by_key_config_selectorIyjN6thrust23THRUST_200600_302600_NS4plusIjEEEEZZNS1_33reduce_by_key_impl_wrapped_configILNS1_25lookback_scan_determinismE0ES3_S9_NS6_6detail15normal_iteratorINS6_10device_ptrIyEEEENSD_INSE_IjEEEESG_SI_PmS8_NS6_8equal_toIyEEEE10hipError_tPvRmT2_T3_mT4_T5_T6_T7_T8_P12ihipStream_tbENKUlT_T0_E_clISt17integral_constantIbLb0EES12_IbLb1EEEEDaSY_SZ_EUlSY_E_NS1_11comp_targetILNS1_3genE4ELNS1_11target_archE910ELNS1_3gpuE8ELNS1_3repE0EEENS1_30default_config_static_selectorELNS0_4arch9wavefront6targetE1EEEvT1_
    .private_segment_fixed_size: 0
    .sgpr_count:     70
    .sgpr_spill_count: 0
    .symbol:         _ZN7rocprim17ROCPRIM_400000_NS6detail17trampoline_kernelINS0_14default_configENS1_29reduce_by_key_config_selectorIyjN6thrust23THRUST_200600_302600_NS4plusIjEEEEZZNS1_33reduce_by_key_impl_wrapped_configILNS1_25lookback_scan_determinismE0ES3_S9_NS6_6detail15normal_iteratorINS6_10device_ptrIyEEEENSD_INSE_IjEEEESG_SI_PmS8_NS6_8equal_toIyEEEE10hipError_tPvRmT2_T3_mT4_T5_T6_T7_T8_P12ihipStream_tbENKUlT_T0_E_clISt17integral_constantIbLb0EES12_IbLb1EEEEDaSY_SZ_EUlSY_E_NS1_11comp_targetILNS1_3genE4ELNS1_11target_archE910ELNS1_3gpuE8ELNS1_3repE0EEENS1_30default_config_static_selectorELNS0_4arch9wavefront6targetE1EEEvT1_.kd
    .uniform_work_group_size: 1
    .uses_dynamic_stack: false
    .vgpr_count:     102
    .vgpr_spill_count: 0
    .wavefront_size: 64
  - .agpr_count:     0
    .args:
      - .offset:         0
        .size:           120
        .value_kind:     by_value
    .group_segment_fixed_size: 0
    .kernarg_segment_align: 8
    .kernarg_segment_size: 120
    .language:       OpenCL C
    .language_version:
      - 2
      - 0
    .max_flat_workgroup_size: 256
    .name:           _ZN7rocprim17ROCPRIM_400000_NS6detail17trampoline_kernelINS0_14default_configENS1_29reduce_by_key_config_selectorIyjN6thrust23THRUST_200600_302600_NS4plusIjEEEEZZNS1_33reduce_by_key_impl_wrapped_configILNS1_25lookback_scan_determinismE0ES3_S9_NS6_6detail15normal_iteratorINS6_10device_ptrIyEEEENSD_INSE_IjEEEESG_SI_PmS8_NS6_8equal_toIyEEEE10hipError_tPvRmT2_T3_mT4_T5_T6_T7_T8_P12ihipStream_tbENKUlT_T0_E_clISt17integral_constantIbLb0EES12_IbLb1EEEEDaSY_SZ_EUlSY_E_NS1_11comp_targetILNS1_3genE3ELNS1_11target_archE908ELNS1_3gpuE7ELNS1_3repE0EEENS1_30default_config_static_selectorELNS0_4arch9wavefront6targetE1EEEvT1_
    .private_segment_fixed_size: 0
    .sgpr_count:     4
    .sgpr_spill_count: 0
    .symbol:         _ZN7rocprim17ROCPRIM_400000_NS6detail17trampoline_kernelINS0_14default_configENS1_29reduce_by_key_config_selectorIyjN6thrust23THRUST_200600_302600_NS4plusIjEEEEZZNS1_33reduce_by_key_impl_wrapped_configILNS1_25lookback_scan_determinismE0ES3_S9_NS6_6detail15normal_iteratorINS6_10device_ptrIyEEEENSD_INSE_IjEEEESG_SI_PmS8_NS6_8equal_toIyEEEE10hipError_tPvRmT2_T3_mT4_T5_T6_T7_T8_P12ihipStream_tbENKUlT_T0_E_clISt17integral_constantIbLb0EES12_IbLb1EEEEDaSY_SZ_EUlSY_E_NS1_11comp_targetILNS1_3genE3ELNS1_11target_archE908ELNS1_3gpuE7ELNS1_3repE0EEENS1_30default_config_static_selectorELNS0_4arch9wavefront6targetE1EEEvT1_.kd
    .uniform_work_group_size: 1
    .uses_dynamic_stack: false
    .vgpr_count:     0
    .vgpr_spill_count: 0
    .wavefront_size: 64
  - .agpr_count:     0
    .args:
      - .offset:         0
        .size:           120
        .value_kind:     by_value
    .group_segment_fixed_size: 0
    .kernarg_segment_align: 8
    .kernarg_segment_size: 120
    .language:       OpenCL C
    .language_version:
      - 2
      - 0
    .max_flat_workgroup_size: 256
    .name:           _ZN7rocprim17ROCPRIM_400000_NS6detail17trampoline_kernelINS0_14default_configENS1_29reduce_by_key_config_selectorIyjN6thrust23THRUST_200600_302600_NS4plusIjEEEEZZNS1_33reduce_by_key_impl_wrapped_configILNS1_25lookback_scan_determinismE0ES3_S9_NS6_6detail15normal_iteratorINS6_10device_ptrIyEEEENSD_INSE_IjEEEESG_SI_PmS8_NS6_8equal_toIyEEEE10hipError_tPvRmT2_T3_mT4_T5_T6_T7_T8_P12ihipStream_tbENKUlT_T0_E_clISt17integral_constantIbLb0EES12_IbLb1EEEEDaSY_SZ_EUlSY_E_NS1_11comp_targetILNS1_3genE2ELNS1_11target_archE906ELNS1_3gpuE6ELNS1_3repE0EEENS1_30default_config_static_selectorELNS0_4arch9wavefront6targetE1EEEvT1_
    .private_segment_fixed_size: 0
    .sgpr_count:     4
    .sgpr_spill_count: 0
    .symbol:         _ZN7rocprim17ROCPRIM_400000_NS6detail17trampoline_kernelINS0_14default_configENS1_29reduce_by_key_config_selectorIyjN6thrust23THRUST_200600_302600_NS4plusIjEEEEZZNS1_33reduce_by_key_impl_wrapped_configILNS1_25lookback_scan_determinismE0ES3_S9_NS6_6detail15normal_iteratorINS6_10device_ptrIyEEEENSD_INSE_IjEEEESG_SI_PmS8_NS6_8equal_toIyEEEE10hipError_tPvRmT2_T3_mT4_T5_T6_T7_T8_P12ihipStream_tbENKUlT_T0_E_clISt17integral_constantIbLb0EES12_IbLb1EEEEDaSY_SZ_EUlSY_E_NS1_11comp_targetILNS1_3genE2ELNS1_11target_archE906ELNS1_3gpuE6ELNS1_3repE0EEENS1_30default_config_static_selectorELNS0_4arch9wavefront6targetE1EEEvT1_.kd
    .uniform_work_group_size: 1
    .uses_dynamic_stack: false
    .vgpr_count:     0
    .vgpr_spill_count: 0
    .wavefront_size: 64
  - .agpr_count:     0
    .args:
      - .offset:         0
        .size:           120
        .value_kind:     by_value
    .group_segment_fixed_size: 0
    .kernarg_segment_align: 8
    .kernarg_segment_size: 120
    .language:       OpenCL C
    .language_version:
      - 2
      - 0
    .max_flat_workgroup_size: 256
    .name:           _ZN7rocprim17ROCPRIM_400000_NS6detail17trampoline_kernelINS0_14default_configENS1_29reduce_by_key_config_selectorIyjN6thrust23THRUST_200600_302600_NS4plusIjEEEEZZNS1_33reduce_by_key_impl_wrapped_configILNS1_25lookback_scan_determinismE0ES3_S9_NS6_6detail15normal_iteratorINS6_10device_ptrIyEEEENSD_INSE_IjEEEESG_SI_PmS8_NS6_8equal_toIyEEEE10hipError_tPvRmT2_T3_mT4_T5_T6_T7_T8_P12ihipStream_tbENKUlT_T0_E_clISt17integral_constantIbLb0EES12_IbLb1EEEEDaSY_SZ_EUlSY_E_NS1_11comp_targetILNS1_3genE10ELNS1_11target_archE1201ELNS1_3gpuE5ELNS1_3repE0EEENS1_30default_config_static_selectorELNS0_4arch9wavefront6targetE1EEEvT1_
    .private_segment_fixed_size: 0
    .sgpr_count:     4
    .sgpr_spill_count: 0
    .symbol:         _ZN7rocprim17ROCPRIM_400000_NS6detail17trampoline_kernelINS0_14default_configENS1_29reduce_by_key_config_selectorIyjN6thrust23THRUST_200600_302600_NS4plusIjEEEEZZNS1_33reduce_by_key_impl_wrapped_configILNS1_25lookback_scan_determinismE0ES3_S9_NS6_6detail15normal_iteratorINS6_10device_ptrIyEEEENSD_INSE_IjEEEESG_SI_PmS8_NS6_8equal_toIyEEEE10hipError_tPvRmT2_T3_mT4_T5_T6_T7_T8_P12ihipStream_tbENKUlT_T0_E_clISt17integral_constantIbLb0EES12_IbLb1EEEEDaSY_SZ_EUlSY_E_NS1_11comp_targetILNS1_3genE10ELNS1_11target_archE1201ELNS1_3gpuE5ELNS1_3repE0EEENS1_30default_config_static_selectorELNS0_4arch9wavefront6targetE1EEEvT1_.kd
    .uniform_work_group_size: 1
    .uses_dynamic_stack: false
    .vgpr_count:     0
    .vgpr_spill_count: 0
    .wavefront_size: 64
  - .agpr_count:     0
    .args:
      - .offset:         0
        .size:           120
        .value_kind:     by_value
    .group_segment_fixed_size: 0
    .kernarg_segment_align: 8
    .kernarg_segment_size: 120
    .language:       OpenCL C
    .language_version:
      - 2
      - 0
    .max_flat_workgroup_size: 256
    .name:           _ZN7rocprim17ROCPRIM_400000_NS6detail17trampoline_kernelINS0_14default_configENS1_29reduce_by_key_config_selectorIyjN6thrust23THRUST_200600_302600_NS4plusIjEEEEZZNS1_33reduce_by_key_impl_wrapped_configILNS1_25lookback_scan_determinismE0ES3_S9_NS6_6detail15normal_iteratorINS6_10device_ptrIyEEEENSD_INSE_IjEEEESG_SI_PmS8_NS6_8equal_toIyEEEE10hipError_tPvRmT2_T3_mT4_T5_T6_T7_T8_P12ihipStream_tbENKUlT_T0_E_clISt17integral_constantIbLb0EES12_IbLb1EEEEDaSY_SZ_EUlSY_E_NS1_11comp_targetILNS1_3genE10ELNS1_11target_archE1200ELNS1_3gpuE4ELNS1_3repE0EEENS1_30default_config_static_selectorELNS0_4arch9wavefront6targetE1EEEvT1_
    .private_segment_fixed_size: 0
    .sgpr_count:     4
    .sgpr_spill_count: 0
    .symbol:         _ZN7rocprim17ROCPRIM_400000_NS6detail17trampoline_kernelINS0_14default_configENS1_29reduce_by_key_config_selectorIyjN6thrust23THRUST_200600_302600_NS4plusIjEEEEZZNS1_33reduce_by_key_impl_wrapped_configILNS1_25lookback_scan_determinismE0ES3_S9_NS6_6detail15normal_iteratorINS6_10device_ptrIyEEEENSD_INSE_IjEEEESG_SI_PmS8_NS6_8equal_toIyEEEE10hipError_tPvRmT2_T3_mT4_T5_T6_T7_T8_P12ihipStream_tbENKUlT_T0_E_clISt17integral_constantIbLb0EES12_IbLb1EEEEDaSY_SZ_EUlSY_E_NS1_11comp_targetILNS1_3genE10ELNS1_11target_archE1200ELNS1_3gpuE4ELNS1_3repE0EEENS1_30default_config_static_selectorELNS0_4arch9wavefront6targetE1EEEvT1_.kd
    .uniform_work_group_size: 1
    .uses_dynamic_stack: false
    .vgpr_count:     0
    .vgpr_spill_count: 0
    .wavefront_size: 64
  - .agpr_count:     0
    .args:
      - .offset:         0
        .size:           120
        .value_kind:     by_value
    .group_segment_fixed_size: 0
    .kernarg_segment_align: 8
    .kernarg_segment_size: 120
    .language:       OpenCL C
    .language_version:
      - 2
      - 0
    .max_flat_workgroup_size: 256
    .name:           _ZN7rocprim17ROCPRIM_400000_NS6detail17trampoline_kernelINS0_14default_configENS1_29reduce_by_key_config_selectorIyjN6thrust23THRUST_200600_302600_NS4plusIjEEEEZZNS1_33reduce_by_key_impl_wrapped_configILNS1_25lookback_scan_determinismE0ES3_S9_NS6_6detail15normal_iteratorINS6_10device_ptrIyEEEENSD_INSE_IjEEEESG_SI_PmS8_NS6_8equal_toIyEEEE10hipError_tPvRmT2_T3_mT4_T5_T6_T7_T8_P12ihipStream_tbENKUlT_T0_E_clISt17integral_constantIbLb0EES12_IbLb1EEEEDaSY_SZ_EUlSY_E_NS1_11comp_targetILNS1_3genE9ELNS1_11target_archE1100ELNS1_3gpuE3ELNS1_3repE0EEENS1_30default_config_static_selectorELNS0_4arch9wavefront6targetE1EEEvT1_
    .private_segment_fixed_size: 0
    .sgpr_count:     4
    .sgpr_spill_count: 0
    .symbol:         _ZN7rocprim17ROCPRIM_400000_NS6detail17trampoline_kernelINS0_14default_configENS1_29reduce_by_key_config_selectorIyjN6thrust23THRUST_200600_302600_NS4plusIjEEEEZZNS1_33reduce_by_key_impl_wrapped_configILNS1_25lookback_scan_determinismE0ES3_S9_NS6_6detail15normal_iteratorINS6_10device_ptrIyEEEENSD_INSE_IjEEEESG_SI_PmS8_NS6_8equal_toIyEEEE10hipError_tPvRmT2_T3_mT4_T5_T6_T7_T8_P12ihipStream_tbENKUlT_T0_E_clISt17integral_constantIbLb0EES12_IbLb1EEEEDaSY_SZ_EUlSY_E_NS1_11comp_targetILNS1_3genE9ELNS1_11target_archE1100ELNS1_3gpuE3ELNS1_3repE0EEENS1_30default_config_static_selectorELNS0_4arch9wavefront6targetE1EEEvT1_.kd
    .uniform_work_group_size: 1
    .uses_dynamic_stack: false
    .vgpr_count:     0
    .vgpr_spill_count: 0
    .wavefront_size: 64
  - .agpr_count:     0
    .args:
      - .offset:         0
        .size:           120
        .value_kind:     by_value
    .group_segment_fixed_size: 0
    .kernarg_segment_align: 8
    .kernarg_segment_size: 120
    .language:       OpenCL C
    .language_version:
      - 2
      - 0
    .max_flat_workgroup_size: 256
    .name:           _ZN7rocprim17ROCPRIM_400000_NS6detail17trampoline_kernelINS0_14default_configENS1_29reduce_by_key_config_selectorIyjN6thrust23THRUST_200600_302600_NS4plusIjEEEEZZNS1_33reduce_by_key_impl_wrapped_configILNS1_25lookback_scan_determinismE0ES3_S9_NS6_6detail15normal_iteratorINS6_10device_ptrIyEEEENSD_INSE_IjEEEESG_SI_PmS8_NS6_8equal_toIyEEEE10hipError_tPvRmT2_T3_mT4_T5_T6_T7_T8_P12ihipStream_tbENKUlT_T0_E_clISt17integral_constantIbLb0EES12_IbLb1EEEEDaSY_SZ_EUlSY_E_NS1_11comp_targetILNS1_3genE8ELNS1_11target_archE1030ELNS1_3gpuE2ELNS1_3repE0EEENS1_30default_config_static_selectorELNS0_4arch9wavefront6targetE1EEEvT1_
    .private_segment_fixed_size: 0
    .sgpr_count:     4
    .sgpr_spill_count: 0
    .symbol:         _ZN7rocprim17ROCPRIM_400000_NS6detail17trampoline_kernelINS0_14default_configENS1_29reduce_by_key_config_selectorIyjN6thrust23THRUST_200600_302600_NS4plusIjEEEEZZNS1_33reduce_by_key_impl_wrapped_configILNS1_25lookback_scan_determinismE0ES3_S9_NS6_6detail15normal_iteratorINS6_10device_ptrIyEEEENSD_INSE_IjEEEESG_SI_PmS8_NS6_8equal_toIyEEEE10hipError_tPvRmT2_T3_mT4_T5_T6_T7_T8_P12ihipStream_tbENKUlT_T0_E_clISt17integral_constantIbLb0EES12_IbLb1EEEEDaSY_SZ_EUlSY_E_NS1_11comp_targetILNS1_3genE8ELNS1_11target_archE1030ELNS1_3gpuE2ELNS1_3repE0EEENS1_30default_config_static_selectorELNS0_4arch9wavefront6targetE1EEEvT1_.kd
    .uniform_work_group_size: 1
    .uses_dynamic_stack: false
    .vgpr_count:     0
    .vgpr_spill_count: 0
    .wavefront_size: 64
  - .agpr_count:     0
    .args:
      - .offset:         0
        .size:           120
        .value_kind:     by_value
    .group_segment_fixed_size: 0
    .kernarg_segment_align: 8
    .kernarg_segment_size: 120
    .language:       OpenCL C
    .language_version:
      - 2
      - 0
    .max_flat_workgroup_size: 256
    .name:           _ZN7rocprim17ROCPRIM_400000_NS6detail17trampoline_kernelINS0_14default_configENS1_29reduce_by_key_config_selectorItjN6thrust23THRUST_200600_302600_NS4plusIjEEEEZZNS1_33reduce_by_key_impl_wrapped_configILNS1_25lookback_scan_determinismE0ES3_S9_NS6_6detail15normal_iteratorINS6_10device_ptrItEEEENSD_INSE_IjEEEESG_SI_PmS8_NS6_8equal_toItEEEE10hipError_tPvRmT2_T3_mT4_T5_T6_T7_T8_P12ihipStream_tbENKUlT_T0_E_clISt17integral_constantIbLb0EES13_EEDaSY_SZ_EUlSY_E_NS1_11comp_targetILNS1_3genE0ELNS1_11target_archE4294967295ELNS1_3gpuE0ELNS1_3repE0EEENS1_30default_config_static_selectorELNS0_4arch9wavefront6targetE1EEEvT1_
    .private_segment_fixed_size: 0
    .sgpr_count:     4
    .sgpr_spill_count: 0
    .symbol:         _ZN7rocprim17ROCPRIM_400000_NS6detail17trampoline_kernelINS0_14default_configENS1_29reduce_by_key_config_selectorItjN6thrust23THRUST_200600_302600_NS4plusIjEEEEZZNS1_33reduce_by_key_impl_wrapped_configILNS1_25lookback_scan_determinismE0ES3_S9_NS6_6detail15normal_iteratorINS6_10device_ptrItEEEENSD_INSE_IjEEEESG_SI_PmS8_NS6_8equal_toItEEEE10hipError_tPvRmT2_T3_mT4_T5_T6_T7_T8_P12ihipStream_tbENKUlT_T0_E_clISt17integral_constantIbLb0EES13_EEDaSY_SZ_EUlSY_E_NS1_11comp_targetILNS1_3genE0ELNS1_11target_archE4294967295ELNS1_3gpuE0ELNS1_3repE0EEENS1_30default_config_static_selectorELNS0_4arch9wavefront6targetE1EEEvT1_.kd
    .uniform_work_group_size: 1
    .uses_dynamic_stack: false
    .vgpr_count:     0
    .vgpr_spill_count: 0
    .wavefront_size: 64
  - .agpr_count:     0
    .args:
      - .offset:         0
        .size:           120
        .value_kind:     by_value
    .group_segment_fixed_size: 0
    .kernarg_segment_align: 8
    .kernarg_segment_size: 120
    .language:       OpenCL C
    .language_version:
      - 2
      - 0
    .max_flat_workgroup_size: 256
    .name:           _ZN7rocprim17ROCPRIM_400000_NS6detail17trampoline_kernelINS0_14default_configENS1_29reduce_by_key_config_selectorItjN6thrust23THRUST_200600_302600_NS4plusIjEEEEZZNS1_33reduce_by_key_impl_wrapped_configILNS1_25lookback_scan_determinismE0ES3_S9_NS6_6detail15normal_iteratorINS6_10device_ptrItEEEENSD_INSE_IjEEEESG_SI_PmS8_NS6_8equal_toItEEEE10hipError_tPvRmT2_T3_mT4_T5_T6_T7_T8_P12ihipStream_tbENKUlT_T0_E_clISt17integral_constantIbLb0EES13_EEDaSY_SZ_EUlSY_E_NS1_11comp_targetILNS1_3genE5ELNS1_11target_archE942ELNS1_3gpuE9ELNS1_3repE0EEENS1_30default_config_static_selectorELNS0_4arch9wavefront6targetE1EEEvT1_
    .private_segment_fixed_size: 0
    .sgpr_count:     4
    .sgpr_spill_count: 0
    .symbol:         _ZN7rocprim17ROCPRIM_400000_NS6detail17trampoline_kernelINS0_14default_configENS1_29reduce_by_key_config_selectorItjN6thrust23THRUST_200600_302600_NS4plusIjEEEEZZNS1_33reduce_by_key_impl_wrapped_configILNS1_25lookback_scan_determinismE0ES3_S9_NS6_6detail15normal_iteratorINS6_10device_ptrItEEEENSD_INSE_IjEEEESG_SI_PmS8_NS6_8equal_toItEEEE10hipError_tPvRmT2_T3_mT4_T5_T6_T7_T8_P12ihipStream_tbENKUlT_T0_E_clISt17integral_constantIbLb0EES13_EEDaSY_SZ_EUlSY_E_NS1_11comp_targetILNS1_3genE5ELNS1_11target_archE942ELNS1_3gpuE9ELNS1_3repE0EEENS1_30default_config_static_selectorELNS0_4arch9wavefront6targetE1EEEvT1_.kd
    .uniform_work_group_size: 1
    .uses_dynamic_stack: false
    .vgpr_count:     0
    .vgpr_spill_count: 0
    .wavefront_size: 64
  - .agpr_count:     0
    .args:
      - .offset:         0
        .size:           120
        .value_kind:     by_value
    .group_segment_fixed_size: 15360
    .kernarg_segment_align: 8
    .kernarg_segment_size: 120
    .language:       OpenCL C
    .language_version:
      - 2
      - 0
    .max_flat_workgroup_size: 256
    .name:           _ZN7rocprim17ROCPRIM_400000_NS6detail17trampoline_kernelINS0_14default_configENS1_29reduce_by_key_config_selectorItjN6thrust23THRUST_200600_302600_NS4plusIjEEEEZZNS1_33reduce_by_key_impl_wrapped_configILNS1_25lookback_scan_determinismE0ES3_S9_NS6_6detail15normal_iteratorINS6_10device_ptrItEEEENSD_INSE_IjEEEESG_SI_PmS8_NS6_8equal_toItEEEE10hipError_tPvRmT2_T3_mT4_T5_T6_T7_T8_P12ihipStream_tbENKUlT_T0_E_clISt17integral_constantIbLb0EES13_EEDaSY_SZ_EUlSY_E_NS1_11comp_targetILNS1_3genE4ELNS1_11target_archE910ELNS1_3gpuE8ELNS1_3repE0EEENS1_30default_config_static_selectorELNS0_4arch9wavefront6targetE1EEEvT1_
    .private_segment_fixed_size: 0
    .sgpr_count:     68
    .sgpr_spill_count: 0
    .symbol:         _ZN7rocprim17ROCPRIM_400000_NS6detail17trampoline_kernelINS0_14default_configENS1_29reduce_by_key_config_selectorItjN6thrust23THRUST_200600_302600_NS4plusIjEEEEZZNS1_33reduce_by_key_impl_wrapped_configILNS1_25lookback_scan_determinismE0ES3_S9_NS6_6detail15normal_iteratorINS6_10device_ptrItEEEENSD_INSE_IjEEEESG_SI_PmS8_NS6_8equal_toItEEEE10hipError_tPvRmT2_T3_mT4_T5_T6_T7_T8_P12ihipStream_tbENKUlT_T0_E_clISt17integral_constantIbLb0EES13_EEDaSY_SZ_EUlSY_E_NS1_11comp_targetILNS1_3genE4ELNS1_11target_archE910ELNS1_3gpuE8ELNS1_3repE0EEENS1_30default_config_static_selectorELNS0_4arch9wavefront6targetE1EEEvT1_.kd
    .uniform_work_group_size: 1
    .uses_dynamic_stack: false
    .vgpr_count:     108
    .vgpr_spill_count: 0
    .wavefront_size: 64
  - .agpr_count:     0
    .args:
      - .offset:         0
        .size:           120
        .value_kind:     by_value
    .group_segment_fixed_size: 0
    .kernarg_segment_align: 8
    .kernarg_segment_size: 120
    .language:       OpenCL C
    .language_version:
      - 2
      - 0
    .max_flat_workgroup_size: 256
    .name:           _ZN7rocprim17ROCPRIM_400000_NS6detail17trampoline_kernelINS0_14default_configENS1_29reduce_by_key_config_selectorItjN6thrust23THRUST_200600_302600_NS4plusIjEEEEZZNS1_33reduce_by_key_impl_wrapped_configILNS1_25lookback_scan_determinismE0ES3_S9_NS6_6detail15normal_iteratorINS6_10device_ptrItEEEENSD_INSE_IjEEEESG_SI_PmS8_NS6_8equal_toItEEEE10hipError_tPvRmT2_T3_mT4_T5_T6_T7_T8_P12ihipStream_tbENKUlT_T0_E_clISt17integral_constantIbLb0EES13_EEDaSY_SZ_EUlSY_E_NS1_11comp_targetILNS1_3genE3ELNS1_11target_archE908ELNS1_3gpuE7ELNS1_3repE0EEENS1_30default_config_static_selectorELNS0_4arch9wavefront6targetE1EEEvT1_
    .private_segment_fixed_size: 0
    .sgpr_count:     4
    .sgpr_spill_count: 0
    .symbol:         _ZN7rocprim17ROCPRIM_400000_NS6detail17trampoline_kernelINS0_14default_configENS1_29reduce_by_key_config_selectorItjN6thrust23THRUST_200600_302600_NS4plusIjEEEEZZNS1_33reduce_by_key_impl_wrapped_configILNS1_25lookback_scan_determinismE0ES3_S9_NS6_6detail15normal_iteratorINS6_10device_ptrItEEEENSD_INSE_IjEEEESG_SI_PmS8_NS6_8equal_toItEEEE10hipError_tPvRmT2_T3_mT4_T5_T6_T7_T8_P12ihipStream_tbENKUlT_T0_E_clISt17integral_constantIbLb0EES13_EEDaSY_SZ_EUlSY_E_NS1_11comp_targetILNS1_3genE3ELNS1_11target_archE908ELNS1_3gpuE7ELNS1_3repE0EEENS1_30default_config_static_selectorELNS0_4arch9wavefront6targetE1EEEvT1_.kd
    .uniform_work_group_size: 1
    .uses_dynamic_stack: false
    .vgpr_count:     0
    .vgpr_spill_count: 0
    .wavefront_size: 64
  - .agpr_count:     0
    .args:
      - .offset:         0
        .size:           120
        .value_kind:     by_value
    .group_segment_fixed_size: 0
    .kernarg_segment_align: 8
    .kernarg_segment_size: 120
    .language:       OpenCL C
    .language_version:
      - 2
      - 0
    .max_flat_workgroup_size: 256
    .name:           _ZN7rocprim17ROCPRIM_400000_NS6detail17trampoline_kernelINS0_14default_configENS1_29reduce_by_key_config_selectorItjN6thrust23THRUST_200600_302600_NS4plusIjEEEEZZNS1_33reduce_by_key_impl_wrapped_configILNS1_25lookback_scan_determinismE0ES3_S9_NS6_6detail15normal_iteratorINS6_10device_ptrItEEEENSD_INSE_IjEEEESG_SI_PmS8_NS6_8equal_toItEEEE10hipError_tPvRmT2_T3_mT4_T5_T6_T7_T8_P12ihipStream_tbENKUlT_T0_E_clISt17integral_constantIbLb0EES13_EEDaSY_SZ_EUlSY_E_NS1_11comp_targetILNS1_3genE2ELNS1_11target_archE906ELNS1_3gpuE6ELNS1_3repE0EEENS1_30default_config_static_selectorELNS0_4arch9wavefront6targetE1EEEvT1_
    .private_segment_fixed_size: 0
    .sgpr_count:     4
    .sgpr_spill_count: 0
    .symbol:         _ZN7rocprim17ROCPRIM_400000_NS6detail17trampoline_kernelINS0_14default_configENS1_29reduce_by_key_config_selectorItjN6thrust23THRUST_200600_302600_NS4plusIjEEEEZZNS1_33reduce_by_key_impl_wrapped_configILNS1_25lookback_scan_determinismE0ES3_S9_NS6_6detail15normal_iteratorINS6_10device_ptrItEEEENSD_INSE_IjEEEESG_SI_PmS8_NS6_8equal_toItEEEE10hipError_tPvRmT2_T3_mT4_T5_T6_T7_T8_P12ihipStream_tbENKUlT_T0_E_clISt17integral_constantIbLb0EES13_EEDaSY_SZ_EUlSY_E_NS1_11comp_targetILNS1_3genE2ELNS1_11target_archE906ELNS1_3gpuE6ELNS1_3repE0EEENS1_30default_config_static_selectorELNS0_4arch9wavefront6targetE1EEEvT1_.kd
    .uniform_work_group_size: 1
    .uses_dynamic_stack: false
    .vgpr_count:     0
    .vgpr_spill_count: 0
    .wavefront_size: 64
  - .agpr_count:     0
    .args:
      - .offset:         0
        .size:           120
        .value_kind:     by_value
    .group_segment_fixed_size: 0
    .kernarg_segment_align: 8
    .kernarg_segment_size: 120
    .language:       OpenCL C
    .language_version:
      - 2
      - 0
    .max_flat_workgroup_size: 256
    .name:           _ZN7rocprim17ROCPRIM_400000_NS6detail17trampoline_kernelINS0_14default_configENS1_29reduce_by_key_config_selectorItjN6thrust23THRUST_200600_302600_NS4plusIjEEEEZZNS1_33reduce_by_key_impl_wrapped_configILNS1_25lookback_scan_determinismE0ES3_S9_NS6_6detail15normal_iteratorINS6_10device_ptrItEEEENSD_INSE_IjEEEESG_SI_PmS8_NS6_8equal_toItEEEE10hipError_tPvRmT2_T3_mT4_T5_T6_T7_T8_P12ihipStream_tbENKUlT_T0_E_clISt17integral_constantIbLb0EES13_EEDaSY_SZ_EUlSY_E_NS1_11comp_targetILNS1_3genE10ELNS1_11target_archE1201ELNS1_3gpuE5ELNS1_3repE0EEENS1_30default_config_static_selectorELNS0_4arch9wavefront6targetE1EEEvT1_
    .private_segment_fixed_size: 0
    .sgpr_count:     4
    .sgpr_spill_count: 0
    .symbol:         _ZN7rocprim17ROCPRIM_400000_NS6detail17trampoline_kernelINS0_14default_configENS1_29reduce_by_key_config_selectorItjN6thrust23THRUST_200600_302600_NS4plusIjEEEEZZNS1_33reduce_by_key_impl_wrapped_configILNS1_25lookback_scan_determinismE0ES3_S9_NS6_6detail15normal_iteratorINS6_10device_ptrItEEEENSD_INSE_IjEEEESG_SI_PmS8_NS6_8equal_toItEEEE10hipError_tPvRmT2_T3_mT4_T5_T6_T7_T8_P12ihipStream_tbENKUlT_T0_E_clISt17integral_constantIbLb0EES13_EEDaSY_SZ_EUlSY_E_NS1_11comp_targetILNS1_3genE10ELNS1_11target_archE1201ELNS1_3gpuE5ELNS1_3repE0EEENS1_30default_config_static_selectorELNS0_4arch9wavefront6targetE1EEEvT1_.kd
    .uniform_work_group_size: 1
    .uses_dynamic_stack: false
    .vgpr_count:     0
    .vgpr_spill_count: 0
    .wavefront_size: 64
  - .agpr_count:     0
    .args:
      - .offset:         0
        .size:           120
        .value_kind:     by_value
    .group_segment_fixed_size: 0
    .kernarg_segment_align: 8
    .kernarg_segment_size: 120
    .language:       OpenCL C
    .language_version:
      - 2
      - 0
    .max_flat_workgroup_size: 256
    .name:           _ZN7rocprim17ROCPRIM_400000_NS6detail17trampoline_kernelINS0_14default_configENS1_29reduce_by_key_config_selectorItjN6thrust23THRUST_200600_302600_NS4plusIjEEEEZZNS1_33reduce_by_key_impl_wrapped_configILNS1_25lookback_scan_determinismE0ES3_S9_NS6_6detail15normal_iteratorINS6_10device_ptrItEEEENSD_INSE_IjEEEESG_SI_PmS8_NS6_8equal_toItEEEE10hipError_tPvRmT2_T3_mT4_T5_T6_T7_T8_P12ihipStream_tbENKUlT_T0_E_clISt17integral_constantIbLb0EES13_EEDaSY_SZ_EUlSY_E_NS1_11comp_targetILNS1_3genE10ELNS1_11target_archE1200ELNS1_3gpuE4ELNS1_3repE0EEENS1_30default_config_static_selectorELNS0_4arch9wavefront6targetE1EEEvT1_
    .private_segment_fixed_size: 0
    .sgpr_count:     4
    .sgpr_spill_count: 0
    .symbol:         _ZN7rocprim17ROCPRIM_400000_NS6detail17trampoline_kernelINS0_14default_configENS1_29reduce_by_key_config_selectorItjN6thrust23THRUST_200600_302600_NS4plusIjEEEEZZNS1_33reduce_by_key_impl_wrapped_configILNS1_25lookback_scan_determinismE0ES3_S9_NS6_6detail15normal_iteratorINS6_10device_ptrItEEEENSD_INSE_IjEEEESG_SI_PmS8_NS6_8equal_toItEEEE10hipError_tPvRmT2_T3_mT4_T5_T6_T7_T8_P12ihipStream_tbENKUlT_T0_E_clISt17integral_constantIbLb0EES13_EEDaSY_SZ_EUlSY_E_NS1_11comp_targetILNS1_3genE10ELNS1_11target_archE1200ELNS1_3gpuE4ELNS1_3repE0EEENS1_30default_config_static_selectorELNS0_4arch9wavefront6targetE1EEEvT1_.kd
    .uniform_work_group_size: 1
    .uses_dynamic_stack: false
    .vgpr_count:     0
    .vgpr_spill_count: 0
    .wavefront_size: 64
  - .agpr_count:     0
    .args:
      - .offset:         0
        .size:           120
        .value_kind:     by_value
    .group_segment_fixed_size: 0
    .kernarg_segment_align: 8
    .kernarg_segment_size: 120
    .language:       OpenCL C
    .language_version:
      - 2
      - 0
    .max_flat_workgroup_size: 256
    .name:           _ZN7rocprim17ROCPRIM_400000_NS6detail17trampoline_kernelINS0_14default_configENS1_29reduce_by_key_config_selectorItjN6thrust23THRUST_200600_302600_NS4plusIjEEEEZZNS1_33reduce_by_key_impl_wrapped_configILNS1_25lookback_scan_determinismE0ES3_S9_NS6_6detail15normal_iteratorINS6_10device_ptrItEEEENSD_INSE_IjEEEESG_SI_PmS8_NS6_8equal_toItEEEE10hipError_tPvRmT2_T3_mT4_T5_T6_T7_T8_P12ihipStream_tbENKUlT_T0_E_clISt17integral_constantIbLb0EES13_EEDaSY_SZ_EUlSY_E_NS1_11comp_targetILNS1_3genE9ELNS1_11target_archE1100ELNS1_3gpuE3ELNS1_3repE0EEENS1_30default_config_static_selectorELNS0_4arch9wavefront6targetE1EEEvT1_
    .private_segment_fixed_size: 0
    .sgpr_count:     4
    .sgpr_spill_count: 0
    .symbol:         _ZN7rocprim17ROCPRIM_400000_NS6detail17trampoline_kernelINS0_14default_configENS1_29reduce_by_key_config_selectorItjN6thrust23THRUST_200600_302600_NS4plusIjEEEEZZNS1_33reduce_by_key_impl_wrapped_configILNS1_25lookback_scan_determinismE0ES3_S9_NS6_6detail15normal_iteratorINS6_10device_ptrItEEEENSD_INSE_IjEEEESG_SI_PmS8_NS6_8equal_toItEEEE10hipError_tPvRmT2_T3_mT4_T5_T6_T7_T8_P12ihipStream_tbENKUlT_T0_E_clISt17integral_constantIbLb0EES13_EEDaSY_SZ_EUlSY_E_NS1_11comp_targetILNS1_3genE9ELNS1_11target_archE1100ELNS1_3gpuE3ELNS1_3repE0EEENS1_30default_config_static_selectorELNS0_4arch9wavefront6targetE1EEEvT1_.kd
    .uniform_work_group_size: 1
    .uses_dynamic_stack: false
    .vgpr_count:     0
    .vgpr_spill_count: 0
    .wavefront_size: 64
  - .agpr_count:     0
    .args:
      - .offset:         0
        .size:           120
        .value_kind:     by_value
    .group_segment_fixed_size: 0
    .kernarg_segment_align: 8
    .kernarg_segment_size: 120
    .language:       OpenCL C
    .language_version:
      - 2
      - 0
    .max_flat_workgroup_size: 256
    .name:           _ZN7rocprim17ROCPRIM_400000_NS6detail17trampoline_kernelINS0_14default_configENS1_29reduce_by_key_config_selectorItjN6thrust23THRUST_200600_302600_NS4plusIjEEEEZZNS1_33reduce_by_key_impl_wrapped_configILNS1_25lookback_scan_determinismE0ES3_S9_NS6_6detail15normal_iteratorINS6_10device_ptrItEEEENSD_INSE_IjEEEESG_SI_PmS8_NS6_8equal_toItEEEE10hipError_tPvRmT2_T3_mT4_T5_T6_T7_T8_P12ihipStream_tbENKUlT_T0_E_clISt17integral_constantIbLb0EES13_EEDaSY_SZ_EUlSY_E_NS1_11comp_targetILNS1_3genE8ELNS1_11target_archE1030ELNS1_3gpuE2ELNS1_3repE0EEENS1_30default_config_static_selectorELNS0_4arch9wavefront6targetE1EEEvT1_
    .private_segment_fixed_size: 0
    .sgpr_count:     4
    .sgpr_spill_count: 0
    .symbol:         _ZN7rocprim17ROCPRIM_400000_NS6detail17trampoline_kernelINS0_14default_configENS1_29reduce_by_key_config_selectorItjN6thrust23THRUST_200600_302600_NS4plusIjEEEEZZNS1_33reduce_by_key_impl_wrapped_configILNS1_25lookback_scan_determinismE0ES3_S9_NS6_6detail15normal_iteratorINS6_10device_ptrItEEEENSD_INSE_IjEEEESG_SI_PmS8_NS6_8equal_toItEEEE10hipError_tPvRmT2_T3_mT4_T5_T6_T7_T8_P12ihipStream_tbENKUlT_T0_E_clISt17integral_constantIbLb0EES13_EEDaSY_SZ_EUlSY_E_NS1_11comp_targetILNS1_3genE8ELNS1_11target_archE1030ELNS1_3gpuE2ELNS1_3repE0EEENS1_30default_config_static_selectorELNS0_4arch9wavefront6targetE1EEEvT1_.kd
    .uniform_work_group_size: 1
    .uses_dynamic_stack: false
    .vgpr_count:     0
    .vgpr_spill_count: 0
    .wavefront_size: 64
  - .agpr_count:     0
    .args:
      - .offset:         0
        .size:           120
        .value_kind:     by_value
    .group_segment_fixed_size: 0
    .kernarg_segment_align: 8
    .kernarg_segment_size: 120
    .language:       OpenCL C
    .language_version:
      - 2
      - 0
    .max_flat_workgroup_size: 256
    .name:           _ZN7rocprim17ROCPRIM_400000_NS6detail17trampoline_kernelINS0_14default_configENS1_29reduce_by_key_config_selectorItjN6thrust23THRUST_200600_302600_NS4plusIjEEEEZZNS1_33reduce_by_key_impl_wrapped_configILNS1_25lookback_scan_determinismE0ES3_S9_NS6_6detail15normal_iteratorINS6_10device_ptrItEEEENSD_INSE_IjEEEESG_SI_PmS8_NS6_8equal_toItEEEE10hipError_tPvRmT2_T3_mT4_T5_T6_T7_T8_P12ihipStream_tbENKUlT_T0_E_clISt17integral_constantIbLb1EES13_EEDaSY_SZ_EUlSY_E_NS1_11comp_targetILNS1_3genE0ELNS1_11target_archE4294967295ELNS1_3gpuE0ELNS1_3repE0EEENS1_30default_config_static_selectorELNS0_4arch9wavefront6targetE1EEEvT1_
    .private_segment_fixed_size: 0
    .sgpr_count:     4
    .sgpr_spill_count: 0
    .symbol:         _ZN7rocprim17ROCPRIM_400000_NS6detail17trampoline_kernelINS0_14default_configENS1_29reduce_by_key_config_selectorItjN6thrust23THRUST_200600_302600_NS4plusIjEEEEZZNS1_33reduce_by_key_impl_wrapped_configILNS1_25lookback_scan_determinismE0ES3_S9_NS6_6detail15normal_iteratorINS6_10device_ptrItEEEENSD_INSE_IjEEEESG_SI_PmS8_NS6_8equal_toItEEEE10hipError_tPvRmT2_T3_mT4_T5_T6_T7_T8_P12ihipStream_tbENKUlT_T0_E_clISt17integral_constantIbLb1EES13_EEDaSY_SZ_EUlSY_E_NS1_11comp_targetILNS1_3genE0ELNS1_11target_archE4294967295ELNS1_3gpuE0ELNS1_3repE0EEENS1_30default_config_static_selectorELNS0_4arch9wavefront6targetE1EEEvT1_.kd
    .uniform_work_group_size: 1
    .uses_dynamic_stack: false
    .vgpr_count:     0
    .vgpr_spill_count: 0
    .wavefront_size: 64
  - .agpr_count:     0
    .args:
      - .offset:         0
        .size:           120
        .value_kind:     by_value
    .group_segment_fixed_size: 0
    .kernarg_segment_align: 8
    .kernarg_segment_size: 120
    .language:       OpenCL C
    .language_version:
      - 2
      - 0
    .max_flat_workgroup_size: 256
    .name:           _ZN7rocprim17ROCPRIM_400000_NS6detail17trampoline_kernelINS0_14default_configENS1_29reduce_by_key_config_selectorItjN6thrust23THRUST_200600_302600_NS4plusIjEEEEZZNS1_33reduce_by_key_impl_wrapped_configILNS1_25lookback_scan_determinismE0ES3_S9_NS6_6detail15normal_iteratorINS6_10device_ptrItEEEENSD_INSE_IjEEEESG_SI_PmS8_NS6_8equal_toItEEEE10hipError_tPvRmT2_T3_mT4_T5_T6_T7_T8_P12ihipStream_tbENKUlT_T0_E_clISt17integral_constantIbLb1EES13_EEDaSY_SZ_EUlSY_E_NS1_11comp_targetILNS1_3genE5ELNS1_11target_archE942ELNS1_3gpuE9ELNS1_3repE0EEENS1_30default_config_static_selectorELNS0_4arch9wavefront6targetE1EEEvT1_
    .private_segment_fixed_size: 0
    .sgpr_count:     4
    .sgpr_spill_count: 0
    .symbol:         _ZN7rocprim17ROCPRIM_400000_NS6detail17trampoline_kernelINS0_14default_configENS1_29reduce_by_key_config_selectorItjN6thrust23THRUST_200600_302600_NS4plusIjEEEEZZNS1_33reduce_by_key_impl_wrapped_configILNS1_25lookback_scan_determinismE0ES3_S9_NS6_6detail15normal_iteratorINS6_10device_ptrItEEEENSD_INSE_IjEEEESG_SI_PmS8_NS6_8equal_toItEEEE10hipError_tPvRmT2_T3_mT4_T5_T6_T7_T8_P12ihipStream_tbENKUlT_T0_E_clISt17integral_constantIbLb1EES13_EEDaSY_SZ_EUlSY_E_NS1_11comp_targetILNS1_3genE5ELNS1_11target_archE942ELNS1_3gpuE9ELNS1_3repE0EEENS1_30default_config_static_selectorELNS0_4arch9wavefront6targetE1EEEvT1_.kd
    .uniform_work_group_size: 1
    .uses_dynamic_stack: false
    .vgpr_count:     0
    .vgpr_spill_count: 0
    .wavefront_size: 64
  - .agpr_count:     0
    .args:
      - .offset:         0
        .size:           120
        .value_kind:     by_value
    .group_segment_fixed_size: 15360
    .kernarg_segment_align: 8
    .kernarg_segment_size: 120
    .language:       OpenCL C
    .language_version:
      - 2
      - 0
    .max_flat_workgroup_size: 256
    .name:           _ZN7rocprim17ROCPRIM_400000_NS6detail17trampoline_kernelINS0_14default_configENS1_29reduce_by_key_config_selectorItjN6thrust23THRUST_200600_302600_NS4plusIjEEEEZZNS1_33reduce_by_key_impl_wrapped_configILNS1_25lookback_scan_determinismE0ES3_S9_NS6_6detail15normal_iteratorINS6_10device_ptrItEEEENSD_INSE_IjEEEESG_SI_PmS8_NS6_8equal_toItEEEE10hipError_tPvRmT2_T3_mT4_T5_T6_T7_T8_P12ihipStream_tbENKUlT_T0_E_clISt17integral_constantIbLb1EES13_EEDaSY_SZ_EUlSY_E_NS1_11comp_targetILNS1_3genE4ELNS1_11target_archE910ELNS1_3gpuE8ELNS1_3repE0EEENS1_30default_config_static_selectorELNS0_4arch9wavefront6targetE1EEEvT1_
    .private_segment_fixed_size: 0
    .sgpr_count:     70
    .sgpr_spill_count: 0
    .symbol:         _ZN7rocprim17ROCPRIM_400000_NS6detail17trampoline_kernelINS0_14default_configENS1_29reduce_by_key_config_selectorItjN6thrust23THRUST_200600_302600_NS4plusIjEEEEZZNS1_33reduce_by_key_impl_wrapped_configILNS1_25lookback_scan_determinismE0ES3_S9_NS6_6detail15normal_iteratorINS6_10device_ptrItEEEENSD_INSE_IjEEEESG_SI_PmS8_NS6_8equal_toItEEEE10hipError_tPvRmT2_T3_mT4_T5_T6_T7_T8_P12ihipStream_tbENKUlT_T0_E_clISt17integral_constantIbLb1EES13_EEDaSY_SZ_EUlSY_E_NS1_11comp_targetILNS1_3genE4ELNS1_11target_archE910ELNS1_3gpuE8ELNS1_3repE0EEENS1_30default_config_static_selectorELNS0_4arch9wavefront6targetE1EEEvT1_.kd
    .uniform_work_group_size: 1
    .uses_dynamic_stack: false
    .vgpr_count:     108
    .vgpr_spill_count: 0
    .wavefront_size: 64
  - .agpr_count:     0
    .args:
      - .offset:         0
        .size:           120
        .value_kind:     by_value
    .group_segment_fixed_size: 0
    .kernarg_segment_align: 8
    .kernarg_segment_size: 120
    .language:       OpenCL C
    .language_version:
      - 2
      - 0
    .max_flat_workgroup_size: 256
    .name:           _ZN7rocprim17ROCPRIM_400000_NS6detail17trampoline_kernelINS0_14default_configENS1_29reduce_by_key_config_selectorItjN6thrust23THRUST_200600_302600_NS4plusIjEEEEZZNS1_33reduce_by_key_impl_wrapped_configILNS1_25lookback_scan_determinismE0ES3_S9_NS6_6detail15normal_iteratorINS6_10device_ptrItEEEENSD_INSE_IjEEEESG_SI_PmS8_NS6_8equal_toItEEEE10hipError_tPvRmT2_T3_mT4_T5_T6_T7_T8_P12ihipStream_tbENKUlT_T0_E_clISt17integral_constantIbLb1EES13_EEDaSY_SZ_EUlSY_E_NS1_11comp_targetILNS1_3genE3ELNS1_11target_archE908ELNS1_3gpuE7ELNS1_3repE0EEENS1_30default_config_static_selectorELNS0_4arch9wavefront6targetE1EEEvT1_
    .private_segment_fixed_size: 0
    .sgpr_count:     4
    .sgpr_spill_count: 0
    .symbol:         _ZN7rocprim17ROCPRIM_400000_NS6detail17trampoline_kernelINS0_14default_configENS1_29reduce_by_key_config_selectorItjN6thrust23THRUST_200600_302600_NS4plusIjEEEEZZNS1_33reduce_by_key_impl_wrapped_configILNS1_25lookback_scan_determinismE0ES3_S9_NS6_6detail15normal_iteratorINS6_10device_ptrItEEEENSD_INSE_IjEEEESG_SI_PmS8_NS6_8equal_toItEEEE10hipError_tPvRmT2_T3_mT4_T5_T6_T7_T8_P12ihipStream_tbENKUlT_T0_E_clISt17integral_constantIbLb1EES13_EEDaSY_SZ_EUlSY_E_NS1_11comp_targetILNS1_3genE3ELNS1_11target_archE908ELNS1_3gpuE7ELNS1_3repE0EEENS1_30default_config_static_selectorELNS0_4arch9wavefront6targetE1EEEvT1_.kd
    .uniform_work_group_size: 1
    .uses_dynamic_stack: false
    .vgpr_count:     0
    .vgpr_spill_count: 0
    .wavefront_size: 64
  - .agpr_count:     0
    .args:
      - .offset:         0
        .size:           120
        .value_kind:     by_value
    .group_segment_fixed_size: 0
    .kernarg_segment_align: 8
    .kernarg_segment_size: 120
    .language:       OpenCL C
    .language_version:
      - 2
      - 0
    .max_flat_workgroup_size: 256
    .name:           _ZN7rocprim17ROCPRIM_400000_NS6detail17trampoline_kernelINS0_14default_configENS1_29reduce_by_key_config_selectorItjN6thrust23THRUST_200600_302600_NS4plusIjEEEEZZNS1_33reduce_by_key_impl_wrapped_configILNS1_25lookback_scan_determinismE0ES3_S9_NS6_6detail15normal_iteratorINS6_10device_ptrItEEEENSD_INSE_IjEEEESG_SI_PmS8_NS6_8equal_toItEEEE10hipError_tPvRmT2_T3_mT4_T5_T6_T7_T8_P12ihipStream_tbENKUlT_T0_E_clISt17integral_constantIbLb1EES13_EEDaSY_SZ_EUlSY_E_NS1_11comp_targetILNS1_3genE2ELNS1_11target_archE906ELNS1_3gpuE6ELNS1_3repE0EEENS1_30default_config_static_selectorELNS0_4arch9wavefront6targetE1EEEvT1_
    .private_segment_fixed_size: 0
    .sgpr_count:     4
    .sgpr_spill_count: 0
    .symbol:         _ZN7rocprim17ROCPRIM_400000_NS6detail17trampoline_kernelINS0_14default_configENS1_29reduce_by_key_config_selectorItjN6thrust23THRUST_200600_302600_NS4plusIjEEEEZZNS1_33reduce_by_key_impl_wrapped_configILNS1_25lookback_scan_determinismE0ES3_S9_NS6_6detail15normal_iteratorINS6_10device_ptrItEEEENSD_INSE_IjEEEESG_SI_PmS8_NS6_8equal_toItEEEE10hipError_tPvRmT2_T3_mT4_T5_T6_T7_T8_P12ihipStream_tbENKUlT_T0_E_clISt17integral_constantIbLb1EES13_EEDaSY_SZ_EUlSY_E_NS1_11comp_targetILNS1_3genE2ELNS1_11target_archE906ELNS1_3gpuE6ELNS1_3repE0EEENS1_30default_config_static_selectorELNS0_4arch9wavefront6targetE1EEEvT1_.kd
    .uniform_work_group_size: 1
    .uses_dynamic_stack: false
    .vgpr_count:     0
    .vgpr_spill_count: 0
    .wavefront_size: 64
  - .agpr_count:     0
    .args:
      - .offset:         0
        .size:           120
        .value_kind:     by_value
    .group_segment_fixed_size: 0
    .kernarg_segment_align: 8
    .kernarg_segment_size: 120
    .language:       OpenCL C
    .language_version:
      - 2
      - 0
    .max_flat_workgroup_size: 256
    .name:           _ZN7rocprim17ROCPRIM_400000_NS6detail17trampoline_kernelINS0_14default_configENS1_29reduce_by_key_config_selectorItjN6thrust23THRUST_200600_302600_NS4plusIjEEEEZZNS1_33reduce_by_key_impl_wrapped_configILNS1_25lookback_scan_determinismE0ES3_S9_NS6_6detail15normal_iteratorINS6_10device_ptrItEEEENSD_INSE_IjEEEESG_SI_PmS8_NS6_8equal_toItEEEE10hipError_tPvRmT2_T3_mT4_T5_T6_T7_T8_P12ihipStream_tbENKUlT_T0_E_clISt17integral_constantIbLb1EES13_EEDaSY_SZ_EUlSY_E_NS1_11comp_targetILNS1_3genE10ELNS1_11target_archE1201ELNS1_3gpuE5ELNS1_3repE0EEENS1_30default_config_static_selectorELNS0_4arch9wavefront6targetE1EEEvT1_
    .private_segment_fixed_size: 0
    .sgpr_count:     4
    .sgpr_spill_count: 0
    .symbol:         _ZN7rocprim17ROCPRIM_400000_NS6detail17trampoline_kernelINS0_14default_configENS1_29reduce_by_key_config_selectorItjN6thrust23THRUST_200600_302600_NS4plusIjEEEEZZNS1_33reduce_by_key_impl_wrapped_configILNS1_25lookback_scan_determinismE0ES3_S9_NS6_6detail15normal_iteratorINS6_10device_ptrItEEEENSD_INSE_IjEEEESG_SI_PmS8_NS6_8equal_toItEEEE10hipError_tPvRmT2_T3_mT4_T5_T6_T7_T8_P12ihipStream_tbENKUlT_T0_E_clISt17integral_constantIbLb1EES13_EEDaSY_SZ_EUlSY_E_NS1_11comp_targetILNS1_3genE10ELNS1_11target_archE1201ELNS1_3gpuE5ELNS1_3repE0EEENS1_30default_config_static_selectorELNS0_4arch9wavefront6targetE1EEEvT1_.kd
    .uniform_work_group_size: 1
    .uses_dynamic_stack: false
    .vgpr_count:     0
    .vgpr_spill_count: 0
    .wavefront_size: 64
  - .agpr_count:     0
    .args:
      - .offset:         0
        .size:           120
        .value_kind:     by_value
    .group_segment_fixed_size: 0
    .kernarg_segment_align: 8
    .kernarg_segment_size: 120
    .language:       OpenCL C
    .language_version:
      - 2
      - 0
    .max_flat_workgroup_size: 256
    .name:           _ZN7rocprim17ROCPRIM_400000_NS6detail17trampoline_kernelINS0_14default_configENS1_29reduce_by_key_config_selectorItjN6thrust23THRUST_200600_302600_NS4plusIjEEEEZZNS1_33reduce_by_key_impl_wrapped_configILNS1_25lookback_scan_determinismE0ES3_S9_NS6_6detail15normal_iteratorINS6_10device_ptrItEEEENSD_INSE_IjEEEESG_SI_PmS8_NS6_8equal_toItEEEE10hipError_tPvRmT2_T3_mT4_T5_T6_T7_T8_P12ihipStream_tbENKUlT_T0_E_clISt17integral_constantIbLb1EES13_EEDaSY_SZ_EUlSY_E_NS1_11comp_targetILNS1_3genE10ELNS1_11target_archE1200ELNS1_3gpuE4ELNS1_3repE0EEENS1_30default_config_static_selectorELNS0_4arch9wavefront6targetE1EEEvT1_
    .private_segment_fixed_size: 0
    .sgpr_count:     4
    .sgpr_spill_count: 0
    .symbol:         _ZN7rocprim17ROCPRIM_400000_NS6detail17trampoline_kernelINS0_14default_configENS1_29reduce_by_key_config_selectorItjN6thrust23THRUST_200600_302600_NS4plusIjEEEEZZNS1_33reduce_by_key_impl_wrapped_configILNS1_25lookback_scan_determinismE0ES3_S9_NS6_6detail15normal_iteratorINS6_10device_ptrItEEEENSD_INSE_IjEEEESG_SI_PmS8_NS6_8equal_toItEEEE10hipError_tPvRmT2_T3_mT4_T5_T6_T7_T8_P12ihipStream_tbENKUlT_T0_E_clISt17integral_constantIbLb1EES13_EEDaSY_SZ_EUlSY_E_NS1_11comp_targetILNS1_3genE10ELNS1_11target_archE1200ELNS1_3gpuE4ELNS1_3repE0EEENS1_30default_config_static_selectorELNS0_4arch9wavefront6targetE1EEEvT1_.kd
    .uniform_work_group_size: 1
    .uses_dynamic_stack: false
    .vgpr_count:     0
    .vgpr_spill_count: 0
    .wavefront_size: 64
  - .agpr_count:     0
    .args:
      - .offset:         0
        .size:           120
        .value_kind:     by_value
    .group_segment_fixed_size: 0
    .kernarg_segment_align: 8
    .kernarg_segment_size: 120
    .language:       OpenCL C
    .language_version:
      - 2
      - 0
    .max_flat_workgroup_size: 256
    .name:           _ZN7rocprim17ROCPRIM_400000_NS6detail17trampoline_kernelINS0_14default_configENS1_29reduce_by_key_config_selectorItjN6thrust23THRUST_200600_302600_NS4plusIjEEEEZZNS1_33reduce_by_key_impl_wrapped_configILNS1_25lookback_scan_determinismE0ES3_S9_NS6_6detail15normal_iteratorINS6_10device_ptrItEEEENSD_INSE_IjEEEESG_SI_PmS8_NS6_8equal_toItEEEE10hipError_tPvRmT2_T3_mT4_T5_T6_T7_T8_P12ihipStream_tbENKUlT_T0_E_clISt17integral_constantIbLb1EES13_EEDaSY_SZ_EUlSY_E_NS1_11comp_targetILNS1_3genE9ELNS1_11target_archE1100ELNS1_3gpuE3ELNS1_3repE0EEENS1_30default_config_static_selectorELNS0_4arch9wavefront6targetE1EEEvT1_
    .private_segment_fixed_size: 0
    .sgpr_count:     4
    .sgpr_spill_count: 0
    .symbol:         _ZN7rocprim17ROCPRIM_400000_NS6detail17trampoline_kernelINS0_14default_configENS1_29reduce_by_key_config_selectorItjN6thrust23THRUST_200600_302600_NS4plusIjEEEEZZNS1_33reduce_by_key_impl_wrapped_configILNS1_25lookback_scan_determinismE0ES3_S9_NS6_6detail15normal_iteratorINS6_10device_ptrItEEEENSD_INSE_IjEEEESG_SI_PmS8_NS6_8equal_toItEEEE10hipError_tPvRmT2_T3_mT4_T5_T6_T7_T8_P12ihipStream_tbENKUlT_T0_E_clISt17integral_constantIbLb1EES13_EEDaSY_SZ_EUlSY_E_NS1_11comp_targetILNS1_3genE9ELNS1_11target_archE1100ELNS1_3gpuE3ELNS1_3repE0EEENS1_30default_config_static_selectorELNS0_4arch9wavefront6targetE1EEEvT1_.kd
    .uniform_work_group_size: 1
    .uses_dynamic_stack: false
    .vgpr_count:     0
    .vgpr_spill_count: 0
    .wavefront_size: 64
  - .agpr_count:     0
    .args:
      - .offset:         0
        .size:           120
        .value_kind:     by_value
    .group_segment_fixed_size: 0
    .kernarg_segment_align: 8
    .kernarg_segment_size: 120
    .language:       OpenCL C
    .language_version:
      - 2
      - 0
    .max_flat_workgroup_size: 256
    .name:           _ZN7rocprim17ROCPRIM_400000_NS6detail17trampoline_kernelINS0_14default_configENS1_29reduce_by_key_config_selectorItjN6thrust23THRUST_200600_302600_NS4plusIjEEEEZZNS1_33reduce_by_key_impl_wrapped_configILNS1_25lookback_scan_determinismE0ES3_S9_NS6_6detail15normal_iteratorINS6_10device_ptrItEEEENSD_INSE_IjEEEESG_SI_PmS8_NS6_8equal_toItEEEE10hipError_tPvRmT2_T3_mT4_T5_T6_T7_T8_P12ihipStream_tbENKUlT_T0_E_clISt17integral_constantIbLb1EES13_EEDaSY_SZ_EUlSY_E_NS1_11comp_targetILNS1_3genE8ELNS1_11target_archE1030ELNS1_3gpuE2ELNS1_3repE0EEENS1_30default_config_static_selectorELNS0_4arch9wavefront6targetE1EEEvT1_
    .private_segment_fixed_size: 0
    .sgpr_count:     4
    .sgpr_spill_count: 0
    .symbol:         _ZN7rocprim17ROCPRIM_400000_NS6detail17trampoline_kernelINS0_14default_configENS1_29reduce_by_key_config_selectorItjN6thrust23THRUST_200600_302600_NS4plusIjEEEEZZNS1_33reduce_by_key_impl_wrapped_configILNS1_25lookback_scan_determinismE0ES3_S9_NS6_6detail15normal_iteratorINS6_10device_ptrItEEEENSD_INSE_IjEEEESG_SI_PmS8_NS6_8equal_toItEEEE10hipError_tPvRmT2_T3_mT4_T5_T6_T7_T8_P12ihipStream_tbENKUlT_T0_E_clISt17integral_constantIbLb1EES13_EEDaSY_SZ_EUlSY_E_NS1_11comp_targetILNS1_3genE8ELNS1_11target_archE1030ELNS1_3gpuE2ELNS1_3repE0EEENS1_30default_config_static_selectorELNS0_4arch9wavefront6targetE1EEEvT1_.kd
    .uniform_work_group_size: 1
    .uses_dynamic_stack: false
    .vgpr_count:     0
    .vgpr_spill_count: 0
    .wavefront_size: 64
  - .agpr_count:     0
    .args:
      - .offset:         0
        .size:           120
        .value_kind:     by_value
    .group_segment_fixed_size: 0
    .kernarg_segment_align: 8
    .kernarg_segment_size: 120
    .language:       OpenCL C
    .language_version:
      - 2
      - 0
    .max_flat_workgroup_size: 256
    .name:           _ZN7rocprim17ROCPRIM_400000_NS6detail17trampoline_kernelINS0_14default_configENS1_29reduce_by_key_config_selectorItjN6thrust23THRUST_200600_302600_NS4plusIjEEEEZZNS1_33reduce_by_key_impl_wrapped_configILNS1_25lookback_scan_determinismE0ES3_S9_NS6_6detail15normal_iteratorINS6_10device_ptrItEEEENSD_INSE_IjEEEESG_SI_PmS8_NS6_8equal_toItEEEE10hipError_tPvRmT2_T3_mT4_T5_T6_T7_T8_P12ihipStream_tbENKUlT_T0_E_clISt17integral_constantIbLb1EES12_IbLb0EEEEDaSY_SZ_EUlSY_E_NS1_11comp_targetILNS1_3genE0ELNS1_11target_archE4294967295ELNS1_3gpuE0ELNS1_3repE0EEENS1_30default_config_static_selectorELNS0_4arch9wavefront6targetE1EEEvT1_
    .private_segment_fixed_size: 0
    .sgpr_count:     4
    .sgpr_spill_count: 0
    .symbol:         _ZN7rocprim17ROCPRIM_400000_NS6detail17trampoline_kernelINS0_14default_configENS1_29reduce_by_key_config_selectorItjN6thrust23THRUST_200600_302600_NS4plusIjEEEEZZNS1_33reduce_by_key_impl_wrapped_configILNS1_25lookback_scan_determinismE0ES3_S9_NS6_6detail15normal_iteratorINS6_10device_ptrItEEEENSD_INSE_IjEEEESG_SI_PmS8_NS6_8equal_toItEEEE10hipError_tPvRmT2_T3_mT4_T5_T6_T7_T8_P12ihipStream_tbENKUlT_T0_E_clISt17integral_constantIbLb1EES12_IbLb0EEEEDaSY_SZ_EUlSY_E_NS1_11comp_targetILNS1_3genE0ELNS1_11target_archE4294967295ELNS1_3gpuE0ELNS1_3repE0EEENS1_30default_config_static_selectorELNS0_4arch9wavefront6targetE1EEEvT1_.kd
    .uniform_work_group_size: 1
    .uses_dynamic_stack: false
    .vgpr_count:     0
    .vgpr_spill_count: 0
    .wavefront_size: 64
  - .agpr_count:     0
    .args:
      - .offset:         0
        .size:           120
        .value_kind:     by_value
    .group_segment_fixed_size: 0
    .kernarg_segment_align: 8
    .kernarg_segment_size: 120
    .language:       OpenCL C
    .language_version:
      - 2
      - 0
    .max_flat_workgroup_size: 256
    .name:           _ZN7rocprim17ROCPRIM_400000_NS6detail17trampoline_kernelINS0_14default_configENS1_29reduce_by_key_config_selectorItjN6thrust23THRUST_200600_302600_NS4plusIjEEEEZZNS1_33reduce_by_key_impl_wrapped_configILNS1_25lookback_scan_determinismE0ES3_S9_NS6_6detail15normal_iteratorINS6_10device_ptrItEEEENSD_INSE_IjEEEESG_SI_PmS8_NS6_8equal_toItEEEE10hipError_tPvRmT2_T3_mT4_T5_T6_T7_T8_P12ihipStream_tbENKUlT_T0_E_clISt17integral_constantIbLb1EES12_IbLb0EEEEDaSY_SZ_EUlSY_E_NS1_11comp_targetILNS1_3genE5ELNS1_11target_archE942ELNS1_3gpuE9ELNS1_3repE0EEENS1_30default_config_static_selectorELNS0_4arch9wavefront6targetE1EEEvT1_
    .private_segment_fixed_size: 0
    .sgpr_count:     4
    .sgpr_spill_count: 0
    .symbol:         _ZN7rocprim17ROCPRIM_400000_NS6detail17trampoline_kernelINS0_14default_configENS1_29reduce_by_key_config_selectorItjN6thrust23THRUST_200600_302600_NS4plusIjEEEEZZNS1_33reduce_by_key_impl_wrapped_configILNS1_25lookback_scan_determinismE0ES3_S9_NS6_6detail15normal_iteratorINS6_10device_ptrItEEEENSD_INSE_IjEEEESG_SI_PmS8_NS6_8equal_toItEEEE10hipError_tPvRmT2_T3_mT4_T5_T6_T7_T8_P12ihipStream_tbENKUlT_T0_E_clISt17integral_constantIbLb1EES12_IbLb0EEEEDaSY_SZ_EUlSY_E_NS1_11comp_targetILNS1_3genE5ELNS1_11target_archE942ELNS1_3gpuE9ELNS1_3repE0EEENS1_30default_config_static_selectorELNS0_4arch9wavefront6targetE1EEEvT1_.kd
    .uniform_work_group_size: 1
    .uses_dynamic_stack: false
    .vgpr_count:     0
    .vgpr_spill_count: 0
    .wavefront_size: 64
  - .agpr_count:     0
    .args:
      - .offset:         0
        .size:           120
        .value_kind:     by_value
    .group_segment_fixed_size: 15360
    .kernarg_segment_align: 8
    .kernarg_segment_size: 120
    .language:       OpenCL C
    .language_version:
      - 2
      - 0
    .max_flat_workgroup_size: 256
    .name:           _ZN7rocprim17ROCPRIM_400000_NS6detail17trampoline_kernelINS0_14default_configENS1_29reduce_by_key_config_selectorItjN6thrust23THRUST_200600_302600_NS4plusIjEEEEZZNS1_33reduce_by_key_impl_wrapped_configILNS1_25lookback_scan_determinismE0ES3_S9_NS6_6detail15normal_iteratorINS6_10device_ptrItEEEENSD_INSE_IjEEEESG_SI_PmS8_NS6_8equal_toItEEEE10hipError_tPvRmT2_T3_mT4_T5_T6_T7_T8_P12ihipStream_tbENKUlT_T0_E_clISt17integral_constantIbLb1EES12_IbLb0EEEEDaSY_SZ_EUlSY_E_NS1_11comp_targetILNS1_3genE4ELNS1_11target_archE910ELNS1_3gpuE8ELNS1_3repE0EEENS1_30default_config_static_selectorELNS0_4arch9wavefront6targetE1EEEvT1_
    .private_segment_fixed_size: 0
    .sgpr_count:     68
    .sgpr_spill_count: 0
    .symbol:         _ZN7rocprim17ROCPRIM_400000_NS6detail17trampoline_kernelINS0_14default_configENS1_29reduce_by_key_config_selectorItjN6thrust23THRUST_200600_302600_NS4plusIjEEEEZZNS1_33reduce_by_key_impl_wrapped_configILNS1_25lookback_scan_determinismE0ES3_S9_NS6_6detail15normal_iteratorINS6_10device_ptrItEEEENSD_INSE_IjEEEESG_SI_PmS8_NS6_8equal_toItEEEE10hipError_tPvRmT2_T3_mT4_T5_T6_T7_T8_P12ihipStream_tbENKUlT_T0_E_clISt17integral_constantIbLb1EES12_IbLb0EEEEDaSY_SZ_EUlSY_E_NS1_11comp_targetILNS1_3genE4ELNS1_11target_archE910ELNS1_3gpuE8ELNS1_3repE0EEENS1_30default_config_static_selectorELNS0_4arch9wavefront6targetE1EEEvT1_.kd
    .uniform_work_group_size: 1
    .uses_dynamic_stack: false
    .vgpr_count:     108
    .vgpr_spill_count: 0
    .wavefront_size: 64
  - .agpr_count:     0
    .args:
      - .offset:         0
        .size:           120
        .value_kind:     by_value
    .group_segment_fixed_size: 0
    .kernarg_segment_align: 8
    .kernarg_segment_size: 120
    .language:       OpenCL C
    .language_version:
      - 2
      - 0
    .max_flat_workgroup_size: 256
    .name:           _ZN7rocprim17ROCPRIM_400000_NS6detail17trampoline_kernelINS0_14default_configENS1_29reduce_by_key_config_selectorItjN6thrust23THRUST_200600_302600_NS4plusIjEEEEZZNS1_33reduce_by_key_impl_wrapped_configILNS1_25lookback_scan_determinismE0ES3_S9_NS6_6detail15normal_iteratorINS6_10device_ptrItEEEENSD_INSE_IjEEEESG_SI_PmS8_NS6_8equal_toItEEEE10hipError_tPvRmT2_T3_mT4_T5_T6_T7_T8_P12ihipStream_tbENKUlT_T0_E_clISt17integral_constantIbLb1EES12_IbLb0EEEEDaSY_SZ_EUlSY_E_NS1_11comp_targetILNS1_3genE3ELNS1_11target_archE908ELNS1_3gpuE7ELNS1_3repE0EEENS1_30default_config_static_selectorELNS0_4arch9wavefront6targetE1EEEvT1_
    .private_segment_fixed_size: 0
    .sgpr_count:     4
    .sgpr_spill_count: 0
    .symbol:         _ZN7rocprim17ROCPRIM_400000_NS6detail17trampoline_kernelINS0_14default_configENS1_29reduce_by_key_config_selectorItjN6thrust23THRUST_200600_302600_NS4plusIjEEEEZZNS1_33reduce_by_key_impl_wrapped_configILNS1_25lookback_scan_determinismE0ES3_S9_NS6_6detail15normal_iteratorINS6_10device_ptrItEEEENSD_INSE_IjEEEESG_SI_PmS8_NS6_8equal_toItEEEE10hipError_tPvRmT2_T3_mT4_T5_T6_T7_T8_P12ihipStream_tbENKUlT_T0_E_clISt17integral_constantIbLb1EES12_IbLb0EEEEDaSY_SZ_EUlSY_E_NS1_11comp_targetILNS1_3genE3ELNS1_11target_archE908ELNS1_3gpuE7ELNS1_3repE0EEENS1_30default_config_static_selectorELNS0_4arch9wavefront6targetE1EEEvT1_.kd
    .uniform_work_group_size: 1
    .uses_dynamic_stack: false
    .vgpr_count:     0
    .vgpr_spill_count: 0
    .wavefront_size: 64
  - .agpr_count:     0
    .args:
      - .offset:         0
        .size:           120
        .value_kind:     by_value
    .group_segment_fixed_size: 0
    .kernarg_segment_align: 8
    .kernarg_segment_size: 120
    .language:       OpenCL C
    .language_version:
      - 2
      - 0
    .max_flat_workgroup_size: 256
    .name:           _ZN7rocprim17ROCPRIM_400000_NS6detail17trampoline_kernelINS0_14default_configENS1_29reduce_by_key_config_selectorItjN6thrust23THRUST_200600_302600_NS4plusIjEEEEZZNS1_33reduce_by_key_impl_wrapped_configILNS1_25lookback_scan_determinismE0ES3_S9_NS6_6detail15normal_iteratorINS6_10device_ptrItEEEENSD_INSE_IjEEEESG_SI_PmS8_NS6_8equal_toItEEEE10hipError_tPvRmT2_T3_mT4_T5_T6_T7_T8_P12ihipStream_tbENKUlT_T0_E_clISt17integral_constantIbLb1EES12_IbLb0EEEEDaSY_SZ_EUlSY_E_NS1_11comp_targetILNS1_3genE2ELNS1_11target_archE906ELNS1_3gpuE6ELNS1_3repE0EEENS1_30default_config_static_selectorELNS0_4arch9wavefront6targetE1EEEvT1_
    .private_segment_fixed_size: 0
    .sgpr_count:     4
    .sgpr_spill_count: 0
    .symbol:         _ZN7rocprim17ROCPRIM_400000_NS6detail17trampoline_kernelINS0_14default_configENS1_29reduce_by_key_config_selectorItjN6thrust23THRUST_200600_302600_NS4plusIjEEEEZZNS1_33reduce_by_key_impl_wrapped_configILNS1_25lookback_scan_determinismE0ES3_S9_NS6_6detail15normal_iteratorINS6_10device_ptrItEEEENSD_INSE_IjEEEESG_SI_PmS8_NS6_8equal_toItEEEE10hipError_tPvRmT2_T3_mT4_T5_T6_T7_T8_P12ihipStream_tbENKUlT_T0_E_clISt17integral_constantIbLb1EES12_IbLb0EEEEDaSY_SZ_EUlSY_E_NS1_11comp_targetILNS1_3genE2ELNS1_11target_archE906ELNS1_3gpuE6ELNS1_3repE0EEENS1_30default_config_static_selectorELNS0_4arch9wavefront6targetE1EEEvT1_.kd
    .uniform_work_group_size: 1
    .uses_dynamic_stack: false
    .vgpr_count:     0
    .vgpr_spill_count: 0
    .wavefront_size: 64
  - .agpr_count:     0
    .args:
      - .offset:         0
        .size:           120
        .value_kind:     by_value
    .group_segment_fixed_size: 0
    .kernarg_segment_align: 8
    .kernarg_segment_size: 120
    .language:       OpenCL C
    .language_version:
      - 2
      - 0
    .max_flat_workgroup_size: 256
    .name:           _ZN7rocprim17ROCPRIM_400000_NS6detail17trampoline_kernelINS0_14default_configENS1_29reduce_by_key_config_selectorItjN6thrust23THRUST_200600_302600_NS4plusIjEEEEZZNS1_33reduce_by_key_impl_wrapped_configILNS1_25lookback_scan_determinismE0ES3_S9_NS6_6detail15normal_iteratorINS6_10device_ptrItEEEENSD_INSE_IjEEEESG_SI_PmS8_NS6_8equal_toItEEEE10hipError_tPvRmT2_T3_mT4_T5_T6_T7_T8_P12ihipStream_tbENKUlT_T0_E_clISt17integral_constantIbLb1EES12_IbLb0EEEEDaSY_SZ_EUlSY_E_NS1_11comp_targetILNS1_3genE10ELNS1_11target_archE1201ELNS1_3gpuE5ELNS1_3repE0EEENS1_30default_config_static_selectorELNS0_4arch9wavefront6targetE1EEEvT1_
    .private_segment_fixed_size: 0
    .sgpr_count:     4
    .sgpr_spill_count: 0
    .symbol:         _ZN7rocprim17ROCPRIM_400000_NS6detail17trampoline_kernelINS0_14default_configENS1_29reduce_by_key_config_selectorItjN6thrust23THRUST_200600_302600_NS4plusIjEEEEZZNS1_33reduce_by_key_impl_wrapped_configILNS1_25lookback_scan_determinismE0ES3_S9_NS6_6detail15normal_iteratorINS6_10device_ptrItEEEENSD_INSE_IjEEEESG_SI_PmS8_NS6_8equal_toItEEEE10hipError_tPvRmT2_T3_mT4_T5_T6_T7_T8_P12ihipStream_tbENKUlT_T0_E_clISt17integral_constantIbLb1EES12_IbLb0EEEEDaSY_SZ_EUlSY_E_NS1_11comp_targetILNS1_3genE10ELNS1_11target_archE1201ELNS1_3gpuE5ELNS1_3repE0EEENS1_30default_config_static_selectorELNS0_4arch9wavefront6targetE1EEEvT1_.kd
    .uniform_work_group_size: 1
    .uses_dynamic_stack: false
    .vgpr_count:     0
    .vgpr_spill_count: 0
    .wavefront_size: 64
  - .agpr_count:     0
    .args:
      - .offset:         0
        .size:           120
        .value_kind:     by_value
    .group_segment_fixed_size: 0
    .kernarg_segment_align: 8
    .kernarg_segment_size: 120
    .language:       OpenCL C
    .language_version:
      - 2
      - 0
    .max_flat_workgroup_size: 256
    .name:           _ZN7rocprim17ROCPRIM_400000_NS6detail17trampoline_kernelINS0_14default_configENS1_29reduce_by_key_config_selectorItjN6thrust23THRUST_200600_302600_NS4plusIjEEEEZZNS1_33reduce_by_key_impl_wrapped_configILNS1_25lookback_scan_determinismE0ES3_S9_NS6_6detail15normal_iteratorINS6_10device_ptrItEEEENSD_INSE_IjEEEESG_SI_PmS8_NS6_8equal_toItEEEE10hipError_tPvRmT2_T3_mT4_T5_T6_T7_T8_P12ihipStream_tbENKUlT_T0_E_clISt17integral_constantIbLb1EES12_IbLb0EEEEDaSY_SZ_EUlSY_E_NS1_11comp_targetILNS1_3genE10ELNS1_11target_archE1200ELNS1_3gpuE4ELNS1_3repE0EEENS1_30default_config_static_selectorELNS0_4arch9wavefront6targetE1EEEvT1_
    .private_segment_fixed_size: 0
    .sgpr_count:     4
    .sgpr_spill_count: 0
    .symbol:         _ZN7rocprim17ROCPRIM_400000_NS6detail17trampoline_kernelINS0_14default_configENS1_29reduce_by_key_config_selectorItjN6thrust23THRUST_200600_302600_NS4plusIjEEEEZZNS1_33reduce_by_key_impl_wrapped_configILNS1_25lookback_scan_determinismE0ES3_S9_NS6_6detail15normal_iteratorINS6_10device_ptrItEEEENSD_INSE_IjEEEESG_SI_PmS8_NS6_8equal_toItEEEE10hipError_tPvRmT2_T3_mT4_T5_T6_T7_T8_P12ihipStream_tbENKUlT_T0_E_clISt17integral_constantIbLb1EES12_IbLb0EEEEDaSY_SZ_EUlSY_E_NS1_11comp_targetILNS1_3genE10ELNS1_11target_archE1200ELNS1_3gpuE4ELNS1_3repE0EEENS1_30default_config_static_selectorELNS0_4arch9wavefront6targetE1EEEvT1_.kd
    .uniform_work_group_size: 1
    .uses_dynamic_stack: false
    .vgpr_count:     0
    .vgpr_spill_count: 0
    .wavefront_size: 64
  - .agpr_count:     0
    .args:
      - .offset:         0
        .size:           120
        .value_kind:     by_value
    .group_segment_fixed_size: 0
    .kernarg_segment_align: 8
    .kernarg_segment_size: 120
    .language:       OpenCL C
    .language_version:
      - 2
      - 0
    .max_flat_workgroup_size: 256
    .name:           _ZN7rocprim17ROCPRIM_400000_NS6detail17trampoline_kernelINS0_14default_configENS1_29reduce_by_key_config_selectorItjN6thrust23THRUST_200600_302600_NS4plusIjEEEEZZNS1_33reduce_by_key_impl_wrapped_configILNS1_25lookback_scan_determinismE0ES3_S9_NS6_6detail15normal_iteratorINS6_10device_ptrItEEEENSD_INSE_IjEEEESG_SI_PmS8_NS6_8equal_toItEEEE10hipError_tPvRmT2_T3_mT4_T5_T6_T7_T8_P12ihipStream_tbENKUlT_T0_E_clISt17integral_constantIbLb1EES12_IbLb0EEEEDaSY_SZ_EUlSY_E_NS1_11comp_targetILNS1_3genE9ELNS1_11target_archE1100ELNS1_3gpuE3ELNS1_3repE0EEENS1_30default_config_static_selectorELNS0_4arch9wavefront6targetE1EEEvT1_
    .private_segment_fixed_size: 0
    .sgpr_count:     4
    .sgpr_spill_count: 0
    .symbol:         _ZN7rocprim17ROCPRIM_400000_NS6detail17trampoline_kernelINS0_14default_configENS1_29reduce_by_key_config_selectorItjN6thrust23THRUST_200600_302600_NS4plusIjEEEEZZNS1_33reduce_by_key_impl_wrapped_configILNS1_25lookback_scan_determinismE0ES3_S9_NS6_6detail15normal_iteratorINS6_10device_ptrItEEEENSD_INSE_IjEEEESG_SI_PmS8_NS6_8equal_toItEEEE10hipError_tPvRmT2_T3_mT4_T5_T6_T7_T8_P12ihipStream_tbENKUlT_T0_E_clISt17integral_constantIbLb1EES12_IbLb0EEEEDaSY_SZ_EUlSY_E_NS1_11comp_targetILNS1_3genE9ELNS1_11target_archE1100ELNS1_3gpuE3ELNS1_3repE0EEENS1_30default_config_static_selectorELNS0_4arch9wavefront6targetE1EEEvT1_.kd
    .uniform_work_group_size: 1
    .uses_dynamic_stack: false
    .vgpr_count:     0
    .vgpr_spill_count: 0
    .wavefront_size: 64
  - .agpr_count:     0
    .args:
      - .offset:         0
        .size:           120
        .value_kind:     by_value
    .group_segment_fixed_size: 0
    .kernarg_segment_align: 8
    .kernarg_segment_size: 120
    .language:       OpenCL C
    .language_version:
      - 2
      - 0
    .max_flat_workgroup_size: 256
    .name:           _ZN7rocprim17ROCPRIM_400000_NS6detail17trampoline_kernelINS0_14default_configENS1_29reduce_by_key_config_selectorItjN6thrust23THRUST_200600_302600_NS4plusIjEEEEZZNS1_33reduce_by_key_impl_wrapped_configILNS1_25lookback_scan_determinismE0ES3_S9_NS6_6detail15normal_iteratorINS6_10device_ptrItEEEENSD_INSE_IjEEEESG_SI_PmS8_NS6_8equal_toItEEEE10hipError_tPvRmT2_T3_mT4_T5_T6_T7_T8_P12ihipStream_tbENKUlT_T0_E_clISt17integral_constantIbLb1EES12_IbLb0EEEEDaSY_SZ_EUlSY_E_NS1_11comp_targetILNS1_3genE8ELNS1_11target_archE1030ELNS1_3gpuE2ELNS1_3repE0EEENS1_30default_config_static_selectorELNS0_4arch9wavefront6targetE1EEEvT1_
    .private_segment_fixed_size: 0
    .sgpr_count:     4
    .sgpr_spill_count: 0
    .symbol:         _ZN7rocprim17ROCPRIM_400000_NS6detail17trampoline_kernelINS0_14default_configENS1_29reduce_by_key_config_selectorItjN6thrust23THRUST_200600_302600_NS4plusIjEEEEZZNS1_33reduce_by_key_impl_wrapped_configILNS1_25lookback_scan_determinismE0ES3_S9_NS6_6detail15normal_iteratorINS6_10device_ptrItEEEENSD_INSE_IjEEEESG_SI_PmS8_NS6_8equal_toItEEEE10hipError_tPvRmT2_T3_mT4_T5_T6_T7_T8_P12ihipStream_tbENKUlT_T0_E_clISt17integral_constantIbLb1EES12_IbLb0EEEEDaSY_SZ_EUlSY_E_NS1_11comp_targetILNS1_3genE8ELNS1_11target_archE1030ELNS1_3gpuE2ELNS1_3repE0EEENS1_30default_config_static_selectorELNS0_4arch9wavefront6targetE1EEEvT1_.kd
    .uniform_work_group_size: 1
    .uses_dynamic_stack: false
    .vgpr_count:     0
    .vgpr_spill_count: 0
    .wavefront_size: 64
  - .agpr_count:     0
    .args:
      - .offset:         0
        .size:           120
        .value_kind:     by_value
    .group_segment_fixed_size: 0
    .kernarg_segment_align: 8
    .kernarg_segment_size: 120
    .language:       OpenCL C
    .language_version:
      - 2
      - 0
    .max_flat_workgroup_size: 256
    .name:           _ZN7rocprim17ROCPRIM_400000_NS6detail17trampoline_kernelINS0_14default_configENS1_29reduce_by_key_config_selectorItjN6thrust23THRUST_200600_302600_NS4plusIjEEEEZZNS1_33reduce_by_key_impl_wrapped_configILNS1_25lookback_scan_determinismE0ES3_S9_NS6_6detail15normal_iteratorINS6_10device_ptrItEEEENSD_INSE_IjEEEESG_SI_PmS8_NS6_8equal_toItEEEE10hipError_tPvRmT2_T3_mT4_T5_T6_T7_T8_P12ihipStream_tbENKUlT_T0_E_clISt17integral_constantIbLb0EES12_IbLb1EEEEDaSY_SZ_EUlSY_E_NS1_11comp_targetILNS1_3genE0ELNS1_11target_archE4294967295ELNS1_3gpuE0ELNS1_3repE0EEENS1_30default_config_static_selectorELNS0_4arch9wavefront6targetE1EEEvT1_
    .private_segment_fixed_size: 0
    .sgpr_count:     4
    .sgpr_spill_count: 0
    .symbol:         _ZN7rocprim17ROCPRIM_400000_NS6detail17trampoline_kernelINS0_14default_configENS1_29reduce_by_key_config_selectorItjN6thrust23THRUST_200600_302600_NS4plusIjEEEEZZNS1_33reduce_by_key_impl_wrapped_configILNS1_25lookback_scan_determinismE0ES3_S9_NS6_6detail15normal_iteratorINS6_10device_ptrItEEEENSD_INSE_IjEEEESG_SI_PmS8_NS6_8equal_toItEEEE10hipError_tPvRmT2_T3_mT4_T5_T6_T7_T8_P12ihipStream_tbENKUlT_T0_E_clISt17integral_constantIbLb0EES12_IbLb1EEEEDaSY_SZ_EUlSY_E_NS1_11comp_targetILNS1_3genE0ELNS1_11target_archE4294967295ELNS1_3gpuE0ELNS1_3repE0EEENS1_30default_config_static_selectorELNS0_4arch9wavefront6targetE1EEEvT1_.kd
    .uniform_work_group_size: 1
    .uses_dynamic_stack: false
    .vgpr_count:     0
    .vgpr_spill_count: 0
    .wavefront_size: 64
  - .agpr_count:     0
    .args:
      - .offset:         0
        .size:           120
        .value_kind:     by_value
    .group_segment_fixed_size: 0
    .kernarg_segment_align: 8
    .kernarg_segment_size: 120
    .language:       OpenCL C
    .language_version:
      - 2
      - 0
    .max_flat_workgroup_size: 256
    .name:           _ZN7rocprim17ROCPRIM_400000_NS6detail17trampoline_kernelINS0_14default_configENS1_29reduce_by_key_config_selectorItjN6thrust23THRUST_200600_302600_NS4plusIjEEEEZZNS1_33reduce_by_key_impl_wrapped_configILNS1_25lookback_scan_determinismE0ES3_S9_NS6_6detail15normal_iteratorINS6_10device_ptrItEEEENSD_INSE_IjEEEESG_SI_PmS8_NS6_8equal_toItEEEE10hipError_tPvRmT2_T3_mT4_T5_T6_T7_T8_P12ihipStream_tbENKUlT_T0_E_clISt17integral_constantIbLb0EES12_IbLb1EEEEDaSY_SZ_EUlSY_E_NS1_11comp_targetILNS1_3genE5ELNS1_11target_archE942ELNS1_3gpuE9ELNS1_3repE0EEENS1_30default_config_static_selectorELNS0_4arch9wavefront6targetE1EEEvT1_
    .private_segment_fixed_size: 0
    .sgpr_count:     4
    .sgpr_spill_count: 0
    .symbol:         _ZN7rocprim17ROCPRIM_400000_NS6detail17trampoline_kernelINS0_14default_configENS1_29reduce_by_key_config_selectorItjN6thrust23THRUST_200600_302600_NS4plusIjEEEEZZNS1_33reduce_by_key_impl_wrapped_configILNS1_25lookback_scan_determinismE0ES3_S9_NS6_6detail15normal_iteratorINS6_10device_ptrItEEEENSD_INSE_IjEEEESG_SI_PmS8_NS6_8equal_toItEEEE10hipError_tPvRmT2_T3_mT4_T5_T6_T7_T8_P12ihipStream_tbENKUlT_T0_E_clISt17integral_constantIbLb0EES12_IbLb1EEEEDaSY_SZ_EUlSY_E_NS1_11comp_targetILNS1_3genE5ELNS1_11target_archE942ELNS1_3gpuE9ELNS1_3repE0EEENS1_30default_config_static_selectorELNS0_4arch9wavefront6targetE1EEEvT1_.kd
    .uniform_work_group_size: 1
    .uses_dynamic_stack: false
    .vgpr_count:     0
    .vgpr_spill_count: 0
    .wavefront_size: 64
  - .agpr_count:     0
    .args:
      - .offset:         0
        .size:           120
        .value_kind:     by_value
    .group_segment_fixed_size: 15360
    .kernarg_segment_align: 8
    .kernarg_segment_size: 120
    .language:       OpenCL C
    .language_version:
      - 2
      - 0
    .max_flat_workgroup_size: 256
    .name:           _ZN7rocprim17ROCPRIM_400000_NS6detail17trampoline_kernelINS0_14default_configENS1_29reduce_by_key_config_selectorItjN6thrust23THRUST_200600_302600_NS4plusIjEEEEZZNS1_33reduce_by_key_impl_wrapped_configILNS1_25lookback_scan_determinismE0ES3_S9_NS6_6detail15normal_iteratorINS6_10device_ptrItEEEENSD_INSE_IjEEEESG_SI_PmS8_NS6_8equal_toItEEEE10hipError_tPvRmT2_T3_mT4_T5_T6_T7_T8_P12ihipStream_tbENKUlT_T0_E_clISt17integral_constantIbLb0EES12_IbLb1EEEEDaSY_SZ_EUlSY_E_NS1_11comp_targetILNS1_3genE4ELNS1_11target_archE910ELNS1_3gpuE8ELNS1_3repE0EEENS1_30default_config_static_selectorELNS0_4arch9wavefront6targetE1EEEvT1_
    .private_segment_fixed_size: 0
    .sgpr_count:     70
    .sgpr_spill_count: 0
    .symbol:         _ZN7rocprim17ROCPRIM_400000_NS6detail17trampoline_kernelINS0_14default_configENS1_29reduce_by_key_config_selectorItjN6thrust23THRUST_200600_302600_NS4plusIjEEEEZZNS1_33reduce_by_key_impl_wrapped_configILNS1_25lookback_scan_determinismE0ES3_S9_NS6_6detail15normal_iteratorINS6_10device_ptrItEEEENSD_INSE_IjEEEESG_SI_PmS8_NS6_8equal_toItEEEE10hipError_tPvRmT2_T3_mT4_T5_T6_T7_T8_P12ihipStream_tbENKUlT_T0_E_clISt17integral_constantIbLb0EES12_IbLb1EEEEDaSY_SZ_EUlSY_E_NS1_11comp_targetILNS1_3genE4ELNS1_11target_archE910ELNS1_3gpuE8ELNS1_3repE0EEENS1_30default_config_static_selectorELNS0_4arch9wavefront6targetE1EEEvT1_.kd
    .uniform_work_group_size: 1
    .uses_dynamic_stack: false
    .vgpr_count:     108
    .vgpr_spill_count: 0
    .wavefront_size: 64
  - .agpr_count:     0
    .args:
      - .offset:         0
        .size:           120
        .value_kind:     by_value
    .group_segment_fixed_size: 0
    .kernarg_segment_align: 8
    .kernarg_segment_size: 120
    .language:       OpenCL C
    .language_version:
      - 2
      - 0
    .max_flat_workgroup_size: 256
    .name:           _ZN7rocprim17ROCPRIM_400000_NS6detail17trampoline_kernelINS0_14default_configENS1_29reduce_by_key_config_selectorItjN6thrust23THRUST_200600_302600_NS4plusIjEEEEZZNS1_33reduce_by_key_impl_wrapped_configILNS1_25lookback_scan_determinismE0ES3_S9_NS6_6detail15normal_iteratorINS6_10device_ptrItEEEENSD_INSE_IjEEEESG_SI_PmS8_NS6_8equal_toItEEEE10hipError_tPvRmT2_T3_mT4_T5_T6_T7_T8_P12ihipStream_tbENKUlT_T0_E_clISt17integral_constantIbLb0EES12_IbLb1EEEEDaSY_SZ_EUlSY_E_NS1_11comp_targetILNS1_3genE3ELNS1_11target_archE908ELNS1_3gpuE7ELNS1_3repE0EEENS1_30default_config_static_selectorELNS0_4arch9wavefront6targetE1EEEvT1_
    .private_segment_fixed_size: 0
    .sgpr_count:     4
    .sgpr_spill_count: 0
    .symbol:         _ZN7rocprim17ROCPRIM_400000_NS6detail17trampoline_kernelINS0_14default_configENS1_29reduce_by_key_config_selectorItjN6thrust23THRUST_200600_302600_NS4plusIjEEEEZZNS1_33reduce_by_key_impl_wrapped_configILNS1_25lookback_scan_determinismE0ES3_S9_NS6_6detail15normal_iteratorINS6_10device_ptrItEEEENSD_INSE_IjEEEESG_SI_PmS8_NS6_8equal_toItEEEE10hipError_tPvRmT2_T3_mT4_T5_T6_T7_T8_P12ihipStream_tbENKUlT_T0_E_clISt17integral_constantIbLb0EES12_IbLb1EEEEDaSY_SZ_EUlSY_E_NS1_11comp_targetILNS1_3genE3ELNS1_11target_archE908ELNS1_3gpuE7ELNS1_3repE0EEENS1_30default_config_static_selectorELNS0_4arch9wavefront6targetE1EEEvT1_.kd
    .uniform_work_group_size: 1
    .uses_dynamic_stack: false
    .vgpr_count:     0
    .vgpr_spill_count: 0
    .wavefront_size: 64
  - .agpr_count:     0
    .args:
      - .offset:         0
        .size:           120
        .value_kind:     by_value
    .group_segment_fixed_size: 0
    .kernarg_segment_align: 8
    .kernarg_segment_size: 120
    .language:       OpenCL C
    .language_version:
      - 2
      - 0
    .max_flat_workgroup_size: 256
    .name:           _ZN7rocprim17ROCPRIM_400000_NS6detail17trampoline_kernelINS0_14default_configENS1_29reduce_by_key_config_selectorItjN6thrust23THRUST_200600_302600_NS4plusIjEEEEZZNS1_33reduce_by_key_impl_wrapped_configILNS1_25lookback_scan_determinismE0ES3_S9_NS6_6detail15normal_iteratorINS6_10device_ptrItEEEENSD_INSE_IjEEEESG_SI_PmS8_NS6_8equal_toItEEEE10hipError_tPvRmT2_T3_mT4_T5_T6_T7_T8_P12ihipStream_tbENKUlT_T0_E_clISt17integral_constantIbLb0EES12_IbLb1EEEEDaSY_SZ_EUlSY_E_NS1_11comp_targetILNS1_3genE2ELNS1_11target_archE906ELNS1_3gpuE6ELNS1_3repE0EEENS1_30default_config_static_selectorELNS0_4arch9wavefront6targetE1EEEvT1_
    .private_segment_fixed_size: 0
    .sgpr_count:     4
    .sgpr_spill_count: 0
    .symbol:         _ZN7rocprim17ROCPRIM_400000_NS6detail17trampoline_kernelINS0_14default_configENS1_29reduce_by_key_config_selectorItjN6thrust23THRUST_200600_302600_NS4plusIjEEEEZZNS1_33reduce_by_key_impl_wrapped_configILNS1_25lookback_scan_determinismE0ES3_S9_NS6_6detail15normal_iteratorINS6_10device_ptrItEEEENSD_INSE_IjEEEESG_SI_PmS8_NS6_8equal_toItEEEE10hipError_tPvRmT2_T3_mT4_T5_T6_T7_T8_P12ihipStream_tbENKUlT_T0_E_clISt17integral_constantIbLb0EES12_IbLb1EEEEDaSY_SZ_EUlSY_E_NS1_11comp_targetILNS1_3genE2ELNS1_11target_archE906ELNS1_3gpuE6ELNS1_3repE0EEENS1_30default_config_static_selectorELNS0_4arch9wavefront6targetE1EEEvT1_.kd
    .uniform_work_group_size: 1
    .uses_dynamic_stack: false
    .vgpr_count:     0
    .vgpr_spill_count: 0
    .wavefront_size: 64
  - .agpr_count:     0
    .args:
      - .offset:         0
        .size:           120
        .value_kind:     by_value
    .group_segment_fixed_size: 0
    .kernarg_segment_align: 8
    .kernarg_segment_size: 120
    .language:       OpenCL C
    .language_version:
      - 2
      - 0
    .max_flat_workgroup_size: 256
    .name:           _ZN7rocprim17ROCPRIM_400000_NS6detail17trampoline_kernelINS0_14default_configENS1_29reduce_by_key_config_selectorItjN6thrust23THRUST_200600_302600_NS4plusIjEEEEZZNS1_33reduce_by_key_impl_wrapped_configILNS1_25lookback_scan_determinismE0ES3_S9_NS6_6detail15normal_iteratorINS6_10device_ptrItEEEENSD_INSE_IjEEEESG_SI_PmS8_NS6_8equal_toItEEEE10hipError_tPvRmT2_T3_mT4_T5_T6_T7_T8_P12ihipStream_tbENKUlT_T0_E_clISt17integral_constantIbLb0EES12_IbLb1EEEEDaSY_SZ_EUlSY_E_NS1_11comp_targetILNS1_3genE10ELNS1_11target_archE1201ELNS1_3gpuE5ELNS1_3repE0EEENS1_30default_config_static_selectorELNS0_4arch9wavefront6targetE1EEEvT1_
    .private_segment_fixed_size: 0
    .sgpr_count:     4
    .sgpr_spill_count: 0
    .symbol:         _ZN7rocprim17ROCPRIM_400000_NS6detail17trampoline_kernelINS0_14default_configENS1_29reduce_by_key_config_selectorItjN6thrust23THRUST_200600_302600_NS4plusIjEEEEZZNS1_33reduce_by_key_impl_wrapped_configILNS1_25lookback_scan_determinismE0ES3_S9_NS6_6detail15normal_iteratorINS6_10device_ptrItEEEENSD_INSE_IjEEEESG_SI_PmS8_NS6_8equal_toItEEEE10hipError_tPvRmT2_T3_mT4_T5_T6_T7_T8_P12ihipStream_tbENKUlT_T0_E_clISt17integral_constantIbLb0EES12_IbLb1EEEEDaSY_SZ_EUlSY_E_NS1_11comp_targetILNS1_3genE10ELNS1_11target_archE1201ELNS1_3gpuE5ELNS1_3repE0EEENS1_30default_config_static_selectorELNS0_4arch9wavefront6targetE1EEEvT1_.kd
    .uniform_work_group_size: 1
    .uses_dynamic_stack: false
    .vgpr_count:     0
    .vgpr_spill_count: 0
    .wavefront_size: 64
  - .agpr_count:     0
    .args:
      - .offset:         0
        .size:           120
        .value_kind:     by_value
    .group_segment_fixed_size: 0
    .kernarg_segment_align: 8
    .kernarg_segment_size: 120
    .language:       OpenCL C
    .language_version:
      - 2
      - 0
    .max_flat_workgroup_size: 256
    .name:           _ZN7rocprim17ROCPRIM_400000_NS6detail17trampoline_kernelINS0_14default_configENS1_29reduce_by_key_config_selectorItjN6thrust23THRUST_200600_302600_NS4plusIjEEEEZZNS1_33reduce_by_key_impl_wrapped_configILNS1_25lookback_scan_determinismE0ES3_S9_NS6_6detail15normal_iteratorINS6_10device_ptrItEEEENSD_INSE_IjEEEESG_SI_PmS8_NS6_8equal_toItEEEE10hipError_tPvRmT2_T3_mT4_T5_T6_T7_T8_P12ihipStream_tbENKUlT_T0_E_clISt17integral_constantIbLb0EES12_IbLb1EEEEDaSY_SZ_EUlSY_E_NS1_11comp_targetILNS1_3genE10ELNS1_11target_archE1200ELNS1_3gpuE4ELNS1_3repE0EEENS1_30default_config_static_selectorELNS0_4arch9wavefront6targetE1EEEvT1_
    .private_segment_fixed_size: 0
    .sgpr_count:     4
    .sgpr_spill_count: 0
    .symbol:         _ZN7rocprim17ROCPRIM_400000_NS6detail17trampoline_kernelINS0_14default_configENS1_29reduce_by_key_config_selectorItjN6thrust23THRUST_200600_302600_NS4plusIjEEEEZZNS1_33reduce_by_key_impl_wrapped_configILNS1_25lookback_scan_determinismE0ES3_S9_NS6_6detail15normal_iteratorINS6_10device_ptrItEEEENSD_INSE_IjEEEESG_SI_PmS8_NS6_8equal_toItEEEE10hipError_tPvRmT2_T3_mT4_T5_T6_T7_T8_P12ihipStream_tbENKUlT_T0_E_clISt17integral_constantIbLb0EES12_IbLb1EEEEDaSY_SZ_EUlSY_E_NS1_11comp_targetILNS1_3genE10ELNS1_11target_archE1200ELNS1_3gpuE4ELNS1_3repE0EEENS1_30default_config_static_selectorELNS0_4arch9wavefront6targetE1EEEvT1_.kd
    .uniform_work_group_size: 1
    .uses_dynamic_stack: false
    .vgpr_count:     0
    .vgpr_spill_count: 0
    .wavefront_size: 64
  - .agpr_count:     0
    .args:
      - .offset:         0
        .size:           120
        .value_kind:     by_value
    .group_segment_fixed_size: 0
    .kernarg_segment_align: 8
    .kernarg_segment_size: 120
    .language:       OpenCL C
    .language_version:
      - 2
      - 0
    .max_flat_workgroup_size: 256
    .name:           _ZN7rocprim17ROCPRIM_400000_NS6detail17trampoline_kernelINS0_14default_configENS1_29reduce_by_key_config_selectorItjN6thrust23THRUST_200600_302600_NS4plusIjEEEEZZNS1_33reduce_by_key_impl_wrapped_configILNS1_25lookback_scan_determinismE0ES3_S9_NS6_6detail15normal_iteratorINS6_10device_ptrItEEEENSD_INSE_IjEEEESG_SI_PmS8_NS6_8equal_toItEEEE10hipError_tPvRmT2_T3_mT4_T5_T6_T7_T8_P12ihipStream_tbENKUlT_T0_E_clISt17integral_constantIbLb0EES12_IbLb1EEEEDaSY_SZ_EUlSY_E_NS1_11comp_targetILNS1_3genE9ELNS1_11target_archE1100ELNS1_3gpuE3ELNS1_3repE0EEENS1_30default_config_static_selectorELNS0_4arch9wavefront6targetE1EEEvT1_
    .private_segment_fixed_size: 0
    .sgpr_count:     4
    .sgpr_spill_count: 0
    .symbol:         _ZN7rocprim17ROCPRIM_400000_NS6detail17trampoline_kernelINS0_14default_configENS1_29reduce_by_key_config_selectorItjN6thrust23THRUST_200600_302600_NS4plusIjEEEEZZNS1_33reduce_by_key_impl_wrapped_configILNS1_25lookback_scan_determinismE0ES3_S9_NS6_6detail15normal_iteratorINS6_10device_ptrItEEEENSD_INSE_IjEEEESG_SI_PmS8_NS6_8equal_toItEEEE10hipError_tPvRmT2_T3_mT4_T5_T6_T7_T8_P12ihipStream_tbENKUlT_T0_E_clISt17integral_constantIbLb0EES12_IbLb1EEEEDaSY_SZ_EUlSY_E_NS1_11comp_targetILNS1_3genE9ELNS1_11target_archE1100ELNS1_3gpuE3ELNS1_3repE0EEENS1_30default_config_static_selectorELNS0_4arch9wavefront6targetE1EEEvT1_.kd
    .uniform_work_group_size: 1
    .uses_dynamic_stack: false
    .vgpr_count:     0
    .vgpr_spill_count: 0
    .wavefront_size: 64
  - .agpr_count:     0
    .args:
      - .offset:         0
        .size:           120
        .value_kind:     by_value
    .group_segment_fixed_size: 0
    .kernarg_segment_align: 8
    .kernarg_segment_size: 120
    .language:       OpenCL C
    .language_version:
      - 2
      - 0
    .max_flat_workgroup_size: 256
    .name:           _ZN7rocprim17ROCPRIM_400000_NS6detail17trampoline_kernelINS0_14default_configENS1_29reduce_by_key_config_selectorItjN6thrust23THRUST_200600_302600_NS4plusIjEEEEZZNS1_33reduce_by_key_impl_wrapped_configILNS1_25lookback_scan_determinismE0ES3_S9_NS6_6detail15normal_iteratorINS6_10device_ptrItEEEENSD_INSE_IjEEEESG_SI_PmS8_NS6_8equal_toItEEEE10hipError_tPvRmT2_T3_mT4_T5_T6_T7_T8_P12ihipStream_tbENKUlT_T0_E_clISt17integral_constantIbLb0EES12_IbLb1EEEEDaSY_SZ_EUlSY_E_NS1_11comp_targetILNS1_3genE8ELNS1_11target_archE1030ELNS1_3gpuE2ELNS1_3repE0EEENS1_30default_config_static_selectorELNS0_4arch9wavefront6targetE1EEEvT1_
    .private_segment_fixed_size: 0
    .sgpr_count:     4
    .sgpr_spill_count: 0
    .symbol:         _ZN7rocprim17ROCPRIM_400000_NS6detail17trampoline_kernelINS0_14default_configENS1_29reduce_by_key_config_selectorItjN6thrust23THRUST_200600_302600_NS4plusIjEEEEZZNS1_33reduce_by_key_impl_wrapped_configILNS1_25lookback_scan_determinismE0ES3_S9_NS6_6detail15normal_iteratorINS6_10device_ptrItEEEENSD_INSE_IjEEEESG_SI_PmS8_NS6_8equal_toItEEEE10hipError_tPvRmT2_T3_mT4_T5_T6_T7_T8_P12ihipStream_tbENKUlT_T0_E_clISt17integral_constantIbLb0EES12_IbLb1EEEEDaSY_SZ_EUlSY_E_NS1_11comp_targetILNS1_3genE8ELNS1_11target_archE1030ELNS1_3gpuE2ELNS1_3repE0EEENS1_30default_config_static_selectorELNS0_4arch9wavefront6targetE1EEEvT1_.kd
    .uniform_work_group_size: 1
    .uses_dynamic_stack: false
    .vgpr_count:     0
    .vgpr_spill_count: 0
    .wavefront_size: 64
  - .agpr_count:     0
    .args:
      - .offset:         0
        .size:           120
        .value_kind:     by_value
    .group_segment_fixed_size: 0
    .kernarg_segment_align: 8
    .kernarg_segment_size: 120
    .language:       OpenCL C
    .language_version:
      - 2
      - 0
    .max_flat_workgroup_size: 256
    .name:           _ZN7rocprim17ROCPRIM_400000_NS6detail17trampoline_kernelINS0_14default_configENS1_29reduce_by_key_config_selectorIxjN6thrust23THRUST_200600_302600_NS4plusIjEEEEZZNS1_33reduce_by_key_impl_wrapped_configILNS1_25lookback_scan_determinismE0ES3_S9_NS6_6detail15normal_iteratorINS6_10device_ptrIxEEEENSD_INSE_IjEEEESG_SI_PmS8_NS6_8equal_toIxEEEE10hipError_tPvRmT2_T3_mT4_T5_T6_T7_T8_P12ihipStream_tbENKUlT_T0_E_clISt17integral_constantIbLb0EES13_EEDaSY_SZ_EUlSY_E_NS1_11comp_targetILNS1_3genE0ELNS1_11target_archE4294967295ELNS1_3gpuE0ELNS1_3repE0EEENS1_30default_config_static_selectorELNS0_4arch9wavefront6targetE1EEEvT1_
    .private_segment_fixed_size: 0
    .sgpr_count:     4
    .sgpr_spill_count: 0
    .symbol:         _ZN7rocprim17ROCPRIM_400000_NS6detail17trampoline_kernelINS0_14default_configENS1_29reduce_by_key_config_selectorIxjN6thrust23THRUST_200600_302600_NS4plusIjEEEEZZNS1_33reduce_by_key_impl_wrapped_configILNS1_25lookback_scan_determinismE0ES3_S9_NS6_6detail15normal_iteratorINS6_10device_ptrIxEEEENSD_INSE_IjEEEESG_SI_PmS8_NS6_8equal_toIxEEEE10hipError_tPvRmT2_T3_mT4_T5_T6_T7_T8_P12ihipStream_tbENKUlT_T0_E_clISt17integral_constantIbLb0EES13_EEDaSY_SZ_EUlSY_E_NS1_11comp_targetILNS1_3genE0ELNS1_11target_archE4294967295ELNS1_3gpuE0ELNS1_3repE0EEENS1_30default_config_static_selectorELNS0_4arch9wavefront6targetE1EEEvT1_.kd
    .uniform_work_group_size: 1
    .uses_dynamic_stack: false
    .vgpr_count:     0
    .vgpr_spill_count: 0
    .wavefront_size: 64
  - .agpr_count:     0
    .args:
      - .offset:         0
        .size:           120
        .value_kind:     by_value
    .group_segment_fixed_size: 0
    .kernarg_segment_align: 8
    .kernarg_segment_size: 120
    .language:       OpenCL C
    .language_version:
      - 2
      - 0
    .max_flat_workgroup_size: 256
    .name:           _ZN7rocprim17ROCPRIM_400000_NS6detail17trampoline_kernelINS0_14default_configENS1_29reduce_by_key_config_selectorIxjN6thrust23THRUST_200600_302600_NS4plusIjEEEEZZNS1_33reduce_by_key_impl_wrapped_configILNS1_25lookback_scan_determinismE0ES3_S9_NS6_6detail15normal_iteratorINS6_10device_ptrIxEEEENSD_INSE_IjEEEESG_SI_PmS8_NS6_8equal_toIxEEEE10hipError_tPvRmT2_T3_mT4_T5_T6_T7_T8_P12ihipStream_tbENKUlT_T0_E_clISt17integral_constantIbLb0EES13_EEDaSY_SZ_EUlSY_E_NS1_11comp_targetILNS1_3genE5ELNS1_11target_archE942ELNS1_3gpuE9ELNS1_3repE0EEENS1_30default_config_static_selectorELNS0_4arch9wavefront6targetE1EEEvT1_
    .private_segment_fixed_size: 0
    .sgpr_count:     4
    .sgpr_spill_count: 0
    .symbol:         _ZN7rocprim17ROCPRIM_400000_NS6detail17trampoline_kernelINS0_14default_configENS1_29reduce_by_key_config_selectorIxjN6thrust23THRUST_200600_302600_NS4plusIjEEEEZZNS1_33reduce_by_key_impl_wrapped_configILNS1_25lookback_scan_determinismE0ES3_S9_NS6_6detail15normal_iteratorINS6_10device_ptrIxEEEENSD_INSE_IjEEEESG_SI_PmS8_NS6_8equal_toIxEEEE10hipError_tPvRmT2_T3_mT4_T5_T6_T7_T8_P12ihipStream_tbENKUlT_T0_E_clISt17integral_constantIbLb0EES13_EEDaSY_SZ_EUlSY_E_NS1_11comp_targetILNS1_3genE5ELNS1_11target_archE942ELNS1_3gpuE9ELNS1_3repE0EEENS1_30default_config_static_selectorELNS0_4arch9wavefront6targetE1EEEvT1_.kd
    .uniform_work_group_size: 1
    .uses_dynamic_stack: false
    .vgpr_count:     0
    .vgpr_spill_count: 0
    .wavefront_size: 64
  - .agpr_count:     0
    .args:
      - .offset:         0
        .size:           120
        .value_kind:     by_value
    .group_segment_fixed_size: 30720
    .kernarg_segment_align: 8
    .kernarg_segment_size: 120
    .language:       OpenCL C
    .language_version:
      - 2
      - 0
    .max_flat_workgroup_size: 256
    .name:           _ZN7rocprim17ROCPRIM_400000_NS6detail17trampoline_kernelINS0_14default_configENS1_29reduce_by_key_config_selectorIxjN6thrust23THRUST_200600_302600_NS4plusIjEEEEZZNS1_33reduce_by_key_impl_wrapped_configILNS1_25lookback_scan_determinismE0ES3_S9_NS6_6detail15normal_iteratorINS6_10device_ptrIxEEEENSD_INSE_IjEEEESG_SI_PmS8_NS6_8equal_toIxEEEE10hipError_tPvRmT2_T3_mT4_T5_T6_T7_T8_P12ihipStream_tbENKUlT_T0_E_clISt17integral_constantIbLb0EES13_EEDaSY_SZ_EUlSY_E_NS1_11comp_targetILNS1_3genE4ELNS1_11target_archE910ELNS1_3gpuE8ELNS1_3repE0EEENS1_30default_config_static_selectorELNS0_4arch9wavefront6targetE1EEEvT1_
    .private_segment_fixed_size: 0
    .sgpr_count:     68
    .sgpr_spill_count: 0
    .symbol:         _ZN7rocprim17ROCPRIM_400000_NS6detail17trampoline_kernelINS0_14default_configENS1_29reduce_by_key_config_selectorIxjN6thrust23THRUST_200600_302600_NS4plusIjEEEEZZNS1_33reduce_by_key_impl_wrapped_configILNS1_25lookback_scan_determinismE0ES3_S9_NS6_6detail15normal_iteratorINS6_10device_ptrIxEEEENSD_INSE_IjEEEESG_SI_PmS8_NS6_8equal_toIxEEEE10hipError_tPvRmT2_T3_mT4_T5_T6_T7_T8_P12ihipStream_tbENKUlT_T0_E_clISt17integral_constantIbLb0EES13_EEDaSY_SZ_EUlSY_E_NS1_11comp_targetILNS1_3genE4ELNS1_11target_archE910ELNS1_3gpuE8ELNS1_3repE0EEENS1_30default_config_static_selectorELNS0_4arch9wavefront6targetE1EEEvT1_.kd
    .uniform_work_group_size: 1
    .uses_dynamic_stack: false
    .vgpr_count:     102
    .vgpr_spill_count: 0
    .wavefront_size: 64
  - .agpr_count:     0
    .args:
      - .offset:         0
        .size:           120
        .value_kind:     by_value
    .group_segment_fixed_size: 0
    .kernarg_segment_align: 8
    .kernarg_segment_size: 120
    .language:       OpenCL C
    .language_version:
      - 2
      - 0
    .max_flat_workgroup_size: 256
    .name:           _ZN7rocprim17ROCPRIM_400000_NS6detail17trampoline_kernelINS0_14default_configENS1_29reduce_by_key_config_selectorIxjN6thrust23THRUST_200600_302600_NS4plusIjEEEEZZNS1_33reduce_by_key_impl_wrapped_configILNS1_25lookback_scan_determinismE0ES3_S9_NS6_6detail15normal_iteratorINS6_10device_ptrIxEEEENSD_INSE_IjEEEESG_SI_PmS8_NS6_8equal_toIxEEEE10hipError_tPvRmT2_T3_mT4_T5_T6_T7_T8_P12ihipStream_tbENKUlT_T0_E_clISt17integral_constantIbLb0EES13_EEDaSY_SZ_EUlSY_E_NS1_11comp_targetILNS1_3genE3ELNS1_11target_archE908ELNS1_3gpuE7ELNS1_3repE0EEENS1_30default_config_static_selectorELNS0_4arch9wavefront6targetE1EEEvT1_
    .private_segment_fixed_size: 0
    .sgpr_count:     4
    .sgpr_spill_count: 0
    .symbol:         _ZN7rocprim17ROCPRIM_400000_NS6detail17trampoline_kernelINS0_14default_configENS1_29reduce_by_key_config_selectorIxjN6thrust23THRUST_200600_302600_NS4plusIjEEEEZZNS1_33reduce_by_key_impl_wrapped_configILNS1_25lookback_scan_determinismE0ES3_S9_NS6_6detail15normal_iteratorINS6_10device_ptrIxEEEENSD_INSE_IjEEEESG_SI_PmS8_NS6_8equal_toIxEEEE10hipError_tPvRmT2_T3_mT4_T5_T6_T7_T8_P12ihipStream_tbENKUlT_T0_E_clISt17integral_constantIbLb0EES13_EEDaSY_SZ_EUlSY_E_NS1_11comp_targetILNS1_3genE3ELNS1_11target_archE908ELNS1_3gpuE7ELNS1_3repE0EEENS1_30default_config_static_selectorELNS0_4arch9wavefront6targetE1EEEvT1_.kd
    .uniform_work_group_size: 1
    .uses_dynamic_stack: false
    .vgpr_count:     0
    .vgpr_spill_count: 0
    .wavefront_size: 64
  - .agpr_count:     0
    .args:
      - .offset:         0
        .size:           120
        .value_kind:     by_value
    .group_segment_fixed_size: 0
    .kernarg_segment_align: 8
    .kernarg_segment_size: 120
    .language:       OpenCL C
    .language_version:
      - 2
      - 0
    .max_flat_workgroup_size: 256
    .name:           _ZN7rocprim17ROCPRIM_400000_NS6detail17trampoline_kernelINS0_14default_configENS1_29reduce_by_key_config_selectorIxjN6thrust23THRUST_200600_302600_NS4plusIjEEEEZZNS1_33reduce_by_key_impl_wrapped_configILNS1_25lookback_scan_determinismE0ES3_S9_NS6_6detail15normal_iteratorINS6_10device_ptrIxEEEENSD_INSE_IjEEEESG_SI_PmS8_NS6_8equal_toIxEEEE10hipError_tPvRmT2_T3_mT4_T5_T6_T7_T8_P12ihipStream_tbENKUlT_T0_E_clISt17integral_constantIbLb0EES13_EEDaSY_SZ_EUlSY_E_NS1_11comp_targetILNS1_3genE2ELNS1_11target_archE906ELNS1_3gpuE6ELNS1_3repE0EEENS1_30default_config_static_selectorELNS0_4arch9wavefront6targetE1EEEvT1_
    .private_segment_fixed_size: 0
    .sgpr_count:     4
    .sgpr_spill_count: 0
    .symbol:         _ZN7rocprim17ROCPRIM_400000_NS6detail17trampoline_kernelINS0_14default_configENS1_29reduce_by_key_config_selectorIxjN6thrust23THRUST_200600_302600_NS4plusIjEEEEZZNS1_33reduce_by_key_impl_wrapped_configILNS1_25lookback_scan_determinismE0ES3_S9_NS6_6detail15normal_iteratorINS6_10device_ptrIxEEEENSD_INSE_IjEEEESG_SI_PmS8_NS6_8equal_toIxEEEE10hipError_tPvRmT2_T3_mT4_T5_T6_T7_T8_P12ihipStream_tbENKUlT_T0_E_clISt17integral_constantIbLb0EES13_EEDaSY_SZ_EUlSY_E_NS1_11comp_targetILNS1_3genE2ELNS1_11target_archE906ELNS1_3gpuE6ELNS1_3repE0EEENS1_30default_config_static_selectorELNS0_4arch9wavefront6targetE1EEEvT1_.kd
    .uniform_work_group_size: 1
    .uses_dynamic_stack: false
    .vgpr_count:     0
    .vgpr_spill_count: 0
    .wavefront_size: 64
  - .agpr_count:     0
    .args:
      - .offset:         0
        .size:           120
        .value_kind:     by_value
    .group_segment_fixed_size: 0
    .kernarg_segment_align: 8
    .kernarg_segment_size: 120
    .language:       OpenCL C
    .language_version:
      - 2
      - 0
    .max_flat_workgroup_size: 256
    .name:           _ZN7rocprim17ROCPRIM_400000_NS6detail17trampoline_kernelINS0_14default_configENS1_29reduce_by_key_config_selectorIxjN6thrust23THRUST_200600_302600_NS4plusIjEEEEZZNS1_33reduce_by_key_impl_wrapped_configILNS1_25lookback_scan_determinismE0ES3_S9_NS6_6detail15normal_iteratorINS6_10device_ptrIxEEEENSD_INSE_IjEEEESG_SI_PmS8_NS6_8equal_toIxEEEE10hipError_tPvRmT2_T3_mT4_T5_T6_T7_T8_P12ihipStream_tbENKUlT_T0_E_clISt17integral_constantIbLb0EES13_EEDaSY_SZ_EUlSY_E_NS1_11comp_targetILNS1_3genE10ELNS1_11target_archE1201ELNS1_3gpuE5ELNS1_3repE0EEENS1_30default_config_static_selectorELNS0_4arch9wavefront6targetE1EEEvT1_
    .private_segment_fixed_size: 0
    .sgpr_count:     4
    .sgpr_spill_count: 0
    .symbol:         _ZN7rocprim17ROCPRIM_400000_NS6detail17trampoline_kernelINS0_14default_configENS1_29reduce_by_key_config_selectorIxjN6thrust23THRUST_200600_302600_NS4plusIjEEEEZZNS1_33reduce_by_key_impl_wrapped_configILNS1_25lookback_scan_determinismE0ES3_S9_NS6_6detail15normal_iteratorINS6_10device_ptrIxEEEENSD_INSE_IjEEEESG_SI_PmS8_NS6_8equal_toIxEEEE10hipError_tPvRmT2_T3_mT4_T5_T6_T7_T8_P12ihipStream_tbENKUlT_T0_E_clISt17integral_constantIbLb0EES13_EEDaSY_SZ_EUlSY_E_NS1_11comp_targetILNS1_3genE10ELNS1_11target_archE1201ELNS1_3gpuE5ELNS1_3repE0EEENS1_30default_config_static_selectorELNS0_4arch9wavefront6targetE1EEEvT1_.kd
    .uniform_work_group_size: 1
    .uses_dynamic_stack: false
    .vgpr_count:     0
    .vgpr_spill_count: 0
    .wavefront_size: 64
  - .agpr_count:     0
    .args:
      - .offset:         0
        .size:           120
        .value_kind:     by_value
    .group_segment_fixed_size: 0
    .kernarg_segment_align: 8
    .kernarg_segment_size: 120
    .language:       OpenCL C
    .language_version:
      - 2
      - 0
    .max_flat_workgroup_size: 256
    .name:           _ZN7rocprim17ROCPRIM_400000_NS6detail17trampoline_kernelINS0_14default_configENS1_29reduce_by_key_config_selectorIxjN6thrust23THRUST_200600_302600_NS4plusIjEEEEZZNS1_33reduce_by_key_impl_wrapped_configILNS1_25lookback_scan_determinismE0ES3_S9_NS6_6detail15normal_iteratorINS6_10device_ptrIxEEEENSD_INSE_IjEEEESG_SI_PmS8_NS6_8equal_toIxEEEE10hipError_tPvRmT2_T3_mT4_T5_T6_T7_T8_P12ihipStream_tbENKUlT_T0_E_clISt17integral_constantIbLb0EES13_EEDaSY_SZ_EUlSY_E_NS1_11comp_targetILNS1_3genE10ELNS1_11target_archE1200ELNS1_3gpuE4ELNS1_3repE0EEENS1_30default_config_static_selectorELNS0_4arch9wavefront6targetE1EEEvT1_
    .private_segment_fixed_size: 0
    .sgpr_count:     4
    .sgpr_spill_count: 0
    .symbol:         _ZN7rocprim17ROCPRIM_400000_NS6detail17trampoline_kernelINS0_14default_configENS1_29reduce_by_key_config_selectorIxjN6thrust23THRUST_200600_302600_NS4plusIjEEEEZZNS1_33reduce_by_key_impl_wrapped_configILNS1_25lookback_scan_determinismE0ES3_S9_NS6_6detail15normal_iteratorINS6_10device_ptrIxEEEENSD_INSE_IjEEEESG_SI_PmS8_NS6_8equal_toIxEEEE10hipError_tPvRmT2_T3_mT4_T5_T6_T7_T8_P12ihipStream_tbENKUlT_T0_E_clISt17integral_constantIbLb0EES13_EEDaSY_SZ_EUlSY_E_NS1_11comp_targetILNS1_3genE10ELNS1_11target_archE1200ELNS1_3gpuE4ELNS1_3repE0EEENS1_30default_config_static_selectorELNS0_4arch9wavefront6targetE1EEEvT1_.kd
    .uniform_work_group_size: 1
    .uses_dynamic_stack: false
    .vgpr_count:     0
    .vgpr_spill_count: 0
    .wavefront_size: 64
  - .agpr_count:     0
    .args:
      - .offset:         0
        .size:           120
        .value_kind:     by_value
    .group_segment_fixed_size: 0
    .kernarg_segment_align: 8
    .kernarg_segment_size: 120
    .language:       OpenCL C
    .language_version:
      - 2
      - 0
    .max_flat_workgroup_size: 256
    .name:           _ZN7rocprim17ROCPRIM_400000_NS6detail17trampoline_kernelINS0_14default_configENS1_29reduce_by_key_config_selectorIxjN6thrust23THRUST_200600_302600_NS4plusIjEEEEZZNS1_33reduce_by_key_impl_wrapped_configILNS1_25lookback_scan_determinismE0ES3_S9_NS6_6detail15normal_iteratorINS6_10device_ptrIxEEEENSD_INSE_IjEEEESG_SI_PmS8_NS6_8equal_toIxEEEE10hipError_tPvRmT2_T3_mT4_T5_T6_T7_T8_P12ihipStream_tbENKUlT_T0_E_clISt17integral_constantIbLb0EES13_EEDaSY_SZ_EUlSY_E_NS1_11comp_targetILNS1_3genE9ELNS1_11target_archE1100ELNS1_3gpuE3ELNS1_3repE0EEENS1_30default_config_static_selectorELNS0_4arch9wavefront6targetE1EEEvT1_
    .private_segment_fixed_size: 0
    .sgpr_count:     4
    .sgpr_spill_count: 0
    .symbol:         _ZN7rocprim17ROCPRIM_400000_NS6detail17trampoline_kernelINS0_14default_configENS1_29reduce_by_key_config_selectorIxjN6thrust23THRUST_200600_302600_NS4plusIjEEEEZZNS1_33reduce_by_key_impl_wrapped_configILNS1_25lookback_scan_determinismE0ES3_S9_NS6_6detail15normal_iteratorINS6_10device_ptrIxEEEENSD_INSE_IjEEEESG_SI_PmS8_NS6_8equal_toIxEEEE10hipError_tPvRmT2_T3_mT4_T5_T6_T7_T8_P12ihipStream_tbENKUlT_T0_E_clISt17integral_constantIbLb0EES13_EEDaSY_SZ_EUlSY_E_NS1_11comp_targetILNS1_3genE9ELNS1_11target_archE1100ELNS1_3gpuE3ELNS1_3repE0EEENS1_30default_config_static_selectorELNS0_4arch9wavefront6targetE1EEEvT1_.kd
    .uniform_work_group_size: 1
    .uses_dynamic_stack: false
    .vgpr_count:     0
    .vgpr_spill_count: 0
    .wavefront_size: 64
  - .agpr_count:     0
    .args:
      - .offset:         0
        .size:           120
        .value_kind:     by_value
    .group_segment_fixed_size: 0
    .kernarg_segment_align: 8
    .kernarg_segment_size: 120
    .language:       OpenCL C
    .language_version:
      - 2
      - 0
    .max_flat_workgroup_size: 256
    .name:           _ZN7rocprim17ROCPRIM_400000_NS6detail17trampoline_kernelINS0_14default_configENS1_29reduce_by_key_config_selectorIxjN6thrust23THRUST_200600_302600_NS4plusIjEEEEZZNS1_33reduce_by_key_impl_wrapped_configILNS1_25lookback_scan_determinismE0ES3_S9_NS6_6detail15normal_iteratorINS6_10device_ptrIxEEEENSD_INSE_IjEEEESG_SI_PmS8_NS6_8equal_toIxEEEE10hipError_tPvRmT2_T3_mT4_T5_T6_T7_T8_P12ihipStream_tbENKUlT_T0_E_clISt17integral_constantIbLb0EES13_EEDaSY_SZ_EUlSY_E_NS1_11comp_targetILNS1_3genE8ELNS1_11target_archE1030ELNS1_3gpuE2ELNS1_3repE0EEENS1_30default_config_static_selectorELNS0_4arch9wavefront6targetE1EEEvT1_
    .private_segment_fixed_size: 0
    .sgpr_count:     4
    .sgpr_spill_count: 0
    .symbol:         _ZN7rocprim17ROCPRIM_400000_NS6detail17trampoline_kernelINS0_14default_configENS1_29reduce_by_key_config_selectorIxjN6thrust23THRUST_200600_302600_NS4plusIjEEEEZZNS1_33reduce_by_key_impl_wrapped_configILNS1_25lookback_scan_determinismE0ES3_S9_NS6_6detail15normal_iteratorINS6_10device_ptrIxEEEENSD_INSE_IjEEEESG_SI_PmS8_NS6_8equal_toIxEEEE10hipError_tPvRmT2_T3_mT4_T5_T6_T7_T8_P12ihipStream_tbENKUlT_T0_E_clISt17integral_constantIbLb0EES13_EEDaSY_SZ_EUlSY_E_NS1_11comp_targetILNS1_3genE8ELNS1_11target_archE1030ELNS1_3gpuE2ELNS1_3repE0EEENS1_30default_config_static_selectorELNS0_4arch9wavefront6targetE1EEEvT1_.kd
    .uniform_work_group_size: 1
    .uses_dynamic_stack: false
    .vgpr_count:     0
    .vgpr_spill_count: 0
    .wavefront_size: 64
  - .agpr_count:     0
    .args:
      - .offset:         0
        .size:           120
        .value_kind:     by_value
    .group_segment_fixed_size: 0
    .kernarg_segment_align: 8
    .kernarg_segment_size: 120
    .language:       OpenCL C
    .language_version:
      - 2
      - 0
    .max_flat_workgroup_size: 256
    .name:           _ZN7rocprim17ROCPRIM_400000_NS6detail17trampoline_kernelINS0_14default_configENS1_29reduce_by_key_config_selectorIxjN6thrust23THRUST_200600_302600_NS4plusIjEEEEZZNS1_33reduce_by_key_impl_wrapped_configILNS1_25lookback_scan_determinismE0ES3_S9_NS6_6detail15normal_iteratorINS6_10device_ptrIxEEEENSD_INSE_IjEEEESG_SI_PmS8_NS6_8equal_toIxEEEE10hipError_tPvRmT2_T3_mT4_T5_T6_T7_T8_P12ihipStream_tbENKUlT_T0_E_clISt17integral_constantIbLb1EES13_EEDaSY_SZ_EUlSY_E_NS1_11comp_targetILNS1_3genE0ELNS1_11target_archE4294967295ELNS1_3gpuE0ELNS1_3repE0EEENS1_30default_config_static_selectorELNS0_4arch9wavefront6targetE1EEEvT1_
    .private_segment_fixed_size: 0
    .sgpr_count:     4
    .sgpr_spill_count: 0
    .symbol:         _ZN7rocprim17ROCPRIM_400000_NS6detail17trampoline_kernelINS0_14default_configENS1_29reduce_by_key_config_selectorIxjN6thrust23THRUST_200600_302600_NS4plusIjEEEEZZNS1_33reduce_by_key_impl_wrapped_configILNS1_25lookback_scan_determinismE0ES3_S9_NS6_6detail15normal_iteratorINS6_10device_ptrIxEEEENSD_INSE_IjEEEESG_SI_PmS8_NS6_8equal_toIxEEEE10hipError_tPvRmT2_T3_mT4_T5_T6_T7_T8_P12ihipStream_tbENKUlT_T0_E_clISt17integral_constantIbLb1EES13_EEDaSY_SZ_EUlSY_E_NS1_11comp_targetILNS1_3genE0ELNS1_11target_archE4294967295ELNS1_3gpuE0ELNS1_3repE0EEENS1_30default_config_static_selectorELNS0_4arch9wavefront6targetE1EEEvT1_.kd
    .uniform_work_group_size: 1
    .uses_dynamic_stack: false
    .vgpr_count:     0
    .vgpr_spill_count: 0
    .wavefront_size: 64
  - .agpr_count:     0
    .args:
      - .offset:         0
        .size:           120
        .value_kind:     by_value
    .group_segment_fixed_size: 0
    .kernarg_segment_align: 8
    .kernarg_segment_size: 120
    .language:       OpenCL C
    .language_version:
      - 2
      - 0
    .max_flat_workgroup_size: 256
    .name:           _ZN7rocprim17ROCPRIM_400000_NS6detail17trampoline_kernelINS0_14default_configENS1_29reduce_by_key_config_selectorIxjN6thrust23THRUST_200600_302600_NS4plusIjEEEEZZNS1_33reduce_by_key_impl_wrapped_configILNS1_25lookback_scan_determinismE0ES3_S9_NS6_6detail15normal_iteratorINS6_10device_ptrIxEEEENSD_INSE_IjEEEESG_SI_PmS8_NS6_8equal_toIxEEEE10hipError_tPvRmT2_T3_mT4_T5_T6_T7_T8_P12ihipStream_tbENKUlT_T0_E_clISt17integral_constantIbLb1EES13_EEDaSY_SZ_EUlSY_E_NS1_11comp_targetILNS1_3genE5ELNS1_11target_archE942ELNS1_3gpuE9ELNS1_3repE0EEENS1_30default_config_static_selectorELNS0_4arch9wavefront6targetE1EEEvT1_
    .private_segment_fixed_size: 0
    .sgpr_count:     4
    .sgpr_spill_count: 0
    .symbol:         _ZN7rocprim17ROCPRIM_400000_NS6detail17trampoline_kernelINS0_14default_configENS1_29reduce_by_key_config_selectorIxjN6thrust23THRUST_200600_302600_NS4plusIjEEEEZZNS1_33reduce_by_key_impl_wrapped_configILNS1_25lookback_scan_determinismE0ES3_S9_NS6_6detail15normal_iteratorINS6_10device_ptrIxEEEENSD_INSE_IjEEEESG_SI_PmS8_NS6_8equal_toIxEEEE10hipError_tPvRmT2_T3_mT4_T5_T6_T7_T8_P12ihipStream_tbENKUlT_T0_E_clISt17integral_constantIbLb1EES13_EEDaSY_SZ_EUlSY_E_NS1_11comp_targetILNS1_3genE5ELNS1_11target_archE942ELNS1_3gpuE9ELNS1_3repE0EEENS1_30default_config_static_selectorELNS0_4arch9wavefront6targetE1EEEvT1_.kd
    .uniform_work_group_size: 1
    .uses_dynamic_stack: false
    .vgpr_count:     0
    .vgpr_spill_count: 0
    .wavefront_size: 64
  - .agpr_count:     0
    .args:
      - .offset:         0
        .size:           120
        .value_kind:     by_value
    .group_segment_fixed_size: 30720
    .kernarg_segment_align: 8
    .kernarg_segment_size: 120
    .language:       OpenCL C
    .language_version:
      - 2
      - 0
    .max_flat_workgroup_size: 256
    .name:           _ZN7rocprim17ROCPRIM_400000_NS6detail17trampoline_kernelINS0_14default_configENS1_29reduce_by_key_config_selectorIxjN6thrust23THRUST_200600_302600_NS4plusIjEEEEZZNS1_33reduce_by_key_impl_wrapped_configILNS1_25lookback_scan_determinismE0ES3_S9_NS6_6detail15normal_iteratorINS6_10device_ptrIxEEEENSD_INSE_IjEEEESG_SI_PmS8_NS6_8equal_toIxEEEE10hipError_tPvRmT2_T3_mT4_T5_T6_T7_T8_P12ihipStream_tbENKUlT_T0_E_clISt17integral_constantIbLb1EES13_EEDaSY_SZ_EUlSY_E_NS1_11comp_targetILNS1_3genE4ELNS1_11target_archE910ELNS1_3gpuE8ELNS1_3repE0EEENS1_30default_config_static_selectorELNS0_4arch9wavefront6targetE1EEEvT1_
    .private_segment_fixed_size: 0
    .sgpr_count:     70
    .sgpr_spill_count: 0
    .symbol:         _ZN7rocprim17ROCPRIM_400000_NS6detail17trampoline_kernelINS0_14default_configENS1_29reduce_by_key_config_selectorIxjN6thrust23THRUST_200600_302600_NS4plusIjEEEEZZNS1_33reduce_by_key_impl_wrapped_configILNS1_25lookback_scan_determinismE0ES3_S9_NS6_6detail15normal_iteratorINS6_10device_ptrIxEEEENSD_INSE_IjEEEESG_SI_PmS8_NS6_8equal_toIxEEEE10hipError_tPvRmT2_T3_mT4_T5_T6_T7_T8_P12ihipStream_tbENKUlT_T0_E_clISt17integral_constantIbLb1EES13_EEDaSY_SZ_EUlSY_E_NS1_11comp_targetILNS1_3genE4ELNS1_11target_archE910ELNS1_3gpuE8ELNS1_3repE0EEENS1_30default_config_static_selectorELNS0_4arch9wavefront6targetE1EEEvT1_.kd
    .uniform_work_group_size: 1
    .uses_dynamic_stack: false
    .vgpr_count:     102
    .vgpr_spill_count: 0
    .wavefront_size: 64
  - .agpr_count:     0
    .args:
      - .offset:         0
        .size:           120
        .value_kind:     by_value
    .group_segment_fixed_size: 0
    .kernarg_segment_align: 8
    .kernarg_segment_size: 120
    .language:       OpenCL C
    .language_version:
      - 2
      - 0
    .max_flat_workgroup_size: 256
    .name:           _ZN7rocprim17ROCPRIM_400000_NS6detail17trampoline_kernelINS0_14default_configENS1_29reduce_by_key_config_selectorIxjN6thrust23THRUST_200600_302600_NS4plusIjEEEEZZNS1_33reduce_by_key_impl_wrapped_configILNS1_25lookback_scan_determinismE0ES3_S9_NS6_6detail15normal_iteratorINS6_10device_ptrIxEEEENSD_INSE_IjEEEESG_SI_PmS8_NS6_8equal_toIxEEEE10hipError_tPvRmT2_T3_mT4_T5_T6_T7_T8_P12ihipStream_tbENKUlT_T0_E_clISt17integral_constantIbLb1EES13_EEDaSY_SZ_EUlSY_E_NS1_11comp_targetILNS1_3genE3ELNS1_11target_archE908ELNS1_3gpuE7ELNS1_3repE0EEENS1_30default_config_static_selectorELNS0_4arch9wavefront6targetE1EEEvT1_
    .private_segment_fixed_size: 0
    .sgpr_count:     4
    .sgpr_spill_count: 0
    .symbol:         _ZN7rocprim17ROCPRIM_400000_NS6detail17trampoline_kernelINS0_14default_configENS1_29reduce_by_key_config_selectorIxjN6thrust23THRUST_200600_302600_NS4plusIjEEEEZZNS1_33reduce_by_key_impl_wrapped_configILNS1_25lookback_scan_determinismE0ES3_S9_NS6_6detail15normal_iteratorINS6_10device_ptrIxEEEENSD_INSE_IjEEEESG_SI_PmS8_NS6_8equal_toIxEEEE10hipError_tPvRmT2_T3_mT4_T5_T6_T7_T8_P12ihipStream_tbENKUlT_T0_E_clISt17integral_constantIbLb1EES13_EEDaSY_SZ_EUlSY_E_NS1_11comp_targetILNS1_3genE3ELNS1_11target_archE908ELNS1_3gpuE7ELNS1_3repE0EEENS1_30default_config_static_selectorELNS0_4arch9wavefront6targetE1EEEvT1_.kd
    .uniform_work_group_size: 1
    .uses_dynamic_stack: false
    .vgpr_count:     0
    .vgpr_spill_count: 0
    .wavefront_size: 64
  - .agpr_count:     0
    .args:
      - .offset:         0
        .size:           120
        .value_kind:     by_value
    .group_segment_fixed_size: 0
    .kernarg_segment_align: 8
    .kernarg_segment_size: 120
    .language:       OpenCL C
    .language_version:
      - 2
      - 0
    .max_flat_workgroup_size: 256
    .name:           _ZN7rocprim17ROCPRIM_400000_NS6detail17trampoline_kernelINS0_14default_configENS1_29reduce_by_key_config_selectorIxjN6thrust23THRUST_200600_302600_NS4plusIjEEEEZZNS1_33reduce_by_key_impl_wrapped_configILNS1_25lookback_scan_determinismE0ES3_S9_NS6_6detail15normal_iteratorINS6_10device_ptrIxEEEENSD_INSE_IjEEEESG_SI_PmS8_NS6_8equal_toIxEEEE10hipError_tPvRmT2_T3_mT4_T5_T6_T7_T8_P12ihipStream_tbENKUlT_T0_E_clISt17integral_constantIbLb1EES13_EEDaSY_SZ_EUlSY_E_NS1_11comp_targetILNS1_3genE2ELNS1_11target_archE906ELNS1_3gpuE6ELNS1_3repE0EEENS1_30default_config_static_selectorELNS0_4arch9wavefront6targetE1EEEvT1_
    .private_segment_fixed_size: 0
    .sgpr_count:     4
    .sgpr_spill_count: 0
    .symbol:         _ZN7rocprim17ROCPRIM_400000_NS6detail17trampoline_kernelINS0_14default_configENS1_29reduce_by_key_config_selectorIxjN6thrust23THRUST_200600_302600_NS4plusIjEEEEZZNS1_33reduce_by_key_impl_wrapped_configILNS1_25lookback_scan_determinismE0ES3_S9_NS6_6detail15normal_iteratorINS6_10device_ptrIxEEEENSD_INSE_IjEEEESG_SI_PmS8_NS6_8equal_toIxEEEE10hipError_tPvRmT2_T3_mT4_T5_T6_T7_T8_P12ihipStream_tbENKUlT_T0_E_clISt17integral_constantIbLb1EES13_EEDaSY_SZ_EUlSY_E_NS1_11comp_targetILNS1_3genE2ELNS1_11target_archE906ELNS1_3gpuE6ELNS1_3repE0EEENS1_30default_config_static_selectorELNS0_4arch9wavefront6targetE1EEEvT1_.kd
    .uniform_work_group_size: 1
    .uses_dynamic_stack: false
    .vgpr_count:     0
    .vgpr_spill_count: 0
    .wavefront_size: 64
  - .agpr_count:     0
    .args:
      - .offset:         0
        .size:           120
        .value_kind:     by_value
    .group_segment_fixed_size: 0
    .kernarg_segment_align: 8
    .kernarg_segment_size: 120
    .language:       OpenCL C
    .language_version:
      - 2
      - 0
    .max_flat_workgroup_size: 256
    .name:           _ZN7rocprim17ROCPRIM_400000_NS6detail17trampoline_kernelINS0_14default_configENS1_29reduce_by_key_config_selectorIxjN6thrust23THRUST_200600_302600_NS4plusIjEEEEZZNS1_33reduce_by_key_impl_wrapped_configILNS1_25lookback_scan_determinismE0ES3_S9_NS6_6detail15normal_iteratorINS6_10device_ptrIxEEEENSD_INSE_IjEEEESG_SI_PmS8_NS6_8equal_toIxEEEE10hipError_tPvRmT2_T3_mT4_T5_T6_T7_T8_P12ihipStream_tbENKUlT_T0_E_clISt17integral_constantIbLb1EES13_EEDaSY_SZ_EUlSY_E_NS1_11comp_targetILNS1_3genE10ELNS1_11target_archE1201ELNS1_3gpuE5ELNS1_3repE0EEENS1_30default_config_static_selectorELNS0_4arch9wavefront6targetE1EEEvT1_
    .private_segment_fixed_size: 0
    .sgpr_count:     4
    .sgpr_spill_count: 0
    .symbol:         _ZN7rocprim17ROCPRIM_400000_NS6detail17trampoline_kernelINS0_14default_configENS1_29reduce_by_key_config_selectorIxjN6thrust23THRUST_200600_302600_NS4plusIjEEEEZZNS1_33reduce_by_key_impl_wrapped_configILNS1_25lookback_scan_determinismE0ES3_S9_NS6_6detail15normal_iteratorINS6_10device_ptrIxEEEENSD_INSE_IjEEEESG_SI_PmS8_NS6_8equal_toIxEEEE10hipError_tPvRmT2_T3_mT4_T5_T6_T7_T8_P12ihipStream_tbENKUlT_T0_E_clISt17integral_constantIbLb1EES13_EEDaSY_SZ_EUlSY_E_NS1_11comp_targetILNS1_3genE10ELNS1_11target_archE1201ELNS1_3gpuE5ELNS1_3repE0EEENS1_30default_config_static_selectorELNS0_4arch9wavefront6targetE1EEEvT1_.kd
    .uniform_work_group_size: 1
    .uses_dynamic_stack: false
    .vgpr_count:     0
    .vgpr_spill_count: 0
    .wavefront_size: 64
  - .agpr_count:     0
    .args:
      - .offset:         0
        .size:           120
        .value_kind:     by_value
    .group_segment_fixed_size: 0
    .kernarg_segment_align: 8
    .kernarg_segment_size: 120
    .language:       OpenCL C
    .language_version:
      - 2
      - 0
    .max_flat_workgroup_size: 256
    .name:           _ZN7rocprim17ROCPRIM_400000_NS6detail17trampoline_kernelINS0_14default_configENS1_29reduce_by_key_config_selectorIxjN6thrust23THRUST_200600_302600_NS4plusIjEEEEZZNS1_33reduce_by_key_impl_wrapped_configILNS1_25lookback_scan_determinismE0ES3_S9_NS6_6detail15normal_iteratorINS6_10device_ptrIxEEEENSD_INSE_IjEEEESG_SI_PmS8_NS6_8equal_toIxEEEE10hipError_tPvRmT2_T3_mT4_T5_T6_T7_T8_P12ihipStream_tbENKUlT_T0_E_clISt17integral_constantIbLb1EES13_EEDaSY_SZ_EUlSY_E_NS1_11comp_targetILNS1_3genE10ELNS1_11target_archE1200ELNS1_3gpuE4ELNS1_3repE0EEENS1_30default_config_static_selectorELNS0_4arch9wavefront6targetE1EEEvT1_
    .private_segment_fixed_size: 0
    .sgpr_count:     4
    .sgpr_spill_count: 0
    .symbol:         _ZN7rocprim17ROCPRIM_400000_NS6detail17trampoline_kernelINS0_14default_configENS1_29reduce_by_key_config_selectorIxjN6thrust23THRUST_200600_302600_NS4plusIjEEEEZZNS1_33reduce_by_key_impl_wrapped_configILNS1_25lookback_scan_determinismE0ES3_S9_NS6_6detail15normal_iteratorINS6_10device_ptrIxEEEENSD_INSE_IjEEEESG_SI_PmS8_NS6_8equal_toIxEEEE10hipError_tPvRmT2_T3_mT4_T5_T6_T7_T8_P12ihipStream_tbENKUlT_T0_E_clISt17integral_constantIbLb1EES13_EEDaSY_SZ_EUlSY_E_NS1_11comp_targetILNS1_3genE10ELNS1_11target_archE1200ELNS1_3gpuE4ELNS1_3repE0EEENS1_30default_config_static_selectorELNS0_4arch9wavefront6targetE1EEEvT1_.kd
    .uniform_work_group_size: 1
    .uses_dynamic_stack: false
    .vgpr_count:     0
    .vgpr_spill_count: 0
    .wavefront_size: 64
  - .agpr_count:     0
    .args:
      - .offset:         0
        .size:           120
        .value_kind:     by_value
    .group_segment_fixed_size: 0
    .kernarg_segment_align: 8
    .kernarg_segment_size: 120
    .language:       OpenCL C
    .language_version:
      - 2
      - 0
    .max_flat_workgroup_size: 256
    .name:           _ZN7rocprim17ROCPRIM_400000_NS6detail17trampoline_kernelINS0_14default_configENS1_29reduce_by_key_config_selectorIxjN6thrust23THRUST_200600_302600_NS4plusIjEEEEZZNS1_33reduce_by_key_impl_wrapped_configILNS1_25lookback_scan_determinismE0ES3_S9_NS6_6detail15normal_iteratorINS6_10device_ptrIxEEEENSD_INSE_IjEEEESG_SI_PmS8_NS6_8equal_toIxEEEE10hipError_tPvRmT2_T3_mT4_T5_T6_T7_T8_P12ihipStream_tbENKUlT_T0_E_clISt17integral_constantIbLb1EES13_EEDaSY_SZ_EUlSY_E_NS1_11comp_targetILNS1_3genE9ELNS1_11target_archE1100ELNS1_3gpuE3ELNS1_3repE0EEENS1_30default_config_static_selectorELNS0_4arch9wavefront6targetE1EEEvT1_
    .private_segment_fixed_size: 0
    .sgpr_count:     4
    .sgpr_spill_count: 0
    .symbol:         _ZN7rocprim17ROCPRIM_400000_NS6detail17trampoline_kernelINS0_14default_configENS1_29reduce_by_key_config_selectorIxjN6thrust23THRUST_200600_302600_NS4plusIjEEEEZZNS1_33reduce_by_key_impl_wrapped_configILNS1_25lookback_scan_determinismE0ES3_S9_NS6_6detail15normal_iteratorINS6_10device_ptrIxEEEENSD_INSE_IjEEEESG_SI_PmS8_NS6_8equal_toIxEEEE10hipError_tPvRmT2_T3_mT4_T5_T6_T7_T8_P12ihipStream_tbENKUlT_T0_E_clISt17integral_constantIbLb1EES13_EEDaSY_SZ_EUlSY_E_NS1_11comp_targetILNS1_3genE9ELNS1_11target_archE1100ELNS1_3gpuE3ELNS1_3repE0EEENS1_30default_config_static_selectorELNS0_4arch9wavefront6targetE1EEEvT1_.kd
    .uniform_work_group_size: 1
    .uses_dynamic_stack: false
    .vgpr_count:     0
    .vgpr_spill_count: 0
    .wavefront_size: 64
  - .agpr_count:     0
    .args:
      - .offset:         0
        .size:           120
        .value_kind:     by_value
    .group_segment_fixed_size: 0
    .kernarg_segment_align: 8
    .kernarg_segment_size: 120
    .language:       OpenCL C
    .language_version:
      - 2
      - 0
    .max_flat_workgroup_size: 256
    .name:           _ZN7rocprim17ROCPRIM_400000_NS6detail17trampoline_kernelINS0_14default_configENS1_29reduce_by_key_config_selectorIxjN6thrust23THRUST_200600_302600_NS4plusIjEEEEZZNS1_33reduce_by_key_impl_wrapped_configILNS1_25lookback_scan_determinismE0ES3_S9_NS6_6detail15normal_iteratorINS6_10device_ptrIxEEEENSD_INSE_IjEEEESG_SI_PmS8_NS6_8equal_toIxEEEE10hipError_tPvRmT2_T3_mT4_T5_T6_T7_T8_P12ihipStream_tbENKUlT_T0_E_clISt17integral_constantIbLb1EES13_EEDaSY_SZ_EUlSY_E_NS1_11comp_targetILNS1_3genE8ELNS1_11target_archE1030ELNS1_3gpuE2ELNS1_3repE0EEENS1_30default_config_static_selectorELNS0_4arch9wavefront6targetE1EEEvT1_
    .private_segment_fixed_size: 0
    .sgpr_count:     4
    .sgpr_spill_count: 0
    .symbol:         _ZN7rocprim17ROCPRIM_400000_NS6detail17trampoline_kernelINS0_14default_configENS1_29reduce_by_key_config_selectorIxjN6thrust23THRUST_200600_302600_NS4plusIjEEEEZZNS1_33reduce_by_key_impl_wrapped_configILNS1_25lookback_scan_determinismE0ES3_S9_NS6_6detail15normal_iteratorINS6_10device_ptrIxEEEENSD_INSE_IjEEEESG_SI_PmS8_NS6_8equal_toIxEEEE10hipError_tPvRmT2_T3_mT4_T5_T6_T7_T8_P12ihipStream_tbENKUlT_T0_E_clISt17integral_constantIbLb1EES13_EEDaSY_SZ_EUlSY_E_NS1_11comp_targetILNS1_3genE8ELNS1_11target_archE1030ELNS1_3gpuE2ELNS1_3repE0EEENS1_30default_config_static_selectorELNS0_4arch9wavefront6targetE1EEEvT1_.kd
    .uniform_work_group_size: 1
    .uses_dynamic_stack: false
    .vgpr_count:     0
    .vgpr_spill_count: 0
    .wavefront_size: 64
  - .agpr_count:     0
    .args:
      - .offset:         0
        .size:           120
        .value_kind:     by_value
    .group_segment_fixed_size: 0
    .kernarg_segment_align: 8
    .kernarg_segment_size: 120
    .language:       OpenCL C
    .language_version:
      - 2
      - 0
    .max_flat_workgroup_size: 256
    .name:           _ZN7rocprim17ROCPRIM_400000_NS6detail17trampoline_kernelINS0_14default_configENS1_29reduce_by_key_config_selectorIxjN6thrust23THRUST_200600_302600_NS4plusIjEEEEZZNS1_33reduce_by_key_impl_wrapped_configILNS1_25lookback_scan_determinismE0ES3_S9_NS6_6detail15normal_iteratorINS6_10device_ptrIxEEEENSD_INSE_IjEEEESG_SI_PmS8_NS6_8equal_toIxEEEE10hipError_tPvRmT2_T3_mT4_T5_T6_T7_T8_P12ihipStream_tbENKUlT_T0_E_clISt17integral_constantIbLb1EES12_IbLb0EEEEDaSY_SZ_EUlSY_E_NS1_11comp_targetILNS1_3genE0ELNS1_11target_archE4294967295ELNS1_3gpuE0ELNS1_3repE0EEENS1_30default_config_static_selectorELNS0_4arch9wavefront6targetE1EEEvT1_
    .private_segment_fixed_size: 0
    .sgpr_count:     4
    .sgpr_spill_count: 0
    .symbol:         _ZN7rocprim17ROCPRIM_400000_NS6detail17trampoline_kernelINS0_14default_configENS1_29reduce_by_key_config_selectorIxjN6thrust23THRUST_200600_302600_NS4plusIjEEEEZZNS1_33reduce_by_key_impl_wrapped_configILNS1_25lookback_scan_determinismE0ES3_S9_NS6_6detail15normal_iteratorINS6_10device_ptrIxEEEENSD_INSE_IjEEEESG_SI_PmS8_NS6_8equal_toIxEEEE10hipError_tPvRmT2_T3_mT4_T5_T6_T7_T8_P12ihipStream_tbENKUlT_T0_E_clISt17integral_constantIbLb1EES12_IbLb0EEEEDaSY_SZ_EUlSY_E_NS1_11comp_targetILNS1_3genE0ELNS1_11target_archE4294967295ELNS1_3gpuE0ELNS1_3repE0EEENS1_30default_config_static_selectorELNS0_4arch9wavefront6targetE1EEEvT1_.kd
    .uniform_work_group_size: 1
    .uses_dynamic_stack: false
    .vgpr_count:     0
    .vgpr_spill_count: 0
    .wavefront_size: 64
  - .agpr_count:     0
    .args:
      - .offset:         0
        .size:           120
        .value_kind:     by_value
    .group_segment_fixed_size: 0
    .kernarg_segment_align: 8
    .kernarg_segment_size: 120
    .language:       OpenCL C
    .language_version:
      - 2
      - 0
    .max_flat_workgroup_size: 256
    .name:           _ZN7rocprim17ROCPRIM_400000_NS6detail17trampoline_kernelINS0_14default_configENS1_29reduce_by_key_config_selectorIxjN6thrust23THRUST_200600_302600_NS4plusIjEEEEZZNS1_33reduce_by_key_impl_wrapped_configILNS1_25lookback_scan_determinismE0ES3_S9_NS6_6detail15normal_iteratorINS6_10device_ptrIxEEEENSD_INSE_IjEEEESG_SI_PmS8_NS6_8equal_toIxEEEE10hipError_tPvRmT2_T3_mT4_T5_T6_T7_T8_P12ihipStream_tbENKUlT_T0_E_clISt17integral_constantIbLb1EES12_IbLb0EEEEDaSY_SZ_EUlSY_E_NS1_11comp_targetILNS1_3genE5ELNS1_11target_archE942ELNS1_3gpuE9ELNS1_3repE0EEENS1_30default_config_static_selectorELNS0_4arch9wavefront6targetE1EEEvT1_
    .private_segment_fixed_size: 0
    .sgpr_count:     4
    .sgpr_spill_count: 0
    .symbol:         _ZN7rocprim17ROCPRIM_400000_NS6detail17trampoline_kernelINS0_14default_configENS1_29reduce_by_key_config_selectorIxjN6thrust23THRUST_200600_302600_NS4plusIjEEEEZZNS1_33reduce_by_key_impl_wrapped_configILNS1_25lookback_scan_determinismE0ES3_S9_NS6_6detail15normal_iteratorINS6_10device_ptrIxEEEENSD_INSE_IjEEEESG_SI_PmS8_NS6_8equal_toIxEEEE10hipError_tPvRmT2_T3_mT4_T5_T6_T7_T8_P12ihipStream_tbENKUlT_T0_E_clISt17integral_constantIbLb1EES12_IbLb0EEEEDaSY_SZ_EUlSY_E_NS1_11comp_targetILNS1_3genE5ELNS1_11target_archE942ELNS1_3gpuE9ELNS1_3repE0EEENS1_30default_config_static_selectorELNS0_4arch9wavefront6targetE1EEEvT1_.kd
    .uniform_work_group_size: 1
    .uses_dynamic_stack: false
    .vgpr_count:     0
    .vgpr_spill_count: 0
    .wavefront_size: 64
  - .agpr_count:     0
    .args:
      - .offset:         0
        .size:           120
        .value_kind:     by_value
    .group_segment_fixed_size: 30720
    .kernarg_segment_align: 8
    .kernarg_segment_size: 120
    .language:       OpenCL C
    .language_version:
      - 2
      - 0
    .max_flat_workgroup_size: 256
    .name:           _ZN7rocprim17ROCPRIM_400000_NS6detail17trampoline_kernelINS0_14default_configENS1_29reduce_by_key_config_selectorIxjN6thrust23THRUST_200600_302600_NS4plusIjEEEEZZNS1_33reduce_by_key_impl_wrapped_configILNS1_25lookback_scan_determinismE0ES3_S9_NS6_6detail15normal_iteratorINS6_10device_ptrIxEEEENSD_INSE_IjEEEESG_SI_PmS8_NS6_8equal_toIxEEEE10hipError_tPvRmT2_T3_mT4_T5_T6_T7_T8_P12ihipStream_tbENKUlT_T0_E_clISt17integral_constantIbLb1EES12_IbLb0EEEEDaSY_SZ_EUlSY_E_NS1_11comp_targetILNS1_3genE4ELNS1_11target_archE910ELNS1_3gpuE8ELNS1_3repE0EEENS1_30default_config_static_selectorELNS0_4arch9wavefront6targetE1EEEvT1_
    .private_segment_fixed_size: 0
    .sgpr_count:     68
    .sgpr_spill_count: 0
    .symbol:         _ZN7rocprim17ROCPRIM_400000_NS6detail17trampoline_kernelINS0_14default_configENS1_29reduce_by_key_config_selectorIxjN6thrust23THRUST_200600_302600_NS4plusIjEEEEZZNS1_33reduce_by_key_impl_wrapped_configILNS1_25lookback_scan_determinismE0ES3_S9_NS6_6detail15normal_iteratorINS6_10device_ptrIxEEEENSD_INSE_IjEEEESG_SI_PmS8_NS6_8equal_toIxEEEE10hipError_tPvRmT2_T3_mT4_T5_T6_T7_T8_P12ihipStream_tbENKUlT_T0_E_clISt17integral_constantIbLb1EES12_IbLb0EEEEDaSY_SZ_EUlSY_E_NS1_11comp_targetILNS1_3genE4ELNS1_11target_archE910ELNS1_3gpuE8ELNS1_3repE0EEENS1_30default_config_static_selectorELNS0_4arch9wavefront6targetE1EEEvT1_.kd
    .uniform_work_group_size: 1
    .uses_dynamic_stack: false
    .vgpr_count:     102
    .vgpr_spill_count: 0
    .wavefront_size: 64
  - .agpr_count:     0
    .args:
      - .offset:         0
        .size:           120
        .value_kind:     by_value
    .group_segment_fixed_size: 0
    .kernarg_segment_align: 8
    .kernarg_segment_size: 120
    .language:       OpenCL C
    .language_version:
      - 2
      - 0
    .max_flat_workgroup_size: 256
    .name:           _ZN7rocprim17ROCPRIM_400000_NS6detail17trampoline_kernelINS0_14default_configENS1_29reduce_by_key_config_selectorIxjN6thrust23THRUST_200600_302600_NS4plusIjEEEEZZNS1_33reduce_by_key_impl_wrapped_configILNS1_25lookback_scan_determinismE0ES3_S9_NS6_6detail15normal_iteratorINS6_10device_ptrIxEEEENSD_INSE_IjEEEESG_SI_PmS8_NS6_8equal_toIxEEEE10hipError_tPvRmT2_T3_mT4_T5_T6_T7_T8_P12ihipStream_tbENKUlT_T0_E_clISt17integral_constantIbLb1EES12_IbLb0EEEEDaSY_SZ_EUlSY_E_NS1_11comp_targetILNS1_3genE3ELNS1_11target_archE908ELNS1_3gpuE7ELNS1_3repE0EEENS1_30default_config_static_selectorELNS0_4arch9wavefront6targetE1EEEvT1_
    .private_segment_fixed_size: 0
    .sgpr_count:     4
    .sgpr_spill_count: 0
    .symbol:         _ZN7rocprim17ROCPRIM_400000_NS6detail17trampoline_kernelINS0_14default_configENS1_29reduce_by_key_config_selectorIxjN6thrust23THRUST_200600_302600_NS4plusIjEEEEZZNS1_33reduce_by_key_impl_wrapped_configILNS1_25lookback_scan_determinismE0ES3_S9_NS6_6detail15normal_iteratorINS6_10device_ptrIxEEEENSD_INSE_IjEEEESG_SI_PmS8_NS6_8equal_toIxEEEE10hipError_tPvRmT2_T3_mT4_T5_T6_T7_T8_P12ihipStream_tbENKUlT_T0_E_clISt17integral_constantIbLb1EES12_IbLb0EEEEDaSY_SZ_EUlSY_E_NS1_11comp_targetILNS1_3genE3ELNS1_11target_archE908ELNS1_3gpuE7ELNS1_3repE0EEENS1_30default_config_static_selectorELNS0_4arch9wavefront6targetE1EEEvT1_.kd
    .uniform_work_group_size: 1
    .uses_dynamic_stack: false
    .vgpr_count:     0
    .vgpr_spill_count: 0
    .wavefront_size: 64
  - .agpr_count:     0
    .args:
      - .offset:         0
        .size:           120
        .value_kind:     by_value
    .group_segment_fixed_size: 0
    .kernarg_segment_align: 8
    .kernarg_segment_size: 120
    .language:       OpenCL C
    .language_version:
      - 2
      - 0
    .max_flat_workgroup_size: 256
    .name:           _ZN7rocprim17ROCPRIM_400000_NS6detail17trampoline_kernelINS0_14default_configENS1_29reduce_by_key_config_selectorIxjN6thrust23THRUST_200600_302600_NS4plusIjEEEEZZNS1_33reduce_by_key_impl_wrapped_configILNS1_25lookback_scan_determinismE0ES3_S9_NS6_6detail15normal_iteratorINS6_10device_ptrIxEEEENSD_INSE_IjEEEESG_SI_PmS8_NS6_8equal_toIxEEEE10hipError_tPvRmT2_T3_mT4_T5_T6_T7_T8_P12ihipStream_tbENKUlT_T0_E_clISt17integral_constantIbLb1EES12_IbLb0EEEEDaSY_SZ_EUlSY_E_NS1_11comp_targetILNS1_3genE2ELNS1_11target_archE906ELNS1_3gpuE6ELNS1_3repE0EEENS1_30default_config_static_selectorELNS0_4arch9wavefront6targetE1EEEvT1_
    .private_segment_fixed_size: 0
    .sgpr_count:     4
    .sgpr_spill_count: 0
    .symbol:         _ZN7rocprim17ROCPRIM_400000_NS6detail17trampoline_kernelINS0_14default_configENS1_29reduce_by_key_config_selectorIxjN6thrust23THRUST_200600_302600_NS4plusIjEEEEZZNS1_33reduce_by_key_impl_wrapped_configILNS1_25lookback_scan_determinismE0ES3_S9_NS6_6detail15normal_iteratorINS6_10device_ptrIxEEEENSD_INSE_IjEEEESG_SI_PmS8_NS6_8equal_toIxEEEE10hipError_tPvRmT2_T3_mT4_T5_T6_T7_T8_P12ihipStream_tbENKUlT_T0_E_clISt17integral_constantIbLb1EES12_IbLb0EEEEDaSY_SZ_EUlSY_E_NS1_11comp_targetILNS1_3genE2ELNS1_11target_archE906ELNS1_3gpuE6ELNS1_3repE0EEENS1_30default_config_static_selectorELNS0_4arch9wavefront6targetE1EEEvT1_.kd
    .uniform_work_group_size: 1
    .uses_dynamic_stack: false
    .vgpr_count:     0
    .vgpr_spill_count: 0
    .wavefront_size: 64
  - .agpr_count:     0
    .args:
      - .offset:         0
        .size:           120
        .value_kind:     by_value
    .group_segment_fixed_size: 0
    .kernarg_segment_align: 8
    .kernarg_segment_size: 120
    .language:       OpenCL C
    .language_version:
      - 2
      - 0
    .max_flat_workgroup_size: 256
    .name:           _ZN7rocprim17ROCPRIM_400000_NS6detail17trampoline_kernelINS0_14default_configENS1_29reduce_by_key_config_selectorIxjN6thrust23THRUST_200600_302600_NS4plusIjEEEEZZNS1_33reduce_by_key_impl_wrapped_configILNS1_25lookback_scan_determinismE0ES3_S9_NS6_6detail15normal_iteratorINS6_10device_ptrIxEEEENSD_INSE_IjEEEESG_SI_PmS8_NS6_8equal_toIxEEEE10hipError_tPvRmT2_T3_mT4_T5_T6_T7_T8_P12ihipStream_tbENKUlT_T0_E_clISt17integral_constantIbLb1EES12_IbLb0EEEEDaSY_SZ_EUlSY_E_NS1_11comp_targetILNS1_3genE10ELNS1_11target_archE1201ELNS1_3gpuE5ELNS1_3repE0EEENS1_30default_config_static_selectorELNS0_4arch9wavefront6targetE1EEEvT1_
    .private_segment_fixed_size: 0
    .sgpr_count:     4
    .sgpr_spill_count: 0
    .symbol:         _ZN7rocprim17ROCPRIM_400000_NS6detail17trampoline_kernelINS0_14default_configENS1_29reduce_by_key_config_selectorIxjN6thrust23THRUST_200600_302600_NS4plusIjEEEEZZNS1_33reduce_by_key_impl_wrapped_configILNS1_25lookback_scan_determinismE0ES3_S9_NS6_6detail15normal_iteratorINS6_10device_ptrIxEEEENSD_INSE_IjEEEESG_SI_PmS8_NS6_8equal_toIxEEEE10hipError_tPvRmT2_T3_mT4_T5_T6_T7_T8_P12ihipStream_tbENKUlT_T0_E_clISt17integral_constantIbLb1EES12_IbLb0EEEEDaSY_SZ_EUlSY_E_NS1_11comp_targetILNS1_3genE10ELNS1_11target_archE1201ELNS1_3gpuE5ELNS1_3repE0EEENS1_30default_config_static_selectorELNS0_4arch9wavefront6targetE1EEEvT1_.kd
    .uniform_work_group_size: 1
    .uses_dynamic_stack: false
    .vgpr_count:     0
    .vgpr_spill_count: 0
    .wavefront_size: 64
  - .agpr_count:     0
    .args:
      - .offset:         0
        .size:           120
        .value_kind:     by_value
    .group_segment_fixed_size: 0
    .kernarg_segment_align: 8
    .kernarg_segment_size: 120
    .language:       OpenCL C
    .language_version:
      - 2
      - 0
    .max_flat_workgroup_size: 256
    .name:           _ZN7rocprim17ROCPRIM_400000_NS6detail17trampoline_kernelINS0_14default_configENS1_29reduce_by_key_config_selectorIxjN6thrust23THRUST_200600_302600_NS4plusIjEEEEZZNS1_33reduce_by_key_impl_wrapped_configILNS1_25lookback_scan_determinismE0ES3_S9_NS6_6detail15normal_iteratorINS6_10device_ptrIxEEEENSD_INSE_IjEEEESG_SI_PmS8_NS6_8equal_toIxEEEE10hipError_tPvRmT2_T3_mT4_T5_T6_T7_T8_P12ihipStream_tbENKUlT_T0_E_clISt17integral_constantIbLb1EES12_IbLb0EEEEDaSY_SZ_EUlSY_E_NS1_11comp_targetILNS1_3genE10ELNS1_11target_archE1200ELNS1_3gpuE4ELNS1_3repE0EEENS1_30default_config_static_selectorELNS0_4arch9wavefront6targetE1EEEvT1_
    .private_segment_fixed_size: 0
    .sgpr_count:     4
    .sgpr_spill_count: 0
    .symbol:         _ZN7rocprim17ROCPRIM_400000_NS6detail17trampoline_kernelINS0_14default_configENS1_29reduce_by_key_config_selectorIxjN6thrust23THRUST_200600_302600_NS4plusIjEEEEZZNS1_33reduce_by_key_impl_wrapped_configILNS1_25lookback_scan_determinismE0ES3_S9_NS6_6detail15normal_iteratorINS6_10device_ptrIxEEEENSD_INSE_IjEEEESG_SI_PmS8_NS6_8equal_toIxEEEE10hipError_tPvRmT2_T3_mT4_T5_T6_T7_T8_P12ihipStream_tbENKUlT_T0_E_clISt17integral_constantIbLb1EES12_IbLb0EEEEDaSY_SZ_EUlSY_E_NS1_11comp_targetILNS1_3genE10ELNS1_11target_archE1200ELNS1_3gpuE4ELNS1_3repE0EEENS1_30default_config_static_selectorELNS0_4arch9wavefront6targetE1EEEvT1_.kd
    .uniform_work_group_size: 1
    .uses_dynamic_stack: false
    .vgpr_count:     0
    .vgpr_spill_count: 0
    .wavefront_size: 64
  - .agpr_count:     0
    .args:
      - .offset:         0
        .size:           120
        .value_kind:     by_value
    .group_segment_fixed_size: 0
    .kernarg_segment_align: 8
    .kernarg_segment_size: 120
    .language:       OpenCL C
    .language_version:
      - 2
      - 0
    .max_flat_workgroup_size: 256
    .name:           _ZN7rocprim17ROCPRIM_400000_NS6detail17trampoline_kernelINS0_14default_configENS1_29reduce_by_key_config_selectorIxjN6thrust23THRUST_200600_302600_NS4plusIjEEEEZZNS1_33reduce_by_key_impl_wrapped_configILNS1_25lookback_scan_determinismE0ES3_S9_NS6_6detail15normal_iteratorINS6_10device_ptrIxEEEENSD_INSE_IjEEEESG_SI_PmS8_NS6_8equal_toIxEEEE10hipError_tPvRmT2_T3_mT4_T5_T6_T7_T8_P12ihipStream_tbENKUlT_T0_E_clISt17integral_constantIbLb1EES12_IbLb0EEEEDaSY_SZ_EUlSY_E_NS1_11comp_targetILNS1_3genE9ELNS1_11target_archE1100ELNS1_3gpuE3ELNS1_3repE0EEENS1_30default_config_static_selectorELNS0_4arch9wavefront6targetE1EEEvT1_
    .private_segment_fixed_size: 0
    .sgpr_count:     4
    .sgpr_spill_count: 0
    .symbol:         _ZN7rocprim17ROCPRIM_400000_NS6detail17trampoline_kernelINS0_14default_configENS1_29reduce_by_key_config_selectorIxjN6thrust23THRUST_200600_302600_NS4plusIjEEEEZZNS1_33reduce_by_key_impl_wrapped_configILNS1_25lookback_scan_determinismE0ES3_S9_NS6_6detail15normal_iteratorINS6_10device_ptrIxEEEENSD_INSE_IjEEEESG_SI_PmS8_NS6_8equal_toIxEEEE10hipError_tPvRmT2_T3_mT4_T5_T6_T7_T8_P12ihipStream_tbENKUlT_T0_E_clISt17integral_constantIbLb1EES12_IbLb0EEEEDaSY_SZ_EUlSY_E_NS1_11comp_targetILNS1_3genE9ELNS1_11target_archE1100ELNS1_3gpuE3ELNS1_3repE0EEENS1_30default_config_static_selectorELNS0_4arch9wavefront6targetE1EEEvT1_.kd
    .uniform_work_group_size: 1
    .uses_dynamic_stack: false
    .vgpr_count:     0
    .vgpr_spill_count: 0
    .wavefront_size: 64
  - .agpr_count:     0
    .args:
      - .offset:         0
        .size:           120
        .value_kind:     by_value
    .group_segment_fixed_size: 0
    .kernarg_segment_align: 8
    .kernarg_segment_size: 120
    .language:       OpenCL C
    .language_version:
      - 2
      - 0
    .max_flat_workgroup_size: 256
    .name:           _ZN7rocprim17ROCPRIM_400000_NS6detail17trampoline_kernelINS0_14default_configENS1_29reduce_by_key_config_selectorIxjN6thrust23THRUST_200600_302600_NS4plusIjEEEEZZNS1_33reduce_by_key_impl_wrapped_configILNS1_25lookback_scan_determinismE0ES3_S9_NS6_6detail15normal_iteratorINS6_10device_ptrIxEEEENSD_INSE_IjEEEESG_SI_PmS8_NS6_8equal_toIxEEEE10hipError_tPvRmT2_T3_mT4_T5_T6_T7_T8_P12ihipStream_tbENKUlT_T0_E_clISt17integral_constantIbLb1EES12_IbLb0EEEEDaSY_SZ_EUlSY_E_NS1_11comp_targetILNS1_3genE8ELNS1_11target_archE1030ELNS1_3gpuE2ELNS1_3repE0EEENS1_30default_config_static_selectorELNS0_4arch9wavefront6targetE1EEEvT1_
    .private_segment_fixed_size: 0
    .sgpr_count:     4
    .sgpr_spill_count: 0
    .symbol:         _ZN7rocprim17ROCPRIM_400000_NS6detail17trampoline_kernelINS0_14default_configENS1_29reduce_by_key_config_selectorIxjN6thrust23THRUST_200600_302600_NS4plusIjEEEEZZNS1_33reduce_by_key_impl_wrapped_configILNS1_25lookback_scan_determinismE0ES3_S9_NS6_6detail15normal_iteratorINS6_10device_ptrIxEEEENSD_INSE_IjEEEESG_SI_PmS8_NS6_8equal_toIxEEEE10hipError_tPvRmT2_T3_mT4_T5_T6_T7_T8_P12ihipStream_tbENKUlT_T0_E_clISt17integral_constantIbLb1EES12_IbLb0EEEEDaSY_SZ_EUlSY_E_NS1_11comp_targetILNS1_3genE8ELNS1_11target_archE1030ELNS1_3gpuE2ELNS1_3repE0EEENS1_30default_config_static_selectorELNS0_4arch9wavefront6targetE1EEEvT1_.kd
    .uniform_work_group_size: 1
    .uses_dynamic_stack: false
    .vgpr_count:     0
    .vgpr_spill_count: 0
    .wavefront_size: 64
  - .agpr_count:     0
    .args:
      - .offset:         0
        .size:           120
        .value_kind:     by_value
    .group_segment_fixed_size: 0
    .kernarg_segment_align: 8
    .kernarg_segment_size: 120
    .language:       OpenCL C
    .language_version:
      - 2
      - 0
    .max_flat_workgroup_size: 256
    .name:           _ZN7rocprim17ROCPRIM_400000_NS6detail17trampoline_kernelINS0_14default_configENS1_29reduce_by_key_config_selectorIxjN6thrust23THRUST_200600_302600_NS4plusIjEEEEZZNS1_33reduce_by_key_impl_wrapped_configILNS1_25lookback_scan_determinismE0ES3_S9_NS6_6detail15normal_iteratorINS6_10device_ptrIxEEEENSD_INSE_IjEEEESG_SI_PmS8_NS6_8equal_toIxEEEE10hipError_tPvRmT2_T3_mT4_T5_T6_T7_T8_P12ihipStream_tbENKUlT_T0_E_clISt17integral_constantIbLb0EES12_IbLb1EEEEDaSY_SZ_EUlSY_E_NS1_11comp_targetILNS1_3genE0ELNS1_11target_archE4294967295ELNS1_3gpuE0ELNS1_3repE0EEENS1_30default_config_static_selectorELNS0_4arch9wavefront6targetE1EEEvT1_
    .private_segment_fixed_size: 0
    .sgpr_count:     4
    .sgpr_spill_count: 0
    .symbol:         _ZN7rocprim17ROCPRIM_400000_NS6detail17trampoline_kernelINS0_14default_configENS1_29reduce_by_key_config_selectorIxjN6thrust23THRUST_200600_302600_NS4plusIjEEEEZZNS1_33reduce_by_key_impl_wrapped_configILNS1_25lookback_scan_determinismE0ES3_S9_NS6_6detail15normal_iteratorINS6_10device_ptrIxEEEENSD_INSE_IjEEEESG_SI_PmS8_NS6_8equal_toIxEEEE10hipError_tPvRmT2_T3_mT4_T5_T6_T7_T8_P12ihipStream_tbENKUlT_T0_E_clISt17integral_constantIbLb0EES12_IbLb1EEEEDaSY_SZ_EUlSY_E_NS1_11comp_targetILNS1_3genE0ELNS1_11target_archE4294967295ELNS1_3gpuE0ELNS1_3repE0EEENS1_30default_config_static_selectorELNS0_4arch9wavefront6targetE1EEEvT1_.kd
    .uniform_work_group_size: 1
    .uses_dynamic_stack: false
    .vgpr_count:     0
    .vgpr_spill_count: 0
    .wavefront_size: 64
  - .agpr_count:     0
    .args:
      - .offset:         0
        .size:           120
        .value_kind:     by_value
    .group_segment_fixed_size: 0
    .kernarg_segment_align: 8
    .kernarg_segment_size: 120
    .language:       OpenCL C
    .language_version:
      - 2
      - 0
    .max_flat_workgroup_size: 256
    .name:           _ZN7rocprim17ROCPRIM_400000_NS6detail17trampoline_kernelINS0_14default_configENS1_29reduce_by_key_config_selectorIxjN6thrust23THRUST_200600_302600_NS4plusIjEEEEZZNS1_33reduce_by_key_impl_wrapped_configILNS1_25lookback_scan_determinismE0ES3_S9_NS6_6detail15normal_iteratorINS6_10device_ptrIxEEEENSD_INSE_IjEEEESG_SI_PmS8_NS6_8equal_toIxEEEE10hipError_tPvRmT2_T3_mT4_T5_T6_T7_T8_P12ihipStream_tbENKUlT_T0_E_clISt17integral_constantIbLb0EES12_IbLb1EEEEDaSY_SZ_EUlSY_E_NS1_11comp_targetILNS1_3genE5ELNS1_11target_archE942ELNS1_3gpuE9ELNS1_3repE0EEENS1_30default_config_static_selectorELNS0_4arch9wavefront6targetE1EEEvT1_
    .private_segment_fixed_size: 0
    .sgpr_count:     4
    .sgpr_spill_count: 0
    .symbol:         _ZN7rocprim17ROCPRIM_400000_NS6detail17trampoline_kernelINS0_14default_configENS1_29reduce_by_key_config_selectorIxjN6thrust23THRUST_200600_302600_NS4plusIjEEEEZZNS1_33reduce_by_key_impl_wrapped_configILNS1_25lookback_scan_determinismE0ES3_S9_NS6_6detail15normal_iteratorINS6_10device_ptrIxEEEENSD_INSE_IjEEEESG_SI_PmS8_NS6_8equal_toIxEEEE10hipError_tPvRmT2_T3_mT4_T5_T6_T7_T8_P12ihipStream_tbENKUlT_T0_E_clISt17integral_constantIbLb0EES12_IbLb1EEEEDaSY_SZ_EUlSY_E_NS1_11comp_targetILNS1_3genE5ELNS1_11target_archE942ELNS1_3gpuE9ELNS1_3repE0EEENS1_30default_config_static_selectorELNS0_4arch9wavefront6targetE1EEEvT1_.kd
    .uniform_work_group_size: 1
    .uses_dynamic_stack: false
    .vgpr_count:     0
    .vgpr_spill_count: 0
    .wavefront_size: 64
  - .agpr_count:     0
    .args:
      - .offset:         0
        .size:           120
        .value_kind:     by_value
    .group_segment_fixed_size: 30720
    .kernarg_segment_align: 8
    .kernarg_segment_size: 120
    .language:       OpenCL C
    .language_version:
      - 2
      - 0
    .max_flat_workgroup_size: 256
    .name:           _ZN7rocprim17ROCPRIM_400000_NS6detail17trampoline_kernelINS0_14default_configENS1_29reduce_by_key_config_selectorIxjN6thrust23THRUST_200600_302600_NS4plusIjEEEEZZNS1_33reduce_by_key_impl_wrapped_configILNS1_25lookback_scan_determinismE0ES3_S9_NS6_6detail15normal_iteratorINS6_10device_ptrIxEEEENSD_INSE_IjEEEESG_SI_PmS8_NS6_8equal_toIxEEEE10hipError_tPvRmT2_T3_mT4_T5_T6_T7_T8_P12ihipStream_tbENKUlT_T0_E_clISt17integral_constantIbLb0EES12_IbLb1EEEEDaSY_SZ_EUlSY_E_NS1_11comp_targetILNS1_3genE4ELNS1_11target_archE910ELNS1_3gpuE8ELNS1_3repE0EEENS1_30default_config_static_selectorELNS0_4arch9wavefront6targetE1EEEvT1_
    .private_segment_fixed_size: 0
    .sgpr_count:     70
    .sgpr_spill_count: 0
    .symbol:         _ZN7rocprim17ROCPRIM_400000_NS6detail17trampoline_kernelINS0_14default_configENS1_29reduce_by_key_config_selectorIxjN6thrust23THRUST_200600_302600_NS4plusIjEEEEZZNS1_33reduce_by_key_impl_wrapped_configILNS1_25lookback_scan_determinismE0ES3_S9_NS6_6detail15normal_iteratorINS6_10device_ptrIxEEEENSD_INSE_IjEEEESG_SI_PmS8_NS6_8equal_toIxEEEE10hipError_tPvRmT2_T3_mT4_T5_T6_T7_T8_P12ihipStream_tbENKUlT_T0_E_clISt17integral_constantIbLb0EES12_IbLb1EEEEDaSY_SZ_EUlSY_E_NS1_11comp_targetILNS1_3genE4ELNS1_11target_archE910ELNS1_3gpuE8ELNS1_3repE0EEENS1_30default_config_static_selectorELNS0_4arch9wavefront6targetE1EEEvT1_.kd
    .uniform_work_group_size: 1
    .uses_dynamic_stack: false
    .vgpr_count:     102
    .vgpr_spill_count: 0
    .wavefront_size: 64
  - .agpr_count:     0
    .args:
      - .offset:         0
        .size:           120
        .value_kind:     by_value
    .group_segment_fixed_size: 0
    .kernarg_segment_align: 8
    .kernarg_segment_size: 120
    .language:       OpenCL C
    .language_version:
      - 2
      - 0
    .max_flat_workgroup_size: 256
    .name:           _ZN7rocprim17ROCPRIM_400000_NS6detail17trampoline_kernelINS0_14default_configENS1_29reduce_by_key_config_selectorIxjN6thrust23THRUST_200600_302600_NS4plusIjEEEEZZNS1_33reduce_by_key_impl_wrapped_configILNS1_25lookback_scan_determinismE0ES3_S9_NS6_6detail15normal_iteratorINS6_10device_ptrIxEEEENSD_INSE_IjEEEESG_SI_PmS8_NS6_8equal_toIxEEEE10hipError_tPvRmT2_T3_mT4_T5_T6_T7_T8_P12ihipStream_tbENKUlT_T0_E_clISt17integral_constantIbLb0EES12_IbLb1EEEEDaSY_SZ_EUlSY_E_NS1_11comp_targetILNS1_3genE3ELNS1_11target_archE908ELNS1_3gpuE7ELNS1_3repE0EEENS1_30default_config_static_selectorELNS0_4arch9wavefront6targetE1EEEvT1_
    .private_segment_fixed_size: 0
    .sgpr_count:     4
    .sgpr_spill_count: 0
    .symbol:         _ZN7rocprim17ROCPRIM_400000_NS6detail17trampoline_kernelINS0_14default_configENS1_29reduce_by_key_config_selectorIxjN6thrust23THRUST_200600_302600_NS4plusIjEEEEZZNS1_33reduce_by_key_impl_wrapped_configILNS1_25lookback_scan_determinismE0ES3_S9_NS6_6detail15normal_iteratorINS6_10device_ptrIxEEEENSD_INSE_IjEEEESG_SI_PmS8_NS6_8equal_toIxEEEE10hipError_tPvRmT2_T3_mT4_T5_T6_T7_T8_P12ihipStream_tbENKUlT_T0_E_clISt17integral_constantIbLb0EES12_IbLb1EEEEDaSY_SZ_EUlSY_E_NS1_11comp_targetILNS1_3genE3ELNS1_11target_archE908ELNS1_3gpuE7ELNS1_3repE0EEENS1_30default_config_static_selectorELNS0_4arch9wavefront6targetE1EEEvT1_.kd
    .uniform_work_group_size: 1
    .uses_dynamic_stack: false
    .vgpr_count:     0
    .vgpr_spill_count: 0
    .wavefront_size: 64
  - .agpr_count:     0
    .args:
      - .offset:         0
        .size:           120
        .value_kind:     by_value
    .group_segment_fixed_size: 0
    .kernarg_segment_align: 8
    .kernarg_segment_size: 120
    .language:       OpenCL C
    .language_version:
      - 2
      - 0
    .max_flat_workgroup_size: 256
    .name:           _ZN7rocprim17ROCPRIM_400000_NS6detail17trampoline_kernelINS0_14default_configENS1_29reduce_by_key_config_selectorIxjN6thrust23THRUST_200600_302600_NS4plusIjEEEEZZNS1_33reduce_by_key_impl_wrapped_configILNS1_25lookback_scan_determinismE0ES3_S9_NS6_6detail15normal_iteratorINS6_10device_ptrIxEEEENSD_INSE_IjEEEESG_SI_PmS8_NS6_8equal_toIxEEEE10hipError_tPvRmT2_T3_mT4_T5_T6_T7_T8_P12ihipStream_tbENKUlT_T0_E_clISt17integral_constantIbLb0EES12_IbLb1EEEEDaSY_SZ_EUlSY_E_NS1_11comp_targetILNS1_3genE2ELNS1_11target_archE906ELNS1_3gpuE6ELNS1_3repE0EEENS1_30default_config_static_selectorELNS0_4arch9wavefront6targetE1EEEvT1_
    .private_segment_fixed_size: 0
    .sgpr_count:     4
    .sgpr_spill_count: 0
    .symbol:         _ZN7rocprim17ROCPRIM_400000_NS6detail17trampoline_kernelINS0_14default_configENS1_29reduce_by_key_config_selectorIxjN6thrust23THRUST_200600_302600_NS4plusIjEEEEZZNS1_33reduce_by_key_impl_wrapped_configILNS1_25lookback_scan_determinismE0ES3_S9_NS6_6detail15normal_iteratorINS6_10device_ptrIxEEEENSD_INSE_IjEEEESG_SI_PmS8_NS6_8equal_toIxEEEE10hipError_tPvRmT2_T3_mT4_T5_T6_T7_T8_P12ihipStream_tbENKUlT_T0_E_clISt17integral_constantIbLb0EES12_IbLb1EEEEDaSY_SZ_EUlSY_E_NS1_11comp_targetILNS1_3genE2ELNS1_11target_archE906ELNS1_3gpuE6ELNS1_3repE0EEENS1_30default_config_static_selectorELNS0_4arch9wavefront6targetE1EEEvT1_.kd
    .uniform_work_group_size: 1
    .uses_dynamic_stack: false
    .vgpr_count:     0
    .vgpr_spill_count: 0
    .wavefront_size: 64
  - .agpr_count:     0
    .args:
      - .offset:         0
        .size:           120
        .value_kind:     by_value
    .group_segment_fixed_size: 0
    .kernarg_segment_align: 8
    .kernarg_segment_size: 120
    .language:       OpenCL C
    .language_version:
      - 2
      - 0
    .max_flat_workgroup_size: 256
    .name:           _ZN7rocprim17ROCPRIM_400000_NS6detail17trampoline_kernelINS0_14default_configENS1_29reduce_by_key_config_selectorIxjN6thrust23THRUST_200600_302600_NS4plusIjEEEEZZNS1_33reduce_by_key_impl_wrapped_configILNS1_25lookback_scan_determinismE0ES3_S9_NS6_6detail15normal_iteratorINS6_10device_ptrIxEEEENSD_INSE_IjEEEESG_SI_PmS8_NS6_8equal_toIxEEEE10hipError_tPvRmT2_T3_mT4_T5_T6_T7_T8_P12ihipStream_tbENKUlT_T0_E_clISt17integral_constantIbLb0EES12_IbLb1EEEEDaSY_SZ_EUlSY_E_NS1_11comp_targetILNS1_3genE10ELNS1_11target_archE1201ELNS1_3gpuE5ELNS1_3repE0EEENS1_30default_config_static_selectorELNS0_4arch9wavefront6targetE1EEEvT1_
    .private_segment_fixed_size: 0
    .sgpr_count:     4
    .sgpr_spill_count: 0
    .symbol:         _ZN7rocprim17ROCPRIM_400000_NS6detail17trampoline_kernelINS0_14default_configENS1_29reduce_by_key_config_selectorIxjN6thrust23THRUST_200600_302600_NS4plusIjEEEEZZNS1_33reduce_by_key_impl_wrapped_configILNS1_25lookback_scan_determinismE0ES3_S9_NS6_6detail15normal_iteratorINS6_10device_ptrIxEEEENSD_INSE_IjEEEESG_SI_PmS8_NS6_8equal_toIxEEEE10hipError_tPvRmT2_T3_mT4_T5_T6_T7_T8_P12ihipStream_tbENKUlT_T0_E_clISt17integral_constantIbLb0EES12_IbLb1EEEEDaSY_SZ_EUlSY_E_NS1_11comp_targetILNS1_3genE10ELNS1_11target_archE1201ELNS1_3gpuE5ELNS1_3repE0EEENS1_30default_config_static_selectorELNS0_4arch9wavefront6targetE1EEEvT1_.kd
    .uniform_work_group_size: 1
    .uses_dynamic_stack: false
    .vgpr_count:     0
    .vgpr_spill_count: 0
    .wavefront_size: 64
  - .agpr_count:     0
    .args:
      - .offset:         0
        .size:           120
        .value_kind:     by_value
    .group_segment_fixed_size: 0
    .kernarg_segment_align: 8
    .kernarg_segment_size: 120
    .language:       OpenCL C
    .language_version:
      - 2
      - 0
    .max_flat_workgroup_size: 256
    .name:           _ZN7rocprim17ROCPRIM_400000_NS6detail17trampoline_kernelINS0_14default_configENS1_29reduce_by_key_config_selectorIxjN6thrust23THRUST_200600_302600_NS4plusIjEEEEZZNS1_33reduce_by_key_impl_wrapped_configILNS1_25lookback_scan_determinismE0ES3_S9_NS6_6detail15normal_iteratorINS6_10device_ptrIxEEEENSD_INSE_IjEEEESG_SI_PmS8_NS6_8equal_toIxEEEE10hipError_tPvRmT2_T3_mT4_T5_T6_T7_T8_P12ihipStream_tbENKUlT_T0_E_clISt17integral_constantIbLb0EES12_IbLb1EEEEDaSY_SZ_EUlSY_E_NS1_11comp_targetILNS1_3genE10ELNS1_11target_archE1200ELNS1_3gpuE4ELNS1_3repE0EEENS1_30default_config_static_selectorELNS0_4arch9wavefront6targetE1EEEvT1_
    .private_segment_fixed_size: 0
    .sgpr_count:     4
    .sgpr_spill_count: 0
    .symbol:         _ZN7rocprim17ROCPRIM_400000_NS6detail17trampoline_kernelINS0_14default_configENS1_29reduce_by_key_config_selectorIxjN6thrust23THRUST_200600_302600_NS4plusIjEEEEZZNS1_33reduce_by_key_impl_wrapped_configILNS1_25lookback_scan_determinismE0ES3_S9_NS6_6detail15normal_iteratorINS6_10device_ptrIxEEEENSD_INSE_IjEEEESG_SI_PmS8_NS6_8equal_toIxEEEE10hipError_tPvRmT2_T3_mT4_T5_T6_T7_T8_P12ihipStream_tbENKUlT_T0_E_clISt17integral_constantIbLb0EES12_IbLb1EEEEDaSY_SZ_EUlSY_E_NS1_11comp_targetILNS1_3genE10ELNS1_11target_archE1200ELNS1_3gpuE4ELNS1_3repE0EEENS1_30default_config_static_selectorELNS0_4arch9wavefront6targetE1EEEvT1_.kd
    .uniform_work_group_size: 1
    .uses_dynamic_stack: false
    .vgpr_count:     0
    .vgpr_spill_count: 0
    .wavefront_size: 64
  - .agpr_count:     0
    .args:
      - .offset:         0
        .size:           120
        .value_kind:     by_value
    .group_segment_fixed_size: 0
    .kernarg_segment_align: 8
    .kernarg_segment_size: 120
    .language:       OpenCL C
    .language_version:
      - 2
      - 0
    .max_flat_workgroup_size: 256
    .name:           _ZN7rocprim17ROCPRIM_400000_NS6detail17trampoline_kernelINS0_14default_configENS1_29reduce_by_key_config_selectorIxjN6thrust23THRUST_200600_302600_NS4plusIjEEEEZZNS1_33reduce_by_key_impl_wrapped_configILNS1_25lookback_scan_determinismE0ES3_S9_NS6_6detail15normal_iteratorINS6_10device_ptrIxEEEENSD_INSE_IjEEEESG_SI_PmS8_NS6_8equal_toIxEEEE10hipError_tPvRmT2_T3_mT4_T5_T6_T7_T8_P12ihipStream_tbENKUlT_T0_E_clISt17integral_constantIbLb0EES12_IbLb1EEEEDaSY_SZ_EUlSY_E_NS1_11comp_targetILNS1_3genE9ELNS1_11target_archE1100ELNS1_3gpuE3ELNS1_3repE0EEENS1_30default_config_static_selectorELNS0_4arch9wavefront6targetE1EEEvT1_
    .private_segment_fixed_size: 0
    .sgpr_count:     4
    .sgpr_spill_count: 0
    .symbol:         _ZN7rocprim17ROCPRIM_400000_NS6detail17trampoline_kernelINS0_14default_configENS1_29reduce_by_key_config_selectorIxjN6thrust23THRUST_200600_302600_NS4plusIjEEEEZZNS1_33reduce_by_key_impl_wrapped_configILNS1_25lookback_scan_determinismE0ES3_S9_NS6_6detail15normal_iteratorINS6_10device_ptrIxEEEENSD_INSE_IjEEEESG_SI_PmS8_NS6_8equal_toIxEEEE10hipError_tPvRmT2_T3_mT4_T5_T6_T7_T8_P12ihipStream_tbENKUlT_T0_E_clISt17integral_constantIbLb0EES12_IbLb1EEEEDaSY_SZ_EUlSY_E_NS1_11comp_targetILNS1_3genE9ELNS1_11target_archE1100ELNS1_3gpuE3ELNS1_3repE0EEENS1_30default_config_static_selectorELNS0_4arch9wavefront6targetE1EEEvT1_.kd
    .uniform_work_group_size: 1
    .uses_dynamic_stack: false
    .vgpr_count:     0
    .vgpr_spill_count: 0
    .wavefront_size: 64
  - .agpr_count:     0
    .args:
      - .offset:         0
        .size:           120
        .value_kind:     by_value
    .group_segment_fixed_size: 0
    .kernarg_segment_align: 8
    .kernarg_segment_size: 120
    .language:       OpenCL C
    .language_version:
      - 2
      - 0
    .max_flat_workgroup_size: 256
    .name:           _ZN7rocprim17ROCPRIM_400000_NS6detail17trampoline_kernelINS0_14default_configENS1_29reduce_by_key_config_selectorIxjN6thrust23THRUST_200600_302600_NS4plusIjEEEEZZNS1_33reduce_by_key_impl_wrapped_configILNS1_25lookback_scan_determinismE0ES3_S9_NS6_6detail15normal_iteratorINS6_10device_ptrIxEEEENSD_INSE_IjEEEESG_SI_PmS8_NS6_8equal_toIxEEEE10hipError_tPvRmT2_T3_mT4_T5_T6_T7_T8_P12ihipStream_tbENKUlT_T0_E_clISt17integral_constantIbLb0EES12_IbLb1EEEEDaSY_SZ_EUlSY_E_NS1_11comp_targetILNS1_3genE8ELNS1_11target_archE1030ELNS1_3gpuE2ELNS1_3repE0EEENS1_30default_config_static_selectorELNS0_4arch9wavefront6targetE1EEEvT1_
    .private_segment_fixed_size: 0
    .sgpr_count:     4
    .sgpr_spill_count: 0
    .symbol:         _ZN7rocprim17ROCPRIM_400000_NS6detail17trampoline_kernelINS0_14default_configENS1_29reduce_by_key_config_selectorIxjN6thrust23THRUST_200600_302600_NS4plusIjEEEEZZNS1_33reduce_by_key_impl_wrapped_configILNS1_25lookback_scan_determinismE0ES3_S9_NS6_6detail15normal_iteratorINS6_10device_ptrIxEEEENSD_INSE_IjEEEESG_SI_PmS8_NS6_8equal_toIxEEEE10hipError_tPvRmT2_T3_mT4_T5_T6_T7_T8_P12ihipStream_tbENKUlT_T0_E_clISt17integral_constantIbLb0EES12_IbLb1EEEEDaSY_SZ_EUlSY_E_NS1_11comp_targetILNS1_3genE8ELNS1_11target_archE1030ELNS1_3gpuE2ELNS1_3repE0EEENS1_30default_config_static_selectorELNS0_4arch9wavefront6targetE1EEEvT1_.kd
    .uniform_work_group_size: 1
    .uses_dynamic_stack: false
    .vgpr_count:     0
    .vgpr_spill_count: 0
    .wavefront_size: 64
  - .agpr_count:     0
    .args:
      - .offset:         0
        .size:           120
        .value_kind:     by_value
    .group_segment_fixed_size: 0
    .kernarg_segment_align: 8
    .kernarg_segment_size: 120
    .language:       OpenCL C
    .language_version:
      - 2
      - 0
    .max_flat_workgroup_size: 256
    .name:           _ZN7rocprim17ROCPRIM_400000_NS6detail17trampoline_kernelINS0_14default_configENS1_29reduce_by_key_config_selectorIijN6thrust23THRUST_200600_302600_NS4plusIjEEEEZZNS1_33reduce_by_key_impl_wrapped_configILNS1_25lookback_scan_determinismE0ES3_S9_NS6_6detail15normal_iteratorINS6_10device_ptrIiEEEENSD_INSE_IjEEEESG_SI_PmS8_NS6_8equal_toIiEEEE10hipError_tPvRmT2_T3_mT4_T5_T6_T7_T8_P12ihipStream_tbENKUlT_T0_E_clISt17integral_constantIbLb0EES13_EEDaSY_SZ_EUlSY_E_NS1_11comp_targetILNS1_3genE0ELNS1_11target_archE4294967295ELNS1_3gpuE0ELNS1_3repE0EEENS1_30default_config_static_selectorELNS0_4arch9wavefront6targetE1EEEvT1_
    .private_segment_fixed_size: 0
    .sgpr_count:     4
    .sgpr_spill_count: 0
    .symbol:         _ZN7rocprim17ROCPRIM_400000_NS6detail17trampoline_kernelINS0_14default_configENS1_29reduce_by_key_config_selectorIijN6thrust23THRUST_200600_302600_NS4plusIjEEEEZZNS1_33reduce_by_key_impl_wrapped_configILNS1_25lookback_scan_determinismE0ES3_S9_NS6_6detail15normal_iteratorINS6_10device_ptrIiEEEENSD_INSE_IjEEEESG_SI_PmS8_NS6_8equal_toIiEEEE10hipError_tPvRmT2_T3_mT4_T5_T6_T7_T8_P12ihipStream_tbENKUlT_T0_E_clISt17integral_constantIbLb0EES13_EEDaSY_SZ_EUlSY_E_NS1_11comp_targetILNS1_3genE0ELNS1_11target_archE4294967295ELNS1_3gpuE0ELNS1_3repE0EEENS1_30default_config_static_selectorELNS0_4arch9wavefront6targetE1EEEvT1_.kd
    .uniform_work_group_size: 1
    .uses_dynamic_stack: false
    .vgpr_count:     0
    .vgpr_spill_count: 0
    .wavefront_size: 64
  - .agpr_count:     0
    .args:
      - .offset:         0
        .size:           120
        .value_kind:     by_value
    .group_segment_fixed_size: 0
    .kernarg_segment_align: 8
    .kernarg_segment_size: 120
    .language:       OpenCL C
    .language_version:
      - 2
      - 0
    .max_flat_workgroup_size: 256
    .name:           _ZN7rocprim17ROCPRIM_400000_NS6detail17trampoline_kernelINS0_14default_configENS1_29reduce_by_key_config_selectorIijN6thrust23THRUST_200600_302600_NS4plusIjEEEEZZNS1_33reduce_by_key_impl_wrapped_configILNS1_25lookback_scan_determinismE0ES3_S9_NS6_6detail15normal_iteratorINS6_10device_ptrIiEEEENSD_INSE_IjEEEESG_SI_PmS8_NS6_8equal_toIiEEEE10hipError_tPvRmT2_T3_mT4_T5_T6_T7_T8_P12ihipStream_tbENKUlT_T0_E_clISt17integral_constantIbLb0EES13_EEDaSY_SZ_EUlSY_E_NS1_11comp_targetILNS1_3genE5ELNS1_11target_archE942ELNS1_3gpuE9ELNS1_3repE0EEENS1_30default_config_static_selectorELNS0_4arch9wavefront6targetE1EEEvT1_
    .private_segment_fixed_size: 0
    .sgpr_count:     4
    .sgpr_spill_count: 0
    .symbol:         _ZN7rocprim17ROCPRIM_400000_NS6detail17trampoline_kernelINS0_14default_configENS1_29reduce_by_key_config_selectorIijN6thrust23THRUST_200600_302600_NS4plusIjEEEEZZNS1_33reduce_by_key_impl_wrapped_configILNS1_25lookback_scan_determinismE0ES3_S9_NS6_6detail15normal_iteratorINS6_10device_ptrIiEEEENSD_INSE_IjEEEESG_SI_PmS8_NS6_8equal_toIiEEEE10hipError_tPvRmT2_T3_mT4_T5_T6_T7_T8_P12ihipStream_tbENKUlT_T0_E_clISt17integral_constantIbLb0EES13_EEDaSY_SZ_EUlSY_E_NS1_11comp_targetILNS1_3genE5ELNS1_11target_archE942ELNS1_3gpuE9ELNS1_3repE0EEENS1_30default_config_static_selectorELNS0_4arch9wavefront6targetE1EEEvT1_.kd
    .uniform_work_group_size: 1
    .uses_dynamic_stack: false
    .vgpr_count:     0
    .vgpr_spill_count: 0
    .wavefront_size: 64
  - .agpr_count:     0
    .args:
      - .offset:         0
        .size:           120
        .value_kind:     by_value
    .group_segment_fixed_size: 15360
    .kernarg_segment_align: 8
    .kernarg_segment_size: 120
    .language:       OpenCL C
    .language_version:
      - 2
      - 0
    .max_flat_workgroup_size: 256
    .name:           _ZN7rocprim17ROCPRIM_400000_NS6detail17trampoline_kernelINS0_14default_configENS1_29reduce_by_key_config_selectorIijN6thrust23THRUST_200600_302600_NS4plusIjEEEEZZNS1_33reduce_by_key_impl_wrapped_configILNS1_25lookback_scan_determinismE0ES3_S9_NS6_6detail15normal_iteratorINS6_10device_ptrIiEEEENSD_INSE_IjEEEESG_SI_PmS8_NS6_8equal_toIiEEEE10hipError_tPvRmT2_T3_mT4_T5_T6_T7_T8_P12ihipStream_tbENKUlT_T0_E_clISt17integral_constantIbLb0EES13_EEDaSY_SZ_EUlSY_E_NS1_11comp_targetILNS1_3genE4ELNS1_11target_archE910ELNS1_3gpuE8ELNS1_3repE0EEENS1_30default_config_static_selectorELNS0_4arch9wavefront6targetE1EEEvT1_
    .private_segment_fixed_size: 0
    .sgpr_count:     68
    .sgpr_spill_count: 0
    .symbol:         _ZN7rocprim17ROCPRIM_400000_NS6detail17trampoline_kernelINS0_14default_configENS1_29reduce_by_key_config_selectorIijN6thrust23THRUST_200600_302600_NS4plusIjEEEEZZNS1_33reduce_by_key_impl_wrapped_configILNS1_25lookback_scan_determinismE0ES3_S9_NS6_6detail15normal_iteratorINS6_10device_ptrIiEEEENSD_INSE_IjEEEESG_SI_PmS8_NS6_8equal_toIiEEEE10hipError_tPvRmT2_T3_mT4_T5_T6_T7_T8_P12ihipStream_tbENKUlT_T0_E_clISt17integral_constantIbLb0EES13_EEDaSY_SZ_EUlSY_E_NS1_11comp_targetILNS1_3genE4ELNS1_11target_archE910ELNS1_3gpuE8ELNS1_3repE0EEENS1_30default_config_static_selectorELNS0_4arch9wavefront6targetE1EEEvT1_.kd
    .uniform_work_group_size: 1
    .uses_dynamic_stack: false
    .vgpr_count:     106
    .vgpr_spill_count: 0
    .wavefront_size: 64
  - .agpr_count:     0
    .args:
      - .offset:         0
        .size:           120
        .value_kind:     by_value
    .group_segment_fixed_size: 0
    .kernarg_segment_align: 8
    .kernarg_segment_size: 120
    .language:       OpenCL C
    .language_version:
      - 2
      - 0
    .max_flat_workgroup_size: 256
    .name:           _ZN7rocprim17ROCPRIM_400000_NS6detail17trampoline_kernelINS0_14default_configENS1_29reduce_by_key_config_selectorIijN6thrust23THRUST_200600_302600_NS4plusIjEEEEZZNS1_33reduce_by_key_impl_wrapped_configILNS1_25lookback_scan_determinismE0ES3_S9_NS6_6detail15normal_iteratorINS6_10device_ptrIiEEEENSD_INSE_IjEEEESG_SI_PmS8_NS6_8equal_toIiEEEE10hipError_tPvRmT2_T3_mT4_T5_T6_T7_T8_P12ihipStream_tbENKUlT_T0_E_clISt17integral_constantIbLb0EES13_EEDaSY_SZ_EUlSY_E_NS1_11comp_targetILNS1_3genE3ELNS1_11target_archE908ELNS1_3gpuE7ELNS1_3repE0EEENS1_30default_config_static_selectorELNS0_4arch9wavefront6targetE1EEEvT1_
    .private_segment_fixed_size: 0
    .sgpr_count:     4
    .sgpr_spill_count: 0
    .symbol:         _ZN7rocprim17ROCPRIM_400000_NS6detail17trampoline_kernelINS0_14default_configENS1_29reduce_by_key_config_selectorIijN6thrust23THRUST_200600_302600_NS4plusIjEEEEZZNS1_33reduce_by_key_impl_wrapped_configILNS1_25lookback_scan_determinismE0ES3_S9_NS6_6detail15normal_iteratorINS6_10device_ptrIiEEEENSD_INSE_IjEEEESG_SI_PmS8_NS6_8equal_toIiEEEE10hipError_tPvRmT2_T3_mT4_T5_T6_T7_T8_P12ihipStream_tbENKUlT_T0_E_clISt17integral_constantIbLb0EES13_EEDaSY_SZ_EUlSY_E_NS1_11comp_targetILNS1_3genE3ELNS1_11target_archE908ELNS1_3gpuE7ELNS1_3repE0EEENS1_30default_config_static_selectorELNS0_4arch9wavefront6targetE1EEEvT1_.kd
    .uniform_work_group_size: 1
    .uses_dynamic_stack: false
    .vgpr_count:     0
    .vgpr_spill_count: 0
    .wavefront_size: 64
  - .agpr_count:     0
    .args:
      - .offset:         0
        .size:           120
        .value_kind:     by_value
    .group_segment_fixed_size: 0
    .kernarg_segment_align: 8
    .kernarg_segment_size: 120
    .language:       OpenCL C
    .language_version:
      - 2
      - 0
    .max_flat_workgroup_size: 256
    .name:           _ZN7rocprim17ROCPRIM_400000_NS6detail17trampoline_kernelINS0_14default_configENS1_29reduce_by_key_config_selectorIijN6thrust23THRUST_200600_302600_NS4plusIjEEEEZZNS1_33reduce_by_key_impl_wrapped_configILNS1_25lookback_scan_determinismE0ES3_S9_NS6_6detail15normal_iteratorINS6_10device_ptrIiEEEENSD_INSE_IjEEEESG_SI_PmS8_NS6_8equal_toIiEEEE10hipError_tPvRmT2_T3_mT4_T5_T6_T7_T8_P12ihipStream_tbENKUlT_T0_E_clISt17integral_constantIbLb0EES13_EEDaSY_SZ_EUlSY_E_NS1_11comp_targetILNS1_3genE2ELNS1_11target_archE906ELNS1_3gpuE6ELNS1_3repE0EEENS1_30default_config_static_selectorELNS0_4arch9wavefront6targetE1EEEvT1_
    .private_segment_fixed_size: 0
    .sgpr_count:     4
    .sgpr_spill_count: 0
    .symbol:         _ZN7rocprim17ROCPRIM_400000_NS6detail17trampoline_kernelINS0_14default_configENS1_29reduce_by_key_config_selectorIijN6thrust23THRUST_200600_302600_NS4plusIjEEEEZZNS1_33reduce_by_key_impl_wrapped_configILNS1_25lookback_scan_determinismE0ES3_S9_NS6_6detail15normal_iteratorINS6_10device_ptrIiEEEENSD_INSE_IjEEEESG_SI_PmS8_NS6_8equal_toIiEEEE10hipError_tPvRmT2_T3_mT4_T5_T6_T7_T8_P12ihipStream_tbENKUlT_T0_E_clISt17integral_constantIbLb0EES13_EEDaSY_SZ_EUlSY_E_NS1_11comp_targetILNS1_3genE2ELNS1_11target_archE906ELNS1_3gpuE6ELNS1_3repE0EEENS1_30default_config_static_selectorELNS0_4arch9wavefront6targetE1EEEvT1_.kd
    .uniform_work_group_size: 1
    .uses_dynamic_stack: false
    .vgpr_count:     0
    .vgpr_spill_count: 0
    .wavefront_size: 64
  - .agpr_count:     0
    .args:
      - .offset:         0
        .size:           120
        .value_kind:     by_value
    .group_segment_fixed_size: 0
    .kernarg_segment_align: 8
    .kernarg_segment_size: 120
    .language:       OpenCL C
    .language_version:
      - 2
      - 0
    .max_flat_workgroup_size: 256
    .name:           _ZN7rocprim17ROCPRIM_400000_NS6detail17trampoline_kernelINS0_14default_configENS1_29reduce_by_key_config_selectorIijN6thrust23THRUST_200600_302600_NS4plusIjEEEEZZNS1_33reduce_by_key_impl_wrapped_configILNS1_25lookback_scan_determinismE0ES3_S9_NS6_6detail15normal_iteratorINS6_10device_ptrIiEEEENSD_INSE_IjEEEESG_SI_PmS8_NS6_8equal_toIiEEEE10hipError_tPvRmT2_T3_mT4_T5_T6_T7_T8_P12ihipStream_tbENKUlT_T0_E_clISt17integral_constantIbLb0EES13_EEDaSY_SZ_EUlSY_E_NS1_11comp_targetILNS1_3genE10ELNS1_11target_archE1201ELNS1_3gpuE5ELNS1_3repE0EEENS1_30default_config_static_selectorELNS0_4arch9wavefront6targetE1EEEvT1_
    .private_segment_fixed_size: 0
    .sgpr_count:     4
    .sgpr_spill_count: 0
    .symbol:         _ZN7rocprim17ROCPRIM_400000_NS6detail17trampoline_kernelINS0_14default_configENS1_29reduce_by_key_config_selectorIijN6thrust23THRUST_200600_302600_NS4plusIjEEEEZZNS1_33reduce_by_key_impl_wrapped_configILNS1_25lookback_scan_determinismE0ES3_S9_NS6_6detail15normal_iteratorINS6_10device_ptrIiEEEENSD_INSE_IjEEEESG_SI_PmS8_NS6_8equal_toIiEEEE10hipError_tPvRmT2_T3_mT4_T5_T6_T7_T8_P12ihipStream_tbENKUlT_T0_E_clISt17integral_constantIbLb0EES13_EEDaSY_SZ_EUlSY_E_NS1_11comp_targetILNS1_3genE10ELNS1_11target_archE1201ELNS1_3gpuE5ELNS1_3repE0EEENS1_30default_config_static_selectorELNS0_4arch9wavefront6targetE1EEEvT1_.kd
    .uniform_work_group_size: 1
    .uses_dynamic_stack: false
    .vgpr_count:     0
    .vgpr_spill_count: 0
    .wavefront_size: 64
  - .agpr_count:     0
    .args:
      - .offset:         0
        .size:           120
        .value_kind:     by_value
    .group_segment_fixed_size: 0
    .kernarg_segment_align: 8
    .kernarg_segment_size: 120
    .language:       OpenCL C
    .language_version:
      - 2
      - 0
    .max_flat_workgroup_size: 256
    .name:           _ZN7rocprim17ROCPRIM_400000_NS6detail17trampoline_kernelINS0_14default_configENS1_29reduce_by_key_config_selectorIijN6thrust23THRUST_200600_302600_NS4plusIjEEEEZZNS1_33reduce_by_key_impl_wrapped_configILNS1_25lookback_scan_determinismE0ES3_S9_NS6_6detail15normal_iteratorINS6_10device_ptrIiEEEENSD_INSE_IjEEEESG_SI_PmS8_NS6_8equal_toIiEEEE10hipError_tPvRmT2_T3_mT4_T5_T6_T7_T8_P12ihipStream_tbENKUlT_T0_E_clISt17integral_constantIbLb0EES13_EEDaSY_SZ_EUlSY_E_NS1_11comp_targetILNS1_3genE10ELNS1_11target_archE1200ELNS1_3gpuE4ELNS1_3repE0EEENS1_30default_config_static_selectorELNS0_4arch9wavefront6targetE1EEEvT1_
    .private_segment_fixed_size: 0
    .sgpr_count:     4
    .sgpr_spill_count: 0
    .symbol:         _ZN7rocprim17ROCPRIM_400000_NS6detail17trampoline_kernelINS0_14default_configENS1_29reduce_by_key_config_selectorIijN6thrust23THRUST_200600_302600_NS4plusIjEEEEZZNS1_33reduce_by_key_impl_wrapped_configILNS1_25lookback_scan_determinismE0ES3_S9_NS6_6detail15normal_iteratorINS6_10device_ptrIiEEEENSD_INSE_IjEEEESG_SI_PmS8_NS6_8equal_toIiEEEE10hipError_tPvRmT2_T3_mT4_T5_T6_T7_T8_P12ihipStream_tbENKUlT_T0_E_clISt17integral_constantIbLb0EES13_EEDaSY_SZ_EUlSY_E_NS1_11comp_targetILNS1_3genE10ELNS1_11target_archE1200ELNS1_3gpuE4ELNS1_3repE0EEENS1_30default_config_static_selectorELNS0_4arch9wavefront6targetE1EEEvT1_.kd
    .uniform_work_group_size: 1
    .uses_dynamic_stack: false
    .vgpr_count:     0
    .vgpr_spill_count: 0
    .wavefront_size: 64
  - .agpr_count:     0
    .args:
      - .offset:         0
        .size:           120
        .value_kind:     by_value
    .group_segment_fixed_size: 0
    .kernarg_segment_align: 8
    .kernarg_segment_size: 120
    .language:       OpenCL C
    .language_version:
      - 2
      - 0
    .max_flat_workgroup_size: 256
    .name:           _ZN7rocprim17ROCPRIM_400000_NS6detail17trampoline_kernelINS0_14default_configENS1_29reduce_by_key_config_selectorIijN6thrust23THRUST_200600_302600_NS4plusIjEEEEZZNS1_33reduce_by_key_impl_wrapped_configILNS1_25lookback_scan_determinismE0ES3_S9_NS6_6detail15normal_iteratorINS6_10device_ptrIiEEEENSD_INSE_IjEEEESG_SI_PmS8_NS6_8equal_toIiEEEE10hipError_tPvRmT2_T3_mT4_T5_T6_T7_T8_P12ihipStream_tbENKUlT_T0_E_clISt17integral_constantIbLb0EES13_EEDaSY_SZ_EUlSY_E_NS1_11comp_targetILNS1_3genE9ELNS1_11target_archE1100ELNS1_3gpuE3ELNS1_3repE0EEENS1_30default_config_static_selectorELNS0_4arch9wavefront6targetE1EEEvT1_
    .private_segment_fixed_size: 0
    .sgpr_count:     4
    .sgpr_spill_count: 0
    .symbol:         _ZN7rocprim17ROCPRIM_400000_NS6detail17trampoline_kernelINS0_14default_configENS1_29reduce_by_key_config_selectorIijN6thrust23THRUST_200600_302600_NS4plusIjEEEEZZNS1_33reduce_by_key_impl_wrapped_configILNS1_25lookback_scan_determinismE0ES3_S9_NS6_6detail15normal_iteratorINS6_10device_ptrIiEEEENSD_INSE_IjEEEESG_SI_PmS8_NS6_8equal_toIiEEEE10hipError_tPvRmT2_T3_mT4_T5_T6_T7_T8_P12ihipStream_tbENKUlT_T0_E_clISt17integral_constantIbLb0EES13_EEDaSY_SZ_EUlSY_E_NS1_11comp_targetILNS1_3genE9ELNS1_11target_archE1100ELNS1_3gpuE3ELNS1_3repE0EEENS1_30default_config_static_selectorELNS0_4arch9wavefront6targetE1EEEvT1_.kd
    .uniform_work_group_size: 1
    .uses_dynamic_stack: false
    .vgpr_count:     0
    .vgpr_spill_count: 0
    .wavefront_size: 64
  - .agpr_count:     0
    .args:
      - .offset:         0
        .size:           120
        .value_kind:     by_value
    .group_segment_fixed_size: 0
    .kernarg_segment_align: 8
    .kernarg_segment_size: 120
    .language:       OpenCL C
    .language_version:
      - 2
      - 0
    .max_flat_workgroup_size: 256
    .name:           _ZN7rocprim17ROCPRIM_400000_NS6detail17trampoline_kernelINS0_14default_configENS1_29reduce_by_key_config_selectorIijN6thrust23THRUST_200600_302600_NS4plusIjEEEEZZNS1_33reduce_by_key_impl_wrapped_configILNS1_25lookback_scan_determinismE0ES3_S9_NS6_6detail15normal_iteratorINS6_10device_ptrIiEEEENSD_INSE_IjEEEESG_SI_PmS8_NS6_8equal_toIiEEEE10hipError_tPvRmT2_T3_mT4_T5_T6_T7_T8_P12ihipStream_tbENKUlT_T0_E_clISt17integral_constantIbLb0EES13_EEDaSY_SZ_EUlSY_E_NS1_11comp_targetILNS1_3genE8ELNS1_11target_archE1030ELNS1_3gpuE2ELNS1_3repE0EEENS1_30default_config_static_selectorELNS0_4arch9wavefront6targetE1EEEvT1_
    .private_segment_fixed_size: 0
    .sgpr_count:     4
    .sgpr_spill_count: 0
    .symbol:         _ZN7rocprim17ROCPRIM_400000_NS6detail17trampoline_kernelINS0_14default_configENS1_29reduce_by_key_config_selectorIijN6thrust23THRUST_200600_302600_NS4plusIjEEEEZZNS1_33reduce_by_key_impl_wrapped_configILNS1_25lookback_scan_determinismE0ES3_S9_NS6_6detail15normal_iteratorINS6_10device_ptrIiEEEENSD_INSE_IjEEEESG_SI_PmS8_NS6_8equal_toIiEEEE10hipError_tPvRmT2_T3_mT4_T5_T6_T7_T8_P12ihipStream_tbENKUlT_T0_E_clISt17integral_constantIbLb0EES13_EEDaSY_SZ_EUlSY_E_NS1_11comp_targetILNS1_3genE8ELNS1_11target_archE1030ELNS1_3gpuE2ELNS1_3repE0EEENS1_30default_config_static_selectorELNS0_4arch9wavefront6targetE1EEEvT1_.kd
    .uniform_work_group_size: 1
    .uses_dynamic_stack: false
    .vgpr_count:     0
    .vgpr_spill_count: 0
    .wavefront_size: 64
  - .agpr_count:     0
    .args:
      - .offset:         0
        .size:           120
        .value_kind:     by_value
    .group_segment_fixed_size: 0
    .kernarg_segment_align: 8
    .kernarg_segment_size: 120
    .language:       OpenCL C
    .language_version:
      - 2
      - 0
    .max_flat_workgroup_size: 256
    .name:           _ZN7rocprim17ROCPRIM_400000_NS6detail17trampoline_kernelINS0_14default_configENS1_29reduce_by_key_config_selectorIijN6thrust23THRUST_200600_302600_NS4plusIjEEEEZZNS1_33reduce_by_key_impl_wrapped_configILNS1_25lookback_scan_determinismE0ES3_S9_NS6_6detail15normal_iteratorINS6_10device_ptrIiEEEENSD_INSE_IjEEEESG_SI_PmS8_NS6_8equal_toIiEEEE10hipError_tPvRmT2_T3_mT4_T5_T6_T7_T8_P12ihipStream_tbENKUlT_T0_E_clISt17integral_constantIbLb1EES13_EEDaSY_SZ_EUlSY_E_NS1_11comp_targetILNS1_3genE0ELNS1_11target_archE4294967295ELNS1_3gpuE0ELNS1_3repE0EEENS1_30default_config_static_selectorELNS0_4arch9wavefront6targetE1EEEvT1_
    .private_segment_fixed_size: 0
    .sgpr_count:     4
    .sgpr_spill_count: 0
    .symbol:         _ZN7rocprim17ROCPRIM_400000_NS6detail17trampoline_kernelINS0_14default_configENS1_29reduce_by_key_config_selectorIijN6thrust23THRUST_200600_302600_NS4plusIjEEEEZZNS1_33reduce_by_key_impl_wrapped_configILNS1_25lookback_scan_determinismE0ES3_S9_NS6_6detail15normal_iteratorINS6_10device_ptrIiEEEENSD_INSE_IjEEEESG_SI_PmS8_NS6_8equal_toIiEEEE10hipError_tPvRmT2_T3_mT4_T5_T6_T7_T8_P12ihipStream_tbENKUlT_T0_E_clISt17integral_constantIbLb1EES13_EEDaSY_SZ_EUlSY_E_NS1_11comp_targetILNS1_3genE0ELNS1_11target_archE4294967295ELNS1_3gpuE0ELNS1_3repE0EEENS1_30default_config_static_selectorELNS0_4arch9wavefront6targetE1EEEvT1_.kd
    .uniform_work_group_size: 1
    .uses_dynamic_stack: false
    .vgpr_count:     0
    .vgpr_spill_count: 0
    .wavefront_size: 64
  - .agpr_count:     0
    .args:
      - .offset:         0
        .size:           120
        .value_kind:     by_value
    .group_segment_fixed_size: 0
    .kernarg_segment_align: 8
    .kernarg_segment_size: 120
    .language:       OpenCL C
    .language_version:
      - 2
      - 0
    .max_flat_workgroup_size: 256
    .name:           _ZN7rocprim17ROCPRIM_400000_NS6detail17trampoline_kernelINS0_14default_configENS1_29reduce_by_key_config_selectorIijN6thrust23THRUST_200600_302600_NS4plusIjEEEEZZNS1_33reduce_by_key_impl_wrapped_configILNS1_25lookback_scan_determinismE0ES3_S9_NS6_6detail15normal_iteratorINS6_10device_ptrIiEEEENSD_INSE_IjEEEESG_SI_PmS8_NS6_8equal_toIiEEEE10hipError_tPvRmT2_T3_mT4_T5_T6_T7_T8_P12ihipStream_tbENKUlT_T0_E_clISt17integral_constantIbLb1EES13_EEDaSY_SZ_EUlSY_E_NS1_11comp_targetILNS1_3genE5ELNS1_11target_archE942ELNS1_3gpuE9ELNS1_3repE0EEENS1_30default_config_static_selectorELNS0_4arch9wavefront6targetE1EEEvT1_
    .private_segment_fixed_size: 0
    .sgpr_count:     4
    .sgpr_spill_count: 0
    .symbol:         _ZN7rocprim17ROCPRIM_400000_NS6detail17trampoline_kernelINS0_14default_configENS1_29reduce_by_key_config_selectorIijN6thrust23THRUST_200600_302600_NS4plusIjEEEEZZNS1_33reduce_by_key_impl_wrapped_configILNS1_25lookback_scan_determinismE0ES3_S9_NS6_6detail15normal_iteratorINS6_10device_ptrIiEEEENSD_INSE_IjEEEESG_SI_PmS8_NS6_8equal_toIiEEEE10hipError_tPvRmT2_T3_mT4_T5_T6_T7_T8_P12ihipStream_tbENKUlT_T0_E_clISt17integral_constantIbLb1EES13_EEDaSY_SZ_EUlSY_E_NS1_11comp_targetILNS1_3genE5ELNS1_11target_archE942ELNS1_3gpuE9ELNS1_3repE0EEENS1_30default_config_static_selectorELNS0_4arch9wavefront6targetE1EEEvT1_.kd
    .uniform_work_group_size: 1
    .uses_dynamic_stack: false
    .vgpr_count:     0
    .vgpr_spill_count: 0
    .wavefront_size: 64
  - .agpr_count:     0
    .args:
      - .offset:         0
        .size:           120
        .value_kind:     by_value
    .group_segment_fixed_size: 15360
    .kernarg_segment_align: 8
    .kernarg_segment_size: 120
    .language:       OpenCL C
    .language_version:
      - 2
      - 0
    .max_flat_workgroup_size: 256
    .name:           _ZN7rocprim17ROCPRIM_400000_NS6detail17trampoline_kernelINS0_14default_configENS1_29reduce_by_key_config_selectorIijN6thrust23THRUST_200600_302600_NS4plusIjEEEEZZNS1_33reduce_by_key_impl_wrapped_configILNS1_25lookback_scan_determinismE0ES3_S9_NS6_6detail15normal_iteratorINS6_10device_ptrIiEEEENSD_INSE_IjEEEESG_SI_PmS8_NS6_8equal_toIiEEEE10hipError_tPvRmT2_T3_mT4_T5_T6_T7_T8_P12ihipStream_tbENKUlT_T0_E_clISt17integral_constantIbLb1EES13_EEDaSY_SZ_EUlSY_E_NS1_11comp_targetILNS1_3genE4ELNS1_11target_archE910ELNS1_3gpuE8ELNS1_3repE0EEENS1_30default_config_static_selectorELNS0_4arch9wavefront6targetE1EEEvT1_
    .private_segment_fixed_size: 0
    .sgpr_count:     70
    .sgpr_spill_count: 0
    .symbol:         _ZN7rocprim17ROCPRIM_400000_NS6detail17trampoline_kernelINS0_14default_configENS1_29reduce_by_key_config_selectorIijN6thrust23THRUST_200600_302600_NS4plusIjEEEEZZNS1_33reduce_by_key_impl_wrapped_configILNS1_25lookback_scan_determinismE0ES3_S9_NS6_6detail15normal_iteratorINS6_10device_ptrIiEEEENSD_INSE_IjEEEESG_SI_PmS8_NS6_8equal_toIiEEEE10hipError_tPvRmT2_T3_mT4_T5_T6_T7_T8_P12ihipStream_tbENKUlT_T0_E_clISt17integral_constantIbLb1EES13_EEDaSY_SZ_EUlSY_E_NS1_11comp_targetILNS1_3genE4ELNS1_11target_archE910ELNS1_3gpuE8ELNS1_3repE0EEENS1_30default_config_static_selectorELNS0_4arch9wavefront6targetE1EEEvT1_.kd
    .uniform_work_group_size: 1
    .uses_dynamic_stack: false
    .vgpr_count:     106
    .vgpr_spill_count: 0
    .wavefront_size: 64
  - .agpr_count:     0
    .args:
      - .offset:         0
        .size:           120
        .value_kind:     by_value
    .group_segment_fixed_size: 0
    .kernarg_segment_align: 8
    .kernarg_segment_size: 120
    .language:       OpenCL C
    .language_version:
      - 2
      - 0
    .max_flat_workgroup_size: 256
    .name:           _ZN7rocprim17ROCPRIM_400000_NS6detail17trampoline_kernelINS0_14default_configENS1_29reduce_by_key_config_selectorIijN6thrust23THRUST_200600_302600_NS4plusIjEEEEZZNS1_33reduce_by_key_impl_wrapped_configILNS1_25lookback_scan_determinismE0ES3_S9_NS6_6detail15normal_iteratorINS6_10device_ptrIiEEEENSD_INSE_IjEEEESG_SI_PmS8_NS6_8equal_toIiEEEE10hipError_tPvRmT2_T3_mT4_T5_T6_T7_T8_P12ihipStream_tbENKUlT_T0_E_clISt17integral_constantIbLb1EES13_EEDaSY_SZ_EUlSY_E_NS1_11comp_targetILNS1_3genE3ELNS1_11target_archE908ELNS1_3gpuE7ELNS1_3repE0EEENS1_30default_config_static_selectorELNS0_4arch9wavefront6targetE1EEEvT1_
    .private_segment_fixed_size: 0
    .sgpr_count:     4
    .sgpr_spill_count: 0
    .symbol:         _ZN7rocprim17ROCPRIM_400000_NS6detail17trampoline_kernelINS0_14default_configENS1_29reduce_by_key_config_selectorIijN6thrust23THRUST_200600_302600_NS4plusIjEEEEZZNS1_33reduce_by_key_impl_wrapped_configILNS1_25lookback_scan_determinismE0ES3_S9_NS6_6detail15normal_iteratorINS6_10device_ptrIiEEEENSD_INSE_IjEEEESG_SI_PmS8_NS6_8equal_toIiEEEE10hipError_tPvRmT2_T3_mT4_T5_T6_T7_T8_P12ihipStream_tbENKUlT_T0_E_clISt17integral_constantIbLb1EES13_EEDaSY_SZ_EUlSY_E_NS1_11comp_targetILNS1_3genE3ELNS1_11target_archE908ELNS1_3gpuE7ELNS1_3repE0EEENS1_30default_config_static_selectorELNS0_4arch9wavefront6targetE1EEEvT1_.kd
    .uniform_work_group_size: 1
    .uses_dynamic_stack: false
    .vgpr_count:     0
    .vgpr_spill_count: 0
    .wavefront_size: 64
  - .agpr_count:     0
    .args:
      - .offset:         0
        .size:           120
        .value_kind:     by_value
    .group_segment_fixed_size: 0
    .kernarg_segment_align: 8
    .kernarg_segment_size: 120
    .language:       OpenCL C
    .language_version:
      - 2
      - 0
    .max_flat_workgroup_size: 256
    .name:           _ZN7rocprim17ROCPRIM_400000_NS6detail17trampoline_kernelINS0_14default_configENS1_29reduce_by_key_config_selectorIijN6thrust23THRUST_200600_302600_NS4plusIjEEEEZZNS1_33reduce_by_key_impl_wrapped_configILNS1_25lookback_scan_determinismE0ES3_S9_NS6_6detail15normal_iteratorINS6_10device_ptrIiEEEENSD_INSE_IjEEEESG_SI_PmS8_NS6_8equal_toIiEEEE10hipError_tPvRmT2_T3_mT4_T5_T6_T7_T8_P12ihipStream_tbENKUlT_T0_E_clISt17integral_constantIbLb1EES13_EEDaSY_SZ_EUlSY_E_NS1_11comp_targetILNS1_3genE2ELNS1_11target_archE906ELNS1_3gpuE6ELNS1_3repE0EEENS1_30default_config_static_selectorELNS0_4arch9wavefront6targetE1EEEvT1_
    .private_segment_fixed_size: 0
    .sgpr_count:     4
    .sgpr_spill_count: 0
    .symbol:         _ZN7rocprim17ROCPRIM_400000_NS6detail17trampoline_kernelINS0_14default_configENS1_29reduce_by_key_config_selectorIijN6thrust23THRUST_200600_302600_NS4plusIjEEEEZZNS1_33reduce_by_key_impl_wrapped_configILNS1_25lookback_scan_determinismE0ES3_S9_NS6_6detail15normal_iteratorINS6_10device_ptrIiEEEENSD_INSE_IjEEEESG_SI_PmS8_NS6_8equal_toIiEEEE10hipError_tPvRmT2_T3_mT4_T5_T6_T7_T8_P12ihipStream_tbENKUlT_T0_E_clISt17integral_constantIbLb1EES13_EEDaSY_SZ_EUlSY_E_NS1_11comp_targetILNS1_3genE2ELNS1_11target_archE906ELNS1_3gpuE6ELNS1_3repE0EEENS1_30default_config_static_selectorELNS0_4arch9wavefront6targetE1EEEvT1_.kd
    .uniform_work_group_size: 1
    .uses_dynamic_stack: false
    .vgpr_count:     0
    .vgpr_spill_count: 0
    .wavefront_size: 64
  - .agpr_count:     0
    .args:
      - .offset:         0
        .size:           120
        .value_kind:     by_value
    .group_segment_fixed_size: 0
    .kernarg_segment_align: 8
    .kernarg_segment_size: 120
    .language:       OpenCL C
    .language_version:
      - 2
      - 0
    .max_flat_workgroup_size: 256
    .name:           _ZN7rocprim17ROCPRIM_400000_NS6detail17trampoline_kernelINS0_14default_configENS1_29reduce_by_key_config_selectorIijN6thrust23THRUST_200600_302600_NS4plusIjEEEEZZNS1_33reduce_by_key_impl_wrapped_configILNS1_25lookback_scan_determinismE0ES3_S9_NS6_6detail15normal_iteratorINS6_10device_ptrIiEEEENSD_INSE_IjEEEESG_SI_PmS8_NS6_8equal_toIiEEEE10hipError_tPvRmT2_T3_mT4_T5_T6_T7_T8_P12ihipStream_tbENKUlT_T0_E_clISt17integral_constantIbLb1EES13_EEDaSY_SZ_EUlSY_E_NS1_11comp_targetILNS1_3genE10ELNS1_11target_archE1201ELNS1_3gpuE5ELNS1_3repE0EEENS1_30default_config_static_selectorELNS0_4arch9wavefront6targetE1EEEvT1_
    .private_segment_fixed_size: 0
    .sgpr_count:     4
    .sgpr_spill_count: 0
    .symbol:         _ZN7rocprim17ROCPRIM_400000_NS6detail17trampoline_kernelINS0_14default_configENS1_29reduce_by_key_config_selectorIijN6thrust23THRUST_200600_302600_NS4plusIjEEEEZZNS1_33reduce_by_key_impl_wrapped_configILNS1_25lookback_scan_determinismE0ES3_S9_NS6_6detail15normal_iteratorINS6_10device_ptrIiEEEENSD_INSE_IjEEEESG_SI_PmS8_NS6_8equal_toIiEEEE10hipError_tPvRmT2_T3_mT4_T5_T6_T7_T8_P12ihipStream_tbENKUlT_T0_E_clISt17integral_constantIbLb1EES13_EEDaSY_SZ_EUlSY_E_NS1_11comp_targetILNS1_3genE10ELNS1_11target_archE1201ELNS1_3gpuE5ELNS1_3repE0EEENS1_30default_config_static_selectorELNS0_4arch9wavefront6targetE1EEEvT1_.kd
    .uniform_work_group_size: 1
    .uses_dynamic_stack: false
    .vgpr_count:     0
    .vgpr_spill_count: 0
    .wavefront_size: 64
  - .agpr_count:     0
    .args:
      - .offset:         0
        .size:           120
        .value_kind:     by_value
    .group_segment_fixed_size: 0
    .kernarg_segment_align: 8
    .kernarg_segment_size: 120
    .language:       OpenCL C
    .language_version:
      - 2
      - 0
    .max_flat_workgroup_size: 256
    .name:           _ZN7rocprim17ROCPRIM_400000_NS6detail17trampoline_kernelINS0_14default_configENS1_29reduce_by_key_config_selectorIijN6thrust23THRUST_200600_302600_NS4plusIjEEEEZZNS1_33reduce_by_key_impl_wrapped_configILNS1_25lookback_scan_determinismE0ES3_S9_NS6_6detail15normal_iteratorINS6_10device_ptrIiEEEENSD_INSE_IjEEEESG_SI_PmS8_NS6_8equal_toIiEEEE10hipError_tPvRmT2_T3_mT4_T5_T6_T7_T8_P12ihipStream_tbENKUlT_T0_E_clISt17integral_constantIbLb1EES13_EEDaSY_SZ_EUlSY_E_NS1_11comp_targetILNS1_3genE10ELNS1_11target_archE1200ELNS1_3gpuE4ELNS1_3repE0EEENS1_30default_config_static_selectorELNS0_4arch9wavefront6targetE1EEEvT1_
    .private_segment_fixed_size: 0
    .sgpr_count:     4
    .sgpr_spill_count: 0
    .symbol:         _ZN7rocprim17ROCPRIM_400000_NS6detail17trampoline_kernelINS0_14default_configENS1_29reduce_by_key_config_selectorIijN6thrust23THRUST_200600_302600_NS4plusIjEEEEZZNS1_33reduce_by_key_impl_wrapped_configILNS1_25lookback_scan_determinismE0ES3_S9_NS6_6detail15normal_iteratorINS6_10device_ptrIiEEEENSD_INSE_IjEEEESG_SI_PmS8_NS6_8equal_toIiEEEE10hipError_tPvRmT2_T3_mT4_T5_T6_T7_T8_P12ihipStream_tbENKUlT_T0_E_clISt17integral_constantIbLb1EES13_EEDaSY_SZ_EUlSY_E_NS1_11comp_targetILNS1_3genE10ELNS1_11target_archE1200ELNS1_3gpuE4ELNS1_3repE0EEENS1_30default_config_static_selectorELNS0_4arch9wavefront6targetE1EEEvT1_.kd
    .uniform_work_group_size: 1
    .uses_dynamic_stack: false
    .vgpr_count:     0
    .vgpr_spill_count: 0
    .wavefront_size: 64
  - .agpr_count:     0
    .args:
      - .offset:         0
        .size:           120
        .value_kind:     by_value
    .group_segment_fixed_size: 0
    .kernarg_segment_align: 8
    .kernarg_segment_size: 120
    .language:       OpenCL C
    .language_version:
      - 2
      - 0
    .max_flat_workgroup_size: 256
    .name:           _ZN7rocprim17ROCPRIM_400000_NS6detail17trampoline_kernelINS0_14default_configENS1_29reduce_by_key_config_selectorIijN6thrust23THRUST_200600_302600_NS4plusIjEEEEZZNS1_33reduce_by_key_impl_wrapped_configILNS1_25lookback_scan_determinismE0ES3_S9_NS6_6detail15normal_iteratorINS6_10device_ptrIiEEEENSD_INSE_IjEEEESG_SI_PmS8_NS6_8equal_toIiEEEE10hipError_tPvRmT2_T3_mT4_T5_T6_T7_T8_P12ihipStream_tbENKUlT_T0_E_clISt17integral_constantIbLb1EES13_EEDaSY_SZ_EUlSY_E_NS1_11comp_targetILNS1_3genE9ELNS1_11target_archE1100ELNS1_3gpuE3ELNS1_3repE0EEENS1_30default_config_static_selectorELNS0_4arch9wavefront6targetE1EEEvT1_
    .private_segment_fixed_size: 0
    .sgpr_count:     4
    .sgpr_spill_count: 0
    .symbol:         _ZN7rocprim17ROCPRIM_400000_NS6detail17trampoline_kernelINS0_14default_configENS1_29reduce_by_key_config_selectorIijN6thrust23THRUST_200600_302600_NS4plusIjEEEEZZNS1_33reduce_by_key_impl_wrapped_configILNS1_25lookback_scan_determinismE0ES3_S9_NS6_6detail15normal_iteratorINS6_10device_ptrIiEEEENSD_INSE_IjEEEESG_SI_PmS8_NS6_8equal_toIiEEEE10hipError_tPvRmT2_T3_mT4_T5_T6_T7_T8_P12ihipStream_tbENKUlT_T0_E_clISt17integral_constantIbLb1EES13_EEDaSY_SZ_EUlSY_E_NS1_11comp_targetILNS1_3genE9ELNS1_11target_archE1100ELNS1_3gpuE3ELNS1_3repE0EEENS1_30default_config_static_selectorELNS0_4arch9wavefront6targetE1EEEvT1_.kd
    .uniform_work_group_size: 1
    .uses_dynamic_stack: false
    .vgpr_count:     0
    .vgpr_spill_count: 0
    .wavefront_size: 64
  - .agpr_count:     0
    .args:
      - .offset:         0
        .size:           120
        .value_kind:     by_value
    .group_segment_fixed_size: 0
    .kernarg_segment_align: 8
    .kernarg_segment_size: 120
    .language:       OpenCL C
    .language_version:
      - 2
      - 0
    .max_flat_workgroup_size: 256
    .name:           _ZN7rocprim17ROCPRIM_400000_NS6detail17trampoline_kernelINS0_14default_configENS1_29reduce_by_key_config_selectorIijN6thrust23THRUST_200600_302600_NS4plusIjEEEEZZNS1_33reduce_by_key_impl_wrapped_configILNS1_25lookback_scan_determinismE0ES3_S9_NS6_6detail15normal_iteratorINS6_10device_ptrIiEEEENSD_INSE_IjEEEESG_SI_PmS8_NS6_8equal_toIiEEEE10hipError_tPvRmT2_T3_mT4_T5_T6_T7_T8_P12ihipStream_tbENKUlT_T0_E_clISt17integral_constantIbLb1EES13_EEDaSY_SZ_EUlSY_E_NS1_11comp_targetILNS1_3genE8ELNS1_11target_archE1030ELNS1_3gpuE2ELNS1_3repE0EEENS1_30default_config_static_selectorELNS0_4arch9wavefront6targetE1EEEvT1_
    .private_segment_fixed_size: 0
    .sgpr_count:     4
    .sgpr_spill_count: 0
    .symbol:         _ZN7rocprim17ROCPRIM_400000_NS6detail17trampoline_kernelINS0_14default_configENS1_29reduce_by_key_config_selectorIijN6thrust23THRUST_200600_302600_NS4plusIjEEEEZZNS1_33reduce_by_key_impl_wrapped_configILNS1_25lookback_scan_determinismE0ES3_S9_NS6_6detail15normal_iteratorINS6_10device_ptrIiEEEENSD_INSE_IjEEEESG_SI_PmS8_NS6_8equal_toIiEEEE10hipError_tPvRmT2_T3_mT4_T5_T6_T7_T8_P12ihipStream_tbENKUlT_T0_E_clISt17integral_constantIbLb1EES13_EEDaSY_SZ_EUlSY_E_NS1_11comp_targetILNS1_3genE8ELNS1_11target_archE1030ELNS1_3gpuE2ELNS1_3repE0EEENS1_30default_config_static_selectorELNS0_4arch9wavefront6targetE1EEEvT1_.kd
    .uniform_work_group_size: 1
    .uses_dynamic_stack: false
    .vgpr_count:     0
    .vgpr_spill_count: 0
    .wavefront_size: 64
  - .agpr_count:     0
    .args:
      - .offset:         0
        .size:           120
        .value_kind:     by_value
    .group_segment_fixed_size: 0
    .kernarg_segment_align: 8
    .kernarg_segment_size: 120
    .language:       OpenCL C
    .language_version:
      - 2
      - 0
    .max_flat_workgroup_size: 256
    .name:           _ZN7rocprim17ROCPRIM_400000_NS6detail17trampoline_kernelINS0_14default_configENS1_29reduce_by_key_config_selectorIijN6thrust23THRUST_200600_302600_NS4plusIjEEEEZZNS1_33reduce_by_key_impl_wrapped_configILNS1_25lookback_scan_determinismE0ES3_S9_NS6_6detail15normal_iteratorINS6_10device_ptrIiEEEENSD_INSE_IjEEEESG_SI_PmS8_NS6_8equal_toIiEEEE10hipError_tPvRmT2_T3_mT4_T5_T6_T7_T8_P12ihipStream_tbENKUlT_T0_E_clISt17integral_constantIbLb1EES12_IbLb0EEEEDaSY_SZ_EUlSY_E_NS1_11comp_targetILNS1_3genE0ELNS1_11target_archE4294967295ELNS1_3gpuE0ELNS1_3repE0EEENS1_30default_config_static_selectorELNS0_4arch9wavefront6targetE1EEEvT1_
    .private_segment_fixed_size: 0
    .sgpr_count:     4
    .sgpr_spill_count: 0
    .symbol:         _ZN7rocprim17ROCPRIM_400000_NS6detail17trampoline_kernelINS0_14default_configENS1_29reduce_by_key_config_selectorIijN6thrust23THRUST_200600_302600_NS4plusIjEEEEZZNS1_33reduce_by_key_impl_wrapped_configILNS1_25lookback_scan_determinismE0ES3_S9_NS6_6detail15normal_iteratorINS6_10device_ptrIiEEEENSD_INSE_IjEEEESG_SI_PmS8_NS6_8equal_toIiEEEE10hipError_tPvRmT2_T3_mT4_T5_T6_T7_T8_P12ihipStream_tbENKUlT_T0_E_clISt17integral_constantIbLb1EES12_IbLb0EEEEDaSY_SZ_EUlSY_E_NS1_11comp_targetILNS1_3genE0ELNS1_11target_archE4294967295ELNS1_3gpuE0ELNS1_3repE0EEENS1_30default_config_static_selectorELNS0_4arch9wavefront6targetE1EEEvT1_.kd
    .uniform_work_group_size: 1
    .uses_dynamic_stack: false
    .vgpr_count:     0
    .vgpr_spill_count: 0
    .wavefront_size: 64
  - .agpr_count:     0
    .args:
      - .offset:         0
        .size:           120
        .value_kind:     by_value
    .group_segment_fixed_size: 0
    .kernarg_segment_align: 8
    .kernarg_segment_size: 120
    .language:       OpenCL C
    .language_version:
      - 2
      - 0
    .max_flat_workgroup_size: 256
    .name:           _ZN7rocprim17ROCPRIM_400000_NS6detail17trampoline_kernelINS0_14default_configENS1_29reduce_by_key_config_selectorIijN6thrust23THRUST_200600_302600_NS4plusIjEEEEZZNS1_33reduce_by_key_impl_wrapped_configILNS1_25lookback_scan_determinismE0ES3_S9_NS6_6detail15normal_iteratorINS6_10device_ptrIiEEEENSD_INSE_IjEEEESG_SI_PmS8_NS6_8equal_toIiEEEE10hipError_tPvRmT2_T3_mT4_T5_T6_T7_T8_P12ihipStream_tbENKUlT_T0_E_clISt17integral_constantIbLb1EES12_IbLb0EEEEDaSY_SZ_EUlSY_E_NS1_11comp_targetILNS1_3genE5ELNS1_11target_archE942ELNS1_3gpuE9ELNS1_3repE0EEENS1_30default_config_static_selectorELNS0_4arch9wavefront6targetE1EEEvT1_
    .private_segment_fixed_size: 0
    .sgpr_count:     4
    .sgpr_spill_count: 0
    .symbol:         _ZN7rocprim17ROCPRIM_400000_NS6detail17trampoline_kernelINS0_14default_configENS1_29reduce_by_key_config_selectorIijN6thrust23THRUST_200600_302600_NS4plusIjEEEEZZNS1_33reduce_by_key_impl_wrapped_configILNS1_25lookback_scan_determinismE0ES3_S9_NS6_6detail15normal_iteratorINS6_10device_ptrIiEEEENSD_INSE_IjEEEESG_SI_PmS8_NS6_8equal_toIiEEEE10hipError_tPvRmT2_T3_mT4_T5_T6_T7_T8_P12ihipStream_tbENKUlT_T0_E_clISt17integral_constantIbLb1EES12_IbLb0EEEEDaSY_SZ_EUlSY_E_NS1_11comp_targetILNS1_3genE5ELNS1_11target_archE942ELNS1_3gpuE9ELNS1_3repE0EEENS1_30default_config_static_selectorELNS0_4arch9wavefront6targetE1EEEvT1_.kd
    .uniform_work_group_size: 1
    .uses_dynamic_stack: false
    .vgpr_count:     0
    .vgpr_spill_count: 0
    .wavefront_size: 64
  - .agpr_count:     0
    .args:
      - .offset:         0
        .size:           120
        .value_kind:     by_value
    .group_segment_fixed_size: 15360
    .kernarg_segment_align: 8
    .kernarg_segment_size: 120
    .language:       OpenCL C
    .language_version:
      - 2
      - 0
    .max_flat_workgroup_size: 256
    .name:           _ZN7rocprim17ROCPRIM_400000_NS6detail17trampoline_kernelINS0_14default_configENS1_29reduce_by_key_config_selectorIijN6thrust23THRUST_200600_302600_NS4plusIjEEEEZZNS1_33reduce_by_key_impl_wrapped_configILNS1_25lookback_scan_determinismE0ES3_S9_NS6_6detail15normal_iteratorINS6_10device_ptrIiEEEENSD_INSE_IjEEEESG_SI_PmS8_NS6_8equal_toIiEEEE10hipError_tPvRmT2_T3_mT4_T5_T6_T7_T8_P12ihipStream_tbENKUlT_T0_E_clISt17integral_constantIbLb1EES12_IbLb0EEEEDaSY_SZ_EUlSY_E_NS1_11comp_targetILNS1_3genE4ELNS1_11target_archE910ELNS1_3gpuE8ELNS1_3repE0EEENS1_30default_config_static_selectorELNS0_4arch9wavefront6targetE1EEEvT1_
    .private_segment_fixed_size: 0
    .sgpr_count:     68
    .sgpr_spill_count: 0
    .symbol:         _ZN7rocprim17ROCPRIM_400000_NS6detail17trampoline_kernelINS0_14default_configENS1_29reduce_by_key_config_selectorIijN6thrust23THRUST_200600_302600_NS4plusIjEEEEZZNS1_33reduce_by_key_impl_wrapped_configILNS1_25lookback_scan_determinismE0ES3_S9_NS6_6detail15normal_iteratorINS6_10device_ptrIiEEEENSD_INSE_IjEEEESG_SI_PmS8_NS6_8equal_toIiEEEE10hipError_tPvRmT2_T3_mT4_T5_T6_T7_T8_P12ihipStream_tbENKUlT_T0_E_clISt17integral_constantIbLb1EES12_IbLb0EEEEDaSY_SZ_EUlSY_E_NS1_11comp_targetILNS1_3genE4ELNS1_11target_archE910ELNS1_3gpuE8ELNS1_3repE0EEENS1_30default_config_static_selectorELNS0_4arch9wavefront6targetE1EEEvT1_.kd
    .uniform_work_group_size: 1
    .uses_dynamic_stack: false
    .vgpr_count:     106
    .vgpr_spill_count: 0
    .wavefront_size: 64
  - .agpr_count:     0
    .args:
      - .offset:         0
        .size:           120
        .value_kind:     by_value
    .group_segment_fixed_size: 0
    .kernarg_segment_align: 8
    .kernarg_segment_size: 120
    .language:       OpenCL C
    .language_version:
      - 2
      - 0
    .max_flat_workgroup_size: 256
    .name:           _ZN7rocprim17ROCPRIM_400000_NS6detail17trampoline_kernelINS0_14default_configENS1_29reduce_by_key_config_selectorIijN6thrust23THRUST_200600_302600_NS4plusIjEEEEZZNS1_33reduce_by_key_impl_wrapped_configILNS1_25lookback_scan_determinismE0ES3_S9_NS6_6detail15normal_iteratorINS6_10device_ptrIiEEEENSD_INSE_IjEEEESG_SI_PmS8_NS6_8equal_toIiEEEE10hipError_tPvRmT2_T3_mT4_T5_T6_T7_T8_P12ihipStream_tbENKUlT_T0_E_clISt17integral_constantIbLb1EES12_IbLb0EEEEDaSY_SZ_EUlSY_E_NS1_11comp_targetILNS1_3genE3ELNS1_11target_archE908ELNS1_3gpuE7ELNS1_3repE0EEENS1_30default_config_static_selectorELNS0_4arch9wavefront6targetE1EEEvT1_
    .private_segment_fixed_size: 0
    .sgpr_count:     4
    .sgpr_spill_count: 0
    .symbol:         _ZN7rocprim17ROCPRIM_400000_NS6detail17trampoline_kernelINS0_14default_configENS1_29reduce_by_key_config_selectorIijN6thrust23THRUST_200600_302600_NS4plusIjEEEEZZNS1_33reduce_by_key_impl_wrapped_configILNS1_25lookback_scan_determinismE0ES3_S9_NS6_6detail15normal_iteratorINS6_10device_ptrIiEEEENSD_INSE_IjEEEESG_SI_PmS8_NS6_8equal_toIiEEEE10hipError_tPvRmT2_T3_mT4_T5_T6_T7_T8_P12ihipStream_tbENKUlT_T0_E_clISt17integral_constantIbLb1EES12_IbLb0EEEEDaSY_SZ_EUlSY_E_NS1_11comp_targetILNS1_3genE3ELNS1_11target_archE908ELNS1_3gpuE7ELNS1_3repE0EEENS1_30default_config_static_selectorELNS0_4arch9wavefront6targetE1EEEvT1_.kd
    .uniform_work_group_size: 1
    .uses_dynamic_stack: false
    .vgpr_count:     0
    .vgpr_spill_count: 0
    .wavefront_size: 64
  - .agpr_count:     0
    .args:
      - .offset:         0
        .size:           120
        .value_kind:     by_value
    .group_segment_fixed_size: 0
    .kernarg_segment_align: 8
    .kernarg_segment_size: 120
    .language:       OpenCL C
    .language_version:
      - 2
      - 0
    .max_flat_workgroup_size: 256
    .name:           _ZN7rocprim17ROCPRIM_400000_NS6detail17trampoline_kernelINS0_14default_configENS1_29reduce_by_key_config_selectorIijN6thrust23THRUST_200600_302600_NS4plusIjEEEEZZNS1_33reduce_by_key_impl_wrapped_configILNS1_25lookback_scan_determinismE0ES3_S9_NS6_6detail15normal_iteratorINS6_10device_ptrIiEEEENSD_INSE_IjEEEESG_SI_PmS8_NS6_8equal_toIiEEEE10hipError_tPvRmT2_T3_mT4_T5_T6_T7_T8_P12ihipStream_tbENKUlT_T0_E_clISt17integral_constantIbLb1EES12_IbLb0EEEEDaSY_SZ_EUlSY_E_NS1_11comp_targetILNS1_3genE2ELNS1_11target_archE906ELNS1_3gpuE6ELNS1_3repE0EEENS1_30default_config_static_selectorELNS0_4arch9wavefront6targetE1EEEvT1_
    .private_segment_fixed_size: 0
    .sgpr_count:     4
    .sgpr_spill_count: 0
    .symbol:         _ZN7rocprim17ROCPRIM_400000_NS6detail17trampoline_kernelINS0_14default_configENS1_29reduce_by_key_config_selectorIijN6thrust23THRUST_200600_302600_NS4plusIjEEEEZZNS1_33reduce_by_key_impl_wrapped_configILNS1_25lookback_scan_determinismE0ES3_S9_NS6_6detail15normal_iteratorINS6_10device_ptrIiEEEENSD_INSE_IjEEEESG_SI_PmS8_NS6_8equal_toIiEEEE10hipError_tPvRmT2_T3_mT4_T5_T6_T7_T8_P12ihipStream_tbENKUlT_T0_E_clISt17integral_constantIbLb1EES12_IbLb0EEEEDaSY_SZ_EUlSY_E_NS1_11comp_targetILNS1_3genE2ELNS1_11target_archE906ELNS1_3gpuE6ELNS1_3repE0EEENS1_30default_config_static_selectorELNS0_4arch9wavefront6targetE1EEEvT1_.kd
    .uniform_work_group_size: 1
    .uses_dynamic_stack: false
    .vgpr_count:     0
    .vgpr_spill_count: 0
    .wavefront_size: 64
  - .agpr_count:     0
    .args:
      - .offset:         0
        .size:           120
        .value_kind:     by_value
    .group_segment_fixed_size: 0
    .kernarg_segment_align: 8
    .kernarg_segment_size: 120
    .language:       OpenCL C
    .language_version:
      - 2
      - 0
    .max_flat_workgroup_size: 256
    .name:           _ZN7rocprim17ROCPRIM_400000_NS6detail17trampoline_kernelINS0_14default_configENS1_29reduce_by_key_config_selectorIijN6thrust23THRUST_200600_302600_NS4plusIjEEEEZZNS1_33reduce_by_key_impl_wrapped_configILNS1_25lookback_scan_determinismE0ES3_S9_NS6_6detail15normal_iteratorINS6_10device_ptrIiEEEENSD_INSE_IjEEEESG_SI_PmS8_NS6_8equal_toIiEEEE10hipError_tPvRmT2_T3_mT4_T5_T6_T7_T8_P12ihipStream_tbENKUlT_T0_E_clISt17integral_constantIbLb1EES12_IbLb0EEEEDaSY_SZ_EUlSY_E_NS1_11comp_targetILNS1_3genE10ELNS1_11target_archE1201ELNS1_3gpuE5ELNS1_3repE0EEENS1_30default_config_static_selectorELNS0_4arch9wavefront6targetE1EEEvT1_
    .private_segment_fixed_size: 0
    .sgpr_count:     4
    .sgpr_spill_count: 0
    .symbol:         _ZN7rocprim17ROCPRIM_400000_NS6detail17trampoline_kernelINS0_14default_configENS1_29reduce_by_key_config_selectorIijN6thrust23THRUST_200600_302600_NS4plusIjEEEEZZNS1_33reduce_by_key_impl_wrapped_configILNS1_25lookback_scan_determinismE0ES3_S9_NS6_6detail15normal_iteratorINS6_10device_ptrIiEEEENSD_INSE_IjEEEESG_SI_PmS8_NS6_8equal_toIiEEEE10hipError_tPvRmT2_T3_mT4_T5_T6_T7_T8_P12ihipStream_tbENKUlT_T0_E_clISt17integral_constantIbLb1EES12_IbLb0EEEEDaSY_SZ_EUlSY_E_NS1_11comp_targetILNS1_3genE10ELNS1_11target_archE1201ELNS1_3gpuE5ELNS1_3repE0EEENS1_30default_config_static_selectorELNS0_4arch9wavefront6targetE1EEEvT1_.kd
    .uniform_work_group_size: 1
    .uses_dynamic_stack: false
    .vgpr_count:     0
    .vgpr_spill_count: 0
    .wavefront_size: 64
  - .agpr_count:     0
    .args:
      - .offset:         0
        .size:           120
        .value_kind:     by_value
    .group_segment_fixed_size: 0
    .kernarg_segment_align: 8
    .kernarg_segment_size: 120
    .language:       OpenCL C
    .language_version:
      - 2
      - 0
    .max_flat_workgroup_size: 256
    .name:           _ZN7rocprim17ROCPRIM_400000_NS6detail17trampoline_kernelINS0_14default_configENS1_29reduce_by_key_config_selectorIijN6thrust23THRUST_200600_302600_NS4plusIjEEEEZZNS1_33reduce_by_key_impl_wrapped_configILNS1_25lookback_scan_determinismE0ES3_S9_NS6_6detail15normal_iteratorINS6_10device_ptrIiEEEENSD_INSE_IjEEEESG_SI_PmS8_NS6_8equal_toIiEEEE10hipError_tPvRmT2_T3_mT4_T5_T6_T7_T8_P12ihipStream_tbENKUlT_T0_E_clISt17integral_constantIbLb1EES12_IbLb0EEEEDaSY_SZ_EUlSY_E_NS1_11comp_targetILNS1_3genE10ELNS1_11target_archE1200ELNS1_3gpuE4ELNS1_3repE0EEENS1_30default_config_static_selectorELNS0_4arch9wavefront6targetE1EEEvT1_
    .private_segment_fixed_size: 0
    .sgpr_count:     4
    .sgpr_spill_count: 0
    .symbol:         _ZN7rocprim17ROCPRIM_400000_NS6detail17trampoline_kernelINS0_14default_configENS1_29reduce_by_key_config_selectorIijN6thrust23THRUST_200600_302600_NS4plusIjEEEEZZNS1_33reduce_by_key_impl_wrapped_configILNS1_25lookback_scan_determinismE0ES3_S9_NS6_6detail15normal_iteratorINS6_10device_ptrIiEEEENSD_INSE_IjEEEESG_SI_PmS8_NS6_8equal_toIiEEEE10hipError_tPvRmT2_T3_mT4_T5_T6_T7_T8_P12ihipStream_tbENKUlT_T0_E_clISt17integral_constantIbLb1EES12_IbLb0EEEEDaSY_SZ_EUlSY_E_NS1_11comp_targetILNS1_3genE10ELNS1_11target_archE1200ELNS1_3gpuE4ELNS1_3repE0EEENS1_30default_config_static_selectorELNS0_4arch9wavefront6targetE1EEEvT1_.kd
    .uniform_work_group_size: 1
    .uses_dynamic_stack: false
    .vgpr_count:     0
    .vgpr_spill_count: 0
    .wavefront_size: 64
  - .agpr_count:     0
    .args:
      - .offset:         0
        .size:           120
        .value_kind:     by_value
    .group_segment_fixed_size: 0
    .kernarg_segment_align: 8
    .kernarg_segment_size: 120
    .language:       OpenCL C
    .language_version:
      - 2
      - 0
    .max_flat_workgroup_size: 256
    .name:           _ZN7rocprim17ROCPRIM_400000_NS6detail17trampoline_kernelINS0_14default_configENS1_29reduce_by_key_config_selectorIijN6thrust23THRUST_200600_302600_NS4plusIjEEEEZZNS1_33reduce_by_key_impl_wrapped_configILNS1_25lookback_scan_determinismE0ES3_S9_NS6_6detail15normal_iteratorINS6_10device_ptrIiEEEENSD_INSE_IjEEEESG_SI_PmS8_NS6_8equal_toIiEEEE10hipError_tPvRmT2_T3_mT4_T5_T6_T7_T8_P12ihipStream_tbENKUlT_T0_E_clISt17integral_constantIbLb1EES12_IbLb0EEEEDaSY_SZ_EUlSY_E_NS1_11comp_targetILNS1_3genE9ELNS1_11target_archE1100ELNS1_3gpuE3ELNS1_3repE0EEENS1_30default_config_static_selectorELNS0_4arch9wavefront6targetE1EEEvT1_
    .private_segment_fixed_size: 0
    .sgpr_count:     4
    .sgpr_spill_count: 0
    .symbol:         _ZN7rocprim17ROCPRIM_400000_NS6detail17trampoline_kernelINS0_14default_configENS1_29reduce_by_key_config_selectorIijN6thrust23THRUST_200600_302600_NS4plusIjEEEEZZNS1_33reduce_by_key_impl_wrapped_configILNS1_25lookback_scan_determinismE0ES3_S9_NS6_6detail15normal_iteratorINS6_10device_ptrIiEEEENSD_INSE_IjEEEESG_SI_PmS8_NS6_8equal_toIiEEEE10hipError_tPvRmT2_T3_mT4_T5_T6_T7_T8_P12ihipStream_tbENKUlT_T0_E_clISt17integral_constantIbLb1EES12_IbLb0EEEEDaSY_SZ_EUlSY_E_NS1_11comp_targetILNS1_3genE9ELNS1_11target_archE1100ELNS1_3gpuE3ELNS1_3repE0EEENS1_30default_config_static_selectorELNS0_4arch9wavefront6targetE1EEEvT1_.kd
    .uniform_work_group_size: 1
    .uses_dynamic_stack: false
    .vgpr_count:     0
    .vgpr_spill_count: 0
    .wavefront_size: 64
  - .agpr_count:     0
    .args:
      - .offset:         0
        .size:           120
        .value_kind:     by_value
    .group_segment_fixed_size: 0
    .kernarg_segment_align: 8
    .kernarg_segment_size: 120
    .language:       OpenCL C
    .language_version:
      - 2
      - 0
    .max_flat_workgroup_size: 256
    .name:           _ZN7rocprim17ROCPRIM_400000_NS6detail17trampoline_kernelINS0_14default_configENS1_29reduce_by_key_config_selectorIijN6thrust23THRUST_200600_302600_NS4plusIjEEEEZZNS1_33reduce_by_key_impl_wrapped_configILNS1_25lookback_scan_determinismE0ES3_S9_NS6_6detail15normal_iteratorINS6_10device_ptrIiEEEENSD_INSE_IjEEEESG_SI_PmS8_NS6_8equal_toIiEEEE10hipError_tPvRmT2_T3_mT4_T5_T6_T7_T8_P12ihipStream_tbENKUlT_T0_E_clISt17integral_constantIbLb1EES12_IbLb0EEEEDaSY_SZ_EUlSY_E_NS1_11comp_targetILNS1_3genE8ELNS1_11target_archE1030ELNS1_3gpuE2ELNS1_3repE0EEENS1_30default_config_static_selectorELNS0_4arch9wavefront6targetE1EEEvT1_
    .private_segment_fixed_size: 0
    .sgpr_count:     4
    .sgpr_spill_count: 0
    .symbol:         _ZN7rocprim17ROCPRIM_400000_NS6detail17trampoline_kernelINS0_14default_configENS1_29reduce_by_key_config_selectorIijN6thrust23THRUST_200600_302600_NS4plusIjEEEEZZNS1_33reduce_by_key_impl_wrapped_configILNS1_25lookback_scan_determinismE0ES3_S9_NS6_6detail15normal_iteratorINS6_10device_ptrIiEEEENSD_INSE_IjEEEESG_SI_PmS8_NS6_8equal_toIiEEEE10hipError_tPvRmT2_T3_mT4_T5_T6_T7_T8_P12ihipStream_tbENKUlT_T0_E_clISt17integral_constantIbLb1EES12_IbLb0EEEEDaSY_SZ_EUlSY_E_NS1_11comp_targetILNS1_3genE8ELNS1_11target_archE1030ELNS1_3gpuE2ELNS1_3repE0EEENS1_30default_config_static_selectorELNS0_4arch9wavefront6targetE1EEEvT1_.kd
    .uniform_work_group_size: 1
    .uses_dynamic_stack: false
    .vgpr_count:     0
    .vgpr_spill_count: 0
    .wavefront_size: 64
  - .agpr_count:     0
    .args:
      - .offset:         0
        .size:           120
        .value_kind:     by_value
    .group_segment_fixed_size: 0
    .kernarg_segment_align: 8
    .kernarg_segment_size: 120
    .language:       OpenCL C
    .language_version:
      - 2
      - 0
    .max_flat_workgroup_size: 256
    .name:           _ZN7rocprim17ROCPRIM_400000_NS6detail17trampoline_kernelINS0_14default_configENS1_29reduce_by_key_config_selectorIijN6thrust23THRUST_200600_302600_NS4plusIjEEEEZZNS1_33reduce_by_key_impl_wrapped_configILNS1_25lookback_scan_determinismE0ES3_S9_NS6_6detail15normal_iteratorINS6_10device_ptrIiEEEENSD_INSE_IjEEEESG_SI_PmS8_NS6_8equal_toIiEEEE10hipError_tPvRmT2_T3_mT4_T5_T6_T7_T8_P12ihipStream_tbENKUlT_T0_E_clISt17integral_constantIbLb0EES12_IbLb1EEEEDaSY_SZ_EUlSY_E_NS1_11comp_targetILNS1_3genE0ELNS1_11target_archE4294967295ELNS1_3gpuE0ELNS1_3repE0EEENS1_30default_config_static_selectorELNS0_4arch9wavefront6targetE1EEEvT1_
    .private_segment_fixed_size: 0
    .sgpr_count:     4
    .sgpr_spill_count: 0
    .symbol:         _ZN7rocprim17ROCPRIM_400000_NS6detail17trampoline_kernelINS0_14default_configENS1_29reduce_by_key_config_selectorIijN6thrust23THRUST_200600_302600_NS4plusIjEEEEZZNS1_33reduce_by_key_impl_wrapped_configILNS1_25lookback_scan_determinismE0ES3_S9_NS6_6detail15normal_iteratorINS6_10device_ptrIiEEEENSD_INSE_IjEEEESG_SI_PmS8_NS6_8equal_toIiEEEE10hipError_tPvRmT2_T3_mT4_T5_T6_T7_T8_P12ihipStream_tbENKUlT_T0_E_clISt17integral_constantIbLb0EES12_IbLb1EEEEDaSY_SZ_EUlSY_E_NS1_11comp_targetILNS1_3genE0ELNS1_11target_archE4294967295ELNS1_3gpuE0ELNS1_3repE0EEENS1_30default_config_static_selectorELNS0_4arch9wavefront6targetE1EEEvT1_.kd
    .uniform_work_group_size: 1
    .uses_dynamic_stack: false
    .vgpr_count:     0
    .vgpr_spill_count: 0
    .wavefront_size: 64
  - .agpr_count:     0
    .args:
      - .offset:         0
        .size:           120
        .value_kind:     by_value
    .group_segment_fixed_size: 0
    .kernarg_segment_align: 8
    .kernarg_segment_size: 120
    .language:       OpenCL C
    .language_version:
      - 2
      - 0
    .max_flat_workgroup_size: 256
    .name:           _ZN7rocprim17ROCPRIM_400000_NS6detail17trampoline_kernelINS0_14default_configENS1_29reduce_by_key_config_selectorIijN6thrust23THRUST_200600_302600_NS4plusIjEEEEZZNS1_33reduce_by_key_impl_wrapped_configILNS1_25lookback_scan_determinismE0ES3_S9_NS6_6detail15normal_iteratorINS6_10device_ptrIiEEEENSD_INSE_IjEEEESG_SI_PmS8_NS6_8equal_toIiEEEE10hipError_tPvRmT2_T3_mT4_T5_T6_T7_T8_P12ihipStream_tbENKUlT_T0_E_clISt17integral_constantIbLb0EES12_IbLb1EEEEDaSY_SZ_EUlSY_E_NS1_11comp_targetILNS1_3genE5ELNS1_11target_archE942ELNS1_3gpuE9ELNS1_3repE0EEENS1_30default_config_static_selectorELNS0_4arch9wavefront6targetE1EEEvT1_
    .private_segment_fixed_size: 0
    .sgpr_count:     4
    .sgpr_spill_count: 0
    .symbol:         _ZN7rocprim17ROCPRIM_400000_NS6detail17trampoline_kernelINS0_14default_configENS1_29reduce_by_key_config_selectorIijN6thrust23THRUST_200600_302600_NS4plusIjEEEEZZNS1_33reduce_by_key_impl_wrapped_configILNS1_25lookback_scan_determinismE0ES3_S9_NS6_6detail15normal_iteratorINS6_10device_ptrIiEEEENSD_INSE_IjEEEESG_SI_PmS8_NS6_8equal_toIiEEEE10hipError_tPvRmT2_T3_mT4_T5_T6_T7_T8_P12ihipStream_tbENKUlT_T0_E_clISt17integral_constantIbLb0EES12_IbLb1EEEEDaSY_SZ_EUlSY_E_NS1_11comp_targetILNS1_3genE5ELNS1_11target_archE942ELNS1_3gpuE9ELNS1_3repE0EEENS1_30default_config_static_selectorELNS0_4arch9wavefront6targetE1EEEvT1_.kd
    .uniform_work_group_size: 1
    .uses_dynamic_stack: false
    .vgpr_count:     0
    .vgpr_spill_count: 0
    .wavefront_size: 64
  - .agpr_count:     0
    .args:
      - .offset:         0
        .size:           120
        .value_kind:     by_value
    .group_segment_fixed_size: 15360
    .kernarg_segment_align: 8
    .kernarg_segment_size: 120
    .language:       OpenCL C
    .language_version:
      - 2
      - 0
    .max_flat_workgroup_size: 256
    .name:           _ZN7rocprim17ROCPRIM_400000_NS6detail17trampoline_kernelINS0_14default_configENS1_29reduce_by_key_config_selectorIijN6thrust23THRUST_200600_302600_NS4plusIjEEEEZZNS1_33reduce_by_key_impl_wrapped_configILNS1_25lookback_scan_determinismE0ES3_S9_NS6_6detail15normal_iteratorINS6_10device_ptrIiEEEENSD_INSE_IjEEEESG_SI_PmS8_NS6_8equal_toIiEEEE10hipError_tPvRmT2_T3_mT4_T5_T6_T7_T8_P12ihipStream_tbENKUlT_T0_E_clISt17integral_constantIbLb0EES12_IbLb1EEEEDaSY_SZ_EUlSY_E_NS1_11comp_targetILNS1_3genE4ELNS1_11target_archE910ELNS1_3gpuE8ELNS1_3repE0EEENS1_30default_config_static_selectorELNS0_4arch9wavefront6targetE1EEEvT1_
    .private_segment_fixed_size: 0
    .sgpr_count:     70
    .sgpr_spill_count: 0
    .symbol:         _ZN7rocprim17ROCPRIM_400000_NS6detail17trampoline_kernelINS0_14default_configENS1_29reduce_by_key_config_selectorIijN6thrust23THRUST_200600_302600_NS4plusIjEEEEZZNS1_33reduce_by_key_impl_wrapped_configILNS1_25lookback_scan_determinismE0ES3_S9_NS6_6detail15normal_iteratorINS6_10device_ptrIiEEEENSD_INSE_IjEEEESG_SI_PmS8_NS6_8equal_toIiEEEE10hipError_tPvRmT2_T3_mT4_T5_T6_T7_T8_P12ihipStream_tbENKUlT_T0_E_clISt17integral_constantIbLb0EES12_IbLb1EEEEDaSY_SZ_EUlSY_E_NS1_11comp_targetILNS1_3genE4ELNS1_11target_archE910ELNS1_3gpuE8ELNS1_3repE0EEENS1_30default_config_static_selectorELNS0_4arch9wavefront6targetE1EEEvT1_.kd
    .uniform_work_group_size: 1
    .uses_dynamic_stack: false
    .vgpr_count:     106
    .vgpr_spill_count: 0
    .wavefront_size: 64
  - .agpr_count:     0
    .args:
      - .offset:         0
        .size:           120
        .value_kind:     by_value
    .group_segment_fixed_size: 0
    .kernarg_segment_align: 8
    .kernarg_segment_size: 120
    .language:       OpenCL C
    .language_version:
      - 2
      - 0
    .max_flat_workgroup_size: 256
    .name:           _ZN7rocprim17ROCPRIM_400000_NS6detail17trampoline_kernelINS0_14default_configENS1_29reduce_by_key_config_selectorIijN6thrust23THRUST_200600_302600_NS4plusIjEEEEZZNS1_33reduce_by_key_impl_wrapped_configILNS1_25lookback_scan_determinismE0ES3_S9_NS6_6detail15normal_iteratorINS6_10device_ptrIiEEEENSD_INSE_IjEEEESG_SI_PmS8_NS6_8equal_toIiEEEE10hipError_tPvRmT2_T3_mT4_T5_T6_T7_T8_P12ihipStream_tbENKUlT_T0_E_clISt17integral_constantIbLb0EES12_IbLb1EEEEDaSY_SZ_EUlSY_E_NS1_11comp_targetILNS1_3genE3ELNS1_11target_archE908ELNS1_3gpuE7ELNS1_3repE0EEENS1_30default_config_static_selectorELNS0_4arch9wavefront6targetE1EEEvT1_
    .private_segment_fixed_size: 0
    .sgpr_count:     4
    .sgpr_spill_count: 0
    .symbol:         _ZN7rocprim17ROCPRIM_400000_NS6detail17trampoline_kernelINS0_14default_configENS1_29reduce_by_key_config_selectorIijN6thrust23THRUST_200600_302600_NS4plusIjEEEEZZNS1_33reduce_by_key_impl_wrapped_configILNS1_25lookback_scan_determinismE0ES3_S9_NS6_6detail15normal_iteratorINS6_10device_ptrIiEEEENSD_INSE_IjEEEESG_SI_PmS8_NS6_8equal_toIiEEEE10hipError_tPvRmT2_T3_mT4_T5_T6_T7_T8_P12ihipStream_tbENKUlT_T0_E_clISt17integral_constantIbLb0EES12_IbLb1EEEEDaSY_SZ_EUlSY_E_NS1_11comp_targetILNS1_3genE3ELNS1_11target_archE908ELNS1_3gpuE7ELNS1_3repE0EEENS1_30default_config_static_selectorELNS0_4arch9wavefront6targetE1EEEvT1_.kd
    .uniform_work_group_size: 1
    .uses_dynamic_stack: false
    .vgpr_count:     0
    .vgpr_spill_count: 0
    .wavefront_size: 64
  - .agpr_count:     0
    .args:
      - .offset:         0
        .size:           120
        .value_kind:     by_value
    .group_segment_fixed_size: 0
    .kernarg_segment_align: 8
    .kernarg_segment_size: 120
    .language:       OpenCL C
    .language_version:
      - 2
      - 0
    .max_flat_workgroup_size: 256
    .name:           _ZN7rocprim17ROCPRIM_400000_NS6detail17trampoline_kernelINS0_14default_configENS1_29reduce_by_key_config_selectorIijN6thrust23THRUST_200600_302600_NS4plusIjEEEEZZNS1_33reduce_by_key_impl_wrapped_configILNS1_25lookback_scan_determinismE0ES3_S9_NS6_6detail15normal_iteratorINS6_10device_ptrIiEEEENSD_INSE_IjEEEESG_SI_PmS8_NS6_8equal_toIiEEEE10hipError_tPvRmT2_T3_mT4_T5_T6_T7_T8_P12ihipStream_tbENKUlT_T0_E_clISt17integral_constantIbLb0EES12_IbLb1EEEEDaSY_SZ_EUlSY_E_NS1_11comp_targetILNS1_3genE2ELNS1_11target_archE906ELNS1_3gpuE6ELNS1_3repE0EEENS1_30default_config_static_selectorELNS0_4arch9wavefront6targetE1EEEvT1_
    .private_segment_fixed_size: 0
    .sgpr_count:     4
    .sgpr_spill_count: 0
    .symbol:         _ZN7rocprim17ROCPRIM_400000_NS6detail17trampoline_kernelINS0_14default_configENS1_29reduce_by_key_config_selectorIijN6thrust23THRUST_200600_302600_NS4plusIjEEEEZZNS1_33reduce_by_key_impl_wrapped_configILNS1_25lookback_scan_determinismE0ES3_S9_NS6_6detail15normal_iteratorINS6_10device_ptrIiEEEENSD_INSE_IjEEEESG_SI_PmS8_NS6_8equal_toIiEEEE10hipError_tPvRmT2_T3_mT4_T5_T6_T7_T8_P12ihipStream_tbENKUlT_T0_E_clISt17integral_constantIbLb0EES12_IbLb1EEEEDaSY_SZ_EUlSY_E_NS1_11comp_targetILNS1_3genE2ELNS1_11target_archE906ELNS1_3gpuE6ELNS1_3repE0EEENS1_30default_config_static_selectorELNS0_4arch9wavefront6targetE1EEEvT1_.kd
    .uniform_work_group_size: 1
    .uses_dynamic_stack: false
    .vgpr_count:     0
    .vgpr_spill_count: 0
    .wavefront_size: 64
  - .agpr_count:     0
    .args:
      - .offset:         0
        .size:           120
        .value_kind:     by_value
    .group_segment_fixed_size: 0
    .kernarg_segment_align: 8
    .kernarg_segment_size: 120
    .language:       OpenCL C
    .language_version:
      - 2
      - 0
    .max_flat_workgroup_size: 256
    .name:           _ZN7rocprim17ROCPRIM_400000_NS6detail17trampoline_kernelINS0_14default_configENS1_29reduce_by_key_config_selectorIijN6thrust23THRUST_200600_302600_NS4plusIjEEEEZZNS1_33reduce_by_key_impl_wrapped_configILNS1_25lookback_scan_determinismE0ES3_S9_NS6_6detail15normal_iteratorINS6_10device_ptrIiEEEENSD_INSE_IjEEEESG_SI_PmS8_NS6_8equal_toIiEEEE10hipError_tPvRmT2_T3_mT4_T5_T6_T7_T8_P12ihipStream_tbENKUlT_T0_E_clISt17integral_constantIbLb0EES12_IbLb1EEEEDaSY_SZ_EUlSY_E_NS1_11comp_targetILNS1_3genE10ELNS1_11target_archE1201ELNS1_3gpuE5ELNS1_3repE0EEENS1_30default_config_static_selectorELNS0_4arch9wavefront6targetE1EEEvT1_
    .private_segment_fixed_size: 0
    .sgpr_count:     4
    .sgpr_spill_count: 0
    .symbol:         _ZN7rocprim17ROCPRIM_400000_NS6detail17trampoline_kernelINS0_14default_configENS1_29reduce_by_key_config_selectorIijN6thrust23THRUST_200600_302600_NS4plusIjEEEEZZNS1_33reduce_by_key_impl_wrapped_configILNS1_25lookback_scan_determinismE0ES3_S9_NS6_6detail15normal_iteratorINS6_10device_ptrIiEEEENSD_INSE_IjEEEESG_SI_PmS8_NS6_8equal_toIiEEEE10hipError_tPvRmT2_T3_mT4_T5_T6_T7_T8_P12ihipStream_tbENKUlT_T0_E_clISt17integral_constantIbLb0EES12_IbLb1EEEEDaSY_SZ_EUlSY_E_NS1_11comp_targetILNS1_3genE10ELNS1_11target_archE1201ELNS1_3gpuE5ELNS1_3repE0EEENS1_30default_config_static_selectorELNS0_4arch9wavefront6targetE1EEEvT1_.kd
    .uniform_work_group_size: 1
    .uses_dynamic_stack: false
    .vgpr_count:     0
    .vgpr_spill_count: 0
    .wavefront_size: 64
  - .agpr_count:     0
    .args:
      - .offset:         0
        .size:           120
        .value_kind:     by_value
    .group_segment_fixed_size: 0
    .kernarg_segment_align: 8
    .kernarg_segment_size: 120
    .language:       OpenCL C
    .language_version:
      - 2
      - 0
    .max_flat_workgroup_size: 256
    .name:           _ZN7rocprim17ROCPRIM_400000_NS6detail17trampoline_kernelINS0_14default_configENS1_29reduce_by_key_config_selectorIijN6thrust23THRUST_200600_302600_NS4plusIjEEEEZZNS1_33reduce_by_key_impl_wrapped_configILNS1_25lookback_scan_determinismE0ES3_S9_NS6_6detail15normal_iteratorINS6_10device_ptrIiEEEENSD_INSE_IjEEEESG_SI_PmS8_NS6_8equal_toIiEEEE10hipError_tPvRmT2_T3_mT4_T5_T6_T7_T8_P12ihipStream_tbENKUlT_T0_E_clISt17integral_constantIbLb0EES12_IbLb1EEEEDaSY_SZ_EUlSY_E_NS1_11comp_targetILNS1_3genE10ELNS1_11target_archE1200ELNS1_3gpuE4ELNS1_3repE0EEENS1_30default_config_static_selectorELNS0_4arch9wavefront6targetE1EEEvT1_
    .private_segment_fixed_size: 0
    .sgpr_count:     4
    .sgpr_spill_count: 0
    .symbol:         _ZN7rocprim17ROCPRIM_400000_NS6detail17trampoline_kernelINS0_14default_configENS1_29reduce_by_key_config_selectorIijN6thrust23THRUST_200600_302600_NS4plusIjEEEEZZNS1_33reduce_by_key_impl_wrapped_configILNS1_25lookback_scan_determinismE0ES3_S9_NS6_6detail15normal_iteratorINS6_10device_ptrIiEEEENSD_INSE_IjEEEESG_SI_PmS8_NS6_8equal_toIiEEEE10hipError_tPvRmT2_T3_mT4_T5_T6_T7_T8_P12ihipStream_tbENKUlT_T0_E_clISt17integral_constantIbLb0EES12_IbLb1EEEEDaSY_SZ_EUlSY_E_NS1_11comp_targetILNS1_3genE10ELNS1_11target_archE1200ELNS1_3gpuE4ELNS1_3repE0EEENS1_30default_config_static_selectorELNS0_4arch9wavefront6targetE1EEEvT1_.kd
    .uniform_work_group_size: 1
    .uses_dynamic_stack: false
    .vgpr_count:     0
    .vgpr_spill_count: 0
    .wavefront_size: 64
  - .agpr_count:     0
    .args:
      - .offset:         0
        .size:           120
        .value_kind:     by_value
    .group_segment_fixed_size: 0
    .kernarg_segment_align: 8
    .kernarg_segment_size: 120
    .language:       OpenCL C
    .language_version:
      - 2
      - 0
    .max_flat_workgroup_size: 256
    .name:           _ZN7rocprim17ROCPRIM_400000_NS6detail17trampoline_kernelINS0_14default_configENS1_29reduce_by_key_config_selectorIijN6thrust23THRUST_200600_302600_NS4plusIjEEEEZZNS1_33reduce_by_key_impl_wrapped_configILNS1_25lookback_scan_determinismE0ES3_S9_NS6_6detail15normal_iteratorINS6_10device_ptrIiEEEENSD_INSE_IjEEEESG_SI_PmS8_NS6_8equal_toIiEEEE10hipError_tPvRmT2_T3_mT4_T5_T6_T7_T8_P12ihipStream_tbENKUlT_T0_E_clISt17integral_constantIbLb0EES12_IbLb1EEEEDaSY_SZ_EUlSY_E_NS1_11comp_targetILNS1_3genE9ELNS1_11target_archE1100ELNS1_3gpuE3ELNS1_3repE0EEENS1_30default_config_static_selectorELNS0_4arch9wavefront6targetE1EEEvT1_
    .private_segment_fixed_size: 0
    .sgpr_count:     4
    .sgpr_spill_count: 0
    .symbol:         _ZN7rocprim17ROCPRIM_400000_NS6detail17trampoline_kernelINS0_14default_configENS1_29reduce_by_key_config_selectorIijN6thrust23THRUST_200600_302600_NS4plusIjEEEEZZNS1_33reduce_by_key_impl_wrapped_configILNS1_25lookback_scan_determinismE0ES3_S9_NS6_6detail15normal_iteratorINS6_10device_ptrIiEEEENSD_INSE_IjEEEESG_SI_PmS8_NS6_8equal_toIiEEEE10hipError_tPvRmT2_T3_mT4_T5_T6_T7_T8_P12ihipStream_tbENKUlT_T0_E_clISt17integral_constantIbLb0EES12_IbLb1EEEEDaSY_SZ_EUlSY_E_NS1_11comp_targetILNS1_3genE9ELNS1_11target_archE1100ELNS1_3gpuE3ELNS1_3repE0EEENS1_30default_config_static_selectorELNS0_4arch9wavefront6targetE1EEEvT1_.kd
    .uniform_work_group_size: 1
    .uses_dynamic_stack: false
    .vgpr_count:     0
    .vgpr_spill_count: 0
    .wavefront_size: 64
  - .agpr_count:     0
    .args:
      - .offset:         0
        .size:           120
        .value_kind:     by_value
    .group_segment_fixed_size: 0
    .kernarg_segment_align: 8
    .kernarg_segment_size: 120
    .language:       OpenCL C
    .language_version:
      - 2
      - 0
    .max_flat_workgroup_size: 256
    .name:           _ZN7rocprim17ROCPRIM_400000_NS6detail17trampoline_kernelINS0_14default_configENS1_29reduce_by_key_config_selectorIijN6thrust23THRUST_200600_302600_NS4plusIjEEEEZZNS1_33reduce_by_key_impl_wrapped_configILNS1_25lookback_scan_determinismE0ES3_S9_NS6_6detail15normal_iteratorINS6_10device_ptrIiEEEENSD_INSE_IjEEEESG_SI_PmS8_NS6_8equal_toIiEEEE10hipError_tPvRmT2_T3_mT4_T5_T6_T7_T8_P12ihipStream_tbENKUlT_T0_E_clISt17integral_constantIbLb0EES12_IbLb1EEEEDaSY_SZ_EUlSY_E_NS1_11comp_targetILNS1_3genE8ELNS1_11target_archE1030ELNS1_3gpuE2ELNS1_3repE0EEENS1_30default_config_static_selectorELNS0_4arch9wavefront6targetE1EEEvT1_
    .private_segment_fixed_size: 0
    .sgpr_count:     4
    .sgpr_spill_count: 0
    .symbol:         _ZN7rocprim17ROCPRIM_400000_NS6detail17trampoline_kernelINS0_14default_configENS1_29reduce_by_key_config_selectorIijN6thrust23THRUST_200600_302600_NS4plusIjEEEEZZNS1_33reduce_by_key_impl_wrapped_configILNS1_25lookback_scan_determinismE0ES3_S9_NS6_6detail15normal_iteratorINS6_10device_ptrIiEEEENSD_INSE_IjEEEESG_SI_PmS8_NS6_8equal_toIiEEEE10hipError_tPvRmT2_T3_mT4_T5_T6_T7_T8_P12ihipStream_tbENKUlT_T0_E_clISt17integral_constantIbLb0EES12_IbLb1EEEEDaSY_SZ_EUlSY_E_NS1_11comp_targetILNS1_3genE8ELNS1_11target_archE1030ELNS1_3gpuE2ELNS1_3repE0EEENS1_30default_config_static_selectorELNS0_4arch9wavefront6targetE1EEEvT1_.kd
    .uniform_work_group_size: 1
    .uses_dynamic_stack: false
    .vgpr_count:     0
    .vgpr_spill_count: 0
    .wavefront_size: 64
  - .agpr_count:     0
    .args:
      - .offset:         0
        .size:           120
        .value_kind:     by_value
    .group_segment_fixed_size: 0
    .kernarg_segment_align: 8
    .kernarg_segment_size: 120
    .language:       OpenCL C
    .language_version:
      - 2
      - 0
    .max_flat_workgroup_size: 256
    .name:           _ZN7rocprim17ROCPRIM_400000_NS6detail17trampoline_kernelINS0_14default_configENS1_29reduce_by_key_config_selectorIsjN6thrust23THRUST_200600_302600_NS4plusIjEEEEZZNS1_33reduce_by_key_impl_wrapped_configILNS1_25lookback_scan_determinismE0ES3_S9_NS6_6detail15normal_iteratorINS6_10device_ptrIsEEEENSD_INSE_IjEEEESG_SI_PmS8_NS6_8equal_toIsEEEE10hipError_tPvRmT2_T3_mT4_T5_T6_T7_T8_P12ihipStream_tbENKUlT_T0_E_clISt17integral_constantIbLb0EES13_EEDaSY_SZ_EUlSY_E_NS1_11comp_targetILNS1_3genE0ELNS1_11target_archE4294967295ELNS1_3gpuE0ELNS1_3repE0EEENS1_30default_config_static_selectorELNS0_4arch9wavefront6targetE1EEEvT1_
    .private_segment_fixed_size: 0
    .sgpr_count:     4
    .sgpr_spill_count: 0
    .symbol:         _ZN7rocprim17ROCPRIM_400000_NS6detail17trampoline_kernelINS0_14default_configENS1_29reduce_by_key_config_selectorIsjN6thrust23THRUST_200600_302600_NS4plusIjEEEEZZNS1_33reduce_by_key_impl_wrapped_configILNS1_25lookback_scan_determinismE0ES3_S9_NS6_6detail15normal_iteratorINS6_10device_ptrIsEEEENSD_INSE_IjEEEESG_SI_PmS8_NS6_8equal_toIsEEEE10hipError_tPvRmT2_T3_mT4_T5_T6_T7_T8_P12ihipStream_tbENKUlT_T0_E_clISt17integral_constantIbLb0EES13_EEDaSY_SZ_EUlSY_E_NS1_11comp_targetILNS1_3genE0ELNS1_11target_archE4294967295ELNS1_3gpuE0ELNS1_3repE0EEENS1_30default_config_static_selectorELNS0_4arch9wavefront6targetE1EEEvT1_.kd
    .uniform_work_group_size: 1
    .uses_dynamic_stack: false
    .vgpr_count:     0
    .vgpr_spill_count: 0
    .wavefront_size: 64
  - .agpr_count:     0
    .args:
      - .offset:         0
        .size:           120
        .value_kind:     by_value
    .group_segment_fixed_size: 0
    .kernarg_segment_align: 8
    .kernarg_segment_size: 120
    .language:       OpenCL C
    .language_version:
      - 2
      - 0
    .max_flat_workgroup_size: 256
    .name:           _ZN7rocprim17ROCPRIM_400000_NS6detail17trampoline_kernelINS0_14default_configENS1_29reduce_by_key_config_selectorIsjN6thrust23THRUST_200600_302600_NS4plusIjEEEEZZNS1_33reduce_by_key_impl_wrapped_configILNS1_25lookback_scan_determinismE0ES3_S9_NS6_6detail15normal_iteratorINS6_10device_ptrIsEEEENSD_INSE_IjEEEESG_SI_PmS8_NS6_8equal_toIsEEEE10hipError_tPvRmT2_T3_mT4_T5_T6_T7_T8_P12ihipStream_tbENKUlT_T0_E_clISt17integral_constantIbLb0EES13_EEDaSY_SZ_EUlSY_E_NS1_11comp_targetILNS1_3genE5ELNS1_11target_archE942ELNS1_3gpuE9ELNS1_3repE0EEENS1_30default_config_static_selectorELNS0_4arch9wavefront6targetE1EEEvT1_
    .private_segment_fixed_size: 0
    .sgpr_count:     4
    .sgpr_spill_count: 0
    .symbol:         _ZN7rocprim17ROCPRIM_400000_NS6detail17trampoline_kernelINS0_14default_configENS1_29reduce_by_key_config_selectorIsjN6thrust23THRUST_200600_302600_NS4plusIjEEEEZZNS1_33reduce_by_key_impl_wrapped_configILNS1_25lookback_scan_determinismE0ES3_S9_NS6_6detail15normal_iteratorINS6_10device_ptrIsEEEENSD_INSE_IjEEEESG_SI_PmS8_NS6_8equal_toIsEEEE10hipError_tPvRmT2_T3_mT4_T5_T6_T7_T8_P12ihipStream_tbENKUlT_T0_E_clISt17integral_constantIbLb0EES13_EEDaSY_SZ_EUlSY_E_NS1_11comp_targetILNS1_3genE5ELNS1_11target_archE942ELNS1_3gpuE9ELNS1_3repE0EEENS1_30default_config_static_selectorELNS0_4arch9wavefront6targetE1EEEvT1_.kd
    .uniform_work_group_size: 1
    .uses_dynamic_stack: false
    .vgpr_count:     0
    .vgpr_spill_count: 0
    .wavefront_size: 64
  - .agpr_count:     0
    .args:
      - .offset:         0
        .size:           120
        .value_kind:     by_value
    .group_segment_fixed_size: 15360
    .kernarg_segment_align: 8
    .kernarg_segment_size: 120
    .language:       OpenCL C
    .language_version:
      - 2
      - 0
    .max_flat_workgroup_size: 256
    .name:           _ZN7rocprim17ROCPRIM_400000_NS6detail17trampoline_kernelINS0_14default_configENS1_29reduce_by_key_config_selectorIsjN6thrust23THRUST_200600_302600_NS4plusIjEEEEZZNS1_33reduce_by_key_impl_wrapped_configILNS1_25lookback_scan_determinismE0ES3_S9_NS6_6detail15normal_iteratorINS6_10device_ptrIsEEEENSD_INSE_IjEEEESG_SI_PmS8_NS6_8equal_toIsEEEE10hipError_tPvRmT2_T3_mT4_T5_T6_T7_T8_P12ihipStream_tbENKUlT_T0_E_clISt17integral_constantIbLb0EES13_EEDaSY_SZ_EUlSY_E_NS1_11comp_targetILNS1_3genE4ELNS1_11target_archE910ELNS1_3gpuE8ELNS1_3repE0EEENS1_30default_config_static_selectorELNS0_4arch9wavefront6targetE1EEEvT1_
    .private_segment_fixed_size: 0
    .sgpr_count:     68
    .sgpr_spill_count: 0
    .symbol:         _ZN7rocprim17ROCPRIM_400000_NS6detail17trampoline_kernelINS0_14default_configENS1_29reduce_by_key_config_selectorIsjN6thrust23THRUST_200600_302600_NS4plusIjEEEEZZNS1_33reduce_by_key_impl_wrapped_configILNS1_25lookback_scan_determinismE0ES3_S9_NS6_6detail15normal_iteratorINS6_10device_ptrIsEEEENSD_INSE_IjEEEESG_SI_PmS8_NS6_8equal_toIsEEEE10hipError_tPvRmT2_T3_mT4_T5_T6_T7_T8_P12ihipStream_tbENKUlT_T0_E_clISt17integral_constantIbLb0EES13_EEDaSY_SZ_EUlSY_E_NS1_11comp_targetILNS1_3genE4ELNS1_11target_archE910ELNS1_3gpuE8ELNS1_3repE0EEENS1_30default_config_static_selectorELNS0_4arch9wavefront6targetE1EEEvT1_.kd
    .uniform_work_group_size: 1
    .uses_dynamic_stack: false
    .vgpr_count:     108
    .vgpr_spill_count: 0
    .wavefront_size: 64
  - .agpr_count:     0
    .args:
      - .offset:         0
        .size:           120
        .value_kind:     by_value
    .group_segment_fixed_size: 0
    .kernarg_segment_align: 8
    .kernarg_segment_size: 120
    .language:       OpenCL C
    .language_version:
      - 2
      - 0
    .max_flat_workgroup_size: 256
    .name:           _ZN7rocprim17ROCPRIM_400000_NS6detail17trampoline_kernelINS0_14default_configENS1_29reduce_by_key_config_selectorIsjN6thrust23THRUST_200600_302600_NS4plusIjEEEEZZNS1_33reduce_by_key_impl_wrapped_configILNS1_25lookback_scan_determinismE0ES3_S9_NS6_6detail15normal_iteratorINS6_10device_ptrIsEEEENSD_INSE_IjEEEESG_SI_PmS8_NS6_8equal_toIsEEEE10hipError_tPvRmT2_T3_mT4_T5_T6_T7_T8_P12ihipStream_tbENKUlT_T0_E_clISt17integral_constantIbLb0EES13_EEDaSY_SZ_EUlSY_E_NS1_11comp_targetILNS1_3genE3ELNS1_11target_archE908ELNS1_3gpuE7ELNS1_3repE0EEENS1_30default_config_static_selectorELNS0_4arch9wavefront6targetE1EEEvT1_
    .private_segment_fixed_size: 0
    .sgpr_count:     4
    .sgpr_spill_count: 0
    .symbol:         _ZN7rocprim17ROCPRIM_400000_NS6detail17trampoline_kernelINS0_14default_configENS1_29reduce_by_key_config_selectorIsjN6thrust23THRUST_200600_302600_NS4plusIjEEEEZZNS1_33reduce_by_key_impl_wrapped_configILNS1_25lookback_scan_determinismE0ES3_S9_NS6_6detail15normal_iteratorINS6_10device_ptrIsEEEENSD_INSE_IjEEEESG_SI_PmS8_NS6_8equal_toIsEEEE10hipError_tPvRmT2_T3_mT4_T5_T6_T7_T8_P12ihipStream_tbENKUlT_T0_E_clISt17integral_constantIbLb0EES13_EEDaSY_SZ_EUlSY_E_NS1_11comp_targetILNS1_3genE3ELNS1_11target_archE908ELNS1_3gpuE7ELNS1_3repE0EEENS1_30default_config_static_selectorELNS0_4arch9wavefront6targetE1EEEvT1_.kd
    .uniform_work_group_size: 1
    .uses_dynamic_stack: false
    .vgpr_count:     0
    .vgpr_spill_count: 0
    .wavefront_size: 64
  - .agpr_count:     0
    .args:
      - .offset:         0
        .size:           120
        .value_kind:     by_value
    .group_segment_fixed_size: 0
    .kernarg_segment_align: 8
    .kernarg_segment_size: 120
    .language:       OpenCL C
    .language_version:
      - 2
      - 0
    .max_flat_workgroup_size: 256
    .name:           _ZN7rocprim17ROCPRIM_400000_NS6detail17trampoline_kernelINS0_14default_configENS1_29reduce_by_key_config_selectorIsjN6thrust23THRUST_200600_302600_NS4plusIjEEEEZZNS1_33reduce_by_key_impl_wrapped_configILNS1_25lookback_scan_determinismE0ES3_S9_NS6_6detail15normal_iteratorINS6_10device_ptrIsEEEENSD_INSE_IjEEEESG_SI_PmS8_NS6_8equal_toIsEEEE10hipError_tPvRmT2_T3_mT4_T5_T6_T7_T8_P12ihipStream_tbENKUlT_T0_E_clISt17integral_constantIbLb0EES13_EEDaSY_SZ_EUlSY_E_NS1_11comp_targetILNS1_3genE2ELNS1_11target_archE906ELNS1_3gpuE6ELNS1_3repE0EEENS1_30default_config_static_selectorELNS0_4arch9wavefront6targetE1EEEvT1_
    .private_segment_fixed_size: 0
    .sgpr_count:     4
    .sgpr_spill_count: 0
    .symbol:         _ZN7rocprim17ROCPRIM_400000_NS6detail17trampoline_kernelINS0_14default_configENS1_29reduce_by_key_config_selectorIsjN6thrust23THRUST_200600_302600_NS4plusIjEEEEZZNS1_33reduce_by_key_impl_wrapped_configILNS1_25lookback_scan_determinismE0ES3_S9_NS6_6detail15normal_iteratorINS6_10device_ptrIsEEEENSD_INSE_IjEEEESG_SI_PmS8_NS6_8equal_toIsEEEE10hipError_tPvRmT2_T3_mT4_T5_T6_T7_T8_P12ihipStream_tbENKUlT_T0_E_clISt17integral_constantIbLb0EES13_EEDaSY_SZ_EUlSY_E_NS1_11comp_targetILNS1_3genE2ELNS1_11target_archE906ELNS1_3gpuE6ELNS1_3repE0EEENS1_30default_config_static_selectorELNS0_4arch9wavefront6targetE1EEEvT1_.kd
    .uniform_work_group_size: 1
    .uses_dynamic_stack: false
    .vgpr_count:     0
    .vgpr_spill_count: 0
    .wavefront_size: 64
  - .agpr_count:     0
    .args:
      - .offset:         0
        .size:           120
        .value_kind:     by_value
    .group_segment_fixed_size: 0
    .kernarg_segment_align: 8
    .kernarg_segment_size: 120
    .language:       OpenCL C
    .language_version:
      - 2
      - 0
    .max_flat_workgroup_size: 256
    .name:           _ZN7rocprim17ROCPRIM_400000_NS6detail17trampoline_kernelINS0_14default_configENS1_29reduce_by_key_config_selectorIsjN6thrust23THRUST_200600_302600_NS4plusIjEEEEZZNS1_33reduce_by_key_impl_wrapped_configILNS1_25lookback_scan_determinismE0ES3_S9_NS6_6detail15normal_iteratorINS6_10device_ptrIsEEEENSD_INSE_IjEEEESG_SI_PmS8_NS6_8equal_toIsEEEE10hipError_tPvRmT2_T3_mT4_T5_T6_T7_T8_P12ihipStream_tbENKUlT_T0_E_clISt17integral_constantIbLb0EES13_EEDaSY_SZ_EUlSY_E_NS1_11comp_targetILNS1_3genE10ELNS1_11target_archE1201ELNS1_3gpuE5ELNS1_3repE0EEENS1_30default_config_static_selectorELNS0_4arch9wavefront6targetE1EEEvT1_
    .private_segment_fixed_size: 0
    .sgpr_count:     4
    .sgpr_spill_count: 0
    .symbol:         _ZN7rocprim17ROCPRIM_400000_NS6detail17trampoline_kernelINS0_14default_configENS1_29reduce_by_key_config_selectorIsjN6thrust23THRUST_200600_302600_NS4plusIjEEEEZZNS1_33reduce_by_key_impl_wrapped_configILNS1_25lookback_scan_determinismE0ES3_S9_NS6_6detail15normal_iteratorINS6_10device_ptrIsEEEENSD_INSE_IjEEEESG_SI_PmS8_NS6_8equal_toIsEEEE10hipError_tPvRmT2_T3_mT4_T5_T6_T7_T8_P12ihipStream_tbENKUlT_T0_E_clISt17integral_constantIbLb0EES13_EEDaSY_SZ_EUlSY_E_NS1_11comp_targetILNS1_3genE10ELNS1_11target_archE1201ELNS1_3gpuE5ELNS1_3repE0EEENS1_30default_config_static_selectorELNS0_4arch9wavefront6targetE1EEEvT1_.kd
    .uniform_work_group_size: 1
    .uses_dynamic_stack: false
    .vgpr_count:     0
    .vgpr_spill_count: 0
    .wavefront_size: 64
  - .agpr_count:     0
    .args:
      - .offset:         0
        .size:           120
        .value_kind:     by_value
    .group_segment_fixed_size: 0
    .kernarg_segment_align: 8
    .kernarg_segment_size: 120
    .language:       OpenCL C
    .language_version:
      - 2
      - 0
    .max_flat_workgroup_size: 256
    .name:           _ZN7rocprim17ROCPRIM_400000_NS6detail17trampoline_kernelINS0_14default_configENS1_29reduce_by_key_config_selectorIsjN6thrust23THRUST_200600_302600_NS4plusIjEEEEZZNS1_33reduce_by_key_impl_wrapped_configILNS1_25lookback_scan_determinismE0ES3_S9_NS6_6detail15normal_iteratorINS6_10device_ptrIsEEEENSD_INSE_IjEEEESG_SI_PmS8_NS6_8equal_toIsEEEE10hipError_tPvRmT2_T3_mT4_T5_T6_T7_T8_P12ihipStream_tbENKUlT_T0_E_clISt17integral_constantIbLb0EES13_EEDaSY_SZ_EUlSY_E_NS1_11comp_targetILNS1_3genE10ELNS1_11target_archE1200ELNS1_3gpuE4ELNS1_3repE0EEENS1_30default_config_static_selectorELNS0_4arch9wavefront6targetE1EEEvT1_
    .private_segment_fixed_size: 0
    .sgpr_count:     4
    .sgpr_spill_count: 0
    .symbol:         _ZN7rocprim17ROCPRIM_400000_NS6detail17trampoline_kernelINS0_14default_configENS1_29reduce_by_key_config_selectorIsjN6thrust23THRUST_200600_302600_NS4plusIjEEEEZZNS1_33reduce_by_key_impl_wrapped_configILNS1_25lookback_scan_determinismE0ES3_S9_NS6_6detail15normal_iteratorINS6_10device_ptrIsEEEENSD_INSE_IjEEEESG_SI_PmS8_NS6_8equal_toIsEEEE10hipError_tPvRmT2_T3_mT4_T5_T6_T7_T8_P12ihipStream_tbENKUlT_T0_E_clISt17integral_constantIbLb0EES13_EEDaSY_SZ_EUlSY_E_NS1_11comp_targetILNS1_3genE10ELNS1_11target_archE1200ELNS1_3gpuE4ELNS1_3repE0EEENS1_30default_config_static_selectorELNS0_4arch9wavefront6targetE1EEEvT1_.kd
    .uniform_work_group_size: 1
    .uses_dynamic_stack: false
    .vgpr_count:     0
    .vgpr_spill_count: 0
    .wavefront_size: 64
  - .agpr_count:     0
    .args:
      - .offset:         0
        .size:           120
        .value_kind:     by_value
    .group_segment_fixed_size: 0
    .kernarg_segment_align: 8
    .kernarg_segment_size: 120
    .language:       OpenCL C
    .language_version:
      - 2
      - 0
    .max_flat_workgroup_size: 256
    .name:           _ZN7rocprim17ROCPRIM_400000_NS6detail17trampoline_kernelINS0_14default_configENS1_29reduce_by_key_config_selectorIsjN6thrust23THRUST_200600_302600_NS4plusIjEEEEZZNS1_33reduce_by_key_impl_wrapped_configILNS1_25lookback_scan_determinismE0ES3_S9_NS6_6detail15normal_iteratorINS6_10device_ptrIsEEEENSD_INSE_IjEEEESG_SI_PmS8_NS6_8equal_toIsEEEE10hipError_tPvRmT2_T3_mT4_T5_T6_T7_T8_P12ihipStream_tbENKUlT_T0_E_clISt17integral_constantIbLb0EES13_EEDaSY_SZ_EUlSY_E_NS1_11comp_targetILNS1_3genE9ELNS1_11target_archE1100ELNS1_3gpuE3ELNS1_3repE0EEENS1_30default_config_static_selectorELNS0_4arch9wavefront6targetE1EEEvT1_
    .private_segment_fixed_size: 0
    .sgpr_count:     4
    .sgpr_spill_count: 0
    .symbol:         _ZN7rocprim17ROCPRIM_400000_NS6detail17trampoline_kernelINS0_14default_configENS1_29reduce_by_key_config_selectorIsjN6thrust23THRUST_200600_302600_NS4plusIjEEEEZZNS1_33reduce_by_key_impl_wrapped_configILNS1_25lookback_scan_determinismE0ES3_S9_NS6_6detail15normal_iteratorINS6_10device_ptrIsEEEENSD_INSE_IjEEEESG_SI_PmS8_NS6_8equal_toIsEEEE10hipError_tPvRmT2_T3_mT4_T5_T6_T7_T8_P12ihipStream_tbENKUlT_T0_E_clISt17integral_constantIbLb0EES13_EEDaSY_SZ_EUlSY_E_NS1_11comp_targetILNS1_3genE9ELNS1_11target_archE1100ELNS1_3gpuE3ELNS1_3repE0EEENS1_30default_config_static_selectorELNS0_4arch9wavefront6targetE1EEEvT1_.kd
    .uniform_work_group_size: 1
    .uses_dynamic_stack: false
    .vgpr_count:     0
    .vgpr_spill_count: 0
    .wavefront_size: 64
  - .agpr_count:     0
    .args:
      - .offset:         0
        .size:           120
        .value_kind:     by_value
    .group_segment_fixed_size: 0
    .kernarg_segment_align: 8
    .kernarg_segment_size: 120
    .language:       OpenCL C
    .language_version:
      - 2
      - 0
    .max_flat_workgroup_size: 256
    .name:           _ZN7rocprim17ROCPRIM_400000_NS6detail17trampoline_kernelINS0_14default_configENS1_29reduce_by_key_config_selectorIsjN6thrust23THRUST_200600_302600_NS4plusIjEEEEZZNS1_33reduce_by_key_impl_wrapped_configILNS1_25lookback_scan_determinismE0ES3_S9_NS6_6detail15normal_iteratorINS6_10device_ptrIsEEEENSD_INSE_IjEEEESG_SI_PmS8_NS6_8equal_toIsEEEE10hipError_tPvRmT2_T3_mT4_T5_T6_T7_T8_P12ihipStream_tbENKUlT_T0_E_clISt17integral_constantIbLb0EES13_EEDaSY_SZ_EUlSY_E_NS1_11comp_targetILNS1_3genE8ELNS1_11target_archE1030ELNS1_3gpuE2ELNS1_3repE0EEENS1_30default_config_static_selectorELNS0_4arch9wavefront6targetE1EEEvT1_
    .private_segment_fixed_size: 0
    .sgpr_count:     4
    .sgpr_spill_count: 0
    .symbol:         _ZN7rocprim17ROCPRIM_400000_NS6detail17trampoline_kernelINS0_14default_configENS1_29reduce_by_key_config_selectorIsjN6thrust23THRUST_200600_302600_NS4plusIjEEEEZZNS1_33reduce_by_key_impl_wrapped_configILNS1_25lookback_scan_determinismE0ES3_S9_NS6_6detail15normal_iteratorINS6_10device_ptrIsEEEENSD_INSE_IjEEEESG_SI_PmS8_NS6_8equal_toIsEEEE10hipError_tPvRmT2_T3_mT4_T5_T6_T7_T8_P12ihipStream_tbENKUlT_T0_E_clISt17integral_constantIbLb0EES13_EEDaSY_SZ_EUlSY_E_NS1_11comp_targetILNS1_3genE8ELNS1_11target_archE1030ELNS1_3gpuE2ELNS1_3repE0EEENS1_30default_config_static_selectorELNS0_4arch9wavefront6targetE1EEEvT1_.kd
    .uniform_work_group_size: 1
    .uses_dynamic_stack: false
    .vgpr_count:     0
    .vgpr_spill_count: 0
    .wavefront_size: 64
  - .agpr_count:     0
    .args:
      - .offset:         0
        .size:           120
        .value_kind:     by_value
    .group_segment_fixed_size: 0
    .kernarg_segment_align: 8
    .kernarg_segment_size: 120
    .language:       OpenCL C
    .language_version:
      - 2
      - 0
    .max_flat_workgroup_size: 256
    .name:           _ZN7rocprim17ROCPRIM_400000_NS6detail17trampoline_kernelINS0_14default_configENS1_29reduce_by_key_config_selectorIsjN6thrust23THRUST_200600_302600_NS4plusIjEEEEZZNS1_33reduce_by_key_impl_wrapped_configILNS1_25lookback_scan_determinismE0ES3_S9_NS6_6detail15normal_iteratorINS6_10device_ptrIsEEEENSD_INSE_IjEEEESG_SI_PmS8_NS6_8equal_toIsEEEE10hipError_tPvRmT2_T3_mT4_T5_T6_T7_T8_P12ihipStream_tbENKUlT_T0_E_clISt17integral_constantIbLb1EES13_EEDaSY_SZ_EUlSY_E_NS1_11comp_targetILNS1_3genE0ELNS1_11target_archE4294967295ELNS1_3gpuE0ELNS1_3repE0EEENS1_30default_config_static_selectorELNS0_4arch9wavefront6targetE1EEEvT1_
    .private_segment_fixed_size: 0
    .sgpr_count:     4
    .sgpr_spill_count: 0
    .symbol:         _ZN7rocprim17ROCPRIM_400000_NS6detail17trampoline_kernelINS0_14default_configENS1_29reduce_by_key_config_selectorIsjN6thrust23THRUST_200600_302600_NS4plusIjEEEEZZNS1_33reduce_by_key_impl_wrapped_configILNS1_25lookback_scan_determinismE0ES3_S9_NS6_6detail15normal_iteratorINS6_10device_ptrIsEEEENSD_INSE_IjEEEESG_SI_PmS8_NS6_8equal_toIsEEEE10hipError_tPvRmT2_T3_mT4_T5_T6_T7_T8_P12ihipStream_tbENKUlT_T0_E_clISt17integral_constantIbLb1EES13_EEDaSY_SZ_EUlSY_E_NS1_11comp_targetILNS1_3genE0ELNS1_11target_archE4294967295ELNS1_3gpuE0ELNS1_3repE0EEENS1_30default_config_static_selectorELNS0_4arch9wavefront6targetE1EEEvT1_.kd
    .uniform_work_group_size: 1
    .uses_dynamic_stack: false
    .vgpr_count:     0
    .vgpr_spill_count: 0
    .wavefront_size: 64
  - .agpr_count:     0
    .args:
      - .offset:         0
        .size:           120
        .value_kind:     by_value
    .group_segment_fixed_size: 0
    .kernarg_segment_align: 8
    .kernarg_segment_size: 120
    .language:       OpenCL C
    .language_version:
      - 2
      - 0
    .max_flat_workgroup_size: 256
    .name:           _ZN7rocprim17ROCPRIM_400000_NS6detail17trampoline_kernelINS0_14default_configENS1_29reduce_by_key_config_selectorIsjN6thrust23THRUST_200600_302600_NS4plusIjEEEEZZNS1_33reduce_by_key_impl_wrapped_configILNS1_25lookback_scan_determinismE0ES3_S9_NS6_6detail15normal_iteratorINS6_10device_ptrIsEEEENSD_INSE_IjEEEESG_SI_PmS8_NS6_8equal_toIsEEEE10hipError_tPvRmT2_T3_mT4_T5_T6_T7_T8_P12ihipStream_tbENKUlT_T0_E_clISt17integral_constantIbLb1EES13_EEDaSY_SZ_EUlSY_E_NS1_11comp_targetILNS1_3genE5ELNS1_11target_archE942ELNS1_3gpuE9ELNS1_3repE0EEENS1_30default_config_static_selectorELNS0_4arch9wavefront6targetE1EEEvT1_
    .private_segment_fixed_size: 0
    .sgpr_count:     4
    .sgpr_spill_count: 0
    .symbol:         _ZN7rocprim17ROCPRIM_400000_NS6detail17trampoline_kernelINS0_14default_configENS1_29reduce_by_key_config_selectorIsjN6thrust23THRUST_200600_302600_NS4plusIjEEEEZZNS1_33reduce_by_key_impl_wrapped_configILNS1_25lookback_scan_determinismE0ES3_S9_NS6_6detail15normal_iteratorINS6_10device_ptrIsEEEENSD_INSE_IjEEEESG_SI_PmS8_NS6_8equal_toIsEEEE10hipError_tPvRmT2_T3_mT4_T5_T6_T7_T8_P12ihipStream_tbENKUlT_T0_E_clISt17integral_constantIbLb1EES13_EEDaSY_SZ_EUlSY_E_NS1_11comp_targetILNS1_3genE5ELNS1_11target_archE942ELNS1_3gpuE9ELNS1_3repE0EEENS1_30default_config_static_selectorELNS0_4arch9wavefront6targetE1EEEvT1_.kd
    .uniform_work_group_size: 1
    .uses_dynamic_stack: false
    .vgpr_count:     0
    .vgpr_spill_count: 0
    .wavefront_size: 64
  - .agpr_count:     0
    .args:
      - .offset:         0
        .size:           120
        .value_kind:     by_value
    .group_segment_fixed_size: 15360
    .kernarg_segment_align: 8
    .kernarg_segment_size: 120
    .language:       OpenCL C
    .language_version:
      - 2
      - 0
    .max_flat_workgroup_size: 256
    .name:           _ZN7rocprim17ROCPRIM_400000_NS6detail17trampoline_kernelINS0_14default_configENS1_29reduce_by_key_config_selectorIsjN6thrust23THRUST_200600_302600_NS4plusIjEEEEZZNS1_33reduce_by_key_impl_wrapped_configILNS1_25lookback_scan_determinismE0ES3_S9_NS6_6detail15normal_iteratorINS6_10device_ptrIsEEEENSD_INSE_IjEEEESG_SI_PmS8_NS6_8equal_toIsEEEE10hipError_tPvRmT2_T3_mT4_T5_T6_T7_T8_P12ihipStream_tbENKUlT_T0_E_clISt17integral_constantIbLb1EES13_EEDaSY_SZ_EUlSY_E_NS1_11comp_targetILNS1_3genE4ELNS1_11target_archE910ELNS1_3gpuE8ELNS1_3repE0EEENS1_30default_config_static_selectorELNS0_4arch9wavefront6targetE1EEEvT1_
    .private_segment_fixed_size: 0
    .sgpr_count:     70
    .sgpr_spill_count: 0
    .symbol:         _ZN7rocprim17ROCPRIM_400000_NS6detail17trampoline_kernelINS0_14default_configENS1_29reduce_by_key_config_selectorIsjN6thrust23THRUST_200600_302600_NS4plusIjEEEEZZNS1_33reduce_by_key_impl_wrapped_configILNS1_25lookback_scan_determinismE0ES3_S9_NS6_6detail15normal_iteratorINS6_10device_ptrIsEEEENSD_INSE_IjEEEESG_SI_PmS8_NS6_8equal_toIsEEEE10hipError_tPvRmT2_T3_mT4_T5_T6_T7_T8_P12ihipStream_tbENKUlT_T0_E_clISt17integral_constantIbLb1EES13_EEDaSY_SZ_EUlSY_E_NS1_11comp_targetILNS1_3genE4ELNS1_11target_archE910ELNS1_3gpuE8ELNS1_3repE0EEENS1_30default_config_static_selectorELNS0_4arch9wavefront6targetE1EEEvT1_.kd
    .uniform_work_group_size: 1
    .uses_dynamic_stack: false
    .vgpr_count:     108
    .vgpr_spill_count: 0
    .wavefront_size: 64
  - .agpr_count:     0
    .args:
      - .offset:         0
        .size:           120
        .value_kind:     by_value
    .group_segment_fixed_size: 0
    .kernarg_segment_align: 8
    .kernarg_segment_size: 120
    .language:       OpenCL C
    .language_version:
      - 2
      - 0
    .max_flat_workgroup_size: 256
    .name:           _ZN7rocprim17ROCPRIM_400000_NS6detail17trampoline_kernelINS0_14default_configENS1_29reduce_by_key_config_selectorIsjN6thrust23THRUST_200600_302600_NS4plusIjEEEEZZNS1_33reduce_by_key_impl_wrapped_configILNS1_25lookback_scan_determinismE0ES3_S9_NS6_6detail15normal_iteratorINS6_10device_ptrIsEEEENSD_INSE_IjEEEESG_SI_PmS8_NS6_8equal_toIsEEEE10hipError_tPvRmT2_T3_mT4_T5_T6_T7_T8_P12ihipStream_tbENKUlT_T0_E_clISt17integral_constantIbLb1EES13_EEDaSY_SZ_EUlSY_E_NS1_11comp_targetILNS1_3genE3ELNS1_11target_archE908ELNS1_3gpuE7ELNS1_3repE0EEENS1_30default_config_static_selectorELNS0_4arch9wavefront6targetE1EEEvT1_
    .private_segment_fixed_size: 0
    .sgpr_count:     4
    .sgpr_spill_count: 0
    .symbol:         _ZN7rocprim17ROCPRIM_400000_NS6detail17trampoline_kernelINS0_14default_configENS1_29reduce_by_key_config_selectorIsjN6thrust23THRUST_200600_302600_NS4plusIjEEEEZZNS1_33reduce_by_key_impl_wrapped_configILNS1_25lookback_scan_determinismE0ES3_S9_NS6_6detail15normal_iteratorINS6_10device_ptrIsEEEENSD_INSE_IjEEEESG_SI_PmS8_NS6_8equal_toIsEEEE10hipError_tPvRmT2_T3_mT4_T5_T6_T7_T8_P12ihipStream_tbENKUlT_T0_E_clISt17integral_constantIbLb1EES13_EEDaSY_SZ_EUlSY_E_NS1_11comp_targetILNS1_3genE3ELNS1_11target_archE908ELNS1_3gpuE7ELNS1_3repE0EEENS1_30default_config_static_selectorELNS0_4arch9wavefront6targetE1EEEvT1_.kd
    .uniform_work_group_size: 1
    .uses_dynamic_stack: false
    .vgpr_count:     0
    .vgpr_spill_count: 0
    .wavefront_size: 64
  - .agpr_count:     0
    .args:
      - .offset:         0
        .size:           120
        .value_kind:     by_value
    .group_segment_fixed_size: 0
    .kernarg_segment_align: 8
    .kernarg_segment_size: 120
    .language:       OpenCL C
    .language_version:
      - 2
      - 0
    .max_flat_workgroup_size: 256
    .name:           _ZN7rocprim17ROCPRIM_400000_NS6detail17trampoline_kernelINS0_14default_configENS1_29reduce_by_key_config_selectorIsjN6thrust23THRUST_200600_302600_NS4plusIjEEEEZZNS1_33reduce_by_key_impl_wrapped_configILNS1_25lookback_scan_determinismE0ES3_S9_NS6_6detail15normal_iteratorINS6_10device_ptrIsEEEENSD_INSE_IjEEEESG_SI_PmS8_NS6_8equal_toIsEEEE10hipError_tPvRmT2_T3_mT4_T5_T6_T7_T8_P12ihipStream_tbENKUlT_T0_E_clISt17integral_constantIbLb1EES13_EEDaSY_SZ_EUlSY_E_NS1_11comp_targetILNS1_3genE2ELNS1_11target_archE906ELNS1_3gpuE6ELNS1_3repE0EEENS1_30default_config_static_selectorELNS0_4arch9wavefront6targetE1EEEvT1_
    .private_segment_fixed_size: 0
    .sgpr_count:     4
    .sgpr_spill_count: 0
    .symbol:         _ZN7rocprim17ROCPRIM_400000_NS6detail17trampoline_kernelINS0_14default_configENS1_29reduce_by_key_config_selectorIsjN6thrust23THRUST_200600_302600_NS4plusIjEEEEZZNS1_33reduce_by_key_impl_wrapped_configILNS1_25lookback_scan_determinismE0ES3_S9_NS6_6detail15normal_iteratorINS6_10device_ptrIsEEEENSD_INSE_IjEEEESG_SI_PmS8_NS6_8equal_toIsEEEE10hipError_tPvRmT2_T3_mT4_T5_T6_T7_T8_P12ihipStream_tbENKUlT_T0_E_clISt17integral_constantIbLb1EES13_EEDaSY_SZ_EUlSY_E_NS1_11comp_targetILNS1_3genE2ELNS1_11target_archE906ELNS1_3gpuE6ELNS1_3repE0EEENS1_30default_config_static_selectorELNS0_4arch9wavefront6targetE1EEEvT1_.kd
    .uniform_work_group_size: 1
    .uses_dynamic_stack: false
    .vgpr_count:     0
    .vgpr_spill_count: 0
    .wavefront_size: 64
  - .agpr_count:     0
    .args:
      - .offset:         0
        .size:           120
        .value_kind:     by_value
    .group_segment_fixed_size: 0
    .kernarg_segment_align: 8
    .kernarg_segment_size: 120
    .language:       OpenCL C
    .language_version:
      - 2
      - 0
    .max_flat_workgroup_size: 256
    .name:           _ZN7rocprim17ROCPRIM_400000_NS6detail17trampoline_kernelINS0_14default_configENS1_29reduce_by_key_config_selectorIsjN6thrust23THRUST_200600_302600_NS4plusIjEEEEZZNS1_33reduce_by_key_impl_wrapped_configILNS1_25lookback_scan_determinismE0ES3_S9_NS6_6detail15normal_iteratorINS6_10device_ptrIsEEEENSD_INSE_IjEEEESG_SI_PmS8_NS6_8equal_toIsEEEE10hipError_tPvRmT2_T3_mT4_T5_T6_T7_T8_P12ihipStream_tbENKUlT_T0_E_clISt17integral_constantIbLb1EES13_EEDaSY_SZ_EUlSY_E_NS1_11comp_targetILNS1_3genE10ELNS1_11target_archE1201ELNS1_3gpuE5ELNS1_3repE0EEENS1_30default_config_static_selectorELNS0_4arch9wavefront6targetE1EEEvT1_
    .private_segment_fixed_size: 0
    .sgpr_count:     4
    .sgpr_spill_count: 0
    .symbol:         _ZN7rocprim17ROCPRIM_400000_NS6detail17trampoline_kernelINS0_14default_configENS1_29reduce_by_key_config_selectorIsjN6thrust23THRUST_200600_302600_NS4plusIjEEEEZZNS1_33reduce_by_key_impl_wrapped_configILNS1_25lookback_scan_determinismE0ES3_S9_NS6_6detail15normal_iteratorINS6_10device_ptrIsEEEENSD_INSE_IjEEEESG_SI_PmS8_NS6_8equal_toIsEEEE10hipError_tPvRmT2_T3_mT4_T5_T6_T7_T8_P12ihipStream_tbENKUlT_T0_E_clISt17integral_constantIbLb1EES13_EEDaSY_SZ_EUlSY_E_NS1_11comp_targetILNS1_3genE10ELNS1_11target_archE1201ELNS1_3gpuE5ELNS1_3repE0EEENS1_30default_config_static_selectorELNS0_4arch9wavefront6targetE1EEEvT1_.kd
    .uniform_work_group_size: 1
    .uses_dynamic_stack: false
    .vgpr_count:     0
    .vgpr_spill_count: 0
    .wavefront_size: 64
  - .agpr_count:     0
    .args:
      - .offset:         0
        .size:           120
        .value_kind:     by_value
    .group_segment_fixed_size: 0
    .kernarg_segment_align: 8
    .kernarg_segment_size: 120
    .language:       OpenCL C
    .language_version:
      - 2
      - 0
    .max_flat_workgroup_size: 256
    .name:           _ZN7rocprim17ROCPRIM_400000_NS6detail17trampoline_kernelINS0_14default_configENS1_29reduce_by_key_config_selectorIsjN6thrust23THRUST_200600_302600_NS4plusIjEEEEZZNS1_33reduce_by_key_impl_wrapped_configILNS1_25lookback_scan_determinismE0ES3_S9_NS6_6detail15normal_iteratorINS6_10device_ptrIsEEEENSD_INSE_IjEEEESG_SI_PmS8_NS6_8equal_toIsEEEE10hipError_tPvRmT2_T3_mT4_T5_T6_T7_T8_P12ihipStream_tbENKUlT_T0_E_clISt17integral_constantIbLb1EES13_EEDaSY_SZ_EUlSY_E_NS1_11comp_targetILNS1_3genE10ELNS1_11target_archE1200ELNS1_3gpuE4ELNS1_3repE0EEENS1_30default_config_static_selectorELNS0_4arch9wavefront6targetE1EEEvT1_
    .private_segment_fixed_size: 0
    .sgpr_count:     4
    .sgpr_spill_count: 0
    .symbol:         _ZN7rocprim17ROCPRIM_400000_NS6detail17trampoline_kernelINS0_14default_configENS1_29reduce_by_key_config_selectorIsjN6thrust23THRUST_200600_302600_NS4plusIjEEEEZZNS1_33reduce_by_key_impl_wrapped_configILNS1_25lookback_scan_determinismE0ES3_S9_NS6_6detail15normal_iteratorINS6_10device_ptrIsEEEENSD_INSE_IjEEEESG_SI_PmS8_NS6_8equal_toIsEEEE10hipError_tPvRmT2_T3_mT4_T5_T6_T7_T8_P12ihipStream_tbENKUlT_T0_E_clISt17integral_constantIbLb1EES13_EEDaSY_SZ_EUlSY_E_NS1_11comp_targetILNS1_3genE10ELNS1_11target_archE1200ELNS1_3gpuE4ELNS1_3repE0EEENS1_30default_config_static_selectorELNS0_4arch9wavefront6targetE1EEEvT1_.kd
    .uniform_work_group_size: 1
    .uses_dynamic_stack: false
    .vgpr_count:     0
    .vgpr_spill_count: 0
    .wavefront_size: 64
  - .agpr_count:     0
    .args:
      - .offset:         0
        .size:           120
        .value_kind:     by_value
    .group_segment_fixed_size: 0
    .kernarg_segment_align: 8
    .kernarg_segment_size: 120
    .language:       OpenCL C
    .language_version:
      - 2
      - 0
    .max_flat_workgroup_size: 256
    .name:           _ZN7rocprim17ROCPRIM_400000_NS6detail17trampoline_kernelINS0_14default_configENS1_29reduce_by_key_config_selectorIsjN6thrust23THRUST_200600_302600_NS4plusIjEEEEZZNS1_33reduce_by_key_impl_wrapped_configILNS1_25lookback_scan_determinismE0ES3_S9_NS6_6detail15normal_iteratorINS6_10device_ptrIsEEEENSD_INSE_IjEEEESG_SI_PmS8_NS6_8equal_toIsEEEE10hipError_tPvRmT2_T3_mT4_T5_T6_T7_T8_P12ihipStream_tbENKUlT_T0_E_clISt17integral_constantIbLb1EES13_EEDaSY_SZ_EUlSY_E_NS1_11comp_targetILNS1_3genE9ELNS1_11target_archE1100ELNS1_3gpuE3ELNS1_3repE0EEENS1_30default_config_static_selectorELNS0_4arch9wavefront6targetE1EEEvT1_
    .private_segment_fixed_size: 0
    .sgpr_count:     4
    .sgpr_spill_count: 0
    .symbol:         _ZN7rocprim17ROCPRIM_400000_NS6detail17trampoline_kernelINS0_14default_configENS1_29reduce_by_key_config_selectorIsjN6thrust23THRUST_200600_302600_NS4plusIjEEEEZZNS1_33reduce_by_key_impl_wrapped_configILNS1_25lookback_scan_determinismE0ES3_S9_NS6_6detail15normal_iteratorINS6_10device_ptrIsEEEENSD_INSE_IjEEEESG_SI_PmS8_NS6_8equal_toIsEEEE10hipError_tPvRmT2_T3_mT4_T5_T6_T7_T8_P12ihipStream_tbENKUlT_T0_E_clISt17integral_constantIbLb1EES13_EEDaSY_SZ_EUlSY_E_NS1_11comp_targetILNS1_3genE9ELNS1_11target_archE1100ELNS1_3gpuE3ELNS1_3repE0EEENS1_30default_config_static_selectorELNS0_4arch9wavefront6targetE1EEEvT1_.kd
    .uniform_work_group_size: 1
    .uses_dynamic_stack: false
    .vgpr_count:     0
    .vgpr_spill_count: 0
    .wavefront_size: 64
  - .agpr_count:     0
    .args:
      - .offset:         0
        .size:           120
        .value_kind:     by_value
    .group_segment_fixed_size: 0
    .kernarg_segment_align: 8
    .kernarg_segment_size: 120
    .language:       OpenCL C
    .language_version:
      - 2
      - 0
    .max_flat_workgroup_size: 256
    .name:           _ZN7rocprim17ROCPRIM_400000_NS6detail17trampoline_kernelINS0_14default_configENS1_29reduce_by_key_config_selectorIsjN6thrust23THRUST_200600_302600_NS4plusIjEEEEZZNS1_33reduce_by_key_impl_wrapped_configILNS1_25lookback_scan_determinismE0ES3_S9_NS6_6detail15normal_iteratorINS6_10device_ptrIsEEEENSD_INSE_IjEEEESG_SI_PmS8_NS6_8equal_toIsEEEE10hipError_tPvRmT2_T3_mT4_T5_T6_T7_T8_P12ihipStream_tbENKUlT_T0_E_clISt17integral_constantIbLb1EES13_EEDaSY_SZ_EUlSY_E_NS1_11comp_targetILNS1_3genE8ELNS1_11target_archE1030ELNS1_3gpuE2ELNS1_3repE0EEENS1_30default_config_static_selectorELNS0_4arch9wavefront6targetE1EEEvT1_
    .private_segment_fixed_size: 0
    .sgpr_count:     4
    .sgpr_spill_count: 0
    .symbol:         _ZN7rocprim17ROCPRIM_400000_NS6detail17trampoline_kernelINS0_14default_configENS1_29reduce_by_key_config_selectorIsjN6thrust23THRUST_200600_302600_NS4plusIjEEEEZZNS1_33reduce_by_key_impl_wrapped_configILNS1_25lookback_scan_determinismE0ES3_S9_NS6_6detail15normal_iteratorINS6_10device_ptrIsEEEENSD_INSE_IjEEEESG_SI_PmS8_NS6_8equal_toIsEEEE10hipError_tPvRmT2_T3_mT4_T5_T6_T7_T8_P12ihipStream_tbENKUlT_T0_E_clISt17integral_constantIbLb1EES13_EEDaSY_SZ_EUlSY_E_NS1_11comp_targetILNS1_3genE8ELNS1_11target_archE1030ELNS1_3gpuE2ELNS1_3repE0EEENS1_30default_config_static_selectorELNS0_4arch9wavefront6targetE1EEEvT1_.kd
    .uniform_work_group_size: 1
    .uses_dynamic_stack: false
    .vgpr_count:     0
    .vgpr_spill_count: 0
    .wavefront_size: 64
  - .agpr_count:     0
    .args:
      - .offset:         0
        .size:           120
        .value_kind:     by_value
    .group_segment_fixed_size: 0
    .kernarg_segment_align: 8
    .kernarg_segment_size: 120
    .language:       OpenCL C
    .language_version:
      - 2
      - 0
    .max_flat_workgroup_size: 256
    .name:           _ZN7rocprim17ROCPRIM_400000_NS6detail17trampoline_kernelINS0_14default_configENS1_29reduce_by_key_config_selectorIsjN6thrust23THRUST_200600_302600_NS4plusIjEEEEZZNS1_33reduce_by_key_impl_wrapped_configILNS1_25lookback_scan_determinismE0ES3_S9_NS6_6detail15normal_iteratorINS6_10device_ptrIsEEEENSD_INSE_IjEEEESG_SI_PmS8_NS6_8equal_toIsEEEE10hipError_tPvRmT2_T3_mT4_T5_T6_T7_T8_P12ihipStream_tbENKUlT_T0_E_clISt17integral_constantIbLb1EES12_IbLb0EEEEDaSY_SZ_EUlSY_E_NS1_11comp_targetILNS1_3genE0ELNS1_11target_archE4294967295ELNS1_3gpuE0ELNS1_3repE0EEENS1_30default_config_static_selectorELNS0_4arch9wavefront6targetE1EEEvT1_
    .private_segment_fixed_size: 0
    .sgpr_count:     4
    .sgpr_spill_count: 0
    .symbol:         _ZN7rocprim17ROCPRIM_400000_NS6detail17trampoline_kernelINS0_14default_configENS1_29reduce_by_key_config_selectorIsjN6thrust23THRUST_200600_302600_NS4plusIjEEEEZZNS1_33reduce_by_key_impl_wrapped_configILNS1_25lookback_scan_determinismE0ES3_S9_NS6_6detail15normal_iteratorINS6_10device_ptrIsEEEENSD_INSE_IjEEEESG_SI_PmS8_NS6_8equal_toIsEEEE10hipError_tPvRmT2_T3_mT4_T5_T6_T7_T8_P12ihipStream_tbENKUlT_T0_E_clISt17integral_constantIbLb1EES12_IbLb0EEEEDaSY_SZ_EUlSY_E_NS1_11comp_targetILNS1_3genE0ELNS1_11target_archE4294967295ELNS1_3gpuE0ELNS1_3repE0EEENS1_30default_config_static_selectorELNS0_4arch9wavefront6targetE1EEEvT1_.kd
    .uniform_work_group_size: 1
    .uses_dynamic_stack: false
    .vgpr_count:     0
    .vgpr_spill_count: 0
    .wavefront_size: 64
  - .agpr_count:     0
    .args:
      - .offset:         0
        .size:           120
        .value_kind:     by_value
    .group_segment_fixed_size: 0
    .kernarg_segment_align: 8
    .kernarg_segment_size: 120
    .language:       OpenCL C
    .language_version:
      - 2
      - 0
    .max_flat_workgroup_size: 256
    .name:           _ZN7rocprim17ROCPRIM_400000_NS6detail17trampoline_kernelINS0_14default_configENS1_29reduce_by_key_config_selectorIsjN6thrust23THRUST_200600_302600_NS4plusIjEEEEZZNS1_33reduce_by_key_impl_wrapped_configILNS1_25lookback_scan_determinismE0ES3_S9_NS6_6detail15normal_iteratorINS6_10device_ptrIsEEEENSD_INSE_IjEEEESG_SI_PmS8_NS6_8equal_toIsEEEE10hipError_tPvRmT2_T3_mT4_T5_T6_T7_T8_P12ihipStream_tbENKUlT_T0_E_clISt17integral_constantIbLb1EES12_IbLb0EEEEDaSY_SZ_EUlSY_E_NS1_11comp_targetILNS1_3genE5ELNS1_11target_archE942ELNS1_3gpuE9ELNS1_3repE0EEENS1_30default_config_static_selectorELNS0_4arch9wavefront6targetE1EEEvT1_
    .private_segment_fixed_size: 0
    .sgpr_count:     4
    .sgpr_spill_count: 0
    .symbol:         _ZN7rocprim17ROCPRIM_400000_NS6detail17trampoline_kernelINS0_14default_configENS1_29reduce_by_key_config_selectorIsjN6thrust23THRUST_200600_302600_NS4plusIjEEEEZZNS1_33reduce_by_key_impl_wrapped_configILNS1_25lookback_scan_determinismE0ES3_S9_NS6_6detail15normal_iteratorINS6_10device_ptrIsEEEENSD_INSE_IjEEEESG_SI_PmS8_NS6_8equal_toIsEEEE10hipError_tPvRmT2_T3_mT4_T5_T6_T7_T8_P12ihipStream_tbENKUlT_T0_E_clISt17integral_constantIbLb1EES12_IbLb0EEEEDaSY_SZ_EUlSY_E_NS1_11comp_targetILNS1_3genE5ELNS1_11target_archE942ELNS1_3gpuE9ELNS1_3repE0EEENS1_30default_config_static_selectorELNS0_4arch9wavefront6targetE1EEEvT1_.kd
    .uniform_work_group_size: 1
    .uses_dynamic_stack: false
    .vgpr_count:     0
    .vgpr_spill_count: 0
    .wavefront_size: 64
  - .agpr_count:     0
    .args:
      - .offset:         0
        .size:           120
        .value_kind:     by_value
    .group_segment_fixed_size: 15360
    .kernarg_segment_align: 8
    .kernarg_segment_size: 120
    .language:       OpenCL C
    .language_version:
      - 2
      - 0
    .max_flat_workgroup_size: 256
    .name:           _ZN7rocprim17ROCPRIM_400000_NS6detail17trampoline_kernelINS0_14default_configENS1_29reduce_by_key_config_selectorIsjN6thrust23THRUST_200600_302600_NS4plusIjEEEEZZNS1_33reduce_by_key_impl_wrapped_configILNS1_25lookback_scan_determinismE0ES3_S9_NS6_6detail15normal_iteratorINS6_10device_ptrIsEEEENSD_INSE_IjEEEESG_SI_PmS8_NS6_8equal_toIsEEEE10hipError_tPvRmT2_T3_mT4_T5_T6_T7_T8_P12ihipStream_tbENKUlT_T0_E_clISt17integral_constantIbLb1EES12_IbLb0EEEEDaSY_SZ_EUlSY_E_NS1_11comp_targetILNS1_3genE4ELNS1_11target_archE910ELNS1_3gpuE8ELNS1_3repE0EEENS1_30default_config_static_selectorELNS0_4arch9wavefront6targetE1EEEvT1_
    .private_segment_fixed_size: 0
    .sgpr_count:     68
    .sgpr_spill_count: 0
    .symbol:         _ZN7rocprim17ROCPRIM_400000_NS6detail17trampoline_kernelINS0_14default_configENS1_29reduce_by_key_config_selectorIsjN6thrust23THRUST_200600_302600_NS4plusIjEEEEZZNS1_33reduce_by_key_impl_wrapped_configILNS1_25lookback_scan_determinismE0ES3_S9_NS6_6detail15normal_iteratorINS6_10device_ptrIsEEEENSD_INSE_IjEEEESG_SI_PmS8_NS6_8equal_toIsEEEE10hipError_tPvRmT2_T3_mT4_T5_T6_T7_T8_P12ihipStream_tbENKUlT_T0_E_clISt17integral_constantIbLb1EES12_IbLb0EEEEDaSY_SZ_EUlSY_E_NS1_11comp_targetILNS1_3genE4ELNS1_11target_archE910ELNS1_3gpuE8ELNS1_3repE0EEENS1_30default_config_static_selectorELNS0_4arch9wavefront6targetE1EEEvT1_.kd
    .uniform_work_group_size: 1
    .uses_dynamic_stack: false
    .vgpr_count:     108
    .vgpr_spill_count: 0
    .wavefront_size: 64
  - .agpr_count:     0
    .args:
      - .offset:         0
        .size:           120
        .value_kind:     by_value
    .group_segment_fixed_size: 0
    .kernarg_segment_align: 8
    .kernarg_segment_size: 120
    .language:       OpenCL C
    .language_version:
      - 2
      - 0
    .max_flat_workgroup_size: 256
    .name:           _ZN7rocprim17ROCPRIM_400000_NS6detail17trampoline_kernelINS0_14default_configENS1_29reduce_by_key_config_selectorIsjN6thrust23THRUST_200600_302600_NS4plusIjEEEEZZNS1_33reduce_by_key_impl_wrapped_configILNS1_25lookback_scan_determinismE0ES3_S9_NS6_6detail15normal_iteratorINS6_10device_ptrIsEEEENSD_INSE_IjEEEESG_SI_PmS8_NS6_8equal_toIsEEEE10hipError_tPvRmT2_T3_mT4_T5_T6_T7_T8_P12ihipStream_tbENKUlT_T0_E_clISt17integral_constantIbLb1EES12_IbLb0EEEEDaSY_SZ_EUlSY_E_NS1_11comp_targetILNS1_3genE3ELNS1_11target_archE908ELNS1_3gpuE7ELNS1_3repE0EEENS1_30default_config_static_selectorELNS0_4arch9wavefront6targetE1EEEvT1_
    .private_segment_fixed_size: 0
    .sgpr_count:     4
    .sgpr_spill_count: 0
    .symbol:         _ZN7rocprim17ROCPRIM_400000_NS6detail17trampoline_kernelINS0_14default_configENS1_29reduce_by_key_config_selectorIsjN6thrust23THRUST_200600_302600_NS4plusIjEEEEZZNS1_33reduce_by_key_impl_wrapped_configILNS1_25lookback_scan_determinismE0ES3_S9_NS6_6detail15normal_iteratorINS6_10device_ptrIsEEEENSD_INSE_IjEEEESG_SI_PmS8_NS6_8equal_toIsEEEE10hipError_tPvRmT2_T3_mT4_T5_T6_T7_T8_P12ihipStream_tbENKUlT_T0_E_clISt17integral_constantIbLb1EES12_IbLb0EEEEDaSY_SZ_EUlSY_E_NS1_11comp_targetILNS1_3genE3ELNS1_11target_archE908ELNS1_3gpuE7ELNS1_3repE0EEENS1_30default_config_static_selectorELNS0_4arch9wavefront6targetE1EEEvT1_.kd
    .uniform_work_group_size: 1
    .uses_dynamic_stack: false
    .vgpr_count:     0
    .vgpr_spill_count: 0
    .wavefront_size: 64
  - .agpr_count:     0
    .args:
      - .offset:         0
        .size:           120
        .value_kind:     by_value
    .group_segment_fixed_size: 0
    .kernarg_segment_align: 8
    .kernarg_segment_size: 120
    .language:       OpenCL C
    .language_version:
      - 2
      - 0
    .max_flat_workgroup_size: 256
    .name:           _ZN7rocprim17ROCPRIM_400000_NS6detail17trampoline_kernelINS0_14default_configENS1_29reduce_by_key_config_selectorIsjN6thrust23THRUST_200600_302600_NS4plusIjEEEEZZNS1_33reduce_by_key_impl_wrapped_configILNS1_25lookback_scan_determinismE0ES3_S9_NS6_6detail15normal_iteratorINS6_10device_ptrIsEEEENSD_INSE_IjEEEESG_SI_PmS8_NS6_8equal_toIsEEEE10hipError_tPvRmT2_T3_mT4_T5_T6_T7_T8_P12ihipStream_tbENKUlT_T0_E_clISt17integral_constantIbLb1EES12_IbLb0EEEEDaSY_SZ_EUlSY_E_NS1_11comp_targetILNS1_3genE2ELNS1_11target_archE906ELNS1_3gpuE6ELNS1_3repE0EEENS1_30default_config_static_selectorELNS0_4arch9wavefront6targetE1EEEvT1_
    .private_segment_fixed_size: 0
    .sgpr_count:     4
    .sgpr_spill_count: 0
    .symbol:         _ZN7rocprim17ROCPRIM_400000_NS6detail17trampoline_kernelINS0_14default_configENS1_29reduce_by_key_config_selectorIsjN6thrust23THRUST_200600_302600_NS4plusIjEEEEZZNS1_33reduce_by_key_impl_wrapped_configILNS1_25lookback_scan_determinismE0ES3_S9_NS6_6detail15normal_iteratorINS6_10device_ptrIsEEEENSD_INSE_IjEEEESG_SI_PmS8_NS6_8equal_toIsEEEE10hipError_tPvRmT2_T3_mT4_T5_T6_T7_T8_P12ihipStream_tbENKUlT_T0_E_clISt17integral_constantIbLb1EES12_IbLb0EEEEDaSY_SZ_EUlSY_E_NS1_11comp_targetILNS1_3genE2ELNS1_11target_archE906ELNS1_3gpuE6ELNS1_3repE0EEENS1_30default_config_static_selectorELNS0_4arch9wavefront6targetE1EEEvT1_.kd
    .uniform_work_group_size: 1
    .uses_dynamic_stack: false
    .vgpr_count:     0
    .vgpr_spill_count: 0
    .wavefront_size: 64
  - .agpr_count:     0
    .args:
      - .offset:         0
        .size:           120
        .value_kind:     by_value
    .group_segment_fixed_size: 0
    .kernarg_segment_align: 8
    .kernarg_segment_size: 120
    .language:       OpenCL C
    .language_version:
      - 2
      - 0
    .max_flat_workgroup_size: 256
    .name:           _ZN7rocprim17ROCPRIM_400000_NS6detail17trampoline_kernelINS0_14default_configENS1_29reduce_by_key_config_selectorIsjN6thrust23THRUST_200600_302600_NS4plusIjEEEEZZNS1_33reduce_by_key_impl_wrapped_configILNS1_25lookback_scan_determinismE0ES3_S9_NS6_6detail15normal_iteratorINS6_10device_ptrIsEEEENSD_INSE_IjEEEESG_SI_PmS8_NS6_8equal_toIsEEEE10hipError_tPvRmT2_T3_mT4_T5_T6_T7_T8_P12ihipStream_tbENKUlT_T0_E_clISt17integral_constantIbLb1EES12_IbLb0EEEEDaSY_SZ_EUlSY_E_NS1_11comp_targetILNS1_3genE10ELNS1_11target_archE1201ELNS1_3gpuE5ELNS1_3repE0EEENS1_30default_config_static_selectorELNS0_4arch9wavefront6targetE1EEEvT1_
    .private_segment_fixed_size: 0
    .sgpr_count:     4
    .sgpr_spill_count: 0
    .symbol:         _ZN7rocprim17ROCPRIM_400000_NS6detail17trampoline_kernelINS0_14default_configENS1_29reduce_by_key_config_selectorIsjN6thrust23THRUST_200600_302600_NS4plusIjEEEEZZNS1_33reduce_by_key_impl_wrapped_configILNS1_25lookback_scan_determinismE0ES3_S9_NS6_6detail15normal_iteratorINS6_10device_ptrIsEEEENSD_INSE_IjEEEESG_SI_PmS8_NS6_8equal_toIsEEEE10hipError_tPvRmT2_T3_mT4_T5_T6_T7_T8_P12ihipStream_tbENKUlT_T0_E_clISt17integral_constantIbLb1EES12_IbLb0EEEEDaSY_SZ_EUlSY_E_NS1_11comp_targetILNS1_3genE10ELNS1_11target_archE1201ELNS1_3gpuE5ELNS1_3repE0EEENS1_30default_config_static_selectorELNS0_4arch9wavefront6targetE1EEEvT1_.kd
    .uniform_work_group_size: 1
    .uses_dynamic_stack: false
    .vgpr_count:     0
    .vgpr_spill_count: 0
    .wavefront_size: 64
  - .agpr_count:     0
    .args:
      - .offset:         0
        .size:           120
        .value_kind:     by_value
    .group_segment_fixed_size: 0
    .kernarg_segment_align: 8
    .kernarg_segment_size: 120
    .language:       OpenCL C
    .language_version:
      - 2
      - 0
    .max_flat_workgroup_size: 256
    .name:           _ZN7rocprim17ROCPRIM_400000_NS6detail17trampoline_kernelINS0_14default_configENS1_29reduce_by_key_config_selectorIsjN6thrust23THRUST_200600_302600_NS4plusIjEEEEZZNS1_33reduce_by_key_impl_wrapped_configILNS1_25lookback_scan_determinismE0ES3_S9_NS6_6detail15normal_iteratorINS6_10device_ptrIsEEEENSD_INSE_IjEEEESG_SI_PmS8_NS6_8equal_toIsEEEE10hipError_tPvRmT2_T3_mT4_T5_T6_T7_T8_P12ihipStream_tbENKUlT_T0_E_clISt17integral_constantIbLb1EES12_IbLb0EEEEDaSY_SZ_EUlSY_E_NS1_11comp_targetILNS1_3genE10ELNS1_11target_archE1200ELNS1_3gpuE4ELNS1_3repE0EEENS1_30default_config_static_selectorELNS0_4arch9wavefront6targetE1EEEvT1_
    .private_segment_fixed_size: 0
    .sgpr_count:     4
    .sgpr_spill_count: 0
    .symbol:         _ZN7rocprim17ROCPRIM_400000_NS6detail17trampoline_kernelINS0_14default_configENS1_29reduce_by_key_config_selectorIsjN6thrust23THRUST_200600_302600_NS4plusIjEEEEZZNS1_33reduce_by_key_impl_wrapped_configILNS1_25lookback_scan_determinismE0ES3_S9_NS6_6detail15normal_iteratorINS6_10device_ptrIsEEEENSD_INSE_IjEEEESG_SI_PmS8_NS6_8equal_toIsEEEE10hipError_tPvRmT2_T3_mT4_T5_T6_T7_T8_P12ihipStream_tbENKUlT_T0_E_clISt17integral_constantIbLb1EES12_IbLb0EEEEDaSY_SZ_EUlSY_E_NS1_11comp_targetILNS1_3genE10ELNS1_11target_archE1200ELNS1_3gpuE4ELNS1_3repE0EEENS1_30default_config_static_selectorELNS0_4arch9wavefront6targetE1EEEvT1_.kd
    .uniform_work_group_size: 1
    .uses_dynamic_stack: false
    .vgpr_count:     0
    .vgpr_spill_count: 0
    .wavefront_size: 64
  - .agpr_count:     0
    .args:
      - .offset:         0
        .size:           120
        .value_kind:     by_value
    .group_segment_fixed_size: 0
    .kernarg_segment_align: 8
    .kernarg_segment_size: 120
    .language:       OpenCL C
    .language_version:
      - 2
      - 0
    .max_flat_workgroup_size: 256
    .name:           _ZN7rocprim17ROCPRIM_400000_NS6detail17trampoline_kernelINS0_14default_configENS1_29reduce_by_key_config_selectorIsjN6thrust23THRUST_200600_302600_NS4plusIjEEEEZZNS1_33reduce_by_key_impl_wrapped_configILNS1_25lookback_scan_determinismE0ES3_S9_NS6_6detail15normal_iteratorINS6_10device_ptrIsEEEENSD_INSE_IjEEEESG_SI_PmS8_NS6_8equal_toIsEEEE10hipError_tPvRmT2_T3_mT4_T5_T6_T7_T8_P12ihipStream_tbENKUlT_T0_E_clISt17integral_constantIbLb1EES12_IbLb0EEEEDaSY_SZ_EUlSY_E_NS1_11comp_targetILNS1_3genE9ELNS1_11target_archE1100ELNS1_3gpuE3ELNS1_3repE0EEENS1_30default_config_static_selectorELNS0_4arch9wavefront6targetE1EEEvT1_
    .private_segment_fixed_size: 0
    .sgpr_count:     4
    .sgpr_spill_count: 0
    .symbol:         _ZN7rocprim17ROCPRIM_400000_NS6detail17trampoline_kernelINS0_14default_configENS1_29reduce_by_key_config_selectorIsjN6thrust23THRUST_200600_302600_NS4plusIjEEEEZZNS1_33reduce_by_key_impl_wrapped_configILNS1_25lookback_scan_determinismE0ES3_S9_NS6_6detail15normal_iteratorINS6_10device_ptrIsEEEENSD_INSE_IjEEEESG_SI_PmS8_NS6_8equal_toIsEEEE10hipError_tPvRmT2_T3_mT4_T5_T6_T7_T8_P12ihipStream_tbENKUlT_T0_E_clISt17integral_constantIbLb1EES12_IbLb0EEEEDaSY_SZ_EUlSY_E_NS1_11comp_targetILNS1_3genE9ELNS1_11target_archE1100ELNS1_3gpuE3ELNS1_3repE0EEENS1_30default_config_static_selectorELNS0_4arch9wavefront6targetE1EEEvT1_.kd
    .uniform_work_group_size: 1
    .uses_dynamic_stack: false
    .vgpr_count:     0
    .vgpr_spill_count: 0
    .wavefront_size: 64
  - .agpr_count:     0
    .args:
      - .offset:         0
        .size:           120
        .value_kind:     by_value
    .group_segment_fixed_size: 0
    .kernarg_segment_align: 8
    .kernarg_segment_size: 120
    .language:       OpenCL C
    .language_version:
      - 2
      - 0
    .max_flat_workgroup_size: 256
    .name:           _ZN7rocprim17ROCPRIM_400000_NS6detail17trampoline_kernelINS0_14default_configENS1_29reduce_by_key_config_selectorIsjN6thrust23THRUST_200600_302600_NS4plusIjEEEEZZNS1_33reduce_by_key_impl_wrapped_configILNS1_25lookback_scan_determinismE0ES3_S9_NS6_6detail15normal_iteratorINS6_10device_ptrIsEEEENSD_INSE_IjEEEESG_SI_PmS8_NS6_8equal_toIsEEEE10hipError_tPvRmT2_T3_mT4_T5_T6_T7_T8_P12ihipStream_tbENKUlT_T0_E_clISt17integral_constantIbLb1EES12_IbLb0EEEEDaSY_SZ_EUlSY_E_NS1_11comp_targetILNS1_3genE8ELNS1_11target_archE1030ELNS1_3gpuE2ELNS1_3repE0EEENS1_30default_config_static_selectorELNS0_4arch9wavefront6targetE1EEEvT1_
    .private_segment_fixed_size: 0
    .sgpr_count:     4
    .sgpr_spill_count: 0
    .symbol:         _ZN7rocprim17ROCPRIM_400000_NS6detail17trampoline_kernelINS0_14default_configENS1_29reduce_by_key_config_selectorIsjN6thrust23THRUST_200600_302600_NS4plusIjEEEEZZNS1_33reduce_by_key_impl_wrapped_configILNS1_25lookback_scan_determinismE0ES3_S9_NS6_6detail15normal_iteratorINS6_10device_ptrIsEEEENSD_INSE_IjEEEESG_SI_PmS8_NS6_8equal_toIsEEEE10hipError_tPvRmT2_T3_mT4_T5_T6_T7_T8_P12ihipStream_tbENKUlT_T0_E_clISt17integral_constantIbLb1EES12_IbLb0EEEEDaSY_SZ_EUlSY_E_NS1_11comp_targetILNS1_3genE8ELNS1_11target_archE1030ELNS1_3gpuE2ELNS1_3repE0EEENS1_30default_config_static_selectorELNS0_4arch9wavefront6targetE1EEEvT1_.kd
    .uniform_work_group_size: 1
    .uses_dynamic_stack: false
    .vgpr_count:     0
    .vgpr_spill_count: 0
    .wavefront_size: 64
  - .agpr_count:     0
    .args:
      - .offset:         0
        .size:           120
        .value_kind:     by_value
    .group_segment_fixed_size: 0
    .kernarg_segment_align: 8
    .kernarg_segment_size: 120
    .language:       OpenCL C
    .language_version:
      - 2
      - 0
    .max_flat_workgroup_size: 256
    .name:           _ZN7rocprim17ROCPRIM_400000_NS6detail17trampoline_kernelINS0_14default_configENS1_29reduce_by_key_config_selectorIsjN6thrust23THRUST_200600_302600_NS4plusIjEEEEZZNS1_33reduce_by_key_impl_wrapped_configILNS1_25lookback_scan_determinismE0ES3_S9_NS6_6detail15normal_iteratorINS6_10device_ptrIsEEEENSD_INSE_IjEEEESG_SI_PmS8_NS6_8equal_toIsEEEE10hipError_tPvRmT2_T3_mT4_T5_T6_T7_T8_P12ihipStream_tbENKUlT_T0_E_clISt17integral_constantIbLb0EES12_IbLb1EEEEDaSY_SZ_EUlSY_E_NS1_11comp_targetILNS1_3genE0ELNS1_11target_archE4294967295ELNS1_3gpuE0ELNS1_3repE0EEENS1_30default_config_static_selectorELNS0_4arch9wavefront6targetE1EEEvT1_
    .private_segment_fixed_size: 0
    .sgpr_count:     4
    .sgpr_spill_count: 0
    .symbol:         _ZN7rocprim17ROCPRIM_400000_NS6detail17trampoline_kernelINS0_14default_configENS1_29reduce_by_key_config_selectorIsjN6thrust23THRUST_200600_302600_NS4plusIjEEEEZZNS1_33reduce_by_key_impl_wrapped_configILNS1_25lookback_scan_determinismE0ES3_S9_NS6_6detail15normal_iteratorINS6_10device_ptrIsEEEENSD_INSE_IjEEEESG_SI_PmS8_NS6_8equal_toIsEEEE10hipError_tPvRmT2_T3_mT4_T5_T6_T7_T8_P12ihipStream_tbENKUlT_T0_E_clISt17integral_constantIbLb0EES12_IbLb1EEEEDaSY_SZ_EUlSY_E_NS1_11comp_targetILNS1_3genE0ELNS1_11target_archE4294967295ELNS1_3gpuE0ELNS1_3repE0EEENS1_30default_config_static_selectorELNS0_4arch9wavefront6targetE1EEEvT1_.kd
    .uniform_work_group_size: 1
    .uses_dynamic_stack: false
    .vgpr_count:     0
    .vgpr_spill_count: 0
    .wavefront_size: 64
  - .agpr_count:     0
    .args:
      - .offset:         0
        .size:           120
        .value_kind:     by_value
    .group_segment_fixed_size: 0
    .kernarg_segment_align: 8
    .kernarg_segment_size: 120
    .language:       OpenCL C
    .language_version:
      - 2
      - 0
    .max_flat_workgroup_size: 256
    .name:           _ZN7rocprim17ROCPRIM_400000_NS6detail17trampoline_kernelINS0_14default_configENS1_29reduce_by_key_config_selectorIsjN6thrust23THRUST_200600_302600_NS4plusIjEEEEZZNS1_33reduce_by_key_impl_wrapped_configILNS1_25lookback_scan_determinismE0ES3_S9_NS6_6detail15normal_iteratorINS6_10device_ptrIsEEEENSD_INSE_IjEEEESG_SI_PmS8_NS6_8equal_toIsEEEE10hipError_tPvRmT2_T3_mT4_T5_T6_T7_T8_P12ihipStream_tbENKUlT_T0_E_clISt17integral_constantIbLb0EES12_IbLb1EEEEDaSY_SZ_EUlSY_E_NS1_11comp_targetILNS1_3genE5ELNS1_11target_archE942ELNS1_3gpuE9ELNS1_3repE0EEENS1_30default_config_static_selectorELNS0_4arch9wavefront6targetE1EEEvT1_
    .private_segment_fixed_size: 0
    .sgpr_count:     4
    .sgpr_spill_count: 0
    .symbol:         _ZN7rocprim17ROCPRIM_400000_NS6detail17trampoline_kernelINS0_14default_configENS1_29reduce_by_key_config_selectorIsjN6thrust23THRUST_200600_302600_NS4plusIjEEEEZZNS1_33reduce_by_key_impl_wrapped_configILNS1_25lookback_scan_determinismE0ES3_S9_NS6_6detail15normal_iteratorINS6_10device_ptrIsEEEENSD_INSE_IjEEEESG_SI_PmS8_NS6_8equal_toIsEEEE10hipError_tPvRmT2_T3_mT4_T5_T6_T7_T8_P12ihipStream_tbENKUlT_T0_E_clISt17integral_constantIbLb0EES12_IbLb1EEEEDaSY_SZ_EUlSY_E_NS1_11comp_targetILNS1_3genE5ELNS1_11target_archE942ELNS1_3gpuE9ELNS1_3repE0EEENS1_30default_config_static_selectorELNS0_4arch9wavefront6targetE1EEEvT1_.kd
    .uniform_work_group_size: 1
    .uses_dynamic_stack: false
    .vgpr_count:     0
    .vgpr_spill_count: 0
    .wavefront_size: 64
  - .agpr_count:     0
    .args:
      - .offset:         0
        .size:           120
        .value_kind:     by_value
    .group_segment_fixed_size: 15360
    .kernarg_segment_align: 8
    .kernarg_segment_size: 120
    .language:       OpenCL C
    .language_version:
      - 2
      - 0
    .max_flat_workgroup_size: 256
    .name:           _ZN7rocprim17ROCPRIM_400000_NS6detail17trampoline_kernelINS0_14default_configENS1_29reduce_by_key_config_selectorIsjN6thrust23THRUST_200600_302600_NS4plusIjEEEEZZNS1_33reduce_by_key_impl_wrapped_configILNS1_25lookback_scan_determinismE0ES3_S9_NS6_6detail15normal_iteratorINS6_10device_ptrIsEEEENSD_INSE_IjEEEESG_SI_PmS8_NS6_8equal_toIsEEEE10hipError_tPvRmT2_T3_mT4_T5_T6_T7_T8_P12ihipStream_tbENKUlT_T0_E_clISt17integral_constantIbLb0EES12_IbLb1EEEEDaSY_SZ_EUlSY_E_NS1_11comp_targetILNS1_3genE4ELNS1_11target_archE910ELNS1_3gpuE8ELNS1_3repE0EEENS1_30default_config_static_selectorELNS0_4arch9wavefront6targetE1EEEvT1_
    .private_segment_fixed_size: 0
    .sgpr_count:     70
    .sgpr_spill_count: 0
    .symbol:         _ZN7rocprim17ROCPRIM_400000_NS6detail17trampoline_kernelINS0_14default_configENS1_29reduce_by_key_config_selectorIsjN6thrust23THRUST_200600_302600_NS4plusIjEEEEZZNS1_33reduce_by_key_impl_wrapped_configILNS1_25lookback_scan_determinismE0ES3_S9_NS6_6detail15normal_iteratorINS6_10device_ptrIsEEEENSD_INSE_IjEEEESG_SI_PmS8_NS6_8equal_toIsEEEE10hipError_tPvRmT2_T3_mT4_T5_T6_T7_T8_P12ihipStream_tbENKUlT_T0_E_clISt17integral_constantIbLb0EES12_IbLb1EEEEDaSY_SZ_EUlSY_E_NS1_11comp_targetILNS1_3genE4ELNS1_11target_archE910ELNS1_3gpuE8ELNS1_3repE0EEENS1_30default_config_static_selectorELNS0_4arch9wavefront6targetE1EEEvT1_.kd
    .uniform_work_group_size: 1
    .uses_dynamic_stack: false
    .vgpr_count:     108
    .vgpr_spill_count: 0
    .wavefront_size: 64
  - .agpr_count:     0
    .args:
      - .offset:         0
        .size:           120
        .value_kind:     by_value
    .group_segment_fixed_size: 0
    .kernarg_segment_align: 8
    .kernarg_segment_size: 120
    .language:       OpenCL C
    .language_version:
      - 2
      - 0
    .max_flat_workgroup_size: 256
    .name:           _ZN7rocprim17ROCPRIM_400000_NS6detail17trampoline_kernelINS0_14default_configENS1_29reduce_by_key_config_selectorIsjN6thrust23THRUST_200600_302600_NS4plusIjEEEEZZNS1_33reduce_by_key_impl_wrapped_configILNS1_25lookback_scan_determinismE0ES3_S9_NS6_6detail15normal_iteratorINS6_10device_ptrIsEEEENSD_INSE_IjEEEESG_SI_PmS8_NS6_8equal_toIsEEEE10hipError_tPvRmT2_T3_mT4_T5_T6_T7_T8_P12ihipStream_tbENKUlT_T0_E_clISt17integral_constantIbLb0EES12_IbLb1EEEEDaSY_SZ_EUlSY_E_NS1_11comp_targetILNS1_3genE3ELNS1_11target_archE908ELNS1_3gpuE7ELNS1_3repE0EEENS1_30default_config_static_selectorELNS0_4arch9wavefront6targetE1EEEvT1_
    .private_segment_fixed_size: 0
    .sgpr_count:     4
    .sgpr_spill_count: 0
    .symbol:         _ZN7rocprim17ROCPRIM_400000_NS6detail17trampoline_kernelINS0_14default_configENS1_29reduce_by_key_config_selectorIsjN6thrust23THRUST_200600_302600_NS4plusIjEEEEZZNS1_33reduce_by_key_impl_wrapped_configILNS1_25lookback_scan_determinismE0ES3_S9_NS6_6detail15normal_iteratorINS6_10device_ptrIsEEEENSD_INSE_IjEEEESG_SI_PmS8_NS6_8equal_toIsEEEE10hipError_tPvRmT2_T3_mT4_T5_T6_T7_T8_P12ihipStream_tbENKUlT_T0_E_clISt17integral_constantIbLb0EES12_IbLb1EEEEDaSY_SZ_EUlSY_E_NS1_11comp_targetILNS1_3genE3ELNS1_11target_archE908ELNS1_3gpuE7ELNS1_3repE0EEENS1_30default_config_static_selectorELNS0_4arch9wavefront6targetE1EEEvT1_.kd
    .uniform_work_group_size: 1
    .uses_dynamic_stack: false
    .vgpr_count:     0
    .vgpr_spill_count: 0
    .wavefront_size: 64
  - .agpr_count:     0
    .args:
      - .offset:         0
        .size:           120
        .value_kind:     by_value
    .group_segment_fixed_size: 0
    .kernarg_segment_align: 8
    .kernarg_segment_size: 120
    .language:       OpenCL C
    .language_version:
      - 2
      - 0
    .max_flat_workgroup_size: 256
    .name:           _ZN7rocprim17ROCPRIM_400000_NS6detail17trampoline_kernelINS0_14default_configENS1_29reduce_by_key_config_selectorIsjN6thrust23THRUST_200600_302600_NS4plusIjEEEEZZNS1_33reduce_by_key_impl_wrapped_configILNS1_25lookback_scan_determinismE0ES3_S9_NS6_6detail15normal_iteratorINS6_10device_ptrIsEEEENSD_INSE_IjEEEESG_SI_PmS8_NS6_8equal_toIsEEEE10hipError_tPvRmT2_T3_mT4_T5_T6_T7_T8_P12ihipStream_tbENKUlT_T0_E_clISt17integral_constantIbLb0EES12_IbLb1EEEEDaSY_SZ_EUlSY_E_NS1_11comp_targetILNS1_3genE2ELNS1_11target_archE906ELNS1_3gpuE6ELNS1_3repE0EEENS1_30default_config_static_selectorELNS0_4arch9wavefront6targetE1EEEvT1_
    .private_segment_fixed_size: 0
    .sgpr_count:     4
    .sgpr_spill_count: 0
    .symbol:         _ZN7rocprim17ROCPRIM_400000_NS6detail17trampoline_kernelINS0_14default_configENS1_29reduce_by_key_config_selectorIsjN6thrust23THRUST_200600_302600_NS4plusIjEEEEZZNS1_33reduce_by_key_impl_wrapped_configILNS1_25lookback_scan_determinismE0ES3_S9_NS6_6detail15normal_iteratorINS6_10device_ptrIsEEEENSD_INSE_IjEEEESG_SI_PmS8_NS6_8equal_toIsEEEE10hipError_tPvRmT2_T3_mT4_T5_T6_T7_T8_P12ihipStream_tbENKUlT_T0_E_clISt17integral_constantIbLb0EES12_IbLb1EEEEDaSY_SZ_EUlSY_E_NS1_11comp_targetILNS1_3genE2ELNS1_11target_archE906ELNS1_3gpuE6ELNS1_3repE0EEENS1_30default_config_static_selectorELNS0_4arch9wavefront6targetE1EEEvT1_.kd
    .uniform_work_group_size: 1
    .uses_dynamic_stack: false
    .vgpr_count:     0
    .vgpr_spill_count: 0
    .wavefront_size: 64
  - .agpr_count:     0
    .args:
      - .offset:         0
        .size:           120
        .value_kind:     by_value
    .group_segment_fixed_size: 0
    .kernarg_segment_align: 8
    .kernarg_segment_size: 120
    .language:       OpenCL C
    .language_version:
      - 2
      - 0
    .max_flat_workgroup_size: 256
    .name:           _ZN7rocprim17ROCPRIM_400000_NS6detail17trampoline_kernelINS0_14default_configENS1_29reduce_by_key_config_selectorIsjN6thrust23THRUST_200600_302600_NS4plusIjEEEEZZNS1_33reduce_by_key_impl_wrapped_configILNS1_25lookback_scan_determinismE0ES3_S9_NS6_6detail15normal_iteratorINS6_10device_ptrIsEEEENSD_INSE_IjEEEESG_SI_PmS8_NS6_8equal_toIsEEEE10hipError_tPvRmT2_T3_mT4_T5_T6_T7_T8_P12ihipStream_tbENKUlT_T0_E_clISt17integral_constantIbLb0EES12_IbLb1EEEEDaSY_SZ_EUlSY_E_NS1_11comp_targetILNS1_3genE10ELNS1_11target_archE1201ELNS1_3gpuE5ELNS1_3repE0EEENS1_30default_config_static_selectorELNS0_4arch9wavefront6targetE1EEEvT1_
    .private_segment_fixed_size: 0
    .sgpr_count:     4
    .sgpr_spill_count: 0
    .symbol:         _ZN7rocprim17ROCPRIM_400000_NS6detail17trampoline_kernelINS0_14default_configENS1_29reduce_by_key_config_selectorIsjN6thrust23THRUST_200600_302600_NS4plusIjEEEEZZNS1_33reduce_by_key_impl_wrapped_configILNS1_25lookback_scan_determinismE0ES3_S9_NS6_6detail15normal_iteratorINS6_10device_ptrIsEEEENSD_INSE_IjEEEESG_SI_PmS8_NS6_8equal_toIsEEEE10hipError_tPvRmT2_T3_mT4_T5_T6_T7_T8_P12ihipStream_tbENKUlT_T0_E_clISt17integral_constantIbLb0EES12_IbLb1EEEEDaSY_SZ_EUlSY_E_NS1_11comp_targetILNS1_3genE10ELNS1_11target_archE1201ELNS1_3gpuE5ELNS1_3repE0EEENS1_30default_config_static_selectorELNS0_4arch9wavefront6targetE1EEEvT1_.kd
    .uniform_work_group_size: 1
    .uses_dynamic_stack: false
    .vgpr_count:     0
    .vgpr_spill_count: 0
    .wavefront_size: 64
  - .agpr_count:     0
    .args:
      - .offset:         0
        .size:           120
        .value_kind:     by_value
    .group_segment_fixed_size: 0
    .kernarg_segment_align: 8
    .kernarg_segment_size: 120
    .language:       OpenCL C
    .language_version:
      - 2
      - 0
    .max_flat_workgroup_size: 256
    .name:           _ZN7rocprim17ROCPRIM_400000_NS6detail17trampoline_kernelINS0_14default_configENS1_29reduce_by_key_config_selectorIsjN6thrust23THRUST_200600_302600_NS4plusIjEEEEZZNS1_33reduce_by_key_impl_wrapped_configILNS1_25lookback_scan_determinismE0ES3_S9_NS6_6detail15normal_iteratorINS6_10device_ptrIsEEEENSD_INSE_IjEEEESG_SI_PmS8_NS6_8equal_toIsEEEE10hipError_tPvRmT2_T3_mT4_T5_T6_T7_T8_P12ihipStream_tbENKUlT_T0_E_clISt17integral_constantIbLb0EES12_IbLb1EEEEDaSY_SZ_EUlSY_E_NS1_11comp_targetILNS1_3genE10ELNS1_11target_archE1200ELNS1_3gpuE4ELNS1_3repE0EEENS1_30default_config_static_selectorELNS0_4arch9wavefront6targetE1EEEvT1_
    .private_segment_fixed_size: 0
    .sgpr_count:     4
    .sgpr_spill_count: 0
    .symbol:         _ZN7rocprim17ROCPRIM_400000_NS6detail17trampoline_kernelINS0_14default_configENS1_29reduce_by_key_config_selectorIsjN6thrust23THRUST_200600_302600_NS4plusIjEEEEZZNS1_33reduce_by_key_impl_wrapped_configILNS1_25lookback_scan_determinismE0ES3_S9_NS6_6detail15normal_iteratorINS6_10device_ptrIsEEEENSD_INSE_IjEEEESG_SI_PmS8_NS6_8equal_toIsEEEE10hipError_tPvRmT2_T3_mT4_T5_T6_T7_T8_P12ihipStream_tbENKUlT_T0_E_clISt17integral_constantIbLb0EES12_IbLb1EEEEDaSY_SZ_EUlSY_E_NS1_11comp_targetILNS1_3genE10ELNS1_11target_archE1200ELNS1_3gpuE4ELNS1_3repE0EEENS1_30default_config_static_selectorELNS0_4arch9wavefront6targetE1EEEvT1_.kd
    .uniform_work_group_size: 1
    .uses_dynamic_stack: false
    .vgpr_count:     0
    .vgpr_spill_count: 0
    .wavefront_size: 64
  - .agpr_count:     0
    .args:
      - .offset:         0
        .size:           120
        .value_kind:     by_value
    .group_segment_fixed_size: 0
    .kernarg_segment_align: 8
    .kernarg_segment_size: 120
    .language:       OpenCL C
    .language_version:
      - 2
      - 0
    .max_flat_workgroup_size: 256
    .name:           _ZN7rocprim17ROCPRIM_400000_NS6detail17trampoline_kernelINS0_14default_configENS1_29reduce_by_key_config_selectorIsjN6thrust23THRUST_200600_302600_NS4plusIjEEEEZZNS1_33reduce_by_key_impl_wrapped_configILNS1_25lookback_scan_determinismE0ES3_S9_NS6_6detail15normal_iteratorINS6_10device_ptrIsEEEENSD_INSE_IjEEEESG_SI_PmS8_NS6_8equal_toIsEEEE10hipError_tPvRmT2_T3_mT4_T5_T6_T7_T8_P12ihipStream_tbENKUlT_T0_E_clISt17integral_constantIbLb0EES12_IbLb1EEEEDaSY_SZ_EUlSY_E_NS1_11comp_targetILNS1_3genE9ELNS1_11target_archE1100ELNS1_3gpuE3ELNS1_3repE0EEENS1_30default_config_static_selectorELNS0_4arch9wavefront6targetE1EEEvT1_
    .private_segment_fixed_size: 0
    .sgpr_count:     4
    .sgpr_spill_count: 0
    .symbol:         _ZN7rocprim17ROCPRIM_400000_NS6detail17trampoline_kernelINS0_14default_configENS1_29reduce_by_key_config_selectorIsjN6thrust23THRUST_200600_302600_NS4plusIjEEEEZZNS1_33reduce_by_key_impl_wrapped_configILNS1_25lookback_scan_determinismE0ES3_S9_NS6_6detail15normal_iteratorINS6_10device_ptrIsEEEENSD_INSE_IjEEEESG_SI_PmS8_NS6_8equal_toIsEEEE10hipError_tPvRmT2_T3_mT4_T5_T6_T7_T8_P12ihipStream_tbENKUlT_T0_E_clISt17integral_constantIbLb0EES12_IbLb1EEEEDaSY_SZ_EUlSY_E_NS1_11comp_targetILNS1_3genE9ELNS1_11target_archE1100ELNS1_3gpuE3ELNS1_3repE0EEENS1_30default_config_static_selectorELNS0_4arch9wavefront6targetE1EEEvT1_.kd
    .uniform_work_group_size: 1
    .uses_dynamic_stack: false
    .vgpr_count:     0
    .vgpr_spill_count: 0
    .wavefront_size: 64
  - .agpr_count:     0
    .args:
      - .offset:         0
        .size:           120
        .value_kind:     by_value
    .group_segment_fixed_size: 0
    .kernarg_segment_align: 8
    .kernarg_segment_size: 120
    .language:       OpenCL C
    .language_version:
      - 2
      - 0
    .max_flat_workgroup_size: 256
    .name:           _ZN7rocprim17ROCPRIM_400000_NS6detail17trampoline_kernelINS0_14default_configENS1_29reduce_by_key_config_selectorIsjN6thrust23THRUST_200600_302600_NS4plusIjEEEEZZNS1_33reduce_by_key_impl_wrapped_configILNS1_25lookback_scan_determinismE0ES3_S9_NS6_6detail15normal_iteratorINS6_10device_ptrIsEEEENSD_INSE_IjEEEESG_SI_PmS8_NS6_8equal_toIsEEEE10hipError_tPvRmT2_T3_mT4_T5_T6_T7_T8_P12ihipStream_tbENKUlT_T0_E_clISt17integral_constantIbLb0EES12_IbLb1EEEEDaSY_SZ_EUlSY_E_NS1_11comp_targetILNS1_3genE8ELNS1_11target_archE1030ELNS1_3gpuE2ELNS1_3repE0EEENS1_30default_config_static_selectorELNS0_4arch9wavefront6targetE1EEEvT1_
    .private_segment_fixed_size: 0
    .sgpr_count:     4
    .sgpr_spill_count: 0
    .symbol:         _ZN7rocprim17ROCPRIM_400000_NS6detail17trampoline_kernelINS0_14default_configENS1_29reduce_by_key_config_selectorIsjN6thrust23THRUST_200600_302600_NS4plusIjEEEEZZNS1_33reduce_by_key_impl_wrapped_configILNS1_25lookback_scan_determinismE0ES3_S9_NS6_6detail15normal_iteratorINS6_10device_ptrIsEEEENSD_INSE_IjEEEESG_SI_PmS8_NS6_8equal_toIsEEEE10hipError_tPvRmT2_T3_mT4_T5_T6_T7_T8_P12ihipStream_tbENKUlT_T0_E_clISt17integral_constantIbLb0EES12_IbLb1EEEEDaSY_SZ_EUlSY_E_NS1_11comp_targetILNS1_3genE8ELNS1_11target_archE1030ELNS1_3gpuE2ELNS1_3repE0EEENS1_30default_config_static_selectorELNS0_4arch9wavefront6targetE1EEEvT1_.kd
    .uniform_work_group_size: 1
    .uses_dynamic_stack: false
    .vgpr_count:     0
    .vgpr_spill_count: 0
    .wavefront_size: 64
  - .agpr_count:     0
    .args:
      - .offset:         0
        .size:           144
        .value_kind:     by_value
    .group_segment_fixed_size: 0
    .kernarg_segment_align: 8
    .kernarg_segment_size: 144
    .language:       OpenCL C
    .language_version:
      - 2
      - 0
    .max_flat_workgroup_size: 256
    .name:           _ZN7rocprim17ROCPRIM_400000_NS6detail17trampoline_kernelINS0_14default_configENS1_29reduce_by_key_config_selectorIjyN6thrust23THRUST_200600_302600_NS4plusIyEEEEZZNS1_33reduce_by_key_impl_wrapped_configILNS1_25lookback_scan_determinismE0ES3_S9_NS6_6detail15normal_iteratorINS6_10device_ptrIjEEEENSD_INSE_IyEEEENS6_16discard_iteratorINS6_11use_defaultEEESI_PmS8_NS6_8equal_toIjEEEE10hipError_tPvRmT2_T3_mT4_T5_T6_T7_T8_P12ihipStream_tbENKUlT_T0_E_clISt17integral_constantIbLb0EES16_EEDaS11_S12_EUlS11_E_NS1_11comp_targetILNS1_3genE0ELNS1_11target_archE4294967295ELNS1_3gpuE0ELNS1_3repE0EEENS1_30default_config_static_selectorELNS0_4arch9wavefront6targetE1EEEvT1_
    .private_segment_fixed_size: 0
    .sgpr_count:     4
    .sgpr_spill_count: 0
    .symbol:         _ZN7rocprim17ROCPRIM_400000_NS6detail17trampoline_kernelINS0_14default_configENS1_29reduce_by_key_config_selectorIjyN6thrust23THRUST_200600_302600_NS4plusIyEEEEZZNS1_33reduce_by_key_impl_wrapped_configILNS1_25lookback_scan_determinismE0ES3_S9_NS6_6detail15normal_iteratorINS6_10device_ptrIjEEEENSD_INSE_IyEEEENS6_16discard_iteratorINS6_11use_defaultEEESI_PmS8_NS6_8equal_toIjEEEE10hipError_tPvRmT2_T3_mT4_T5_T6_T7_T8_P12ihipStream_tbENKUlT_T0_E_clISt17integral_constantIbLb0EES16_EEDaS11_S12_EUlS11_E_NS1_11comp_targetILNS1_3genE0ELNS1_11target_archE4294967295ELNS1_3gpuE0ELNS1_3repE0EEENS1_30default_config_static_selectorELNS0_4arch9wavefront6targetE1EEEvT1_.kd
    .uniform_work_group_size: 1
    .uses_dynamic_stack: false
    .vgpr_count:     0
    .vgpr_spill_count: 0
    .wavefront_size: 64
  - .agpr_count:     0
    .args:
      - .offset:         0
        .size:           144
        .value_kind:     by_value
    .group_segment_fixed_size: 0
    .kernarg_segment_align: 8
    .kernarg_segment_size: 144
    .language:       OpenCL C
    .language_version:
      - 2
      - 0
    .max_flat_workgroup_size: 256
    .name:           _ZN7rocprim17ROCPRIM_400000_NS6detail17trampoline_kernelINS0_14default_configENS1_29reduce_by_key_config_selectorIjyN6thrust23THRUST_200600_302600_NS4plusIyEEEEZZNS1_33reduce_by_key_impl_wrapped_configILNS1_25lookback_scan_determinismE0ES3_S9_NS6_6detail15normal_iteratorINS6_10device_ptrIjEEEENSD_INSE_IyEEEENS6_16discard_iteratorINS6_11use_defaultEEESI_PmS8_NS6_8equal_toIjEEEE10hipError_tPvRmT2_T3_mT4_T5_T6_T7_T8_P12ihipStream_tbENKUlT_T0_E_clISt17integral_constantIbLb0EES16_EEDaS11_S12_EUlS11_E_NS1_11comp_targetILNS1_3genE5ELNS1_11target_archE942ELNS1_3gpuE9ELNS1_3repE0EEENS1_30default_config_static_selectorELNS0_4arch9wavefront6targetE1EEEvT1_
    .private_segment_fixed_size: 0
    .sgpr_count:     4
    .sgpr_spill_count: 0
    .symbol:         _ZN7rocprim17ROCPRIM_400000_NS6detail17trampoline_kernelINS0_14default_configENS1_29reduce_by_key_config_selectorIjyN6thrust23THRUST_200600_302600_NS4plusIyEEEEZZNS1_33reduce_by_key_impl_wrapped_configILNS1_25lookback_scan_determinismE0ES3_S9_NS6_6detail15normal_iteratorINS6_10device_ptrIjEEEENSD_INSE_IyEEEENS6_16discard_iteratorINS6_11use_defaultEEESI_PmS8_NS6_8equal_toIjEEEE10hipError_tPvRmT2_T3_mT4_T5_T6_T7_T8_P12ihipStream_tbENKUlT_T0_E_clISt17integral_constantIbLb0EES16_EEDaS11_S12_EUlS11_E_NS1_11comp_targetILNS1_3genE5ELNS1_11target_archE942ELNS1_3gpuE9ELNS1_3repE0EEENS1_30default_config_static_selectorELNS0_4arch9wavefront6targetE1EEEvT1_.kd
    .uniform_work_group_size: 1
    .uses_dynamic_stack: false
    .vgpr_count:     0
    .vgpr_spill_count: 0
    .wavefront_size: 64
  - .agpr_count:     0
    .args:
      - .offset:         0
        .size:           144
        .value_kind:     by_value
    .group_segment_fixed_size: 30720
    .kernarg_segment_align: 8
    .kernarg_segment_size: 144
    .language:       OpenCL C
    .language_version:
      - 2
      - 0
    .max_flat_workgroup_size: 256
    .name:           _ZN7rocprim17ROCPRIM_400000_NS6detail17trampoline_kernelINS0_14default_configENS1_29reduce_by_key_config_selectorIjyN6thrust23THRUST_200600_302600_NS4plusIyEEEEZZNS1_33reduce_by_key_impl_wrapped_configILNS1_25lookback_scan_determinismE0ES3_S9_NS6_6detail15normal_iteratorINS6_10device_ptrIjEEEENSD_INSE_IyEEEENS6_16discard_iteratorINS6_11use_defaultEEESI_PmS8_NS6_8equal_toIjEEEE10hipError_tPvRmT2_T3_mT4_T5_T6_T7_T8_P12ihipStream_tbENKUlT_T0_E_clISt17integral_constantIbLb0EES16_EEDaS11_S12_EUlS11_E_NS1_11comp_targetILNS1_3genE4ELNS1_11target_archE910ELNS1_3gpuE8ELNS1_3repE0EEENS1_30default_config_static_selectorELNS0_4arch9wavefront6targetE1EEEvT1_
    .private_segment_fixed_size: 0
    .sgpr_count:     67
    .sgpr_spill_count: 0
    .symbol:         _ZN7rocprim17ROCPRIM_400000_NS6detail17trampoline_kernelINS0_14default_configENS1_29reduce_by_key_config_selectorIjyN6thrust23THRUST_200600_302600_NS4plusIyEEEEZZNS1_33reduce_by_key_impl_wrapped_configILNS1_25lookback_scan_determinismE0ES3_S9_NS6_6detail15normal_iteratorINS6_10device_ptrIjEEEENSD_INSE_IyEEEENS6_16discard_iteratorINS6_11use_defaultEEESI_PmS8_NS6_8equal_toIjEEEE10hipError_tPvRmT2_T3_mT4_T5_T6_T7_T8_P12ihipStream_tbENKUlT_T0_E_clISt17integral_constantIbLb0EES16_EEDaS11_S12_EUlS11_E_NS1_11comp_targetILNS1_3genE4ELNS1_11target_archE910ELNS1_3gpuE8ELNS1_3repE0EEENS1_30default_config_static_selectorELNS0_4arch9wavefront6targetE1EEEvT1_.kd
    .uniform_work_group_size: 1
    .uses_dynamic_stack: false
    .vgpr_count:     102
    .vgpr_spill_count: 0
    .wavefront_size: 64
  - .agpr_count:     0
    .args:
      - .offset:         0
        .size:           144
        .value_kind:     by_value
    .group_segment_fixed_size: 0
    .kernarg_segment_align: 8
    .kernarg_segment_size: 144
    .language:       OpenCL C
    .language_version:
      - 2
      - 0
    .max_flat_workgroup_size: 256
    .name:           _ZN7rocprim17ROCPRIM_400000_NS6detail17trampoline_kernelINS0_14default_configENS1_29reduce_by_key_config_selectorIjyN6thrust23THRUST_200600_302600_NS4plusIyEEEEZZNS1_33reduce_by_key_impl_wrapped_configILNS1_25lookback_scan_determinismE0ES3_S9_NS6_6detail15normal_iteratorINS6_10device_ptrIjEEEENSD_INSE_IyEEEENS6_16discard_iteratorINS6_11use_defaultEEESI_PmS8_NS6_8equal_toIjEEEE10hipError_tPvRmT2_T3_mT4_T5_T6_T7_T8_P12ihipStream_tbENKUlT_T0_E_clISt17integral_constantIbLb0EES16_EEDaS11_S12_EUlS11_E_NS1_11comp_targetILNS1_3genE3ELNS1_11target_archE908ELNS1_3gpuE7ELNS1_3repE0EEENS1_30default_config_static_selectorELNS0_4arch9wavefront6targetE1EEEvT1_
    .private_segment_fixed_size: 0
    .sgpr_count:     4
    .sgpr_spill_count: 0
    .symbol:         _ZN7rocprim17ROCPRIM_400000_NS6detail17trampoline_kernelINS0_14default_configENS1_29reduce_by_key_config_selectorIjyN6thrust23THRUST_200600_302600_NS4plusIyEEEEZZNS1_33reduce_by_key_impl_wrapped_configILNS1_25lookback_scan_determinismE0ES3_S9_NS6_6detail15normal_iteratorINS6_10device_ptrIjEEEENSD_INSE_IyEEEENS6_16discard_iteratorINS6_11use_defaultEEESI_PmS8_NS6_8equal_toIjEEEE10hipError_tPvRmT2_T3_mT4_T5_T6_T7_T8_P12ihipStream_tbENKUlT_T0_E_clISt17integral_constantIbLb0EES16_EEDaS11_S12_EUlS11_E_NS1_11comp_targetILNS1_3genE3ELNS1_11target_archE908ELNS1_3gpuE7ELNS1_3repE0EEENS1_30default_config_static_selectorELNS0_4arch9wavefront6targetE1EEEvT1_.kd
    .uniform_work_group_size: 1
    .uses_dynamic_stack: false
    .vgpr_count:     0
    .vgpr_spill_count: 0
    .wavefront_size: 64
  - .agpr_count:     0
    .args:
      - .offset:         0
        .size:           144
        .value_kind:     by_value
    .group_segment_fixed_size: 0
    .kernarg_segment_align: 8
    .kernarg_segment_size: 144
    .language:       OpenCL C
    .language_version:
      - 2
      - 0
    .max_flat_workgroup_size: 256
    .name:           _ZN7rocprim17ROCPRIM_400000_NS6detail17trampoline_kernelINS0_14default_configENS1_29reduce_by_key_config_selectorIjyN6thrust23THRUST_200600_302600_NS4plusIyEEEEZZNS1_33reduce_by_key_impl_wrapped_configILNS1_25lookback_scan_determinismE0ES3_S9_NS6_6detail15normal_iteratorINS6_10device_ptrIjEEEENSD_INSE_IyEEEENS6_16discard_iteratorINS6_11use_defaultEEESI_PmS8_NS6_8equal_toIjEEEE10hipError_tPvRmT2_T3_mT4_T5_T6_T7_T8_P12ihipStream_tbENKUlT_T0_E_clISt17integral_constantIbLb0EES16_EEDaS11_S12_EUlS11_E_NS1_11comp_targetILNS1_3genE2ELNS1_11target_archE906ELNS1_3gpuE6ELNS1_3repE0EEENS1_30default_config_static_selectorELNS0_4arch9wavefront6targetE1EEEvT1_
    .private_segment_fixed_size: 0
    .sgpr_count:     4
    .sgpr_spill_count: 0
    .symbol:         _ZN7rocprim17ROCPRIM_400000_NS6detail17trampoline_kernelINS0_14default_configENS1_29reduce_by_key_config_selectorIjyN6thrust23THRUST_200600_302600_NS4plusIyEEEEZZNS1_33reduce_by_key_impl_wrapped_configILNS1_25lookback_scan_determinismE0ES3_S9_NS6_6detail15normal_iteratorINS6_10device_ptrIjEEEENSD_INSE_IyEEEENS6_16discard_iteratorINS6_11use_defaultEEESI_PmS8_NS6_8equal_toIjEEEE10hipError_tPvRmT2_T3_mT4_T5_T6_T7_T8_P12ihipStream_tbENKUlT_T0_E_clISt17integral_constantIbLb0EES16_EEDaS11_S12_EUlS11_E_NS1_11comp_targetILNS1_3genE2ELNS1_11target_archE906ELNS1_3gpuE6ELNS1_3repE0EEENS1_30default_config_static_selectorELNS0_4arch9wavefront6targetE1EEEvT1_.kd
    .uniform_work_group_size: 1
    .uses_dynamic_stack: false
    .vgpr_count:     0
    .vgpr_spill_count: 0
    .wavefront_size: 64
  - .agpr_count:     0
    .args:
      - .offset:         0
        .size:           144
        .value_kind:     by_value
    .group_segment_fixed_size: 0
    .kernarg_segment_align: 8
    .kernarg_segment_size: 144
    .language:       OpenCL C
    .language_version:
      - 2
      - 0
    .max_flat_workgroup_size: 256
    .name:           _ZN7rocprim17ROCPRIM_400000_NS6detail17trampoline_kernelINS0_14default_configENS1_29reduce_by_key_config_selectorIjyN6thrust23THRUST_200600_302600_NS4plusIyEEEEZZNS1_33reduce_by_key_impl_wrapped_configILNS1_25lookback_scan_determinismE0ES3_S9_NS6_6detail15normal_iteratorINS6_10device_ptrIjEEEENSD_INSE_IyEEEENS6_16discard_iteratorINS6_11use_defaultEEESI_PmS8_NS6_8equal_toIjEEEE10hipError_tPvRmT2_T3_mT4_T5_T6_T7_T8_P12ihipStream_tbENKUlT_T0_E_clISt17integral_constantIbLb0EES16_EEDaS11_S12_EUlS11_E_NS1_11comp_targetILNS1_3genE10ELNS1_11target_archE1201ELNS1_3gpuE5ELNS1_3repE0EEENS1_30default_config_static_selectorELNS0_4arch9wavefront6targetE1EEEvT1_
    .private_segment_fixed_size: 0
    .sgpr_count:     4
    .sgpr_spill_count: 0
    .symbol:         _ZN7rocprim17ROCPRIM_400000_NS6detail17trampoline_kernelINS0_14default_configENS1_29reduce_by_key_config_selectorIjyN6thrust23THRUST_200600_302600_NS4plusIyEEEEZZNS1_33reduce_by_key_impl_wrapped_configILNS1_25lookback_scan_determinismE0ES3_S9_NS6_6detail15normal_iteratorINS6_10device_ptrIjEEEENSD_INSE_IyEEEENS6_16discard_iteratorINS6_11use_defaultEEESI_PmS8_NS6_8equal_toIjEEEE10hipError_tPvRmT2_T3_mT4_T5_T6_T7_T8_P12ihipStream_tbENKUlT_T0_E_clISt17integral_constantIbLb0EES16_EEDaS11_S12_EUlS11_E_NS1_11comp_targetILNS1_3genE10ELNS1_11target_archE1201ELNS1_3gpuE5ELNS1_3repE0EEENS1_30default_config_static_selectorELNS0_4arch9wavefront6targetE1EEEvT1_.kd
    .uniform_work_group_size: 1
    .uses_dynamic_stack: false
    .vgpr_count:     0
    .vgpr_spill_count: 0
    .wavefront_size: 64
  - .agpr_count:     0
    .args:
      - .offset:         0
        .size:           144
        .value_kind:     by_value
    .group_segment_fixed_size: 0
    .kernarg_segment_align: 8
    .kernarg_segment_size: 144
    .language:       OpenCL C
    .language_version:
      - 2
      - 0
    .max_flat_workgroup_size: 256
    .name:           _ZN7rocprim17ROCPRIM_400000_NS6detail17trampoline_kernelINS0_14default_configENS1_29reduce_by_key_config_selectorIjyN6thrust23THRUST_200600_302600_NS4plusIyEEEEZZNS1_33reduce_by_key_impl_wrapped_configILNS1_25lookback_scan_determinismE0ES3_S9_NS6_6detail15normal_iteratorINS6_10device_ptrIjEEEENSD_INSE_IyEEEENS6_16discard_iteratorINS6_11use_defaultEEESI_PmS8_NS6_8equal_toIjEEEE10hipError_tPvRmT2_T3_mT4_T5_T6_T7_T8_P12ihipStream_tbENKUlT_T0_E_clISt17integral_constantIbLb0EES16_EEDaS11_S12_EUlS11_E_NS1_11comp_targetILNS1_3genE10ELNS1_11target_archE1200ELNS1_3gpuE4ELNS1_3repE0EEENS1_30default_config_static_selectorELNS0_4arch9wavefront6targetE1EEEvT1_
    .private_segment_fixed_size: 0
    .sgpr_count:     4
    .sgpr_spill_count: 0
    .symbol:         _ZN7rocprim17ROCPRIM_400000_NS6detail17trampoline_kernelINS0_14default_configENS1_29reduce_by_key_config_selectorIjyN6thrust23THRUST_200600_302600_NS4plusIyEEEEZZNS1_33reduce_by_key_impl_wrapped_configILNS1_25lookback_scan_determinismE0ES3_S9_NS6_6detail15normal_iteratorINS6_10device_ptrIjEEEENSD_INSE_IyEEEENS6_16discard_iteratorINS6_11use_defaultEEESI_PmS8_NS6_8equal_toIjEEEE10hipError_tPvRmT2_T3_mT4_T5_T6_T7_T8_P12ihipStream_tbENKUlT_T0_E_clISt17integral_constantIbLb0EES16_EEDaS11_S12_EUlS11_E_NS1_11comp_targetILNS1_3genE10ELNS1_11target_archE1200ELNS1_3gpuE4ELNS1_3repE0EEENS1_30default_config_static_selectorELNS0_4arch9wavefront6targetE1EEEvT1_.kd
    .uniform_work_group_size: 1
    .uses_dynamic_stack: false
    .vgpr_count:     0
    .vgpr_spill_count: 0
    .wavefront_size: 64
  - .agpr_count:     0
    .args:
      - .offset:         0
        .size:           144
        .value_kind:     by_value
    .group_segment_fixed_size: 0
    .kernarg_segment_align: 8
    .kernarg_segment_size: 144
    .language:       OpenCL C
    .language_version:
      - 2
      - 0
    .max_flat_workgroup_size: 256
    .name:           _ZN7rocprim17ROCPRIM_400000_NS6detail17trampoline_kernelINS0_14default_configENS1_29reduce_by_key_config_selectorIjyN6thrust23THRUST_200600_302600_NS4plusIyEEEEZZNS1_33reduce_by_key_impl_wrapped_configILNS1_25lookback_scan_determinismE0ES3_S9_NS6_6detail15normal_iteratorINS6_10device_ptrIjEEEENSD_INSE_IyEEEENS6_16discard_iteratorINS6_11use_defaultEEESI_PmS8_NS6_8equal_toIjEEEE10hipError_tPvRmT2_T3_mT4_T5_T6_T7_T8_P12ihipStream_tbENKUlT_T0_E_clISt17integral_constantIbLb0EES16_EEDaS11_S12_EUlS11_E_NS1_11comp_targetILNS1_3genE9ELNS1_11target_archE1100ELNS1_3gpuE3ELNS1_3repE0EEENS1_30default_config_static_selectorELNS0_4arch9wavefront6targetE1EEEvT1_
    .private_segment_fixed_size: 0
    .sgpr_count:     4
    .sgpr_spill_count: 0
    .symbol:         _ZN7rocprim17ROCPRIM_400000_NS6detail17trampoline_kernelINS0_14default_configENS1_29reduce_by_key_config_selectorIjyN6thrust23THRUST_200600_302600_NS4plusIyEEEEZZNS1_33reduce_by_key_impl_wrapped_configILNS1_25lookback_scan_determinismE0ES3_S9_NS6_6detail15normal_iteratorINS6_10device_ptrIjEEEENSD_INSE_IyEEEENS6_16discard_iteratorINS6_11use_defaultEEESI_PmS8_NS6_8equal_toIjEEEE10hipError_tPvRmT2_T3_mT4_T5_T6_T7_T8_P12ihipStream_tbENKUlT_T0_E_clISt17integral_constantIbLb0EES16_EEDaS11_S12_EUlS11_E_NS1_11comp_targetILNS1_3genE9ELNS1_11target_archE1100ELNS1_3gpuE3ELNS1_3repE0EEENS1_30default_config_static_selectorELNS0_4arch9wavefront6targetE1EEEvT1_.kd
    .uniform_work_group_size: 1
    .uses_dynamic_stack: false
    .vgpr_count:     0
    .vgpr_spill_count: 0
    .wavefront_size: 64
  - .agpr_count:     0
    .args:
      - .offset:         0
        .size:           144
        .value_kind:     by_value
    .group_segment_fixed_size: 0
    .kernarg_segment_align: 8
    .kernarg_segment_size: 144
    .language:       OpenCL C
    .language_version:
      - 2
      - 0
    .max_flat_workgroup_size: 256
    .name:           _ZN7rocprim17ROCPRIM_400000_NS6detail17trampoline_kernelINS0_14default_configENS1_29reduce_by_key_config_selectorIjyN6thrust23THRUST_200600_302600_NS4plusIyEEEEZZNS1_33reduce_by_key_impl_wrapped_configILNS1_25lookback_scan_determinismE0ES3_S9_NS6_6detail15normal_iteratorINS6_10device_ptrIjEEEENSD_INSE_IyEEEENS6_16discard_iteratorINS6_11use_defaultEEESI_PmS8_NS6_8equal_toIjEEEE10hipError_tPvRmT2_T3_mT4_T5_T6_T7_T8_P12ihipStream_tbENKUlT_T0_E_clISt17integral_constantIbLb0EES16_EEDaS11_S12_EUlS11_E_NS1_11comp_targetILNS1_3genE8ELNS1_11target_archE1030ELNS1_3gpuE2ELNS1_3repE0EEENS1_30default_config_static_selectorELNS0_4arch9wavefront6targetE1EEEvT1_
    .private_segment_fixed_size: 0
    .sgpr_count:     4
    .sgpr_spill_count: 0
    .symbol:         _ZN7rocprim17ROCPRIM_400000_NS6detail17trampoline_kernelINS0_14default_configENS1_29reduce_by_key_config_selectorIjyN6thrust23THRUST_200600_302600_NS4plusIyEEEEZZNS1_33reduce_by_key_impl_wrapped_configILNS1_25lookback_scan_determinismE0ES3_S9_NS6_6detail15normal_iteratorINS6_10device_ptrIjEEEENSD_INSE_IyEEEENS6_16discard_iteratorINS6_11use_defaultEEESI_PmS8_NS6_8equal_toIjEEEE10hipError_tPvRmT2_T3_mT4_T5_T6_T7_T8_P12ihipStream_tbENKUlT_T0_E_clISt17integral_constantIbLb0EES16_EEDaS11_S12_EUlS11_E_NS1_11comp_targetILNS1_3genE8ELNS1_11target_archE1030ELNS1_3gpuE2ELNS1_3repE0EEENS1_30default_config_static_selectorELNS0_4arch9wavefront6targetE1EEEvT1_.kd
    .uniform_work_group_size: 1
    .uses_dynamic_stack: false
    .vgpr_count:     0
    .vgpr_spill_count: 0
    .wavefront_size: 64
  - .agpr_count:     0
    .args:
      - .offset:         0
        .size:           144
        .value_kind:     by_value
    .group_segment_fixed_size: 0
    .kernarg_segment_align: 8
    .kernarg_segment_size: 144
    .language:       OpenCL C
    .language_version:
      - 2
      - 0
    .max_flat_workgroup_size: 256
    .name:           _ZN7rocprim17ROCPRIM_400000_NS6detail17trampoline_kernelINS0_14default_configENS1_29reduce_by_key_config_selectorIjyN6thrust23THRUST_200600_302600_NS4plusIyEEEEZZNS1_33reduce_by_key_impl_wrapped_configILNS1_25lookback_scan_determinismE0ES3_S9_NS6_6detail15normal_iteratorINS6_10device_ptrIjEEEENSD_INSE_IyEEEENS6_16discard_iteratorINS6_11use_defaultEEESI_PmS8_NS6_8equal_toIjEEEE10hipError_tPvRmT2_T3_mT4_T5_T6_T7_T8_P12ihipStream_tbENKUlT_T0_E_clISt17integral_constantIbLb1EES16_EEDaS11_S12_EUlS11_E_NS1_11comp_targetILNS1_3genE0ELNS1_11target_archE4294967295ELNS1_3gpuE0ELNS1_3repE0EEENS1_30default_config_static_selectorELNS0_4arch9wavefront6targetE1EEEvT1_
    .private_segment_fixed_size: 0
    .sgpr_count:     4
    .sgpr_spill_count: 0
    .symbol:         _ZN7rocprim17ROCPRIM_400000_NS6detail17trampoline_kernelINS0_14default_configENS1_29reduce_by_key_config_selectorIjyN6thrust23THRUST_200600_302600_NS4plusIyEEEEZZNS1_33reduce_by_key_impl_wrapped_configILNS1_25lookback_scan_determinismE0ES3_S9_NS6_6detail15normal_iteratorINS6_10device_ptrIjEEEENSD_INSE_IyEEEENS6_16discard_iteratorINS6_11use_defaultEEESI_PmS8_NS6_8equal_toIjEEEE10hipError_tPvRmT2_T3_mT4_T5_T6_T7_T8_P12ihipStream_tbENKUlT_T0_E_clISt17integral_constantIbLb1EES16_EEDaS11_S12_EUlS11_E_NS1_11comp_targetILNS1_3genE0ELNS1_11target_archE4294967295ELNS1_3gpuE0ELNS1_3repE0EEENS1_30default_config_static_selectorELNS0_4arch9wavefront6targetE1EEEvT1_.kd
    .uniform_work_group_size: 1
    .uses_dynamic_stack: false
    .vgpr_count:     0
    .vgpr_spill_count: 0
    .wavefront_size: 64
  - .agpr_count:     0
    .args:
      - .offset:         0
        .size:           144
        .value_kind:     by_value
    .group_segment_fixed_size: 0
    .kernarg_segment_align: 8
    .kernarg_segment_size: 144
    .language:       OpenCL C
    .language_version:
      - 2
      - 0
    .max_flat_workgroup_size: 256
    .name:           _ZN7rocprim17ROCPRIM_400000_NS6detail17trampoline_kernelINS0_14default_configENS1_29reduce_by_key_config_selectorIjyN6thrust23THRUST_200600_302600_NS4plusIyEEEEZZNS1_33reduce_by_key_impl_wrapped_configILNS1_25lookback_scan_determinismE0ES3_S9_NS6_6detail15normal_iteratorINS6_10device_ptrIjEEEENSD_INSE_IyEEEENS6_16discard_iteratorINS6_11use_defaultEEESI_PmS8_NS6_8equal_toIjEEEE10hipError_tPvRmT2_T3_mT4_T5_T6_T7_T8_P12ihipStream_tbENKUlT_T0_E_clISt17integral_constantIbLb1EES16_EEDaS11_S12_EUlS11_E_NS1_11comp_targetILNS1_3genE5ELNS1_11target_archE942ELNS1_3gpuE9ELNS1_3repE0EEENS1_30default_config_static_selectorELNS0_4arch9wavefront6targetE1EEEvT1_
    .private_segment_fixed_size: 0
    .sgpr_count:     4
    .sgpr_spill_count: 0
    .symbol:         _ZN7rocprim17ROCPRIM_400000_NS6detail17trampoline_kernelINS0_14default_configENS1_29reduce_by_key_config_selectorIjyN6thrust23THRUST_200600_302600_NS4plusIyEEEEZZNS1_33reduce_by_key_impl_wrapped_configILNS1_25lookback_scan_determinismE0ES3_S9_NS6_6detail15normal_iteratorINS6_10device_ptrIjEEEENSD_INSE_IyEEEENS6_16discard_iteratorINS6_11use_defaultEEESI_PmS8_NS6_8equal_toIjEEEE10hipError_tPvRmT2_T3_mT4_T5_T6_T7_T8_P12ihipStream_tbENKUlT_T0_E_clISt17integral_constantIbLb1EES16_EEDaS11_S12_EUlS11_E_NS1_11comp_targetILNS1_3genE5ELNS1_11target_archE942ELNS1_3gpuE9ELNS1_3repE0EEENS1_30default_config_static_selectorELNS0_4arch9wavefront6targetE1EEEvT1_.kd
    .uniform_work_group_size: 1
    .uses_dynamic_stack: false
    .vgpr_count:     0
    .vgpr_spill_count: 0
    .wavefront_size: 64
  - .agpr_count:     0
    .args:
      - .offset:         0
        .size:           144
        .value_kind:     by_value
    .group_segment_fixed_size: 30720
    .kernarg_segment_align: 8
    .kernarg_segment_size: 144
    .language:       OpenCL C
    .language_version:
      - 2
      - 0
    .max_flat_workgroup_size: 256
    .name:           _ZN7rocprim17ROCPRIM_400000_NS6detail17trampoline_kernelINS0_14default_configENS1_29reduce_by_key_config_selectorIjyN6thrust23THRUST_200600_302600_NS4plusIyEEEEZZNS1_33reduce_by_key_impl_wrapped_configILNS1_25lookback_scan_determinismE0ES3_S9_NS6_6detail15normal_iteratorINS6_10device_ptrIjEEEENSD_INSE_IyEEEENS6_16discard_iteratorINS6_11use_defaultEEESI_PmS8_NS6_8equal_toIjEEEE10hipError_tPvRmT2_T3_mT4_T5_T6_T7_T8_P12ihipStream_tbENKUlT_T0_E_clISt17integral_constantIbLb1EES16_EEDaS11_S12_EUlS11_E_NS1_11comp_targetILNS1_3genE4ELNS1_11target_archE910ELNS1_3gpuE8ELNS1_3repE0EEENS1_30default_config_static_selectorELNS0_4arch9wavefront6targetE1EEEvT1_
    .private_segment_fixed_size: 0
    .sgpr_count:     67
    .sgpr_spill_count: 0
    .symbol:         _ZN7rocprim17ROCPRIM_400000_NS6detail17trampoline_kernelINS0_14default_configENS1_29reduce_by_key_config_selectorIjyN6thrust23THRUST_200600_302600_NS4plusIyEEEEZZNS1_33reduce_by_key_impl_wrapped_configILNS1_25lookback_scan_determinismE0ES3_S9_NS6_6detail15normal_iteratorINS6_10device_ptrIjEEEENSD_INSE_IyEEEENS6_16discard_iteratorINS6_11use_defaultEEESI_PmS8_NS6_8equal_toIjEEEE10hipError_tPvRmT2_T3_mT4_T5_T6_T7_T8_P12ihipStream_tbENKUlT_T0_E_clISt17integral_constantIbLb1EES16_EEDaS11_S12_EUlS11_E_NS1_11comp_targetILNS1_3genE4ELNS1_11target_archE910ELNS1_3gpuE8ELNS1_3repE0EEENS1_30default_config_static_selectorELNS0_4arch9wavefront6targetE1EEEvT1_.kd
    .uniform_work_group_size: 1
    .uses_dynamic_stack: false
    .vgpr_count:     102
    .vgpr_spill_count: 0
    .wavefront_size: 64
  - .agpr_count:     0
    .args:
      - .offset:         0
        .size:           144
        .value_kind:     by_value
    .group_segment_fixed_size: 0
    .kernarg_segment_align: 8
    .kernarg_segment_size: 144
    .language:       OpenCL C
    .language_version:
      - 2
      - 0
    .max_flat_workgroup_size: 256
    .name:           _ZN7rocprim17ROCPRIM_400000_NS6detail17trampoline_kernelINS0_14default_configENS1_29reduce_by_key_config_selectorIjyN6thrust23THRUST_200600_302600_NS4plusIyEEEEZZNS1_33reduce_by_key_impl_wrapped_configILNS1_25lookback_scan_determinismE0ES3_S9_NS6_6detail15normal_iteratorINS6_10device_ptrIjEEEENSD_INSE_IyEEEENS6_16discard_iteratorINS6_11use_defaultEEESI_PmS8_NS6_8equal_toIjEEEE10hipError_tPvRmT2_T3_mT4_T5_T6_T7_T8_P12ihipStream_tbENKUlT_T0_E_clISt17integral_constantIbLb1EES16_EEDaS11_S12_EUlS11_E_NS1_11comp_targetILNS1_3genE3ELNS1_11target_archE908ELNS1_3gpuE7ELNS1_3repE0EEENS1_30default_config_static_selectorELNS0_4arch9wavefront6targetE1EEEvT1_
    .private_segment_fixed_size: 0
    .sgpr_count:     4
    .sgpr_spill_count: 0
    .symbol:         _ZN7rocprim17ROCPRIM_400000_NS6detail17trampoline_kernelINS0_14default_configENS1_29reduce_by_key_config_selectorIjyN6thrust23THRUST_200600_302600_NS4plusIyEEEEZZNS1_33reduce_by_key_impl_wrapped_configILNS1_25lookback_scan_determinismE0ES3_S9_NS6_6detail15normal_iteratorINS6_10device_ptrIjEEEENSD_INSE_IyEEEENS6_16discard_iteratorINS6_11use_defaultEEESI_PmS8_NS6_8equal_toIjEEEE10hipError_tPvRmT2_T3_mT4_T5_T6_T7_T8_P12ihipStream_tbENKUlT_T0_E_clISt17integral_constantIbLb1EES16_EEDaS11_S12_EUlS11_E_NS1_11comp_targetILNS1_3genE3ELNS1_11target_archE908ELNS1_3gpuE7ELNS1_3repE0EEENS1_30default_config_static_selectorELNS0_4arch9wavefront6targetE1EEEvT1_.kd
    .uniform_work_group_size: 1
    .uses_dynamic_stack: false
    .vgpr_count:     0
    .vgpr_spill_count: 0
    .wavefront_size: 64
  - .agpr_count:     0
    .args:
      - .offset:         0
        .size:           144
        .value_kind:     by_value
    .group_segment_fixed_size: 0
    .kernarg_segment_align: 8
    .kernarg_segment_size: 144
    .language:       OpenCL C
    .language_version:
      - 2
      - 0
    .max_flat_workgroup_size: 256
    .name:           _ZN7rocprim17ROCPRIM_400000_NS6detail17trampoline_kernelINS0_14default_configENS1_29reduce_by_key_config_selectorIjyN6thrust23THRUST_200600_302600_NS4plusIyEEEEZZNS1_33reduce_by_key_impl_wrapped_configILNS1_25lookback_scan_determinismE0ES3_S9_NS6_6detail15normal_iteratorINS6_10device_ptrIjEEEENSD_INSE_IyEEEENS6_16discard_iteratorINS6_11use_defaultEEESI_PmS8_NS6_8equal_toIjEEEE10hipError_tPvRmT2_T3_mT4_T5_T6_T7_T8_P12ihipStream_tbENKUlT_T0_E_clISt17integral_constantIbLb1EES16_EEDaS11_S12_EUlS11_E_NS1_11comp_targetILNS1_3genE2ELNS1_11target_archE906ELNS1_3gpuE6ELNS1_3repE0EEENS1_30default_config_static_selectorELNS0_4arch9wavefront6targetE1EEEvT1_
    .private_segment_fixed_size: 0
    .sgpr_count:     4
    .sgpr_spill_count: 0
    .symbol:         _ZN7rocprim17ROCPRIM_400000_NS6detail17trampoline_kernelINS0_14default_configENS1_29reduce_by_key_config_selectorIjyN6thrust23THRUST_200600_302600_NS4plusIyEEEEZZNS1_33reduce_by_key_impl_wrapped_configILNS1_25lookback_scan_determinismE0ES3_S9_NS6_6detail15normal_iteratorINS6_10device_ptrIjEEEENSD_INSE_IyEEEENS6_16discard_iteratorINS6_11use_defaultEEESI_PmS8_NS6_8equal_toIjEEEE10hipError_tPvRmT2_T3_mT4_T5_T6_T7_T8_P12ihipStream_tbENKUlT_T0_E_clISt17integral_constantIbLb1EES16_EEDaS11_S12_EUlS11_E_NS1_11comp_targetILNS1_3genE2ELNS1_11target_archE906ELNS1_3gpuE6ELNS1_3repE0EEENS1_30default_config_static_selectorELNS0_4arch9wavefront6targetE1EEEvT1_.kd
    .uniform_work_group_size: 1
    .uses_dynamic_stack: false
    .vgpr_count:     0
    .vgpr_spill_count: 0
    .wavefront_size: 64
  - .agpr_count:     0
    .args:
      - .offset:         0
        .size:           144
        .value_kind:     by_value
    .group_segment_fixed_size: 0
    .kernarg_segment_align: 8
    .kernarg_segment_size: 144
    .language:       OpenCL C
    .language_version:
      - 2
      - 0
    .max_flat_workgroup_size: 256
    .name:           _ZN7rocprim17ROCPRIM_400000_NS6detail17trampoline_kernelINS0_14default_configENS1_29reduce_by_key_config_selectorIjyN6thrust23THRUST_200600_302600_NS4plusIyEEEEZZNS1_33reduce_by_key_impl_wrapped_configILNS1_25lookback_scan_determinismE0ES3_S9_NS6_6detail15normal_iteratorINS6_10device_ptrIjEEEENSD_INSE_IyEEEENS6_16discard_iteratorINS6_11use_defaultEEESI_PmS8_NS6_8equal_toIjEEEE10hipError_tPvRmT2_T3_mT4_T5_T6_T7_T8_P12ihipStream_tbENKUlT_T0_E_clISt17integral_constantIbLb1EES16_EEDaS11_S12_EUlS11_E_NS1_11comp_targetILNS1_3genE10ELNS1_11target_archE1201ELNS1_3gpuE5ELNS1_3repE0EEENS1_30default_config_static_selectorELNS0_4arch9wavefront6targetE1EEEvT1_
    .private_segment_fixed_size: 0
    .sgpr_count:     4
    .sgpr_spill_count: 0
    .symbol:         _ZN7rocprim17ROCPRIM_400000_NS6detail17trampoline_kernelINS0_14default_configENS1_29reduce_by_key_config_selectorIjyN6thrust23THRUST_200600_302600_NS4plusIyEEEEZZNS1_33reduce_by_key_impl_wrapped_configILNS1_25lookback_scan_determinismE0ES3_S9_NS6_6detail15normal_iteratorINS6_10device_ptrIjEEEENSD_INSE_IyEEEENS6_16discard_iteratorINS6_11use_defaultEEESI_PmS8_NS6_8equal_toIjEEEE10hipError_tPvRmT2_T3_mT4_T5_T6_T7_T8_P12ihipStream_tbENKUlT_T0_E_clISt17integral_constantIbLb1EES16_EEDaS11_S12_EUlS11_E_NS1_11comp_targetILNS1_3genE10ELNS1_11target_archE1201ELNS1_3gpuE5ELNS1_3repE0EEENS1_30default_config_static_selectorELNS0_4arch9wavefront6targetE1EEEvT1_.kd
    .uniform_work_group_size: 1
    .uses_dynamic_stack: false
    .vgpr_count:     0
    .vgpr_spill_count: 0
    .wavefront_size: 64
  - .agpr_count:     0
    .args:
      - .offset:         0
        .size:           144
        .value_kind:     by_value
    .group_segment_fixed_size: 0
    .kernarg_segment_align: 8
    .kernarg_segment_size: 144
    .language:       OpenCL C
    .language_version:
      - 2
      - 0
    .max_flat_workgroup_size: 256
    .name:           _ZN7rocprim17ROCPRIM_400000_NS6detail17trampoline_kernelINS0_14default_configENS1_29reduce_by_key_config_selectorIjyN6thrust23THRUST_200600_302600_NS4plusIyEEEEZZNS1_33reduce_by_key_impl_wrapped_configILNS1_25lookback_scan_determinismE0ES3_S9_NS6_6detail15normal_iteratorINS6_10device_ptrIjEEEENSD_INSE_IyEEEENS6_16discard_iteratorINS6_11use_defaultEEESI_PmS8_NS6_8equal_toIjEEEE10hipError_tPvRmT2_T3_mT4_T5_T6_T7_T8_P12ihipStream_tbENKUlT_T0_E_clISt17integral_constantIbLb1EES16_EEDaS11_S12_EUlS11_E_NS1_11comp_targetILNS1_3genE10ELNS1_11target_archE1200ELNS1_3gpuE4ELNS1_3repE0EEENS1_30default_config_static_selectorELNS0_4arch9wavefront6targetE1EEEvT1_
    .private_segment_fixed_size: 0
    .sgpr_count:     4
    .sgpr_spill_count: 0
    .symbol:         _ZN7rocprim17ROCPRIM_400000_NS6detail17trampoline_kernelINS0_14default_configENS1_29reduce_by_key_config_selectorIjyN6thrust23THRUST_200600_302600_NS4plusIyEEEEZZNS1_33reduce_by_key_impl_wrapped_configILNS1_25lookback_scan_determinismE0ES3_S9_NS6_6detail15normal_iteratorINS6_10device_ptrIjEEEENSD_INSE_IyEEEENS6_16discard_iteratorINS6_11use_defaultEEESI_PmS8_NS6_8equal_toIjEEEE10hipError_tPvRmT2_T3_mT4_T5_T6_T7_T8_P12ihipStream_tbENKUlT_T0_E_clISt17integral_constantIbLb1EES16_EEDaS11_S12_EUlS11_E_NS1_11comp_targetILNS1_3genE10ELNS1_11target_archE1200ELNS1_3gpuE4ELNS1_3repE0EEENS1_30default_config_static_selectorELNS0_4arch9wavefront6targetE1EEEvT1_.kd
    .uniform_work_group_size: 1
    .uses_dynamic_stack: false
    .vgpr_count:     0
    .vgpr_spill_count: 0
    .wavefront_size: 64
  - .agpr_count:     0
    .args:
      - .offset:         0
        .size:           144
        .value_kind:     by_value
    .group_segment_fixed_size: 0
    .kernarg_segment_align: 8
    .kernarg_segment_size: 144
    .language:       OpenCL C
    .language_version:
      - 2
      - 0
    .max_flat_workgroup_size: 256
    .name:           _ZN7rocprim17ROCPRIM_400000_NS6detail17trampoline_kernelINS0_14default_configENS1_29reduce_by_key_config_selectorIjyN6thrust23THRUST_200600_302600_NS4plusIyEEEEZZNS1_33reduce_by_key_impl_wrapped_configILNS1_25lookback_scan_determinismE0ES3_S9_NS6_6detail15normal_iteratorINS6_10device_ptrIjEEEENSD_INSE_IyEEEENS6_16discard_iteratorINS6_11use_defaultEEESI_PmS8_NS6_8equal_toIjEEEE10hipError_tPvRmT2_T3_mT4_T5_T6_T7_T8_P12ihipStream_tbENKUlT_T0_E_clISt17integral_constantIbLb1EES16_EEDaS11_S12_EUlS11_E_NS1_11comp_targetILNS1_3genE9ELNS1_11target_archE1100ELNS1_3gpuE3ELNS1_3repE0EEENS1_30default_config_static_selectorELNS0_4arch9wavefront6targetE1EEEvT1_
    .private_segment_fixed_size: 0
    .sgpr_count:     4
    .sgpr_spill_count: 0
    .symbol:         _ZN7rocprim17ROCPRIM_400000_NS6detail17trampoline_kernelINS0_14default_configENS1_29reduce_by_key_config_selectorIjyN6thrust23THRUST_200600_302600_NS4plusIyEEEEZZNS1_33reduce_by_key_impl_wrapped_configILNS1_25lookback_scan_determinismE0ES3_S9_NS6_6detail15normal_iteratorINS6_10device_ptrIjEEEENSD_INSE_IyEEEENS6_16discard_iteratorINS6_11use_defaultEEESI_PmS8_NS6_8equal_toIjEEEE10hipError_tPvRmT2_T3_mT4_T5_T6_T7_T8_P12ihipStream_tbENKUlT_T0_E_clISt17integral_constantIbLb1EES16_EEDaS11_S12_EUlS11_E_NS1_11comp_targetILNS1_3genE9ELNS1_11target_archE1100ELNS1_3gpuE3ELNS1_3repE0EEENS1_30default_config_static_selectorELNS0_4arch9wavefront6targetE1EEEvT1_.kd
    .uniform_work_group_size: 1
    .uses_dynamic_stack: false
    .vgpr_count:     0
    .vgpr_spill_count: 0
    .wavefront_size: 64
  - .agpr_count:     0
    .args:
      - .offset:         0
        .size:           144
        .value_kind:     by_value
    .group_segment_fixed_size: 0
    .kernarg_segment_align: 8
    .kernarg_segment_size: 144
    .language:       OpenCL C
    .language_version:
      - 2
      - 0
    .max_flat_workgroup_size: 256
    .name:           _ZN7rocprim17ROCPRIM_400000_NS6detail17trampoline_kernelINS0_14default_configENS1_29reduce_by_key_config_selectorIjyN6thrust23THRUST_200600_302600_NS4plusIyEEEEZZNS1_33reduce_by_key_impl_wrapped_configILNS1_25lookback_scan_determinismE0ES3_S9_NS6_6detail15normal_iteratorINS6_10device_ptrIjEEEENSD_INSE_IyEEEENS6_16discard_iteratorINS6_11use_defaultEEESI_PmS8_NS6_8equal_toIjEEEE10hipError_tPvRmT2_T3_mT4_T5_T6_T7_T8_P12ihipStream_tbENKUlT_T0_E_clISt17integral_constantIbLb1EES16_EEDaS11_S12_EUlS11_E_NS1_11comp_targetILNS1_3genE8ELNS1_11target_archE1030ELNS1_3gpuE2ELNS1_3repE0EEENS1_30default_config_static_selectorELNS0_4arch9wavefront6targetE1EEEvT1_
    .private_segment_fixed_size: 0
    .sgpr_count:     4
    .sgpr_spill_count: 0
    .symbol:         _ZN7rocprim17ROCPRIM_400000_NS6detail17trampoline_kernelINS0_14default_configENS1_29reduce_by_key_config_selectorIjyN6thrust23THRUST_200600_302600_NS4plusIyEEEEZZNS1_33reduce_by_key_impl_wrapped_configILNS1_25lookback_scan_determinismE0ES3_S9_NS6_6detail15normal_iteratorINS6_10device_ptrIjEEEENSD_INSE_IyEEEENS6_16discard_iteratorINS6_11use_defaultEEESI_PmS8_NS6_8equal_toIjEEEE10hipError_tPvRmT2_T3_mT4_T5_T6_T7_T8_P12ihipStream_tbENKUlT_T0_E_clISt17integral_constantIbLb1EES16_EEDaS11_S12_EUlS11_E_NS1_11comp_targetILNS1_3genE8ELNS1_11target_archE1030ELNS1_3gpuE2ELNS1_3repE0EEENS1_30default_config_static_selectorELNS0_4arch9wavefront6targetE1EEEvT1_.kd
    .uniform_work_group_size: 1
    .uses_dynamic_stack: false
    .vgpr_count:     0
    .vgpr_spill_count: 0
    .wavefront_size: 64
  - .agpr_count:     0
    .args:
      - .offset:         0
        .size:           144
        .value_kind:     by_value
    .group_segment_fixed_size: 0
    .kernarg_segment_align: 8
    .kernarg_segment_size: 144
    .language:       OpenCL C
    .language_version:
      - 2
      - 0
    .max_flat_workgroup_size: 256
    .name:           _ZN7rocprim17ROCPRIM_400000_NS6detail17trampoline_kernelINS0_14default_configENS1_29reduce_by_key_config_selectorIjyN6thrust23THRUST_200600_302600_NS4plusIyEEEEZZNS1_33reduce_by_key_impl_wrapped_configILNS1_25lookback_scan_determinismE0ES3_S9_NS6_6detail15normal_iteratorINS6_10device_ptrIjEEEENSD_INSE_IyEEEENS6_16discard_iteratorINS6_11use_defaultEEESI_PmS8_NS6_8equal_toIjEEEE10hipError_tPvRmT2_T3_mT4_T5_T6_T7_T8_P12ihipStream_tbENKUlT_T0_E_clISt17integral_constantIbLb1EES15_IbLb0EEEEDaS11_S12_EUlS11_E_NS1_11comp_targetILNS1_3genE0ELNS1_11target_archE4294967295ELNS1_3gpuE0ELNS1_3repE0EEENS1_30default_config_static_selectorELNS0_4arch9wavefront6targetE1EEEvT1_
    .private_segment_fixed_size: 0
    .sgpr_count:     4
    .sgpr_spill_count: 0
    .symbol:         _ZN7rocprim17ROCPRIM_400000_NS6detail17trampoline_kernelINS0_14default_configENS1_29reduce_by_key_config_selectorIjyN6thrust23THRUST_200600_302600_NS4plusIyEEEEZZNS1_33reduce_by_key_impl_wrapped_configILNS1_25lookback_scan_determinismE0ES3_S9_NS6_6detail15normal_iteratorINS6_10device_ptrIjEEEENSD_INSE_IyEEEENS6_16discard_iteratorINS6_11use_defaultEEESI_PmS8_NS6_8equal_toIjEEEE10hipError_tPvRmT2_T3_mT4_T5_T6_T7_T8_P12ihipStream_tbENKUlT_T0_E_clISt17integral_constantIbLb1EES15_IbLb0EEEEDaS11_S12_EUlS11_E_NS1_11comp_targetILNS1_3genE0ELNS1_11target_archE4294967295ELNS1_3gpuE0ELNS1_3repE0EEENS1_30default_config_static_selectorELNS0_4arch9wavefront6targetE1EEEvT1_.kd
    .uniform_work_group_size: 1
    .uses_dynamic_stack: false
    .vgpr_count:     0
    .vgpr_spill_count: 0
    .wavefront_size: 64
  - .agpr_count:     0
    .args:
      - .offset:         0
        .size:           144
        .value_kind:     by_value
    .group_segment_fixed_size: 0
    .kernarg_segment_align: 8
    .kernarg_segment_size: 144
    .language:       OpenCL C
    .language_version:
      - 2
      - 0
    .max_flat_workgroup_size: 256
    .name:           _ZN7rocprim17ROCPRIM_400000_NS6detail17trampoline_kernelINS0_14default_configENS1_29reduce_by_key_config_selectorIjyN6thrust23THRUST_200600_302600_NS4plusIyEEEEZZNS1_33reduce_by_key_impl_wrapped_configILNS1_25lookback_scan_determinismE0ES3_S9_NS6_6detail15normal_iteratorINS6_10device_ptrIjEEEENSD_INSE_IyEEEENS6_16discard_iteratorINS6_11use_defaultEEESI_PmS8_NS6_8equal_toIjEEEE10hipError_tPvRmT2_T3_mT4_T5_T6_T7_T8_P12ihipStream_tbENKUlT_T0_E_clISt17integral_constantIbLb1EES15_IbLb0EEEEDaS11_S12_EUlS11_E_NS1_11comp_targetILNS1_3genE5ELNS1_11target_archE942ELNS1_3gpuE9ELNS1_3repE0EEENS1_30default_config_static_selectorELNS0_4arch9wavefront6targetE1EEEvT1_
    .private_segment_fixed_size: 0
    .sgpr_count:     4
    .sgpr_spill_count: 0
    .symbol:         _ZN7rocprim17ROCPRIM_400000_NS6detail17trampoline_kernelINS0_14default_configENS1_29reduce_by_key_config_selectorIjyN6thrust23THRUST_200600_302600_NS4plusIyEEEEZZNS1_33reduce_by_key_impl_wrapped_configILNS1_25lookback_scan_determinismE0ES3_S9_NS6_6detail15normal_iteratorINS6_10device_ptrIjEEEENSD_INSE_IyEEEENS6_16discard_iteratorINS6_11use_defaultEEESI_PmS8_NS6_8equal_toIjEEEE10hipError_tPvRmT2_T3_mT4_T5_T6_T7_T8_P12ihipStream_tbENKUlT_T0_E_clISt17integral_constantIbLb1EES15_IbLb0EEEEDaS11_S12_EUlS11_E_NS1_11comp_targetILNS1_3genE5ELNS1_11target_archE942ELNS1_3gpuE9ELNS1_3repE0EEENS1_30default_config_static_selectorELNS0_4arch9wavefront6targetE1EEEvT1_.kd
    .uniform_work_group_size: 1
    .uses_dynamic_stack: false
    .vgpr_count:     0
    .vgpr_spill_count: 0
    .wavefront_size: 64
  - .agpr_count:     0
    .args:
      - .offset:         0
        .size:           144
        .value_kind:     by_value
    .group_segment_fixed_size: 30720
    .kernarg_segment_align: 8
    .kernarg_segment_size: 144
    .language:       OpenCL C
    .language_version:
      - 2
      - 0
    .max_flat_workgroup_size: 256
    .name:           _ZN7rocprim17ROCPRIM_400000_NS6detail17trampoline_kernelINS0_14default_configENS1_29reduce_by_key_config_selectorIjyN6thrust23THRUST_200600_302600_NS4plusIyEEEEZZNS1_33reduce_by_key_impl_wrapped_configILNS1_25lookback_scan_determinismE0ES3_S9_NS6_6detail15normal_iteratorINS6_10device_ptrIjEEEENSD_INSE_IyEEEENS6_16discard_iteratorINS6_11use_defaultEEESI_PmS8_NS6_8equal_toIjEEEE10hipError_tPvRmT2_T3_mT4_T5_T6_T7_T8_P12ihipStream_tbENKUlT_T0_E_clISt17integral_constantIbLb1EES15_IbLb0EEEEDaS11_S12_EUlS11_E_NS1_11comp_targetILNS1_3genE4ELNS1_11target_archE910ELNS1_3gpuE8ELNS1_3repE0EEENS1_30default_config_static_selectorELNS0_4arch9wavefront6targetE1EEEvT1_
    .private_segment_fixed_size: 0
    .sgpr_count:     67
    .sgpr_spill_count: 0
    .symbol:         _ZN7rocprim17ROCPRIM_400000_NS6detail17trampoline_kernelINS0_14default_configENS1_29reduce_by_key_config_selectorIjyN6thrust23THRUST_200600_302600_NS4plusIyEEEEZZNS1_33reduce_by_key_impl_wrapped_configILNS1_25lookback_scan_determinismE0ES3_S9_NS6_6detail15normal_iteratorINS6_10device_ptrIjEEEENSD_INSE_IyEEEENS6_16discard_iteratorINS6_11use_defaultEEESI_PmS8_NS6_8equal_toIjEEEE10hipError_tPvRmT2_T3_mT4_T5_T6_T7_T8_P12ihipStream_tbENKUlT_T0_E_clISt17integral_constantIbLb1EES15_IbLb0EEEEDaS11_S12_EUlS11_E_NS1_11comp_targetILNS1_3genE4ELNS1_11target_archE910ELNS1_3gpuE8ELNS1_3repE0EEENS1_30default_config_static_selectorELNS0_4arch9wavefront6targetE1EEEvT1_.kd
    .uniform_work_group_size: 1
    .uses_dynamic_stack: false
    .vgpr_count:     102
    .vgpr_spill_count: 0
    .wavefront_size: 64
  - .agpr_count:     0
    .args:
      - .offset:         0
        .size:           144
        .value_kind:     by_value
    .group_segment_fixed_size: 0
    .kernarg_segment_align: 8
    .kernarg_segment_size: 144
    .language:       OpenCL C
    .language_version:
      - 2
      - 0
    .max_flat_workgroup_size: 256
    .name:           _ZN7rocprim17ROCPRIM_400000_NS6detail17trampoline_kernelINS0_14default_configENS1_29reduce_by_key_config_selectorIjyN6thrust23THRUST_200600_302600_NS4plusIyEEEEZZNS1_33reduce_by_key_impl_wrapped_configILNS1_25lookback_scan_determinismE0ES3_S9_NS6_6detail15normal_iteratorINS6_10device_ptrIjEEEENSD_INSE_IyEEEENS6_16discard_iteratorINS6_11use_defaultEEESI_PmS8_NS6_8equal_toIjEEEE10hipError_tPvRmT2_T3_mT4_T5_T6_T7_T8_P12ihipStream_tbENKUlT_T0_E_clISt17integral_constantIbLb1EES15_IbLb0EEEEDaS11_S12_EUlS11_E_NS1_11comp_targetILNS1_3genE3ELNS1_11target_archE908ELNS1_3gpuE7ELNS1_3repE0EEENS1_30default_config_static_selectorELNS0_4arch9wavefront6targetE1EEEvT1_
    .private_segment_fixed_size: 0
    .sgpr_count:     4
    .sgpr_spill_count: 0
    .symbol:         _ZN7rocprim17ROCPRIM_400000_NS6detail17trampoline_kernelINS0_14default_configENS1_29reduce_by_key_config_selectorIjyN6thrust23THRUST_200600_302600_NS4plusIyEEEEZZNS1_33reduce_by_key_impl_wrapped_configILNS1_25lookback_scan_determinismE0ES3_S9_NS6_6detail15normal_iteratorINS6_10device_ptrIjEEEENSD_INSE_IyEEEENS6_16discard_iteratorINS6_11use_defaultEEESI_PmS8_NS6_8equal_toIjEEEE10hipError_tPvRmT2_T3_mT4_T5_T6_T7_T8_P12ihipStream_tbENKUlT_T0_E_clISt17integral_constantIbLb1EES15_IbLb0EEEEDaS11_S12_EUlS11_E_NS1_11comp_targetILNS1_3genE3ELNS1_11target_archE908ELNS1_3gpuE7ELNS1_3repE0EEENS1_30default_config_static_selectorELNS0_4arch9wavefront6targetE1EEEvT1_.kd
    .uniform_work_group_size: 1
    .uses_dynamic_stack: false
    .vgpr_count:     0
    .vgpr_spill_count: 0
    .wavefront_size: 64
  - .agpr_count:     0
    .args:
      - .offset:         0
        .size:           144
        .value_kind:     by_value
    .group_segment_fixed_size: 0
    .kernarg_segment_align: 8
    .kernarg_segment_size: 144
    .language:       OpenCL C
    .language_version:
      - 2
      - 0
    .max_flat_workgroup_size: 256
    .name:           _ZN7rocprim17ROCPRIM_400000_NS6detail17trampoline_kernelINS0_14default_configENS1_29reduce_by_key_config_selectorIjyN6thrust23THRUST_200600_302600_NS4plusIyEEEEZZNS1_33reduce_by_key_impl_wrapped_configILNS1_25lookback_scan_determinismE0ES3_S9_NS6_6detail15normal_iteratorINS6_10device_ptrIjEEEENSD_INSE_IyEEEENS6_16discard_iteratorINS6_11use_defaultEEESI_PmS8_NS6_8equal_toIjEEEE10hipError_tPvRmT2_T3_mT4_T5_T6_T7_T8_P12ihipStream_tbENKUlT_T0_E_clISt17integral_constantIbLb1EES15_IbLb0EEEEDaS11_S12_EUlS11_E_NS1_11comp_targetILNS1_3genE2ELNS1_11target_archE906ELNS1_3gpuE6ELNS1_3repE0EEENS1_30default_config_static_selectorELNS0_4arch9wavefront6targetE1EEEvT1_
    .private_segment_fixed_size: 0
    .sgpr_count:     4
    .sgpr_spill_count: 0
    .symbol:         _ZN7rocprim17ROCPRIM_400000_NS6detail17trampoline_kernelINS0_14default_configENS1_29reduce_by_key_config_selectorIjyN6thrust23THRUST_200600_302600_NS4plusIyEEEEZZNS1_33reduce_by_key_impl_wrapped_configILNS1_25lookback_scan_determinismE0ES3_S9_NS6_6detail15normal_iteratorINS6_10device_ptrIjEEEENSD_INSE_IyEEEENS6_16discard_iteratorINS6_11use_defaultEEESI_PmS8_NS6_8equal_toIjEEEE10hipError_tPvRmT2_T3_mT4_T5_T6_T7_T8_P12ihipStream_tbENKUlT_T0_E_clISt17integral_constantIbLb1EES15_IbLb0EEEEDaS11_S12_EUlS11_E_NS1_11comp_targetILNS1_3genE2ELNS1_11target_archE906ELNS1_3gpuE6ELNS1_3repE0EEENS1_30default_config_static_selectorELNS0_4arch9wavefront6targetE1EEEvT1_.kd
    .uniform_work_group_size: 1
    .uses_dynamic_stack: false
    .vgpr_count:     0
    .vgpr_spill_count: 0
    .wavefront_size: 64
  - .agpr_count:     0
    .args:
      - .offset:         0
        .size:           144
        .value_kind:     by_value
    .group_segment_fixed_size: 0
    .kernarg_segment_align: 8
    .kernarg_segment_size: 144
    .language:       OpenCL C
    .language_version:
      - 2
      - 0
    .max_flat_workgroup_size: 256
    .name:           _ZN7rocprim17ROCPRIM_400000_NS6detail17trampoline_kernelINS0_14default_configENS1_29reduce_by_key_config_selectorIjyN6thrust23THRUST_200600_302600_NS4plusIyEEEEZZNS1_33reduce_by_key_impl_wrapped_configILNS1_25lookback_scan_determinismE0ES3_S9_NS6_6detail15normal_iteratorINS6_10device_ptrIjEEEENSD_INSE_IyEEEENS6_16discard_iteratorINS6_11use_defaultEEESI_PmS8_NS6_8equal_toIjEEEE10hipError_tPvRmT2_T3_mT4_T5_T6_T7_T8_P12ihipStream_tbENKUlT_T0_E_clISt17integral_constantIbLb1EES15_IbLb0EEEEDaS11_S12_EUlS11_E_NS1_11comp_targetILNS1_3genE10ELNS1_11target_archE1201ELNS1_3gpuE5ELNS1_3repE0EEENS1_30default_config_static_selectorELNS0_4arch9wavefront6targetE1EEEvT1_
    .private_segment_fixed_size: 0
    .sgpr_count:     4
    .sgpr_spill_count: 0
    .symbol:         _ZN7rocprim17ROCPRIM_400000_NS6detail17trampoline_kernelINS0_14default_configENS1_29reduce_by_key_config_selectorIjyN6thrust23THRUST_200600_302600_NS4plusIyEEEEZZNS1_33reduce_by_key_impl_wrapped_configILNS1_25lookback_scan_determinismE0ES3_S9_NS6_6detail15normal_iteratorINS6_10device_ptrIjEEEENSD_INSE_IyEEEENS6_16discard_iteratorINS6_11use_defaultEEESI_PmS8_NS6_8equal_toIjEEEE10hipError_tPvRmT2_T3_mT4_T5_T6_T7_T8_P12ihipStream_tbENKUlT_T0_E_clISt17integral_constantIbLb1EES15_IbLb0EEEEDaS11_S12_EUlS11_E_NS1_11comp_targetILNS1_3genE10ELNS1_11target_archE1201ELNS1_3gpuE5ELNS1_3repE0EEENS1_30default_config_static_selectorELNS0_4arch9wavefront6targetE1EEEvT1_.kd
    .uniform_work_group_size: 1
    .uses_dynamic_stack: false
    .vgpr_count:     0
    .vgpr_spill_count: 0
    .wavefront_size: 64
  - .agpr_count:     0
    .args:
      - .offset:         0
        .size:           144
        .value_kind:     by_value
    .group_segment_fixed_size: 0
    .kernarg_segment_align: 8
    .kernarg_segment_size: 144
    .language:       OpenCL C
    .language_version:
      - 2
      - 0
    .max_flat_workgroup_size: 256
    .name:           _ZN7rocprim17ROCPRIM_400000_NS6detail17trampoline_kernelINS0_14default_configENS1_29reduce_by_key_config_selectorIjyN6thrust23THRUST_200600_302600_NS4plusIyEEEEZZNS1_33reduce_by_key_impl_wrapped_configILNS1_25lookback_scan_determinismE0ES3_S9_NS6_6detail15normal_iteratorINS6_10device_ptrIjEEEENSD_INSE_IyEEEENS6_16discard_iteratorINS6_11use_defaultEEESI_PmS8_NS6_8equal_toIjEEEE10hipError_tPvRmT2_T3_mT4_T5_T6_T7_T8_P12ihipStream_tbENKUlT_T0_E_clISt17integral_constantIbLb1EES15_IbLb0EEEEDaS11_S12_EUlS11_E_NS1_11comp_targetILNS1_3genE10ELNS1_11target_archE1200ELNS1_3gpuE4ELNS1_3repE0EEENS1_30default_config_static_selectorELNS0_4arch9wavefront6targetE1EEEvT1_
    .private_segment_fixed_size: 0
    .sgpr_count:     4
    .sgpr_spill_count: 0
    .symbol:         _ZN7rocprim17ROCPRIM_400000_NS6detail17trampoline_kernelINS0_14default_configENS1_29reduce_by_key_config_selectorIjyN6thrust23THRUST_200600_302600_NS4plusIyEEEEZZNS1_33reduce_by_key_impl_wrapped_configILNS1_25lookback_scan_determinismE0ES3_S9_NS6_6detail15normal_iteratorINS6_10device_ptrIjEEEENSD_INSE_IyEEEENS6_16discard_iteratorINS6_11use_defaultEEESI_PmS8_NS6_8equal_toIjEEEE10hipError_tPvRmT2_T3_mT4_T5_T6_T7_T8_P12ihipStream_tbENKUlT_T0_E_clISt17integral_constantIbLb1EES15_IbLb0EEEEDaS11_S12_EUlS11_E_NS1_11comp_targetILNS1_3genE10ELNS1_11target_archE1200ELNS1_3gpuE4ELNS1_3repE0EEENS1_30default_config_static_selectorELNS0_4arch9wavefront6targetE1EEEvT1_.kd
    .uniform_work_group_size: 1
    .uses_dynamic_stack: false
    .vgpr_count:     0
    .vgpr_spill_count: 0
    .wavefront_size: 64
  - .agpr_count:     0
    .args:
      - .offset:         0
        .size:           144
        .value_kind:     by_value
    .group_segment_fixed_size: 0
    .kernarg_segment_align: 8
    .kernarg_segment_size: 144
    .language:       OpenCL C
    .language_version:
      - 2
      - 0
    .max_flat_workgroup_size: 256
    .name:           _ZN7rocprim17ROCPRIM_400000_NS6detail17trampoline_kernelINS0_14default_configENS1_29reduce_by_key_config_selectorIjyN6thrust23THRUST_200600_302600_NS4plusIyEEEEZZNS1_33reduce_by_key_impl_wrapped_configILNS1_25lookback_scan_determinismE0ES3_S9_NS6_6detail15normal_iteratorINS6_10device_ptrIjEEEENSD_INSE_IyEEEENS6_16discard_iteratorINS6_11use_defaultEEESI_PmS8_NS6_8equal_toIjEEEE10hipError_tPvRmT2_T3_mT4_T5_T6_T7_T8_P12ihipStream_tbENKUlT_T0_E_clISt17integral_constantIbLb1EES15_IbLb0EEEEDaS11_S12_EUlS11_E_NS1_11comp_targetILNS1_3genE9ELNS1_11target_archE1100ELNS1_3gpuE3ELNS1_3repE0EEENS1_30default_config_static_selectorELNS0_4arch9wavefront6targetE1EEEvT1_
    .private_segment_fixed_size: 0
    .sgpr_count:     4
    .sgpr_spill_count: 0
    .symbol:         _ZN7rocprim17ROCPRIM_400000_NS6detail17trampoline_kernelINS0_14default_configENS1_29reduce_by_key_config_selectorIjyN6thrust23THRUST_200600_302600_NS4plusIyEEEEZZNS1_33reduce_by_key_impl_wrapped_configILNS1_25lookback_scan_determinismE0ES3_S9_NS6_6detail15normal_iteratorINS6_10device_ptrIjEEEENSD_INSE_IyEEEENS6_16discard_iteratorINS6_11use_defaultEEESI_PmS8_NS6_8equal_toIjEEEE10hipError_tPvRmT2_T3_mT4_T5_T6_T7_T8_P12ihipStream_tbENKUlT_T0_E_clISt17integral_constantIbLb1EES15_IbLb0EEEEDaS11_S12_EUlS11_E_NS1_11comp_targetILNS1_3genE9ELNS1_11target_archE1100ELNS1_3gpuE3ELNS1_3repE0EEENS1_30default_config_static_selectorELNS0_4arch9wavefront6targetE1EEEvT1_.kd
    .uniform_work_group_size: 1
    .uses_dynamic_stack: false
    .vgpr_count:     0
    .vgpr_spill_count: 0
    .wavefront_size: 64
  - .agpr_count:     0
    .args:
      - .offset:         0
        .size:           144
        .value_kind:     by_value
    .group_segment_fixed_size: 0
    .kernarg_segment_align: 8
    .kernarg_segment_size: 144
    .language:       OpenCL C
    .language_version:
      - 2
      - 0
    .max_flat_workgroup_size: 256
    .name:           _ZN7rocprim17ROCPRIM_400000_NS6detail17trampoline_kernelINS0_14default_configENS1_29reduce_by_key_config_selectorIjyN6thrust23THRUST_200600_302600_NS4plusIyEEEEZZNS1_33reduce_by_key_impl_wrapped_configILNS1_25lookback_scan_determinismE0ES3_S9_NS6_6detail15normal_iteratorINS6_10device_ptrIjEEEENSD_INSE_IyEEEENS6_16discard_iteratorINS6_11use_defaultEEESI_PmS8_NS6_8equal_toIjEEEE10hipError_tPvRmT2_T3_mT4_T5_T6_T7_T8_P12ihipStream_tbENKUlT_T0_E_clISt17integral_constantIbLb1EES15_IbLb0EEEEDaS11_S12_EUlS11_E_NS1_11comp_targetILNS1_3genE8ELNS1_11target_archE1030ELNS1_3gpuE2ELNS1_3repE0EEENS1_30default_config_static_selectorELNS0_4arch9wavefront6targetE1EEEvT1_
    .private_segment_fixed_size: 0
    .sgpr_count:     4
    .sgpr_spill_count: 0
    .symbol:         _ZN7rocprim17ROCPRIM_400000_NS6detail17trampoline_kernelINS0_14default_configENS1_29reduce_by_key_config_selectorIjyN6thrust23THRUST_200600_302600_NS4plusIyEEEEZZNS1_33reduce_by_key_impl_wrapped_configILNS1_25lookback_scan_determinismE0ES3_S9_NS6_6detail15normal_iteratorINS6_10device_ptrIjEEEENSD_INSE_IyEEEENS6_16discard_iteratorINS6_11use_defaultEEESI_PmS8_NS6_8equal_toIjEEEE10hipError_tPvRmT2_T3_mT4_T5_T6_T7_T8_P12ihipStream_tbENKUlT_T0_E_clISt17integral_constantIbLb1EES15_IbLb0EEEEDaS11_S12_EUlS11_E_NS1_11comp_targetILNS1_3genE8ELNS1_11target_archE1030ELNS1_3gpuE2ELNS1_3repE0EEENS1_30default_config_static_selectorELNS0_4arch9wavefront6targetE1EEEvT1_.kd
    .uniform_work_group_size: 1
    .uses_dynamic_stack: false
    .vgpr_count:     0
    .vgpr_spill_count: 0
    .wavefront_size: 64
  - .agpr_count:     0
    .args:
      - .offset:         0
        .size:           144
        .value_kind:     by_value
    .group_segment_fixed_size: 0
    .kernarg_segment_align: 8
    .kernarg_segment_size: 144
    .language:       OpenCL C
    .language_version:
      - 2
      - 0
    .max_flat_workgroup_size: 256
    .name:           _ZN7rocprim17ROCPRIM_400000_NS6detail17trampoline_kernelINS0_14default_configENS1_29reduce_by_key_config_selectorIjyN6thrust23THRUST_200600_302600_NS4plusIyEEEEZZNS1_33reduce_by_key_impl_wrapped_configILNS1_25lookback_scan_determinismE0ES3_S9_NS6_6detail15normal_iteratorINS6_10device_ptrIjEEEENSD_INSE_IyEEEENS6_16discard_iteratorINS6_11use_defaultEEESI_PmS8_NS6_8equal_toIjEEEE10hipError_tPvRmT2_T3_mT4_T5_T6_T7_T8_P12ihipStream_tbENKUlT_T0_E_clISt17integral_constantIbLb0EES15_IbLb1EEEEDaS11_S12_EUlS11_E_NS1_11comp_targetILNS1_3genE0ELNS1_11target_archE4294967295ELNS1_3gpuE0ELNS1_3repE0EEENS1_30default_config_static_selectorELNS0_4arch9wavefront6targetE1EEEvT1_
    .private_segment_fixed_size: 0
    .sgpr_count:     4
    .sgpr_spill_count: 0
    .symbol:         _ZN7rocprim17ROCPRIM_400000_NS6detail17trampoline_kernelINS0_14default_configENS1_29reduce_by_key_config_selectorIjyN6thrust23THRUST_200600_302600_NS4plusIyEEEEZZNS1_33reduce_by_key_impl_wrapped_configILNS1_25lookback_scan_determinismE0ES3_S9_NS6_6detail15normal_iteratorINS6_10device_ptrIjEEEENSD_INSE_IyEEEENS6_16discard_iteratorINS6_11use_defaultEEESI_PmS8_NS6_8equal_toIjEEEE10hipError_tPvRmT2_T3_mT4_T5_T6_T7_T8_P12ihipStream_tbENKUlT_T0_E_clISt17integral_constantIbLb0EES15_IbLb1EEEEDaS11_S12_EUlS11_E_NS1_11comp_targetILNS1_3genE0ELNS1_11target_archE4294967295ELNS1_3gpuE0ELNS1_3repE0EEENS1_30default_config_static_selectorELNS0_4arch9wavefront6targetE1EEEvT1_.kd
    .uniform_work_group_size: 1
    .uses_dynamic_stack: false
    .vgpr_count:     0
    .vgpr_spill_count: 0
    .wavefront_size: 64
  - .agpr_count:     0
    .args:
      - .offset:         0
        .size:           144
        .value_kind:     by_value
    .group_segment_fixed_size: 0
    .kernarg_segment_align: 8
    .kernarg_segment_size: 144
    .language:       OpenCL C
    .language_version:
      - 2
      - 0
    .max_flat_workgroup_size: 256
    .name:           _ZN7rocprim17ROCPRIM_400000_NS6detail17trampoline_kernelINS0_14default_configENS1_29reduce_by_key_config_selectorIjyN6thrust23THRUST_200600_302600_NS4plusIyEEEEZZNS1_33reduce_by_key_impl_wrapped_configILNS1_25lookback_scan_determinismE0ES3_S9_NS6_6detail15normal_iteratorINS6_10device_ptrIjEEEENSD_INSE_IyEEEENS6_16discard_iteratorINS6_11use_defaultEEESI_PmS8_NS6_8equal_toIjEEEE10hipError_tPvRmT2_T3_mT4_T5_T6_T7_T8_P12ihipStream_tbENKUlT_T0_E_clISt17integral_constantIbLb0EES15_IbLb1EEEEDaS11_S12_EUlS11_E_NS1_11comp_targetILNS1_3genE5ELNS1_11target_archE942ELNS1_3gpuE9ELNS1_3repE0EEENS1_30default_config_static_selectorELNS0_4arch9wavefront6targetE1EEEvT1_
    .private_segment_fixed_size: 0
    .sgpr_count:     4
    .sgpr_spill_count: 0
    .symbol:         _ZN7rocprim17ROCPRIM_400000_NS6detail17trampoline_kernelINS0_14default_configENS1_29reduce_by_key_config_selectorIjyN6thrust23THRUST_200600_302600_NS4plusIyEEEEZZNS1_33reduce_by_key_impl_wrapped_configILNS1_25lookback_scan_determinismE0ES3_S9_NS6_6detail15normal_iteratorINS6_10device_ptrIjEEEENSD_INSE_IyEEEENS6_16discard_iteratorINS6_11use_defaultEEESI_PmS8_NS6_8equal_toIjEEEE10hipError_tPvRmT2_T3_mT4_T5_T6_T7_T8_P12ihipStream_tbENKUlT_T0_E_clISt17integral_constantIbLb0EES15_IbLb1EEEEDaS11_S12_EUlS11_E_NS1_11comp_targetILNS1_3genE5ELNS1_11target_archE942ELNS1_3gpuE9ELNS1_3repE0EEENS1_30default_config_static_selectorELNS0_4arch9wavefront6targetE1EEEvT1_.kd
    .uniform_work_group_size: 1
    .uses_dynamic_stack: false
    .vgpr_count:     0
    .vgpr_spill_count: 0
    .wavefront_size: 64
  - .agpr_count:     0
    .args:
      - .offset:         0
        .size:           144
        .value_kind:     by_value
    .group_segment_fixed_size: 30720
    .kernarg_segment_align: 8
    .kernarg_segment_size: 144
    .language:       OpenCL C
    .language_version:
      - 2
      - 0
    .max_flat_workgroup_size: 256
    .name:           _ZN7rocprim17ROCPRIM_400000_NS6detail17trampoline_kernelINS0_14default_configENS1_29reduce_by_key_config_selectorIjyN6thrust23THRUST_200600_302600_NS4plusIyEEEEZZNS1_33reduce_by_key_impl_wrapped_configILNS1_25lookback_scan_determinismE0ES3_S9_NS6_6detail15normal_iteratorINS6_10device_ptrIjEEEENSD_INSE_IyEEEENS6_16discard_iteratorINS6_11use_defaultEEESI_PmS8_NS6_8equal_toIjEEEE10hipError_tPvRmT2_T3_mT4_T5_T6_T7_T8_P12ihipStream_tbENKUlT_T0_E_clISt17integral_constantIbLb0EES15_IbLb1EEEEDaS11_S12_EUlS11_E_NS1_11comp_targetILNS1_3genE4ELNS1_11target_archE910ELNS1_3gpuE8ELNS1_3repE0EEENS1_30default_config_static_selectorELNS0_4arch9wavefront6targetE1EEEvT1_
    .private_segment_fixed_size: 0
    .sgpr_count:     67
    .sgpr_spill_count: 0
    .symbol:         _ZN7rocprim17ROCPRIM_400000_NS6detail17trampoline_kernelINS0_14default_configENS1_29reduce_by_key_config_selectorIjyN6thrust23THRUST_200600_302600_NS4plusIyEEEEZZNS1_33reduce_by_key_impl_wrapped_configILNS1_25lookback_scan_determinismE0ES3_S9_NS6_6detail15normal_iteratorINS6_10device_ptrIjEEEENSD_INSE_IyEEEENS6_16discard_iteratorINS6_11use_defaultEEESI_PmS8_NS6_8equal_toIjEEEE10hipError_tPvRmT2_T3_mT4_T5_T6_T7_T8_P12ihipStream_tbENKUlT_T0_E_clISt17integral_constantIbLb0EES15_IbLb1EEEEDaS11_S12_EUlS11_E_NS1_11comp_targetILNS1_3genE4ELNS1_11target_archE910ELNS1_3gpuE8ELNS1_3repE0EEENS1_30default_config_static_selectorELNS0_4arch9wavefront6targetE1EEEvT1_.kd
    .uniform_work_group_size: 1
    .uses_dynamic_stack: false
    .vgpr_count:     102
    .vgpr_spill_count: 0
    .wavefront_size: 64
  - .agpr_count:     0
    .args:
      - .offset:         0
        .size:           144
        .value_kind:     by_value
    .group_segment_fixed_size: 0
    .kernarg_segment_align: 8
    .kernarg_segment_size: 144
    .language:       OpenCL C
    .language_version:
      - 2
      - 0
    .max_flat_workgroup_size: 256
    .name:           _ZN7rocprim17ROCPRIM_400000_NS6detail17trampoline_kernelINS0_14default_configENS1_29reduce_by_key_config_selectorIjyN6thrust23THRUST_200600_302600_NS4plusIyEEEEZZNS1_33reduce_by_key_impl_wrapped_configILNS1_25lookback_scan_determinismE0ES3_S9_NS6_6detail15normal_iteratorINS6_10device_ptrIjEEEENSD_INSE_IyEEEENS6_16discard_iteratorINS6_11use_defaultEEESI_PmS8_NS6_8equal_toIjEEEE10hipError_tPvRmT2_T3_mT4_T5_T6_T7_T8_P12ihipStream_tbENKUlT_T0_E_clISt17integral_constantIbLb0EES15_IbLb1EEEEDaS11_S12_EUlS11_E_NS1_11comp_targetILNS1_3genE3ELNS1_11target_archE908ELNS1_3gpuE7ELNS1_3repE0EEENS1_30default_config_static_selectorELNS0_4arch9wavefront6targetE1EEEvT1_
    .private_segment_fixed_size: 0
    .sgpr_count:     4
    .sgpr_spill_count: 0
    .symbol:         _ZN7rocprim17ROCPRIM_400000_NS6detail17trampoline_kernelINS0_14default_configENS1_29reduce_by_key_config_selectorIjyN6thrust23THRUST_200600_302600_NS4plusIyEEEEZZNS1_33reduce_by_key_impl_wrapped_configILNS1_25lookback_scan_determinismE0ES3_S9_NS6_6detail15normal_iteratorINS6_10device_ptrIjEEEENSD_INSE_IyEEEENS6_16discard_iteratorINS6_11use_defaultEEESI_PmS8_NS6_8equal_toIjEEEE10hipError_tPvRmT2_T3_mT4_T5_T6_T7_T8_P12ihipStream_tbENKUlT_T0_E_clISt17integral_constantIbLb0EES15_IbLb1EEEEDaS11_S12_EUlS11_E_NS1_11comp_targetILNS1_3genE3ELNS1_11target_archE908ELNS1_3gpuE7ELNS1_3repE0EEENS1_30default_config_static_selectorELNS0_4arch9wavefront6targetE1EEEvT1_.kd
    .uniform_work_group_size: 1
    .uses_dynamic_stack: false
    .vgpr_count:     0
    .vgpr_spill_count: 0
    .wavefront_size: 64
  - .agpr_count:     0
    .args:
      - .offset:         0
        .size:           144
        .value_kind:     by_value
    .group_segment_fixed_size: 0
    .kernarg_segment_align: 8
    .kernarg_segment_size: 144
    .language:       OpenCL C
    .language_version:
      - 2
      - 0
    .max_flat_workgroup_size: 256
    .name:           _ZN7rocprim17ROCPRIM_400000_NS6detail17trampoline_kernelINS0_14default_configENS1_29reduce_by_key_config_selectorIjyN6thrust23THRUST_200600_302600_NS4plusIyEEEEZZNS1_33reduce_by_key_impl_wrapped_configILNS1_25lookback_scan_determinismE0ES3_S9_NS6_6detail15normal_iteratorINS6_10device_ptrIjEEEENSD_INSE_IyEEEENS6_16discard_iteratorINS6_11use_defaultEEESI_PmS8_NS6_8equal_toIjEEEE10hipError_tPvRmT2_T3_mT4_T5_T6_T7_T8_P12ihipStream_tbENKUlT_T0_E_clISt17integral_constantIbLb0EES15_IbLb1EEEEDaS11_S12_EUlS11_E_NS1_11comp_targetILNS1_3genE2ELNS1_11target_archE906ELNS1_3gpuE6ELNS1_3repE0EEENS1_30default_config_static_selectorELNS0_4arch9wavefront6targetE1EEEvT1_
    .private_segment_fixed_size: 0
    .sgpr_count:     4
    .sgpr_spill_count: 0
    .symbol:         _ZN7rocprim17ROCPRIM_400000_NS6detail17trampoline_kernelINS0_14default_configENS1_29reduce_by_key_config_selectorIjyN6thrust23THRUST_200600_302600_NS4plusIyEEEEZZNS1_33reduce_by_key_impl_wrapped_configILNS1_25lookback_scan_determinismE0ES3_S9_NS6_6detail15normal_iteratorINS6_10device_ptrIjEEEENSD_INSE_IyEEEENS6_16discard_iteratorINS6_11use_defaultEEESI_PmS8_NS6_8equal_toIjEEEE10hipError_tPvRmT2_T3_mT4_T5_T6_T7_T8_P12ihipStream_tbENKUlT_T0_E_clISt17integral_constantIbLb0EES15_IbLb1EEEEDaS11_S12_EUlS11_E_NS1_11comp_targetILNS1_3genE2ELNS1_11target_archE906ELNS1_3gpuE6ELNS1_3repE0EEENS1_30default_config_static_selectorELNS0_4arch9wavefront6targetE1EEEvT1_.kd
    .uniform_work_group_size: 1
    .uses_dynamic_stack: false
    .vgpr_count:     0
    .vgpr_spill_count: 0
    .wavefront_size: 64
  - .agpr_count:     0
    .args:
      - .offset:         0
        .size:           144
        .value_kind:     by_value
    .group_segment_fixed_size: 0
    .kernarg_segment_align: 8
    .kernarg_segment_size: 144
    .language:       OpenCL C
    .language_version:
      - 2
      - 0
    .max_flat_workgroup_size: 256
    .name:           _ZN7rocprim17ROCPRIM_400000_NS6detail17trampoline_kernelINS0_14default_configENS1_29reduce_by_key_config_selectorIjyN6thrust23THRUST_200600_302600_NS4plusIyEEEEZZNS1_33reduce_by_key_impl_wrapped_configILNS1_25lookback_scan_determinismE0ES3_S9_NS6_6detail15normal_iteratorINS6_10device_ptrIjEEEENSD_INSE_IyEEEENS6_16discard_iteratorINS6_11use_defaultEEESI_PmS8_NS6_8equal_toIjEEEE10hipError_tPvRmT2_T3_mT4_T5_T6_T7_T8_P12ihipStream_tbENKUlT_T0_E_clISt17integral_constantIbLb0EES15_IbLb1EEEEDaS11_S12_EUlS11_E_NS1_11comp_targetILNS1_3genE10ELNS1_11target_archE1201ELNS1_3gpuE5ELNS1_3repE0EEENS1_30default_config_static_selectorELNS0_4arch9wavefront6targetE1EEEvT1_
    .private_segment_fixed_size: 0
    .sgpr_count:     4
    .sgpr_spill_count: 0
    .symbol:         _ZN7rocprim17ROCPRIM_400000_NS6detail17trampoline_kernelINS0_14default_configENS1_29reduce_by_key_config_selectorIjyN6thrust23THRUST_200600_302600_NS4plusIyEEEEZZNS1_33reduce_by_key_impl_wrapped_configILNS1_25lookback_scan_determinismE0ES3_S9_NS6_6detail15normal_iteratorINS6_10device_ptrIjEEEENSD_INSE_IyEEEENS6_16discard_iteratorINS6_11use_defaultEEESI_PmS8_NS6_8equal_toIjEEEE10hipError_tPvRmT2_T3_mT4_T5_T6_T7_T8_P12ihipStream_tbENKUlT_T0_E_clISt17integral_constantIbLb0EES15_IbLb1EEEEDaS11_S12_EUlS11_E_NS1_11comp_targetILNS1_3genE10ELNS1_11target_archE1201ELNS1_3gpuE5ELNS1_3repE0EEENS1_30default_config_static_selectorELNS0_4arch9wavefront6targetE1EEEvT1_.kd
    .uniform_work_group_size: 1
    .uses_dynamic_stack: false
    .vgpr_count:     0
    .vgpr_spill_count: 0
    .wavefront_size: 64
  - .agpr_count:     0
    .args:
      - .offset:         0
        .size:           144
        .value_kind:     by_value
    .group_segment_fixed_size: 0
    .kernarg_segment_align: 8
    .kernarg_segment_size: 144
    .language:       OpenCL C
    .language_version:
      - 2
      - 0
    .max_flat_workgroup_size: 256
    .name:           _ZN7rocprim17ROCPRIM_400000_NS6detail17trampoline_kernelINS0_14default_configENS1_29reduce_by_key_config_selectorIjyN6thrust23THRUST_200600_302600_NS4plusIyEEEEZZNS1_33reduce_by_key_impl_wrapped_configILNS1_25lookback_scan_determinismE0ES3_S9_NS6_6detail15normal_iteratorINS6_10device_ptrIjEEEENSD_INSE_IyEEEENS6_16discard_iteratorINS6_11use_defaultEEESI_PmS8_NS6_8equal_toIjEEEE10hipError_tPvRmT2_T3_mT4_T5_T6_T7_T8_P12ihipStream_tbENKUlT_T0_E_clISt17integral_constantIbLb0EES15_IbLb1EEEEDaS11_S12_EUlS11_E_NS1_11comp_targetILNS1_3genE10ELNS1_11target_archE1200ELNS1_3gpuE4ELNS1_3repE0EEENS1_30default_config_static_selectorELNS0_4arch9wavefront6targetE1EEEvT1_
    .private_segment_fixed_size: 0
    .sgpr_count:     4
    .sgpr_spill_count: 0
    .symbol:         _ZN7rocprim17ROCPRIM_400000_NS6detail17trampoline_kernelINS0_14default_configENS1_29reduce_by_key_config_selectorIjyN6thrust23THRUST_200600_302600_NS4plusIyEEEEZZNS1_33reduce_by_key_impl_wrapped_configILNS1_25lookback_scan_determinismE0ES3_S9_NS6_6detail15normal_iteratorINS6_10device_ptrIjEEEENSD_INSE_IyEEEENS6_16discard_iteratorINS6_11use_defaultEEESI_PmS8_NS6_8equal_toIjEEEE10hipError_tPvRmT2_T3_mT4_T5_T6_T7_T8_P12ihipStream_tbENKUlT_T0_E_clISt17integral_constantIbLb0EES15_IbLb1EEEEDaS11_S12_EUlS11_E_NS1_11comp_targetILNS1_3genE10ELNS1_11target_archE1200ELNS1_3gpuE4ELNS1_3repE0EEENS1_30default_config_static_selectorELNS0_4arch9wavefront6targetE1EEEvT1_.kd
    .uniform_work_group_size: 1
    .uses_dynamic_stack: false
    .vgpr_count:     0
    .vgpr_spill_count: 0
    .wavefront_size: 64
  - .agpr_count:     0
    .args:
      - .offset:         0
        .size:           144
        .value_kind:     by_value
    .group_segment_fixed_size: 0
    .kernarg_segment_align: 8
    .kernarg_segment_size: 144
    .language:       OpenCL C
    .language_version:
      - 2
      - 0
    .max_flat_workgroup_size: 256
    .name:           _ZN7rocprim17ROCPRIM_400000_NS6detail17trampoline_kernelINS0_14default_configENS1_29reduce_by_key_config_selectorIjyN6thrust23THRUST_200600_302600_NS4plusIyEEEEZZNS1_33reduce_by_key_impl_wrapped_configILNS1_25lookback_scan_determinismE0ES3_S9_NS6_6detail15normal_iteratorINS6_10device_ptrIjEEEENSD_INSE_IyEEEENS6_16discard_iteratorINS6_11use_defaultEEESI_PmS8_NS6_8equal_toIjEEEE10hipError_tPvRmT2_T3_mT4_T5_T6_T7_T8_P12ihipStream_tbENKUlT_T0_E_clISt17integral_constantIbLb0EES15_IbLb1EEEEDaS11_S12_EUlS11_E_NS1_11comp_targetILNS1_3genE9ELNS1_11target_archE1100ELNS1_3gpuE3ELNS1_3repE0EEENS1_30default_config_static_selectorELNS0_4arch9wavefront6targetE1EEEvT1_
    .private_segment_fixed_size: 0
    .sgpr_count:     4
    .sgpr_spill_count: 0
    .symbol:         _ZN7rocprim17ROCPRIM_400000_NS6detail17trampoline_kernelINS0_14default_configENS1_29reduce_by_key_config_selectorIjyN6thrust23THRUST_200600_302600_NS4plusIyEEEEZZNS1_33reduce_by_key_impl_wrapped_configILNS1_25lookback_scan_determinismE0ES3_S9_NS6_6detail15normal_iteratorINS6_10device_ptrIjEEEENSD_INSE_IyEEEENS6_16discard_iteratorINS6_11use_defaultEEESI_PmS8_NS6_8equal_toIjEEEE10hipError_tPvRmT2_T3_mT4_T5_T6_T7_T8_P12ihipStream_tbENKUlT_T0_E_clISt17integral_constantIbLb0EES15_IbLb1EEEEDaS11_S12_EUlS11_E_NS1_11comp_targetILNS1_3genE9ELNS1_11target_archE1100ELNS1_3gpuE3ELNS1_3repE0EEENS1_30default_config_static_selectorELNS0_4arch9wavefront6targetE1EEEvT1_.kd
    .uniform_work_group_size: 1
    .uses_dynamic_stack: false
    .vgpr_count:     0
    .vgpr_spill_count: 0
    .wavefront_size: 64
  - .agpr_count:     0
    .args:
      - .offset:         0
        .size:           144
        .value_kind:     by_value
    .group_segment_fixed_size: 0
    .kernarg_segment_align: 8
    .kernarg_segment_size: 144
    .language:       OpenCL C
    .language_version:
      - 2
      - 0
    .max_flat_workgroup_size: 256
    .name:           _ZN7rocprim17ROCPRIM_400000_NS6detail17trampoline_kernelINS0_14default_configENS1_29reduce_by_key_config_selectorIjyN6thrust23THRUST_200600_302600_NS4plusIyEEEEZZNS1_33reduce_by_key_impl_wrapped_configILNS1_25lookback_scan_determinismE0ES3_S9_NS6_6detail15normal_iteratorINS6_10device_ptrIjEEEENSD_INSE_IyEEEENS6_16discard_iteratorINS6_11use_defaultEEESI_PmS8_NS6_8equal_toIjEEEE10hipError_tPvRmT2_T3_mT4_T5_T6_T7_T8_P12ihipStream_tbENKUlT_T0_E_clISt17integral_constantIbLb0EES15_IbLb1EEEEDaS11_S12_EUlS11_E_NS1_11comp_targetILNS1_3genE8ELNS1_11target_archE1030ELNS1_3gpuE2ELNS1_3repE0EEENS1_30default_config_static_selectorELNS0_4arch9wavefront6targetE1EEEvT1_
    .private_segment_fixed_size: 0
    .sgpr_count:     4
    .sgpr_spill_count: 0
    .symbol:         _ZN7rocprim17ROCPRIM_400000_NS6detail17trampoline_kernelINS0_14default_configENS1_29reduce_by_key_config_selectorIjyN6thrust23THRUST_200600_302600_NS4plusIyEEEEZZNS1_33reduce_by_key_impl_wrapped_configILNS1_25lookback_scan_determinismE0ES3_S9_NS6_6detail15normal_iteratorINS6_10device_ptrIjEEEENSD_INSE_IyEEEENS6_16discard_iteratorINS6_11use_defaultEEESI_PmS8_NS6_8equal_toIjEEEE10hipError_tPvRmT2_T3_mT4_T5_T6_T7_T8_P12ihipStream_tbENKUlT_T0_E_clISt17integral_constantIbLb0EES15_IbLb1EEEEDaS11_S12_EUlS11_E_NS1_11comp_targetILNS1_3genE8ELNS1_11target_archE1030ELNS1_3gpuE2ELNS1_3repE0EEENS1_30default_config_static_selectorELNS0_4arch9wavefront6targetE1EEEvT1_.kd
    .uniform_work_group_size: 1
    .uses_dynamic_stack: false
    .vgpr_count:     0
    .vgpr_spill_count: 0
    .wavefront_size: 64
  - .agpr_count:     0
    .args:
      - .offset:         0
        .size:           128
        .value_kind:     by_value
    .group_segment_fixed_size: 0
    .kernarg_segment_align: 8
    .kernarg_segment_size: 128
    .language:       OpenCL C
    .language_version:
      - 2
      - 0
    .max_flat_workgroup_size: 256
    .name:           _ZN7rocprim17ROCPRIM_400000_NS6detail17trampoline_kernelINS0_14default_configENS1_29reduce_by_key_config_selectorIjjN6thrust23THRUST_200600_302600_NS4plusIjEEEEZZNS1_33reduce_by_key_impl_wrapped_configILNS1_25lookback_scan_determinismE0ES3_S9_NS6_6detail15normal_iteratorINS6_10device_ptrIjEEEESG_NS6_16discard_iteratorINS6_11use_defaultEEESG_PmS8_NS6_8equal_toIjEEEE10hipError_tPvRmT2_T3_mT4_T5_T6_T7_T8_P12ihipStream_tbENKUlT_T0_E_clISt17integral_constantIbLb0EES14_EEDaSZ_S10_EUlSZ_E_NS1_11comp_targetILNS1_3genE0ELNS1_11target_archE4294967295ELNS1_3gpuE0ELNS1_3repE0EEENS1_30default_config_static_selectorELNS0_4arch9wavefront6targetE1EEEvT1_
    .private_segment_fixed_size: 0
    .sgpr_count:     4
    .sgpr_spill_count: 0
    .symbol:         _ZN7rocprim17ROCPRIM_400000_NS6detail17trampoline_kernelINS0_14default_configENS1_29reduce_by_key_config_selectorIjjN6thrust23THRUST_200600_302600_NS4plusIjEEEEZZNS1_33reduce_by_key_impl_wrapped_configILNS1_25lookback_scan_determinismE0ES3_S9_NS6_6detail15normal_iteratorINS6_10device_ptrIjEEEESG_NS6_16discard_iteratorINS6_11use_defaultEEESG_PmS8_NS6_8equal_toIjEEEE10hipError_tPvRmT2_T3_mT4_T5_T6_T7_T8_P12ihipStream_tbENKUlT_T0_E_clISt17integral_constantIbLb0EES14_EEDaSZ_S10_EUlSZ_E_NS1_11comp_targetILNS1_3genE0ELNS1_11target_archE4294967295ELNS1_3gpuE0ELNS1_3repE0EEENS1_30default_config_static_selectorELNS0_4arch9wavefront6targetE1EEEvT1_.kd
    .uniform_work_group_size: 1
    .uses_dynamic_stack: false
    .vgpr_count:     0
    .vgpr_spill_count: 0
    .wavefront_size: 64
  - .agpr_count:     0
    .args:
      - .offset:         0
        .size:           128
        .value_kind:     by_value
    .group_segment_fixed_size: 0
    .kernarg_segment_align: 8
    .kernarg_segment_size: 128
    .language:       OpenCL C
    .language_version:
      - 2
      - 0
    .max_flat_workgroup_size: 256
    .name:           _ZN7rocprim17ROCPRIM_400000_NS6detail17trampoline_kernelINS0_14default_configENS1_29reduce_by_key_config_selectorIjjN6thrust23THRUST_200600_302600_NS4plusIjEEEEZZNS1_33reduce_by_key_impl_wrapped_configILNS1_25lookback_scan_determinismE0ES3_S9_NS6_6detail15normal_iteratorINS6_10device_ptrIjEEEESG_NS6_16discard_iteratorINS6_11use_defaultEEESG_PmS8_NS6_8equal_toIjEEEE10hipError_tPvRmT2_T3_mT4_T5_T6_T7_T8_P12ihipStream_tbENKUlT_T0_E_clISt17integral_constantIbLb0EES14_EEDaSZ_S10_EUlSZ_E_NS1_11comp_targetILNS1_3genE5ELNS1_11target_archE942ELNS1_3gpuE9ELNS1_3repE0EEENS1_30default_config_static_selectorELNS0_4arch9wavefront6targetE1EEEvT1_
    .private_segment_fixed_size: 0
    .sgpr_count:     4
    .sgpr_spill_count: 0
    .symbol:         _ZN7rocprim17ROCPRIM_400000_NS6detail17trampoline_kernelINS0_14default_configENS1_29reduce_by_key_config_selectorIjjN6thrust23THRUST_200600_302600_NS4plusIjEEEEZZNS1_33reduce_by_key_impl_wrapped_configILNS1_25lookback_scan_determinismE0ES3_S9_NS6_6detail15normal_iteratorINS6_10device_ptrIjEEEESG_NS6_16discard_iteratorINS6_11use_defaultEEESG_PmS8_NS6_8equal_toIjEEEE10hipError_tPvRmT2_T3_mT4_T5_T6_T7_T8_P12ihipStream_tbENKUlT_T0_E_clISt17integral_constantIbLb0EES14_EEDaSZ_S10_EUlSZ_E_NS1_11comp_targetILNS1_3genE5ELNS1_11target_archE942ELNS1_3gpuE9ELNS1_3repE0EEENS1_30default_config_static_selectorELNS0_4arch9wavefront6targetE1EEEvT1_.kd
    .uniform_work_group_size: 1
    .uses_dynamic_stack: false
    .vgpr_count:     0
    .vgpr_spill_count: 0
    .wavefront_size: 64
  - .agpr_count:     0
    .args:
      - .offset:         0
        .size:           128
        .value_kind:     by_value
    .group_segment_fixed_size: 15360
    .kernarg_segment_align: 8
    .kernarg_segment_size: 128
    .language:       OpenCL C
    .language_version:
      - 2
      - 0
    .max_flat_workgroup_size: 256
    .name:           _ZN7rocprim17ROCPRIM_400000_NS6detail17trampoline_kernelINS0_14default_configENS1_29reduce_by_key_config_selectorIjjN6thrust23THRUST_200600_302600_NS4plusIjEEEEZZNS1_33reduce_by_key_impl_wrapped_configILNS1_25lookback_scan_determinismE0ES3_S9_NS6_6detail15normal_iteratorINS6_10device_ptrIjEEEESG_NS6_16discard_iteratorINS6_11use_defaultEEESG_PmS8_NS6_8equal_toIjEEEE10hipError_tPvRmT2_T3_mT4_T5_T6_T7_T8_P12ihipStream_tbENKUlT_T0_E_clISt17integral_constantIbLb0EES14_EEDaSZ_S10_EUlSZ_E_NS1_11comp_targetILNS1_3genE4ELNS1_11target_archE910ELNS1_3gpuE8ELNS1_3repE0EEENS1_30default_config_static_selectorELNS0_4arch9wavefront6targetE1EEEvT1_
    .private_segment_fixed_size: 0
    .sgpr_count:     66
    .sgpr_spill_count: 0
    .symbol:         _ZN7rocprim17ROCPRIM_400000_NS6detail17trampoline_kernelINS0_14default_configENS1_29reduce_by_key_config_selectorIjjN6thrust23THRUST_200600_302600_NS4plusIjEEEEZZNS1_33reduce_by_key_impl_wrapped_configILNS1_25lookback_scan_determinismE0ES3_S9_NS6_6detail15normal_iteratorINS6_10device_ptrIjEEEESG_NS6_16discard_iteratorINS6_11use_defaultEEESG_PmS8_NS6_8equal_toIjEEEE10hipError_tPvRmT2_T3_mT4_T5_T6_T7_T8_P12ihipStream_tbENKUlT_T0_E_clISt17integral_constantIbLb0EES14_EEDaSZ_S10_EUlSZ_E_NS1_11comp_targetILNS1_3genE4ELNS1_11target_archE910ELNS1_3gpuE8ELNS1_3repE0EEENS1_30default_config_static_selectorELNS0_4arch9wavefront6targetE1EEEvT1_.kd
    .uniform_work_group_size: 1
    .uses_dynamic_stack: false
    .vgpr_count:     87
    .vgpr_spill_count: 0
    .wavefront_size: 64
  - .agpr_count:     0
    .args:
      - .offset:         0
        .size:           128
        .value_kind:     by_value
    .group_segment_fixed_size: 0
    .kernarg_segment_align: 8
    .kernarg_segment_size: 128
    .language:       OpenCL C
    .language_version:
      - 2
      - 0
    .max_flat_workgroup_size: 256
    .name:           _ZN7rocprim17ROCPRIM_400000_NS6detail17trampoline_kernelINS0_14default_configENS1_29reduce_by_key_config_selectorIjjN6thrust23THRUST_200600_302600_NS4plusIjEEEEZZNS1_33reduce_by_key_impl_wrapped_configILNS1_25lookback_scan_determinismE0ES3_S9_NS6_6detail15normal_iteratorINS6_10device_ptrIjEEEESG_NS6_16discard_iteratorINS6_11use_defaultEEESG_PmS8_NS6_8equal_toIjEEEE10hipError_tPvRmT2_T3_mT4_T5_T6_T7_T8_P12ihipStream_tbENKUlT_T0_E_clISt17integral_constantIbLb0EES14_EEDaSZ_S10_EUlSZ_E_NS1_11comp_targetILNS1_3genE3ELNS1_11target_archE908ELNS1_3gpuE7ELNS1_3repE0EEENS1_30default_config_static_selectorELNS0_4arch9wavefront6targetE1EEEvT1_
    .private_segment_fixed_size: 0
    .sgpr_count:     4
    .sgpr_spill_count: 0
    .symbol:         _ZN7rocprim17ROCPRIM_400000_NS6detail17trampoline_kernelINS0_14default_configENS1_29reduce_by_key_config_selectorIjjN6thrust23THRUST_200600_302600_NS4plusIjEEEEZZNS1_33reduce_by_key_impl_wrapped_configILNS1_25lookback_scan_determinismE0ES3_S9_NS6_6detail15normal_iteratorINS6_10device_ptrIjEEEESG_NS6_16discard_iteratorINS6_11use_defaultEEESG_PmS8_NS6_8equal_toIjEEEE10hipError_tPvRmT2_T3_mT4_T5_T6_T7_T8_P12ihipStream_tbENKUlT_T0_E_clISt17integral_constantIbLb0EES14_EEDaSZ_S10_EUlSZ_E_NS1_11comp_targetILNS1_3genE3ELNS1_11target_archE908ELNS1_3gpuE7ELNS1_3repE0EEENS1_30default_config_static_selectorELNS0_4arch9wavefront6targetE1EEEvT1_.kd
    .uniform_work_group_size: 1
    .uses_dynamic_stack: false
    .vgpr_count:     0
    .vgpr_spill_count: 0
    .wavefront_size: 64
  - .agpr_count:     0
    .args:
      - .offset:         0
        .size:           128
        .value_kind:     by_value
    .group_segment_fixed_size: 0
    .kernarg_segment_align: 8
    .kernarg_segment_size: 128
    .language:       OpenCL C
    .language_version:
      - 2
      - 0
    .max_flat_workgroup_size: 256
    .name:           _ZN7rocprim17ROCPRIM_400000_NS6detail17trampoline_kernelINS0_14default_configENS1_29reduce_by_key_config_selectorIjjN6thrust23THRUST_200600_302600_NS4plusIjEEEEZZNS1_33reduce_by_key_impl_wrapped_configILNS1_25lookback_scan_determinismE0ES3_S9_NS6_6detail15normal_iteratorINS6_10device_ptrIjEEEESG_NS6_16discard_iteratorINS6_11use_defaultEEESG_PmS8_NS6_8equal_toIjEEEE10hipError_tPvRmT2_T3_mT4_T5_T6_T7_T8_P12ihipStream_tbENKUlT_T0_E_clISt17integral_constantIbLb0EES14_EEDaSZ_S10_EUlSZ_E_NS1_11comp_targetILNS1_3genE2ELNS1_11target_archE906ELNS1_3gpuE6ELNS1_3repE0EEENS1_30default_config_static_selectorELNS0_4arch9wavefront6targetE1EEEvT1_
    .private_segment_fixed_size: 0
    .sgpr_count:     4
    .sgpr_spill_count: 0
    .symbol:         _ZN7rocprim17ROCPRIM_400000_NS6detail17trampoline_kernelINS0_14default_configENS1_29reduce_by_key_config_selectorIjjN6thrust23THRUST_200600_302600_NS4plusIjEEEEZZNS1_33reduce_by_key_impl_wrapped_configILNS1_25lookback_scan_determinismE0ES3_S9_NS6_6detail15normal_iteratorINS6_10device_ptrIjEEEESG_NS6_16discard_iteratorINS6_11use_defaultEEESG_PmS8_NS6_8equal_toIjEEEE10hipError_tPvRmT2_T3_mT4_T5_T6_T7_T8_P12ihipStream_tbENKUlT_T0_E_clISt17integral_constantIbLb0EES14_EEDaSZ_S10_EUlSZ_E_NS1_11comp_targetILNS1_3genE2ELNS1_11target_archE906ELNS1_3gpuE6ELNS1_3repE0EEENS1_30default_config_static_selectorELNS0_4arch9wavefront6targetE1EEEvT1_.kd
    .uniform_work_group_size: 1
    .uses_dynamic_stack: false
    .vgpr_count:     0
    .vgpr_spill_count: 0
    .wavefront_size: 64
  - .agpr_count:     0
    .args:
      - .offset:         0
        .size:           128
        .value_kind:     by_value
    .group_segment_fixed_size: 0
    .kernarg_segment_align: 8
    .kernarg_segment_size: 128
    .language:       OpenCL C
    .language_version:
      - 2
      - 0
    .max_flat_workgroup_size: 256
    .name:           _ZN7rocprim17ROCPRIM_400000_NS6detail17trampoline_kernelINS0_14default_configENS1_29reduce_by_key_config_selectorIjjN6thrust23THRUST_200600_302600_NS4plusIjEEEEZZNS1_33reduce_by_key_impl_wrapped_configILNS1_25lookback_scan_determinismE0ES3_S9_NS6_6detail15normal_iteratorINS6_10device_ptrIjEEEESG_NS6_16discard_iteratorINS6_11use_defaultEEESG_PmS8_NS6_8equal_toIjEEEE10hipError_tPvRmT2_T3_mT4_T5_T6_T7_T8_P12ihipStream_tbENKUlT_T0_E_clISt17integral_constantIbLb0EES14_EEDaSZ_S10_EUlSZ_E_NS1_11comp_targetILNS1_3genE10ELNS1_11target_archE1201ELNS1_3gpuE5ELNS1_3repE0EEENS1_30default_config_static_selectorELNS0_4arch9wavefront6targetE1EEEvT1_
    .private_segment_fixed_size: 0
    .sgpr_count:     4
    .sgpr_spill_count: 0
    .symbol:         _ZN7rocprim17ROCPRIM_400000_NS6detail17trampoline_kernelINS0_14default_configENS1_29reduce_by_key_config_selectorIjjN6thrust23THRUST_200600_302600_NS4plusIjEEEEZZNS1_33reduce_by_key_impl_wrapped_configILNS1_25lookback_scan_determinismE0ES3_S9_NS6_6detail15normal_iteratorINS6_10device_ptrIjEEEESG_NS6_16discard_iteratorINS6_11use_defaultEEESG_PmS8_NS6_8equal_toIjEEEE10hipError_tPvRmT2_T3_mT4_T5_T6_T7_T8_P12ihipStream_tbENKUlT_T0_E_clISt17integral_constantIbLb0EES14_EEDaSZ_S10_EUlSZ_E_NS1_11comp_targetILNS1_3genE10ELNS1_11target_archE1201ELNS1_3gpuE5ELNS1_3repE0EEENS1_30default_config_static_selectorELNS0_4arch9wavefront6targetE1EEEvT1_.kd
    .uniform_work_group_size: 1
    .uses_dynamic_stack: false
    .vgpr_count:     0
    .vgpr_spill_count: 0
    .wavefront_size: 64
  - .agpr_count:     0
    .args:
      - .offset:         0
        .size:           128
        .value_kind:     by_value
    .group_segment_fixed_size: 0
    .kernarg_segment_align: 8
    .kernarg_segment_size: 128
    .language:       OpenCL C
    .language_version:
      - 2
      - 0
    .max_flat_workgroup_size: 256
    .name:           _ZN7rocprim17ROCPRIM_400000_NS6detail17trampoline_kernelINS0_14default_configENS1_29reduce_by_key_config_selectorIjjN6thrust23THRUST_200600_302600_NS4plusIjEEEEZZNS1_33reduce_by_key_impl_wrapped_configILNS1_25lookback_scan_determinismE0ES3_S9_NS6_6detail15normal_iteratorINS6_10device_ptrIjEEEESG_NS6_16discard_iteratorINS6_11use_defaultEEESG_PmS8_NS6_8equal_toIjEEEE10hipError_tPvRmT2_T3_mT4_T5_T6_T7_T8_P12ihipStream_tbENKUlT_T0_E_clISt17integral_constantIbLb0EES14_EEDaSZ_S10_EUlSZ_E_NS1_11comp_targetILNS1_3genE10ELNS1_11target_archE1200ELNS1_3gpuE4ELNS1_3repE0EEENS1_30default_config_static_selectorELNS0_4arch9wavefront6targetE1EEEvT1_
    .private_segment_fixed_size: 0
    .sgpr_count:     4
    .sgpr_spill_count: 0
    .symbol:         _ZN7rocprim17ROCPRIM_400000_NS6detail17trampoline_kernelINS0_14default_configENS1_29reduce_by_key_config_selectorIjjN6thrust23THRUST_200600_302600_NS4plusIjEEEEZZNS1_33reduce_by_key_impl_wrapped_configILNS1_25lookback_scan_determinismE0ES3_S9_NS6_6detail15normal_iteratorINS6_10device_ptrIjEEEESG_NS6_16discard_iteratorINS6_11use_defaultEEESG_PmS8_NS6_8equal_toIjEEEE10hipError_tPvRmT2_T3_mT4_T5_T6_T7_T8_P12ihipStream_tbENKUlT_T0_E_clISt17integral_constantIbLb0EES14_EEDaSZ_S10_EUlSZ_E_NS1_11comp_targetILNS1_3genE10ELNS1_11target_archE1200ELNS1_3gpuE4ELNS1_3repE0EEENS1_30default_config_static_selectorELNS0_4arch9wavefront6targetE1EEEvT1_.kd
    .uniform_work_group_size: 1
    .uses_dynamic_stack: false
    .vgpr_count:     0
    .vgpr_spill_count: 0
    .wavefront_size: 64
  - .agpr_count:     0
    .args:
      - .offset:         0
        .size:           128
        .value_kind:     by_value
    .group_segment_fixed_size: 0
    .kernarg_segment_align: 8
    .kernarg_segment_size: 128
    .language:       OpenCL C
    .language_version:
      - 2
      - 0
    .max_flat_workgroup_size: 256
    .name:           _ZN7rocprim17ROCPRIM_400000_NS6detail17trampoline_kernelINS0_14default_configENS1_29reduce_by_key_config_selectorIjjN6thrust23THRUST_200600_302600_NS4plusIjEEEEZZNS1_33reduce_by_key_impl_wrapped_configILNS1_25lookback_scan_determinismE0ES3_S9_NS6_6detail15normal_iteratorINS6_10device_ptrIjEEEESG_NS6_16discard_iteratorINS6_11use_defaultEEESG_PmS8_NS6_8equal_toIjEEEE10hipError_tPvRmT2_T3_mT4_T5_T6_T7_T8_P12ihipStream_tbENKUlT_T0_E_clISt17integral_constantIbLb0EES14_EEDaSZ_S10_EUlSZ_E_NS1_11comp_targetILNS1_3genE9ELNS1_11target_archE1100ELNS1_3gpuE3ELNS1_3repE0EEENS1_30default_config_static_selectorELNS0_4arch9wavefront6targetE1EEEvT1_
    .private_segment_fixed_size: 0
    .sgpr_count:     4
    .sgpr_spill_count: 0
    .symbol:         _ZN7rocprim17ROCPRIM_400000_NS6detail17trampoline_kernelINS0_14default_configENS1_29reduce_by_key_config_selectorIjjN6thrust23THRUST_200600_302600_NS4plusIjEEEEZZNS1_33reduce_by_key_impl_wrapped_configILNS1_25lookback_scan_determinismE0ES3_S9_NS6_6detail15normal_iteratorINS6_10device_ptrIjEEEESG_NS6_16discard_iteratorINS6_11use_defaultEEESG_PmS8_NS6_8equal_toIjEEEE10hipError_tPvRmT2_T3_mT4_T5_T6_T7_T8_P12ihipStream_tbENKUlT_T0_E_clISt17integral_constantIbLb0EES14_EEDaSZ_S10_EUlSZ_E_NS1_11comp_targetILNS1_3genE9ELNS1_11target_archE1100ELNS1_3gpuE3ELNS1_3repE0EEENS1_30default_config_static_selectorELNS0_4arch9wavefront6targetE1EEEvT1_.kd
    .uniform_work_group_size: 1
    .uses_dynamic_stack: false
    .vgpr_count:     0
    .vgpr_spill_count: 0
    .wavefront_size: 64
  - .agpr_count:     0
    .args:
      - .offset:         0
        .size:           128
        .value_kind:     by_value
    .group_segment_fixed_size: 0
    .kernarg_segment_align: 8
    .kernarg_segment_size: 128
    .language:       OpenCL C
    .language_version:
      - 2
      - 0
    .max_flat_workgroup_size: 256
    .name:           _ZN7rocprim17ROCPRIM_400000_NS6detail17trampoline_kernelINS0_14default_configENS1_29reduce_by_key_config_selectorIjjN6thrust23THRUST_200600_302600_NS4plusIjEEEEZZNS1_33reduce_by_key_impl_wrapped_configILNS1_25lookback_scan_determinismE0ES3_S9_NS6_6detail15normal_iteratorINS6_10device_ptrIjEEEESG_NS6_16discard_iteratorINS6_11use_defaultEEESG_PmS8_NS6_8equal_toIjEEEE10hipError_tPvRmT2_T3_mT4_T5_T6_T7_T8_P12ihipStream_tbENKUlT_T0_E_clISt17integral_constantIbLb0EES14_EEDaSZ_S10_EUlSZ_E_NS1_11comp_targetILNS1_3genE8ELNS1_11target_archE1030ELNS1_3gpuE2ELNS1_3repE0EEENS1_30default_config_static_selectorELNS0_4arch9wavefront6targetE1EEEvT1_
    .private_segment_fixed_size: 0
    .sgpr_count:     4
    .sgpr_spill_count: 0
    .symbol:         _ZN7rocprim17ROCPRIM_400000_NS6detail17trampoline_kernelINS0_14default_configENS1_29reduce_by_key_config_selectorIjjN6thrust23THRUST_200600_302600_NS4plusIjEEEEZZNS1_33reduce_by_key_impl_wrapped_configILNS1_25lookback_scan_determinismE0ES3_S9_NS6_6detail15normal_iteratorINS6_10device_ptrIjEEEESG_NS6_16discard_iteratorINS6_11use_defaultEEESG_PmS8_NS6_8equal_toIjEEEE10hipError_tPvRmT2_T3_mT4_T5_T6_T7_T8_P12ihipStream_tbENKUlT_T0_E_clISt17integral_constantIbLb0EES14_EEDaSZ_S10_EUlSZ_E_NS1_11comp_targetILNS1_3genE8ELNS1_11target_archE1030ELNS1_3gpuE2ELNS1_3repE0EEENS1_30default_config_static_selectorELNS0_4arch9wavefront6targetE1EEEvT1_.kd
    .uniform_work_group_size: 1
    .uses_dynamic_stack: false
    .vgpr_count:     0
    .vgpr_spill_count: 0
    .wavefront_size: 64
  - .agpr_count:     0
    .args:
      - .offset:         0
        .size:           128
        .value_kind:     by_value
    .group_segment_fixed_size: 0
    .kernarg_segment_align: 8
    .kernarg_segment_size: 128
    .language:       OpenCL C
    .language_version:
      - 2
      - 0
    .max_flat_workgroup_size: 256
    .name:           _ZN7rocprim17ROCPRIM_400000_NS6detail17trampoline_kernelINS0_14default_configENS1_29reduce_by_key_config_selectorIjjN6thrust23THRUST_200600_302600_NS4plusIjEEEEZZNS1_33reduce_by_key_impl_wrapped_configILNS1_25lookback_scan_determinismE0ES3_S9_NS6_6detail15normal_iteratorINS6_10device_ptrIjEEEESG_NS6_16discard_iteratorINS6_11use_defaultEEESG_PmS8_NS6_8equal_toIjEEEE10hipError_tPvRmT2_T3_mT4_T5_T6_T7_T8_P12ihipStream_tbENKUlT_T0_E_clISt17integral_constantIbLb1EES14_EEDaSZ_S10_EUlSZ_E_NS1_11comp_targetILNS1_3genE0ELNS1_11target_archE4294967295ELNS1_3gpuE0ELNS1_3repE0EEENS1_30default_config_static_selectorELNS0_4arch9wavefront6targetE1EEEvT1_
    .private_segment_fixed_size: 0
    .sgpr_count:     4
    .sgpr_spill_count: 0
    .symbol:         _ZN7rocprim17ROCPRIM_400000_NS6detail17trampoline_kernelINS0_14default_configENS1_29reduce_by_key_config_selectorIjjN6thrust23THRUST_200600_302600_NS4plusIjEEEEZZNS1_33reduce_by_key_impl_wrapped_configILNS1_25lookback_scan_determinismE0ES3_S9_NS6_6detail15normal_iteratorINS6_10device_ptrIjEEEESG_NS6_16discard_iteratorINS6_11use_defaultEEESG_PmS8_NS6_8equal_toIjEEEE10hipError_tPvRmT2_T3_mT4_T5_T6_T7_T8_P12ihipStream_tbENKUlT_T0_E_clISt17integral_constantIbLb1EES14_EEDaSZ_S10_EUlSZ_E_NS1_11comp_targetILNS1_3genE0ELNS1_11target_archE4294967295ELNS1_3gpuE0ELNS1_3repE0EEENS1_30default_config_static_selectorELNS0_4arch9wavefront6targetE1EEEvT1_.kd
    .uniform_work_group_size: 1
    .uses_dynamic_stack: false
    .vgpr_count:     0
    .vgpr_spill_count: 0
    .wavefront_size: 64
  - .agpr_count:     0
    .args:
      - .offset:         0
        .size:           128
        .value_kind:     by_value
    .group_segment_fixed_size: 0
    .kernarg_segment_align: 8
    .kernarg_segment_size: 128
    .language:       OpenCL C
    .language_version:
      - 2
      - 0
    .max_flat_workgroup_size: 256
    .name:           _ZN7rocprim17ROCPRIM_400000_NS6detail17trampoline_kernelINS0_14default_configENS1_29reduce_by_key_config_selectorIjjN6thrust23THRUST_200600_302600_NS4plusIjEEEEZZNS1_33reduce_by_key_impl_wrapped_configILNS1_25lookback_scan_determinismE0ES3_S9_NS6_6detail15normal_iteratorINS6_10device_ptrIjEEEESG_NS6_16discard_iteratorINS6_11use_defaultEEESG_PmS8_NS6_8equal_toIjEEEE10hipError_tPvRmT2_T3_mT4_T5_T6_T7_T8_P12ihipStream_tbENKUlT_T0_E_clISt17integral_constantIbLb1EES14_EEDaSZ_S10_EUlSZ_E_NS1_11comp_targetILNS1_3genE5ELNS1_11target_archE942ELNS1_3gpuE9ELNS1_3repE0EEENS1_30default_config_static_selectorELNS0_4arch9wavefront6targetE1EEEvT1_
    .private_segment_fixed_size: 0
    .sgpr_count:     4
    .sgpr_spill_count: 0
    .symbol:         _ZN7rocprim17ROCPRIM_400000_NS6detail17trampoline_kernelINS0_14default_configENS1_29reduce_by_key_config_selectorIjjN6thrust23THRUST_200600_302600_NS4plusIjEEEEZZNS1_33reduce_by_key_impl_wrapped_configILNS1_25lookback_scan_determinismE0ES3_S9_NS6_6detail15normal_iteratorINS6_10device_ptrIjEEEESG_NS6_16discard_iteratorINS6_11use_defaultEEESG_PmS8_NS6_8equal_toIjEEEE10hipError_tPvRmT2_T3_mT4_T5_T6_T7_T8_P12ihipStream_tbENKUlT_T0_E_clISt17integral_constantIbLb1EES14_EEDaSZ_S10_EUlSZ_E_NS1_11comp_targetILNS1_3genE5ELNS1_11target_archE942ELNS1_3gpuE9ELNS1_3repE0EEENS1_30default_config_static_selectorELNS0_4arch9wavefront6targetE1EEEvT1_.kd
    .uniform_work_group_size: 1
    .uses_dynamic_stack: false
    .vgpr_count:     0
    .vgpr_spill_count: 0
    .wavefront_size: 64
  - .agpr_count:     0
    .args:
      - .offset:         0
        .size:           128
        .value_kind:     by_value
    .group_segment_fixed_size: 15360
    .kernarg_segment_align: 8
    .kernarg_segment_size: 128
    .language:       OpenCL C
    .language_version:
      - 2
      - 0
    .max_flat_workgroup_size: 256
    .name:           _ZN7rocprim17ROCPRIM_400000_NS6detail17trampoline_kernelINS0_14default_configENS1_29reduce_by_key_config_selectorIjjN6thrust23THRUST_200600_302600_NS4plusIjEEEEZZNS1_33reduce_by_key_impl_wrapped_configILNS1_25lookback_scan_determinismE0ES3_S9_NS6_6detail15normal_iteratorINS6_10device_ptrIjEEEESG_NS6_16discard_iteratorINS6_11use_defaultEEESG_PmS8_NS6_8equal_toIjEEEE10hipError_tPvRmT2_T3_mT4_T5_T6_T7_T8_P12ihipStream_tbENKUlT_T0_E_clISt17integral_constantIbLb1EES14_EEDaSZ_S10_EUlSZ_E_NS1_11comp_targetILNS1_3genE4ELNS1_11target_archE910ELNS1_3gpuE8ELNS1_3repE0EEENS1_30default_config_static_selectorELNS0_4arch9wavefront6targetE1EEEvT1_
    .private_segment_fixed_size: 0
    .sgpr_count:     68
    .sgpr_spill_count: 0
    .symbol:         _ZN7rocprim17ROCPRIM_400000_NS6detail17trampoline_kernelINS0_14default_configENS1_29reduce_by_key_config_selectorIjjN6thrust23THRUST_200600_302600_NS4plusIjEEEEZZNS1_33reduce_by_key_impl_wrapped_configILNS1_25lookback_scan_determinismE0ES3_S9_NS6_6detail15normal_iteratorINS6_10device_ptrIjEEEESG_NS6_16discard_iteratorINS6_11use_defaultEEESG_PmS8_NS6_8equal_toIjEEEE10hipError_tPvRmT2_T3_mT4_T5_T6_T7_T8_P12ihipStream_tbENKUlT_T0_E_clISt17integral_constantIbLb1EES14_EEDaSZ_S10_EUlSZ_E_NS1_11comp_targetILNS1_3genE4ELNS1_11target_archE910ELNS1_3gpuE8ELNS1_3repE0EEENS1_30default_config_static_selectorELNS0_4arch9wavefront6targetE1EEEvT1_.kd
    .uniform_work_group_size: 1
    .uses_dynamic_stack: false
    .vgpr_count:     87
    .vgpr_spill_count: 0
    .wavefront_size: 64
  - .agpr_count:     0
    .args:
      - .offset:         0
        .size:           128
        .value_kind:     by_value
    .group_segment_fixed_size: 0
    .kernarg_segment_align: 8
    .kernarg_segment_size: 128
    .language:       OpenCL C
    .language_version:
      - 2
      - 0
    .max_flat_workgroup_size: 256
    .name:           _ZN7rocprim17ROCPRIM_400000_NS6detail17trampoline_kernelINS0_14default_configENS1_29reduce_by_key_config_selectorIjjN6thrust23THRUST_200600_302600_NS4plusIjEEEEZZNS1_33reduce_by_key_impl_wrapped_configILNS1_25lookback_scan_determinismE0ES3_S9_NS6_6detail15normal_iteratorINS6_10device_ptrIjEEEESG_NS6_16discard_iteratorINS6_11use_defaultEEESG_PmS8_NS6_8equal_toIjEEEE10hipError_tPvRmT2_T3_mT4_T5_T6_T7_T8_P12ihipStream_tbENKUlT_T0_E_clISt17integral_constantIbLb1EES14_EEDaSZ_S10_EUlSZ_E_NS1_11comp_targetILNS1_3genE3ELNS1_11target_archE908ELNS1_3gpuE7ELNS1_3repE0EEENS1_30default_config_static_selectorELNS0_4arch9wavefront6targetE1EEEvT1_
    .private_segment_fixed_size: 0
    .sgpr_count:     4
    .sgpr_spill_count: 0
    .symbol:         _ZN7rocprim17ROCPRIM_400000_NS6detail17trampoline_kernelINS0_14default_configENS1_29reduce_by_key_config_selectorIjjN6thrust23THRUST_200600_302600_NS4plusIjEEEEZZNS1_33reduce_by_key_impl_wrapped_configILNS1_25lookback_scan_determinismE0ES3_S9_NS6_6detail15normal_iteratorINS6_10device_ptrIjEEEESG_NS6_16discard_iteratorINS6_11use_defaultEEESG_PmS8_NS6_8equal_toIjEEEE10hipError_tPvRmT2_T3_mT4_T5_T6_T7_T8_P12ihipStream_tbENKUlT_T0_E_clISt17integral_constantIbLb1EES14_EEDaSZ_S10_EUlSZ_E_NS1_11comp_targetILNS1_3genE3ELNS1_11target_archE908ELNS1_3gpuE7ELNS1_3repE0EEENS1_30default_config_static_selectorELNS0_4arch9wavefront6targetE1EEEvT1_.kd
    .uniform_work_group_size: 1
    .uses_dynamic_stack: false
    .vgpr_count:     0
    .vgpr_spill_count: 0
    .wavefront_size: 64
  - .agpr_count:     0
    .args:
      - .offset:         0
        .size:           128
        .value_kind:     by_value
    .group_segment_fixed_size: 0
    .kernarg_segment_align: 8
    .kernarg_segment_size: 128
    .language:       OpenCL C
    .language_version:
      - 2
      - 0
    .max_flat_workgroup_size: 256
    .name:           _ZN7rocprim17ROCPRIM_400000_NS6detail17trampoline_kernelINS0_14default_configENS1_29reduce_by_key_config_selectorIjjN6thrust23THRUST_200600_302600_NS4plusIjEEEEZZNS1_33reduce_by_key_impl_wrapped_configILNS1_25lookback_scan_determinismE0ES3_S9_NS6_6detail15normal_iteratorINS6_10device_ptrIjEEEESG_NS6_16discard_iteratorINS6_11use_defaultEEESG_PmS8_NS6_8equal_toIjEEEE10hipError_tPvRmT2_T3_mT4_T5_T6_T7_T8_P12ihipStream_tbENKUlT_T0_E_clISt17integral_constantIbLb1EES14_EEDaSZ_S10_EUlSZ_E_NS1_11comp_targetILNS1_3genE2ELNS1_11target_archE906ELNS1_3gpuE6ELNS1_3repE0EEENS1_30default_config_static_selectorELNS0_4arch9wavefront6targetE1EEEvT1_
    .private_segment_fixed_size: 0
    .sgpr_count:     4
    .sgpr_spill_count: 0
    .symbol:         _ZN7rocprim17ROCPRIM_400000_NS6detail17trampoline_kernelINS0_14default_configENS1_29reduce_by_key_config_selectorIjjN6thrust23THRUST_200600_302600_NS4plusIjEEEEZZNS1_33reduce_by_key_impl_wrapped_configILNS1_25lookback_scan_determinismE0ES3_S9_NS6_6detail15normal_iteratorINS6_10device_ptrIjEEEESG_NS6_16discard_iteratorINS6_11use_defaultEEESG_PmS8_NS6_8equal_toIjEEEE10hipError_tPvRmT2_T3_mT4_T5_T6_T7_T8_P12ihipStream_tbENKUlT_T0_E_clISt17integral_constantIbLb1EES14_EEDaSZ_S10_EUlSZ_E_NS1_11comp_targetILNS1_3genE2ELNS1_11target_archE906ELNS1_3gpuE6ELNS1_3repE0EEENS1_30default_config_static_selectorELNS0_4arch9wavefront6targetE1EEEvT1_.kd
    .uniform_work_group_size: 1
    .uses_dynamic_stack: false
    .vgpr_count:     0
    .vgpr_spill_count: 0
    .wavefront_size: 64
  - .agpr_count:     0
    .args:
      - .offset:         0
        .size:           128
        .value_kind:     by_value
    .group_segment_fixed_size: 0
    .kernarg_segment_align: 8
    .kernarg_segment_size: 128
    .language:       OpenCL C
    .language_version:
      - 2
      - 0
    .max_flat_workgroup_size: 256
    .name:           _ZN7rocprim17ROCPRIM_400000_NS6detail17trampoline_kernelINS0_14default_configENS1_29reduce_by_key_config_selectorIjjN6thrust23THRUST_200600_302600_NS4plusIjEEEEZZNS1_33reduce_by_key_impl_wrapped_configILNS1_25lookback_scan_determinismE0ES3_S9_NS6_6detail15normal_iteratorINS6_10device_ptrIjEEEESG_NS6_16discard_iteratorINS6_11use_defaultEEESG_PmS8_NS6_8equal_toIjEEEE10hipError_tPvRmT2_T3_mT4_T5_T6_T7_T8_P12ihipStream_tbENKUlT_T0_E_clISt17integral_constantIbLb1EES14_EEDaSZ_S10_EUlSZ_E_NS1_11comp_targetILNS1_3genE10ELNS1_11target_archE1201ELNS1_3gpuE5ELNS1_3repE0EEENS1_30default_config_static_selectorELNS0_4arch9wavefront6targetE1EEEvT1_
    .private_segment_fixed_size: 0
    .sgpr_count:     4
    .sgpr_spill_count: 0
    .symbol:         _ZN7rocprim17ROCPRIM_400000_NS6detail17trampoline_kernelINS0_14default_configENS1_29reduce_by_key_config_selectorIjjN6thrust23THRUST_200600_302600_NS4plusIjEEEEZZNS1_33reduce_by_key_impl_wrapped_configILNS1_25lookback_scan_determinismE0ES3_S9_NS6_6detail15normal_iteratorINS6_10device_ptrIjEEEESG_NS6_16discard_iteratorINS6_11use_defaultEEESG_PmS8_NS6_8equal_toIjEEEE10hipError_tPvRmT2_T3_mT4_T5_T6_T7_T8_P12ihipStream_tbENKUlT_T0_E_clISt17integral_constantIbLb1EES14_EEDaSZ_S10_EUlSZ_E_NS1_11comp_targetILNS1_3genE10ELNS1_11target_archE1201ELNS1_3gpuE5ELNS1_3repE0EEENS1_30default_config_static_selectorELNS0_4arch9wavefront6targetE1EEEvT1_.kd
    .uniform_work_group_size: 1
    .uses_dynamic_stack: false
    .vgpr_count:     0
    .vgpr_spill_count: 0
    .wavefront_size: 64
  - .agpr_count:     0
    .args:
      - .offset:         0
        .size:           128
        .value_kind:     by_value
    .group_segment_fixed_size: 0
    .kernarg_segment_align: 8
    .kernarg_segment_size: 128
    .language:       OpenCL C
    .language_version:
      - 2
      - 0
    .max_flat_workgroup_size: 256
    .name:           _ZN7rocprim17ROCPRIM_400000_NS6detail17trampoline_kernelINS0_14default_configENS1_29reduce_by_key_config_selectorIjjN6thrust23THRUST_200600_302600_NS4plusIjEEEEZZNS1_33reduce_by_key_impl_wrapped_configILNS1_25lookback_scan_determinismE0ES3_S9_NS6_6detail15normal_iteratorINS6_10device_ptrIjEEEESG_NS6_16discard_iteratorINS6_11use_defaultEEESG_PmS8_NS6_8equal_toIjEEEE10hipError_tPvRmT2_T3_mT4_T5_T6_T7_T8_P12ihipStream_tbENKUlT_T0_E_clISt17integral_constantIbLb1EES14_EEDaSZ_S10_EUlSZ_E_NS1_11comp_targetILNS1_3genE10ELNS1_11target_archE1200ELNS1_3gpuE4ELNS1_3repE0EEENS1_30default_config_static_selectorELNS0_4arch9wavefront6targetE1EEEvT1_
    .private_segment_fixed_size: 0
    .sgpr_count:     4
    .sgpr_spill_count: 0
    .symbol:         _ZN7rocprim17ROCPRIM_400000_NS6detail17trampoline_kernelINS0_14default_configENS1_29reduce_by_key_config_selectorIjjN6thrust23THRUST_200600_302600_NS4plusIjEEEEZZNS1_33reduce_by_key_impl_wrapped_configILNS1_25lookback_scan_determinismE0ES3_S9_NS6_6detail15normal_iteratorINS6_10device_ptrIjEEEESG_NS6_16discard_iteratorINS6_11use_defaultEEESG_PmS8_NS6_8equal_toIjEEEE10hipError_tPvRmT2_T3_mT4_T5_T6_T7_T8_P12ihipStream_tbENKUlT_T0_E_clISt17integral_constantIbLb1EES14_EEDaSZ_S10_EUlSZ_E_NS1_11comp_targetILNS1_3genE10ELNS1_11target_archE1200ELNS1_3gpuE4ELNS1_3repE0EEENS1_30default_config_static_selectorELNS0_4arch9wavefront6targetE1EEEvT1_.kd
    .uniform_work_group_size: 1
    .uses_dynamic_stack: false
    .vgpr_count:     0
    .vgpr_spill_count: 0
    .wavefront_size: 64
  - .agpr_count:     0
    .args:
      - .offset:         0
        .size:           128
        .value_kind:     by_value
    .group_segment_fixed_size: 0
    .kernarg_segment_align: 8
    .kernarg_segment_size: 128
    .language:       OpenCL C
    .language_version:
      - 2
      - 0
    .max_flat_workgroup_size: 256
    .name:           _ZN7rocprim17ROCPRIM_400000_NS6detail17trampoline_kernelINS0_14default_configENS1_29reduce_by_key_config_selectorIjjN6thrust23THRUST_200600_302600_NS4plusIjEEEEZZNS1_33reduce_by_key_impl_wrapped_configILNS1_25lookback_scan_determinismE0ES3_S9_NS6_6detail15normal_iteratorINS6_10device_ptrIjEEEESG_NS6_16discard_iteratorINS6_11use_defaultEEESG_PmS8_NS6_8equal_toIjEEEE10hipError_tPvRmT2_T3_mT4_T5_T6_T7_T8_P12ihipStream_tbENKUlT_T0_E_clISt17integral_constantIbLb1EES14_EEDaSZ_S10_EUlSZ_E_NS1_11comp_targetILNS1_3genE9ELNS1_11target_archE1100ELNS1_3gpuE3ELNS1_3repE0EEENS1_30default_config_static_selectorELNS0_4arch9wavefront6targetE1EEEvT1_
    .private_segment_fixed_size: 0
    .sgpr_count:     4
    .sgpr_spill_count: 0
    .symbol:         _ZN7rocprim17ROCPRIM_400000_NS6detail17trampoline_kernelINS0_14default_configENS1_29reduce_by_key_config_selectorIjjN6thrust23THRUST_200600_302600_NS4plusIjEEEEZZNS1_33reduce_by_key_impl_wrapped_configILNS1_25lookback_scan_determinismE0ES3_S9_NS6_6detail15normal_iteratorINS6_10device_ptrIjEEEESG_NS6_16discard_iteratorINS6_11use_defaultEEESG_PmS8_NS6_8equal_toIjEEEE10hipError_tPvRmT2_T3_mT4_T5_T6_T7_T8_P12ihipStream_tbENKUlT_T0_E_clISt17integral_constantIbLb1EES14_EEDaSZ_S10_EUlSZ_E_NS1_11comp_targetILNS1_3genE9ELNS1_11target_archE1100ELNS1_3gpuE3ELNS1_3repE0EEENS1_30default_config_static_selectorELNS0_4arch9wavefront6targetE1EEEvT1_.kd
    .uniform_work_group_size: 1
    .uses_dynamic_stack: false
    .vgpr_count:     0
    .vgpr_spill_count: 0
    .wavefront_size: 64
  - .agpr_count:     0
    .args:
      - .offset:         0
        .size:           128
        .value_kind:     by_value
    .group_segment_fixed_size: 0
    .kernarg_segment_align: 8
    .kernarg_segment_size: 128
    .language:       OpenCL C
    .language_version:
      - 2
      - 0
    .max_flat_workgroup_size: 256
    .name:           _ZN7rocprim17ROCPRIM_400000_NS6detail17trampoline_kernelINS0_14default_configENS1_29reduce_by_key_config_selectorIjjN6thrust23THRUST_200600_302600_NS4plusIjEEEEZZNS1_33reduce_by_key_impl_wrapped_configILNS1_25lookback_scan_determinismE0ES3_S9_NS6_6detail15normal_iteratorINS6_10device_ptrIjEEEESG_NS6_16discard_iteratorINS6_11use_defaultEEESG_PmS8_NS6_8equal_toIjEEEE10hipError_tPvRmT2_T3_mT4_T5_T6_T7_T8_P12ihipStream_tbENKUlT_T0_E_clISt17integral_constantIbLb1EES14_EEDaSZ_S10_EUlSZ_E_NS1_11comp_targetILNS1_3genE8ELNS1_11target_archE1030ELNS1_3gpuE2ELNS1_3repE0EEENS1_30default_config_static_selectorELNS0_4arch9wavefront6targetE1EEEvT1_
    .private_segment_fixed_size: 0
    .sgpr_count:     4
    .sgpr_spill_count: 0
    .symbol:         _ZN7rocprim17ROCPRIM_400000_NS6detail17trampoline_kernelINS0_14default_configENS1_29reduce_by_key_config_selectorIjjN6thrust23THRUST_200600_302600_NS4plusIjEEEEZZNS1_33reduce_by_key_impl_wrapped_configILNS1_25lookback_scan_determinismE0ES3_S9_NS6_6detail15normal_iteratorINS6_10device_ptrIjEEEESG_NS6_16discard_iteratorINS6_11use_defaultEEESG_PmS8_NS6_8equal_toIjEEEE10hipError_tPvRmT2_T3_mT4_T5_T6_T7_T8_P12ihipStream_tbENKUlT_T0_E_clISt17integral_constantIbLb1EES14_EEDaSZ_S10_EUlSZ_E_NS1_11comp_targetILNS1_3genE8ELNS1_11target_archE1030ELNS1_3gpuE2ELNS1_3repE0EEENS1_30default_config_static_selectorELNS0_4arch9wavefront6targetE1EEEvT1_.kd
    .uniform_work_group_size: 1
    .uses_dynamic_stack: false
    .vgpr_count:     0
    .vgpr_spill_count: 0
    .wavefront_size: 64
  - .agpr_count:     0
    .args:
      - .offset:         0
        .size:           128
        .value_kind:     by_value
    .group_segment_fixed_size: 0
    .kernarg_segment_align: 8
    .kernarg_segment_size: 128
    .language:       OpenCL C
    .language_version:
      - 2
      - 0
    .max_flat_workgroup_size: 256
    .name:           _ZN7rocprim17ROCPRIM_400000_NS6detail17trampoline_kernelINS0_14default_configENS1_29reduce_by_key_config_selectorIjjN6thrust23THRUST_200600_302600_NS4plusIjEEEEZZNS1_33reduce_by_key_impl_wrapped_configILNS1_25lookback_scan_determinismE0ES3_S9_NS6_6detail15normal_iteratorINS6_10device_ptrIjEEEESG_NS6_16discard_iteratorINS6_11use_defaultEEESG_PmS8_NS6_8equal_toIjEEEE10hipError_tPvRmT2_T3_mT4_T5_T6_T7_T8_P12ihipStream_tbENKUlT_T0_E_clISt17integral_constantIbLb1EES13_IbLb0EEEEDaSZ_S10_EUlSZ_E_NS1_11comp_targetILNS1_3genE0ELNS1_11target_archE4294967295ELNS1_3gpuE0ELNS1_3repE0EEENS1_30default_config_static_selectorELNS0_4arch9wavefront6targetE1EEEvT1_
    .private_segment_fixed_size: 0
    .sgpr_count:     4
    .sgpr_spill_count: 0
    .symbol:         _ZN7rocprim17ROCPRIM_400000_NS6detail17trampoline_kernelINS0_14default_configENS1_29reduce_by_key_config_selectorIjjN6thrust23THRUST_200600_302600_NS4plusIjEEEEZZNS1_33reduce_by_key_impl_wrapped_configILNS1_25lookback_scan_determinismE0ES3_S9_NS6_6detail15normal_iteratorINS6_10device_ptrIjEEEESG_NS6_16discard_iteratorINS6_11use_defaultEEESG_PmS8_NS6_8equal_toIjEEEE10hipError_tPvRmT2_T3_mT4_T5_T6_T7_T8_P12ihipStream_tbENKUlT_T0_E_clISt17integral_constantIbLb1EES13_IbLb0EEEEDaSZ_S10_EUlSZ_E_NS1_11comp_targetILNS1_3genE0ELNS1_11target_archE4294967295ELNS1_3gpuE0ELNS1_3repE0EEENS1_30default_config_static_selectorELNS0_4arch9wavefront6targetE1EEEvT1_.kd
    .uniform_work_group_size: 1
    .uses_dynamic_stack: false
    .vgpr_count:     0
    .vgpr_spill_count: 0
    .wavefront_size: 64
  - .agpr_count:     0
    .args:
      - .offset:         0
        .size:           128
        .value_kind:     by_value
    .group_segment_fixed_size: 0
    .kernarg_segment_align: 8
    .kernarg_segment_size: 128
    .language:       OpenCL C
    .language_version:
      - 2
      - 0
    .max_flat_workgroup_size: 256
    .name:           _ZN7rocprim17ROCPRIM_400000_NS6detail17trampoline_kernelINS0_14default_configENS1_29reduce_by_key_config_selectorIjjN6thrust23THRUST_200600_302600_NS4plusIjEEEEZZNS1_33reduce_by_key_impl_wrapped_configILNS1_25lookback_scan_determinismE0ES3_S9_NS6_6detail15normal_iteratorINS6_10device_ptrIjEEEESG_NS6_16discard_iteratorINS6_11use_defaultEEESG_PmS8_NS6_8equal_toIjEEEE10hipError_tPvRmT2_T3_mT4_T5_T6_T7_T8_P12ihipStream_tbENKUlT_T0_E_clISt17integral_constantIbLb1EES13_IbLb0EEEEDaSZ_S10_EUlSZ_E_NS1_11comp_targetILNS1_3genE5ELNS1_11target_archE942ELNS1_3gpuE9ELNS1_3repE0EEENS1_30default_config_static_selectorELNS0_4arch9wavefront6targetE1EEEvT1_
    .private_segment_fixed_size: 0
    .sgpr_count:     4
    .sgpr_spill_count: 0
    .symbol:         _ZN7rocprim17ROCPRIM_400000_NS6detail17trampoline_kernelINS0_14default_configENS1_29reduce_by_key_config_selectorIjjN6thrust23THRUST_200600_302600_NS4plusIjEEEEZZNS1_33reduce_by_key_impl_wrapped_configILNS1_25lookback_scan_determinismE0ES3_S9_NS6_6detail15normal_iteratorINS6_10device_ptrIjEEEESG_NS6_16discard_iteratorINS6_11use_defaultEEESG_PmS8_NS6_8equal_toIjEEEE10hipError_tPvRmT2_T3_mT4_T5_T6_T7_T8_P12ihipStream_tbENKUlT_T0_E_clISt17integral_constantIbLb1EES13_IbLb0EEEEDaSZ_S10_EUlSZ_E_NS1_11comp_targetILNS1_3genE5ELNS1_11target_archE942ELNS1_3gpuE9ELNS1_3repE0EEENS1_30default_config_static_selectorELNS0_4arch9wavefront6targetE1EEEvT1_.kd
    .uniform_work_group_size: 1
    .uses_dynamic_stack: false
    .vgpr_count:     0
    .vgpr_spill_count: 0
    .wavefront_size: 64
  - .agpr_count:     0
    .args:
      - .offset:         0
        .size:           128
        .value_kind:     by_value
    .group_segment_fixed_size: 15360
    .kernarg_segment_align: 8
    .kernarg_segment_size: 128
    .language:       OpenCL C
    .language_version:
      - 2
      - 0
    .max_flat_workgroup_size: 256
    .name:           _ZN7rocprim17ROCPRIM_400000_NS6detail17trampoline_kernelINS0_14default_configENS1_29reduce_by_key_config_selectorIjjN6thrust23THRUST_200600_302600_NS4plusIjEEEEZZNS1_33reduce_by_key_impl_wrapped_configILNS1_25lookback_scan_determinismE0ES3_S9_NS6_6detail15normal_iteratorINS6_10device_ptrIjEEEESG_NS6_16discard_iteratorINS6_11use_defaultEEESG_PmS8_NS6_8equal_toIjEEEE10hipError_tPvRmT2_T3_mT4_T5_T6_T7_T8_P12ihipStream_tbENKUlT_T0_E_clISt17integral_constantIbLb1EES13_IbLb0EEEEDaSZ_S10_EUlSZ_E_NS1_11comp_targetILNS1_3genE4ELNS1_11target_archE910ELNS1_3gpuE8ELNS1_3repE0EEENS1_30default_config_static_selectorELNS0_4arch9wavefront6targetE1EEEvT1_
    .private_segment_fixed_size: 0
    .sgpr_count:     66
    .sgpr_spill_count: 0
    .symbol:         _ZN7rocprim17ROCPRIM_400000_NS6detail17trampoline_kernelINS0_14default_configENS1_29reduce_by_key_config_selectorIjjN6thrust23THRUST_200600_302600_NS4plusIjEEEEZZNS1_33reduce_by_key_impl_wrapped_configILNS1_25lookback_scan_determinismE0ES3_S9_NS6_6detail15normal_iteratorINS6_10device_ptrIjEEEESG_NS6_16discard_iteratorINS6_11use_defaultEEESG_PmS8_NS6_8equal_toIjEEEE10hipError_tPvRmT2_T3_mT4_T5_T6_T7_T8_P12ihipStream_tbENKUlT_T0_E_clISt17integral_constantIbLb1EES13_IbLb0EEEEDaSZ_S10_EUlSZ_E_NS1_11comp_targetILNS1_3genE4ELNS1_11target_archE910ELNS1_3gpuE8ELNS1_3repE0EEENS1_30default_config_static_selectorELNS0_4arch9wavefront6targetE1EEEvT1_.kd
    .uniform_work_group_size: 1
    .uses_dynamic_stack: false
    .vgpr_count:     87
    .vgpr_spill_count: 0
    .wavefront_size: 64
  - .agpr_count:     0
    .args:
      - .offset:         0
        .size:           128
        .value_kind:     by_value
    .group_segment_fixed_size: 0
    .kernarg_segment_align: 8
    .kernarg_segment_size: 128
    .language:       OpenCL C
    .language_version:
      - 2
      - 0
    .max_flat_workgroup_size: 256
    .name:           _ZN7rocprim17ROCPRIM_400000_NS6detail17trampoline_kernelINS0_14default_configENS1_29reduce_by_key_config_selectorIjjN6thrust23THRUST_200600_302600_NS4plusIjEEEEZZNS1_33reduce_by_key_impl_wrapped_configILNS1_25lookback_scan_determinismE0ES3_S9_NS6_6detail15normal_iteratorINS6_10device_ptrIjEEEESG_NS6_16discard_iteratorINS6_11use_defaultEEESG_PmS8_NS6_8equal_toIjEEEE10hipError_tPvRmT2_T3_mT4_T5_T6_T7_T8_P12ihipStream_tbENKUlT_T0_E_clISt17integral_constantIbLb1EES13_IbLb0EEEEDaSZ_S10_EUlSZ_E_NS1_11comp_targetILNS1_3genE3ELNS1_11target_archE908ELNS1_3gpuE7ELNS1_3repE0EEENS1_30default_config_static_selectorELNS0_4arch9wavefront6targetE1EEEvT1_
    .private_segment_fixed_size: 0
    .sgpr_count:     4
    .sgpr_spill_count: 0
    .symbol:         _ZN7rocprim17ROCPRIM_400000_NS6detail17trampoline_kernelINS0_14default_configENS1_29reduce_by_key_config_selectorIjjN6thrust23THRUST_200600_302600_NS4plusIjEEEEZZNS1_33reduce_by_key_impl_wrapped_configILNS1_25lookback_scan_determinismE0ES3_S9_NS6_6detail15normal_iteratorINS6_10device_ptrIjEEEESG_NS6_16discard_iteratorINS6_11use_defaultEEESG_PmS8_NS6_8equal_toIjEEEE10hipError_tPvRmT2_T3_mT4_T5_T6_T7_T8_P12ihipStream_tbENKUlT_T0_E_clISt17integral_constantIbLb1EES13_IbLb0EEEEDaSZ_S10_EUlSZ_E_NS1_11comp_targetILNS1_3genE3ELNS1_11target_archE908ELNS1_3gpuE7ELNS1_3repE0EEENS1_30default_config_static_selectorELNS0_4arch9wavefront6targetE1EEEvT1_.kd
    .uniform_work_group_size: 1
    .uses_dynamic_stack: false
    .vgpr_count:     0
    .vgpr_spill_count: 0
    .wavefront_size: 64
  - .agpr_count:     0
    .args:
      - .offset:         0
        .size:           128
        .value_kind:     by_value
    .group_segment_fixed_size: 0
    .kernarg_segment_align: 8
    .kernarg_segment_size: 128
    .language:       OpenCL C
    .language_version:
      - 2
      - 0
    .max_flat_workgroup_size: 256
    .name:           _ZN7rocprim17ROCPRIM_400000_NS6detail17trampoline_kernelINS0_14default_configENS1_29reduce_by_key_config_selectorIjjN6thrust23THRUST_200600_302600_NS4plusIjEEEEZZNS1_33reduce_by_key_impl_wrapped_configILNS1_25lookback_scan_determinismE0ES3_S9_NS6_6detail15normal_iteratorINS6_10device_ptrIjEEEESG_NS6_16discard_iteratorINS6_11use_defaultEEESG_PmS8_NS6_8equal_toIjEEEE10hipError_tPvRmT2_T3_mT4_T5_T6_T7_T8_P12ihipStream_tbENKUlT_T0_E_clISt17integral_constantIbLb1EES13_IbLb0EEEEDaSZ_S10_EUlSZ_E_NS1_11comp_targetILNS1_3genE2ELNS1_11target_archE906ELNS1_3gpuE6ELNS1_3repE0EEENS1_30default_config_static_selectorELNS0_4arch9wavefront6targetE1EEEvT1_
    .private_segment_fixed_size: 0
    .sgpr_count:     4
    .sgpr_spill_count: 0
    .symbol:         _ZN7rocprim17ROCPRIM_400000_NS6detail17trampoline_kernelINS0_14default_configENS1_29reduce_by_key_config_selectorIjjN6thrust23THRUST_200600_302600_NS4plusIjEEEEZZNS1_33reduce_by_key_impl_wrapped_configILNS1_25lookback_scan_determinismE0ES3_S9_NS6_6detail15normal_iteratorINS6_10device_ptrIjEEEESG_NS6_16discard_iteratorINS6_11use_defaultEEESG_PmS8_NS6_8equal_toIjEEEE10hipError_tPvRmT2_T3_mT4_T5_T6_T7_T8_P12ihipStream_tbENKUlT_T0_E_clISt17integral_constantIbLb1EES13_IbLb0EEEEDaSZ_S10_EUlSZ_E_NS1_11comp_targetILNS1_3genE2ELNS1_11target_archE906ELNS1_3gpuE6ELNS1_3repE0EEENS1_30default_config_static_selectorELNS0_4arch9wavefront6targetE1EEEvT1_.kd
    .uniform_work_group_size: 1
    .uses_dynamic_stack: false
    .vgpr_count:     0
    .vgpr_spill_count: 0
    .wavefront_size: 64
  - .agpr_count:     0
    .args:
      - .offset:         0
        .size:           128
        .value_kind:     by_value
    .group_segment_fixed_size: 0
    .kernarg_segment_align: 8
    .kernarg_segment_size: 128
    .language:       OpenCL C
    .language_version:
      - 2
      - 0
    .max_flat_workgroup_size: 256
    .name:           _ZN7rocprim17ROCPRIM_400000_NS6detail17trampoline_kernelINS0_14default_configENS1_29reduce_by_key_config_selectorIjjN6thrust23THRUST_200600_302600_NS4plusIjEEEEZZNS1_33reduce_by_key_impl_wrapped_configILNS1_25lookback_scan_determinismE0ES3_S9_NS6_6detail15normal_iteratorINS6_10device_ptrIjEEEESG_NS6_16discard_iteratorINS6_11use_defaultEEESG_PmS8_NS6_8equal_toIjEEEE10hipError_tPvRmT2_T3_mT4_T5_T6_T7_T8_P12ihipStream_tbENKUlT_T0_E_clISt17integral_constantIbLb1EES13_IbLb0EEEEDaSZ_S10_EUlSZ_E_NS1_11comp_targetILNS1_3genE10ELNS1_11target_archE1201ELNS1_3gpuE5ELNS1_3repE0EEENS1_30default_config_static_selectorELNS0_4arch9wavefront6targetE1EEEvT1_
    .private_segment_fixed_size: 0
    .sgpr_count:     4
    .sgpr_spill_count: 0
    .symbol:         _ZN7rocprim17ROCPRIM_400000_NS6detail17trampoline_kernelINS0_14default_configENS1_29reduce_by_key_config_selectorIjjN6thrust23THRUST_200600_302600_NS4plusIjEEEEZZNS1_33reduce_by_key_impl_wrapped_configILNS1_25lookback_scan_determinismE0ES3_S9_NS6_6detail15normal_iteratorINS6_10device_ptrIjEEEESG_NS6_16discard_iteratorINS6_11use_defaultEEESG_PmS8_NS6_8equal_toIjEEEE10hipError_tPvRmT2_T3_mT4_T5_T6_T7_T8_P12ihipStream_tbENKUlT_T0_E_clISt17integral_constantIbLb1EES13_IbLb0EEEEDaSZ_S10_EUlSZ_E_NS1_11comp_targetILNS1_3genE10ELNS1_11target_archE1201ELNS1_3gpuE5ELNS1_3repE0EEENS1_30default_config_static_selectorELNS0_4arch9wavefront6targetE1EEEvT1_.kd
    .uniform_work_group_size: 1
    .uses_dynamic_stack: false
    .vgpr_count:     0
    .vgpr_spill_count: 0
    .wavefront_size: 64
  - .agpr_count:     0
    .args:
      - .offset:         0
        .size:           128
        .value_kind:     by_value
    .group_segment_fixed_size: 0
    .kernarg_segment_align: 8
    .kernarg_segment_size: 128
    .language:       OpenCL C
    .language_version:
      - 2
      - 0
    .max_flat_workgroup_size: 256
    .name:           _ZN7rocprim17ROCPRIM_400000_NS6detail17trampoline_kernelINS0_14default_configENS1_29reduce_by_key_config_selectorIjjN6thrust23THRUST_200600_302600_NS4plusIjEEEEZZNS1_33reduce_by_key_impl_wrapped_configILNS1_25lookback_scan_determinismE0ES3_S9_NS6_6detail15normal_iteratorINS6_10device_ptrIjEEEESG_NS6_16discard_iteratorINS6_11use_defaultEEESG_PmS8_NS6_8equal_toIjEEEE10hipError_tPvRmT2_T3_mT4_T5_T6_T7_T8_P12ihipStream_tbENKUlT_T0_E_clISt17integral_constantIbLb1EES13_IbLb0EEEEDaSZ_S10_EUlSZ_E_NS1_11comp_targetILNS1_3genE10ELNS1_11target_archE1200ELNS1_3gpuE4ELNS1_3repE0EEENS1_30default_config_static_selectorELNS0_4arch9wavefront6targetE1EEEvT1_
    .private_segment_fixed_size: 0
    .sgpr_count:     4
    .sgpr_spill_count: 0
    .symbol:         _ZN7rocprim17ROCPRIM_400000_NS6detail17trampoline_kernelINS0_14default_configENS1_29reduce_by_key_config_selectorIjjN6thrust23THRUST_200600_302600_NS4plusIjEEEEZZNS1_33reduce_by_key_impl_wrapped_configILNS1_25lookback_scan_determinismE0ES3_S9_NS6_6detail15normal_iteratorINS6_10device_ptrIjEEEESG_NS6_16discard_iteratorINS6_11use_defaultEEESG_PmS8_NS6_8equal_toIjEEEE10hipError_tPvRmT2_T3_mT4_T5_T6_T7_T8_P12ihipStream_tbENKUlT_T0_E_clISt17integral_constantIbLb1EES13_IbLb0EEEEDaSZ_S10_EUlSZ_E_NS1_11comp_targetILNS1_3genE10ELNS1_11target_archE1200ELNS1_3gpuE4ELNS1_3repE0EEENS1_30default_config_static_selectorELNS0_4arch9wavefront6targetE1EEEvT1_.kd
    .uniform_work_group_size: 1
    .uses_dynamic_stack: false
    .vgpr_count:     0
    .vgpr_spill_count: 0
    .wavefront_size: 64
  - .agpr_count:     0
    .args:
      - .offset:         0
        .size:           128
        .value_kind:     by_value
    .group_segment_fixed_size: 0
    .kernarg_segment_align: 8
    .kernarg_segment_size: 128
    .language:       OpenCL C
    .language_version:
      - 2
      - 0
    .max_flat_workgroup_size: 256
    .name:           _ZN7rocprim17ROCPRIM_400000_NS6detail17trampoline_kernelINS0_14default_configENS1_29reduce_by_key_config_selectorIjjN6thrust23THRUST_200600_302600_NS4plusIjEEEEZZNS1_33reduce_by_key_impl_wrapped_configILNS1_25lookback_scan_determinismE0ES3_S9_NS6_6detail15normal_iteratorINS6_10device_ptrIjEEEESG_NS6_16discard_iteratorINS6_11use_defaultEEESG_PmS8_NS6_8equal_toIjEEEE10hipError_tPvRmT2_T3_mT4_T5_T6_T7_T8_P12ihipStream_tbENKUlT_T0_E_clISt17integral_constantIbLb1EES13_IbLb0EEEEDaSZ_S10_EUlSZ_E_NS1_11comp_targetILNS1_3genE9ELNS1_11target_archE1100ELNS1_3gpuE3ELNS1_3repE0EEENS1_30default_config_static_selectorELNS0_4arch9wavefront6targetE1EEEvT1_
    .private_segment_fixed_size: 0
    .sgpr_count:     4
    .sgpr_spill_count: 0
    .symbol:         _ZN7rocprim17ROCPRIM_400000_NS6detail17trampoline_kernelINS0_14default_configENS1_29reduce_by_key_config_selectorIjjN6thrust23THRUST_200600_302600_NS4plusIjEEEEZZNS1_33reduce_by_key_impl_wrapped_configILNS1_25lookback_scan_determinismE0ES3_S9_NS6_6detail15normal_iteratorINS6_10device_ptrIjEEEESG_NS6_16discard_iteratorINS6_11use_defaultEEESG_PmS8_NS6_8equal_toIjEEEE10hipError_tPvRmT2_T3_mT4_T5_T6_T7_T8_P12ihipStream_tbENKUlT_T0_E_clISt17integral_constantIbLb1EES13_IbLb0EEEEDaSZ_S10_EUlSZ_E_NS1_11comp_targetILNS1_3genE9ELNS1_11target_archE1100ELNS1_3gpuE3ELNS1_3repE0EEENS1_30default_config_static_selectorELNS0_4arch9wavefront6targetE1EEEvT1_.kd
    .uniform_work_group_size: 1
    .uses_dynamic_stack: false
    .vgpr_count:     0
    .vgpr_spill_count: 0
    .wavefront_size: 64
  - .agpr_count:     0
    .args:
      - .offset:         0
        .size:           128
        .value_kind:     by_value
    .group_segment_fixed_size: 0
    .kernarg_segment_align: 8
    .kernarg_segment_size: 128
    .language:       OpenCL C
    .language_version:
      - 2
      - 0
    .max_flat_workgroup_size: 256
    .name:           _ZN7rocprim17ROCPRIM_400000_NS6detail17trampoline_kernelINS0_14default_configENS1_29reduce_by_key_config_selectorIjjN6thrust23THRUST_200600_302600_NS4plusIjEEEEZZNS1_33reduce_by_key_impl_wrapped_configILNS1_25lookback_scan_determinismE0ES3_S9_NS6_6detail15normal_iteratorINS6_10device_ptrIjEEEESG_NS6_16discard_iteratorINS6_11use_defaultEEESG_PmS8_NS6_8equal_toIjEEEE10hipError_tPvRmT2_T3_mT4_T5_T6_T7_T8_P12ihipStream_tbENKUlT_T0_E_clISt17integral_constantIbLb1EES13_IbLb0EEEEDaSZ_S10_EUlSZ_E_NS1_11comp_targetILNS1_3genE8ELNS1_11target_archE1030ELNS1_3gpuE2ELNS1_3repE0EEENS1_30default_config_static_selectorELNS0_4arch9wavefront6targetE1EEEvT1_
    .private_segment_fixed_size: 0
    .sgpr_count:     4
    .sgpr_spill_count: 0
    .symbol:         _ZN7rocprim17ROCPRIM_400000_NS6detail17trampoline_kernelINS0_14default_configENS1_29reduce_by_key_config_selectorIjjN6thrust23THRUST_200600_302600_NS4plusIjEEEEZZNS1_33reduce_by_key_impl_wrapped_configILNS1_25lookback_scan_determinismE0ES3_S9_NS6_6detail15normal_iteratorINS6_10device_ptrIjEEEESG_NS6_16discard_iteratorINS6_11use_defaultEEESG_PmS8_NS6_8equal_toIjEEEE10hipError_tPvRmT2_T3_mT4_T5_T6_T7_T8_P12ihipStream_tbENKUlT_T0_E_clISt17integral_constantIbLb1EES13_IbLb0EEEEDaSZ_S10_EUlSZ_E_NS1_11comp_targetILNS1_3genE8ELNS1_11target_archE1030ELNS1_3gpuE2ELNS1_3repE0EEENS1_30default_config_static_selectorELNS0_4arch9wavefront6targetE1EEEvT1_.kd
    .uniform_work_group_size: 1
    .uses_dynamic_stack: false
    .vgpr_count:     0
    .vgpr_spill_count: 0
    .wavefront_size: 64
  - .agpr_count:     0
    .args:
      - .offset:         0
        .size:           128
        .value_kind:     by_value
    .group_segment_fixed_size: 0
    .kernarg_segment_align: 8
    .kernarg_segment_size: 128
    .language:       OpenCL C
    .language_version:
      - 2
      - 0
    .max_flat_workgroup_size: 256
    .name:           _ZN7rocprim17ROCPRIM_400000_NS6detail17trampoline_kernelINS0_14default_configENS1_29reduce_by_key_config_selectorIjjN6thrust23THRUST_200600_302600_NS4plusIjEEEEZZNS1_33reduce_by_key_impl_wrapped_configILNS1_25lookback_scan_determinismE0ES3_S9_NS6_6detail15normal_iteratorINS6_10device_ptrIjEEEESG_NS6_16discard_iteratorINS6_11use_defaultEEESG_PmS8_NS6_8equal_toIjEEEE10hipError_tPvRmT2_T3_mT4_T5_T6_T7_T8_P12ihipStream_tbENKUlT_T0_E_clISt17integral_constantIbLb0EES13_IbLb1EEEEDaSZ_S10_EUlSZ_E_NS1_11comp_targetILNS1_3genE0ELNS1_11target_archE4294967295ELNS1_3gpuE0ELNS1_3repE0EEENS1_30default_config_static_selectorELNS0_4arch9wavefront6targetE1EEEvT1_
    .private_segment_fixed_size: 0
    .sgpr_count:     4
    .sgpr_spill_count: 0
    .symbol:         _ZN7rocprim17ROCPRIM_400000_NS6detail17trampoline_kernelINS0_14default_configENS1_29reduce_by_key_config_selectorIjjN6thrust23THRUST_200600_302600_NS4plusIjEEEEZZNS1_33reduce_by_key_impl_wrapped_configILNS1_25lookback_scan_determinismE0ES3_S9_NS6_6detail15normal_iteratorINS6_10device_ptrIjEEEESG_NS6_16discard_iteratorINS6_11use_defaultEEESG_PmS8_NS6_8equal_toIjEEEE10hipError_tPvRmT2_T3_mT4_T5_T6_T7_T8_P12ihipStream_tbENKUlT_T0_E_clISt17integral_constantIbLb0EES13_IbLb1EEEEDaSZ_S10_EUlSZ_E_NS1_11comp_targetILNS1_3genE0ELNS1_11target_archE4294967295ELNS1_3gpuE0ELNS1_3repE0EEENS1_30default_config_static_selectorELNS0_4arch9wavefront6targetE1EEEvT1_.kd
    .uniform_work_group_size: 1
    .uses_dynamic_stack: false
    .vgpr_count:     0
    .vgpr_spill_count: 0
    .wavefront_size: 64
  - .agpr_count:     0
    .args:
      - .offset:         0
        .size:           128
        .value_kind:     by_value
    .group_segment_fixed_size: 0
    .kernarg_segment_align: 8
    .kernarg_segment_size: 128
    .language:       OpenCL C
    .language_version:
      - 2
      - 0
    .max_flat_workgroup_size: 256
    .name:           _ZN7rocprim17ROCPRIM_400000_NS6detail17trampoline_kernelINS0_14default_configENS1_29reduce_by_key_config_selectorIjjN6thrust23THRUST_200600_302600_NS4plusIjEEEEZZNS1_33reduce_by_key_impl_wrapped_configILNS1_25lookback_scan_determinismE0ES3_S9_NS6_6detail15normal_iteratorINS6_10device_ptrIjEEEESG_NS6_16discard_iteratorINS6_11use_defaultEEESG_PmS8_NS6_8equal_toIjEEEE10hipError_tPvRmT2_T3_mT4_T5_T6_T7_T8_P12ihipStream_tbENKUlT_T0_E_clISt17integral_constantIbLb0EES13_IbLb1EEEEDaSZ_S10_EUlSZ_E_NS1_11comp_targetILNS1_3genE5ELNS1_11target_archE942ELNS1_3gpuE9ELNS1_3repE0EEENS1_30default_config_static_selectorELNS0_4arch9wavefront6targetE1EEEvT1_
    .private_segment_fixed_size: 0
    .sgpr_count:     4
    .sgpr_spill_count: 0
    .symbol:         _ZN7rocprim17ROCPRIM_400000_NS6detail17trampoline_kernelINS0_14default_configENS1_29reduce_by_key_config_selectorIjjN6thrust23THRUST_200600_302600_NS4plusIjEEEEZZNS1_33reduce_by_key_impl_wrapped_configILNS1_25lookback_scan_determinismE0ES3_S9_NS6_6detail15normal_iteratorINS6_10device_ptrIjEEEESG_NS6_16discard_iteratorINS6_11use_defaultEEESG_PmS8_NS6_8equal_toIjEEEE10hipError_tPvRmT2_T3_mT4_T5_T6_T7_T8_P12ihipStream_tbENKUlT_T0_E_clISt17integral_constantIbLb0EES13_IbLb1EEEEDaSZ_S10_EUlSZ_E_NS1_11comp_targetILNS1_3genE5ELNS1_11target_archE942ELNS1_3gpuE9ELNS1_3repE0EEENS1_30default_config_static_selectorELNS0_4arch9wavefront6targetE1EEEvT1_.kd
    .uniform_work_group_size: 1
    .uses_dynamic_stack: false
    .vgpr_count:     0
    .vgpr_spill_count: 0
    .wavefront_size: 64
  - .agpr_count:     0
    .args:
      - .offset:         0
        .size:           128
        .value_kind:     by_value
    .group_segment_fixed_size: 15360
    .kernarg_segment_align: 8
    .kernarg_segment_size: 128
    .language:       OpenCL C
    .language_version:
      - 2
      - 0
    .max_flat_workgroup_size: 256
    .name:           _ZN7rocprim17ROCPRIM_400000_NS6detail17trampoline_kernelINS0_14default_configENS1_29reduce_by_key_config_selectorIjjN6thrust23THRUST_200600_302600_NS4plusIjEEEEZZNS1_33reduce_by_key_impl_wrapped_configILNS1_25lookback_scan_determinismE0ES3_S9_NS6_6detail15normal_iteratorINS6_10device_ptrIjEEEESG_NS6_16discard_iteratorINS6_11use_defaultEEESG_PmS8_NS6_8equal_toIjEEEE10hipError_tPvRmT2_T3_mT4_T5_T6_T7_T8_P12ihipStream_tbENKUlT_T0_E_clISt17integral_constantIbLb0EES13_IbLb1EEEEDaSZ_S10_EUlSZ_E_NS1_11comp_targetILNS1_3genE4ELNS1_11target_archE910ELNS1_3gpuE8ELNS1_3repE0EEENS1_30default_config_static_selectorELNS0_4arch9wavefront6targetE1EEEvT1_
    .private_segment_fixed_size: 0
    .sgpr_count:     68
    .sgpr_spill_count: 0
    .symbol:         _ZN7rocprim17ROCPRIM_400000_NS6detail17trampoline_kernelINS0_14default_configENS1_29reduce_by_key_config_selectorIjjN6thrust23THRUST_200600_302600_NS4plusIjEEEEZZNS1_33reduce_by_key_impl_wrapped_configILNS1_25lookback_scan_determinismE0ES3_S9_NS6_6detail15normal_iteratorINS6_10device_ptrIjEEEESG_NS6_16discard_iteratorINS6_11use_defaultEEESG_PmS8_NS6_8equal_toIjEEEE10hipError_tPvRmT2_T3_mT4_T5_T6_T7_T8_P12ihipStream_tbENKUlT_T0_E_clISt17integral_constantIbLb0EES13_IbLb1EEEEDaSZ_S10_EUlSZ_E_NS1_11comp_targetILNS1_3genE4ELNS1_11target_archE910ELNS1_3gpuE8ELNS1_3repE0EEENS1_30default_config_static_selectorELNS0_4arch9wavefront6targetE1EEEvT1_.kd
    .uniform_work_group_size: 1
    .uses_dynamic_stack: false
    .vgpr_count:     87
    .vgpr_spill_count: 0
    .wavefront_size: 64
  - .agpr_count:     0
    .args:
      - .offset:         0
        .size:           128
        .value_kind:     by_value
    .group_segment_fixed_size: 0
    .kernarg_segment_align: 8
    .kernarg_segment_size: 128
    .language:       OpenCL C
    .language_version:
      - 2
      - 0
    .max_flat_workgroup_size: 256
    .name:           _ZN7rocprim17ROCPRIM_400000_NS6detail17trampoline_kernelINS0_14default_configENS1_29reduce_by_key_config_selectorIjjN6thrust23THRUST_200600_302600_NS4plusIjEEEEZZNS1_33reduce_by_key_impl_wrapped_configILNS1_25lookback_scan_determinismE0ES3_S9_NS6_6detail15normal_iteratorINS6_10device_ptrIjEEEESG_NS6_16discard_iteratorINS6_11use_defaultEEESG_PmS8_NS6_8equal_toIjEEEE10hipError_tPvRmT2_T3_mT4_T5_T6_T7_T8_P12ihipStream_tbENKUlT_T0_E_clISt17integral_constantIbLb0EES13_IbLb1EEEEDaSZ_S10_EUlSZ_E_NS1_11comp_targetILNS1_3genE3ELNS1_11target_archE908ELNS1_3gpuE7ELNS1_3repE0EEENS1_30default_config_static_selectorELNS0_4arch9wavefront6targetE1EEEvT1_
    .private_segment_fixed_size: 0
    .sgpr_count:     4
    .sgpr_spill_count: 0
    .symbol:         _ZN7rocprim17ROCPRIM_400000_NS6detail17trampoline_kernelINS0_14default_configENS1_29reduce_by_key_config_selectorIjjN6thrust23THRUST_200600_302600_NS4plusIjEEEEZZNS1_33reduce_by_key_impl_wrapped_configILNS1_25lookback_scan_determinismE0ES3_S9_NS6_6detail15normal_iteratorINS6_10device_ptrIjEEEESG_NS6_16discard_iteratorINS6_11use_defaultEEESG_PmS8_NS6_8equal_toIjEEEE10hipError_tPvRmT2_T3_mT4_T5_T6_T7_T8_P12ihipStream_tbENKUlT_T0_E_clISt17integral_constantIbLb0EES13_IbLb1EEEEDaSZ_S10_EUlSZ_E_NS1_11comp_targetILNS1_3genE3ELNS1_11target_archE908ELNS1_3gpuE7ELNS1_3repE0EEENS1_30default_config_static_selectorELNS0_4arch9wavefront6targetE1EEEvT1_.kd
    .uniform_work_group_size: 1
    .uses_dynamic_stack: false
    .vgpr_count:     0
    .vgpr_spill_count: 0
    .wavefront_size: 64
  - .agpr_count:     0
    .args:
      - .offset:         0
        .size:           128
        .value_kind:     by_value
    .group_segment_fixed_size: 0
    .kernarg_segment_align: 8
    .kernarg_segment_size: 128
    .language:       OpenCL C
    .language_version:
      - 2
      - 0
    .max_flat_workgroup_size: 256
    .name:           _ZN7rocprim17ROCPRIM_400000_NS6detail17trampoline_kernelINS0_14default_configENS1_29reduce_by_key_config_selectorIjjN6thrust23THRUST_200600_302600_NS4plusIjEEEEZZNS1_33reduce_by_key_impl_wrapped_configILNS1_25lookback_scan_determinismE0ES3_S9_NS6_6detail15normal_iteratorINS6_10device_ptrIjEEEESG_NS6_16discard_iteratorINS6_11use_defaultEEESG_PmS8_NS6_8equal_toIjEEEE10hipError_tPvRmT2_T3_mT4_T5_T6_T7_T8_P12ihipStream_tbENKUlT_T0_E_clISt17integral_constantIbLb0EES13_IbLb1EEEEDaSZ_S10_EUlSZ_E_NS1_11comp_targetILNS1_3genE2ELNS1_11target_archE906ELNS1_3gpuE6ELNS1_3repE0EEENS1_30default_config_static_selectorELNS0_4arch9wavefront6targetE1EEEvT1_
    .private_segment_fixed_size: 0
    .sgpr_count:     4
    .sgpr_spill_count: 0
    .symbol:         _ZN7rocprim17ROCPRIM_400000_NS6detail17trampoline_kernelINS0_14default_configENS1_29reduce_by_key_config_selectorIjjN6thrust23THRUST_200600_302600_NS4plusIjEEEEZZNS1_33reduce_by_key_impl_wrapped_configILNS1_25lookback_scan_determinismE0ES3_S9_NS6_6detail15normal_iteratorINS6_10device_ptrIjEEEESG_NS6_16discard_iteratorINS6_11use_defaultEEESG_PmS8_NS6_8equal_toIjEEEE10hipError_tPvRmT2_T3_mT4_T5_T6_T7_T8_P12ihipStream_tbENKUlT_T0_E_clISt17integral_constantIbLb0EES13_IbLb1EEEEDaSZ_S10_EUlSZ_E_NS1_11comp_targetILNS1_3genE2ELNS1_11target_archE906ELNS1_3gpuE6ELNS1_3repE0EEENS1_30default_config_static_selectorELNS0_4arch9wavefront6targetE1EEEvT1_.kd
    .uniform_work_group_size: 1
    .uses_dynamic_stack: false
    .vgpr_count:     0
    .vgpr_spill_count: 0
    .wavefront_size: 64
  - .agpr_count:     0
    .args:
      - .offset:         0
        .size:           128
        .value_kind:     by_value
    .group_segment_fixed_size: 0
    .kernarg_segment_align: 8
    .kernarg_segment_size: 128
    .language:       OpenCL C
    .language_version:
      - 2
      - 0
    .max_flat_workgroup_size: 256
    .name:           _ZN7rocprim17ROCPRIM_400000_NS6detail17trampoline_kernelINS0_14default_configENS1_29reduce_by_key_config_selectorIjjN6thrust23THRUST_200600_302600_NS4plusIjEEEEZZNS1_33reduce_by_key_impl_wrapped_configILNS1_25lookback_scan_determinismE0ES3_S9_NS6_6detail15normal_iteratorINS6_10device_ptrIjEEEESG_NS6_16discard_iteratorINS6_11use_defaultEEESG_PmS8_NS6_8equal_toIjEEEE10hipError_tPvRmT2_T3_mT4_T5_T6_T7_T8_P12ihipStream_tbENKUlT_T0_E_clISt17integral_constantIbLb0EES13_IbLb1EEEEDaSZ_S10_EUlSZ_E_NS1_11comp_targetILNS1_3genE10ELNS1_11target_archE1201ELNS1_3gpuE5ELNS1_3repE0EEENS1_30default_config_static_selectorELNS0_4arch9wavefront6targetE1EEEvT1_
    .private_segment_fixed_size: 0
    .sgpr_count:     4
    .sgpr_spill_count: 0
    .symbol:         _ZN7rocprim17ROCPRIM_400000_NS6detail17trampoline_kernelINS0_14default_configENS1_29reduce_by_key_config_selectorIjjN6thrust23THRUST_200600_302600_NS4plusIjEEEEZZNS1_33reduce_by_key_impl_wrapped_configILNS1_25lookback_scan_determinismE0ES3_S9_NS6_6detail15normal_iteratorINS6_10device_ptrIjEEEESG_NS6_16discard_iteratorINS6_11use_defaultEEESG_PmS8_NS6_8equal_toIjEEEE10hipError_tPvRmT2_T3_mT4_T5_T6_T7_T8_P12ihipStream_tbENKUlT_T0_E_clISt17integral_constantIbLb0EES13_IbLb1EEEEDaSZ_S10_EUlSZ_E_NS1_11comp_targetILNS1_3genE10ELNS1_11target_archE1201ELNS1_3gpuE5ELNS1_3repE0EEENS1_30default_config_static_selectorELNS0_4arch9wavefront6targetE1EEEvT1_.kd
    .uniform_work_group_size: 1
    .uses_dynamic_stack: false
    .vgpr_count:     0
    .vgpr_spill_count: 0
    .wavefront_size: 64
  - .agpr_count:     0
    .args:
      - .offset:         0
        .size:           128
        .value_kind:     by_value
    .group_segment_fixed_size: 0
    .kernarg_segment_align: 8
    .kernarg_segment_size: 128
    .language:       OpenCL C
    .language_version:
      - 2
      - 0
    .max_flat_workgroup_size: 256
    .name:           _ZN7rocprim17ROCPRIM_400000_NS6detail17trampoline_kernelINS0_14default_configENS1_29reduce_by_key_config_selectorIjjN6thrust23THRUST_200600_302600_NS4plusIjEEEEZZNS1_33reduce_by_key_impl_wrapped_configILNS1_25lookback_scan_determinismE0ES3_S9_NS6_6detail15normal_iteratorINS6_10device_ptrIjEEEESG_NS6_16discard_iteratorINS6_11use_defaultEEESG_PmS8_NS6_8equal_toIjEEEE10hipError_tPvRmT2_T3_mT4_T5_T6_T7_T8_P12ihipStream_tbENKUlT_T0_E_clISt17integral_constantIbLb0EES13_IbLb1EEEEDaSZ_S10_EUlSZ_E_NS1_11comp_targetILNS1_3genE10ELNS1_11target_archE1200ELNS1_3gpuE4ELNS1_3repE0EEENS1_30default_config_static_selectorELNS0_4arch9wavefront6targetE1EEEvT1_
    .private_segment_fixed_size: 0
    .sgpr_count:     4
    .sgpr_spill_count: 0
    .symbol:         _ZN7rocprim17ROCPRIM_400000_NS6detail17trampoline_kernelINS0_14default_configENS1_29reduce_by_key_config_selectorIjjN6thrust23THRUST_200600_302600_NS4plusIjEEEEZZNS1_33reduce_by_key_impl_wrapped_configILNS1_25lookback_scan_determinismE0ES3_S9_NS6_6detail15normal_iteratorINS6_10device_ptrIjEEEESG_NS6_16discard_iteratorINS6_11use_defaultEEESG_PmS8_NS6_8equal_toIjEEEE10hipError_tPvRmT2_T3_mT4_T5_T6_T7_T8_P12ihipStream_tbENKUlT_T0_E_clISt17integral_constantIbLb0EES13_IbLb1EEEEDaSZ_S10_EUlSZ_E_NS1_11comp_targetILNS1_3genE10ELNS1_11target_archE1200ELNS1_3gpuE4ELNS1_3repE0EEENS1_30default_config_static_selectorELNS0_4arch9wavefront6targetE1EEEvT1_.kd
    .uniform_work_group_size: 1
    .uses_dynamic_stack: false
    .vgpr_count:     0
    .vgpr_spill_count: 0
    .wavefront_size: 64
  - .agpr_count:     0
    .args:
      - .offset:         0
        .size:           128
        .value_kind:     by_value
    .group_segment_fixed_size: 0
    .kernarg_segment_align: 8
    .kernarg_segment_size: 128
    .language:       OpenCL C
    .language_version:
      - 2
      - 0
    .max_flat_workgroup_size: 256
    .name:           _ZN7rocprim17ROCPRIM_400000_NS6detail17trampoline_kernelINS0_14default_configENS1_29reduce_by_key_config_selectorIjjN6thrust23THRUST_200600_302600_NS4plusIjEEEEZZNS1_33reduce_by_key_impl_wrapped_configILNS1_25lookback_scan_determinismE0ES3_S9_NS6_6detail15normal_iteratorINS6_10device_ptrIjEEEESG_NS6_16discard_iteratorINS6_11use_defaultEEESG_PmS8_NS6_8equal_toIjEEEE10hipError_tPvRmT2_T3_mT4_T5_T6_T7_T8_P12ihipStream_tbENKUlT_T0_E_clISt17integral_constantIbLb0EES13_IbLb1EEEEDaSZ_S10_EUlSZ_E_NS1_11comp_targetILNS1_3genE9ELNS1_11target_archE1100ELNS1_3gpuE3ELNS1_3repE0EEENS1_30default_config_static_selectorELNS0_4arch9wavefront6targetE1EEEvT1_
    .private_segment_fixed_size: 0
    .sgpr_count:     4
    .sgpr_spill_count: 0
    .symbol:         _ZN7rocprim17ROCPRIM_400000_NS6detail17trampoline_kernelINS0_14default_configENS1_29reduce_by_key_config_selectorIjjN6thrust23THRUST_200600_302600_NS4plusIjEEEEZZNS1_33reduce_by_key_impl_wrapped_configILNS1_25lookback_scan_determinismE0ES3_S9_NS6_6detail15normal_iteratorINS6_10device_ptrIjEEEESG_NS6_16discard_iteratorINS6_11use_defaultEEESG_PmS8_NS6_8equal_toIjEEEE10hipError_tPvRmT2_T3_mT4_T5_T6_T7_T8_P12ihipStream_tbENKUlT_T0_E_clISt17integral_constantIbLb0EES13_IbLb1EEEEDaSZ_S10_EUlSZ_E_NS1_11comp_targetILNS1_3genE9ELNS1_11target_archE1100ELNS1_3gpuE3ELNS1_3repE0EEENS1_30default_config_static_selectorELNS0_4arch9wavefront6targetE1EEEvT1_.kd
    .uniform_work_group_size: 1
    .uses_dynamic_stack: false
    .vgpr_count:     0
    .vgpr_spill_count: 0
    .wavefront_size: 64
  - .agpr_count:     0
    .args:
      - .offset:         0
        .size:           128
        .value_kind:     by_value
    .group_segment_fixed_size: 0
    .kernarg_segment_align: 8
    .kernarg_segment_size: 128
    .language:       OpenCL C
    .language_version:
      - 2
      - 0
    .max_flat_workgroup_size: 256
    .name:           _ZN7rocprim17ROCPRIM_400000_NS6detail17trampoline_kernelINS0_14default_configENS1_29reduce_by_key_config_selectorIjjN6thrust23THRUST_200600_302600_NS4plusIjEEEEZZNS1_33reduce_by_key_impl_wrapped_configILNS1_25lookback_scan_determinismE0ES3_S9_NS6_6detail15normal_iteratorINS6_10device_ptrIjEEEESG_NS6_16discard_iteratorINS6_11use_defaultEEESG_PmS8_NS6_8equal_toIjEEEE10hipError_tPvRmT2_T3_mT4_T5_T6_T7_T8_P12ihipStream_tbENKUlT_T0_E_clISt17integral_constantIbLb0EES13_IbLb1EEEEDaSZ_S10_EUlSZ_E_NS1_11comp_targetILNS1_3genE8ELNS1_11target_archE1030ELNS1_3gpuE2ELNS1_3repE0EEENS1_30default_config_static_selectorELNS0_4arch9wavefront6targetE1EEEvT1_
    .private_segment_fixed_size: 0
    .sgpr_count:     4
    .sgpr_spill_count: 0
    .symbol:         _ZN7rocprim17ROCPRIM_400000_NS6detail17trampoline_kernelINS0_14default_configENS1_29reduce_by_key_config_selectorIjjN6thrust23THRUST_200600_302600_NS4plusIjEEEEZZNS1_33reduce_by_key_impl_wrapped_configILNS1_25lookback_scan_determinismE0ES3_S9_NS6_6detail15normal_iteratorINS6_10device_ptrIjEEEESG_NS6_16discard_iteratorINS6_11use_defaultEEESG_PmS8_NS6_8equal_toIjEEEE10hipError_tPvRmT2_T3_mT4_T5_T6_T7_T8_P12ihipStream_tbENKUlT_T0_E_clISt17integral_constantIbLb0EES13_IbLb1EEEEDaSZ_S10_EUlSZ_E_NS1_11comp_targetILNS1_3genE8ELNS1_11target_archE1030ELNS1_3gpuE2ELNS1_3repE0EEENS1_30default_config_static_selectorELNS0_4arch9wavefront6targetE1EEEvT1_.kd
    .uniform_work_group_size: 1
    .uses_dynamic_stack: false
    .vgpr_count:     0
    .vgpr_spill_count: 0
    .wavefront_size: 64
  - .agpr_count:     0
    .args:
      - .offset:         0
        .size:           128
        .value_kind:     by_value
    .group_segment_fixed_size: 0
    .kernarg_segment_align: 8
    .kernarg_segment_size: 128
    .language:       OpenCL C
    .language_version:
      - 2
      - 0
    .max_flat_workgroup_size: 256
    .name:           _ZN7rocprim17ROCPRIM_400000_NS6detail17trampoline_kernelINS0_14default_configENS1_29reduce_by_key_config_selectorIjtN6thrust23THRUST_200600_302600_NS4plusItEEEEZZNS1_33reduce_by_key_impl_wrapped_configILNS1_25lookback_scan_determinismE0ES3_S9_NS6_6detail15normal_iteratorINS6_10device_ptrIjEEEENSD_INSE_ItEEEENS6_16discard_iteratorINS6_11use_defaultEEESI_PmS8_NS6_8equal_toIjEEEE10hipError_tPvRmT2_T3_mT4_T5_T6_T7_T8_P12ihipStream_tbENKUlT_T0_E_clISt17integral_constantIbLb0EES16_EEDaS11_S12_EUlS11_E_NS1_11comp_targetILNS1_3genE0ELNS1_11target_archE4294967295ELNS1_3gpuE0ELNS1_3repE0EEENS1_30default_config_static_selectorELNS0_4arch9wavefront6targetE1EEEvT1_
    .private_segment_fixed_size: 0
    .sgpr_count:     4
    .sgpr_spill_count: 0
    .symbol:         _ZN7rocprim17ROCPRIM_400000_NS6detail17trampoline_kernelINS0_14default_configENS1_29reduce_by_key_config_selectorIjtN6thrust23THRUST_200600_302600_NS4plusItEEEEZZNS1_33reduce_by_key_impl_wrapped_configILNS1_25lookback_scan_determinismE0ES3_S9_NS6_6detail15normal_iteratorINS6_10device_ptrIjEEEENSD_INSE_ItEEEENS6_16discard_iteratorINS6_11use_defaultEEESI_PmS8_NS6_8equal_toIjEEEE10hipError_tPvRmT2_T3_mT4_T5_T6_T7_T8_P12ihipStream_tbENKUlT_T0_E_clISt17integral_constantIbLb0EES16_EEDaS11_S12_EUlS11_E_NS1_11comp_targetILNS1_3genE0ELNS1_11target_archE4294967295ELNS1_3gpuE0ELNS1_3repE0EEENS1_30default_config_static_selectorELNS0_4arch9wavefront6targetE1EEEvT1_.kd
    .uniform_work_group_size: 1
    .uses_dynamic_stack: false
    .vgpr_count:     0
    .vgpr_spill_count: 0
    .wavefront_size: 64
  - .agpr_count:     0
    .args:
      - .offset:         0
        .size:           128
        .value_kind:     by_value
    .group_segment_fixed_size: 0
    .kernarg_segment_align: 8
    .kernarg_segment_size: 128
    .language:       OpenCL C
    .language_version:
      - 2
      - 0
    .max_flat_workgroup_size: 256
    .name:           _ZN7rocprim17ROCPRIM_400000_NS6detail17trampoline_kernelINS0_14default_configENS1_29reduce_by_key_config_selectorIjtN6thrust23THRUST_200600_302600_NS4plusItEEEEZZNS1_33reduce_by_key_impl_wrapped_configILNS1_25lookback_scan_determinismE0ES3_S9_NS6_6detail15normal_iteratorINS6_10device_ptrIjEEEENSD_INSE_ItEEEENS6_16discard_iteratorINS6_11use_defaultEEESI_PmS8_NS6_8equal_toIjEEEE10hipError_tPvRmT2_T3_mT4_T5_T6_T7_T8_P12ihipStream_tbENKUlT_T0_E_clISt17integral_constantIbLb0EES16_EEDaS11_S12_EUlS11_E_NS1_11comp_targetILNS1_3genE5ELNS1_11target_archE942ELNS1_3gpuE9ELNS1_3repE0EEENS1_30default_config_static_selectorELNS0_4arch9wavefront6targetE1EEEvT1_
    .private_segment_fixed_size: 0
    .sgpr_count:     4
    .sgpr_spill_count: 0
    .symbol:         _ZN7rocprim17ROCPRIM_400000_NS6detail17trampoline_kernelINS0_14default_configENS1_29reduce_by_key_config_selectorIjtN6thrust23THRUST_200600_302600_NS4plusItEEEEZZNS1_33reduce_by_key_impl_wrapped_configILNS1_25lookback_scan_determinismE0ES3_S9_NS6_6detail15normal_iteratorINS6_10device_ptrIjEEEENSD_INSE_ItEEEENS6_16discard_iteratorINS6_11use_defaultEEESI_PmS8_NS6_8equal_toIjEEEE10hipError_tPvRmT2_T3_mT4_T5_T6_T7_T8_P12ihipStream_tbENKUlT_T0_E_clISt17integral_constantIbLb0EES16_EEDaS11_S12_EUlS11_E_NS1_11comp_targetILNS1_3genE5ELNS1_11target_archE942ELNS1_3gpuE9ELNS1_3repE0EEENS1_30default_config_static_selectorELNS0_4arch9wavefront6targetE1EEEvT1_.kd
    .uniform_work_group_size: 1
    .uses_dynamic_stack: false
    .vgpr_count:     0
    .vgpr_spill_count: 0
    .wavefront_size: 64
  - .agpr_count:     0
    .args:
      - .offset:         0
        .size:           128
        .value_kind:     by_value
    .group_segment_fixed_size: 15360
    .kernarg_segment_align: 8
    .kernarg_segment_size: 128
    .language:       OpenCL C
    .language_version:
      - 2
      - 0
    .max_flat_workgroup_size: 256
    .name:           _ZN7rocprim17ROCPRIM_400000_NS6detail17trampoline_kernelINS0_14default_configENS1_29reduce_by_key_config_selectorIjtN6thrust23THRUST_200600_302600_NS4plusItEEEEZZNS1_33reduce_by_key_impl_wrapped_configILNS1_25lookback_scan_determinismE0ES3_S9_NS6_6detail15normal_iteratorINS6_10device_ptrIjEEEENSD_INSE_ItEEEENS6_16discard_iteratorINS6_11use_defaultEEESI_PmS8_NS6_8equal_toIjEEEE10hipError_tPvRmT2_T3_mT4_T5_T6_T7_T8_P12ihipStream_tbENKUlT_T0_E_clISt17integral_constantIbLb0EES16_EEDaS11_S12_EUlS11_E_NS1_11comp_targetILNS1_3genE4ELNS1_11target_archE910ELNS1_3gpuE8ELNS1_3repE0EEENS1_30default_config_static_selectorELNS0_4arch9wavefront6targetE1EEEvT1_
    .private_segment_fixed_size: 0
    .sgpr_count:     64
    .sgpr_spill_count: 0
    .symbol:         _ZN7rocprim17ROCPRIM_400000_NS6detail17trampoline_kernelINS0_14default_configENS1_29reduce_by_key_config_selectorIjtN6thrust23THRUST_200600_302600_NS4plusItEEEEZZNS1_33reduce_by_key_impl_wrapped_configILNS1_25lookback_scan_determinismE0ES3_S9_NS6_6detail15normal_iteratorINS6_10device_ptrIjEEEENSD_INSE_ItEEEENS6_16discard_iteratorINS6_11use_defaultEEESI_PmS8_NS6_8equal_toIjEEEE10hipError_tPvRmT2_T3_mT4_T5_T6_T7_T8_P12ihipStream_tbENKUlT_T0_E_clISt17integral_constantIbLb0EES16_EEDaS11_S12_EUlS11_E_NS1_11comp_targetILNS1_3genE4ELNS1_11target_archE910ELNS1_3gpuE8ELNS1_3repE0EEENS1_30default_config_static_selectorELNS0_4arch9wavefront6targetE1EEEvT1_.kd
    .uniform_work_group_size: 1
    .uses_dynamic_stack: false
    .vgpr_count:     87
    .vgpr_spill_count: 0
    .wavefront_size: 64
  - .agpr_count:     0
    .args:
      - .offset:         0
        .size:           128
        .value_kind:     by_value
    .group_segment_fixed_size: 0
    .kernarg_segment_align: 8
    .kernarg_segment_size: 128
    .language:       OpenCL C
    .language_version:
      - 2
      - 0
    .max_flat_workgroup_size: 256
    .name:           _ZN7rocprim17ROCPRIM_400000_NS6detail17trampoline_kernelINS0_14default_configENS1_29reduce_by_key_config_selectorIjtN6thrust23THRUST_200600_302600_NS4plusItEEEEZZNS1_33reduce_by_key_impl_wrapped_configILNS1_25lookback_scan_determinismE0ES3_S9_NS6_6detail15normal_iteratorINS6_10device_ptrIjEEEENSD_INSE_ItEEEENS6_16discard_iteratorINS6_11use_defaultEEESI_PmS8_NS6_8equal_toIjEEEE10hipError_tPvRmT2_T3_mT4_T5_T6_T7_T8_P12ihipStream_tbENKUlT_T0_E_clISt17integral_constantIbLb0EES16_EEDaS11_S12_EUlS11_E_NS1_11comp_targetILNS1_3genE3ELNS1_11target_archE908ELNS1_3gpuE7ELNS1_3repE0EEENS1_30default_config_static_selectorELNS0_4arch9wavefront6targetE1EEEvT1_
    .private_segment_fixed_size: 0
    .sgpr_count:     4
    .sgpr_spill_count: 0
    .symbol:         _ZN7rocprim17ROCPRIM_400000_NS6detail17trampoline_kernelINS0_14default_configENS1_29reduce_by_key_config_selectorIjtN6thrust23THRUST_200600_302600_NS4plusItEEEEZZNS1_33reduce_by_key_impl_wrapped_configILNS1_25lookback_scan_determinismE0ES3_S9_NS6_6detail15normal_iteratorINS6_10device_ptrIjEEEENSD_INSE_ItEEEENS6_16discard_iteratorINS6_11use_defaultEEESI_PmS8_NS6_8equal_toIjEEEE10hipError_tPvRmT2_T3_mT4_T5_T6_T7_T8_P12ihipStream_tbENKUlT_T0_E_clISt17integral_constantIbLb0EES16_EEDaS11_S12_EUlS11_E_NS1_11comp_targetILNS1_3genE3ELNS1_11target_archE908ELNS1_3gpuE7ELNS1_3repE0EEENS1_30default_config_static_selectorELNS0_4arch9wavefront6targetE1EEEvT1_.kd
    .uniform_work_group_size: 1
    .uses_dynamic_stack: false
    .vgpr_count:     0
    .vgpr_spill_count: 0
    .wavefront_size: 64
  - .agpr_count:     0
    .args:
      - .offset:         0
        .size:           128
        .value_kind:     by_value
    .group_segment_fixed_size: 0
    .kernarg_segment_align: 8
    .kernarg_segment_size: 128
    .language:       OpenCL C
    .language_version:
      - 2
      - 0
    .max_flat_workgroup_size: 256
    .name:           _ZN7rocprim17ROCPRIM_400000_NS6detail17trampoline_kernelINS0_14default_configENS1_29reduce_by_key_config_selectorIjtN6thrust23THRUST_200600_302600_NS4plusItEEEEZZNS1_33reduce_by_key_impl_wrapped_configILNS1_25lookback_scan_determinismE0ES3_S9_NS6_6detail15normal_iteratorINS6_10device_ptrIjEEEENSD_INSE_ItEEEENS6_16discard_iteratorINS6_11use_defaultEEESI_PmS8_NS6_8equal_toIjEEEE10hipError_tPvRmT2_T3_mT4_T5_T6_T7_T8_P12ihipStream_tbENKUlT_T0_E_clISt17integral_constantIbLb0EES16_EEDaS11_S12_EUlS11_E_NS1_11comp_targetILNS1_3genE2ELNS1_11target_archE906ELNS1_3gpuE6ELNS1_3repE0EEENS1_30default_config_static_selectorELNS0_4arch9wavefront6targetE1EEEvT1_
    .private_segment_fixed_size: 0
    .sgpr_count:     4
    .sgpr_spill_count: 0
    .symbol:         _ZN7rocprim17ROCPRIM_400000_NS6detail17trampoline_kernelINS0_14default_configENS1_29reduce_by_key_config_selectorIjtN6thrust23THRUST_200600_302600_NS4plusItEEEEZZNS1_33reduce_by_key_impl_wrapped_configILNS1_25lookback_scan_determinismE0ES3_S9_NS6_6detail15normal_iteratorINS6_10device_ptrIjEEEENSD_INSE_ItEEEENS6_16discard_iteratorINS6_11use_defaultEEESI_PmS8_NS6_8equal_toIjEEEE10hipError_tPvRmT2_T3_mT4_T5_T6_T7_T8_P12ihipStream_tbENKUlT_T0_E_clISt17integral_constantIbLb0EES16_EEDaS11_S12_EUlS11_E_NS1_11comp_targetILNS1_3genE2ELNS1_11target_archE906ELNS1_3gpuE6ELNS1_3repE0EEENS1_30default_config_static_selectorELNS0_4arch9wavefront6targetE1EEEvT1_.kd
    .uniform_work_group_size: 1
    .uses_dynamic_stack: false
    .vgpr_count:     0
    .vgpr_spill_count: 0
    .wavefront_size: 64
  - .agpr_count:     0
    .args:
      - .offset:         0
        .size:           128
        .value_kind:     by_value
    .group_segment_fixed_size: 0
    .kernarg_segment_align: 8
    .kernarg_segment_size: 128
    .language:       OpenCL C
    .language_version:
      - 2
      - 0
    .max_flat_workgroup_size: 256
    .name:           _ZN7rocprim17ROCPRIM_400000_NS6detail17trampoline_kernelINS0_14default_configENS1_29reduce_by_key_config_selectorIjtN6thrust23THRUST_200600_302600_NS4plusItEEEEZZNS1_33reduce_by_key_impl_wrapped_configILNS1_25lookback_scan_determinismE0ES3_S9_NS6_6detail15normal_iteratorINS6_10device_ptrIjEEEENSD_INSE_ItEEEENS6_16discard_iteratorINS6_11use_defaultEEESI_PmS8_NS6_8equal_toIjEEEE10hipError_tPvRmT2_T3_mT4_T5_T6_T7_T8_P12ihipStream_tbENKUlT_T0_E_clISt17integral_constantIbLb0EES16_EEDaS11_S12_EUlS11_E_NS1_11comp_targetILNS1_3genE10ELNS1_11target_archE1201ELNS1_3gpuE5ELNS1_3repE0EEENS1_30default_config_static_selectorELNS0_4arch9wavefront6targetE1EEEvT1_
    .private_segment_fixed_size: 0
    .sgpr_count:     4
    .sgpr_spill_count: 0
    .symbol:         _ZN7rocprim17ROCPRIM_400000_NS6detail17trampoline_kernelINS0_14default_configENS1_29reduce_by_key_config_selectorIjtN6thrust23THRUST_200600_302600_NS4plusItEEEEZZNS1_33reduce_by_key_impl_wrapped_configILNS1_25lookback_scan_determinismE0ES3_S9_NS6_6detail15normal_iteratorINS6_10device_ptrIjEEEENSD_INSE_ItEEEENS6_16discard_iteratorINS6_11use_defaultEEESI_PmS8_NS6_8equal_toIjEEEE10hipError_tPvRmT2_T3_mT4_T5_T6_T7_T8_P12ihipStream_tbENKUlT_T0_E_clISt17integral_constantIbLb0EES16_EEDaS11_S12_EUlS11_E_NS1_11comp_targetILNS1_3genE10ELNS1_11target_archE1201ELNS1_3gpuE5ELNS1_3repE0EEENS1_30default_config_static_selectorELNS0_4arch9wavefront6targetE1EEEvT1_.kd
    .uniform_work_group_size: 1
    .uses_dynamic_stack: false
    .vgpr_count:     0
    .vgpr_spill_count: 0
    .wavefront_size: 64
  - .agpr_count:     0
    .args:
      - .offset:         0
        .size:           128
        .value_kind:     by_value
    .group_segment_fixed_size: 0
    .kernarg_segment_align: 8
    .kernarg_segment_size: 128
    .language:       OpenCL C
    .language_version:
      - 2
      - 0
    .max_flat_workgroup_size: 256
    .name:           _ZN7rocprim17ROCPRIM_400000_NS6detail17trampoline_kernelINS0_14default_configENS1_29reduce_by_key_config_selectorIjtN6thrust23THRUST_200600_302600_NS4plusItEEEEZZNS1_33reduce_by_key_impl_wrapped_configILNS1_25lookback_scan_determinismE0ES3_S9_NS6_6detail15normal_iteratorINS6_10device_ptrIjEEEENSD_INSE_ItEEEENS6_16discard_iteratorINS6_11use_defaultEEESI_PmS8_NS6_8equal_toIjEEEE10hipError_tPvRmT2_T3_mT4_T5_T6_T7_T8_P12ihipStream_tbENKUlT_T0_E_clISt17integral_constantIbLb0EES16_EEDaS11_S12_EUlS11_E_NS1_11comp_targetILNS1_3genE10ELNS1_11target_archE1200ELNS1_3gpuE4ELNS1_3repE0EEENS1_30default_config_static_selectorELNS0_4arch9wavefront6targetE1EEEvT1_
    .private_segment_fixed_size: 0
    .sgpr_count:     4
    .sgpr_spill_count: 0
    .symbol:         _ZN7rocprim17ROCPRIM_400000_NS6detail17trampoline_kernelINS0_14default_configENS1_29reduce_by_key_config_selectorIjtN6thrust23THRUST_200600_302600_NS4plusItEEEEZZNS1_33reduce_by_key_impl_wrapped_configILNS1_25lookback_scan_determinismE0ES3_S9_NS6_6detail15normal_iteratorINS6_10device_ptrIjEEEENSD_INSE_ItEEEENS6_16discard_iteratorINS6_11use_defaultEEESI_PmS8_NS6_8equal_toIjEEEE10hipError_tPvRmT2_T3_mT4_T5_T6_T7_T8_P12ihipStream_tbENKUlT_T0_E_clISt17integral_constantIbLb0EES16_EEDaS11_S12_EUlS11_E_NS1_11comp_targetILNS1_3genE10ELNS1_11target_archE1200ELNS1_3gpuE4ELNS1_3repE0EEENS1_30default_config_static_selectorELNS0_4arch9wavefront6targetE1EEEvT1_.kd
    .uniform_work_group_size: 1
    .uses_dynamic_stack: false
    .vgpr_count:     0
    .vgpr_spill_count: 0
    .wavefront_size: 64
  - .agpr_count:     0
    .args:
      - .offset:         0
        .size:           128
        .value_kind:     by_value
    .group_segment_fixed_size: 0
    .kernarg_segment_align: 8
    .kernarg_segment_size: 128
    .language:       OpenCL C
    .language_version:
      - 2
      - 0
    .max_flat_workgroup_size: 256
    .name:           _ZN7rocprim17ROCPRIM_400000_NS6detail17trampoline_kernelINS0_14default_configENS1_29reduce_by_key_config_selectorIjtN6thrust23THRUST_200600_302600_NS4plusItEEEEZZNS1_33reduce_by_key_impl_wrapped_configILNS1_25lookback_scan_determinismE0ES3_S9_NS6_6detail15normal_iteratorINS6_10device_ptrIjEEEENSD_INSE_ItEEEENS6_16discard_iteratorINS6_11use_defaultEEESI_PmS8_NS6_8equal_toIjEEEE10hipError_tPvRmT2_T3_mT4_T5_T6_T7_T8_P12ihipStream_tbENKUlT_T0_E_clISt17integral_constantIbLb0EES16_EEDaS11_S12_EUlS11_E_NS1_11comp_targetILNS1_3genE9ELNS1_11target_archE1100ELNS1_3gpuE3ELNS1_3repE0EEENS1_30default_config_static_selectorELNS0_4arch9wavefront6targetE1EEEvT1_
    .private_segment_fixed_size: 0
    .sgpr_count:     4
    .sgpr_spill_count: 0
    .symbol:         _ZN7rocprim17ROCPRIM_400000_NS6detail17trampoline_kernelINS0_14default_configENS1_29reduce_by_key_config_selectorIjtN6thrust23THRUST_200600_302600_NS4plusItEEEEZZNS1_33reduce_by_key_impl_wrapped_configILNS1_25lookback_scan_determinismE0ES3_S9_NS6_6detail15normal_iteratorINS6_10device_ptrIjEEEENSD_INSE_ItEEEENS6_16discard_iteratorINS6_11use_defaultEEESI_PmS8_NS6_8equal_toIjEEEE10hipError_tPvRmT2_T3_mT4_T5_T6_T7_T8_P12ihipStream_tbENKUlT_T0_E_clISt17integral_constantIbLb0EES16_EEDaS11_S12_EUlS11_E_NS1_11comp_targetILNS1_3genE9ELNS1_11target_archE1100ELNS1_3gpuE3ELNS1_3repE0EEENS1_30default_config_static_selectorELNS0_4arch9wavefront6targetE1EEEvT1_.kd
    .uniform_work_group_size: 1
    .uses_dynamic_stack: false
    .vgpr_count:     0
    .vgpr_spill_count: 0
    .wavefront_size: 64
  - .agpr_count:     0
    .args:
      - .offset:         0
        .size:           128
        .value_kind:     by_value
    .group_segment_fixed_size: 0
    .kernarg_segment_align: 8
    .kernarg_segment_size: 128
    .language:       OpenCL C
    .language_version:
      - 2
      - 0
    .max_flat_workgroup_size: 256
    .name:           _ZN7rocprim17ROCPRIM_400000_NS6detail17trampoline_kernelINS0_14default_configENS1_29reduce_by_key_config_selectorIjtN6thrust23THRUST_200600_302600_NS4plusItEEEEZZNS1_33reduce_by_key_impl_wrapped_configILNS1_25lookback_scan_determinismE0ES3_S9_NS6_6detail15normal_iteratorINS6_10device_ptrIjEEEENSD_INSE_ItEEEENS6_16discard_iteratorINS6_11use_defaultEEESI_PmS8_NS6_8equal_toIjEEEE10hipError_tPvRmT2_T3_mT4_T5_T6_T7_T8_P12ihipStream_tbENKUlT_T0_E_clISt17integral_constantIbLb0EES16_EEDaS11_S12_EUlS11_E_NS1_11comp_targetILNS1_3genE8ELNS1_11target_archE1030ELNS1_3gpuE2ELNS1_3repE0EEENS1_30default_config_static_selectorELNS0_4arch9wavefront6targetE1EEEvT1_
    .private_segment_fixed_size: 0
    .sgpr_count:     4
    .sgpr_spill_count: 0
    .symbol:         _ZN7rocprim17ROCPRIM_400000_NS6detail17trampoline_kernelINS0_14default_configENS1_29reduce_by_key_config_selectorIjtN6thrust23THRUST_200600_302600_NS4plusItEEEEZZNS1_33reduce_by_key_impl_wrapped_configILNS1_25lookback_scan_determinismE0ES3_S9_NS6_6detail15normal_iteratorINS6_10device_ptrIjEEEENSD_INSE_ItEEEENS6_16discard_iteratorINS6_11use_defaultEEESI_PmS8_NS6_8equal_toIjEEEE10hipError_tPvRmT2_T3_mT4_T5_T6_T7_T8_P12ihipStream_tbENKUlT_T0_E_clISt17integral_constantIbLb0EES16_EEDaS11_S12_EUlS11_E_NS1_11comp_targetILNS1_3genE8ELNS1_11target_archE1030ELNS1_3gpuE2ELNS1_3repE0EEENS1_30default_config_static_selectorELNS0_4arch9wavefront6targetE1EEEvT1_.kd
    .uniform_work_group_size: 1
    .uses_dynamic_stack: false
    .vgpr_count:     0
    .vgpr_spill_count: 0
    .wavefront_size: 64
  - .agpr_count:     0
    .args:
      - .offset:         0
        .size:           128
        .value_kind:     by_value
    .group_segment_fixed_size: 0
    .kernarg_segment_align: 8
    .kernarg_segment_size: 128
    .language:       OpenCL C
    .language_version:
      - 2
      - 0
    .max_flat_workgroup_size: 256
    .name:           _ZN7rocprim17ROCPRIM_400000_NS6detail17trampoline_kernelINS0_14default_configENS1_29reduce_by_key_config_selectorIjtN6thrust23THRUST_200600_302600_NS4plusItEEEEZZNS1_33reduce_by_key_impl_wrapped_configILNS1_25lookback_scan_determinismE0ES3_S9_NS6_6detail15normal_iteratorINS6_10device_ptrIjEEEENSD_INSE_ItEEEENS6_16discard_iteratorINS6_11use_defaultEEESI_PmS8_NS6_8equal_toIjEEEE10hipError_tPvRmT2_T3_mT4_T5_T6_T7_T8_P12ihipStream_tbENKUlT_T0_E_clISt17integral_constantIbLb1EES16_EEDaS11_S12_EUlS11_E_NS1_11comp_targetILNS1_3genE0ELNS1_11target_archE4294967295ELNS1_3gpuE0ELNS1_3repE0EEENS1_30default_config_static_selectorELNS0_4arch9wavefront6targetE1EEEvT1_
    .private_segment_fixed_size: 0
    .sgpr_count:     4
    .sgpr_spill_count: 0
    .symbol:         _ZN7rocprim17ROCPRIM_400000_NS6detail17trampoline_kernelINS0_14default_configENS1_29reduce_by_key_config_selectorIjtN6thrust23THRUST_200600_302600_NS4plusItEEEEZZNS1_33reduce_by_key_impl_wrapped_configILNS1_25lookback_scan_determinismE0ES3_S9_NS6_6detail15normal_iteratorINS6_10device_ptrIjEEEENSD_INSE_ItEEEENS6_16discard_iteratorINS6_11use_defaultEEESI_PmS8_NS6_8equal_toIjEEEE10hipError_tPvRmT2_T3_mT4_T5_T6_T7_T8_P12ihipStream_tbENKUlT_T0_E_clISt17integral_constantIbLb1EES16_EEDaS11_S12_EUlS11_E_NS1_11comp_targetILNS1_3genE0ELNS1_11target_archE4294967295ELNS1_3gpuE0ELNS1_3repE0EEENS1_30default_config_static_selectorELNS0_4arch9wavefront6targetE1EEEvT1_.kd
    .uniform_work_group_size: 1
    .uses_dynamic_stack: false
    .vgpr_count:     0
    .vgpr_spill_count: 0
    .wavefront_size: 64
  - .agpr_count:     0
    .args:
      - .offset:         0
        .size:           128
        .value_kind:     by_value
    .group_segment_fixed_size: 0
    .kernarg_segment_align: 8
    .kernarg_segment_size: 128
    .language:       OpenCL C
    .language_version:
      - 2
      - 0
    .max_flat_workgroup_size: 256
    .name:           _ZN7rocprim17ROCPRIM_400000_NS6detail17trampoline_kernelINS0_14default_configENS1_29reduce_by_key_config_selectorIjtN6thrust23THRUST_200600_302600_NS4plusItEEEEZZNS1_33reduce_by_key_impl_wrapped_configILNS1_25lookback_scan_determinismE0ES3_S9_NS6_6detail15normal_iteratorINS6_10device_ptrIjEEEENSD_INSE_ItEEEENS6_16discard_iteratorINS6_11use_defaultEEESI_PmS8_NS6_8equal_toIjEEEE10hipError_tPvRmT2_T3_mT4_T5_T6_T7_T8_P12ihipStream_tbENKUlT_T0_E_clISt17integral_constantIbLb1EES16_EEDaS11_S12_EUlS11_E_NS1_11comp_targetILNS1_3genE5ELNS1_11target_archE942ELNS1_3gpuE9ELNS1_3repE0EEENS1_30default_config_static_selectorELNS0_4arch9wavefront6targetE1EEEvT1_
    .private_segment_fixed_size: 0
    .sgpr_count:     4
    .sgpr_spill_count: 0
    .symbol:         _ZN7rocprim17ROCPRIM_400000_NS6detail17trampoline_kernelINS0_14default_configENS1_29reduce_by_key_config_selectorIjtN6thrust23THRUST_200600_302600_NS4plusItEEEEZZNS1_33reduce_by_key_impl_wrapped_configILNS1_25lookback_scan_determinismE0ES3_S9_NS6_6detail15normal_iteratorINS6_10device_ptrIjEEEENSD_INSE_ItEEEENS6_16discard_iteratorINS6_11use_defaultEEESI_PmS8_NS6_8equal_toIjEEEE10hipError_tPvRmT2_T3_mT4_T5_T6_T7_T8_P12ihipStream_tbENKUlT_T0_E_clISt17integral_constantIbLb1EES16_EEDaS11_S12_EUlS11_E_NS1_11comp_targetILNS1_3genE5ELNS1_11target_archE942ELNS1_3gpuE9ELNS1_3repE0EEENS1_30default_config_static_selectorELNS0_4arch9wavefront6targetE1EEEvT1_.kd
    .uniform_work_group_size: 1
    .uses_dynamic_stack: false
    .vgpr_count:     0
    .vgpr_spill_count: 0
    .wavefront_size: 64
  - .agpr_count:     0
    .args:
      - .offset:         0
        .size:           128
        .value_kind:     by_value
    .group_segment_fixed_size: 15360
    .kernarg_segment_align: 8
    .kernarg_segment_size: 128
    .language:       OpenCL C
    .language_version:
      - 2
      - 0
    .max_flat_workgroup_size: 256
    .name:           _ZN7rocprim17ROCPRIM_400000_NS6detail17trampoline_kernelINS0_14default_configENS1_29reduce_by_key_config_selectorIjtN6thrust23THRUST_200600_302600_NS4plusItEEEEZZNS1_33reduce_by_key_impl_wrapped_configILNS1_25lookback_scan_determinismE0ES3_S9_NS6_6detail15normal_iteratorINS6_10device_ptrIjEEEENSD_INSE_ItEEEENS6_16discard_iteratorINS6_11use_defaultEEESI_PmS8_NS6_8equal_toIjEEEE10hipError_tPvRmT2_T3_mT4_T5_T6_T7_T8_P12ihipStream_tbENKUlT_T0_E_clISt17integral_constantIbLb1EES16_EEDaS11_S12_EUlS11_E_NS1_11comp_targetILNS1_3genE4ELNS1_11target_archE910ELNS1_3gpuE8ELNS1_3repE0EEENS1_30default_config_static_selectorELNS0_4arch9wavefront6targetE1EEEvT1_
    .private_segment_fixed_size: 0
    .sgpr_count:     68
    .sgpr_spill_count: 0
    .symbol:         _ZN7rocprim17ROCPRIM_400000_NS6detail17trampoline_kernelINS0_14default_configENS1_29reduce_by_key_config_selectorIjtN6thrust23THRUST_200600_302600_NS4plusItEEEEZZNS1_33reduce_by_key_impl_wrapped_configILNS1_25lookback_scan_determinismE0ES3_S9_NS6_6detail15normal_iteratorINS6_10device_ptrIjEEEENSD_INSE_ItEEEENS6_16discard_iteratorINS6_11use_defaultEEESI_PmS8_NS6_8equal_toIjEEEE10hipError_tPvRmT2_T3_mT4_T5_T6_T7_T8_P12ihipStream_tbENKUlT_T0_E_clISt17integral_constantIbLb1EES16_EEDaS11_S12_EUlS11_E_NS1_11comp_targetILNS1_3genE4ELNS1_11target_archE910ELNS1_3gpuE8ELNS1_3repE0EEENS1_30default_config_static_selectorELNS0_4arch9wavefront6targetE1EEEvT1_.kd
    .uniform_work_group_size: 1
    .uses_dynamic_stack: false
    .vgpr_count:     87
    .vgpr_spill_count: 0
    .wavefront_size: 64
  - .agpr_count:     0
    .args:
      - .offset:         0
        .size:           128
        .value_kind:     by_value
    .group_segment_fixed_size: 0
    .kernarg_segment_align: 8
    .kernarg_segment_size: 128
    .language:       OpenCL C
    .language_version:
      - 2
      - 0
    .max_flat_workgroup_size: 256
    .name:           _ZN7rocprim17ROCPRIM_400000_NS6detail17trampoline_kernelINS0_14default_configENS1_29reduce_by_key_config_selectorIjtN6thrust23THRUST_200600_302600_NS4plusItEEEEZZNS1_33reduce_by_key_impl_wrapped_configILNS1_25lookback_scan_determinismE0ES3_S9_NS6_6detail15normal_iteratorINS6_10device_ptrIjEEEENSD_INSE_ItEEEENS6_16discard_iteratorINS6_11use_defaultEEESI_PmS8_NS6_8equal_toIjEEEE10hipError_tPvRmT2_T3_mT4_T5_T6_T7_T8_P12ihipStream_tbENKUlT_T0_E_clISt17integral_constantIbLb1EES16_EEDaS11_S12_EUlS11_E_NS1_11comp_targetILNS1_3genE3ELNS1_11target_archE908ELNS1_3gpuE7ELNS1_3repE0EEENS1_30default_config_static_selectorELNS0_4arch9wavefront6targetE1EEEvT1_
    .private_segment_fixed_size: 0
    .sgpr_count:     4
    .sgpr_spill_count: 0
    .symbol:         _ZN7rocprim17ROCPRIM_400000_NS6detail17trampoline_kernelINS0_14default_configENS1_29reduce_by_key_config_selectorIjtN6thrust23THRUST_200600_302600_NS4plusItEEEEZZNS1_33reduce_by_key_impl_wrapped_configILNS1_25lookback_scan_determinismE0ES3_S9_NS6_6detail15normal_iteratorINS6_10device_ptrIjEEEENSD_INSE_ItEEEENS6_16discard_iteratorINS6_11use_defaultEEESI_PmS8_NS6_8equal_toIjEEEE10hipError_tPvRmT2_T3_mT4_T5_T6_T7_T8_P12ihipStream_tbENKUlT_T0_E_clISt17integral_constantIbLb1EES16_EEDaS11_S12_EUlS11_E_NS1_11comp_targetILNS1_3genE3ELNS1_11target_archE908ELNS1_3gpuE7ELNS1_3repE0EEENS1_30default_config_static_selectorELNS0_4arch9wavefront6targetE1EEEvT1_.kd
    .uniform_work_group_size: 1
    .uses_dynamic_stack: false
    .vgpr_count:     0
    .vgpr_spill_count: 0
    .wavefront_size: 64
  - .agpr_count:     0
    .args:
      - .offset:         0
        .size:           128
        .value_kind:     by_value
    .group_segment_fixed_size: 0
    .kernarg_segment_align: 8
    .kernarg_segment_size: 128
    .language:       OpenCL C
    .language_version:
      - 2
      - 0
    .max_flat_workgroup_size: 256
    .name:           _ZN7rocprim17ROCPRIM_400000_NS6detail17trampoline_kernelINS0_14default_configENS1_29reduce_by_key_config_selectorIjtN6thrust23THRUST_200600_302600_NS4plusItEEEEZZNS1_33reduce_by_key_impl_wrapped_configILNS1_25lookback_scan_determinismE0ES3_S9_NS6_6detail15normal_iteratorINS6_10device_ptrIjEEEENSD_INSE_ItEEEENS6_16discard_iteratorINS6_11use_defaultEEESI_PmS8_NS6_8equal_toIjEEEE10hipError_tPvRmT2_T3_mT4_T5_T6_T7_T8_P12ihipStream_tbENKUlT_T0_E_clISt17integral_constantIbLb1EES16_EEDaS11_S12_EUlS11_E_NS1_11comp_targetILNS1_3genE2ELNS1_11target_archE906ELNS1_3gpuE6ELNS1_3repE0EEENS1_30default_config_static_selectorELNS0_4arch9wavefront6targetE1EEEvT1_
    .private_segment_fixed_size: 0
    .sgpr_count:     4
    .sgpr_spill_count: 0
    .symbol:         _ZN7rocprim17ROCPRIM_400000_NS6detail17trampoline_kernelINS0_14default_configENS1_29reduce_by_key_config_selectorIjtN6thrust23THRUST_200600_302600_NS4plusItEEEEZZNS1_33reduce_by_key_impl_wrapped_configILNS1_25lookback_scan_determinismE0ES3_S9_NS6_6detail15normal_iteratorINS6_10device_ptrIjEEEENSD_INSE_ItEEEENS6_16discard_iteratorINS6_11use_defaultEEESI_PmS8_NS6_8equal_toIjEEEE10hipError_tPvRmT2_T3_mT4_T5_T6_T7_T8_P12ihipStream_tbENKUlT_T0_E_clISt17integral_constantIbLb1EES16_EEDaS11_S12_EUlS11_E_NS1_11comp_targetILNS1_3genE2ELNS1_11target_archE906ELNS1_3gpuE6ELNS1_3repE0EEENS1_30default_config_static_selectorELNS0_4arch9wavefront6targetE1EEEvT1_.kd
    .uniform_work_group_size: 1
    .uses_dynamic_stack: false
    .vgpr_count:     0
    .vgpr_spill_count: 0
    .wavefront_size: 64
  - .agpr_count:     0
    .args:
      - .offset:         0
        .size:           128
        .value_kind:     by_value
    .group_segment_fixed_size: 0
    .kernarg_segment_align: 8
    .kernarg_segment_size: 128
    .language:       OpenCL C
    .language_version:
      - 2
      - 0
    .max_flat_workgroup_size: 256
    .name:           _ZN7rocprim17ROCPRIM_400000_NS6detail17trampoline_kernelINS0_14default_configENS1_29reduce_by_key_config_selectorIjtN6thrust23THRUST_200600_302600_NS4plusItEEEEZZNS1_33reduce_by_key_impl_wrapped_configILNS1_25lookback_scan_determinismE0ES3_S9_NS6_6detail15normal_iteratorINS6_10device_ptrIjEEEENSD_INSE_ItEEEENS6_16discard_iteratorINS6_11use_defaultEEESI_PmS8_NS6_8equal_toIjEEEE10hipError_tPvRmT2_T3_mT4_T5_T6_T7_T8_P12ihipStream_tbENKUlT_T0_E_clISt17integral_constantIbLb1EES16_EEDaS11_S12_EUlS11_E_NS1_11comp_targetILNS1_3genE10ELNS1_11target_archE1201ELNS1_3gpuE5ELNS1_3repE0EEENS1_30default_config_static_selectorELNS0_4arch9wavefront6targetE1EEEvT1_
    .private_segment_fixed_size: 0
    .sgpr_count:     4
    .sgpr_spill_count: 0
    .symbol:         _ZN7rocprim17ROCPRIM_400000_NS6detail17trampoline_kernelINS0_14default_configENS1_29reduce_by_key_config_selectorIjtN6thrust23THRUST_200600_302600_NS4plusItEEEEZZNS1_33reduce_by_key_impl_wrapped_configILNS1_25lookback_scan_determinismE0ES3_S9_NS6_6detail15normal_iteratorINS6_10device_ptrIjEEEENSD_INSE_ItEEEENS6_16discard_iteratorINS6_11use_defaultEEESI_PmS8_NS6_8equal_toIjEEEE10hipError_tPvRmT2_T3_mT4_T5_T6_T7_T8_P12ihipStream_tbENKUlT_T0_E_clISt17integral_constantIbLb1EES16_EEDaS11_S12_EUlS11_E_NS1_11comp_targetILNS1_3genE10ELNS1_11target_archE1201ELNS1_3gpuE5ELNS1_3repE0EEENS1_30default_config_static_selectorELNS0_4arch9wavefront6targetE1EEEvT1_.kd
    .uniform_work_group_size: 1
    .uses_dynamic_stack: false
    .vgpr_count:     0
    .vgpr_spill_count: 0
    .wavefront_size: 64
  - .agpr_count:     0
    .args:
      - .offset:         0
        .size:           128
        .value_kind:     by_value
    .group_segment_fixed_size: 0
    .kernarg_segment_align: 8
    .kernarg_segment_size: 128
    .language:       OpenCL C
    .language_version:
      - 2
      - 0
    .max_flat_workgroup_size: 256
    .name:           _ZN7rocprim17ROCPRIM_400000_NS6detail17trampoline_kernelINS0_14default_configENS1_29reduce_by_key_config_selectorIjtN6thrust23THRUST_200600_302600_NS4plusItEEEEZZNS1_33reduce_by_key_impl_wrapped_configILNS1_25lookback_scan_determinismE0ES3_S9_NS6_6detail15normal_iteratorINS6_10device_ptrIjEEEENSD_INSE_ItEEEENS6_16discard_iteratorINS6_11use_defaultEEESI_PmS8_NS6_8equal_toIjEEEE10hipError_tPvRmT2_T3_mT4_T5_T6_T7_T8_P12ihipStream_tbENKUlT_T0_E_clISt17integral_constantIbLb1EES16_EEDaS11_S12_EUlS11_E_NS1_11comp_targetILNS1_3genE10ELNS1_11target_archE1200ELNS1_3gpuE4ELNS1_3repE0EEENS1_30default_config_static_selectorELNS0_4arch9wavefront6targetE1EEEvT1_
    .private_segment_fixed_size: 0
    .sgpr_count:     4
    .sgpr_spill_count: 0
    .symbol:         _ZN7rocprim17ROCPRIM_400000_NS6detail17trampoline_kernelINS0_14default_configENS1_29reduce_by_key_config_selectorIjtN6thrust23THRUST_200600_302600_NS4plusItEEEEZZNS1_33reduce_by_key_impl_wrapped_configILNS1_25lookback_scan_determinismE0ES3_S9_NS6_6detail15normal_iteratorINS6_10device_ptrIjEEEENSD_INSE_ItEEEENS6_16discard_iteratorINS6_11use_defaultEEESI_PmS8_NS6_8equal_toIjEEEE10hipError_tPvRmT2_T3_mT4_T5_T6_T7_T8_P12ihipStream_tbENKUlT_T0_E_clISt17integral_constantIbLb1EES16_EEDaS11_S12_EUlS11_E_NS1_11comp_targetILNS1_3genE10ELNS1_11target_archE1200ELNS1_3gpuE4ELNS1_3repE0EEENS1_30default_config_static_selectorELNS0_4arch9wavefront6targetE1EEEvT1_.kd
    .uniform_work_group_size: 1
    .uses_dynamic_stack: false
    .vgpr_count:     0
    .vgpr_spill_count: 0
    .wavefront_size: 64
  - .agpr_count:     0
    .args:
      - .offset:         0
        .size:           128
        .value_kind:     by_value
    .group_segment_fixed_size: 0
    .kernarg_segment_align: 8
    .kernarg_segment_size: 128
    .language:       OpenCL C
    .language_version:
      - 2
      - 0
    .max_flat_workgroup_size: 256
    .name:           _ZN7rocprim17ROCPRIM_400000_NS6detail17trampoline_kernelINS0_14default_configENS1_29reduce_by_key_config_selectorIjtN6thrust23THRUST_200600_302600_NS4plusItEEEEZZNS1_33reduce_by_key_impl_wrapped_configILNS1_25lookback_scan_determinismE0ES3_S9_NS6_6detail15normal_iteratorINS6_10device_ptrIjEEEENSD_INSE_ItEEEENS6_16discard_iteratorINS6_11use_defaultEEESI_PmS8_NS6_8equal_toIjEEEE10hipError_tPvRmT2_T3_mT4_T5_T6_T7_T8_P12ihipStream_tbENKUlT_T0_E_clISt17integral_constantIbLb1EES16_EEDaS11_S12_EUlS11_E_NS1_11comp_targetILNS1_3genE9ELNS1_11target_archE1100ELNS1_3gpuE3ELNS1_3repE0EEENS1_30default_config_static_selectorELNS0_4arch9wavefront6targetE1EEEvT1_
    .private_segment_fixed_size: 0
    .sgpr_count:     4
    .sgpr_spill_count: 0
    .symbol:         _ZN7rocprim17ROCPRIM_400000_NS6detail17trampoline_kernelINS0_14default_configENS1_29reduce_by_key_config_selectorIjtN6thrust23THRUST_200600_302600_NS4plusItEEEEZZNS1_33reduce_by_key_impl_wrapped_configILNS1_25lookback_scan_determinismE0ES3_S9_NS6_6detail15normal_iteratorINS6_10device_ptrIjEEEENSD_INSE_ItEEEENS6_16discard_iteratorINS6_11use_defaultEEESI_PmS8_NS6_8equal_toIjEEEE10hipError_tPvRmT2_T3_mT4_T5_T6_T7_T8_P12ihipStream_tbENKUlT_T0_E_clISt17integral_constantIbLb1EES16_EEDaS11_S12_EUlS11_E_NS1_11comp_targetILNS1_3genE9ELNS1_11target_archE1100ELNS1_3gpuE3ELNS1_3repE0EEENS1_30default_config_static_selectorELNS0_4arch9wavefront6targetE1EEEvT1_.kd
    .uniform_work_group_size: 1
    .uses_dynamic_stack: false
    .vgpr_count:     0
    .vgpr_spill_count: 0
    .wavefront_size: 64
  - .agpr_count:     0
    .args:
      - .offset:         0
        .size:           128
        .value_kind:     by_value
    .group_segment_fixed_size: 0
    .kernarg_segment_align: 8
    .kernarg_segment_size: 128
    .language:       OpenCL C
    .language_version:
      - 2
      - 0
    .max_flat_workgroup_size: 256
    .name:           _ZN7rocprim17ROCPRIM_400000_NS6detail17trampoline_kernelINS0_14default_configENS1_29reduce_by_key_config_selectorIjtN6thrust23THRUST_200600_302600_NS4plusItEEEEZZNS1_33reduce_by_key_impl_wrapped_configILNS1_25lookback_scan_determinismE0ES3_S9_NS6_6detail15normal_iteratorINS6_10device_ptrIjEEEENSD_INSE_ItEEEENS6_16discard_iteratorINS6_11use_defaultEEESI_PmS8_NS6_8equal_toIjEEEE10hipError_tPvRmT2_T3_mT4_T5_T6_T7_T8_P12ihipStream_tbENKUlT_T0_E_clISt17integral_constantIbLb1EES16_EEDaS11_S12_EUlS11_E_NS1_11comp_targetILNS1_3genE8ELNS1_11target_archE1030ELNS1_3gpuE2ELNS1_3repE0EEENS1_30default_config_static_selectorELNS0_4arch9wavefront6targetE1EEEvT1_
    .private_segment_fixed_size: 0
    .sgpr_count:     4
    .sgpr_spill_count: 0
    .symbol:         _ZN7rocprim17ROCPRIM_400000_NS6detail17trampoline_kernelINS0_14default_configENS1_29reduce_by_key_config_selectorIjtN6thrust23THRUST_200600_302600_NS4plusItEEEEZZNS1_33reduce_by_key_impl_wrapped_configILNS1_25lookback_scan_determinismE0ES3_S9_NS6_6detail15normal_iteratorINS6_10device_ptrIjEEEENSD_INSE_ItEEEENS6_16discard_iteratorINS6_11use_defaultEEESI_PmS8_NS6_8equal_toIjEEEE10hipError_tPvRmT2_T3_mT4_T5_T6_T7_T8_P12ihipStream_tbENKUlT_T0_E_clISt17integral_constantIbLb1EES16_EEDaS11_S12_EUlS11_E_NS1_11comp_targetILNS1_3genE8ELNS1_11target_archE1030ELNS1_3gpuE2ELNS1_3repE0EEENS1_30default_config_static_selectorELNS0_4arch9wavefront6targetE1EEEvT1_.kd
    .uniform_work_group_size: 1
    .uses_dynamic_stack: false
    .vgpr_count:     0
    .vgpr_spill_count: 0
    .wavefront_size: 64
  - .agpr_count:     0
    .args:
      - .offset:         0
        .size:           128
        .value_kind:     by_value
    .group_segment_fixed_size: 0
    .kernarg_segment_align: 8
    .kernarg_segment_size: 128
    .language:       OpenCL C
    .language_version:
      - 2
      - 0
    .max_flat_workgroup_size: 256
    .name:           _ZN7rocprim17ROCPRIM_400000_NS6detail17trampoline_kernelINS0_14default_configENS1_29reduce_by_key_config_selectorIjtN6thrust23THRUST_200600_302600_NS4plusItEEEEZZNS1_33reduce_by_key_impl_wrapped_configILNS1_25lookback_scan_determinismE0ES3_S9_NS6_6detail15normal_iteratorINS6_10device_ptrIjEEEENSD_INSE_ItEEEENS6_16discard_iteratorINS6_11use_defaultEEESI_PmS8_NS6_8equal_toIjEEEE10hipError_tPvRmT2_T3_mT4_T5_T6_T7_T8_P12ihipStream_tbENKUlT_T0_E_clISt17integral_constantIbLb1EES15_IbLb0EEEEDaS11_S12_EUlS11_E_NS1_11comp_targetILNS1_3genE0ELNS1_11target_archE4294967295ELNS1_3gpuE0ELNS1_3repE0EEENS1_30default_config_static_selectorELNS0_4arch9wavefront6targetE1EEEvT1_
    .private_segment_fixed_size: 0
    .sgpr_count:     4
    .sgpr_spill_count: 0
    .symbol:         _ZN7rocprim17ROCPRIM_400000_NS6detail17trampoline_kernelINS0_14default_configENS1_29reduce_by_key_config_selectorIjtN6thrust23THRUST_200600_302600_NS4plusItEEEEZZNS1_33reduce_by_key_impl_wrapped_configILNS1_25lookback_scan_determinismE0ES3_S9_NS6_6detail15normal_iteratorINS6_10device_ptrIjEEEENSD_INSE_ItEEEENS6_16discard_iteratorINS6_11use_defaultEEESI_PmS8_NS6_8equal_toIjEEEE10hipError_tPvRmT2_T3_mT4_T5_T6_T7_T8_P12ihipStream_tbENKUlT_T0_E_clISt17integral_constantIbLb1EES15_IbLb0EEEEDaS11_S12_EUlS11_E_NS1_11comp_targetILNS1_3genE0ELNS1_11target_archE4294967295ELNS1_3gpuE0ELNS1_3repE0EEENS1_30default_config_static_selectorELNS0_4arch9wavefront6targetE1EEEvT1_.kd
    .uniform_work_group_size: 1
    .uses_dynamic_stack: false
    .vgpr_count:     0
    .vgpr_spill_count: 0
    .wavefront_size: 64
  - .agpr_count:     0
    .args:
      - .offset:         0
        .size:           128
        .value_kind:     by_value
    .group_segment_fixed_size: 0
    .kernarg_segment_align: 8
    .kernarg_segment_size: 128
    .language:       OpenCL C
    .language_version:
      - 2
      - 0
    .max_flat_workgroup_size: 256
    .name:           _ZN7rocprim17ROCPRIM_400000_NS6detail17trampoline_kernelINS0_14default_configENS1_29reduce_by_key_config_selectorIjtN6thrust23THRUST_200600_302600_NS4plusItEEEEZZNS1_33reduce_by_key_impl_wrapped_configILNS1_25lookback_scan_determinismE0ES3_S9_NS6_6detail15normal_iteratorINS6_10device_ptrIjEEEENSD_INSE_ItEEEENS6_16discard_iteratorINS6_11use_defaultEEESI_PmS8_NS6_8equal_toIjEEEE10hipError_tPvRmT2_T3_mT4_T5_T6_T7_T8_P12ihipStream_tbENKUlT_T0_E_clISt17integral_constantIbLb1EES15_IbLb0EEEEDaS11_S12_EUlS11_E_NS1_11comp_targetILNS1_3genE5ELNS1_11target_archE942ELNS1_3gpuE9ELNS1_3repE0EEENS1_30default_config_static_selectorELNS0_4arch9wavefront6targetE1EEEvT1_
    .private_segment_fixed_size: 0
    .sgpr_count:     4
    .sgpr_spill_count: 0
    .symbol:         _ZN7rocprim17ROCPRIM_400000_NS6detail17trampoline_kernelINS0_14default_configENS1_29reduce_by_key_config_selectorIjtN6thrust23THRUST_200600_302600_NS4plusItEEEEZZNS1_33reduce_by_key_impl_wrapped_configILNS1_25lookback_scan_determinismE0ES3_S9_NS6_6detail15normal_iteratorINS6_10device_ptrIjEEEENSD_INSE_ItEEEENS6_16discard_iteratorINS6_11use_defaultEEESI_PmS8_NS6_8equal_toIjEEEE10hipError_tPvRmT2_T3_mT4_T5_T6_T7_T8_P12ihipStream_tbENKUlT_T0_E_clISt17integral_constantIbLb1EES15_IbLb0EEEEDaS11_S12_EUlS11_E_NS1_11comp_targetILNS1_3genE5ELNS1_11target_archE942ELNS1_3gpuE9ELNS1_3repE0EEENS1_30default_config_static_selectorELNS0_4arch9wavefront6targetE1EEEvT1_.kd
    .uniform_work_group_size: 1
    .uses_dynamic_stack: false
    .vgpr_count:     0
    .vgpr_spill_count: 0
    .wavefront_size: 64
  - .agpr_count:     0
    .args:
      - .offset:         0
        .size:           128
        .value_kind:     by_value
    .group_segment_fixed_size: 15360
    .kernarg_segment_align: 8
    .kernarg_segment_size: 128
    .language:       OpenCL C
    .language_version:
      - 2
      - 0
    .max_flat_workgroup_size: 256
    .name:           _ZN7rocprim17ROCPRIM_400000_NS6detail17trampoline_kernelINS0_14default_configENS1_29reduce_by_key_config_selectorIjtN6thrust23THRUST_200600_302600_NS4plusItEEEEZZNS1_33reduce_by_key_impl_wrapped_configILNS1_25lookback_scan_determinismE0ES3_S9_NS6_6detail15normal_iteratorINS6_10device_ptrIjEEEENSD_INSE_ItEEEENS6_16discard_iteratorINS6_11use_defaultEEESI_PmS8_NS6_8equal_toIjEEEE10hipError_tPvRmT2_T3_mT4_T5_T6_T7_T8_P12ihipStream_tbENKUlT_T0_E_clISt17integral_constantIbLb1EES15_IbLb0EEEEDaS11_S12_EUlS11_E_NS1_11comp_targetILNS1_3genE4ELNS1_11target_archE910ELNS1_3gpuE8ELNS1_3repE0EEENS1_30default_config_static_selectorELNS0_4arch9wavefront6targetE1EEEvT1_
    .private_segment_fixed_size: 0
    .sgpr_count:     64
    .sgpr_spill_count: 0
    .symbol:         _ZN7rocprim17ROCPRIM_400000_NS6detail17trampoline_kernelINS0_14default_configENS1_29reduce_by_key_config_selectorIjtN6thrust23THRUST_200600_302600_NS4plusItEEEEZZNS1_33reduce_by_key_impl_wrapped_configILNS1_25lookback_scan_determinismE0ES3_S9_NS6_6detail15normal_iteratorINS6_10device_ptrIjEEEENSD_INSE_ItEEEENS6_16discard_iteratorINS6_11use_defaultEEESI_PmS8_NS6_8equal_toIjEEEE10hipError_tPvRmT2_T3_mT4_T5_T6_T7_T8_P12ihipStream_tbENKUlT_T0_E_clISt17integral_constantIbLb1EES15_IbLb0EEEEDaS11_S12_EUlS11_E_NS1_11comp_targetILNS1_3genE4ELNS1_11target_archE910ELNS1_3gpuE8ELNS1_3repE0EEENS1_30default_config_static_selectorELNS0_4arch9wavefront6targetE1EEEvT1_.kd
    .uniform_work_group_size: 1
    .uses_dynamic_stack: false
    .vgpr_count:     87
    .vgpr_spill_count: 0
    .wavefront_size: 64
  - .agpr_count:     0
    .args:
      - .offset:         0
        .size:           128
        .value_kind:     by_value
    .group_segment_fixed_size: 0
    .kernarg_segment_align: 8
    .kernarg_segment_size: 128
    .language:       OpenCL C
    .language_version:
      - 2
      - 0
    .max_flat_workgroup_size: 256
    .name:           _ZN7rocprim17ROCPRIM_400000_NS6detail17trampoline_kernelINS0_14default_configENS1_29reduce_by_key_config_selectorIjtN6thrust23THRUST_200600_302600_NS4plusItEEEEZZNS1_33reduce_by_key_impl_wrapped_configILNS1_25lookback_scan_determinismE0ES3_S9_NS6_6detail15normal_iteratorINS6_10device_ptrIjEEEENSD_INSE_ItEEEENS6_16discard_iteratorINS6_11use_defaultEEESI_PmS8_NS6_8equal_toIjEEEE10hipError_tPvRmT2_T3_mT4_T5_T6_T7_T8_P12ihipStream_tbENKUlT_T0_E_clISt17integral_constantIbLb1EES15_IbLb0EEEEDaS11_S12_EUlS11_E_NS1_11comp_targetILNS1_3genE3ELNS1_11target_archE908ELNS1_3gpuE7ELNS1_3repE0EEENS1_30default_config_static_selectorELNS0_4arch9wavefront6targetE1EEEvT1_
    .private_segment_fixed_size: 0
    .sgpr_count:     4
    .sgpr_spill_count: 0
    .symbol:         _ZN7rocprim17ROCPRIM_400000_NS6detail17trampoline_kernelINS0_14default_configENS1_29reduce_by_key_config_selectorIjtN6thrust23THRUST_200600_302600_NS4plusItEEEEZZNS1_33reduce_by_key_impl_wrapped_configILNS1_25lookback_scan_determinismE0ES3_S9_NS6_6detail15normal_iteratorINS6_10device_ptrIjEEEENSD_INSE_ItEEEENS6_16discard_iteratorINS6_11use_defaultEEESI_PmS8_NS6_8equal_toIjEEEE10hipError_tPvRmT2_T3_mT4_T5_T6_T7_T8_P12ihipStream_tbENKUlT_T0_E_clISt17integral_constantIbLb1EES15_IbLb0EEEEDaS11_S12_EUlS11_E_NS1_11comp_targetILNS1_3genE3ELNS1_11target_archE908ELNS1_3gpuE7ELNS1_3repE0EEENS1_30default_config_static_selectorELNS0_4arch9wavefront6targetE1EEEvT1_.kd
    .uniform_work_group_size: 1
    .uses_dynamic_stack: false
    .vgpr_count:     0
    .vgpr_spill_count: 0
    .wavefront_size: 64
  - .agpr_count:     0
    .args:
      - .offset:         0
        .size:           128
        .value_kind:     by_value
    .group_segment_fixed_size: 0
    .kernarg_segment_align: 8
    .kernarg_segment_size: 128
    .language:       OpenCL C
    .language_version:
      - 2
      - 0
    .max_flat_workgroup_size: 256
    .name:           _ZN7rocprim17ROCPRIM_400000_NS6detail17trampoline_kernelINS0_14default_configENS1_29reduce_by_key_config_selectorIjtN6thrust23THRUST_200600_302600_NS4plusItEEEEZZNS1_33reduce_by_key_impl_wrapped_configILNS1_25lookback_scan_determinismE0ES3_S9_NS6_6detail15normal_iteratorINS6_10device_ptrIjEEEENSD_INSE_ItEEEENS6_16discard_iteratorINS6_11use_defaultEEESI_PmS8_NS6_8equal_toIjEEEE10hipError_tPvRmT2_T3_mT4_T5_T6_T7_T8_P12ihipStream_tbENKUlT_T0_E_clISt17integral_constantIbLb1EES15_IbLb0EEEEDaS11_S12_EUlS11_E_NS1_11comp_targetILNS1_3genE2ELNS1_11target_archE906ELNS1_3gpuE6ELNS1_3repE0EEENS1_30default_config_static_selectorELNS0_4arch9wavefront6targetE1EEEvT1_
    .private_segment_fixed_size: 0
    .sgpr_count:     4
    .sgpr_spill_count: 0
    .symbol:         _ZN7rocprim17ROCPRIM_400000_NS6detail17trampoline_kernelINS0_14default_configENS1_29reduce_by_key_config_selectorIjtN6thrust23THRUST_200600_302600_NS4plusItEEEEZZNS1_33reduce_by_key_impl_wrapped_configILNS1_25lookback_scan_determinismE0ES3_S9_NS6_6detail15normal_iteratorINS6_10device_ptrIjEEEENSD_INSE_ItEEEENS6_16discard_iteratorINS6_11use_defaultEEESI_PmS8_NS6_8equal_toIjEEEE10hipError_tPvRmT2_T3_mT4_T5_T6_T7_T8_P12ihipStream_tbENKUlT_T0_E_clISt17integral_constantIbLb1EES15_IbLb0EEEEDaS11_S12_EUlS11_E_NS1_11comp_targetILNS1_3genE2ELNS1_11target_archE906ELNS1_3gpuE6ELNS1_3repE0EEENS1_30default_config_static_selectorELNS0_4arch9wavefront6targetE1EEEvT1_.kd
    .uniform_work_group_size: 1
    .uses_dynamic_stack: false
    .vgpr_count:     0
    .vgpr_spill_count: 0
    .wavefront_size: 64
  - .agpr_count:     0
    .args:
      - .offset:         0
        .size:           128
        .value_kind:     by_value
    .group_segment_fixed_size: 0
    .kernarg_segment_align: 8
    .kernarg_segment_size: 128
    .language:       OpenCL C
    .language_version:
      - 2
      - 0
    .max_flat_workgroup_size: 256
    .name:           _ZN7rocprim17ROCPRIM_400000_NS6detail17trampoline_kernelINS0_14default_configENS1_29reduce_by_key_config_selectorIjtN6thrust23THRUST_200600_302600_NS4plusItEEEEZZNS1_33reduce_by_key_impl_wrapped_configILNS1_25lookback_scan_determinismE0ES3_S9_NS6_6detail15normal_iteratorINS6_10device_ptrIjEEEENSD_INSE_ItEEEENS6_16discard_iteratorINS6_11use_defaultEEESI_PmS8_NS6_8equal_toIjEEEE10hipError_tPvRmT2_T3_mT4_T5_T6_T7_T8_P12ihipStream_tbENKUlT_T0_E_clISt17integral_constantIbLb1EES15_IbLb0EEEEDaS11_S12_EUlS11_E_NS1_11comp_targetILNS1_3genE10ELNS1_11target_archE1201ELNS1_3gpuE5ELNS1_3repE0EEENS1_30default_config_static_selectorELNS0_4arch9wavefront6targetE1EEEvT1_
    .private_segment_fixed_size: 0
    .sgpr_count:     4
    .sgpr_spill_count: 0
    .symbol:         _ZN7rocprim17ROCPRIM_400000_NS6detail17trampoline_kernelINS0_14default_configENS1_29reduce_by_key_config_selectorIjtN6thrust23THRUST_200600_302600_NS4plusItEEEEZZNS1_33reduce_by_key_impl_wrapped_configILNS1_25lookback_scan_determinismE0ES3_S9_NS6_6detail15normal_iteratorINS6_10device_ptrIjEEEENSD_INSE_ItEEEENS6_16discard_iteratorINS6_11use_defaultEEESI_PmS8_NS6_8equal_toIjEEEE10hipError_tPvRmT2_T3_mT4_T5_T6_T7_T8_P12ihipStream_tbENKUlT_T0_E_clISt17integral_constantIbLb1EES15_IbLb0EEEEDaS11_S12_EUlS11_E_NS1_11comp_targetILNS1_3genE10ELNS1_11target_archE1201ELNS1_3gpuE5ELNS1_3repE0EEENS1_30default_config_static_selectorELNS0_4arch9wavefront6targetE1EEEvT1_.kd
    .uniform_work_group_size: 1
    .uses_dynamic_stack: false
    .vgpr_count:     0
    .vgpr_spill_count: 0
    .wavefront_size: 64
  - .agpr_count:     0
    .args:
      - .offset:         0
        .size:           128
        .value_kind:     by_value
    .group_segment_fixed_size: 0
    .kernarg_segment_align: 8
    .kernarg_segment_size: 128
    .language:       OpenCL C
    .language_version:
      - 2
      - 0
    .max_flat_workgroup_size: 256
    .name:           _ZN7rocprim17ROCPRIM_400000_NS6detail17trampoline_kernelINS0_14default_configENS1_29reduce_by_key_config_selectorIjtN6thrust23THRUST_200600_302600_NS4plusItEEEEZZNS1_33reduce_by_key_impl_wrapped_configILNS1_25lookback_scan_determinismE0ES3_S9_NS6_6detail15normal_iteratorINS6_10device_ptrIjEEEENSD_INSE_ItEEEENS6_16discard_iteratorINS6_11use_defaultEEESI_PmS8_NS6_8equal_toIjEEEE10hipError_tPvRmT2_T3_mT4_T5_T6_T7_T8_P12ihipStream_tbENKUlT_T0_E_clISt17integral_constantIbLb1EES15_IbLb0EEEEDaS11_S12_EUlS11_E_NS1_11comp_targetILNS1_3genE10ELNS1_11target_archE1200ELNS1_3gpuE4ELNS1_3repE0EEENS1_30default_config_static_selectorELNS0_4arch9wavefront6targetE1EEEvT1_
    .private_segment_fixed_size: 0
    .sgpr_count:     4
    .sgpr_spill_count: 0
    .symbol:         _ZN7rocprim17ROCPRIM_400000_NS6detail17trampoline_kernelINS0_14default_configENS1_29reduce_by_key_config_selectorIjtN6thrust23THRUST_200600_302600_NS4plusItEEEEZZNS1_33reduce_by_key_impl_wrapped_configILNS1_25lookback_scan_determinismE0ES3_S9_NS6_6detail15normal_iteratorINS6_10device_ptrIjEEEENSD_INSE_ItEEEENS6_16discard_iteratorINS6_11use_defaultEEESI_PmS8_NS6_8equal_toIjEEEE10hipError_tPvRmT2_T3_mT4_T5_T6_T7_T8_P12ihipStream_tbENKUlT_T0_E_clISt17integral_constantIbLb1EES15_IbLb0EEEEDaS11_S12_EUlS11_E_NS1_11comp_targetILNS1_3genE10ELNS1_11target_archE1200ELNS1_3gpuE4ELNS1_3repE0EEENS1_30default_config_static_selectorELNS0_4arch9wavefront6targetE1EEEvT1_.kd
    .uniform_work_group_size: 1
    .uses_dynamic_stack: false
    .vgpr_count:     0
    .vgpr_spill_count: 0
    .wavefront_size: 64
  - .agpr_count:     0
    .args:
      - .offset:         0
        .size:           128
        .value_kind:     by_value
    .group_segment_fixed_size: 0
    .kernarg_segment_align: 8
    .kernarg_segment_size: 128
    .language:       OpenCL C
    .language_version:
      - 2
      - 0
    .max_flat_workgroup_size: 256
    .name:           _ZN7rocprim17ROCPRIM_400000_NS6detail17trampoline_kernelINS0_14default_configENS1_29reduce_by_key_config_selectorIjtN6thrust23THRUST_200600_302600_NS4plusItEEEEZZNS1_33reduce_by_key_impl_wrapped_configILNS1_25lookback_scan_determinismE0ES3_S9_NS6_6detail15normal_iteratorINS6_10device_ptrIjEEEENSD_INSE_ItEEEENS6_16discard_iteratorINS6_11use_defaultEEESI_PmS8_NS6_8equal_toIjEEEE10hipError_tPvRmT2_T3_mT4_T5_T6_T7_T8_P12ihipStream_tbENKUlT_T0_E_clISt17integral_constantIbLb1EES15_IbLb0EEEEDaS11_S12_EUlS11_E_NS1_11comp_targetILNS1_3genE9ELNS1_11target_archE1100ELNS1_3gpuE3ELNS1_3repE0EEENS1_30default_config_static_selectorELNS0_4arch9wavefront6targetE1EEEvT1_
    .private_segment_fixed_size: 0
    .sgpr_count:     4
    .sgpr_spill_count: 0
    .symbol:         _ZN7rocprim17ROCPRIM_400000_NS6detail17trampoline_kernelINS0_14default_configENS1_29reduce_by_key_config_selectorIjtN6thrust23THRUST_200600_302600_NS4plusItEEEEZZNS1_33reduce_by_key_impl_wrapped_configILNS1_25lookback_scan_determinismE0ES3_S9_NS6_6detail15normal_iteratorINS6_10device_ptrIjEEEENSD_INSE_ItEEEENS6_16discard_iteratorINS6_11use_defaultEEESI_PmS8_NS6_8equal_toIjEEEE10hipError_tPvRmT2_T3_mT4_T5_T6_T7_T8_P12ihipStream_tbENKUlT_T0_E_clISt17integral_constantIbLb1EES15_IbLb0EEEEDaS11_S12_EUlS11_E_NS1_11comp_targetILNS1_3genE9ELNS1_11target_archE1100ELNS1_3gpuE3ELNS1_3repE0EEENS1_30default_config_static_selectorELNS0_4arch9wavefront6targetE1EEEvT1_.kd
    .uniform_work_group_size: 1
    .uses_dynamic_stack: false
    .vgpr_count:     0
    .vgpr_spill_count: 0
    .wavefront_size: 64
  - .agpr_count:     0
    .args:
      - .offset:         0
        .size:           128
        .value_kind:     by_value
    .group_segment_fixed_size: 0
    .kernarg_segment_align: 8
    .kernarg_segment_size: 128
    .language:       OpenCL C
    .language_version:
      - 2
      - 0
    .max_flat_workgroup_size: 256
    .name:           _ZN7rocprim17ROCPRIM_400000_NS6detail17trampoline_kernelINS0_14default_configENS1_29reduce_by_key_config_selectorIjtN6thrust23THRUST_200600_302600_NS4plusItEEEEZZNS1_33reduce_by_key_impl_wrapped_configILNS1_25lookback_scan_determinismE0ES3_S9_NS6_6detail15normal_iteratorINS6_10device_ptrIjEEEENSD_INSE_ItEEEENS6_16discard_iteratorINS6_11use_defaultEEESI_PmS8_NS6_8equal_toIjEEEE10hipError_tPvRmT2_T3_mT4_T5_T6_T7_T8_P12ihipStream_tbENKUlT_T0_E_clISt17integral_constantIbLb1EES15_IbLb0EEEEDaS11_S12_EUlS11_E_NS1_11comp_targetILNS1_3genE8ELNS1_11target_archE1030ELNS1_3gpuE2ELNS1_3repE0EEENS1_30default_config_static_selectorELNS0_4arch9wavefront6targetE1EEEvT1_
    .private_segment_fixed_size: 0
    .sgpr_count:     4
    .sgpr_spill_count: 0
    .symbol:         _ZN7rocprim17ROCPRIM_400000_NS6detail17trampoline_kernelINS0_14default_configENS1_29reduce_by_key_config_selectorIjtN6thrust23THRUST_200600_302600_NS4plusItEEEEZZNS1_33reduce_by_key_impl_wrapped_configILNS1_25lookback_scan_determinismE0ES3_S9_NS6_6detail15normal_iteratorINS6_10device_ptrIjEEEENSD_INSE_ItEEEENS6_16discard_iteratorINS6_11use_defaultEEESI_PmS8_NS6_8equal_toIjEEEE10hipError_tPvRmT2_T3_mT4_T5_T6_T7_T8_P12ihipStream_tbENKUlT_T0_E_clISt17integral_constantIbLb1EES15_IbLb0EEEEDaS11_S12_EUlS11_E_NS1_11comp_targetILNS1_3genE8ELNS1_11target_archE1030ELNS1_3gpuE2ELNS1_3repE0EEENS1_30default_config_static_selectorELNS0_4arch9wavefront6targetE1EEEvT1_.kd
    .uniform_work_group_size: 1
    .uses_dynamic_stack: false
    .vgpr_count:     0
    .vgpr_spill_count: 0
    .wavefront_size: 64
  - .agpr_count:     0
    .args:
      - .offset:         0
        .size:           128
        .value_kind:     by_value
    .group_segment_fixed_size: 0
    .kernarg_segment_align: 8
    .kernarg_segment_size: 128
    .language:       OpenCL C
    .language_version:
      - 2
      - 0
    .max_flat_workgroup_size: 256
    .name:           _ZN7rocprim17ROCPRIM_400000_NS6detail17trampoline_kernelINS0_14default_configENS1_29reduce_by_key_config_selectorIjtN6thrust23THRUST_200600_302600_NS4plusItEEEEZZNS1_33reduce_by_key_impl_wrapped_configILNS1_25lookback_scan_determinismE0ES3_S9_NS6_6detail15normal_iteratorINS6_10device_ptrIjEEEENSD_INSE_ItEEEENS6_16discard_iteratorINS6_11use_defaultEEESI_PmS8_NS6_8equal_toIjEEEE10hipError_tPvRmT2_T3_mT4_T5_T6_T7_T8_P12ihipStream_tbENKUlT_T0_E_clISt17integral_constantIbLb0EES15_IbLb1EEEEDaS11_S12_EUlS11_E_NS1_11comp_targetILNS1_3genE0ELNS1_11target_archE4294967295ELNS1_3gpuE0ELNS1_3repE0EEENS1_30default_config_static_selectorELNS0_4arch9wavefront6targetE1EEEvT1_
    .private_segment_fixed_size: 0
    .sgpr_count:     4
    .sgpr_spill_count: 0
    .symbol:         _ZN7rocprim17ROCPRIM_400000_NS6detail17trampoline_kernelINS0_14default_configENS1_29reduce_by_key_config_selectorIjtN6thrust23THRUST_200600_302600_NS4plusItEEEEZZNS1_33reduce_by_key_impl_wrapped_configILNS1_25lookback_scan_determinismE0ES3_S9_NS6_6detail15normal_iteratorINS6_10device_ptrIjEEEENSD_INSE_ItEEEENS6_16discard_iteratorINS6_11use_defaultEEESI_PmS8_NS6_8equal_toIjEEEE10hipError_tPvRmT2_T3_mT4_T5_T6_T7_T8_P12ihipStream_tbENKUlT_T0_E_clISt17integral_constantIbLb0EES15_IbLb1EEEEDaS11_S12_EUlS11_E_NS1_11comp_targetILNS1_3genE0ELNS1_11target_archE4294967295ELNS1_3gpuE0ELNS1_3repE0EEENS1_30default_config_static_selectorELNS0_4arch9wavefront6targetE1EEEvT1_.kd
    .uniform_work_group_size: 1
    .uses_dynamic_stack: false
    .vgpr_count:     0
    .vgpr_spill_count: 0
    .wavefront_size: 64
  - .agpr_count:     0
    .args:
      - .offset:         0
        .size:           128
        .value_kind:     by_value
    .group_segment_fixed_size: 0
    .kernarg_segment_align: 8
    .kernarg_segment_size: 128
    .language:       OpenCL C
    .language_version:
      - 2
      - 0
    .max_flat_workgroup_size: 256
    .name:           _ZN7rocprim17ROCPRIM_400000_NS6detail17trampoline_kernelINS0_14default_configENS1_29reduce_by_key_config_selectorIjtN6thrust23THRUST_200600_302600_NS4plusItEEEEZZNS1_33reduce_by_key_impl_wrapped_configILNS1_25lookback_scan_determinismE0ES3_S9_NS6_6detail15normal_iteratorINS6_10device_ptrIjEEEENSD_INSE_ItEEEENS6_16discard_iteratorINS6_11use_defaultEEESI_PmS8_NS6_8equal_toIjEEEE10hipError_tPvRmT2_T3_mT4_T5_T6_T7_T8_P12ihipStream_tbENKUlT_T0_E_clISt17integral_constantIbLb0EES15_IbLb1EEEEDaS11_S12_EUlS11_E_NS1_11comp_targetILNS1_3genE5ELNS1_11target_archE942ELNS1_3gpuE9ELNS1_3repE0EEENS1_30default_config_static_selectorELNS0_4arch9wavefront6targetE1EEEvT1_
    .private_segment_fixed_size: 0
    .sgpr_count:     4
    .sgpr_spill_count: 0
    .symbol:         _ZN7rocprim17ROCPRIM_400000_NS6detail17trampoline_kernelINS0_14default_configENS1_29reduce_by_key_config_selectorIjtN6thrust23THRUST_200600_302600_NS4plusItEEEEZZNS1_33reduce_by_key_impl_wrapped_configILNS1_25lookback_scan_determinismE0ES3_S9_NS6_6detail15normal_iteratorINS6_10device_ptrIjEEEENSD_INSE_ItEEEENS6_16discard_iteratorINS6_11use_defaultEEESI_PmS8_NS6_8equal_toIjEEEE10hipError_tPvRmT2_T3_mT4_T5_T6_T7_T8_P12ihipStream_tbENKUlT_T0_E_clISt17integral_constantIbLb0EES15_IbLb1EEEEDaS11_S12_EUlS11_E_NS1_11comp_targetILNS1_3genE5ELNS1_11target_archE942ELNS1_3gpuE9ELNS1_3repE0EEENS1_30default_config_static_selectorELNS0_4arch9wavefront6targetE1EEEvT1_.kd
    .uniform_work_group_size: 1
    .uses_dynamic_stack: false
    .vgpr_count:     0
    .vgpr_spill_count: 0
    .wavefront_size: 64
  - .agpr_count:     0
    .args:
      - .offset:         0
        .size:           128
        .value_kind:     by_value
    .group_segment_fixed_size: 15360
    .kernarg_segment_align: 8
    .kernarg_segment_size: 128
    .language:       OpenCL C
    .language_version:
      - 2
      - 0
    .max_flat_workgroup_size: 256
    .name:           _ZN7rocprim17ROCPRIM_400000_NS6detail17trampoline_kernelINS0_14default_configENS1_29reduce_by_key_config_selectorIjtN6thrust23THRUST_200600_302600_NS4plusItEEEEZZNS1_33reduce_by_key_impl_wrapped_configILNS1_25lookback_scan_determinismE0ES3_S9_NS6_6detail15normal_iteratorINS6_10device_ptrIjEEEENSD_INSE_ItEEEENS6_16discard_iteratorINS6_11use_defaultEEESI_PmS8_NS6_8equal_toIjEEEE10hipError_tPvRmT2_T3_mT4_T5_T6_T7_T8_P12ihipStream_tbENKUlT_T0_E_clISt17integral_constantIbLb0EES15_IbLb1EEEEDaS11_S12_EUlS11_E_NS1_11comp_targetILNS1_3genE4ELNS1_11target_archE910ELNS1_3gpuE8ELNS1_3repE0EEENS1_30default_config_static_selectorELNS0_4arch9wavefront6targetE1EEEvT1_
    .private_segment_fixed_size: 0
    .sgpr_count:     68
    .sgpr_spill_count: 0
    .symbol:         _ZN7rocprim17ROCPRIM_400000_NS6detail17trampoline_kernelINS0_14default_configENS1_29reduce_by_key_config_selectorIjtN6thrust23THRUST_200600_302600_NS4plusItEEEEZZNS1_33reduce_by_key_impl_wrapped_configILNS1_25lookback_scan_determinismE0ES3_S9_NS6_6detail15normal_iteratorINS6_10device_ptrIjEEEENSD_INSE_ItEEEENS6_16discard_iteratorINS6_11use_defaultEEESI_PmS8_NS6_8equal_toIjEEEE10hipError_tPvRmT2_T3_mT4_T5_T6_T7_T8_P12ihipStream_tbENKUlT_T0_E_clISt17integral_constantIbLb0EES15_IbLb1EEEEDaS11_S12_EUlS11_E_NS1_11comp_targetILNS1_3genE4ELNS1_11target_archE910ELNS1_3gpuE8ELNS1_3repE0EEENS1_30default_config_static_selectorELNS0_4arch9wavefront6targetE1EEEvT1_.kd
    .uniform_work_group_size: 1
    .uses_dynamic_stack: false
    .vgpr_count:     87
    .vgpr_spill_count: 0
    .wavefront_size: 64
  - .agpr_count:     0
    .args:
      - .offset:         0
        .size:           128
        .value_kind:     by_value
    .group_segment_fixed_size: 0
    .kernarg_segment_align: 8
    .kernarg_segment_size: 128
    .language:       OpenCL C
    .language_version:
      - 2
      - 0
    .max_flat_workgroup_size: 256
    .name:           _ZN7rocprim17ROCPRIM_400000_NS6detail17trampoline_kernelINS0_14default_configENS1_29reduce_by_key_config_selectorIjtN6thrust23THRUST_200600_302600_NS4plusItEEEEZZNS1_33reduce_by_key_impl_wrapped_configILNS1_25lookback_scan_determinismE0ES3_S9_NS6_6detail15normal_iteratorINS6_10device_ptrIjEEEENSD_INSE_ItEEEENS6_16discard_iteratorINS6_11use_defaultEEESI_PmS8_NS6_8equal_toIjEEEE10hipError_tPvRmT2_T3_mT4_T5_T6_T7_T8_P12ihipStream_tbENKUlT_T0_E_clISt17integral_constantIbLb0EES15_IbLb1EEEEDaS11_S12_EUlS11_E_NS1_11comp_targetILNS1_3genE3ELNS1_11target_archE908ELNS1_3gpuE7ELNS1_3repE0EEENS1_30default_config_static_selectorELNS0_4arch9wavefront6targetE1EEEvT1_
    .private_segment_fixed_size: 0
    .sgpr_count:     4
    .sgpr_spill_count: 0
    .symbol:         _ZN7rocprim17ROCPRIM_400000_NS6detail17trampoline_kernelINS0_14default_configENS1_29reduce_by_key_config_selectorIjtN6thrust23THRUST_200600_302600_NS4plusItEEEEZZNS1_33reduce_by_key_impl_wrapped_configILNS1_25lookback_scan_determinismE0ES3_S9_NS6_6detail15normal_iteratorINS6_10device_ptrIjEEEENSD_INSE_ItEEEENS6_16discard_iteratorINS6_11use_defaultEEESI_PmS8_NS6_8equal_toIjEEEE10hipError_tPvRmT2_T3_mT4_T5_T6_T7_T8_P12ihipStream_tbENKUlT_T0_E_clISt17integral_constantIbLb0EES15_IbLb1EEEEDaS11_S12_EUlS11_E_NS1_11comp_targetILNS1_3genE3ELNS1_11target_archE908ELNS1_3gpuE7ELNS1_3repE0EEENS1_30default_config_static_selectorELNS0_4arch9wavefront6targetE1EEEvT1_.kd
    .uniform_work_group_size: 1
    .uses_dynamic_stack: false
    .vgpr_count:     0
    .vgpr_spill_count: 0
    .wavefront_size: 64
  - .agpr_count:     0
    .args:
      - .offset:         0
        .size:           128
        .value_kind:     by_value
    .group_segment_fixed_size: 0
    .kernarg_segment_align: 8
    .kernarg_segment_size: 128
    .language:       OpenCL C
    .language_version:
      - 2
      - 0
    .max_flat_workgroup_size: 256
    .name:           _ZN7rocprim17ROCPRIM_400000_NS6detail17trampoline_kernelINS0_14default_configENS1_29reduce_by_key_config_selectorIjtN6thrust23THRUST_200600_302600_NS4plusItEEEEZZNS1_33reduce_by_key_impl_wrapped_configILNS1_25lookback_scan_determinismE0ES3_S9_NS6_6detail15normal_iteratorINS6_10device_ptrIjEEEENSD_INSE_ItEEEENS6_16discard_iteratorINS6_11use_defaultEEESI_PmS8_NS6_8equal_toIjEEEE10hipError_tPvRmT2_T3_mT4_T5_T6_T7_T8_P12ihipStream_tbENKUlT_T0_E_clISt17integral_constantIbLb0EES15_IbLb1EEEEDaS11_S12_EUlS11_E_NS1_11comp_targetILNS1_3genE2ELNS1_11target_archE906ELNS1_3gpuE6ELNS1_3repE0EEENS1_30default_config_static_selectorELNS0_4arch9wavefront6targetE1EEEvT1_
    .private_segment_fixed_size: 0
    .sgpr_count:     4
    .sgpr_spill_count: 0
    .symbol:         _ZN7rocprim17ROCPRIM_400000_NS6detail17trampoline_kernelINS0_14default_configENS1_29reduce_by_key_config_selectorIjtN6thrust23THRUST_200600_302600_NS4plusItEEEEZZNS1_33reduce_by_key_impl_wrapped_configILNS1_25lookback_scan_determinismE0ES3_S9_NS6_6detail15normal_iteratorINS6_10device_ptrIjEEEENSD_INSE_ItEEEENS6_16discard_iteratorINS6_11use_defaultEEESI_PmS8_NS6_8equal_toIjEEEE10hipError_tPvRmT2_T3_mT4_T5_T6_T7_T8_P12ihipStream_tbENKUlT_T0_E_clISt17integral_constantIbLb0EES15_IbLb1EEEEDaS11_S12_EUlS11_E_NS1_11comp_targetILNS1_3genE2ELNS1_11target_archE906ELNS1_3gpuE6ELNS1_3repE0EEENS1_30default_config_static_selectorELNS0_4arch9wavefront6targetE1EEEvT1_.kd
    .uniform_work_group_size: 1
    .uses_dynamic_stack: false
    .vgpr_count:     0
    .vgpr_spill_count: 0
    .wavefront_size: 64
  - .agpr_count:     0
    .args:
      - .offset:         0
        .size:           128
        .value_kind:     by_value
    .group_segment_fixed_size: 0
    .kernarg_segment_align: 8
    .kernarg_segment_size: 128
    .language:       OpenCL C
    .language_version:
      - 2
      - 0
    .max_flat_workgroup_size: 256
    .name:           _ZN7rocprim17ROCPRIM_400000_NS6detail17trampoline_kernelINS0_14default_configENS1_29reduce_by_key_config_selectorIjtN6thrust23THRUST_200600_302600_NS4plusItEEEEZZNS1_33reduce_by_key_impl_wrapped_configILNS1_25lookback_scan_determinismE0ES3_S9_NS6_6detail15normal_iteratorINS6_10device_ptrIjEEEENSD_INSE_ItEEEENS6_16discard_iteratorINS6_11use_defaultEEESI_PmS8_NS6_8equal_toIjEEEE10hipError_tPvRmT2_T3_mT4_T5_T6_T7_T8_P12ihipStream_tbENKUlT_T0_E_clISt17integral_constantIbLb0EES15_IbLb1EEEEDaS11_S12_EUlS11_E_NS1_11comp_targetILNS1_3genE10ELNS1_11target_archE1201ELNS1_3gpuE5ELNS1_3repE0EEENS1_30default_config_static_selectorELNS0_4arch9wavefront6targetE1EEEvT1_
    .private_segment_fixed_size: 0
    .sgpr_count:     4
    .sgpr_spill_count: 0
    .symbol:         _ZN7rocprim17ROCPRIM_400000_NS6detail17trampoline_kernelINS0_14default_configENS1_29reduce_by_key_config_selectorIjtN6thrust23THRUST_200600_302600_NS4plusItEEEEZZNS1_33reduce_by_key_impl_wrapped_configILNS1_25lookback_scan_determinismE0ES3_S9_NS6_6detail15normal_iteratorINS6_10device_ptrIjEEEENSD_INSE_ItEEEENS6_16discard_iteratorINS6_11use_defaultEEESI_PmS8_NS6_8equal_toIjEEEE10hipError_tPvRmT2_T3_mT4_T5_T6_T7_T8_P12ihipStream_tbENKUlT_T0_E_clISt17integral_constantIbLb0EES15_IbLb1EEEEDaS11_S12_EUlS11_E_NS1_11comp_targetILNS1_3genE10ELNS1_11target_archE1201ELNS1_3gpuE5ELNS1_3repE0EEENS1_30default_config_static_selectorELNS0_4arch9wavefront6targetE1EEEvT1_.kd
    .uniform_work_group_size: 1
    .uses_dynamic_stack: false
    .vgpr_count:     0
    .vgpr_spill_count: 0
    .wavefront_size: 64
  - .agpr_count:     0
    .args:
      - .offset:         0
        .size:           128
        .value_kind:     by_value
    .group_segment_fixed_size: 0
    .kernarg_segment_align: 8
    .kernarg_segment_size: 128
    .language:       OpenCL C
    .language_version:
      - 2
      - 0
    .max_flat_workgroup_size: 256
    .name:           _ZN7rocprim17ROCPRIM_400000_NS6detail17trampoline_kernelINS0_14default_configENS1_29reduce_by_key_config_selectorIjtN6thrust23THRUST_200600_302600_NS4plusItEEEEZZNS1_33reduce_by_key_impl_wrapped_configILNS1_25lookback_scan_determinismE0ES3_S9_NS6_6detail15normal_iteratorINS6_10device_ptrIjEEEENSD_INSE_ItEEEENS6_16discard_iteratorINS6_11use_defaultEEESI_PmS8_NS6_8equal_toIjEEEE10hipError_tPvRmT2_T3_mT4_T5_T6_T7_T8_P12ihipStream_tbENKUlT_T0_E_clISt17integral_constantIbLb0EES15_IbLb1EEEEDaS11_S12_EUlS11_E_NS1_11comp_targetILNS1_3genE10ELNS1_11target_archE1200ELNS1_3gpuE4ELNS1_3repE0EEENS1_30default_config_static_selectorELNS0_4arch9wavefront6targetE1EEEvT1_
    .private_segment_fixed_size: 0
    .sgpr_count:     4
    .sgpr_spill_count: 0
    .symbol:         _ZN7rocprim17ROCPRIM_400000_NS6detail17trampoline_kernelINS0_14default_configENS1_29reduce_by_key_config_selectorIjtN6thrust23THRUST_200600_302600_NS4plusItEEEEZZNS1_33reduce_by_key_impl_wrapped_configILNS1_25lookback_scan_determinismE0ES3_S9_NS6_6detail15normal_iteratorINS6_10device_ptrIjEEEENSD_INSE_ItEEEENS6_16discard_iteratorINS6_11use_defaultEEESI_PmS8_NS6_8equal_toIjEEEE10hipError_tPvRmT2_T3_mT4_T5_T6_T7_T8_P12ihipStream_tbENKUlT_T0_E_clISt17integral_constantIbLb0EES15_IbLb1EEEEDaS11_S12_EUlS11_E_NS1_11comp_targetILNS1_3genE10ELNS1_11target_archE1200ELNS1_3gpuE4ELNS1_3repE0EEENS1_30default_config_static_selectorELNS0_4arch9wavefront6targetE1EEEvT1_.kd
    .uniform_work_group_size: 1
    .uses_dynamic_stack: false
    .vgpr_count:     0
    .vgpr_spill_count: 0
    .wavefront_size: 64
  - .agpr_count:     0
    .args:
      - .offset:         0
        .size:           128
        .value_kind:     by_value
    .group_segment_fixed_size: 0
    .kernarg_segment_align: 8
    .kernarg_segment_size: 128
    .language:       OpenCL C
    .language_version:
      - 2
      - 0
    .max_flat_workgroup_size: 256
    .name:           _ZN7rocprim17ROCPRIM_400000_NS6detail17trampoline_kernelINS0_14default_configENS1_29reduce_by_key_config_selectorIjtN6thrust23THRUST_200600_302600_NS4plusItEEEEZZNS1_33reduce_by_key_impl_wrapped_configILNS1_25lookback_scan_determinismE0ES3_S9_NS6_6detail15normal_iteratorINS6_10device_ptrIjEEEENSD_INSE_ItEEEENS6_16discard_iteratorINS6_11use_defaultEEESI_PmS8_NS6_8equal_toIjEEEE10hipError_tPvRmT2_T3_mT4_T5_T6_T7_T8_P12ihipStream_tbENKUlT_T0_E_clISt17integral_constantIbLb0EES15_IbLb1EEEEDaS11_S12_EUlS11_E_NS1_11comp_targetILNS1_3genE9ELNS1_11target_archE1100ELNS1_3gpuE3ELNS1_3repE0EEENS1_30default_config_static_selectorELNS0_4arch9wavefront6targetE1EEEvT1_
    .private_segment_fixed_size: 0
    .sgpr_count:     4
    .sgpr_spill_count: 0
    .symbol:         _ZN7rocprim17ROCPRIM_400000_NS6detail17trampoline_kernelINS0_14default_configENS1_29reduce_by_key_config_selectorIjtN6thrust23THRUST_200600_302600_NS4plusItEEEEZZNS1_33reduce_by_key_impl_wrapped_configILNS1_25lookback_scan_determinismE0ES3_S9_NS6_6detail15normal_iteratorINS6_10device_ptrIjEEEENSD_INSE_ItEEEENS6_16discard_iteratorINS6_11use_defaultEEESI_PmS8_NS6_8equal_toIjEEEE10hipError_tPvRmT2_T3_mT4_T5_T6_T7_T8_P12ihipStream_tbENKUlT_T0_E_clISt17integral_constantIbLb0EES15_IbLb1EEEEDaS11_S12_EUlS11_E_NS1_11comp_targetILNS1_3genE9ELNS1_11target_archE1100ELNS1_3gpuE3ELNS1_3repE0EEENS1_30default_config_static_selectorELNS0_4arch9wavefront6targetE1EEEvT1_.kd
    .uniform_work_group_size: 1
    .uses_dynamic_stack: false
    .vgpr_count:     0
    .vgpr_spill_count: 0
    .wavefront_size: 64
  - .agpr_count:     0
    .args:
      - .offset:         0
        .size:           128
        .value_kind:     by_value
    .group_segment_fixed_size: 0
    .kernarg_segment_align: 8
    .kernarg_segment_size: 128
    .language:       OpenCL C
    .language_version:
      - 2
      - 0
    .max_flat_workgroup_size: 256
    .name:           _ZN7rocprim17ROCPRIM_400000_NS6detail17trampoline_kernelINS0_14default_configENS1_29reduce_by_key_config_selectorIjtN6thrust23THRUST_200600_302600_NS4plusItEEEEZZNS1_33reduce_by_key_impl_wrapped_configILNS1_25lookback_scan_determinismE0ES3_S9_NS6_6detail15normal_iteratorINS6_10device_ptrIjEEEENSD_INSE_ItEEEENS6_16discard_iteratorINS6_11use_defaultEEESI_PmS8_NS6_8equal_toIjEEEE10hipError_tPvRmT2_T3_mT4_T5_T6_T7_T8_P12ihipStream_tbENKUlT_T0_E_clISt17integral_constantIbLb0EES15_IbLb1EEEEDaS11_S12_EUlS11_E_NS1_11comp_targetILNS1_3genE8ELNS1_11target_archE1030ELNS1_3gpuE2ELNS1_3repE0EEENS1_30default_config_static_selectorELNS0_4arch9wavefront6targetE1EEEvT1_
    .private_segment_fixed_size: 0
    .sgpr_count:     4
    .sgpr_spill_count: 0
    .symbol:         _ZN7rocprim17ROCPRIM_400000_NS6detail17trampoline_kernelINS0_14default_configENS1_29reduce_by_key_config_selectorIjtN6thrust23THRUST_200600_302600_NS4plusItEEEEZZNS1_33reduce_by_key_impl_wrapped_configILNS1_25lookback_scan_determinismE0ES3_S9_NS6_6detail15normal_iteratorINS6_10device_ptrIjEEEENSD_INSE_ItEEEENS6_16discard_iteratorINS6_11use_defaultEEESI_PmS8_NS6_8equal_toIjEEEE10hipError_tPvRmT2_T3_mT4_T5_T6_T7_T8_P12ihipStream_tbENKUlT_T0_E_clISt17integral_constantIbLb0EES15_IbLb1EEEEDaS11_S12_EUlS11_E_NS1_11comp_targetILNS1_3genE8ELNS1_11target_archE1030ELNS1_3gpuE2ELNS1_3repE0EEENS1_30default_config_static_selectorELNS0_4arch9wavefront6targetE1EEEvT1_.kd
    .uniform_work_group_size: 1
    .uses_dynamic_stack: false
    .vgpr_count:     0
    .vgpr_spill_count: 0
    .wavefront_size: 64
  - .agpr_count:     0
    .args:
      - .offset:         0
        .size:           144
        .value_kind:     by_value
    .group_segment_fixed_size: 0
    .kernarg_segment_align: 8
    .kernarg_segment_size: 144
    .language:       OpenCL C
    .language_version:
      - 2
      - 0
    .max_flat_workgroup_size: 256
    .name:           _ZN7rocprim17ROCPRIM_400000_NS6detail17trampoline_kernelINS0_14default_configENS1_29reduce_by_key_config_selectorIjxN6thrust23THRUST_200600_302600_NS4plusIxEEEEZZNS1_33reduce_by_key_impl_wrapped_configILNS1_25lookback_scan_determinismE0ES3_S9_NS6_6detail15normal_iteratorINS6_10device_ptrIjEEEENSD_INSE_IxEEEENS6_16discard_iteratorINS6_11use_defaultEEESI_PmS8_NS6_8equal_toIjEEEE10hipError_tPvRmT2_T3_mT4_T5_T6_T7_T8_P12ihipStream_tbENKUlT_T0_E_clISt17integral_constantIbLb0EES16_EEDaS11_S12_EUlS11_E_NS1_11comp_targetILNS1_3genE0ELNS1_11target_archE4294967295ELNS1_3gpuE0ELNS1_3repE0EEENS1_30default_config_static_selectorELNS0_4arch9wavefront6targetE1EEEvT1_
    .private_segment_fixed_size: 0
    .sgpr_count:     4
    .sgpr_spill_count: 0
    .symbol:         _ZN7rocprim17ROCPRIM_400000_NS6detail17trampoline_kernelINS0_14default_configENS1_29reduce_by_key_config_selectorIjxN6thrust23THRUST_200600_302600_NS4plusIxEEEEZZNS1_33reduce_by_key_impl_wrapped_configILNS1_25lookback_scan_determinismE0ES3_S9_NS6_6detail15normal_iteratorINS6_10device_ptrIjEEEENSD_INSE_IxEEEENS6_16discard_iteratorINS6_11use_defaultEEESI_PmS8_NS6_8equal_toIjEEEE10hipError_tPvRmT2_T3_mT4_T5_T6_T7_T8_P12ihipStream_tbENKUlT_T0_E_clISt17integral_constantIbLb0EES16_EEDaS11_S12_EUlS11_E_NS1_11comp_targetILNS1_3genE0ELNS1_11target_archE4294967295ELNS1_3gpuE0ELNS1_3repE0EEENS1_30default_config_static_selectorELNS0_4arch9wavefront6targetE1EEEvT1_.kd
    .uniform_work_group_size: 1
    .uses_dynamic_stack: false
    .vgpr_count:     0
    .vgpr_spill_count: 0
    .wavefront_size: 64
  - .agpr_count:     0
    .args:
      - .offset:         0
        .size:           144
        .value_kind:     by_value
    .group_segment_fixed_size: 0
    .kernarg_segment_align: 8
    .kernarg_segment_size: 144
    .language:       OpenCL C
    .language_version:
      - 2
      - 0
    .max_flat_workgroup_size: 256
    .name:           _ZN7rocprim17ROCPRIM_400000_NS6detail17trampoline_kernelINS0_14default_configENS1_29reduce_by_key_config_selectorIjxN6thrust23THRUST_200600_302600_NS4plusIxEEEEZZNS1_33reduce_by_key_impl_wrapped_configILNS1_25lookback_scan_determinismE0ES3_S9_NS6_6detail15normal_iteratorINS6_10device_ptrIjEEEENSD_INSE_IxEEEENS6_16discard_iteratorINS6_11use_defaultEEESI_PmS8_NS6_8equal_toIjEEEE10hipError_tPvRmT2_T3_mT4_T5_T6_T7_T8_P12ihipStream_tbENKUlT_T0_E_clISt17integral_constantIbLb0EES16_EEDaS11_S12_EUlS11_E_NS1_11comp_targetILNS1_3genE5ELNS1_11target_archE942ELNS1_3gpuE9ELNS1_3repE0EEENS1_30default_config_static_selectorELNS0_4arch9wavefront6targetE1EEEvT1_
    .private_segment_fixed_size: 0
    .sgpr_count:     4
    .sgpr_spill_count: 0
    .symbol:         _ZN7rocprim17ROCPRIM_400000_NS6detail17trampoline_kernelINS0_14default_configENS1_29reduce_by_key_config_selectorIjxN6thrust23THRUST_200600_302600_NS4plusIxEEEEZZNS1_33reduce_by_key_impl_wrapped_configILNS1_25lookback_scan_determinismE0ES3_S9_NS6_6detail15normal_iteratorINS6_10device_ptrIjEEEENSD_INSE_IxEEEENS6_16discard_iteratorINS6_11use_defaultEEESI_PmS8_NS6_8equal_toIjEEEE10hipError_tPvRmT2_T3_mT4_T5_T6_T7_T8_P12ihipStream_tbENKUlT_T0_E_clISt17integral_constantIbLb0EES16_EEDaS11_S12_EUlS11_E_NS1_11comp_targetILNS1_3genE5ELNS1_11target_archE942ELNS1_3gpuE9ELNS1_3repE0EEENS1_30default_config_static_selectorELNS0_4arch9wavefront6targetE1EEEvT1_.kd
    .uniform_work_group_size: 1
    .uses_dynamic_stack: false
    .vgpr_count:     0
    .vgpr_spill_count: 0
    .wavefront_size: 64
  - .agpr_count:     0
    .args:
      - .offset:         0
        .size:           144
        .value_kind:     by_value
    .group_segment_fixed_size: 30720
    .kernarg_segment_align: 8
    .kernarg_segment_size: 144
    .language:       OpenCL C
    .language_version:
      - 2
      - 0
    .max_flat_workgroup_size: 256
    .name:           _ZN7rocprim17ROCPRIM_400000_NS6detail17trampoline_kernelINS0_14default_configENS1_29reduce_by_key_config_selectorIjxN6thrust23THRUST_200600_302600_NS4plusIxEEEEZZNS1_33reduce_by_key_impl_wrapped_configILNS1_25lookback_scan_determinismE0ES3_S9_NS6_6detail15normal_iteratorINS6_10device_ptrIjEEEENSD_INSE_IxEEEENS6_16discard_iteratorINS6_11use_defaultEEESI_PmS8_NS6_8equal_toIjEEEE10hipError_tPvRmT2_T3_mT4_T5_T6_T7_T8_P12ihipStream_tbENKUlT_T0_E_clISt17integral_constantIbLb0EES16_EEDaS11_S12_EUlS11_E_NS1_11comp_targetILNS1_3genE4ELNS1_11target_archE910ELNS1_3gpuE8ELNS1_3repE0EEENS1_30default_config_static_selectorELNS0_4arch9wavefront6targetE1EEEvT1_
    .private_segment_fixed_size: 0
    .sgpr_count:     67
    .sgpr_spill_count: 0
    .symbol:         _ZN7rocprim17ROCPRIM_400000_NS6detail17trampoline_kernelINS0_14default_configENS1_29reduce_by_key_config_selectorIjxN6thrust23THRUST_200600_302600_NS4plusIxEEEEZZNS1_33reduce_by_key_impl_wrapped_configILNS1_25lookback_scan_determinismE0ES3_S9_NS6_6detail15normal_iteratorINS6_10device_ptrIjEEEENSD_INSE_IxEEEENS6_16discard_iteratorINS6_11use_defaultEEESI_PmS8_NS6_8equal_toIjEEEE10hipError_tPvRmT2_T3_mT4_T5_T6_T7_T8_P12ihipStream_tbENKUlT_T0_E_clISt17integral_constantIbLb0EES16_EEDaS11_S12_EUlS11_E_NS1_11comp_targetILNS1_3genE4ELNS1_11target_archE910ELNS1_3gpuE8ELNS1_3repE0EEENS1_30default_config_static_selectorELNS0_4arch9wavefront6targetE1EEEvT1_.kd
    .uniform_work_group_size: 1
    .uses_dynamic_stack: false
    .vgpr_count:     102
    .vgpr_spill_count: 0
    .wavefront_size: 64
  - .agpr_count:     0
    .args:
      - .offset:         0
        .size:           144
        .value_kind:     by_value
    .group_segment_fixed_size: 0
    .kernarg_segment_align: 8
    .kernarg_segment_size: 144
    .language:       OpenCL C
    .language_version:
      - 2
      - 0
    .max_flat_workgroup_size: 256
    .name:           _ZN7rocprim17ROCPRIM_400000_NS6detail17trampoline_kernelINS0_14default_configENS1_29reduce_by_key_config_selectorIjxN6thrust23THRUST_200600_302600_NS4plusIxEEEEZZNS1_33reduce_by_key_impl_wrapped_configILNS1_25lookback_scan_determinismE0ES3_S9_NS6_6detail15normal_iteratorINS6_10device_ptrIjEEEENSD_INSE_IxEEEENS6_16discard_iteratorINS6_11use_defaultEEESI_PmS8_NS6_8equal_toIjEEEE10hipError_tPvRmT2_T3_mT4_T5_T6_T7_T8_P12ihipStream_tbENKUlT_T0_E_clISt17integral_constantIbLb0EES16_EEDaS11_S12_EUlS11_E_NS1_11comp_targetILNS1_3genE3ELNS1_11target_archE908ELNS1_3gpuE7ELNS1_3repE0EEENS1_30default_config_static_selectorELNS0_4arch9wavefront6targetE1EEEvT1_
    .private_segment_fixed_size: 0
    .sgpr_count:     4
    .sgpr_spill_count: 0
    .symbol:         _ZN7rocprim17ROCPRIM_400000_NS6detail17trampoline_kernelINS0_14default_configENS1_29reduce_by_key_config_selectorIjxN6thrust23THRUST_200600_302600_NS4plusIxEEEEZZNS1_33reduce_by_key_impl_wrapped_configILNS1_25lookback_scan_determinismE0ES3_S9_NS6_6detail15normal_iteratorINS6_10device_ptrIjEEEENSD_INSE_IxEEEENS6_16discard_iteratorINS6_11use_defaultEEESI_PmS8_NS6_8equal_toIjEEEE10hipError_tPvRmT2_T3_mT4_T5_T6_T7_T8_P12ihipStream_tbENKUlT_T0_E_clISt17integral_constantIbLb0EES16_EEDaS11_S12_EUlS11_E_NS1_11comp_targetILNS1_3genE3ELNS1_11target_archE908ELNS1_3gpuE7ELNS1_3repE0EEENS1_30default_config_static_selectorELNS0_4arch9wavefront6targetE1EEEvT1_.kd
    .uniform_work_group_size: 1
    .uses_dynamic_stack: false
    .vgpr_count:     0
    .vgpr_spill_count: 0
    .wavefront_size: 64
  - .agpr_count:     0
    .args:
      - .offset:         0
        .size:           144
        .value_kind:     by_value
    .group_segment_fixed_size: 0
    .kernarg_segment_align: 8
    .kernarg_segment_size: 144
    .language:       OpenCL C
    .language_version:
      - 2
      - 0
    .max_flat_workgroup_size: 256
    .name:           _ZN7rocprim17ROCPRIM_400000_NS6detail17trampoline_kernelINS0_14default_configENS1_29reduce_by_key_config_selectorIjxN6thrust23THRUST_200600_302600_NS4plusIxEEEEZZNS1_33reduce_by_key_impl_wrapped_configILNS1_25lookback_scan_determinismE0ES3_S9_NS6_6detail15normal_iteratorINS6_10device_ptrIjEEEENSD_INSE_IxEEEENS6_16discard_iteratorINS6_11use_defaultEEESI_PmS8_NS6_8equal_toIjEEEE10hipError_tPvRmT2_T3_mT4_T5_T6_T7_T8_P12ihipStream_tbENKUlT_T0_E_clISt17integral_constantIbLb0EES16_EEDaS11_S12_EUlS11_E_NS1_11comp_targetILNS1_3genE2ELNS1_11target_archE906ELNS1_3gpuE6ELNS1_3repE0EEENS1_30default_config_static_selectorELNS0_4arch9wavefront6targetE1EEEvT1_
    .private_segment_fixed_size: 0
    .sgpr_count:     4
    .sgpr_spill_count: 0
    .symbol:         _ZN7rocprim17ROCPRIM_400000_NS6detail17trampoline_kernelINS0_14default_configENS1_29reduce_by_key_config_selectorIjxN6thrust23THRUST_200600_302600_NS4plusIxEEEEZZNS1_33reduce_by_key_impl_wrapped_configILNS1_25lookback_scan_determinismE0ES3_S9_NS6_6detail15normal_iteratorINS6_10device_ptrIjEEEENSD_INSE_IxEEEENS6_16discard_iteratorINS6_11use_defaultEEESI_PmS8_NS6_8equal_toIjEEEE10hipError_tPvRmT2_T3_mT4_T5_T6_T7_T8_P12ihipStream_tbENKUlT_T0_E_clISt17integral_constantIbLb0EES16_EEDaS11_S12_EUlS11_E_NS1_11comp_targetILNS1_3genE2ELNS1_11target_archE906ELNS1_3gpuE6ELNS1_3repE0EEENS1_30default_config_static_selectorELNS0_4arch9wavefront6targetE1EEEvT1_.kd
    .uniform_work_group_size: 1
    .uses_dynamic_stack: false
    .vgpr_count:     0
    .vgpr_spill_count: 0
    .wavefront_size: 64
  - .agpr_count:     0
    .args:
      - .offset:         0
        .size:           144
        .value_kind:     by_value
    .group_segment_fixed_size: 0
    .kernarg_segment_align: 8
    .kernarg_segment_size: 144
    .language:       OpenCL C
    .language_version:
      - 2
      - 0
    .max_flat_workgroup_size: 256
    .name:           _ZN7rocprim17ROCPRIM_400000_NS6detail17trampoline_kernelINS0_14default_configENS1_29reduce_by_key_config_selectorIjxN6thrust23THRUST_200600_302600_NS4plusIxEEEEZZNS1_33reduce_by_key_impl_wrapped_configILNS1_25lookback_scan_determinismE0ES3_S9_NS6_6detail15normal_iteratorINS6_10device_ptrIjEEEENSD_INSE_IxEEEENS6_16discard_iteratorINS6_11use_defaultEEESI_PmS8_NS6_8equal_toIjEEEE10hipError_tPvRmT2_T3_mT4_T5_T6_T7_T8_P12ihipStream_tbENKUlT_T0_E_clISt17integral_constantIbLb0EES16_EEDaS11_S12_EUlS11_E_NS1_11comp_targetILNS1_3genE10ELNS1_11target_archE1201ELNS1_3gpuE5ELNS1_3repE0EEENS1_30default_config_static_selectorELNS0_4arch9wavefront6targetE1EEEvT1_
    .private_segment_fixed_size: 0
    .sgpr_count:     4
    .sgpr_spill_count: 0
    .symbol:         _ZN7rocprim17ROCPRIM_400000_NS6detail17trampoline_kernelINS0_14default_configENS1_29reduce_by_key_config_selectorIjxN6thrust23THRUST_200600_302600_NS4plusIxEEEEZZNS1_33reduce_by_key_impl_wrapped_configILNS1_25lookback_scan_determinismE0ES3_S9_NS6_6detail15normal_iteratorINS6_10device_ptrIjEEEENSD_INSE_IxEEEENS6_16discard_iteratorINS6_11use_defaultEEESI_PmS8_NS6_8equal_toIjEEEE10hipError_tPvRmT2_T3_mT4_T5_T6_T7_T8_P12ihipStream_tbENKUlT_T0_E_clISt17integral_constantIbLb0EES16_EEDaS11_S12_EUlS11_E_NS1_11comp_targetILNS1_3genE10ELNS1_11target_archE1201ELNS1_3gpuE5ELNS1_3repE0EEENS1_30default_config_static_selectorELNS0_4arch9wavefront6targetE1EEEvT1_.kd
    .uniform_work_group_size: 1
    .uses_dynamic_stack: false
    .vgpr_count:     0
    .vgpr_spill_count: 0
    .wavefront_size: 64
  - .agpr_count:     0
    .args:
      - .offset:         0
        .size:           144
        .value_kind:     by_value
    .group_segment_fixed_size: 0
    .kernarg_segment_align: 8
    .kernarg_segment_size: 144
    .language:       OpenCL C
    .language_version:
      - 2
      - 0
    .max_flat_workgroup_size: 256
    .name:           _ZN7rocprim17ROCPRIM_400000_NS6detail17trampoline_kernelINS0_14default_configENS1_29reduce_by_key_config_selectorIjxN6thrust23THRUST_200600_302600_NS4plusIxEEEEZZNS1_33reduce_by_key_impl_wrapped_configILNS1_25lookback_scan_determinismE0ES3_S9_NS6_6detail15normal_iteratorINS6_10device_ptrIjEEEENSD_INSE_IxEEEENS6_16discard_iteratorINS6_11use_defaultEEESI_PmS8_NS6_8equal_toIjEEEE10hipError_tPvRmT2_T3_mT4_T5_T6_T7_T8_P12ihipStream_tbENKUlT_T0_E_clISt17integral_constantIbLb0EES16_EEDaS11_S12_EUlS11_E_NS1_11comp_targetILNS1_3genE10ELNS1_11target_archE1200ELNS1_3gpuE4ELNS1_3repE0EEENS1_30default_config_static_selectorELNS0_4arch9wavefront6targetE1EEEvT1_
    .private_segment_fixed_size: 0
    .sgpr_count:     4
    .sgpr_spill_count: 0
    .symbol:         _ZN7rocprim17ROCPRIM_400000_NS6detail17trampoline_kernelINS0_14default_configENS1_29reduce_by_key_config_selectorIjxN6thrust23THRUST_200600_302600_NS4plusIxEEEEZZNS1_33reduce_by_key_impl_wrapped_configILNS1_25lookback_scan_determinismE0ES3_S9_NS6_6detail15normal_iteratorINS6_10device_ptrIjEEEENSD_INSE_IxEEEENS6_16discard_iteratorINS6_11use_defaultEEESI_PmS8_NS6_8equal_toIjEEEE10hipError_tPvRmT2_T3_mT4_T5_T6_T7_T8_P12ihipStream_tbENKUlT_T0_E_clISt17integral_constantIbLb0EES16_EEDaS11_S12_EUlS11_E_NS1_11comp_targetILNS1_3genE10ELNS1_11target_archE1200ELNS1_3gpuE4ELNS1_3repE0EEENS1_30default_config_static_selectorELNS0_4arch9wavefront6targetE1EEEvT1_.kd
    .uniform_work_group_size: 1
    .uses_dynamic_stack: false
    .vgpr_count:     0
    .vgpr_spill_count: 0
    .wavefront_size: 64
  - .agpr_count:     0
    .args:
      - .offset:         0
        .size:           144
        .value_kind:     by_value
    .group_segment_fixed_size: 0
    .kernarg_segment_align: 8
    .kernarg_segment_size: 144
    .language:       OpenCL C
    .language_version:
      - 2
      - 0
    .max_flat_workgroup_size: 256
    .name:           _ZN7rocprim17ROCPRIM_400000_NS6detail17trampoline_kernelINS0_14default_configENS1_29reduce_by_key_config_selectorIjxN6thrust23THRUST_200600_302600_NS4plusIxEEEEZZNS1_33reduce_by_key_impl_wrapped_configILNS1_25lookback_scan_determinismE0ES3_S9_NS6_6detail15normal_iteratorINS6_10device_ptrIjEEEENSD_INSE_IxEEEENS6_16discard_iteratorINS6_11use_defaultEEESI_PmS8_NS6_8equal_toIjEEEE10hipError_tPvRmT2_T3_mT4_T5_T6_T7_T8_P12ihipStream_tbENKUlT_T0_E_clISt17integral_constantIbLb0EES16_EEDaS11_S12_EUlS11_E_NS1_11comp_targetILNS1_3genE9ELNS1_11target_archE1100ELNS1_3gpuE3ELNS1_3repE0EEENS1_30default_config_static_selectorELNS0_4arch9wavefront6targetE1EEEvT1_
    .private_segment_fixed_size: 0
    .sgpr_count:     4
    .sgpr_spill_count: 0
    .symbol:         _ZN7rocprim17ROCPRIM_400000_NS6detail17trampoline_kernelINS0_14default_configENS1_29reduce_by_key_config_selectorIjxN6thrust23THRUST_200600_302600_NS4plusIxEEEEZZNS1_33reduce_by_key_impl_wrapped_configILNS1_25lookback_scan_determinismE0ES3_S9_NS6_6detail15normal_iteratorINS6_10device_ptrIjEEEENSD_INSE_IxEEEENS6_16discard_iteratorINS6_11use_defaultEEESI_PmS8_NS6_8equal_toIjEEEE10hipError_tPvRmT2_T3_mT4_T5_T6_T7_T8_P12ihipStream_tbENKUlT_T0_E_clISt17integral_constantIbLb0EES16_EEDaS11_S12_EUlS11_E_NS1_11comp_targetILNS1_3genE9ELNS1_11target_archE1100ELNS1_3gpuE3ELNS1_3repE0EEENS1_30default_config_static_selectorELNS0_4arch9wavefront6targetE1EEEvT1_.kd
    .uniform_work_group_size: 1
    .uses_dynamic_stack: false
    .vgpr_count:     0
    .vgpr_spill_count: 0
    .wavefront_size: 64
  - .agpr_count:     0
    .args:
      - .offset:         0
        .size:           144
        .value_kind:     by_value
    .group_segment_fixed_size: 0
    .kernarg_segment_align: 8
    .kernarg_segment_size: 144
    .language:       OpenCL C
    .language_version:
      - 2
      - 0
    .max_flat_workgroup_size: 256
    .name:           _ZN7rocprim17ROCPRIM_400000_NS6detail17trampoline_kernelINS0_14default_configENS1_29reduce_by_key_config_selectorIjxN6thrust23THRUST_200600_302600_NS4plusIxEEEEZZNS1_33reduce_by_key_impl_wrapped_configILNS1_25lookback_scan_determinismE0ES3_S9_NS6_6detail15normal_iteratorINS6_10device_ptrIjEEEENSD_INSE_IxEEEENS6_16discard_iteratorINS6_11use_defaultEEESI_PmS8_NS6_8equal_toIjEEEE10hipError_tPvRmT2_T3_mT4_T5_T6_T7_T8_P12ihipStream_tbENKUlT_T0_E_clISt17integral_constantIbLb0EES16_EEDaS11_S12_EUlS11_E_NS1_11comp_targetILNS1_3genE8ELNS1_11target_archE1030ELNS1_3gpuE2ELNS1_3repE0EEENS1_30default_config_static_selectorELNS0_4arch9wavefront6targetE1EEEvT1_
    .private_segment_fixed_size: 0
    .sgpr_count:     4
    .sgpr_spill_count: 0
    .symbol:         _ZN7rocprim17ROCPRIM_400000_NS6detail17trampoline_kernelINS0_14default_configENS1_29reduce_by_key_config_selectorIjxN6thrust23THRUST_200600_302600_NS4plusIxEEEEZZNS1_33reduce_by_key_impl_wrapped_configILNS1_25lookback_scan_determinismE0ES3_S9_NS6_6detail15normal_iteratorINS6_10device_ptrIjEEEENSD_INSE_IxEEEENS6_16discard_iteratorINS6_11use_defaultEEESI_PmS8_NS6_8equal_toIjEEEE10hipError_tPvRmT2_T3_mT4_T5_T6_T7_T8_P12ihipStream_tbENKUlT_T0_E_clISt17integral_constantIbLb0EES16_EEDaS11_S12_EUlS11_E_NS1_11comp_targetILNS1_3genE8ELNS1_11target_archE1030ELNS1_3gpuE2ELNS1_3repE0EEENS1_30default_config_static_selectorELNS0_4arch9wavefront6targetE1EEEvT1_.kd
    .uniform_work_group_size: 1
    .uses_dynamic_stack: false
    .vgpr_count:     0
    .vgpr_spill_count: 0
    .wavefront_size: 64
  - .agpr_count:     0
    .args:
      - .offset:         0
        .size:           144
        .value_kind:     by_value
    .group_segment_fixed_size: 0
    .kernarg_segment_align: 8
    .kernarg_segment_size: 144
    .language:       OpenCL C
    .language_version:
      - 2
      - 0
    .max_flat_workgroup_size: 256
    .name:           _ZN7rocprim17ROCPRIM_400000_NS6detail17trampoline_kernelINS0_14default_configENS1_29reduce_by_key_config_selectorIjxN6thrust23THRUST_200600_302600_NS4plusIxEEEEZZNS1_33reduce_by_key_impl_wrapped_configILNS1_25lookback_scan_determinismE0ES3_S9_NS6_6detail15normal_iteratorINS6_10device_ptrIjEEEENSD_INSE_IxEEEENS6_16discard_iteratorINS6_11use_defaultEEESI_PmS8_NS6_8equal_toIjEEEE10hipError_tPvRmT2_T3_mT4_T5_T6_T7_T8_P12ihipStream_tbENKUlT_T0_E_clISt17integral_constantIbLb1EES16_EEDaS11_S12_EUlS11_E_NS1_11comp_targetILNS1_3genE0ELNS1_11target_archE4294967295ELNS1_3gpuE0ELNS1_3repE0EEENS1_30default_config_static_selectorELNS0_4arch9wavefront6targetE1EEEvT1_
    .private_segment_fixed_size: 0
    .sgpr_count:     4
    .sgpr_spill_count: 0
    .symbol:         _ZN7rocprim17ROCPRIM_400000_NS6detail17trampoline_kernelINS0_14default_configENS1_29reduce_by_key_config_selectorIjxN6thrust23THRUST_200600_302600_NS4plusIxEEEEZZNS1_33reduce_by_key_impl_wrapped_configILNS1_25lookback_scan_determinismE0ES3_S9_NS6_6detail15normal_iteratorINS6_10device_ptrIjEEEENSD_INSE_IxEEEENS6_16discard_iteratorINS6_11use_defaultEEESI_PmS8_NS6_8equal_toIjEEEE10hipError_tPvRmT2_T3_mT4_T5_T6_T7_T8_P12ihipStream_tbENKUlT_T0_E_clISt17integral_constantIbLb1EES16_EEDaS11_S12_EUlS11_E_NS1_11comp_targetILNS1_3genE0ELNS1_11target_archE4294967295ELNS1_3gpuE0ELNS1_3repE0EEENS1_30default_config_static_selectorELNS0_4arch9wavefront6targetE1EEEvT1_.kd
    .uniform_work_group_size: 1
    .uses_dynamic_stack: false
    .vgpr_count:     0
    .vgpr_spill_count: 0
    .wavefront_size: 64
  - .agpr_count:     0
    .args:
      - .offset:         0
        .size:           144
        .value_kind:     by_value
    .group_segment_fixed_size: 0
    .kernarg_segment_align: 8
    .kernarg_segment_size: 144
    .language:       OpenCL C
    .language_version:
      - 2
      - 0
    .max_flat_workgroup_size: 256
    .name:           _ZN7rocprim17ROCPRIM_400000_NS6detail17trampoline_kernelINS0_14default_configENS1_29reduce_by_key_config_selectorIjxN6thrust23THRUST_200600_302600_NS4plusIxEEEEZZNS1_33reduce_by_key_impl_wrapped_configILNS1_25lookback_scan_determinismE0ES3_S9_NS6_6detail15normal_iteratorINS6_10device_ptrIjEEEENSD_INSE_IxEEEENS6_16discard_iteratorINS6_11use_defaultEEESI_PmS8_NS6_8equal_toIjEEEE10hipError_tPvRmT2_T3_mT4_T5_T6_T7_T8_P12ihipStream_tbENKUlT_T0_E_clISt17integral_constantIbLb1EES16_EEDaS11_S12_EUlS11_E_NS1_11comp_targetILNS1_3genE5ELNS1_11target_archE942ELNS1_3gpuE9ELNS1_3repE0EEENS1_30default_config_static_selectorELNS0_4arch9wavefront6targetE1EEEvT1_
    .private_segment_fixed_size: 0
    .sgpr_count:     4
    .sgpr_spill_count: 0
    .symbol:         _ZN7rocprim17ROCPRIM_400000_NS6detail17trampoline_kernelINS0_14default_configENS1_29reduce_by_key_config_selectorIjxN6thrust23THRUST_200600_302600_NS4plusIxEEEEZZNS1_33reduce_by_key_impl_wrapped_configILNS1_25lookback_scan_determinismE0ES3_S9_NS6_6detail15normal_iteratorINS6_10device_ptrIjEEEENSD_INSE_IxEEEENS6_16discard_iteratorINS6_11use_defaultEEESI_PmS8_NS6_8equal_toIjEEEE10hipError_tPvRmT2_T3_mT4_T5_T6_T7_T8_P12ihipStream_tbENKUlT_T0_E_clISt17integral_constantIbLb1EES16_EEDaS11_S12_EUlS11_E_NS1_11comp_targetILNS1_3genE5ELNS1_11target_archE942ELNS1_3gpuE9ELNS1_3repE0EEENS1_30default_config_static_selectorELNS0_4arch9wavefront6targetE1EEEvT1_.kd
    .uniform_work_group_size: 1
    .uses_dynamic_stack: false
    .vgpr_count:     0
    .vgpr_spill_count: 0
    .wavefront_size: 64
  - .agpr_count:     0
    .args:
      - .offset:         0
        .size:           144
        .value_kind:     by_value
    .group_segment_fixed_size: 30720
    .kernarg_segment_align: 8
    .kernarg_segment_size: 144
    .language:       OpenCL C
    .language_version:
      - 2
      - 0
    .max_flat_workgroup_size: 256
    .name:           _ZN7rocprim17ROCPRIM_400000_NS6detail17trampoline_kernelINS0_14default_configENS1_29reduce_by_key_config_selectorIjxN6thrust23THRUST_200600_302600_NS4plusIxEEEEZZNS1_33reduce_by_key_impl_wrapped_configILNS1_25lookback_scan_determinismE0ES3_S9_NS6_6detail15normal_iteratorINS6_10device_ptrIjEEEENSD_INSE_IxEEEENS6_16discard_iteratorINS6_11use_defaultEEESI_PmS8_NS6_8equal_toIjEEEE10hipError_tPvRmT2_T3_mT4_T5_T6_T7_T8_P12ihipStream_tbENKUlT_T0_E_clISt17integral_constantIbLb1EES16_EEDaS11_S12_EUlS11_E_NS1_11comp_targetILNS1_3genE4ELNS1_11target_archE910ELNS1_3gpuE8ELNS1_3repE0EEENS1_30default_config_static_selectorELNS0_4arch9wavefront6targetE1EEEvT1_
    .private_segment_fixed_size: 0
    .sgpr_count:     67
    .sgpr_spill_count: 0
    .symbol:         _ZN7rocprim17ROCPRIM_400000_NS6detail17trampoline_kernelINS0_14default_configENS1_29reduce_by_key_config_selectorIjxN6thrust23THRUST_200600_302600_NS4plusIxEEEEZZNS1_33reduce_by_key_impl_wrapped_configILNS1_25lookback_scan_determinismE0ES3_S9_NS6_6detail15normal_iteratorINS6_10device_ptrIjEEEENSD_INSE_IxEEEENS6_16discard_iteratorINS6_11use_defaultEEESI_PmS8_NS6_8equal_toIjEEEE10hipError_tPvRmT2_T3_mT4_T5_T6_T7_T8_P12ihipStream_tbENKUlT_T0_E_clISt17integral_constantIbLb1EES16_EEDaS11_S12_EUlS11_E_NS1_11comp_targetILNS1_3genE4ELNS1_11target_archE910ELNS1_3gpuE8ELNS1_3repE0EEENS1_30default_config_static_selectorELNS0_4arch9wavefront6targetE1EEEvT1_.kd
    .uniform_work_group_size: 1
    .uses_dynamic_stack: false
    .vgpr_count:     102
    .vgpr_spill_count: 0
    .wavefront_size: 64
  - .agpr_count:     0
    .args:
      - .offset:         0
        .size:           144
        .value_kind:     by_value
    .group_segment_fixed_size: 0
    .kernarg_segment_align: 8
    .kernarg_segment_size: 144
    .language:       OpenCL C
    .language_version:
      - 2
      - 0
    .max_flat_workgroup_size: 256
    .name:           _ZN7rocprim17ROCPRIM_400000_NS6detail17trampoline_kernelINS0_14default_configENS1_29reduce_by_key_config_selectorIjxN6thrust23THRUST_200600_302600_NS4plusIxEEEEZZNS1_33reduce_by_key_impl_wrapped_configILNS1_25lookback_scan_determinismE0ES3_S9_NS6_6detail15normal_iteratorINS6_10device_ptrIjEEEENSD_INSE_IxEEEENS6_16discard_iteratorINS6_11use_defaultEEESI_PmS8_NS6_8equal_toIjEEEE10hipError_tPvRmT2_T3_mT4_T5_T6_T7_T8_P12ihipStream_tbENKUlT_T0_E_clISt17integral_constantIbLb1EES16_EEDaS11_S12_EUlS11_E_NS1_11comp_targetILNS1_3genE3ELNS1_11target_archE908ELNS1_3gpuE7ELNS1_3repE0EEENS1_30default_config_static_selectorELNS0_4arch9wavefront6targetE1EEEvT1_
    .private_segment_fixed_size: 0
    .sgpr_count:     4
    .sgpr_spill_count: 0
    .symbol:         _ZN7rocprim17ROCPRIM_400000_NS6detail17trampoline_kernelINS0_14default_configENS1_29reduce_by_key_config_selectorIjxN6thrust23THRUST_200600_302600_NS4plusIxEEEEZZNS1_33reduce_by_key_impl_wrapped_configILNS1_25lookback_scan_determinismE0ES3_S9_NS6_6detail15normal_iteratorINS6_10device_ptrIjEEEENSD_INSE_IxEEEENS6_16discard_iteratorINS6_11use_defaultEEESI_PmS8_NS6_8equal_toIjEEEE10hipError_tPvRmT2_T3_mT4_T5_T6_T7_T8_P12ihipStream_tbENKUlT_T0_E_clISt17integral_constantIbLb1EES16_EEDaS11_S12_EUlS11_E_NS1_11comp_targetILNS1_3genE3ELNS1_11target_archE908ELNS1_3gpuE7ELNS1_3repE0EEENS1_30default_config_static_selectorELNS0_4arch9wavefront6targetE1EEEvT1_.kd
    .uniform_work_group_size: 1
    .uses_dynamic_stack: false
    .vgpr_count:     0
    .vgpr_spill_count: 0
    .wavefront_size: 64
  - .agpr_count:     0
    .args:
      - .offset:         0
        .size:           144
        .value_kind:     by_value
    .group_segment_fixed_size: 0
    .kernarg_segment_align: 8
    .kernarg_segment_size: 144
    .language:       OpenCL C
    .language_version:
      - 2
      - 0
    .max_flat_workgroup_size: 256
    .name:           _ZN7rocprim17ROCPRIM_400000_NS6detail17trampoline_kernelINS0_14default_configENS1_29reduce_by_key_config_selectorIjxN6thrust23THRUST_200600_302600_NS4plusIxEEEEZZNS1_33reduce_by_key_impl_wrapped_configILNS1_25lookback_scan_determinismE0ES3_S9_NS6_6detail15normal_iteratorINS6_10device_ptrIjEEEENSD_INSE_IxEEEENS6_16discard_iteratorINS6_11use_defaultEEESI_PmS8_NS6_8equal_toIjEEEE10hipError_tPvRmT2_T3_mT4_T5_T6_T7_T8_P12ihipStream_tbENKUlT_T0_E_clISt17integral_constantIbLb1EES16_EEDaS11_S12_EUlS11_E_NS1_11comp_targetILNS1_3genE2ELNS1_11target_archE906ELNS1_3gpuE6ELNS1_3repE0EEENS1_30default_config_static_selectorELNS0_4arch9wavefront6targetE1EEEvT1_
    .private_segment_fixed_size: 0
    .sgpr_count:     4
    .sgpr_spill_count: 0
    .symbol:         _ZN7rocprim17ROCPRIM_400000_NS6detail17trampoline_kernelINS0_14default_configENS1_29reduce_by_key_config_selectorIjxN6thrust23THRUST_200600_302600_NS4plusIxEEEEZZNS1_33reduce_by_key_impl_wrapped_configILNS1_25lookback_scan_determinismE0ES3_S9_NS6_6detail15normal_iteratorINS6_10device_ptrIjEEEENSD_INSE_IxEEEENS6_16discard_iteratorINS6_11use_defaultEEESI_PmS8_NS6_8equal_toIjEEEE10hipError_tPvRmT2_T3_mT4_T5_T6_T7_T8_P12ihipStream_tbENKUlT_T0_E_clISt17integral_constantIbLb1EES16_EEDaS11_S12_EUlS11_E_NS1_11comp_targetILNS1_3genE2ELNS1_11target_archE906ELNS1_3gpuE6ELNS1_3repE0EEENS1_30default_config_static_selectorELNS0_4arch9wavefront6targetE1EEEvT1_.kd
    .uniform_work_group_size: 1
    .uses_dynamic_stack: false
    .vgpr_count:     0
    .vgpr_spill_count: 0
    .wavefront_size: 64
  - .agpr_count:     0
    .args:
      - .offset:         0
        .size:           144
        .value_kind:     by_value
    .group_segment_fixed_size: 0
    .kernarg_segment_align: 8
    .kernarg_segment_size: 144
    .language:       OpenCL C
    .language_version:
      - 2
      - 0
    .max_flat_workgroup_size: 256
    .name:           _ZN7rocprim17ROCPRIM_400000_NS6detail17trampoline_kernelINS0_14default_configENS1_29reduce_by_key_config_selectorIjxN6thrust23THRUST_200600_302600_NS4plusIxEEEEZZNS1_33reduce_by_key_impl_wrapped_configILNS1_25lookback_scan_determinismE0ES3_S9_NS6_6detail15normal_iteratorINS6_10device_ptrIjEEEENSD_INSE_IxEEEENS6_16discard_iteratorINS6_11use_defaultEEESI_PmS8_NS6_8equal_toIjEEEE10hipError_tPvRmT2_T3_mT4_T5_T6_T7_T8_P12ihipStream_tbENKUlT_T0_E_clISt17integral_constantIbLb1EES16_EEDaS11_S12_EUlS11_E_NS1_11comp_targetILNS1_3genE10ELNS1_11target_archE1201ELNS1_3gpuE5ELNS1_3repE0EEENS1_30default_config_static_selectorELNS0_4arch9wavefront6targetE1EEEvT1_
    .private_segment_fixed_size: 0
    .sgpr_count:     4
    .sgpr_spill_count: 0
    .symbol:         _ZN7rocprim17ROCPRIM_400000_NS6detail17trampoline_kernelINS0_14default_configENS1_29reduce_by_key_config_selectorIjxN6thrust23THRUST_200600_302600_NS4plusIxEEEEZZNS1_33reduce_by_key_impl_wrapped_configILNS1_25lookback_scan_determinismE0ES3_S9_NS6_6detail15normal_iteratorINS6_10device_ptrIjEEEENSD_INSE_IxEEEENS6_16discard_iteratorINS6_11use_defaultEEESI_PmS8_NS6_8equal_toIjEEEE10hipError_tPvRmT2_T3_mT4_T5_T6_T7_T8_P12ihipStream_tbENKUlT_T0_E_clISt17integral_constantIbLb1EES16_EEDaS11_S12_EUlS11_E_NS1_11comp_targetILNS1_3genE10ELNS1_11target_archE1201ELNS1_3gpuE5ELNS1_3repE0EEENS1_30default_config_static_selectorELNS0_4arch9wavefront6targetE1EEEvT1_.kd
    .uniform_work_group_size: 1
    .uses_dynamic_stack: false
    .vgpr_count:     0
    .vgpr_spill_count: 0
    .wavefront_size: 64
  - .agpr_count:     0
    .args:
      - .offset:         0
        .size:           144
        .value_kind:     by_value
    .group_segment_fixed_size: 0
    .kernarg_segment_align: 8
    .kernarg_segment_size: 144
    .language:       OpenCL C
    .language_version:
      - 2
      - 0
    .max_flat_workgroup_size: 256
    .name:           _ZN7rocprim17ROCPRIM_400000_NS6detail17trampoline_kernelINS0_14default_configENS1_29reduce_by_key_config_selectorIjxN6thrust23THRUST_200600_302600_NS4plusIxEEEEZZNS1_33reduce_by_key_impl_wrapped_configILNS1_25lookback_scan_determinismE0ES3_S9_NS6_6detail15normal_iteratorINS6_10device_ptrIjEEEENSD_INSE_IxEEEENS6_16discard_iteratorINS6_11use_defaultEEESI_PmS8_NS6_8equal_toIjEEEE10hipError_tPvRmT2_T3_mT4_T5_T6_T7_T8_P12ihipStream_tbENKUlT_T0_E_clISt17integral_constantIbLb1EES16_EEDaS11_S12_EUlS11_E_NS1_11comp_targetILNS1_3genE10ELNS1_11target_archE1200ELNS1_3gpuE4ELNS1_3repE0EEENS1_30default_config_static_selectorELNS0_4arch9wavefront6targetE1EEEvT1_
    .private_segment_fixed_size: 0
    .sgpr_count:     4
    .sgpr_spill_count: 0
    .symbol:         _ZN7rocprim17ROCPRIM_400000_NS6detail17trampoline_kernelINS0_14default_configENS1_29reduce_by_key_config_selectorIjxN6thrust23THRUST_200600_302600_NS4plusIxEEEEZZNS1_33reduce_by_key_impl_wrapped_configILNS1_25lookback_scan_determinismE0ES3_S9_NS6_6detail15normal_iteratorINS6_10device_ptrIjEEEENSD_INSE_IxEEEENS6_16discard_iteratorINS6_11use_defaultEEESI_PmS8_NS6_8equal_toIjEEEE10hipError_tPvRmT2_T3_mT4_T5_T6_T7_T8_P12ihipStream_tbENKUlT_T0_E_clISt17integral_constantIbLb1EES16_EEDaS11_S12_EUlS11_E_NS1_11comp_targetILNS1_3genE10ELNS1_11target_archE1200ELNS1_3gpuE4ELNS1_3repE0EEENS1_30default_config_static_selectorELNS0_4arch9wavefront6targetE1EEEvT1_.kd
    .uniform_work_group_size: 1
    .uses_dynamic_stack: false
    .vgpr_count:     0
    .vgpr_spill_count: 0
    .wavefront_size: 64
  - .agpr_count:     0
    .args:
      - .offset:         0
        .size:           144
        .value_kind:     by_value
    .group_segment_fixed_size: 0
    .kernarg_segment_align: 8
    .kernarg_segment_size: 144
    .language:       OpenCL C
    .language_version:
      - 2
      - 0
    .max_flat_workgroup_size: 256
    .name:           _ZN7rocprim17ROCPRIM_400000_NS6detail17trampoline_kernelINS0_14default_configENS1_29reduce_by_key_config_selectorIjxN6thrust23THRUST_200600_302600_NS4plusIxEEEEZZNS1_33reduce_by_key_impl_wrapped_configILNS1_25lookback_scan_determinismE0ES3_S9_NS6_6detail15normal_iteratorINS6_10device_ptrIjEEEENSD_INSE_IxEEEENS6_16discard_iteratorINS6_11use_defaultEEESI_PmS8_NS6_8equal_toIjEEEE10hipError_tPvRmT2_T3_mT4_T5_T6_T7_T8_P12ihipStream_tbENKUlT_T0_E_clISt17integral_constantIbLb1EES16_EEDaS11_S12_EUlS11_E_NS1_11comp_targetILNS1_3genE9ELNS1_11target_archE1100ELNS1_3gpuE3ELNS1_3repE0EEENS1_30default_config_static_selectorELNS0_4arch9wavefront6targetE1EEEvT1_
    .private_segment_fixed_size: 0
    .sgpr_count:     4
    .sgpr_spill_count: 0
    .symbol:         _ZN7rocprim17ROCPRIM_400000_NS6detail17trampoline_kernelINS0_14default_configENS1_29reduce_by_key_config_selectorIjxN6thrust23THRUST_200600_302600_NS4plusIxEEEEZZNS1_33reduce_by_key_impl_wrapped_configILNS1_25lookback_scan_determinismE0ES3_S9_NS6_6detail15normal_iteratorINS6_10device_ptrIjEEEENSD_INSE_IxEEEENS6_16discard_iteratorINS6_11use_defaultEEESI_PmS8_NS6_8equal_toIjEEEE10hipError_tPvRmT2_T3_mT4_T5_T6_T7_T8_P12ihipStream_tbENKUlT_T0_E_clISt17integral_constantIbLb1EES16_EEDaS11_S12_EUlS11_E_NS1_11comp_targetILNS1_3genE9ELNS1_11target_archE1100ELNS1_3gpuE3ELNS1_3repE0EEENS1_30default_config_static_selectorELNS0_4arch9wavefront6targetE1EEEvT1_.kd
    .uniform_work_group_size: 1
    .uses_dynamic_stack: false
    .vgpr_count:     0
    .vgpr_spill_count: 0
    .wavefront_size: 64
  - .agpr_count:     0
    .args:
      - .offset:         0
        .size:           144
        .value_kind:     by_value
    .group_segment_fixed_size: 0
    .kernarg_segment_align: 8
    .kernarg_segment_size: 144
    .language:       OpenCL C
    .language_version:
      - 2
      - 0
    .max_flat_workgroup_size: 256
    .name:           _ZN7rocprim17ROCPRIM_400000_NS6detail17trampoline_kernelINS0_14default_configENS1_29reduce_by_key_config_selectorIjxN6thrust23THRUST_200600_302600_NS4plusIxEEEEZZNS1_33reduce_by_key_impl_wrapped_configILNS1_25lookback_scan_determinismE0ES3_S9_NS6_6detail15normal_iteratorINS6_10device_ptrIjEEEENSD_INSE_IxEEEENS6_16discard_iteratorINS6_11use_defaultEEESI_PmS8_NS6_8equal_toIjEEEE10hipError_tPvRmT2_T3_mT4_T5_T6_T7_T8_P12ihipStream_tbENKUlT_T0_E_clISt17integral_constantIbLb1EES16_EEDaS11_S12_EUlS11_E_NS1_11comp_targetILNS1_3genE8ELNS1_11target_archE1030ELNS1_3gpuE2ELNS1_3repE0EEENS1_30default_config_static_selectorELNS0_4arch9wavefront6targetE1EEEvT1_
    .private_segment_fixed_size: 0
    .sgpr_count:     4
    .sgpr_spill_count: 0
    .symbol:         _ZN7rocprim17ROCPRIM_400000_NS6detail17trampoline_kernelINS0_14default_configENS1_29reduce_by_key_config_selectorIjxN6thrust23THRUST_200600_302600_NS4plusIxEEEEZZNS1_33reduce_by_key_impl_wrapped_configILNS1_25lookback_scan_determinismE0ES3_S9_NS6_6detail15normal_iteratorINS6_10device_ptrIjEEEENSD_INSE_IxEEEENS6_16discard_iteratorINS6_11use_defaultEEESI_PmS8_NS6_8equal_toIjEEEE10hipError_tPvRmT2_T3_mT4_T5_T6_T7_T8_P12ihipStream_tbENKUlT_T0_E_clISt17integral_constantIbLb1EES16_EEDaS11_S12_EUlS11_E_NS1_11comp_targetILNS1_3genE8ELNS1_11target_archE1030ELNS1_3gpuE2ELNS1_3repE0EEENS1_30default_config_static_selectorELNS0_4arch9wavefront6targetE1EEEvT1_.kd
    .uniform_work_group_size: 1
    .uses_dynamic_stack: false
    .vgpr_count:     0
    .vgpr_spill_count: 0
    .wavefront_size: 64
  - .agpr_count:     0
    .args:
      - .offset:         0
        .size:           144
        .value_kind:     by_value
    .group_segment_fixed_size: 0
    .kernarg_segment_align: 8
    .kernarg_segment_size: 144
    .language:       OpenCL C
    .language_version:
      - 2
      - 0
    .max_flat_workgroup_size: 256
    .name:           _ZN7rocprim17ROCPRIM_400000_NS6detail17trampoline_kernelINS0_14default_configENS1_29reduce_by_key_config_selectorIjxN6thrust23THRUST_200600_302600_NS4plusIxEEEEZZNS1_33reduce_by_key_impl_wrapped_configILNS1_25lookback_scan_determinismE0ES3_S9_NS6_6detail15normal_iteratorINS6_10device_ptrIjEEEENSD_INSE_IxEEEENS6_16discard_iteratorINS6_11use_defaultEEESI_PmS8_NS6_8equal_toIjEEEE10hipError_tPvRmT2_T3_mT4_T5_T6_T7_T8_P12ihipStream_tbENKUlT_T0_E_clISt17integral_constantIbLb1EES15_IbLb0EEEEDaS11_S12_EUlS11_E_NS1_11comp_targetILNS1_3genE0ELNS1_11target_archE4294967295ELNS1_3gpuE0ELNS1_3repE0EEENS1_30default_config_static_selectorELNS0_4arch9wavefront6targetE1EEEvT1_
    .private_segment_fixed_size: 0
    .sgpr_count:     4
    .sgpr_spill_count: 0
    .symbol:         _ZN7rocprim17ROCPRIM_400000_NS6detail17trampoline_kernelINS0_14default_configENS1_29reduce_by_key_config_selectorIjxN6thrust23THRUST_200600_302600_NS4plusIxEEEEZZNS1_33reduce_by_key_impl_wrapped_configILNS1_25lookback_scan_determinismE0ES3_S9_NS6_6detail15normal_iteratorINS6_10device_ptrIjEEEENSD_INSE_IxEEEENS6_16discard_iteratorINS6_11use_defaultEEESI_PmS8_NS6_8equal_toIjEEEE10hipError_tPvRmT2_T3_mT4_T5_T6_T7_T8_P12ihipStream_tbENKUlT_T0_E_clISt17integral_constantIbLb1EES15_IbLb0EEEEDaS11_S12_EUlS11_E_NS1_11comp_targetILNS1_3genE0ELNS1_11target_archE4294967295ELNS1_3gpuE0ELNS1_3repE0EEENS1_30default_config_static_selectorELNS0_4arch9wavefront6targetE1EEEvT1_.kd
    .uniform_work_group_size: 1
    .uses_dynamic_stack: false
    .vgpr_count:     0
    .vgpr_spill_count: 0
    .wavefront_size: 64
  - .agpr_count:     0
    .args:
      - .offset:         0
        .size:           144
        .value_kind:     by_value
    .group_segment_fixed_size: 0
    .kernarg_segment_align: 8
    .kernarg_segment_size: 144
    .language:       OpenCL C
    .language_version:
      - 2
      - 0
    .max_flat_workgroup_size: 256
    .name:           _ZN7rocprim17ROCPRIM_400000_NS6detail17trampoline_kernelINS0_14default_configENS1_29reduce_by_key_config_selectorIjxN6thrust23THRUST_200600_302600_NS4plusIxEEEEZZNS1_33reduce_by_key_impl_wrapped_configILNS1_25lookback_scan_determinismE0ES3_S9_NS6_6detail15normal_iteratorINS6_10device_ptrIjEEEENSD_INSE_IxEEEENS6_16discard_iteratorINS6_11use_defaultEEESI_PmS8_NS6_8equal_toIjEEEE10hipError_tPvRmT2_T3_mT4_T5_T6_T7_T8_P12ihipStream_tbENKUlT_T0_E_clISt17integral_constantIbLb1EES15_IbLb0EEEEDaS11_S12_EUlS11_E_NS1_11comp_targetILNS1_3genE5ELNS1_11target_archE942ELNS1_3gpuE9ELNS1_3repE0EEENS1_30default_config_static_selectorELNS0_4arch9wavefront6targetE1EEEvT1_
    .private_segment_fixed_size: 0
    .sgpr_count:     4
    .sgpr_spill_count: 0
    .symbol:         _ZN7rocprim17ROCPRIM_400000_NS6detail17trampoline_kernelINS0_14default_configENS1_29reduce_by_key_config_selectorIjxN6thrust23THRUST_200600_302600_NS4plusIxEEEEZZNS1_33reduce_by_key_impl_wrapped_configILNS1_25lookback_scan_determinismE0ES3_S9_NS6_6detail15normal_iteratorINS6_10device_ptrIjEEEENSD_INSE_IxEEEENS6_16discard_iteratorINS6_11use_defaultEEESI_PmS8_NS6_8equal_toIjEEEE10hipError_tPvRmT2_T3_mT4_T5_T6_T7_T8_P12ihipStream_tbENKUlT_T0_E_clISt17integral_constantIbLb1EES15_IbLb0EEEEDaS11_S12_EUlS11_E_NS1_11comp_targetILNS1_3genE5ELNS1_11target_archE942ELNS1_3gpuE9ELNS1_3repE0EEENS1_30default_config_static_selectorELNS0_4arch9wavefront6targetE1EEEvT1_.kd
    .uniform_work_group_size: 1
    .uses_dynamic_stack: false
    .vgpr_count:     0
    .vgpr_spill_count: 0
    .wavefront_size: 64
  - .agpr_count:     0
    .args:
      - .offset:         0
        .size:           144
        .value_kind:     by_value
    .group_segment_fixed_size: 30720
    .kernarg_segment_align: 8
    .kernarg_segment_size: 144
    .language:       OpenCL C
    .language_version:
      - 2
      - 0
    .max_flat_workgroup_size: 256
    .name:           _ZN7rocprim17ROCPRIM_400000_NS6detail17trampoline_kernelINS0_14default_configENS1_29reduce_by_key_config_selectorIjxN6thrust23THRUST_200600_302600_NS4plusIxEEEEZZNS1_33reduce_by_key_impl_wrapped_configILNS1_25lookback_scan_determinismE0ES3_S9_NS6_6detail15normal_iteratorINS6_10device_ptrIjEEEENSD_INSE_IxEEEENS6_16discard_iteratorINS6_11use_defaultEEESI_PmS8_NS6_8equal_toIjEEEE10hipError_tPvRmT2_T3_mT4_T5_T6_T7_T8_P12ihipStream_tbENKUlT_T0_E_clISt17integral_constantIbLb1EES15_IbLb0EEEEDaS11_S12_EUlS11_E_NS1_11comp_targetILNS1_3genE4ELNS1_11target_archE910ELNS1_3gpuE8ELNS1_3repE0EEENS1_30default_config_static_selectorELNS0_4arch9wavefront6targetE1EEEvT1_
    .private_segment_fixed_size: 0
    .sgpr_count:     67
    .sgpr_spill_count: 0
    .symbol:         _ZN7rocprim17ROCPRIM_400000_NS6detail17trampoline_kernelINS0_14default_configENS1_29reduce_by_key_config_selectorIjxN6thrust23THRUST_200600_302600_NS4plusIxEEEEZZNS1_33reduce_by_key_impl_wrapped_configILNS1_25lookback_scan_determinismE0ES3_S9_NS6_6detail15normal_iteratorINS6_10device_ptrIjEEEENSD_INSE_IxEEEENS6_16discard_iteratorINS6_11use_defaultEEESI_PmS8_NS6_8equal_toIjEEEE10hipError_tPvRmT2_T3_mT4_T5_T6_T7_T8_P12ihipStream_tbENKUlT_T0_E_clISt17integral_constantIbLb1EES15_IbLb0EEEEDaS11_S12_EUlS11_E_NS1_11comp_targetILNS1_3genE4ELNS1_11target_archE910ELNS1_3gpuE8ELNS1_3repE0EEENS1_30default_config_static_selectorELNS0_4arch9wavefront6targetE1EEEvT1_.kd
    .uniform_work_group_size: 1
    .uses_dynamic_stack: false
    .vgpr_count:     102
    .vgpr_spill_count: 0
    .wavefront_size: 64
  - .agpr_count:     0
    .args:
      - .offset:         0
        .size:           144
        .value_kind:     by_value
    .group_segment_fixed_size: 0
    .kernarg_segment_align: 8
    .kernarg_segment_size: 144
    .language:       OpenCL C
    .language_version:
      - 2
      - 0
    .max_flat_workgroup_size: 256
    .name:           _ZN7rocprim17ROCPRIM_400000_NS6detail17trampoline_kernelINS0_14default_configENS1_29reduce_by_key_config_selectorIjxN6thrust23THRUST_200600_302600_NS4plusIxEEEEZZNS1_33reduce_by_key_impl_wrapped_configILNS1_25lookback_scan_determinismE0ES3_S9_NS6_6detail15normal_iteratorINS6_10device_ptrIjEEEENSD_INSE_IxEEEENS6_16discard_iteratorINS6_11use_defaultEEESI_PmS8_NS6_8equal_toIjEEEE10hipError_tPvRmT2_T3_mT4_T5_T6_T7_T8_P12ihipStream_tbENKUlT_T0_E_clISt17integral_constantIbLb1EES15_IbLb0EEEEDaS11_S12_EUlS11_E_NS1_11comp_targetILNS1_3genE3ELNS1_11target_archE908ELNS1_3gpuE7ELNS1_3repE0EEENS1_30default_config_static_selectorELNS0_4arch9wavefront6targetE1EEEvT1_
    .private_segment_fixed_size: 0
    .sgpr_count:     4
    .sgpr_spill_count: 0
    .symbol:         _ZN7rocprim17ROCPRIM_400000_NS6detail17trampoline_kernelINS0_14default_configENS1_29reduce_by_key_config_selectorIjxN6thrust23THRUST_200600_302600_NS4plusIxEEEEZZNS1_33reduce_by_key_impl_wrapped_configILNS1_25lookback_scan_determinismE0ES3_S9_NS6_6detail15normal_iteratorINS6_10device_ptrIjEEEENSD_INSE_IxEEEENS6_16discard_iteratorINS6_11use_defaultEEESI_PmS8_NS6_8equal_toIjEEEE10hipError_tPvRmT2_T3_mT4_T5_T6_T7_T8_P12ihipStream_tbENKUlT_T0_E_clISt17integral_constantIbLb1EES15_IbLb0EEEEDaS11_S12_EUlS11_E_NS1_11comp_targetILNS1_3genE3ELNS1_11target_archE908ELNS1_3gpuE7ELNS1_3repE0EEENS1_30default_config_static_selectorELNS0_4arch9wavefront6targetE1EEEvT1_.kd
    .uniform_work_group_size: 1
    .uses_dynamic_stack: false
    .vgpr_count:     0
    .vgpr_spill_count: 0
    .wavefront_size: 64
  - .agpr_count:     0
    .args:
      - .offset:         0
        .size:           144
        .value_kind:     by_value
    .group_segment_fixed_size: 0
    .kernarg_segment_align: 8
    .kernarg_segment_size: 144
    .language:       OpenCL C
    .language_version:
      - 2
      - 0
    .max_flat_workgroup_size: 256
    .name:           _ZN7rocprim17ROCPRIM_400000_NS6detail17trampoline_kernelINS0_14default_configENS1_29reduce_by_key_config_selectorIjxN6thrust23THRUST_200600_302600_NS4plusIxEEEEZZNS1_33reduce_by_key_impl_wrapped_configILNS1_25lookback_scan_determinismE0ES3_S9_NS6_6detail15normal_iteratorINS6_10device_ptrIjEEEENSD_INSE_IxEEEENS6_16discard_iteratorINS6_11use_defaultEEESI_PmS8_NS6_8equal_toIjEEEE10hipError_tPvRmT2_T3_mT4_T5_T6_T7_T8_P12ihipStream_tbENKUlT_T0_E_clISt17integral_constantIbLb1EES15_IbLb0EEEEDaS11_S12_EUlS11_E_NS1_11comp_targetILNS1_3genE2ELNS1_11target_archE906ELNS1_3gpuE6ELNS1_3repE0EEENS1_30default_config_static_selectorELNS0_4arch9wavefront6targetE1EEEvT1_
    .private_segment_fixed_size: 0
    .sgpr_count:     4
    .sgpr_spill_count: 0
    .symbol:         _ZN7rocprim17ROCPRIM_400000_NS6detail17trampoline_kernelINS0_14default_configENS1_29reduce_by_key_config_selectorIjxN6thrust23THRUST_200600_302600_NS4plusIxEEEEZZNS1_33reduce_by_key_impl_wrapped_configILNS1_25lookback_scan_determinismE0ES3_S9_NS6_6detail15normal_iteratorINS6_10device_ptrIjEEEENSD_INSE_IxEEEENS6_16discard_iteratorINS6_11use_defaultEEESI_PmS8_NS6_8equal_toIjEEEE10hipError_tPvRmT2_T3_mT4_T5_T6_T7_T8_P12ihipStream_tbENKUlT_T0_E_clISt17integral_constantIbLb1EES15_IbLb0EEEEDaS11_S12_EUlS11_E_NS1_11comp_targetILNS1_3genE2ELNS1_11target_archE906ELNS1_3gpuE6ELNS1_3repE0EEENS1_30default_config_static_selectorELNS0_4arch9wavefront6targetE1EEEvT1_.kd
    .uniform_work_group_size: 1
    .uses_dynamic_stack: false
    .vgpr_count:     0
    .vgpr_spill_count: 0
    .wavefront_size: 64
  - .agpr_count:     0
    .args:
      - .offset:         0
        .size:           144
        .value_kind:     by_value
    .group_segment_fixed_size: 0
    .kernarg_segment_align: 8
    .kernarg_segment_size: 144
    .language:       OpenCL C
    .language_version:
      - 2
      - 0
    .max_flat_workgroup_size: 256
    .name:           _ZN7rocprim17ROCPRIM_400000_NS6detail17trampoline_kernelINS0_14default_configENS1_29reduce_by_key_config_selectorIjxN6thrust23THRUST_200600_302600_NS4plusIxEEEEZZNS1_33reduce_by_key_impl_wrapped_configILNS1_25lookback_scan_determinismE0ES3_S9_NS6_6detail15normal_iteratorINS6_10device_ptrIjEEEENSD_INSE_IxEEEENS6_16discard_iteratorINS6_11use_defaultEEESI_PmS8_NS6_8equal_toIjEEEE10hipError_tPvRmT2_T3_mT4_T5_T6_T7_T8_P12ihipStream_tbENKUlT_T0_E_clISt17integral_constantIbLb1EES15_IbLb0EEEEDaS11_S12_EUlS11_E_NS1_11comp_targetILNS1_3genE10ELNS1_11target_archE1201ELNS1_3gpuE5ELNS1_3repE0EEENS1_30default_config_static_selectorELNS0_4arch9wavefront6targetE1EEEvT1_
    .private_segment_fixed_size: 0
    .sgpr_count:     4
    .sgpr_spill_count: 0
    .symbol:         _ZN7rocprim17ROCPRIM_400000_NS6detail17trampoline_kernelINS0_14default_configENS1_29reduce_by_key_config_selectorIjxN6thrust23THRUST_200600_302600_NS4plusIxEEEEZZNS1_33reduce_by_key_impl_wrapped_configILNS1_25lookback_scan_determinismE0ES3_S9_NS6_6detail15normal_iteratorINS6_10device_ptrIjEEEENSD_INSE_IxEEEENS6_16discard_iteratorINS6_11use_defaultEEESI_PmS8_NS6_8equal_toIjEEEE10hipError_tPvRmT2_T3_mT4_T5_T6_T7_T8_P12ihipStream_tbENKUlT_T0_E_clISt17integral_constantIbLb1EES15_IbLb0EEEEDaS11_S12_EUlS11_E_NS1_11comp_targetILNS1_3genE10ELNS1_11target_archE1201ELNS1_3gpuE5ELNS1_3repE0EEENS1_30default_config_static_selectorELNS0_4arch9wavefront6targetE1EEEvT1_.kd
    .uniform_work_group_size: 1
    .uses_dynamic_stack: false
    .vgpr_count:     0
    .vgpr_spill_count: 0
    .wavefront_size: 64
  - .agpr_count:     0
    .args:
      - .offset:         0
        .size:           144
        .value_kind:     by_value
    .group_segment_fixed_size: 0
    .kernarg_segment_align: 8
    .kernarg_segment_size: 144
    .language:       OpenCL C
    .language_version:
      - 2
      - 0
    .max_flat_workgroup_size: 256
    .name:           _ZN7rocprim17ROCPRIM_400000_NS6detail17trampoline_kernelINS0_14default_configENS1_29reduce_by_key_config_selectorIjxN6thrust23THRUST_200600_302600_NS4plusIxEEEEZZNS1_33reduce_by_key_impl_wrapped_configILNS1_25lookback_scan_determinismE0ES3_S9_NS6_6detail15normal_iteratorINS6_10device_ptrIjEEEENSD_INSE_IxEEEENS6_16discard_iteratorINS6_11use_defaultEEESI_PmS8_NS6_8equal_toIjEEEE10hipError_tPvRmT2_T3_mT4_T5_T6_T7_T8_P12ihipStream_tbENKUlT_T0_E_clISt17integral_constantIbLb1EES15_IbLb0EEEEDaS11_S12_EUlS11_E_NS1_11comp_targetILNS1_3genE10ELNS1_11target_archE1200ELNS1_3gpuE4ELNS1_3repE0EEENS1_30default_config_static_selectorELNS0_4arch9wavefront6targetE1EEEvT1_
    .private_segment_fixed_size: 0
    .sgpr_count:     4
    .sgpr_spill_count: 0
    .symbol:         _ZN7rocprim17ROCPRIM_400000_NS6detail17trampoline_kernelINS0_14default_configENS1_29reduce_by_key_config_selectorIjxN6thrust23THRUST_200600_302600_NS4plusIxEEEEZZNS1_33reduce_by_key_impl_wrapped_configILNS1_25lookback_scan_determinismE0ES3_S9_NS6_6detail15normal_iteratorINS6_10device_ptrIjEEEENSD_INSE_IxEEEENS6_16discard_iteratorINS6_11use_defaultEEESI_PmS8_NS6_8equal_toIjEEEE10hipError_tPvRmT2_T3_mT4_T5_T6_T7_T8_P12ihipStream_tbENKUlT_T0_E_clISt17integral_constantIbLb1EES15_IbLb0EEEEDaS11_S12_EUlS11_E_NS1_11comp_targetILNS1_3genE10ELNS1_11target_archE1200ELNS1_3gpuE4ELNS1_3repE0EEENS1_30default_config_static_selectorELNS0_4arch9wavefront6targetE1EEEvT1_.kd
    .uniform_work_group_size: 1
    .uses_dynamic_stack: false
    .vgpr_count:     0
    .vgpr_spill_count: 0
    .wavefront_size: 64
  - .agpr_count:     0
    .args:
      - .offset:         0
        .size:           144
        .value_kind:     by_value
    .group_segment_fixed_size: 0
    .kernarg_segment_align: 8
    .kernarg_segment_size: 144
    .language:       OpenCL C
    .language_version:
      - 2
      - 0
    .max_flat_workgroup_size: 256
    .name:           _ZN7rocprim17ROCPRIM_400000_NS6detail17trampoline_kernelINS0_14default_configENS1_29reduce_by_key_config_selectorIjxN6thrust23THRUST_200600_302600_NS4plusIxEEEEZZNS1_33reduce_by_key_impl_wrapped_configILNS1_25lookback_scan_determinismE0ES3_S9_NS6_6detail15normal_iteratorINS6_10device_ptrIjEEEENSD_INSE_IxEEEENS6_16discard_iteratorINS6_11use_defaultEEESI_PmS8_NS6_8equal_toIjEEEE10hipError_tPvRmT2_T3_mT4_T5_T6_T7_T8_P12ihipStream_tbENKUlT_T0_E_clISt17integral_constantIbLb1EES15_IbLb0EEEEDaS11_S12_EUlS11_E_NS1_11comp_targetILNS1_3genE9ELNS1_11target_archE1100ELNS1_3gpuE3ELNS1_3repE0EEENS1_30default_config_static_selectorELNS0_4arch9wavefront6targetE1EEEvT1_
    .private_segment_fixed_size: 0
    .sgpr_count:     4
    .sgpr_spill_count: 0
    .symbol:         _ZN7rocprim17ROCPRIM_400000_NS6detail17trampoline_kernelINS0_14default_configENS1_29reduce_by_key_config_selectorIjxN6thrust23THRUST_200600_302600_NS4plusIxEEEEZZNS1_33reduce_by_key_impl_wrapped_configILNS1_25lookback_scan_determinismE0ES3_S9_NS6_6detail15normal_iteratorINS6_10device_ptrIjEEEENSD_INSE_IxEEEENS6_16discard_iteratorINS6_11use_defaultEEESI_PmS8_NS6_8equal_toIjEEEE10hipError_tPvRmT2_T3_mT4_T5_T6_T7_T8_P12ihipStream_tbENKUlT_T0_E_clISt17integral_constantIbLb1EES15_IbLb0EEEEDaS11_S12_EUlS11_E_NS1_11comp_targetILNS1_3genE9ELNS1_11target_archE1100ELNS1_3gpuE3ELNS1_3repE0EEENS1_30default_config_static_selectorELNS0_4arch9wavefront6targetE1EEEvT1_.kd
    .uniform_work_group_size: 1
    .uses_dynamic_stack: false
    .vgpr_count:     0
    .vgpr_spill_count: 0
    .wavefront_size: 64
  - .agpr_count:     0
    .args:
      - .offset:         0
        .size:           144
        .value_kind:     by_value
    .group_segment_fixed_size: 0
    .kernarg_segment_align: 8
    .kernarg_segment_size: 144
    .language:       OpenCL C
    .language_version:
      - 2
      - 0
    .max_flat_workgroup_size: 256
    .name:           _ZN7rocprim17ROCPRIM_400000_NS6detail17trampoline_kernelINS0_14default_configENS1_29reduce_by_key_config_selectorIjxN6thrust23THRUST_200600_302600_NS4plusIxEEEEZZNS1_33reduce_by_key_impl_wrapped_configILNS1_25lookback_scan_determinismE0ES3_S9_NS6_6detail15normal_iteratorINS6_10device_ptrIjEEEENSD_INSE_IxEEEENS6_16discard_iteratorINS6_11use_defaultEEESI_PmS8_NS6_8equal_toIjEEEE10hipError_tPvRmT2_T3_mT4_T5_T6_T7_T8_P12ihipStream_tbENKUlT_T0_E_clISt17integral_constantIbLb1EES15_IbLb0EEEEDaS11_S12_EUlS11_E_NS1_11comp_targetILNS1_3genE8ELNS1_11target_archE1030ELNS1_3gpuE2ELNS1_3repE0EEENS1_30default_config_static_selectorELNS0_4arch9wavefront6targetE1EEEvT1_
    .private_segment_fixed_size: 0
    .sgpr_count:     4
    .sgpr_spill_count: 0
    .symbol:         _ZN7rocprim17ROCPRIM_400000_NS6detail17trampoline_kernelINS0_14default_configENS1_29reduce_by_key_config_selectorIjxN6thrust23THRUST_200600_302600_NS4plusIxEEEEZZNS1_33reduce_by_key_impl_wrapped_configILNS1_25lookback_scan_determinismE0ES3_S9_NS6_6detail15normal_iteratorINS6_10device_ptrIjEEEENSD_INSE_IxEEEENS6_16discard_iteratorINS6_11use_defaultEEESI_PmS8_NS6_8equal_toIjEEEE10hipError_tPvRmT2_T3_mT4_T5_T6_T7_T8_P12ihipStream_tbENKUlT_T0_E_clISt17integral_constantIbLb1EES15_IbLb0EEEEDaS11_S12_EUlS11_E_NS1_11comp_targetILNS1_3genE8ELNS1_11target_archE1030ELNS1_3gpuE2ELNS1_3repE0EEENS1_30default_config_static_selectorELNS0_4arch9wavefront6targetE1EEEvT1_.kd
    .uniform_work_group_size: 1
    .uses_dynamic_stack: false
    .vgpr_count:     0
    .vgpr_spill_count: 0
    .wavefront_size: 64
  - .agpr_count:     0
    .args:
      - .offset:         0
        .size:           144
        .value_kind:     by_value
    .group_segment_fixed_size: 0
    .kernarg_segment_align: 8
    .kernarg_segment_size: 144
    .language:       OpenCL C
    .language_version:
      - 2
      - 0
    .max_flat_workgroup_size: 256
    .name:           _ZN7rocprim17ROCPRIM_400000_NS6detail17trampoline_kernelINS0_14default_configENS1_29reduce_by_key_config_selectorIjxN6thrust23THRUST_200600_302600_NS4plusIxEEEEZZNS1_33reduce_by_key_impl_wrapped_configILNS1_25lookback_scan_determinismE0ES3_S9_NS6_6detail15normal_iteratorINS6_10device_ptrIjEEEENSD_INSE_IxEEEENS6_16discard_iteratorINS6_11use_defaultEEESI_PmS8_NS6_8equal_toIjEEEE10hipError_tPvRmT2_T3_mT4_T5_T6_T7_T8_P12ihipStream_tbENKUlT_T0_E_clISt17integral_constantIbLb0EES15_IbLb1EEEEDaS11_S12_EUlS11_E_NS1_11comp_targetILNS1_3genE0ELNS1_11target_archE4294967295ELNS1_3gpuE0ELNS1_3repE0EEENS1_30default_config_static_selectorELNS0_4arch9wavefront6targetE1EEEvT1_
    .private_segment_fixed_size: 0
    .sgpr_count:     4
    .sgpr_spill_count: 0
    .symbol:         _ZN7rocprim17ROCPRIM_400000_NS6detail17trampoline_kernelINS0_14default_configENS1_29reduce_by_key_config_selectorIjxN6thrust23THRUST_200600_302600_NS4plusIxEEEEZZNS1_33reduce_by_key_impl_wrapped_configILNS1_25lookback_scan_determinismE0ES3_S9_NS6_6detail15normal_iteratorINS6_10device_ptrIjEEEENSD_INSE_IxEEEENS6_16discard_iteratorINS6_11use_defaultEEESI_PmS8_NS6_8equal_toIjEEEE10hipError_tPvRmT2_T3_mT4_T5_T6_T7_T8_P12ihipStream_tbENKUlT_T0_E_clISt17integral_constantIbLb0EES15_IbLb1EEEEDaS11_S12_EUlS11_E_NS1_11comp_targetILNS1_3genE0ELNS1_11target_archE4294967295ELNS1_3gpuE0ELNS1_3repE0EEENS1_30default_config_static_selectorELNS0_4arch9wavefront6targetE1EEEvT1_.kd
    .uniform_work_group_size: 1
    .uses_dynamic_stack: false
    .vgpr_count:     0
    .vgpr_spill_count: 0
    .wavefront_size: 64
  - .agpr_count:     0
    .args:
      - .offset:         0
        .size:           144
        .value_kind:     by_value
    .group_segment_fixed_size: 0
    .kernarg_segment_align: 8
    .kernarg_segment_size: 144
    .language:       OpenCL C
    .language_version:
      - 2
      - 0
    .max_flat_workgroup_size: 256
    .name:           _ZN7rocprim17ROCPRIM_400000_NS6detail17trampoline_kernelINS0_14default_configENS1_29reduce_by_key_config_selectorIjxN6thrust23THRUST_200600_302600_NS4plusIxEEEEZZNS1_33reduce_by_key_impl_wrapped_configILNS1_25lookback_scan_determinismE0ES3_S9_NS6_6detail15normal_iteratorINS6_10device_ptrIjEEEENSD_INSE_IxEEEENS6_16discard_iteratorINS6_11use_defaultEEESI_PmS8_NS6_8equal_toIjEEEE10hipError_tPvRmT2_T3_mT4_T5_T6_T7_T8_P12ihipStream_tbENKUlT_T0_E_clISt17integral_constantIbLb0EES15_IbLb1EEEEDaS11_S12_EUlS11_E_NS1_11comp_targetILNS1_3genE5ELNS1_11target_archE942ELNS1_3gpuE9ELNS1_3repE0EEENS1_30default_config_static_selectorELNS0_4arch9wavefront6targetE1EEEvT1_
    .private_segment_fixed_size: 0
    .sgpr_count:     4
    .sgpr_spill_count: 0
    .symbol:         _ZN7rocprim17ROCPRIM_400000_NS6detail17trampoline_kernelINS0_14default_configENS1_29reduce_by_key_config_selectorIjxN6thrust23THRUST_200600_302600_NS4plusIxEEEEZZNS1_33reduce_by_key_impl_wrapped_configILNS1_25lookback_scan_determinismE0ES3_S9_NS6_6detail15normal_iteratorINS6_10device_ptrIjEEEENSD_INSE_IxEEEENS6_16discard_iteratorINS6_11use_defaultEEESI_PmS8_NS6_8equal_toIjEEEE10hipError_tPvRmT2_T3_mT4_T5_T6_T7_T8_P12ihipStream_tbENKUlT_T0_E_clISt17integral_constantIbLb0EES15_IbLb1EEEEDaS11_S12_EUlS11_E_NS1_11comp_targetILNS1_3genE5ELNS1_11target_archE942ELNS1_3gpuE9ELNS1_3repE0EEENS1_30default_config_static_selectorELNS0_4arch9wavefront6targetE1EEEvT1_.kd
    .uniform_work_group_size: 1
    .uses_dynamic_stack: false
    .vgpr_count:     0
    .vgpr_spill_count: 0
    .wavefront_size: 64
  - .agpr_count:     0
    .args:
      - .offset:         0
        .size:           144
        .value_kind:     by_value
    .group_segment_fixed_size: 30720
    .kernarg_segment_align: 8
    .kernarg_segment_size: 144
    .language:       OpenCL C
    .language_version:
      - 2
      - 0
    .max_flat_workgroup_size: 256
    .name:           _ZN7rocprim17ROCPRIM_400000_NS6detail17trampoline_kernelINS0_14default_configENS1_29reduce_by_key_config_selectorIjxN6thrust23THRUST_200600_302600_NS4plusIxEEEEZZNS1_33reduce_by_key_impl_wrapped_configILNS1_25lookback_scan_determinismE0ES3_S9_NS6_6detail15normal_iteratorINS6_10device_ptrIjEEEENSD_INSE_IxEEEENS6_16discard_iteratorINS6_11use_defaultEEESI_PmS8_NS6_8equal_toIjEEEE10hipError_tPvRmT2_T3_mT4_T5_T6_T7_T8_P12ihipStream_tbENKUlT_T0_E_clISt17integral_constantIbLb0EES15_IbLb1EEEEDaS11_S12_EUlS11_E_NS1_11comp_targetILNS1_3genE4ELNS1_11target_archE910ELNS1_3gpuE8ELNS1_3repE0EEENS1_30default_config_static_selectorELNS0_4arch9wavefront6targetE1EEEvT1_
    .private_segment_fixed_size: 0
    .sgpr_count:     67
    .sgpr_spill_count: 0
    .symbol:         _ZN7rocprim17ROCPRIM_400000_NS6detail17trampoline_kernelINS0_14default_configENS1_29reduce_by_key_config_selectorIjxN6thrust23THRUST_200600_302600_NS4plusIxEEEEZZNS1_33reduce_by_key_impl_wrapped_configILNS1_25lookback_scan_determinismE0ES3_S9_NS6_6detail15normal_iteratorINS6_10device_ptrIjEEEENSD_INSE_IxEEEENS6_16discard_iteratorINS6_11use_defaultEEESI_PmS8_NS6_8equal_toIjEEEE10hipError_tPvRmT2_T3_mT4_T5_T6_T7_T8_P12ihipStream_tbENKUlT_T0_E_clISt17integral_constantIbLb0EES15_IbLb1EEEEDaS11_S12_EUlS11_E_NS1_11comp_targetILNS1_3genE4ELNS1_11target_archE910ELNS1_3gpuE8ELNS1_3repE0EEENS1_30default_config_static_selectorELNS0_4arch9wavefront6targetE1EEEvT1_.kd
    .uniform_work_group_size: 1
    .uses_dynamic_stack: false
    .vgpr_count:     102
    .vgpr_spill_count: 0
    .wavefront_size: 64
  - .agpr_count:     0
    .args:
      - .offset:         0
        .size:           144
        .value_kind:     by_value
    .group_segment_fixed_size: 0
    .kernarg_segment_align: 8
    .kernarg_segment_size: 144
    .language:       OpenCL C
    .language_version:
      - 2
      - 0
    .max_flat_workgroup_size: 256
    .name:           _ZN7rocprim17ROCPRIM_400000_NS6detail17trampoline_kernelINS0_14default_configENS1_29reduce_by_key_config_selectorIjxN6thrust23THRUST_200600_302600_NS4plusIxEEEEZZNS1_33reduce_by_key_impl_wrapped_configILNS1_25lookback_scan_determinismE0ES3_S9_NS6_6detail15normal_iteratorINS6_10device_ptrIjEEEENSD_INSE_IxEEEENS6_16discard_iteratorINS6_11use_defaultEEESI_PmS8_NS6_8equal_toIjEEEE10hipError_tPvRmT2_T3_mT4_T5_T6_T7_T8_P12ihipStream_tbENKUlT_T0_E_clISt17integral_constantIbLb0EES15_IbLb1EEEEDaS11_S12_EUlS11_E_NS1_11comp_targetILNS1_3genE3ELNS1_11target_archE908ELNS1_3gpuE7ELNS1_3repE0EEENS1_30default_config_static_selectorELNS0_4arch9wavefront6targetE1EEEvT1_
    .private_segment_fixed_size: 0
    .sgpr_count:     4
    .sgpr_spill_count: 0
    .symbol:         _ZN7rocprim17ROCPRIM_400000_NS6detail17trampoline_kernelINS0_14default_configENS1_29reduce_by_key_config_selectorIjxN6thrust23THRUST_200600_302600_NS4plusIxEEEEZZNS1_33reduce_by_key_impl_wrapped_configILNS1_25lookback_scan_determinismE0ES3_S9_NS6_6detail15normal_iteratorINS6_10device_ptrIjEEEENSD_INSE_IxEEEENS6_16discard_iteratorINS6_11use_defaultEEESI_PmS8_NS6_8equal_toIjEEEE10hipError_tPvRmT2_T3_mT4_T5_T6_T7_T8_P12ihipStream_tbENKUlT_T0_E_clISt17integral_constantIbLb0EES15_IbLb1EEEEDaS11_S12_EUlS11_E_NS1_11comp_targetILNS1_3genE3ELNS1_11target_archE908ELNS1_3gpuE7ELNS1_3repE0EEENS1_30default_config_static_selectorELNS0_4arch9wavefront6targetE1EEEvT1_.kd
    .uniform_work_group_size: 1
    .uses_dynamic_stack: false
    .vgpr_count:     0
    .vgpr_spill_count: 0
    .wavefront_size: 64
  - .agpr_count:     0
    .args:
      - .offset:         0
        .size:           144
        .value_kind:     by_value
    .group_segment_fixed_size: 0
    .kernarg_segment_align: 8
    .kernarg_segment_size: 144
    .language:       OpenCL C
    .language_version:
      - 2
      - 0
    .max_flat_workgroup_size: 256
    .name:           _ZN7rocprim17ROCPRIM_400000_NS6detail17trampoline_kernelINS0_14default_configENS1_29reduce_by_key_config_selectorIjxN6thrust23THRUST_200600_302600_NS4plusIxEEEEZZNS1_33reduce_by_key_impl_wrapped_configILNS1_25lookback_scan_determinismE0ES3_S9_NS6_6detail15normal_iteratorINS6_10device_ptrIjEEEENSD_INSE_IxEEEENS6_16discard_iteratorINS6_11use_defaultEEESI_PmS8_NS6_8equal_toIjEEEE10hipError_tPvRmT2_T3_mT4_T5_T6_T7_T8_P12ihipStream_tbENKUlT_T0_E_clISt17integral_constantIbLb0EES15_IbLb1EEEEDaS11_S12_EUlS11_E_NS1_11comp_targetILNS1_3genE2ELNS1_11target_archE906ELNS1_3gpuE6ELNS1_3repE0EEENS1_30default_config_static_selectorELNS0_4arch9wavefront6targetE1EEEvT1_
    .private_segment_fixed_size: 0
    .sgpr_count:     4
    .sgpr_spill_count: 0
    .symbol:         _ZN7rocprim17ROCPRIM_400000_NS6detail17trampoline_kernelINS0_14default_configENS1_29reduce_by_key_config_selectorIjxN6thrust23THRUST_200600_302600_NS4plusIxEEEEZZNS1_33reduce_by_key_impl_wrapped_configILNS1_25lookback_scan_determinismE0ES3_S9_NS6_6detail15normal_iteratorINS6_10device_ptrIjEEEENSD_INSE_IxEEEENS6_16discard_iteratorINS6_11use_defaultEEESI_PmS8_NS6_8equal_toIjEEEE10hipError_tPvRmT2_T3_mT4_T5_T6_T7_T8_P12ihipStream_tbENKUlT_T0_E_clISt17integral_constantIbLb0EES15_IbLb1EEEEDaS11_S12_EUlS11_E_NS1_11comp_targetILNS1_3genE2ELNS1_11target_archE906ELNS1_3gpuE6ELNS1_3repE0EEENS1_30default_config_static_selectorELNS0_4arch9wavefront6targetE1EEEvT1_.kd
    .uniform_work_group_size: 1
    .uses_dynamic_stack: false
    .vgpr_count:     0
    .vgpr_spill_count: 0
    .wavefront_size: 64
  - .agpr_count:     0
    .args:
      - .offset:         0
        .size:           144
        .value_kind:     by_value
    .group_segment_fixed_size: 0
    .kernarg_segment_align: 8
    .kernarg_segment_size: 144
    .language:       OpenCL C
    .language_version:
      - 2
      - 0
    .max_flat_workgroup_size: 256
    .name:           _ZN7rocprim17ROCPRIM_400000_NS6detail17trampoline_kernelINS0_14default_configENS1_29reduce_by_key_config_selectorIjxN6thrust23THRUST_200600_302600_NS4plusIxEEEEZZNS1_33reduce_by_key_impl_wrapped_configILNS1_25lookback_scan_determinismE0ES3_S9_NS6_6detail15normal_iteratorINS6_10device_ptrIjEEEENSD_INSE_IxEEEENS6_16discard_iteratorINS6_11use_defaultEEESI_PmS8_NS6_8equal_toIjEEEE10hipError_tPvRmT2_T3_mT4_T5_T6_T7_T8_P12ihipStream_tbENKUlT_T0_E_clISt17integral_constantIbLb0EES15_IbLb1EEEEDaS11_S12_EUlS11_E_NS1_11comp_targetILNS1_3genE10ELNS1_11target_archE1201ELNS1_3gpuE5ELNS1_3repE0EEENS1_30default_config_static_selectorELNS0_4arch9wavefront6targetE1EEEvT1_
    .private_segment_fixed_size: 0
    .sgpr_count:     4
    .sgpr_spill_count: 0
    .symbol:         _ZN7rocprim17ROCPRIM_400000_NS6detail17trampoline_kernelINS0_14default_configENS1_29reduce_by_key_config_selectorIjxN6thrust23THRUST_200600_302600_NS4plusIxEEEEZZNS1_33reduce_by_key_impl_wrapped_configILNS1_25lookback_scan_determinismE0ES3_S9_NS6_6detail15normal_iteratorINS6_10device_ptrIjEEEENSD_INSE_IxEEEENS6_16discard_iteratorINS6_11use_defaultEEESI_PmS8_NS6_8equal_toIjEEEE10hipError_tPvRmT2_T3_mT4_T5_T6_T7_T8_P12ihipStream_tbENKUlT_T0_E_clISt17integral_constantIbLb0EES15_IbLb1EEEEDaS11_S12_EUlS11_E_NS1_11comp_targetILNS1_3genE10ELNS1_11target_archE1201ELNS1_3gpuE5ELNS1_3repE0EEENS1_30default_config_static_selectorELNS0_4arch9wavefront6targetE1EEEvT1_.kd
    .uniform_work_group_size: 1
    .uses_dynamic_stack: false
    .vgpr_count:     0
    .vgpr_spill_count: 0
    .wavefront_size: 64
  - .agpr_count:     0
    .args:
      - .offset:         0
        .size:           144
        .value_kind:     by_value
    .group_segment_fixed_size: 0
    .kernarg_segment_align: 8
    .kernarg_segment_size: 144
    .language:       OpenCL C
    .language_version:
      - 2
      - 0
    .max_flat_workgroup_size: 256
    .name:           _ZN7rocprim17ROCPRIM_400000_NS6detail17trampoline_kernelINS0_14default_configENS1_29reduce_by_key_config_selectorIjxN6thrust23THRUST_200600_302600_NS4plusIxEEEEZZNS1_33reduce_by_key_impl_wrapped_configILNS1_25lookback_scan_determinismE0ES3_S9_NS6_6detail15normal_iteratorINS6_10device_ptrIjEEEENSD_INSE_IxEEEENS6_16discard_iteratorINS6_11use_defaultEEESI_PmS8_NS6_8equal_toIjEEEE10hipError_tPvRmT2_T3_mT4_T5_T6_T7_T8_P12ihipStream_tbENKUlT_T0_E_clISt17integral_constantIbLb0EES15_IbLb1EEEEDaS11_S12_EUlS11_E_NS1_11comp_targetILNS1_3genE10ELNS1_11target_archE1200ELNS1_3gpuE4ELNS1_3repE0EEENS1_30default_config_static_selectorELNS0_4arch9wavefront6targetE1EEEvT1_
    .private_segment_fixed_size: 0
    .sgpr_count:     4
    .sgpr_spill_count: 0
    .symbol:         _ZN7rocprim17ROCPRIM_400000_NS6detail17trampoline_kernelINS0_14default_configENS1_29reduce_by_key_config_selectorIjxN6thrust23THRUST_200600_302600_NS4plusIxEEEEZZNS1_33reduce_by_key_impl_wrapped_configILNS1_25lookback_scan_determinismE0ES3_S9_NS6_6detail15normal_iteratorINS6_10device_ptrIjEEEENSD_INSE_IxEEEENS6_16discard_iteratorINS6_11use_defaultEEESI_PmS8_NS6_8equal_toIjEEEE10hipError_tPvRmT2_T3_mT4_T5_T6_T7_T8_P12ihipStream_tbENKUlT_T0_E_clISt17integral_constantIbLb0EES15_IbLb1EEEEDaS11_S12_EUlS11_E_NS1_11comp_targetILNS1_3genE10ELNS1_11target_archE1200ELNS1_3gpuE4ELNS1_3repE0EEENS1_30default_config_static_selectorELNS0_4arch9wavefront6targetE1EEEvT1_.kd
    .uniform_work_group_size: 1
    .uses_dynamic_stack: false
    .vgpr_count:     0
    .vgpr_spill_count: 0
    .wavefront_size: 64
  - .agpr_count:     0
    .args:
      - .offset:         0
        .size:           144
        .value_kind:     by_value
    .group_segment_fixed_size: 0
    .kernarg_segment_align: 8
    .kernarg_segment_size: 144
    .language:       OpenCL C
    .language_version:
      - 2
      - 0
    .max_flat_workgroup_size: 256
    .name:           _ZN7rocprim17ROCPRIM_400000_NS6detail17trampoline_kernelINS0_14default_configENS1_29reduce_by_key_config_selectorIjxN6thrust23THRUST_200600_302600_NS4plusIxEEEEZZNS1_33reduce_by_key_impl_wrapped_configILNS1_25lookback_scan_determinismE0ES3_S9_NS6_6detail15normal_iteratorINS6_10device_ptrIjEEEENSD_INSE_IxEEEENS6_16discard_iteratorINS6_11use_defaultEEESI_PmS8_NS6_8equal_toIjEEEE10hipError_tPvRmT2_T3_mT4_T5_T6_T7_T8_P12ihipStream_tbENKUlT_T0_E_clISt17integral_constantIbLb0EES15_IbLb1EEEEDaS11_S12_EUlS11_E_NS1_11comp_targetILNS1_3genE9ELNS1_11target_archE1100ELNS1_3gpuE3ELNS1_3repE0EEENS1_30default_config_static_selectorELNS0_4arch9wavefront6targetE1EEEvT1_
    .private_segment_fixed_size: 0
    .sgpr_count:     4
    .sgpr_spill_count: 0
    .symbol:         _ZN7rocprim17ROCPRIM_400000_NS6detail17trampoline_kernelINS0_14default_configENS1_29reduce_by_key_config_selectorIjxN6thrust23THRUST_200600_302600_NS4plusIxEEEEZZNS1_33reduce_by_key_impl_wrapped_configILNS1_25lookback_scan_determinismE0ES3_S9_NS6_6detail15normal_iteratorINS6_10device_ptrIjEEEENSD_INSE_IxEEEENS6_16discard_iteratorINS6_11use_defaultEEESI_PmS8_NS6_8equal_toIjEEEE10hipError_tPvRmT2_T3_mT4_T5_T6_T7_T8_P12ihipStream_tbENKUlT_T0_E_clISt17integral_constantIbLb0EES15_IbLb1EEEEDaS11_S12_EUlS11_E_NS1_11comp_targetILNS1_3genE9ELNS1_11target_archE1100ELNS1_3gpuE3ELNS1_3repE0EEENS1_30default_config_static_selectorELNS0_4arch9wavefront6targetE1EEEvT1_.kd
    .uniform_work_group_size: 1
    .uses_dynamic_stack: false
    .vgpr_count:     0
    .vgpr_spill_count: 0
    .wavefront_size: 64
  - .agpr_count:     0
    .args:
      - .offset:         0
        .size:           144
        .value_kind:     by_value
    .group_segment_fixed_size: 0
    .kernarg_segment_align: 8
    .kernarg_segment_size: 144
    .language:       OpenCL C
    .language_version:
      - 2
      - 0
    .max_flat_workgroup_size: 256
    .name:           _ZN7rocprim17ROCPRIM_400000_NS6detail17trampoline_kernelINS0_14default_configENS1_29reduce_by_key_config_selectorIjxN6thrust23THRUST_200600_302600_NS4plusIxEEEEZZNS1_33reduce_by_key_impl_wrapped_configILNS1_25lookback_scan_determinismE0ES3_S9_NS6_6detail15normal_iteratorINS6_10device_ptrIjEEEENSD_INSE_IxEEEENS6_16discard_iteratorINS6_11use_defaultEEESI_PmS8_NS6_8equal_toIjEEEE10hipError_tPvRmT2_T3_mT4_T5_T6_T7_T8_P12ihipStream_tbENKUlT_T0_E_clISt17integral_constantIbLb0EES15_IbLb1EEEEDaS11_S12_EUlS11_E_NS1_11comp_targetILNS1_3genE8ELNS1_11target_archE1030ELNS1_3gpuE2ELNS1_3repE0EEENS1_30default_config_static_selectorELNS0_4arch9wavefront6targetE1EEEvT1_
    .private_segment_fixed_size: 0
    .sgpr_count:     4
    .sgpr_spill_count: 0
    .symbol:         _ZN7rocprim17ROCPRIM_400000_NS6detail17trampoline_kernelINS0_14default_configENS1_29reduce_by_key_config_selectorIjxN6thrust23THRUST_200600_302600_NS4plusIxEEEEZZNS1_33reduce_by_key_impl_wrapped_configILNS1_25lookback_scan_determinismE0ES3_S9_NS6_6detail15normal_iteratorINS6_10device_ptrIjEEEENSD_INSE_IxEEEENS6_16discard_iteratorINS6_11use_defaultEEESI_PmS8_NS6_8equal_toIjEEEE10hipError_tPvRmT2_T3_mT4_T5_T6_T7_T8_P12ihipStream_tbENKUlT_T0_E_clISt17integral_constantIbLb0EES15_IbLb1EEEEDaS11_S12_EUlS11_E_NS1_11comp_targetILNS1_3genE8ELNS1_11target_archE1030ELNS1_3gpuE2ELNS1_3repE0EEENS1_30default_config_static_selectorELNS0_4arch9wavefront6targetE1EEEvT1_.kd
    .uniform_work_group_size: 1
    .uses_dynamic_stack: false
    .vgpr_count:     0
    .vgpr_spill_count: 0
    .wavefront_size: 64
  - .agpr_count:     0
    .args:
      - .offset:         0
        .size:           128
        .value_kind:     by_value
    .group_segment_fixed_size: 0
    .kernarg_segment_align: 8
    .kernarg_segment_size: 128
    .language:       OpenCL C
    .language_version:
      - 2
      - 0
    .max_flat_workgroup_size: 256
    .name:           _ZN7rocprim17ROCPRIM_400000_NS6detail17trampoline_kernelINS0_14default_configENS1_29reduce_by_key_config_selectorIjiN6thrust23THRUST_200600_302600_NS4plusIiEEEEZZNS1_33reduce_by_key_impl_wrapped_configILNS1_25lookback_scan_determinismE0ES3_S9_NS6_6detail15normal_iteratorINS6_10device_ptrIjEEEENSD_INSE_IiEEEENS6_16discard_iteratorINS6_11use_defaultEEESI_PmS8_NS6_8equal_toIjEEEE10hipError_tPvRmT2_T3_mT4_T5_T6_T7_T8_P12ihipStream_tbENKUlT_T0_E_clISt17integral_constantIbLb0EES16_EEDaS11_S12_EUlS11_E_NS1_11comp_targetILNS1_3genE0ELNS1_11target_archE4294967295ELNS1_3gpuE0ELNS1_3repE0EEENS1_30default_config_static_selectorELNS0_4arch9wavefront6targetE1EEEvT1_
    .private_segment_fixed_size: 0
    .sgpr_count:     4
    .sgpr_spill_count: 0
    .symbol:         _ZN7rocprim17ROCPRIM_400000_NS6detail17trampoline_kernelINS0_14default_configENS1_29reduce_by_key_config_selectorIjiN6thrust23THRUST_200600_302600_NS4plusIiEEEEZZNS1_33reduce_by_key_impl_wrapped_configILNS1_25lookback_scan_determinismE0ES3_S9_NS6_6detail15normal_iteratorINS6_10device_ptrIjEEEENSD_INSE_IiEEEENS6_16discard_iteratorINS6_11use_defaultEEESI_PmS8_NS6_8equal_toIjEEEE10hipError_tPvRmT2_T3_mT4_T5_T6_T7_T8_P12ihipStream_tbENKUlT_T0_E_clISt17integral_constantIbLb0EES16_EEDaS11_S12_EUlS11_E_NS1_11comp_targetILNS1_3genE0ELNS1_11target_archE4294967295ELNS1_3gpuE0ELNS1_3repE0EEENS1_30default_config_static_selectorELNS0_4arch9wavefront6targetE1EEEvT1_.kd
    .uniform_work_group_size: 1
    .uses_dynamic_stack: false
    .vgpr_count:     0
    .vgpr_spill_count: 0
    .wavefront_size: 64
  - .agpr_count:     0
    .args:
      - .offset:         0
        .size:           128
        .value_kind:     by_value
    .group_segment_fixed_size: 0
    .kernarg_segment_align: 8
    .kernarg_segment_size: 128
    .language:       OpenCL C
    .language_version:
      - 2
      - 0
    .max_flat_workgroup_size: 256
    .name:           _ZN7rocprim17ROCPRIM_400000_NS6detail17trampoline_kernelINS0_14default_configENS1_29reduce_by_key_config_selectorIjiN6thrust23THRUST_200600_302600_NS4plusIiEEEEZZNS1_33reduce_by_key_impl_wrapped_configILNS1_25lookback_scan_determinismE0ES3_S9_NS6_6detail15normal_iteratorINS6_10device_ptrIjEEEENSD_INSE_IiEEEENS6_16discard_iteratorINS6_11use_defaultEEESI_PmS8_NS6_8equal_toIjEEEE10hipError_tPvRmT2_T3_mT4_T5_T6_T7_T8_P12ihipStream_tbENKUlT_T0_E_clISt17integral_constantIbLb0EES16_EEDaS11_S12_EUlS11_E_NS1_11comp_targetILNS1_3genE5ELNS1_11target_archE942ELNS1_3gpuE9ELNS1_3repE0EEENS1_30default_config_static_selectorELNS0_4arch9wavefront6targetE1EEEvT1_
    .private_segment_fixed_size: 0
    .sgpr_count:     4
    .sgpr_spill_count: 0
    .symbol:         _ZN7rocprim17ROCPRIM_400000_NS6detail17trampoline_kernelINS0_14default_configENS1_29reduce_by_key_config_selectorIjiN6thrust23THRUST_200600_302600_NS4plusIiEEEEZZNS1_33reduce_by_key_impl_wrapped_configILNS1_25lookback_scan_determinismE0ES3_S9_NS6_6detail15normal_iteratorINS6_10device_ptrIjEEEENSD_INSE_IiEEEENS6_16discard_iteratorINS6_11use_defaultEEESI_PmS8_NS6_8equal_toIjEEEE10hipError_tPvRmT2_T3_mT4_T5_T6_T7_T8_P12ihipStream_tbENKUlT_T0_E_clISt17integral_constantIbLb0EES16_EEDaS11_S12_EUlS11_E_NS1_11comp_targetILNS1_3genE5ELNS1_11target_archE942ELNS1_3gpuE9ELNS1_3repE0EEENS1_30default_config_static_selectorELNS0_4arch9wavefront6targetE1EEEvT1_.kd
    .uniform_work_group_size: 1
    .uses_dynamic_stack: false
    .vgpr_count:     0
    .vgpr_spill_count: 0
    .wavefront_size: 64
  - .agpr_count:     0
    .args:
      - .offset:         0
        .size:           128
        .value_kind:     by_value
    .group_segment_fixed_size: 15360
    .kernarg_segment_align: 8
    .kernarg_segment_size: 128
    .language:       OpenCL C
    .language_version:
      - 2
      - 0
    .max_flat_workgroup_size: 256
    .name:           _ZN7rocprim17ROCPRIM_400000_NS6detail17trampoline_kernelINS0_14default_configENS1_29reduce_by_key_config_selectorIjiN6thrust23THRUST_200600_302600_NS4plusIiEEEEZZNS1_33reduce_by_key_impl_wrapped_configILNS1_25lookback_scan_determinismE0ES3_S9_NS6_6detail15normal_iteratorINS6_10device_ptrIjEEEENSD_INSE_IiEEEENS6_16discard_iteratorINS6_11use_defaultEEESI_PmS8_NS6_8equal_toIjEEEE10hipError_tPvRmT2_T3_mT4_T5_T6_T7_T8_P12ihipStream_tbENKUlT_T0_E_clISt17integral_constantIbLb0EES16_EEDaS11_S12_EUlS11_E_NS1_11comp_targetILNS1_3genE4ELNS1_11target_archE910ELNS1_3gpuE8ELNS1_3repE0EEENS1_30default_config_static_selectorELNS0_4arch9wavefront6targetE1EEEvT1_
    .private_segment_fixed_size: 0
    .sgpr_count:     66
    .sgpr_spill_count: 0
    .symbol:         _ZN7rocprim17ROCPRIM_400000_NS6detail17trampoline_kernelINS0_14default_configENS1_29reduce_by_key_config_selectorIjiN6thrust23THRUST_200600_302600_NS4plusIiEEEEZZNS1_33reduce_by_key_impl_wrapped_configILNS1_25lookback_scan_determinismE0ES3_S9_NS6_6detail15normal_iteratorINS6_10device_ptrIjEEEENSD_INSE_IiEEEENS6_16discard_iteratorINS6_11use_defaultEEESI_PmS8_NS6_8equal_toIjEEEE10hipError_tPvRmT2_T3_mT4_T5_T6_T7_T8_P12ihipStream_tbENKUlT_T0_E_clISt17integral_constantIbLb0EES16_EEDaS11_S12_EUlS11_E_NS1_11comp_targetILNS1_3genE4ELNS1_11target_archE910ELNS1_3gpuE8ELNS1_3repE0EEENS1_30default_config_static_selectorELNS0_4arch9wavefront6targetE1EEEvT1_.kd
    .uniform_work_group_size: 1
    .uses_dynamic_stack: false
    .vgpr_count:     87
    .vgpr_spill_count: 0
    .wavefront_size: 64
  - .agpr_count:     0
    .args:
      - .offset:         0
        .size:           128
        .value_kind:     by_value
    .group_segment_fixed_size: 0
    .kernarg_segment_align: 8
    .kernarg_segment_size: 128
    .language:       OpenCL C
    .language_version:
      - 2
      - 0
    .max_flat_workgroup_size: 256
    .name:           _ZN7rocprim17ROCPRIM_400000_NS6detail17trampoline_kernelINS0_14default_configENS1_29reduce_by_key_config_selectorIjiN6thrust23THRUST_200600_302600_NS4plusIiEEEEZZNS1_33reduce_by_key_impl_wrapped_configILNS1_25lookback_scan_determinismE0ES3_S9_NS6_6detail15normal_iteratorINS6_10device_ptrIjEEEENSD_INSE_IiEEEENS6_16discard_iteratorINS6_11use_defaultEEESI_PmS8_NS6_8equal_toIjEEEE10hipError_tPvRmT2_T3_mT4_T5_T6_T7_T8_P12ihipStream_tbENKUlT_T0_E_clISt17integral_constantIbLb0EES16_EEDaS11_S12_EUlS11_E_NS1_11comp_targetILNS1_3genE3ELNS1_11target_archE908ELNS1_3gpuE7ELNS1_3repE0EEENS1_30default_config_static_selectorELNS0_4arch9wavefront6targetE1EEEvT1_
    .private_segment_fixed_size: 0
    .sgpr_count:     4
    .sgpr_spill_count: 0
    .symbol:         _ZN7rocprim17ROCPRIM_400000_NS6detail17trampoline_kernelINS0_14default_configENS1_29reduce_by_key_config_selectorIjiN6thrust23THRUST_200600_302600_NS4plusIiEEEEZZNS1_33reduce_by_key_impl_wrapped_configILNS1_25lookback_scan_determinismE0ES3_S9_NS6_6detail15normal_iteratorINS6_10device_ptrIjEEEENSD_INSE_IiEEEENS6_16discard_iteratorINS6_11use_defaultEEESI_PmS8_NS6_8equal_toIjEEEE10hipError_tPvRmT2_T3_mT4_T5_T6_T7_T8_P12ihipStream_tbENKUlT_T0_E_clISt17integral_constantIbLb0EES16_EEDaS11_S12_EUlS11_E_NS1_11comp_targetILNS1_3genE3ELNS1_11target_archE908ELNS1_3gpuE7ELNS1_3repE0EEENS1_30default_config_static_selectorELNS0_4arch9wavefront6targetE1EEEvT1_.kd
    .uniform_work_group_size: 1
    .uses_dynamic_stack: false
    .vgpr_count:     0
    .vgpr_spill_count: 0
    .wavefront_size: 64
  - .agpr_count:     0
    .args:
      - .offset:         0
        .size:           128
        .value_kind:     by_value
    .group_segment_fixed_size: 0
    .kernarg_segment_align: 8
    .kernarg_segment_size: 128
    .language:       OpenCL C
    .language_version:
      - 2
      - 0
    .max_flat_workgroup_size: 256
    .name:           _ZN7rocprim17ROCPRIM_400000_NS6detail17trampoline_kernelINS0_14default_configENS1_29reduce_by_key_config_selectorIjiN6thrust23THRUST_200600_302600_NS4plusIiEEEEZZNS1_33reduce_by_key_impl_wrapped_configILNS1_25lookback_scan_determinismE0ES3_S9_NS6_6detail15normal_iteratorINS6_10device_ptrIjEEEENSD_INSE_IiEEEENS6_16discard_iteratorINS6_11use_defaultEEESI_PmS8_NS6_8equal_toIjEEEE10hipError_tPvRmT2_T3_mT4_T5_T6_T7_T8_P12ihipStream_tbENKUlT_T0_E_clISt17integral_constantIbLb0EES16_EEDaS11_S12_EUlS11_E_NS1_11comp_targetILNS1_3genE2ELNS1_11target_archE906ELNS1_3gpuE6ELNS1_3repE0EEENS1_30default_config_static_selectorELNS0_4arch9wavefront6targetE1EEEvT1_
    .private_segment_fixed_size: 0
    .sgpr_count:     4
    .sgpr_spill_count: 0
    .symbol:         _ZN7rocprim17ROCPRIM_400000_NS6detail17trampoline_kernelINS0_14default_configENS1_29reduce_by_key_config_selectorIjiN6thrust23THRUST_200600_302600_NS4plusIiEEEEZZNS1_33reduce_by_key_impl_wrapped_configILNS1_25lookback_scan_determinismE0ES3_S9_NS6_6detail15normal_iteratorINS6_10device_ptrIjEEEENSD_INSE_IiEEEENS6_16discard_iteratorINS6_11use_defaultEEESI_PmS8_NS6_8equal_toIjEEEE10hipError_tPvRmT2_T3_mT4_T5_T6_T7_T8_P12ihipStream_tbENKUlT_T0_E_clISt17integral_constantIbLb0EES16_EEDaS11_S12_EUlS11_E_NS1_11comp_targetILNS1_3genE2ELNS1_11target_archE906ELNS1_3gpuE6ELNS1_3repE0EEENS1_30default_config_static_selectorELNS0_4arch9wavefront6targetE1EEEvT1_.kd
    .uniform_work_group_size: 1
    .uses_dynamic_stack: false
    .vgpr_count:     0
    .vgpr_spill_count: 0
    .wavefront_size: 64
  - .agpr_count:     0
    .args:
      - .offset:         0
        .size:           128
        .value_kind:     by_value
    .group_segment_fixed_size: 0
    .kernarg_segment_align: 8
    .kernarg_segment_size: 128
    .language:       OpenCL C
    .language_version:
      - 2
      - 0
    .max_flat_workgroup_size: 256
    .name:           _ZN7rocprim17ROCPRIM_400000_NS6detail17trampoline_kernelINS0_14default_configENS1_29reduce_by_key_config_selectorIjiN6thrust23THRUST_200600_302600_NS4plusIiEEEEZZNS1_33reduce_by_key_impl_wrapped_configILNS1_25lookback_scan_determinismE0ES3_S9_NS6_6detail15normal_iteratorINS6_10device_ptrIjEEEENSD_INSE_IiEEEENS6_16discard_iteratorINS6_11use_defaultEEESI_PmS8_NS6_8equal_toIjEEEE10hipError_tPvRmT2_T3_mT4_T5_T6_T7_T8_P12ihipStream_tbENKUlT_T0_E_clISt17integral_constantIbLb0EES16_EEDaS11_S12_EUlS11_E_NS1_11comp_targetILNS1_3genE10ELNS1_11target_archE1201ELNS1_3gpuE5ELNS1_3repE0EEENS1_30default_config_static_selectorELNS0_4arch9wavefront6targetE1EEEvT1_
    .private_segment_fixed_size: 0
    .sgpr_count:     4
    .sgpr_spill_count: 0
    .symbol:         _ZN7rocprim17ROCPRIM_400000_NS6detail17trampoline_kernelINS0_14default_configENS1_29reduce_by_key_config_selectorIjiN6thrust23THRUST_200600_302600_NS4plusIiEEEEZZNS1_33reduce_by_key_impl_wrapped_configILNS1_25lookback_scan_determinismE0ES3_S9_NS6_6detail15normal_iteratorINS6_10device_ptrIjEEEENSD_INSE_IiEEEENS6_16discard_iteratorINS6_11use_defaultEEESI_PmS8_NS6_8equal_toIjEEEE10hipError_tPvRmT2_T3_mT4_T5_T6_T7_T8_P12ihipStream_tbENKUlT_T0_E_clISt17integral_constantIbLb0EES16_EEDaS11_S12_EUlS11_E_NS1_11comp_targetILNS1_3genE10ELNS1_11target_archE1201ELNS1_3gpuE5ELNS1_3repE0EEENS1_30default_config_static_selectorELNS0_4arch9wavefront6targetE1EEEvT1_.kd
    .uniform_work_group_size: 1
    .uses_dynamic_stack: false
    .vgpr_count:     0
    .vgpr_spill_count: 0
    .wavefront_size: 64
  - .agpr_count:     0
    .args:
      - .offset:         0
        .size:           128
        .value_kind:     by_value
    .group_segment_fixed_size: 0
    .kernarg_segment_align: 8
    .kernarg_segment_size: 128
    .language:       OpenCL C
    .language_version:
      - 2
      - 0
    .max_flat_workgroup_size: 256
    .name:           _ZN7rocprim17ROCPRIM_400000_NS6detail17trampoline_kernelINS0_14default_configENS1_29reduce_by_key_config_selectorIjiN6thrust23THRUST_200600_302600_NS4plusIiEEEEZZNS1_33reduce_by_key_impl_wrapped_configILNS1_25lookback_scan_determinismE0ES3_S9_NS6_6detail15normal_iteratorINS6_10device_ptrIjEEEENSD_INSE_IiEEEENS6_16discard_iteratorINS6_11use_defaultEEESI_PmS8_NS6_8equal_toIjEEEE10hipError_tPvRmT2_T3_mT4_T5_T6_T7_T8_P12ihipStream_tbENKUlT_T0_E_clISt17integral_constantIbLb0EES16_EEDaS11_S12_EUlS11_E_NS1_11comp_targetILNS1_3genE10ELNS1_11target_archE1200ELNS1_3gpuE4ELNS1_3repE0EEENS1_30default_config_static_selectorELNS0_4arch9wavefront6targetE1EEEvT1_
    .private_segment_fixed_size: 0
    .sgpr_count:     4
    .sgpr_spill_count: 0
    .symbol:         _ZN7rocprim17ROCPRIM_400000_NS6detail17trampoline_kernelINS0_14default_configENS1_29reduce_by_key_config_selectorIjiN6thrust23THRUST_200600_302600_NS4plusIiEEEEZZNS1_33reduce_by_key_impl_wrapped_configILNS1_25lookback_scan_determinismE0ES3_S9_NS6_6detail15normal_iteratorINS6_10device_ptrIjEEEENSD_INSE_IiEEEENS6_16discard_iteratorINS6_11use_defaultEEESI_PmS8_NS6_8equal_toIjEEEE10hipError_tPvRmT2_T3_mT4_T5_T6_T7_T8_P12ihipStream_tbENKUlT_T0_E_clISt17integral_constantIbLb0EES16_EEDaS11_S12_EUlS11_E_NS1_11comp_targetILNS1_3genE10ELNS1_11target_archE1200ELNS1_3gpuE4ELNS1_3repE0EEENS1_30default_config_static_selectorELNS0_4arch9wavefront6targetE1EEEvT1_.kd
    .uniform_work_group_size: 1
    .uses_dynamic_stack: false
    .vgpr_count:     0
    .vgpr_spill_count: 0
    .wavefront_size: 64
  - .agpr_count:     0
    .args:
      - .offset:         0
        .size:           128
        .value_kind:     by_value
    .group_segment_fixed_size: 0
    .kernarg_segment_align: 8
    .kernarg_segment_size: 128
    .language:       OpenCL C
    .language_version:
      - 2
      - 0
    .max_flat_workgroup_size: 256
    .name:           _ZN7rocprim17ROCPRIM_400000_NS6detail17trampoline_kernelINS0_14default_configENS1_29reduce_by_key_config_selectorIjiN6thrust23THRUST_200600_302600_NS4plusIiEEEEZZNS1_33reduce_by_key_impl_wrapped_configILNS1_25lookback_scan_determinismE0ES3_S9_NS6_6detail15normal_iteratorINS6_10device_ptrIjEEEENSD_INSE_IiEEEENS6_16discard_iteratorINS6_11use_defaultEEESI_PmS8_NS6_8equal_toIjEEEE10hipError_tPvRmT2_T3_mT4_T5_T6_T7_T8_P12ihipStream_tbENKUlT_T0_E_clISt17integral_constantIbLb0EES16_EEDaS11_S12_EUlS11_E_NS1_11comp_targetILNS1_3genE9ELNS1_11target_archE1100ELNS1_3gpuE3ELNS1_3repE0EEENS1_30default_config_static_selectorELNS0_4arch9wavefront6targetE1EEEvT1_
    .private_segment_fixed_size: 0
    .sgpr_count:     4
    .sgpr_spill_count: 0
    .symbol:         _ZN7rocprim17ROCPRIM_400000_NS6detail17trampoline_kernelINS0_14default_configENS1_29reduce_by_key_config_selectorIjiN6thrust23THRUST_200600_302600_NS4plusIiEEEEZZNS1_33reduce_by_key_impl_wrapped_configILNS1_25lookback_scan_determinismE0ES3_S9_NS6_6detail15normal_iteratorINS6_10device_ptrIjEEEENSD_INSE_IiEEEENS6_16discard_iteratorINS6_11use_defaultEEESI_PmS8_NS6_8equal_toIjEEEE10hipError_tPvRmT2_T3_mT4_T5_T6_T7_T8_P12ihipStream_tbENKUlT_T0_E_clISt17integral_constantIbLb0EES16_EEDaS11_S12_EUlS11_E_NS1_11comp_targetILNS1_3genE9ELNS1_11target_archE1100ELNS1_3gpuE3ELNS1_3repE0EEENS1_30default_config_static_selectorELNS0_4arch9wavefront6targetE1EEEvT1_.kd
    .uniform_work_group_size: 1
    .uses_dynamic_stack: false
    .vgpr_count:     0
    .vgpr_spill_count: 0
    .wavefront_size: 64
  - .agpr_count:     0
    .args:
      - .offset:         0
        .size:           128
        .value_kind:     by_value
    .group_segment_fixed_size: 0
    .kernarg_segment_align: 8
    .kernarg_segment_size: 128
    .language:       OpenCL C
    .language_version:
      - 2
      - 0
    .max_flat_workgroup_size: 256
    .name:           _ZN7rocprim17ROCPRIM_400000_NS6detail17trampoline_kernelINS0_14default_configENS1_29reduce_by_key_config_selectorIjiN6thrust23THRUST_200600_302600_NS4plusIiEEEEZZNS1_33reduce_by_key_impl_wrapped_configILNS1_25lookback_scan_determinismE0ES3_S9_NS6_6detail15normal_iteratorINS6_10device_ptrIjEEEENSD_INSE_IiEEEENS6_16discard_iteratorINS6_11use_defaultEEESI_PmS8_NS6_8equal_toIjEEEE10hipError_tPvRmT2_T3_mT4_T5_T6_T7_T8_P12ihipStream_tbENKUlT_T0_E_clISt17integral_constantIbLb0EES16_EEDaS11_S12_EUlS11_E_NS1_11comp_targetILNS1_3genE8ELNS1_11target_archE1030ELNS1_3gpuE2ELNS1_3repE0EEENS1_30default_config_static_selectorELNS0_4arch9wavefront6targetE1EEEvT1_
    .private_segment_fixed_size: 0
    .sgpr_count:     4
    .sgpr_spill_count: 0
    .symbol:         _ZN7rocprim17ROCPRIM_400000_NS6detail17trampoline_kernelINS0_14default_configENS1_29reduce_by_key_config_selectorIjiN6thrust23THRUST_200600_302600_NS4plusIiEEEEZZNS1_33reduce_by_key_impl_wrapped_configILNS1_25lookback_scan_determinismE0ES3_S9_NS6_6detail15normal_iteratorINS6_10device_ptrIjEEEENSD_INSE_IiEEEENS6_16discard_iteratorINS6_11use_defaultEEESI_PmS8_NS6_8equal_toIjEEEE10hipError_tPvRmT2_T3_mT4_T5_T6_T7_T8_P12ihipStream_tbENKUlT_T0_E_clISt17integral_constantIbLb0EES16_EEDaS11_S12_EUlS11_E_NS1_11comp_targetILNS1_3genE8ELNS1_11target_archE1030ELNS1_3gpuE2ELNS1_3repE0EEENS1_30default_config_static_selectorELNS0_4arch9wavefront6targetE1EEEvT1_.kd
    .uniform_work_group_size: 1
    .uses_dynamic_stack: false
    .vgpr_count:     0
    .vgpr_spill_count: 0
    .wavefront_size: 64
  - .agpr_count:     0
    .args:
      - .offset:         0
        .size:           128
        .value_kind:     by_value
    .group_segment_fixed_size: 0
    .kernarg_segment_align: 8
    .kernarg_segment_size: 128
    .language:       OpenCL C
    .language_version:
      - 2
      - 0
    .max_flat_workgroup_size: 256
    .name:           _ZN7rocprim17ROCPRIM_400000_NS6detail17trampoline_kernelINS0_14default_configENS1_29reduce_by_key_config_selectorIjiN6thrust23THRUST_200600_302600_NS4plusIiEEEEZZNS1_33reduce_by_key_impl_wrapped_configILNS1_25lookback_scan_determinismE0ES3_S9_NS6_6detail15normal_iteratorINS6_10device_ptrIjEEEENSD_INSE_IiEEEENS6_16discard_iteratorINS6_11use_defaultEEESI_PmS8_NS6_8equal_toIjEEEE10hipError_tPvRmT2_T3_mT4_T5_T6_T7_T8_P12ihipStream_tbENKUlT_T0_E_clISt17integral_constantIbLb1EES16_EEDaS11_S12_EUlS11_E_NS1_11comp_targetILNS1_3genE0ELNS1_11target_archE4294967295ELNS1_3gpuE0ELNS1_3repE0EEENS1_30default_config_static_selectorELNS0_4arch9wavefront6targetE1EEEvT1_
    .private_segment_fixed_size: 0
    .sgpr_count:     4
    .sgpr_spill_count: 0
    .symbol:         _ZN7rocprim17ROCPRIM_400000_NS6detail17trampoline_kernelINS0_14default_configENS1_29reduce_by_key_config_selectorIjiN6thrust23THRUST_200600_302600_NS4plusIiEEEEZZNS1_33reduce_by_key_impl_wrapped_configILNS1_25lookback_scan_determinismE0ES3_S9_NS6_6detail15normal_iteratorINS6_10device_ptrIjEEEENSD_INSE_IiEEEENS6_16discard_iteratorINS6_11use_defaultEEESI_PmS8_NS6_8equal_toIjEEEE10hipError_tPvRmT2_T3_mT4_T5_T6_T7_T8_P12ihipStream_tbENKUlT_T0_E_clISt17integral_constantIbLb1EES16_EEDaS11_S12_EUlS11_E_NS1_11comp_targetILNS1_3genE0ELNS1_11target_archE4294967295ELNS1_3gpuE0ELNS1_3repE0EEENS1_30default_config_static_selectorELNS0_4arch9wavefront6targetE1EEEvT1_.kd
    .uniform_work_group_size: 1
    .uses_dynamic_stack: false
    .vgpr_count:     0
    .vgpr_spill_count: 0
    .wavefront_size: 64
  - .agpr_count:     0
    .args:
      - .offset:         0
        .size:           128
        .value_kind:     by_value
    .group_segment_fixed_size: 0
    .kernarg_segment_align: 8
    .kernarg_segment_size: 128
    .language:       OpenCL C
    .language_version:
      - 2
      - 0
    .max_flat_workgroup_size: 256
    .name:           _ZN7rocprim17ROCPRIM_400000_NS6detail17trampoline_kernelINS0_14default_configENS1_29reduce_by_key_config_selectorIjiN6thrust23THRUST_200600_302600_NS4plusIiEEEEZZNS1_33reduce_by_key_impl_wrapped_configILNS1_25lookback_scan_determinismE0ES3_S9_NS6_6detail15normal_iteratorINS6_10device_ptrIjEEEENSD_INSE_IiEEEENS6_16discard_iteratorINS6_11use_defaultEEESI_PmS8_NS6_8equal_toIjEEEE10hipError_tPvRmT2_T3_mT4_T5_T6_T7_T8_P12ihipStream_tbENKUlT_T0_E_clISt17integral_constantIbLb1EES16_EEDaS11_S12_EUlS11_E_NS1_11comp_targetILNS1_3genE5ELNS1_11target_archE942ELNS1_3gpuE9ELNS1_3repE0EEENS1_30default_config_static_selectorELNS0_4arch9wavefront6targetE1EEEvT1_
    .private_segment_fixed_size: 0
    .sgpr_count:     4
    .sgpr_spill_count: 0
    .symbol:         _ZN7rocprim17ROCPRIM_400000_NS6detail17trampoline_kernelINS0_14default_configENS1_29reduce_by_key_config_selectorIjiN6thrust23THRUST_200600_302600_NS4plusIiEEEEZZNS1_33reduce_by_key_impl_wrapped_configILNS1_25lookback_scan_determinismE0ES3_S9_NS6_6detail15normal_iteratorINS6_10device_ptrIjEEEENSD_INSE_IiEEEENS6_16discard_iteratorINS6_11use_defaultEEESI_PmS8_NS6_8equal_toIjEEEE10hipError_tPvRmT2_T3_mT4_T5_T6_T7_T8_P12ihipStream_tbENKUlT_T0_E_clISt17integral_constantIbLb1EES16_EEDaS11_S12_EUlS11_E_NS1_11comp_targetILNS1_3genE5ELNS1_11target_archE942ELNS1_3gpuE9ELNS1_3repE0EEENS1_30default_config_static_selectorELNS0_4arch9wavefront6targetE1EEEvT1_.kd
    .uniform_work_group_size: 1
    .uses_dynamic_stack: false
    .vgpr_count:     0
    .vgpr_spill_count: 0
    .wavefront_size: 64
  - .agpr_count:     0
    .args:
      - .offset:         0
        .size:           128
        .value_kind:     by_value
    .group_segment_fixed_size: 15360
    .kernarg_segment_align: 8
    .kernarg_segment_size: 128
    .language:       OpenCL C
    .language_version:
      - 2
      - 0
    .max_flat_workgroup_size: 256
    .name:           _ZN7rocprim17ROCPRIM_400000_NS6detail17trampoline_kernelINS0_14default_configENS1_29reduce_by_key_config_selectorIjiN6thrust23THRUST_200600_302600_NS4plusIiEEEEZZNS1_33reduce_by_key_impl_wrapped_configILNS1_25lookback_scan_determinismE0ES3_S9_NS6_6detail15normal_iteratorINS6_10device_ptrIjEEEENSD_INSE_IiEEEENS6_16discard_iteratorINS6_11use_defaultEEESI_PmS8_NS6_8equal_toIjEEEE10hipError_tPvRmT2_T3_mT4_T5_T6_T7_T8_P12ihipStream_tbENKUlT_T0_E_clISt17integral_constantIbLb1EES16_EEDaS11_S12_EUlS11_E_NS1_11comp_targetILNS1_3genE4ELNS1_11target_archE910ELNS1_3gpuE8ELNS1_3repE0EEENS1_30default_config_static_selectorELNS0_4arch9wavefront6targetE1EEEvT1_
    .private_segment_fixed_size: 0
    .sgpr_count:     68
    .sgpr_spill_count: 0
    .symbol:         _ZN7rocprim17ROCPRIM_400000_NS6detail17trampoline_kernelINS0_14default_configENS1_29reduce_by_key_config_selectorIjiN6thrust23THRUST_200600_302600_NS4plusIiEEEEZZNS1_33reduce_by_key_impl_wrapped_configILNS1_25lookback_scan_determinismE0ES3_S9_NS6_6detail15normal_iteratorINS6_10device_ptrIjEEEENSD_INSE_IiEEEENS6_16discard_iteratorINS6_11use_defaultEEESI_PmS8_NS6_8equal_toIjEEEE10hipError_tPvRmT2_T3_mT4_T5_T6_T7_T8_P12ihipStream_tbENKUlT_T0_E_clISt17integral_constantIbLb1EES16_EEDaS11_S12_EUlS11_E_NS1_11comp_targetILNS1_3genE4ELNS1_11target_archE910ELNS1_3gpuE8ELNS1_3repE0EEENS1_30default_config_static_selectorELNS0_4arch9wavefront6targetE1EEEvT1_.kd
    .uniform_work_group_size: 1
    .uses_dynamic_stack: false
    .vgpr_count:     87
    .vgpr_spill_count: 0
    .wavefront_size: 64
  - .agpr_count:     0
    .args:
      - .offset:         0
        .size:           128
        .value_kind:     by_value
    .group_segment_fixed_size: 0
    .kernarg_segment_align: 8
    .kernarg_segment_size: 128
    .language:       OpenCL C
    .language_version:
      - 2
      - 0
    .max_flat_workgroup_size: 256
    .name:           _ZN7rocprim17ROCPRIM_400000_NS6detail17trampoline_kernelINS0_14default_configENS1_29reduce_by_key_config_selectorIjiN6thrust23THRUST_200600_302600_NS4plusIiEEEEZZNS1_33reduce_by_key_impl_wrapped_configILNS1_25lookback_scan_determinismE0ES3_S9_NS6_6detail15normal_iteratorINS6_10device_ptrIjEEEENSD_INSE_IiEEEENS6_16discard_iteratorINS6_11use_defaultEEESI_PmS8_NS6_8equal_toIjEEEE10hipError_tPvRmT2_T3_mT4_T5_T6_T7_T8_P12ihipStream_tbENKUlT_T0_E_clISt17integral_constantIbLb1EES16_EEDaS11_S12_EUlS11_E_NS1_11comp_targetILNS1_3genE3ELNS1_11target_archE908ELNS1_3gpuE7ELNS1_3repE0EEENS1_30default_config_static_selectorELNS0_4arch9wavefront6targetE1EEEvT1_
    .private_segment_fixed_size: 0
    .sgpr_count:     4
    .sgpr_spill_count: 0
    .symbol:         _ZN7rocprim17ROCPRIM_400000_NS6detail17trampoline_kernelINS0_14default_configENS1_29reduce_by_key_config_selectorIjiN6thrust23THRUST_200600_302600_NS4plusIiEEEEZZNS1_33reduce_by_key_impl_wrapped_configILNS1_25lookback_scan_determinismE0ES3_S9_NS6_6detail15normal_iteratorINS6_10device_ptrIjEEEENSD_INSE_IiEEEENS6_16discard_iteratorINS6_11use_defaultEEESI_PmS8_NS6_8equal_toIjEEEE10hipError_tPvRmT2_T3_mT4_T5_T6_T7_T8_P12ihipStream_tbENKUlT_T0_E_clISt17integral_constantIbLb1EES16_EEDaS11_S12_EUlS11_E_NS1_11comp_targetILNS1_3genE3ELNS1_11target_archE908ELNS1_3gpuE7ELNS1_3repE0EEENS1_30default_config_static_selectorELNS0_4arch9wavefront6targetE1EEEvT1_.kd
    .uniform_work_group_size: 1
    .uses_dynamic_stack: false
    .vgpr_count:     0
    .vgpr_spill_count: 0
    .wavefront_size: 64
  - .agpr_count:     0
    .args:
      - .offset:         0
        .size:           128
        .value_kind:     by_value
    .group_segment_fixed_size: 0
    .kernarg_segment_align: 8
    .kernarg_segment_size: 128
    .language:       OpenCL C
    .language_version:
      - 2
      - 0
    .max_flat_workgroup_size: 256
    .name:           _ZN7rocprim17ROCPRIM_400000_NS6detail17trampoline_kernelINS0_14default_configENS1_29reduce_by_key_config_selectorIjiN6thrust23THRUST_200600_302600_NS4plusIiEEEEZZNS1_33reduce_by_key_impl_wrapped_configILNS1_25lookback_scan_determinismE0ES3_S9_NS6_6detail15normal_iteratorINS6_10device_ptrIjEEEENSD_INSE_IiEEEENS6_16discard_iteratorINS6_11use_defaultEEESI_PmS8_NS6_8equal_toIjEEEE10hipError_tPvRmT2_T3_mT4_T5_T6_T7_T8_P12ihipStream_tbENKUlT_T0_E_clISt17integral_constantIbLb1EES16_EEDaS11_S12_EUlS11_E_NS1_11comp_targetILNS1_3genE2ELNS1_11target_archE906ELNS1_3gpuE6ELNS1_3repE0EEENS1_30default_config_static_selectorELNS0_4arch9wavefront6targetE1EEEvT1_
    .private_segment_fixed_size: 0
    .sgpr_count:     4
    .sgpr_spill_count: 0
    .symbol:         _ZN7rocprim17ROCPRIM_400000_NS6detail17trampoline_kernelINS0_14default_configENS1_29reduce_by_key_config_selectorIjiN6thrust23THRUST_200600_302600_NS4plusIiEEEEZZNS1_33reduce_by_key_impl_wrapped_configILNS1_25lookback_scan_determinismE0ES3_S9_NS6_6detail15normal_iteratorINS6_10device_ptrIjEEEENSD_INSE_IiEEEENS6_16discard_iteratorINS6_11use_defaultEEESI_PmS8_NS6_8equal_toIjEEEE10hipError_tPvRmT2_T3_mT4_T5_T6_T7_T8_P12ihipStream_tbENKUlT_T0_E_clISt17integral_constantIbLb1EES16_EEDaS11_S12_EUlS11_E_NS1_11comp_targetILNS1_3genE2ELNS1_11target_archE906ELNS1_3gpuE6ELNS1_3repE0EEENS1_30default_config_static_selectorELNS0_4arch9wavefront6targetE1EEEvT1_.kd
    .uniform_work_group_size: 1
    .uses_dynamic_stack: false
    .vgpr_count:     0
    .vgpr_spill_count: 0
    .wavefront_size: 64
  - .agpr_count:     0
    .args:
      - .offset:         0
        .size:           128
        .value_kind:     by_value
    .group_segment_fixed_size: 0
    .kernarg_segment_align: 8
    .kernarg_segment_size: 128
    .language:       OpenCL C
    .language_version:
      - 2
      - 0
    .max_flat_workgroup_size: 256
    .name:           _ZN7rocprim17ROCPRIM_400000_NS6detail17trampoline_kernelINS0_14default_configENS1_29reduce_by_key_config_selectorIjiN6thrust23THRUST_200600_302600_NS4plusIiEEEEZZNS1_33reduce_by_key_impl_wrapped_configILNS1_25lookback_scan_determinismE0ES3_S9_NS6_6detail15normal_iteratorINS6_10device_ptrIjEEEENSD_INSE_IiEEEENS6_16discard_iteratorINS6_11use_defaultEEESI_PmS8_NS6_8equal_toIjEEEE10hipError_tPvRmT2_T3_mT4_T5_T6_T7_T8_P12ihipStream_tbENKUlT_T0_E_clISt17integral_constantIbLb1EES16_EEDaS11_S12_EUlS11_E_NS1_11comp_targetILNS1_3genE10ELNS1_11target_archE1201ELNS1_3gpuE5ELNS1_3repE0EEENS1_30default_config_static_selectorELNS0_4arch9wavefront6targetE1EEEvT1_
    .private_segment_fixed_size: 0
    .sgpr_count:     4
    .sgpr_spill_count: 0
    .symbol:         _ZN7rocprim17ROCPRIM_400000_NS6detail17trampoline_kernelINS0_14default_configENS1_29reduce_by_key_config_selectorIjiN6thrust23THRUST_200600_302600_NS4plusIiEEEEZZNS1_33reduce_by_key_impl_wrapped_configILNS1_25lookback_scan_determinismE0ES3_S9_NS6_6detail15normal_iteratorINS6_10device_ptrIjEEEENSD_INSE_IiEEEENS6_16discard_iteratorINS6_11use_defaultEEESI_PmS8_NS6_8equal_toIjEEEE10hipError_tPvRmT2_T3_mT4_T5_T6_T7_T8_P12ihipStream_tbENKUlT_T0_E_clISt17integral_constantIbLb1EES16_EEDaS11_S12_EUlS11_E_NS1_11comp_targetILNS1_3genE10ELNS1_11target_archE1201ELNS1_3gpuE5ELNS1_3repE0EEENS1_30default_config_static_selectorELNS0_4arch9wavefront6targetE1EEEvT1_.kd
    .uniform_work_group_size: 1
    .uses_dynamic_stack: false
    .vgpr_count:     0
    .vgpr_spill_count: 0
    .wavefront_size: 64
  - .agpr_count:     0
    .args:
      - .offset:         0
        .size:           128
        .value_kind:     by_value
    .group_segment_fixed_size: 0
    .kernarg_segment_align: 8
    .kernarg_segment_size: 128
    .language:       OpenCL C
    .language_version:
      - 2
      - 0
    .max_flat_workgroup_size: 256
    .name:           _ZN7rocprim17ROCPRIM_400000_NS6detail17trampoline_kernelINS0_14default_configENS1_29reduce_by_key_config_selectorIjiN6thrust23THRUST_200600_302600_NS4plusIiEEEEZZNS1_33reduce_by_key_impl_wrapped_configILNS1_25lookback_scan_determinismE0ES3_S9_NS6_6detail15normal_iteratorINS6_10device_ptrIjEEEENSD_INSE_IiEEEENS6_16discard_iteratorINS6_11use_defaultEEESI_PmS8_NS6_8equal_toIjEEEE10hipError_tPvRmT2_T3_mT4_T5_T6_T7_T8_P12ihipStream_tbENKUlT_T0_E_clISt17integral_constantIbLb1EES16_EEDaS11_S12_EUlS11_E_NS1_11comp_targetILNS1_3genE10ELNS1_11target_archE1200ELNS1_3gpuE4ELNS1_3repE0EEENS1_30default_config_static_selectorELNS0_4arch9wavefront6targetE1EEEvT1_
    .private_segment_fixed_size: 0
    .sgpr_count:     4
    .sgpr_spill_count: 0
    .symbol:         _ZN7rocprim17ROCPRIM_400000_NS6detail17trampoline_kernelINS0_14default_configENS1_29reduce_by_key_config_selectorIjiN6thrust23THRUST_200600_302600_NS4plusIiEEEEZZNS1_33reduce_by_key_impl_wrapped_configILNS1_25lookback_scan_determinismE0ES3_S9_NS6_6detail15normal_iteratorINS6_10device_ptrIjEEEENSD_INSE_IiEEEENS6_16discard_iteratorINS6_11use_defaultEEESI_PmS8_NS6_8equal_toIjEEEE10hipError_tPvRmT2_T3_mT4_T5_T6_T7_T8_P12ihipStream_tbENKUlT_T0_E_clISt17integral_constantIbLb1EES16_EEDaS11_S12_EUlS11_E_NS1_11comp_targetILNS1_3genE10ELNS1_11target_archE1200ELNS1_3gpuE4ELNS1_3repE0EEENS1_30default_config_static_selectorELNS0_4arch9wavefront6targetE1EEEvT1_.kd
    .uniform_work_group_size: 1
    .uses_dynamic_stack: false
    .vgpr_count:     0
    .vgpr_spill_count: 0
    .wavefront_size: 64
  - .agpr_count:     0
    .args:
      - .offset:         0
        .size:           128
        .value_kind:     by_value
    .group_segment_fixed_size: 0
    .kernarg_segment_align: 8
    .kernarg_segment_size: 128
    .language:       OpenCL C
    .language_version:
      - 2
      - 0
    .max_flat_workgroup_size: 256
    .name:           _ZN7rocprim17ROCPRIM_400000_NS6detail17trampoline_kernelINS0_14default_configENS1_29reduce_by_key_config_selectorIjiN6thrust23THRUST_200600_302600_NS4plusIiEEEEZZNS1_33reduce_by_key_impl_wrapped_configILNS1_25lookback_scan_determinismE0ES3_S9_NS6_6detail15normal_iteratorINS6_10device_ptrIjEEEENSD_INSE_IiEEEENS6_16discard_iteratorINS6_11use_defaultEEESI_PmS8_NS6_8equal_toIjEEEE10hipError_tPvRmT2_T3_mT4_T5_T6_T7_T8_P12ihipStream_tbENKUlT_T0_E_clISt17integral_constantIbLb1EES16_EEDaS11_S12_EUlS11_E_NS1_11comp_targetILNS1_3genE9ELNS1_11target_archE1100ELNS1_3gpuE3ELNS1_3repE0EEENS1_30default_config_static_selectorELNS0_4arch9wavefront6targetE1EEEvT1_
    .private_segment_fixed_size: 0
    .sgpr_count:     4
    .sgpr_spill_count: 0
    .symbol:         _ZN7rocprim17ROCPRIM_400000_NS6detail17trampoline_kernelINS0_14default_configENS1_29reduce_by_key_config_selectorIjiN6thrust23THRUST_200600_302600_NS4plusIiEEEEZZNS1_33reduce_by_key_impl_wrapped_configILNS1_25lookback_scan_determinismE0ES3_S9_NS6_6detail15normal_iteratorINS6_10device_ptrIjEEEENSD_INSE_IiEEEENS6_16discard_iteratorINS6_11use_defaultEEESI_PmS8_NS6_8equal_toIjEEEE10hipError_tPvRmT2_T3_mT4_T5_T6_T7_T8_P12ihipStream_tbENKUlT_T0_E_clISt17integral_constantIbLb1EES16_EEDaS11_S12_EUlS11_E_NS1_11comp_targetILNS1_3genE9ELNS1_11target_archE1100ELNS1_3gpuE3ELNS1_3repE0EEENS1_30default_config_static_selectorELNS0_4arch9wavefront6targetE1EEEvT1_.kd
    .uniform_work_group_size: 1
    .uses_dynamic_stack: false
    .vgpr_count:     0
    .vgpr_spill_count: 0
    .wavefront_size: 64
  - .agpr_count:     0
    .args:
      - .offset:         0
        .size:           128
        .value_kind:     by_value
    .group_segment_fixed_size: 0
    .kernarg_segment_align: 8
    .kernarg_segment_size: 128
    .language:       OpenCL C
    .language_version:
      - 2
      - 0
    .max_flat_workgroup_size: 256
    .name:           _ZN7rocprim17ROCPRIM_400000_NS6detail17trampoline_kernelINS0_14default_configENS1_29reduce_by_key_config_selectorIjiN6thrust23THRUST_200600_302600_NS4plusIiEEEEZZNS1_33reduce_by_key_impl_wrapped_configILNS1_25lookback_scan_determinismE0ES3_S9_NS6_6detail15normal_iteratorINS6_10device_ptrIjEEEENSD_INSE_IiEEEENS6_16discard_iteratorINS6_11use_defaultEEESI_PmS8_NS6_8equal_toIjEEEE10hipError_tPvRmT2_T3_mT4_T5_T6_T7_T8_P12ihipStream_tbENKUlT_T0_E_clISt17integral_constantIbLb1EES16_EEDaS11_S12_EUlS11_E_NS1_11comp_targetILNS1_3genE8ELNS1_11target_archE1030ELNS1_3gpuE2ELNS1_3repE0EEENS1_30default_config_static_selectorELNS0_4arch9wavefront6targetE1EEEvT1_
    .private_segment_fixed_size: 0
    .sgpr_count:     4
    .sgpr_spill_count: 0
    .symbol:         _ZN7rocprim17ROCPRIM_400000_NS6detail17trampoline_kernelINS0_14default_configENS1_29reduce_by_key_config_selectorIjiN6thrust23THRUST_200600_302600_NS4plusIiEEEEZZNS1_33reduce_by_key_impl_wrapped_configILNS1_25lookback_scan_determinismE0ES3_S9_NS6_6detail15normal_iteratorINS6_10device_ptrIjEEEENSD_INSE_IiEEEENS6_16discard_iteratorINS6_11use_defaultEEESI_PmS8_NS6_8equal_toIjEEEE10hipError_tPvRmT2_T3_mT4_T5_T6_T7_T8_P12ihipStream_tbENKUlT_T0_E_clISt17integral_constantIbLb1EES16_EEDaS11_S12_EUlS11_E_NS1_11comp_targetILNS1_3genE8ELNS1_11target_archE1030ELNS1_3gpuE2ELNS1_3repE0EEENS1_30default_config_static_selectorELNS0_4arch9wavefront6targetE1EEEvT1_.kd
    .uniform_work_group_size: 1
    .uses_dynamic_stack: false
    .vgpr_count:     0
    .vgpr_spill_count: 0
    .wavefront_size: 64
  - .agpr_count:     0
    .args:
      - .offset:         0
        .size:           128
        .value_kind:     by_value
    .group_segment_fixed_size: 0
    .kernarg_segment_align: 8
    .kernarg_segment_size: 128
    .language:       OpenCL C
    .language_version:
      - 2
      - 0
    .max_flat_workgroup_size: 256
    .name:           _ZN7rocprim17ROCPRIM_400000_NS6detail17trampoline_kernelINS0_14default_configENS1_29reduce_by_key_config_selectorIjiN6thrust23THRUST_200600_302600_NS4plusIiEEEEZZNS1_33reduce_by_key_impl_wrapped_configILNS1_25lookback_scan_determinismE0ES3_S9_NS6_6detail15normal_iteratorINS6_10device_ptrIjEEEENSD_INSE_IiEEEENS6_16discard_iteratorINS6_11use_defaultEEESI_PmS8_NS6_8equal_toIjEEEE10hipError_tPvRmT2_T3_mT4_T5_T6_T7_T8_P12ihipStream_tbENKUlT_T0_E_clISt17integral_constantIbLb1EES15_IbLb0EEEEDaS11_S12_EUlS11_E_NS1_11comp_targetILNS1_3genE0ELNS1_11target_archE4294967295ELNS1_3gpuE0ELNS1_3repE0EEENS1_30default_config_static_selectorELNS0_4arch9wavefront6targetE1EEEvT1_
    .private_segment_fixed_size: 0
    .sgpr_count:     4
    .sgpr_spill_count: 0
    .symbol:         _ZN7rocprim17ROCPRIM_400000_NS6detail17trampoline_kernelINS0_14default_configENS1_29reduce_by_key_config_selectorIjiN6thrust23THRUST_200600_302600_NS4plusIiEEEEZZNS1_33reduce_by_key_impl_wrapped_configILNS1_25lookback_scan_determinismE0ES3_S9_NS6_6detail15normal_iteratorINS6_10device_ptrIjEEEENSD_INSE_IiEEEENS6_16discard_iteratorINS6_11use_defaultEEESI_PmS8_NS6_8equal_toIjEEEE10hipError_tPvRmT2_T3_mT4_T5_T6_T7_T8_P12ihipStream_tbENKUlT_T0_E_clISt17integral_constantIbLb1EES15_IbLb0EEEEDaS11_S12_EUlS11_E_NS1_11comp_targetILNS1_3genE0ELNS1_11target_archE4294967295ELNS1_3gpuE0ELNS1_3repE0EEENS1_30default_config_static_selectorELNS0_4arch9wavefront6targetE1EEEvT1_.kd
    .uniform_work_group_size: 1
    .uses_dynamic_stack: false
    .vgpr_count:     0
    .vgpr_spill_count: 0
    .wavefront_size: 64
  - .agpr_count:     0
    .args:
      - .offset:         0
        .size:           128
        .value_kind:     by_value
    .group_segment_fixed_size: 0
    .kernarg_segment_align: 8
    .kernarg_segment_size: 128
    .language:       OpenCL C
    .language_version:
      - 2
      - 0
    .max_flat_workgroup_size: 256
    .name:           _ZN7rocprim17ROCPRIM_400000_NS6detail17trampoline_kernelINS0_14default_configENS1_29reduce_by_key_config_selectorIjiN6thrust23THRUST_200600_302600_NS4plusIiEEEEZZNS1_33reduce_by_key_impl_wrapped_configILNS1_25lookback_scan_determinismE0ES3_S9_NS6_6detail15normal_iteratorINS6_10device_ptrIjEEEENSD_INSE_IiEEEENS6_16discard_iteratorINS6_11use_defaultEEESI_PmS8_NS6_8equal_toIjEEEE10hipError_tPvRmT2_T3_mT4_T5_T6_T7_T8_P12ihipStream_tbENKUlT_T0_E_clISt17integral_constantIbLb1EES15_IbLb0EEEEDaS11_S12_EUlS11_E_NS1_11comp_targetILNS1_3genE5ELNS1_11target_archE942ELNS1_3gpuE9ELNS1_3repE0EEENS1_30default_config_static_selectorELNS0_4arch9wavefront6targetE1EEEvT1_
    .private_segment_fixed_size: 0
    .sgpr_count:     4
    .sgpr_spill_count: 0
    .symbol:         _ZN7rocprim17ROCPRIM_400000_NS6detail17trampoline_kernelINS0_14default_configENS1_29reduce_by_key_config_selectorIjiN6thrust23THRUST_200600_302600_NS4plusIiEEEEZZNS1_33reduce_by_key_impl_wrapped_configILNS1_25lookback_scan_determinismE0ES3_S9_NS6_6detail15normal_iteratorINS6_10device_ptrIjEEEENSD_INSE_IiEEEENS6_16discard_iteratorINS6_11use_defaultEEESI_PmS8_NS6_8equal_toIjEEEE10hipError_tPvRmT2_T3_mT4_T5_T6_T7_T8_P12ihipStream_tbENKUlT_T0_E_clISt17integral_constantIbLb1EES15_IbLb0EEEEDaS11_S12_EUlS11_E_NS1_11comp_targetILNS1_3genE5ELNS1_11target_archE942ELNS1_3gpuE9ELNS1_3repE0EEENS1_30default_config_static_selectorELNS0_4arch9wavefront6targetE1EEEvT1_.kd
    .uniform_work_group_size: 1
    .uses_dynamic_stack: false
    .vgpr_count:     0
    .vgpr_spill_count: 0
    .wavefront_size: 64
  - .agpr_count:     0
    .args:
      - .offset:         0
        .size:           128
        .value_kind:     by_value
    .group_segment_fixed_size: 15360
    .kernarg_segment_align: 8
    .kernarg_segment_size: 128
    .language:       OpenCL C
    .language_version:
      - 2
      - 0
    .max_flat_workgroup_size: 256
    .name:           _ZN7rocprim17ROCPRIM_400000_NS6detail17trampoline_kernelINS0_14default_configENS1_29reduce_by_key_config_selectorIjiN6thrust23THRUST_200600_302600_NS4plusIiEEEEZZNS1_33reduce_by_key_impl_wrapped_configILNS1_25lookback_scan_determinismE0ES3_S9_NS6_6detail15normal_iteratorINS6_10device_ptrIjEEEENSD_INSE_IiEEEENS6_16discard_iteratorINS6_11use_defaultEEESI_PmS8_NS6_8equal_toIjEEEE10hipError_tPvRmT2_T3_mT4_T5_T6_T7_T8_P12ihipStream_tbENKUlT_T0_E_clISt17integral_constantIbLb1EES15_IbLb0EEEEDaS11_S12_EUlS11_E_NS1_11comp_targetILNS1_3genE4ELNS1_11target_archE910ELNS1_3gpuE8ELNS1_3repE0EEENS1_30default_config_static_selectorELNS0_4arch9wavefront6targetE1EEEvT1_
    .private_segment_fixed_size: 0
    .sgpr_count:     66
    .sgpr_spill_count: 0
    .symbol:         _ZN7rocprim17ROCPRIM_400000_NS6detail17trampoline_kernelINS0_14default_configENS1_29reduce_by_key_config_selectorIjiN6thrust23THRUST_200600_302600_NS4plusIiEEEEZZNS1_33reduce_by_key_impl_wrapped_configILNS1_25lookback_scan_determinismE0ES3_S9_NS6_6detail15normal_iteratorINS6_10device_ptrIjEEEENSD_INSE_IiEEEENS6_16discard_iteratorINS6_11use_defaultEEESI_PmS8_NS6_8equal_toIjEEEE10hipError_tPvRmT2_T3_mT4_T5_T6_T7_T8_P12ihipStream_tbENKUlT_T0_E_clISt17integral_constantIbLb1EES15_IbLb0EEEEDaS11_S12_EUlS11_E_NS1_11comp_targetILNS1_3genE4ELNS1_11target_archE910ELNS1_3gpuE8ELNS1_3repE0EEENS1_30default_config_static_selectorELNS0_4arch9wavefront6targetE1EEEvT1_.kd
    .uniform_work_group_size: 1
    .uses_dynamic_stack: false
    .vgpr_count:     87
    .vgpr_spill_count: 0
    .wavefront_size: 64
  - .agpr_count:     0
    .args:
      - .offset:         0
        .size:           128
        .value_kind:     by_value
    .group_segment_fixed_size: 0
    .kernarg_segment_align: 8
    .kernarg_segment_size: 128
    .language:       OpenCL C
    .language_version:
      - 2
      - 0
    .max_flat_workgroup_size: 256
    .name:           _ZN7rocprim17ROCPRIM_400000_NS6detail17trampoline_kernelINS0_14default_configENS1_29reduce_by_key_config_selectorIjiN6thrust23THRUST_200600_302600_NS4plusIiEEEEZZNS1_33reduce_by_key_impl_wrapped_configILNS1_25lookback_scan_determinismE0ES3_S9_NS6_6detail15normal_iteratorINS6_10device_ptrIjEEEENSD_INSE_IiEEEENS6_16discard_iteratorINS6_11use_defaultEEESI_PmS8_NS6_8equal_toIjEEEE10hipError_tPvRmT2_T3_mT4_T5_T6_T7_T8_P12ihipStream_tbENKUlT_T0_E_clISt17integral_constantIbLb1EES15_IbLb0EEEEDaS11_S12_EUlS11_E_NS1_11comp_targetILNS1_3genE3ELNS1_11target_archE908ELNS1_3gpuE7ELNS1_3repE0EEENS1_30default_config_static_selectorELNS0_4arch9wavefront6targetE1EEEvT1_
    .private_segment_fixed_size: 0
    .sgpr_count:     4
    .sgpr_spill_count: 0
    .symbol:         _ZN7rocprim17ROCPRIM_400000_NS6detail17trampoline_kernelINS0_14default_configENS1_29reduce_by_key_config_selectorIjiN6thrust23THRUST_200600_302600_NS4plusIiEEEEZZNS1_33reduce_by_key_impl_wrapped_configILNS1_25lookback_scan_determinismE0ES3_S9_NS6_6detail15normal_iteratorINS6_10device_ptrIjEEEENSD_INSE_IiEEEENS6_16discard_iteratorINS6_11use_defaultEEESI_PmS8_NS6_8equal_toIjEEEE10hipError_tPvRmT2_T3_mT4_T5_T6_T7_T8_P12ihipStream_tbENKUlT_T0_E_clISt17integral_constantIbLb1EES15_IbLb0EEEEDaS11_S12_EUlS11_E_NS1_11comp_targetILNS1_3genE3ELNS1_11target_archE908ELNS1_3gpuE7ELNS1_3repE0EEENS1_30default_config_static_selectorELNS0_4arch9wavefront6targetE1EEEvT1_.kd
    .uniform_work_group_size: 1
    .uses_dynamic_stack: false
    .vgpr_count:     0
    .vgpr_spill_count: 0
    .wavefront_size: 64
  - .agpr_count:     0
    .args:
      - .offset:         0
        .size:           128
        .value_kind:     by_value
    .group_segment_fixed_size: 0
    .kernarg_segment_align: 8
    .kernarg_segment_size: 128
    .language:       OpenCL C
    .language_version:
      - 2
      - 0
    .max_flat_workgroup_size: 256
    .name:           _ZN7rocprim17ROCPRIM_400000_NS6detail17trampoline_kernelINS0_14default_configENS1_29reduce_by_key_config_selectorIjiN6thrust23THRUST_200600_302600_NS4plusIiEEEEZZNS1_33reduce_by_key_impl_wrapped_configILNS1_25lookback_scan_determinismE0ES3_S9_NS6_6detail15normal_iteratorINS6_10device_ptrIjEEEENSD_INSE_IiEEEENS6_16discard_iteratorINS6_11use_defaultEEESI_PmS8_NS6_8equal_toIjEEEE10hipError_tPvRmT2_T3_mT4_T5_T6_T7_T8_P12ihipStream_tbENKUlT_T0_E_clISt17integral_constantIbLb1EES15_IbLb0EEEEDaS11_S12_EUlS11_E_NS1_11comp_targetILNS1_3genE2ELNS1_11target_archE906ELNS1_3gpuE6ELNS1_3repE0EEENS1_30default_config_static_selectorELNS0_4arch9wavefront6targetE1EEEvT1_
    .private_segment_fixed_size: 0
    .sgpr_count:     4
    .sgpr_spill_count: 0
    .symbol:         _ZN7rocprim17ROCPRIM_400000_NS6detail17trampoline_kernelINS0_14default_configENS1_29reduce_by_key_config_selectorIjiN6thrust23THRUST_200600_302600_NS4plusIiEEEEZZNS1_33reduce_by_key_impl_wrapped_configILNS1_25lookback_scan_determinismE0ES3_S9_NS6_6detail15normal_iteratorINS6_10device_ptrIjEEEENSD_INSE_IiEEEENS6_16discard_iteratorINS6_11use_defaultEEESI_PmS8_NS6_8equal_toIjEEEE10hipError_tPvRmT2_T3_mT4_T5_T6_T7_T8_P12ihipStream_tbENKUlT_T0_E_clISt17integral_constantIbLb1EES15_IbLb0EEEEDaS11_S12_EUlS11_E_NS1_11comp_targetILNS1_3genE2ELNS1_11target_archE906ELNS1_3gpuE6ELNS1_3repE0EEENS1_30default_config_static_selectorELNS0_4arch9wavefront6targetE1EEEvT1_.kd
    .uniform_work_group_size: 1
    .uses_dynamic_stack: false
    .vgpr_count:     0
    .vgpr_spill_count: 0
    .wavefront_size: 64
  - .agpr_count:     0
    .args:
      - .offset:         0
        .size:           128
        .value_kind:     by_value
    .group_segment_fixed_size: 0
    .kernarg_segment_align: 8
    .kernarg_segment_size: 128
    .language:       OpenCL C
    .language_version:
      - 2
      - 0
    .max_flat_workgroup_size: 256
    .name:           _ZN7rocprim17ROCPRIM_400000_NS6detail17trampoline_kernelINS0_14default_configENS1_29reduce_by_key_config_selectorIjiN6thrust23THRUST_200600_302600_NS4plusIiEEEEZZNS1_33reduce_by_key_impl_wrapped_configILNS1_25lookback_scan_determinismE0ES3_S9_NS6_6detail15normal_iteratorINS6_10device_ptrIjEEEENSD_INSE_IiEEEENS6_16discard_iteratorINS6_11use_defaultEEESI_PmS8_NS6_8equal_toIjEEEE10hipError_tPvRmT2_T3_mT4_T5_T6_T7_T8_P12ihipStream_tbENKUlT_T0_E_clISt17integral_constantIbLb1EES15_IbLb0EEEEDaS11_S12_EUlS11_E_NS1_11comp_targetILNS1_3genE10ELNS1_11target_archE1201ELNS1_3gpuE5ELNS1_3repE0EEENS1_30default_config_static_selectorELNS0_4arch9wavefront6targetE1EEEvT1_
    .private_segment_fixed_size: 0
    .sgpr_count:     4
    .sgpr_spill_count: 0
    .symbol:         _ZN7rocprim17ROCPRIM_400000_NS6detail17trampoline_kernelINS0_14default_configENS1_29reduce_by_key_config_selectorIjiN6thrust23THRUST_200600_302600_NS4plusIiEEEEZZNS1_33reduce_by_key_impl_wrapped_configILNS1_25lookback_scan_determinismE0ES3_S9_NS6_6detail15normal_iteratorINS6_10device_ptrIjEEEENSD_INSE_IiEEEENS6_16discard_iteratorINS6_11use_defaultEEESI_PmS8_NS6_8equal_toIjEEEE10hipError_tPvRmT2_T3_mT4_T5_T6_T7_T8_P12ihipStream_tbENKUlT_T0_E_clISt17integral_constantIbLb1EES15_IbLb0EEEEDaS11_S12_EUlS11_E_NS1_11comp_targetILNS1_3genE10ELNS1_11target_archE1201ELNS1_3gpuE5ELNS1_3repE0EEENS1_30default_config_static_selectorELNS0_4arch9wavefront6targetE1EEEvT1_.kd
    .uniform_work_group_size: 1
    .uses_dynamic_stack: false
    .vgpr_count:     0
    .vgpr_spill_count: 0
    .wavefront_size: 64
  - .agpr_count:     0
    .args:
      - .offset:         0
        .size:           128
        .value_kind:     by_value
    .group_segment_fixed_size: 0
    .kernarg_segment_align: 8
    .kernarg_segment_size: 128
    .language:       OpenCL C
    .language_version:
      - 2
      - 0
    .max_flat_workgroup_size: 256
    .name:           _ZN7rocprim17ROCPRIM_400000_NS6detail17trampoline_kernelINS0_14default_configENS1_29reduce_by_key_config_selectorIjiN6thrust23THRUST_200600_302600_NS4plusIiEEEEZZNS1_33reduce_by_key_impl_wrapped_configILNS1_25lookback_scan_determinismE0ES3_S9_NS6_6detail15normal_iteratorINS6_10device_ptrIjEEEENSD_INSE_IiEEEENS6_16discard_iteratorINS6_11use_defaultEEESI_PmS8_NS6_8equal_toIjEEEE10hipError_tPvRmT2_T3_mT4_T5_T6_T7_T8_P12ihipStream_tbENKUlT_T0_E_clISt17integral_constantIbLb1EES15_IbLb0EEEEDaS11_S12_EUlS11_E_NS1_11comp_targetILNS1_3genE10ELNS1_11target_archE1200ELNS1_3gpuE4ELNS1_3repE0EEENS1_30default_config_static_selectorELNS0_4arch9wavefront6targetE1EEEvT1_
    .private_segment_fixed_size: 0
    .sgpr_count:     4
    .sgpr_spill_count: 0
    .symbol:         _ZN7rocprim17ROCPRIM_400000_NS6detail17trampoline_kernelINS0_14default_configENS1_29reduce_by_key_config_selectorIjiN6thrust23THRUST_200600_302600_NS4plusIiEEEEZZNS1_33reduce_by_key_impl_wrapped_configILNS1_25lookback_scan_determinismE0ES3_S9_NS6_6detail15normal_iteratorINS6_10device_ptrIjEEEENSD_INSE_IiEEEENS6_16discard_iteratorINS6_11use_defaultEEESI_PmS8_NS6_8equal_toIjEEEE10hipError_tPvRmT2_T3_mT4_T5_T6_T7_T8_P12ihipStream_tbENKUlT_T0_E_clISt17integral_constantIbLb1EES15_IbLb0EEEEDaS11_S12_EUlS11_E_NS1_11comp_targetILNS1_3genE10ELNS1_11target_archE1200ELNS1_3gpuE4ELNS1_3repE0EEENS1_30default_config_static_selectorELNS0_4arch9wavefront6targetE1EEEvT1_.kd
    .uniform_work_group_size: 1
    .uses_dynamic_stack: false
    .vgpr_count:     0
    .vgpr_spill_count: 0
    .wavefront_size: 64
  - .agpr_count:     0
    .args:
      - .offset:         0
        .size:           128
        .value_kind:     by_value
    .group_segment_fixed_size: 0
    .kernarg_segment_align: 8
    .kernarg_segment_size: 128
    .language:       OpenCL C
    .language_version:
      - 2
      - 0
    .max_flat_workgroup_size: 256
    .name:           _ZN7rocprim17ROCPRIM_400000_NS6detail17trampoline_kernelINS0_14default_configENS1_29reduce_by_key_config_selectorIjiN6thrust23THRUST_200600_302600_NS4plusIiEEEEZZNS1_33reduce_by_key_impl_wrapped_configILNS1_25lookback_scan_determinismE0ES3_S9_NS6_6detail15normal_iteratorINS6_10device_ptrIjEEEENSD_INSE_IiEEEENS6_16discard_iteratorINS6_11use_defaultEEESI_PmS8_NS6_8equal_toIjEEEE10hipError_tPvRmT2_T3_mT4_T5_T6_T7_T8_P12ihipStream_tbENKUlT_T0_E_clISt17integral_constantIbLb1EES15_IbLb0EEEEDaS11_S12_EUlS11_E_NS1_11comp_targetILNS1_3genE9ELNS1_11target_archE1100ELNS1_3gpuE3ELNS1_3repE0EEENS1_30default_config_static_selectorELNS0_4arch9wavefront6targetE1EEEvT1_
    .private_segment_fixed_size: 0
    .sgpr_count:     4
    .sgpr_spill_count: 0
    .symbol:         _ZN7rocprim17ROCPRIM_400000_NS6detail17trampoline_kernelINS0_14default_configENS1_29reduce_by_key_config_selectorIjiN6thrust23THRUST_200600_302600_NS4plusIiEEEEZZNS1_33reduce_by_key_impl_wrapped_configILNS1_25lookback_scan_determinismE0ES3_S9_NS6_6detail15normal_iteratorINS6_10device_ptrIjEEEENSD_INSE_IiEEEENS6_16discard_iteratorINS6_11use_defaultEEESI_PmS8_NS6_8equal_toIjEEEE10hipError_tPvRmT2_T3_mT4_T5_T6_T7_T8_P12ihipStream_tbENKUlT_T0_E_clISt17integral_constantIbLb1EES15_IbLb0EEEEDaS11_S12_EUlS11_E_NS1_11comp_targetILNS1_3genE9ELNS1_11target_archE1100ELNS1_3gpuE3ELNS1_3repE0EEENS1_30default_config_static_selectorELNS0_4arch9wavefront6targetE1EEEvT1_.kd
    .uniform_work_group_size: 1
    .uses_dynamic_stack: false
    .vgpr_count:     0
    .vgpr_spill_count: 0
    .wavefront_size: 64
  - .agpr_count:     0
    .args:
      - .offset:         0
        .size:           128
        .value_kind:     by_value
    .group_segment_fixed_size: 0
    .kernarg_segment_align: 8
    .kernarg_segment_size: 128
    .language:       OpenCL C
    .language_version:
      - 2
      - 0
    .max_flat_workgroup_size: 256
    .name:           _ZN7rocprim17ROCPRIM_400000_NS6detail17trampoline_kernelINS0_14default_configENS1_29reduce_by_key_config_selectorIjiN6thrust23THRUST_200600_302600_NS4plusIiEEEEZZNS1_33reduce_by_key_impl_wrapped_configILNS1_25lookback_scan_determinismE0ES3_S9_NS6_6detail15normal_iteratorINS6_10device_ptrIjEEEENSD_INSE_IiEEEENS6_16discard_iteratorINS6_11use_defaultEEESI_PmS8_NS6_8equal_toIjEEEE10hipError_tPvRmT2_T3_mT4_T5_T6_T7_T8_P12ihipStream_tbENKUlT_T0_E_clISt17integral_constantIbLb1EES15_IbLb0EEEEDaS11_S12_EUlS11_E_NS1_11comp_targetILNS1_3genE8ELNS1_11target_archE1030ELNS1_3gpuE2ELNS1_3repE0EEENS1_30default_config_static_selectorELNS0_4arch9wavefront6targetE1EEEvT1_
    .private_segment_fixed_size: 0
    .sgpr_count:     4
    .sgpr_spill_count: 0
    .symbol:         _ZN7rocprim17ROCPRIM_400000_NS6detail17trampoline_kernelINS0_14default_configENS1_29reduce_by_key_config_selectorIjiN6thrust23THRUST_200600_302600_NS4plusIiEEEEZZNS1_33reduce_by_key_impl_wrapped_configILNS1_25lookback_scan_determinismE0ES3_S9_NS6_6detail15normal_iteratorINS6_10device_ptrIjEEEENSD_INSE_IiEEEENS6_16discard_iteratorINS6_11use_defaultEEESI_PmS8_NS6_8equal_toIjEEEE10hipError_tPvRmT2_T3_mT4_T5_T6_T7_T8_P12ihipStream_tbENKUlT_T0_E_clISt17integral_constantIbLb1EES15_IbLb0EEEEDaS11_S12_EUlS11_E_NS1_11comp_targetILNS1_3genE8ELNS1_11target_archE1030ELNS1_3gpuE2ELNS1_3repE0EEENS1_30default_config_static_selectorELNS0_4arch9wavefront6targetE1EEEvT1_.kd
    .uniform_work_group_size: 1
    .uses_dynamic_stack: false
    .vgpr_count:     0
    .vgpr_spill_count: 0
    .wavefront_size: 64
  - .agpr_count:     0
    .args:
      - .offset:         0
        .size:           128
        .value_kind:     by_value
    .group_segment_fixed_size: 0
    .kernarg_segment_align: 8
    .kernarg_segment_size: 128
    .language:       OpenCL C
    .language_version:
      - 2
      - 0
    .max_flat_workgroup_size: 256
    .name:           _ZN7rocprim17ROCPRIM_400000_NS6detail17trampoline_kernelINS0_14default_configENS1_29reduce_by_key_config_selectorIjiN6thrust23THRUST_200600_302600_NS4plusIiEEEEZZNS1_33reduce_by_key_impl_wrapped_configILNS1_25lookback_scan_determinismE0ES3_S9_NS6_6detail15normal_iteratorINS6_10device_ptrIjEEEENSD_INSE_IiEEEENS6_16discard_iteratorINS6_11use_defaultEEESI_PmS8_NS6_8equal_toIjEEEE10hipError_tPvRmT2_T3_mT4_T5_T6_T7_T8_P12ihipStream_tbENKUlT_T0_E_clISt17integral_constantIbLb0EES15_IbLb1EEEEDaS11_S12_EUlS11_E_NS1_11comp_targetILNS1_3genE0ELNS1_11target_archE4294967295ELNS1_3gpuE0ELNS1_3repE0EEENS1_30default_config_static_selectorELNS0_4arch9wavefront6targetE1EEEvT1_
    .private_segment_fixed_size: 0
    .sgpr_count:     4
    .sgpr_spill_count: 0
    .symbol:         _ZN7rocprim17ROCPRIM_400000_NS6detail17trampoline_kernelINS0_14default_configENS1_29reduce_by_key_config_selectorIjiN6thrust23THRUST_200600_302600_NS4plusIiEEEEZZNS1_33reduce_by_key_impl_wrapped_configILNS1_25lookback_scan_determinismE0ES3_S9_NS6_6detail15normal_iteratorINS6_10device_ptrIjEEEENSD_INSE_IiEEEENS6_16discard_iteratorINS6_11use_defaultEEESI_PmS8_NS6_8equal_toIjEEEE10hipError_tPvRmT2_T3_mT4_T5_T6_T7_T8_P12ihipStream_tbENKUlT_T0_E_clISt17integral_constantIbLb0EES15_IbLb1EEEEDaS11_S12_EUlS11_E_NS1_11comp_targetILNS1_3genE0ELNS1_11target_archE4294967295ELNS1_3gpuE0ELNS1_3repE0EEENS1_30default_config_static_selectorELNS0_4arch9wavefront6targetE1EEEvT1_.kd
    .uniform_work_group_size: 1
    .uses_dynamic_stack: false
    .vgpr_count:     0
    .vgpr_spill_count: 0
    .wavefront_size: 64
  - .agpr_count:     0
    .args:
      - .offset:         0
        .size:           128
        .value_kind:     by_value
    .group_segment_fixed_size: 0
    .kernarg_segment_align: 8
    .kernarg_segment_size: 128
    .language:       OpenCL C
    .language_version:
      - 2
      - 0
    .max_flat_workgroup_size: 256
    .name:           _ZN7rocprim17ROCPRIM_400000_NS6detail17trampoline_kernelINS0_14default_configENS1_29reduce_by_key_config_selectorIjiN6thrust23THRUST_200600_302600_NS4plusIiEEEEZZNS1_33reduce_by_key_impl_wrapped_configILNS1_25lookback_scan_determinismE0ES3_S9_NS6_6detail15normal_iteratorINS6_10device_ptrIjEEEENSD_INSE_IiEEEENS6_16discard_iteratorINS6_11use_defaultEEESI_PmS8_NS6_8equal_toIjEEEE10hipError_tPvRmT2_T3_mT4_T5_T6_T7_T8_P12ihipStream_tbENKUlT_T0_E_clISt17integral_constantIbLb0EES15_IbLb1EEEEDaS11_S12_EUlS11_E_NS1_11comp_targetILNS1_3genE5ELNS1_11target_archE942ELNS1_3gpuE9ELNS1_3repE0EEENS1_30default_config_static_selectorELNS0_4arch9wavefront6targetE1EEEvT1_
    .private_segment_fixed_size: 0
    .sgpr_count:     4
    .sgpr_spill_count: 0
    .symbol:         _ZN7rocprim17ROCPRIM_400000_NS6detail17trampoline_kernelINS0_14default_configENS1_29reduce_by_key_config_selectorIjiN6thrust23THRUST_200600_302600_NS4plusIiEEEEZZNS1_33reduce_by_key_impl_wrapped_configILNS1_25lookback_scan_determinismE0ES3_S9_NS6_6detail15normal_iteratorINS6_10device_ptrIjEEEENSD_INSE_IiEEEENS6_16discard_iteratorINS6_11use_defaultEEESI_PmS8_NS6_8equal_toIjEEEE10hipError_tPvRmT2_T3_mT4_T5_T6_T7_T8_P12ihipStream_tbENKUlT_T0_E_clISt17integral_constantIbLb0EES15_IbLb1EEEEDaS11_S12_EUlS11_E_NS1_11comp_targetILNS1_3genE5ELNS1_11target_archE942ELNS1_3gpuE9ELNS1_3repE0EEENS1_30default_config_static_selectorELNS0_4arch9wavefront6targetE1EEEvT1_.kd
    .uniform_work_group_size: 1
    .uses_dynamic_stack: false
    .vgpr_count:     0
    .vgpr_spill_count: 0
    .wavefront_size: 64
  - .agpr_count:     0
    .args:
      - .offset:         0
        .size:           128
        .value_kind:     by_value
    .group_segment_fixed_size: 15360
    .kernarg_segment_align: 8
    .kernarg_segment_size: 128
    .language:       OpenCL C
    .language_version:
      - 2
      - 0
    .max_flat_workgroup_size: 256
    .name:           _ZN7rocprim17ROCPRIM_400000_NS6detail17trampoline_kernelINS0_14default_configENS1_29reduce_by_key_config_selectorIjiN6thrust23THRUST_200600_302600_NS4plusIiEEEEZZNS1_33reduce_by_key_impl_wrapped_configILNS1_25lookback_scan_determinismE0ES3_S9_NS6_6detail15normal_iteratorINS6_10device_ptrIjEEEENSD_INSE_IiEEEENS6_16discard_iteratorINS6_11use_defaultEEESI_PmS8_NS6_8equal_toIjEEEE10hipError_tPvRmT2_T3_mT4_T5_T6_T7_T8_P12ihipStream_tbENKUlT_T0_E_clISt17integral_constantIbLb0EES15_IbLb1EEEEDaS11_S12_EUlS11_E_NS1_11comp_targetILNS1_3genE4ELNS1_11target_archE910ELNS1_3gpuE8ELNS1_3repE0EEENS1_30default_config_static_selectorELNS0_4arch9wavefront6targetE1EEEvT1_
    .private_segment_fixed_size: 0
    .sgpr_count:     68
    .sgpr_spill_count: 0
    .symbol:         _ZN7rocprim17ROCPRIM_400000_NS6detail17trampoline_kernelINS0_14default_configENS1_29reduce_by_key_config_selectorIjiN6thrust23THRUST_200600_302600_NS4plusIiEEEEZZNS1_33reduce_by_key_impl_wrapped_configILNS1_25lookback_scan_determinismE0ES3_S9_NS6_6detail15normal_iteratorINS6_10device_ptrIjEEEENSD_INSE_IiEEEENS6_16discard_iteratorINS6_11use_defaultEEESI_PmS8_NS6_8equal_toIjEEEE10hipError_tPvRmT2_T3_mT4_T5_T6_T7_T8_P12ihipStream_tbENKUlT_T0_E_clISt17integral_constantIbLb0EES15_IbLb1EEEEDaS11_S12_EUlS11_E_NS1_11comp_targetILNS1_3genE4ELNS1_11target_archE910ELNS1_3gpuE8ELNS1_3repE0EEENS1_30default_config_static_selectorELNS0_4arch9wavefront6targetE1EEEvT1_.kd
    .uniform_work_group_size: 1
    .uses_dynamic_stack: false
    .vgpr_count:     87
    .vgpr_spill_count: 0
    .wavefront_size: 64
  - .agpr_count:     0
    .args:
      - .offset:         0
        .size:           128
        .value_kind:     by_value
    .group_segment_fixed_size: 0
    .kernarg_segment_align: 8
    .kernarg_segment_size: 128
    .language:       OpenCL C
    .language_version:
      - 2
      - 0
    .max_flat_workgroup_size: 256
    .name:           _ZN7rocprim17ROCPRIM_400000_NS6detail17trampoline_kernelINS0_14default_configENS1_29reduce_by_key_config_selectorIjiN6thrust23THRUST_200600_302600_NS4plusIiEEEEZZNS1_33reduce_by_key_impl_wrapped_configILNS1_25lookback_scan_determinismE0ES3_S9_NS6_6detail15normal_iteratorINS6_10device_ptrIjEEEENSD_INSE_IiEEEENS6_16discard_iteratorINS6_11use_defaultEEESI_PmS8_NS6_8equal_toIjEEEE10hipError_tPvRmT2_T3_mT4_T5_T6_T7_T8_P12ihipStream_tbENKUlT_T0_E_clISt17integral_constantIbLb0EES15_IbLb1EEEEDaS11_S12_EUlS11_E_NS1_11comp_targetILNS1_3genE3ELNS1_11target_archE908ELNS1_3gpuE7ELNS1_3repE0EEENS1_30default_config_static_selectorELNS0_4arch9wavefront6targetE1EEEvT1_
    .private_segment_fixed_size: 0
    .sgpr_count:     4
    .sgpr_spill_count: 0
    .symbol:         _ZN7rocprim17ROCPRIM_400000_NS6detail17trampoline_kernelINS0_14default_configENS1_29reduce_by_key_config_selectorIjiN6thrust23THRUST_200600_302600_NS4plusIiEEEEZZNS1_33reduce_by_key_impl_wrapped_configILNS1_25lookback_scan_determinismE0ES3_S9_NS6_6detail15normal_iteratorINS6_10device_ptrIjEEEENSD_INSE_IiEEEENS6_16discard_iteratorINS6_11use_defaultEEESI_PmS8_NS6_8equal_toIjEEEE10hipError_tPvRmT2_T3_mT4_T5_T6_T7_T8_P12ihipStream_tbENKUlT_T0_E_clISt17integral_constantIbLb0EES15_IbLb1EEEEDaS11_S12_EUlS11_E_NS1_11comp_targetILNS1_3genE3ELNS1_11target_archE908ELNS1_3gpuE7ELNS1_3repE0EEENS1_30default_config_static_selectorELNS0_4arch9wavefront6targetE1EEEvT1_.kd
    .uniform_work_group_size: 1
    .uses_dynamic_stack: false
    .vgpr_count:     0
    .vgpr_spill_count: 0
    .wavefront_size: 64
  - .agpr_count:     0
    .args:
      - .offset:         0
        .size:           128
        .value_kind:     by_value
    .group_segment_fixed_size: 0
    .kernarg_segment_align: 8
    .kernarg_segment_size: 128
    .language:       OpenCL C
    .language_version:
      - 2
      - 0
    .max_flat_workgroup_size: 256
    .name:           _ZN7rocprim17ROCPRIM_400000_NS6detail17trampoline_kernelINS0_14default_configENS1_29reduce_by_key_config_selectorIjiN6thrust23THRUST_200600_302600_NS4plusIiEEEEZZNS1_33reduce_by_key_impl_wrapped_configILNS1_25lookback_scan_determinismE0ES3_S9_NS6_6detail15normal_iteratorINS6_10device_ptrIjEEEENSD_INSE_IiEEEENS6_16discard_iteratorINS6_11use_defaultEEESI_PmS8_NS6_8equal_toIjEEEE10hipError_tPvRmT2_T3_mT4_T5_T6_T7_T8_P12ihipStream_tbENKUlT_T0_E_clISt17integral_constantIbLb0EES15_IbLb1EEEEDaS11_S12_EUlS11_E_NS1_11comp_targetILNS1_3genE2ELNS1_11target_archE906ELNS1_3gpuE6ELNS1_3repE0EEENS1_30default_config_static_selectorELNS0_4arch9wavefront6targetE1EEEvT1_
    .private_segment_fixed_size: 0
    .sgpr_count:     4
    .sgpr_spill_count: 0
    .symbol:         _ZN7rocprim17ROCPRIM_400000_NS6detail17trampoline_kernelINS0_14default_configENS1_29reduce_by_key_config_selectorIjiN6thrust23THRUST_200600_302600_NS4plusIiEEEEZZNS1_33reduce_by_key_impl_wrapped_configILNS1_25lookback_scan_determinismE0ES3_S9_NS6_6detail15normal_iteratorINS6_10device_ptrIjEEEENSD_INSE_IiEEEENS6_16discard_iteratorINS6_11use_defaultEEESI_PmS8_NS6_8equal_toIjEEEE10hipError_tPvRmT2_T3_mT4_T5_T6_T7_T8_P12ihipStream_tbENKUlT_T0_E_clISt17integral_constantIbLb0EES15_IbLb1EEEEDaS11_S12_EUlS11_E_NS1_11comp_targetILNS1_3genE2ELNS1_11target_archE906ELNS1_3gpuE6ELNS1_3repE0EEENS1_30default_config_static_selectorELNS0_4arch9wavefront6targetE1EEEvT1_.kd
    .uniform_work_group_size: 1
    .uses_dynamic_stack: false
    .vgpr_count:     0
    .vgpr_spill_count: 0
    .wavefront_size: 64
  - .agpr_count:     0
    .args:
      - .offset:         0
        .size:           128
        .value_kind:     by_value
    .group_segment_fixed_size: 0
    .kernarg_segment_align: 8
    .kernarg_segment_size: 128
    .language:       OpenCL C
    .language_version:
      - 2
      - 0
    .max_flat_workgroup_size: 256
    .name:           _ZN7rocprim17ROCPRIM_400000_NS6detail17trampoline_kernelINS0_14default_configENS1_29reduce_by_key_config_selectorIjiN6thrust23THRUST_200600_302600_NS4plusIiEEEEZZNS1_33reduce_by_key_impl_wrapped_configILNS1_25lookback_scan_determinismE0ES3_S9_NS6_6detail15normal_iteratorINS6_10device_ptrIjEEEENSD_INSE_IiEEEENS6_16discard_iteratorINS6_11use_defaultEEESI_PmS8_NS6_8equal_toIjEEEE10hipError_tPvRmT2_T3_mT4_T5_T6_T7_T8_P12ihipStream_tbENKUlT_T0_E_clISt17integral_constantIbLb0EES15_IbLb1EEEEDaS11_S12_EUlS11_E_NS1_11comp_targetILNS1_3genE10ELNS1_11target_archE1201ELNS1_3gpuE5ELNS1_3repE0EEENS1_30default_config_static_selectorELNS0_4arch9wavefront6targetE1EEEvT1_
    .private_segment_fixed_size: 0
    .sgpr_count:     4
    .sgpr_spill_count: 0
    .symbol:         _ZN7rocprim17ROCPRIM_400000_NS6detail17trampoline_kernelINS0_14default_configENS1_29reduce_by_key_config_selectorIjiN6thrust23THRUST_200600_302600_NS4plusIiEEEEZZNS1_33reduce_by_key_impl_wrapped_configILNS1_25lookback_scan_determinismE0ES3_S9_NS6_6detail15normal_iteratorINS6_10device_ptrIjEEEENSD_INSE_IiEEEENS6_16discard_iteratorINS6_11use_defaultEEESI_PmS8_NS6_8equal_toIjEEEE10hipError_tPvRmT2_T3_mT4_T5_T6_T7_T8_P12ihipStream_tbENKUlT_T0_E_clISt17integral_constantIbLb0EES15_IbLb1EEEEDaS11_S12_EUlS11_E_NS1_11comp_targetILNS1_3genE10ELNS1_11target_archE1201ELNS1_3gpuE5ELNS1_3repE0EEENS1_30default_config_static_selectorELNS0_4arch9wavefront6targetE1EEEvT1_.kd
    .uniform_work_group_size: 1
    .uses_dynamic_stack: false
    .vgpr_count:     0
    .vgpr_spill_count: 0
    .wavefront_size: 64
  - .agpr_count:     0
    .args:
      - .offset:         0
        .size:           128
        .value_kind:     by_value
    .group_segment_fixed_size: 0
    .kernarg_segment_align: 8
    .kernarg_segment_size: 128
    .language:       OpenCL C
    .language_version:
      - 2
      - 0
    .max_flat_workgroup_size: 256
    .name:           _ZN7rocprim17ROCPRIM_400000_NS6detail17trampoline_kernelINS0_14default_configENS1_29reduce_by_key_config_selectorIjiN6thrust23THRUST_200600_302600_NS4plusIiEEEEZZNS1_33reduce_by_key_impl_wrapped_configILNS1_25lookback_scan_determinismE0ES3_S9_NS6_6detail15normal_iteratorINS6_10device_ptrIjEEEENSD_INSE_IiEEEENS6_16discard_iteratorINS6_11use_defaultEEESI_PmS8_NS6_8equal_toIjEEEE10hipError_tPvRmT2_T3_mT4_T5_T6_T7_T8_P12ihipStream_tbENKUlT_T0_E_clISt17integral_constantIbLb0EES15_IbLb1EEEEDaS11_S12_EUlS11_E_NS1_11comp_targetILNS1_3genE10ELNS1_11target_archE1200ELNS1_3gpuE4ELNS1_3repE0EEENS1_30default_config_static_selectorELNS0_4arch9wavefront6targetE1EEEvT1_
    .private_segment_fixed_size: 0
    .sgpr_count:     4
    .sgpr_spill_count: 0
    .symbol:         _ZN7rocprim17ROCPRIM_400000_NS6detail17trampoline_kernelINS0_14default_configENS1_29reduce_by_key_config_selectorIjiN6thrust23THRUST_200600_302600_NS4plusIiEEEEZZNS1_33reduce_by_key_impl_wrapped_configILNS1_25lookback_scan_determinismE0ES3_S9_NS6_6detail15normal_iteratorINS6_10device_ptrIjEEEENSD_INSE_IiEEEENS6_16discard_iteratorINS6_11use_defaultEEESI_PmS8_NS6_8equal_toIjEEEE10hipError_tPvRmT2_T3_mT4_T5_T6_T7_T8_P12ihipStream_tbENKUlT_T0_E_clISt17integral_constantIbLb0EES15_IbLb1EEEEDaS11_S12_EUlS11_E_NS1_11comp_targetILNS1_3genE10ELNS1_11target_archE1200ELNS1_3gpuE4ELNS1_3repE0EEENS1_30default_config_static_selectorELNS0_4arch9wavefront6targetE1EEEvT1_.kd
    .uniform_work_group_size: 1
    .uses_dynamic_stack: false
    .vgpr_count:     0
    .vgpr_spill_count: 0
    .wavefront_size: 64
  - .agpr_count:     0
    .args:
      - .offset:         0
        .size:           128
        .value_kind:     by_value
    .group_segment_fixed_size: 0
    .kernarg_segment_align: 8
    .kernarg_segment_size: 128
    .language:       OpenCL C
    .language_version:
      - 2
      - 0
    .max_flat_workgroup_size: 256
    .name:           _ZN7rocprim17ROCPRIM_400000_NS6detail17trampoline_kernelINS0_14default_configENS1_29reduce_by_key_config_selectorIjiN6thrust23THRUST_200600_302600_NS4plusIiEEEEZZNS1_33reduce_by_key_impl_wrapped_configILNS1_25lookback_scan_determinismE0ES3_S9_NS6_6detail15normal_iteratorINS6_10device_ptrIjEEEENSD_INSE_IiEEEENS6_16discard_iteratorINS6_11use_defaultEEESI_PmS8_NS6_8equal_toIjEEEE10hipError_tPvRmT2_T3_mT4_T5_T6_T7_T8_P12ihipStream_tbENKUlT_T0_E_clISt17integral_constantIbLb0EES15_IbLb1EEEEDaS11_S12_EUlS11_E_NS1_11comp_targetILNS1_3genE9ELNS1_11target_archE1100ELNS1_3gpuE3ELNS1_3repE0EEENS1_30default_config_static_selectorELNS0_4arch9wavefront6targetE1EEEvT1_
    .private_segment_fixed_size: 0
    .sgpr_count:     4
    .sgpr_spill_count: 0
    .symbol:         _ZN7rocprim17ROCPRIM_400000_NS6detail17trampoline_kernelINS0_14default_configENS1_29reduce_by_key_config_selectorIjiN6thrust23THRUST_200600_302600_NS4plusIiEEEEZZNS1_33reduce_by_key_impl_wrapped_configILNS1_25lookback_scan_determinismE0ES3_S9_NS6_6detail15normal_iteratorINS6_10device_ptrIjEEEENSD_INSE_IiEEEENS6_16discard_iteratorINS6_11use_defaultEEESI_PmS8_NS6_8equal_toIjEEEE10hipError_tPvRmT2_T3_mT4_T5_T6_T7_T8_P12ihipStream_tbENKUlT_T0_E_clISt17integral_constantIbLb0EES15_IbLb1EEEEDaS11_S12_EUlS11_E_NS1_11comp_targetILNS1_3genE9ELNS1_11target_archE1100ELNS1_3gpuE3ELNS1_3repE0EEENS1_30default_config_static_selectorELNS0_4arch9wavefront6targetE1EEEvT1_.kd
    .uniform_work_group_size: 1
    .uses_dynamic_stack: false
    .vgpr_count:     0
    .vgpr_spill_count: 0
    .wavefront_size: 64
  - .agpr_count:     0
    .args:
      - .offset:         0
        .size:           128
        .value_kind:     by_value
    .group_segment_fixed_size: 0
    .kernarg_segment_align: 8
    .kernarg_segment_size: 128
    .language:       OpenCL C
    .language_version:
      - 2
      - 0
    .max_flat_workgroup_size: 256
    .name:           _ZN7rocprim17ROCPRIM_400000_NS6detail17trampoline_kernelINS0_14default_configENS1_29reduce_by_key_config_selectorIjiN6thrust23THRUST_200600_302600_NS4plusIiEEEEZZNS1_33reduce_by_key_impl_wrapped_configILNS1_25lookback_scan_determinismE0ES3_S9_NS6_6detail15normal_iteratorINS6_10device_ptrIjEEEENSD_INSE_IiEEEENS6_16discard_iteratorINS6_11use_defaultEEESI_PmS8_NS6_8equal_toIjEEEE10hipError_tPvRmT2_T3_mT4_T5_T6_T7_T8_P12ihipStream_tbENKUlT_T0_E_clISt17integral_constantIbLb0EES15_IbLb1EEEEDaS11_S12_EUlS11_E_NS1_11comp_targetILNS1_3genE8ELNS1_11target_archE1030ELNS1_3gpuE2ELNS1_3repE0EEENS1_30default_config_static_selectorELNS0_4arch9wavefront6targetE1EEEvT1_
    .private_segment_fixed_size: 0
    .sgpr_count:     4
    .sgpr_spill_count: 0
    .symbol:         _ZN7rocprim17ROCPRIM_400000_NS6detail17trampoline_kernelINS0_14default_configENS1_29reduce_by_key_config_selectorIjiN6thrust23THRUST_200600_302600_NS4plusIiEEEEZZNS1_33reduce_by_key_impl_wrapped_configILNS1_25lookback_scan_determinismE0ES3_S9_NS6_6detail15normal_iteratorINS6_10device_ptrIjEEEENSD_INSE_IiEEEENS6_16discard_iteratorINS6_11use_defaultEEESI_PmS8_NS6_8equal_toIjEEEE10hipError_tPvRmT2_T3_mT4_T5_T6_T7_T8_P12ihipStream_tbENKUlT_T0_E_clISt17integral_constantIbLb0EES15_IbLb1EEEEDaS11_S12_EUlS11_E_NS1_11comp_targetILNS1_3genE8ELNS1_11target_archE1030ELNS1_3gpuE2ELNS1_3repE0EEENS1_30default_config_static_selectorELNS0_4arch9wavefront6targetE1EEEvT1_.kd
    .uniform_work_group_size: 1
    .uses_dynamic_stack: false
    .vgpr_count:     0
    .vgpr_spill_count: 0
    .wavefront_size: 64
  - .agpr_count:     0
    .args:
      - .offset:         0
        .size:           128
        .value_kind:     by_value
    .group_segment_fixed_size: 0
    .kernarg_segment_align: 8
    .kernarg_segment_size: 128
    .language:       OpenCL C
    .language_version:
      - 2
      - 0
    .max_flat_workgroup_size: 256
    .name:           _ZN7rocprim17ROCPRIM_400000_NS6detail17trampoline_kernelINS0_14default_configENS1_29reduce_by_key_config_selectorIjsN6thrust23THRUST_200600_302600_NS4plusIsEEEEZZNS1_33reduce_by_key_impl_wrapped_configILNS1_25lookback_scan_determinismE0ES3_S9_NS6_6detail15normal_iteratorINS6_10device_ptrIjEEEENSD_INSE_IsEEEENS6_16discard_iteratorINS6_11use_defaultEEESI_PmS8_NS6_8equal_toIjEEEE10hipError_tPvRmT2_T3_mT4_T5_T6_T7_T8_P12ihipStream_tbENKUlT_T0_E_clISt17integral_constantIbLb0EES16_EEDaS11_S12_EUlS11_E_NS1_11comp_targetILNS1_3genE0ELNS1_11target_archE4294967295ELNS1_3gpuE0ELNS1_3repE0EEENS1_30default_config_static_selectorELNS0_4arch9wavefront6targetE1EEEvT1_
    .private_segment_fixed_size: 0
    .sgpr_count:     4
    .sgpr_spill_count: 0
    .symbol:         _ZN7rocprim17ROCPRIM_400000_NS6detail17trampoline_kernelINS0_14default_configENS1_29reduce_by_key_config_selectorIjsN6thrust23THRUST_200600_302600_NS4plusIsEEEEZZNS1_33reduce_by_key_impl_wrapped_configILNS1_25lookback_scan_determinismE0ES3_S9_NS6_6detail15normal_iteratorINS6_10device_ptrIjEEEENSD_INSE_IsEEEENS6_16discard_iteratorINS6_11use_defaultEEESI_PmS8_NS6_8equal_toIjEEEE10hipError_tPvRmT2_T3_mT4_T5_T6_T7_T8_P12ihipStream_tbENKUlT_T0_E_clISt17integral_constantIbLb0EES16_EEDaS11_S12_EUlS11_E_NS1_11comp_targetILNS1_3genE0ELNS1_11target_archE4294967295ELNS1_3gpuE0ELNS1_3repE0EEENS1_30default_config_static_selectorELNS0_4arch9wavefront6targetE1EEEvT1_.kd
    .uniform_work_group_size: 1
    .uses_dynamic_stack: false
    .vgpr_count:     0
    .vgpr_spill_count: 0
    .wavefront_size: 64
  - .agpr_count:     0
    .args:
      - .offset:         0
        .size:           128
        .value_kind:     by_value
    .group_segment_fixed_size: 0
    .kernarg_segment_align: 8
    .kernarg_segment_size: 128
    .language:       OpenCL C
    .language_version:
      - 2
      - 0
    .max_flat_workgroup_size: 256
    .name:           _ZN7rocprim17ROCPRIM_400000_NS6detail17trampoline_kernelINS0_14default_configENS1_29reduce_by_key_config_selectorIjsN6thrust23THRUST_200600_302600_NS4plusIsEEEEZZNS1_33reduce_by_key_impl_wrapped_configILNS1_25lookback_scan_determinismE0ES3_S9_NS6_6detail15normal_iteratorINS6_10device_ptrIjEEEENSD_INSE_IsEEEENS6_16discard_iteratorINS6_11use_defaultEEESI_PmS8_NS6_8equal_toIjEEEE10hipError_tPvRmT2_T3_mT4_T5_T6_T7_T8_P12ihipStream_tbENKUlT_T0_E_clISt17integral_constantIbLb0EES16_EEDaS11_S12_EUlS11_E_NS1_11comp_targetILNS1_3genE5ELNS1_11target_archE942ELNS1_3gpuE9ELNS1_3repE0EEENS1_30default_config_static_selectorELNS0_4arch9wavefront6targetE1EEEvT1_
    .private_segment_fixed_size: 0
    .sgpr_count:     4
    .sgpr_spill_count: 0
    .symbol:         _ZN7rocprim17ROCPRIM_400000_NS6detail17trampoline_kernelINS0_14default_configENS1_29reduce_by_key_config_selectorIjsN6thrust23THRUST_200600_302600_NS4plusIsEEEEZZNS1_33reduce_by_key_impl_wrapped_configILNS1_25lookback_scan_determinismE0ES3_S9_NS6_6detail15normal_iteratorINS6_10device_ptrIjEEEENSD_INSE_IsEEEENS6_16discard_iteratorINS6_11use_defaultEEESI_PmS8_NS6_8equal_toIjEEEE10hipError_tPvRmT2_T3_mT4_T5_T6_T7_T8_P12ihipStream_tbENKUlT_T0_E_clISt17integral_constantIbLb0EES16_EEDaS11_S12_EUlS11_E_NS1_11comp_targetILNS1_3genE5ELNS1_11target_archE942ELNS1_3gpuE9ELNS1_3repE0EEENS1_30default_config_static_selectorELNS0_4arch9wavefront6targetE1EEEvT1_.kd
    .uniform_work_group_size: 1
    .uses_dynamic_stack: false
    .vgpr_count:     0
    .vgpr_spill_count: 0
    .wavefront_size: 64
  - .agpr_count:     0
    .args:
      - .offset:         0
        .size:           128
        .value_kind:     by_value
    .group_segment_fixed_size: 15360
    .kernarg_segment_align: 8
    .kernarg_segment_size: 128
    .language:       OpenCL C
    .language_version:
      - 2
      - 0
    .max_flat_workgroup_size: 256
    .name:           _ZN7rocprim17ROCPRIM_400000_NS6detail17trampoline_kernelINS0_14default_configENS1_29reduce_by_key_config_selectorIjsN6thrust23THRUST_200600_302600_NS4plusIsEEEEZZNS1_33reduce_by_key_impl_wrapped_configILNS1_25lookback_scan_determinismE0ES3_S9_NS6_6detail15normal_iteratorINS6_10device_ptrIjEEEENSD_INSE_IsEEEENS6_16discard_iteratorINS6_11use_defaultEEESI_PmS8_NS6_8equal_toIjEEEE10hipError_tPvRmT2_T3_mT4_T5_T6_T7_T8_P12ihipStream_tbENKUlT_T0_E_clISt17integral_constantIbLb0EES16_EEDaS11_S12_EUlS11_E_NS1_11comp_targetILNS1_3genE4ELNS1_11target_archE910ELNS1_3gpuE8ELNS1_3repE0EEENS1_30default_config_static_selectorELNS0_4arch9wavefront6targetE1EEEvT1_
    .private_segment_fixed_size: 0
    .sgpr_count:     64
    .sgpr_spill_count: 0
    .symbol:         _ZN7rocprim17ROCPRIM_400000_NS6detail17trampoline_kernelINS0_14default_configENS1_29reduce_by_key_config_selectorIjsN6thrust23THRUST_200600_302600_NS4plusIsEEEEZZNS1_33reduce_by_key_impl_wrapped_configILNS1_25lookback_scan_determinismE0ES3_S9_NS6_6detail15normal_iteratorINS6_10device_ptrIjEEEENSD_INSE_IsEEEENS6_16discard_iteratorINS6_11use_defaultEEESI_PmS8_NS6_8equal_toIjEEEE10hipError_tPvRmT2_T3_mT4_T5_T6_T7_T8_P12ihipStream_tbENKUlT_T0_E_clISt17integral_constantIbLb0EES16_EEDaS11_S12_EUlS11_E_NS1_11comp_targetILNS1_3genE4ELNS1_11target_archE910ELNS1_3gpuE8ELNS1_3repE0EEENS1_30default_config_static_selectorELNS0_4arch9wavefront6targetE1EEEvT1_.kd
    .uniform_work_group_size: 1
    .uses_dynamic_stack: false
    .vgpr_count:     87
    .vgpr_spill_count: 0
    .wavefront_size: 64
  - .agpr_count:     0
    .args:
      - .offset:         0
        .size:           128
        .value_kind:     by_value
    .group_segment_fixed_size: 0
    .kernarg_segment_align: 8
    .kernarg_segment_size: 128
    .language:       OpenCL C
    .language_version:
      - 2
      - 0
    .max_flat_workgroup_size: 256
    .name:           _ZN7rocprim17ROCPRIM_400000_NS6detail17trampoline_kernelINS0_14default_configENS1_29reduce_by_key_config_selectorIjsN6thrust23THRUST_200600_302600_NS4plusIsEEEEZZNS1_33reduce_by_key_impl_wrapped_configILNS1_25lookback_scan_determinismE0ES3_S9_NS6_6detail15normal_iteratorINS6_10device_ptrIjEEEENSD_INSE_IsEEEENS6_16discard_iteratorINS6_11use_defaultEEESI_PmS8_NS6_8equal_toIjEEEE10hipError_tPvRmT2_T3_mT4_T5_T6_T7_T8_P12ihipStream_tbENKUlT_T0_E_clISt17integral_constantIbLb0EES16_EEDaS11_S12_EUlS11_E_NS1_11comp_targetILNS1_3genE3ELNS1_11target_archE908ELNS1_3gpuE7ELNS1_3repE0EEENS1_30default_config_static_selectorELNS0_4arch9wavefront6targetE1EEEvT1_
    .private_segment_fixed_size: 0
    .sgpr_count:     4
    .sgpr_spill_count: 0
    .symbol:         _ZN7rocprim17ROCPRIM_400000_NS6detail17trampoline_kernelINS0_14default_configENS1_29reduce_by_key_config_selectorIjsN6thrust23THRUST_200600_302600_NS4plusIsEEEEZZNS1_33reduce_by_key_impl_wrapped_configILNS1_25lookback_scan_determinismE0ES3_S9_NS6_6detail15normal_iteratorINS6_10device_ptrIjEEEENSD_INSE_IsEEEENS6_16discard_iteratorINS6_11use_defaultEEESI_PmS8_NS6_8equal_toIjEEEE10hipError_tPvRmT2_T3_mT4_T5_T6_T7_T8_P12ihipStream_tbENKUlT_T0_E_clISt17integral_constantIbLb0EES16_EEDaS11_S12_EUlS11_E_NS1_11comp_targetILNS1_3genE3ELNS1_11target_archE908ELNS1_3gpuE7ELNS1_3repE0EEENS1_30default_config_static_selectorELNS0_4arch9wavefront6targetE1EEEvT1_.kd
    .uniform_work_group_size: 1
    .uses_dynamic_stack: false
    .vgpr_count:     0
    .vgpr_spill_count: 0
    .wavefront_size: 64
  - .agpr_count:     0
    .args:
      - .offset:         0
        .size:           128
        .value_kind:     by_value
    .group_segment_fixed_size: 0
    .kernarg_segment_align: 8
    .kernarg_segment_size: 128
    .language:       OpenCL C
    .language_version:
      - 2
      - 0
    .max_flat_workgroup_size: 256
    .name:           _ZN7rocprim17ROCPRIM_400000_NS6detail17trampoline_kernelINS0_14default_configENS1_29reduce_by_key_config_selectorIjsN6thrust23THRUST_200600_302600_NS4plusIsEEEEZZNS1_33reduce_by_key_impl_wrapped_configILNS1_25lookback_scan_determinismE0ES3_S9_NS6_6detail15normal_iteratorINS6_10device_ptrIjEEEENSD_INSE_IsEEEENS6_16discard_iteratorINS6_11use_defaultEEESI_PmS8_NS6_8equal_toIjEEEE10hipError_tPvRmT2_T3_mT4_T5_T6_T7_T8_P12ihipStream_tbENKUlT_T0_E_clISt17integral_constantIbLb0EES16_EEDaS11_S12_EUlS11_E_NS1_11comp_targetILNS1_3genE2ELNS1_11target_archE906ELNS1_3gpuE6ELNS1_3repE0EEENS1_30default_config_static_selectorELNS0_4arch9wavefront6targetE1EEEvT1_
    .private_segment_fixed_size: 0
    .sgpr_count:     4
    .sgpr_spill_count: 0
    .symbol:         _ZN7rocprim17ROCPRIM_400000_NS6detail17trampoline_kernelINS0_14default_configENS1_29reduce_by_key_config_selectorIjsN6thrust23THRUST_200600_302600_NS4plusIsEEEEZZNS1_33reduce_by_key_impl_wrapped_configILNS1_25lookback_scan_determinismE0ES3_S9_NS6_6detail15normal_iteratorINS6_10device_ptrIjEEEENSD_INSE_IsEEEENS6_16discard_iteratorINS6_11use_defaultEEESI_PmS8_NS6_8equal_toIjEEEE10hipError_tPvRmT2_T3_mT4_T5_T6_T7_T8_P12ihipStream_tbENKUlT_T0_E_clISt17integral_constantIbLb0EES16_EEDaS11_S12_EUlS11_E_NS1_11comp_targetILNS1_3genE2ELNS1_11target_archE906ELNS1_3gpuE6ELNS1_3repE0EEENS1_30default_config_static_selectorELNS0_4arch9wavefront6targetE1EEEvT1_.kd
    .uniform_work_group_size: 1
    .uses_dynamic_stack: false
    .vgpr_count:     0
    .vgpr_spill_count: 0
    .wavefront_size: 64
  - .agpr_count:     0
    .args:
      - .offset:         0
        .size:           128
        .value_kind:     by_value
    .group_segment_fixed_size: 0
    .kernarg_segment_align: 8
    .kernarg_segment_size: 128
    .language:       OpenCL C
    .language_version:
      - 2
      - 0
    .max_flat_workgroup_size: 256
    .name:           _ZN7rocprim17ROCPRIM_400000_NS6detail17trampoline_kernelINS0_14default_configENS1_29reduce_by_key_config_selectorIjsN6thrust23THRUST_200600_302600_NS4plusIsEEEEZZNS1_33reduce_by_key_impl_wrapped_configILNS1_25lookback_scan_determinismE0ES3_S9_NS6_6detail15normal_iteratorINS6_10device_ptrIjEEEENSD_INSE_IsEEEENS6_16discard_iteratorINS6_11use_defaultEEESI_PmS8_NS6_8equal_toIjEEEE10hipError_tPvRmT2_T3_mT4_T5_T6_T7_T8_P12ihipStream_tbENKUlT_T0_E_clISt17integral_constantIbLb0EES16_EEDaS11_S12_EUlS11_E_NS1_11comp_targetILNS1_3genE10ELNS1_11target_archE1201ELNS1_3gpuE5ELNS1_3repE0EEENS1_30default_config_static_selectorELNS0_4arch9wavefront6targetE1EEEvT1_
    .private_segment_fixed_size: 0
    .sgpr_count:     4
    .sgpr_spill_count: 0
    .symbol:         _ZN7rocprim17ROCPRIM_400000_NS6detail17trampoline_kernelINS0_14default_configENS1_29reduce_by_key_config_selectorIjsN6thrust23THRUST_200600_302600_NS4plusIsEEEEZZNS1_33reduce_by_key_impl_wrapped_configILNS1_25lookback_scan_determinismE0ES3_S9_NS6_6detail15normal_iteratorINS6_10device_ptrIjEEEENSD_INSE_IsEEEENS6_16discard_iteratorINS6_11use_defaultEEESI_PmS8_NS6_8equal_toIjEEEE10hipError_tPvRmT2_T3_mT4_T5_T6_T7_T8_P12ihipStream_tbENKUlT_T0_E_clISt17integral_constantIbLb0EES16_EEDaS11_S12_EUlS11_E_NS1_11comp_targetILNS1_3genE10ELNS1_11target_archE1201ELNS1_3gpuE5ELNS1_3repE0EEENS1_30default_config_static_selectorELNS0_4arch9wavefront6targetE1EEEvT1_.kd
    .uniform_work_group_size: 1
    .uses_dynamic_stack: false
    .vgpr_count:     0
    .vgpr_spill_count: 0
    .wavefront_size: 64
  - .agpr_count:     0
    .args:
      - .offset:         0
        .size:           128
        .value_kind:     by_value
    .group_segment_fixed_size: 0
    .kernarg_segment_align: 8
    .kernarg_segment_size: 128
    .language:       OpenCL C
    .language_version:
      - 2
      - 0
    .max_flat_workgroup_size: 256
    .name:           _ZN7rocprim17ROCPRIM_400000_NS6detail17trampoline_kernelINS0_14default_configENS1_29reduce_by_key_config_selectorIjsN6thrust23THRUST_200600_302600_NS4plusIsEEEEZZNS1_33reduce_by_key_impl_wrapped_configILNS1_25lookback_scan_determinismE0ES3_S9_NS6_6detail15normal_iteratorINS6_10device_ptrIjEEEENSD_INSE_IsEEEENS6_16discard_iteratorINS6_11use_defaultEEESI_PmS8_NS6_8equal_toIjEEEE10hipError_tPvRmT2_T3_mT4_T5_T6_T7_T8_P12ihipStream_tbENKUlT_T0_E_clISt17integral_constantIbLb0EES16_EEDaS11_S12_EUlS11_E_NS1_11comp_targetILNS1_3genE10ELNS1_11target_archE1200ELNS1_3gpuE4ELNS1_3repE0EEENS1_30default_config_static_selectorELNS0_4arch9wavefront6targetE1EEEvT1_
    .private_segment_fixed_size: 0
    .sgpr_count:     4
    .sgpr_spill_count: 0
    .symbol:         _ZN7rocprim17ROCPRIM_400000_NS6detail17trampoline_kernelINS0_14default_configENS1_29reduce_by_key_config_selectorIjsN6thrust23THRUST_200600_302600_NS4plusIsEEEEZZNS1_33reduce_by_key_impl_wrapped_configILNS1_25lookback_scan_determinismE0ES3_S9_NS6_6detail15normal_iteratorINS6_10device_ptrIjEEEENSD_INSE_IsEEEENS6_16discard_iteratorINS6_11use_defaultEEESI_PmS8_NS6_8equal_toIjEEEE10hipError_tPvRmT2_T3_mT4_T5_T6_T7_T8_P12ihipStream_tbENKUlT_T0_E_clISt17integral_constantIbLb0EES16_EEDaS11_S12_EUlS11_E_NS1_11comp_targetILNS1_3genE10ELNS1_11target_archE1200ELNS1_3gpuE4ELNS1_3repE0EEENS1_30default_config_static_selectorELNS0_4arch9wavefront6targetE1EEEvT1_.kd
    .uniform_work_group_size: 1
    .uses_dynamic_stack: false
    .vgpr_count:     0
    .vgpr_spill_count: 0
    .wavefront_size: 64
  - .agpr_count:     0
    .args:
      - .offset:         0
        .size:           128
        .value_kind:     by_value
    .group_segment_fixed_size: 0
    .kernarg_segment_align: 8
    .kernarg_segment_size: 128
    .language:       OpenCL C
    .language_version:
      - 2
      - 0
    .max_flat_workgroup_size: 256
    .name:           _ZN7rocprim17ROCPRIM_400000_NS6detail17trampoline_kernelINS0_14default_configENS1_29reduce_by_key_config_selectorIjsN6thrust23THRUST_200600_302600_NS4plusIsEEEEZZNS1_33reduce_by_key_impl_wrapped_configILNS1_25lookback_scan_determinismE0ES3_S9_NS6_6detail15normal_iteratorINS6_10device_ptrIjEEEENSD_INSE_IsEEEENS6_16discard_iteratorINS6_11use_defaultEEESI_PmS8_NS6_8equal_toIjEEEE10hipError_tPvRmT2_T3_mT4_T5_T6_T7_T8_P12ihipStream_tbENKUlT_T0_E_clISt17integral_constantIbLb0EES16_EEDaS11_S12_EUlS11_E_NS1_11comp_targetILNS1_3genE9ELNS1_11target_archE1100ELNS1_3gpuE3ELNS1_3repE0EEENS1_30default_config_static_selectorELNS0_4arch9wavefront6targetE1EEEvT1_
    .private_segment_fixed_size: 0
    .sgpr_count:     4
    .sgpr_spill_count: 0
    .symbol:         _ZN7rocprim17ROCPRIM_400000_NS6detail17trampoline_kernelINS0_14default_configENS1_29reduce_by_key_config_selectorIjsN6thrust23THRUST_200600_302600_NS4plusIsEEEEZZNS1_33reduce_by_key_impl_wrapped_configILNS1_25lookback_scan_determinismE0ES3_S9_NS6_6detail15normal_iteratorINS6_10device_ptrIjEEEENSD_INSE_IsEEEENS6_16discard_iteratorINS6_11use_defaultEEESI_PmS8_NS6_8equal_toIjEEEE10hipError_tPvRmT2_T3_mT4_T5_T6_T7_T8_P12ihipStream_tbENKUlT_T0_E_clISt17integral_constantIbLb0EES16_EEDaS11_S12_EUlS11_E_NS1_11comp_targetILNS1_3genE9ELNS1_11target_archE1100ELNS1_3gpuE3ELNS1_3repE0EEENS1_30default_config_static_selectorELNS0_4arch9wavefront6targetE1EEEvT1_.kd
    .uniform_work_group_size: 1
    .uses_dynamic_stack: false
    .vgpr_count:     0
    .vgpr_spill_count: 0
    .wavefront_size: 64
  - .agpr_count:     0
    .args:
      - .offset:         0
        .size:           128
        .value_kind:     by_value
    .group_segment_fixed_size: 0
    .kernarg_segment_align: 8
    .kernarg_segment_size: 128
    .language:       OpenCL C
    .language_version:
      - 2
      - 0
    .max_flat_workgroup_size: 256
    .name:           _ZN7rocprim17ROCPRIM_400000_NS6detail17trampoline_kernelINS0_14default_configENS1_29reduce_by_key_config_selectorIjsN6thrust23THRUST_200600_302600_NS4plusIsEEEEZZNS1_33reduce_by_key_impl_wrapped_configILNS1_25lookback_scan_determinismE0ES3_S9_NS6_6detail15normal_iteratorINS6_10device_ptrIjEEEENSD_INSE_IsEEEENS6_16discard_iteratorINS6_11use_defaultEEESI_PmS8_NS6_8equal_toIjEEEE10hipError_tPvRmT2_T3_mT4_T5_T6_T7_T8_P12ihipStream_tbENKUlT_T0_E_clISt17integral_constantIbLb0EES16_EEDaS11_S12_EUlS11_E_NS1_11comp_targetILNS1_3genE8ELNS1_11target_archE1030ELNS1_3gpuE2ELNS1_3repE0EEENS1_30default_config_static_selectorELNS0_4arch9wavefront6targetE1EEEvT1_
    .private_segment_fixed_size: 0
    .sgpr_count:     4
    .sgpr_spill_count: 0
    .symbol:         _ZN7rocprim17ROCPRIM_400000_NS6detail17trampoline_kernelINS0_14default_configENS1_29reduce_by_key_config_selectorIjsN6thrust23THRUST_200600_302600_NS4plusIsEEEEZZNS1_33reduce_by_key_impl_wrapped_configILNS1_25lookback_scan_determinismE0ES3_S9_NS6_6detail15normal_iteratorINS6_10device_ptrIjEEEENSD_INSE_IsEEEENS6_16discard_iteratorINS6_11use_defaultEEESI_PmS8_NS6_8equal_toIjEEEE10hipError_tPvRmT2_T3_mT4_T5_T6_T7_T8_P12ihipStream_tbENKUlT_T0_E_clISt17integral_constantIbLb0EES16_EEDaS11_S12_EUlS11_E_NS1_11comp_targetILNS1_3genE8ELNS1_11target_archE1030ELNS1_3gpuE2ELNS1_3repE0EEENS1_30default_config_static_selectorELNS0_4arch9wavefront6targetE1EEEvT1_.kd
    .uniform_work_group_size: 1
    .uses_dynamic_stack: false
    .vgpr_count:     0
    .vgpr_spill_count: 0
    .wavefront_size: 64
  - .agpr_count:     0
    .args:
      - .offset:         0
        .size:           128
        .value_kind:     by_value
    .group_segment_fixed_size: 0
    .kernarg_segment_align: 8
    .kernarg_segment_size: 128
    .language:       OpenCL C
    .language_version:
      - 2
      - 0
    .max_flat_workgroup_size: 256
    .name:           _ZN7rocprim17ROCPRIM_400000_NS6detail17trampoline_kernelINS0_14default_configENS1_29reduce_by_key_config_selectorIjsN6thrust23THRUST_200600_302600_NS4plusIsEEEEZZNS1_33reduce_by_key_impl_wrapped_configILNS1_25lookback_scan_determinismE0ES3_S9_NS6_6detail15normal_iteratorINS6_10device_ptrIjEEEENSD_INSE_IsEEEENS6_16discard_iteratorINS6_11use_defaultEEESI_PmS8_NS6_8equal_toIjEEEE10hipError_tPvRmT2_T3_mT4_T5_T6_T7_T8_P12ihipStream_tbENKUlT_T0_E_clISt17integral_constantIbLb1EES16_EEDaS11_S12_EUlS11_E_NS1_11comp_targetILNS1_3genE0ELNS1_11target_archE4294967295ELNS1_3gpuE0ELNS1_3repE0EEENS1_30default_config_static_selectorELNS0_4arch9wavefront6targetE1EEEvT1_
    .private_segment_fixed_size: 0
    .sgpr_count:     4
    .sgpr_spill_count: 0
    .symbol:         _ZN7rocprim17ROCPRIM_400000_NS6detail17trampoline_kernelINS0_14default_configENS1_29reduce_by_key_config_selectorIjsN6thrust23THRUST_200600_302600_NS4plusIsEEEEZZNS1_33reduce_by_key_impl_wrapped_configILNS1_25lookback_scan_determinismE0ES3_S9_NS6_6detail15normal_iteratorINS6_10device_ptrIjEEEENSD_INSE_IsEEEENS6_16discard_iteratorINS6_11use_defaultEEESI_PmS8_NS6_8equal_toIjEEEE10hipError_tPvRmT2_T3_mT4_T5_T6_T7_T8_P12ihipStream_tbENKUlT_T0_E_clISt17integral_constantIbLb1EES16_EEDaS11_S12_EUlS11_E_NS1_11comp_targetILNS1_3genE0ELNS1_11target_archE4294967295ELNS1_3gpuE0ELNS1_3repE0EEENS1_30default_config_static_selectorELNS0_4arch9wavefront6targetE1EEEvT1_.kd
    .uniform_work_group_size: 1
    .uses_dynamic_stack: false
    .vgpr_count:     0
    .vgpr_spill_count: 0
    .wavefront_size: 64
  - .agpr_count:     0
    .args:
      - .offset:         0
        .size:           128
        .value_kind:     by_value
    .group_segment_fixed_size: 0
    .kernarg_segment_align: 8
    .kernarg_segment_size: 128
    .language:       OpenCL C
    .language_version:
      - 2
      - 0
    .max_flat_workgroup_size: 256
    .name:           _ZN7rocprim17ROCPRIM_400000_NS6detail17trampoline_kernelINS0_14default_configENS1_29reduce_by_key_config_selectorIjsN6thrust23THRUST_200600_302600_NS4plusIsEEEEZZNS1_33reduce_by_key_impl_wrapped_configILNS1_25lookback_scan_determinismE0ES3_S9_NS6_6detail15normal_iteratorINS6_10device_ptrIjEEEENSD_INSE_IsEEEENS6_16discard_iteratorINS6_11use_defaultEEESI_PmS8_NS6_8equal_toIjEEEE10hipError_tPvRmT2_T3_mT4_T5_T6_T7_T8_P12ihipStream_tbENKUlT_T0_E_clISt17integral_constantIbLb1EES16_EEDaS11_S12_EUlS11_E_NS1_11comp_targetILNS1_3genE5ELNS1_11target_archE942ELNS1_3gpuE9ELNS1_3repE0EEENS1_30default_config_static_selectorELNS0_4arch9wavefront6targetE1EEEvT1_
    .private_segment_fixed_size: 0
    .sgpr_count:     4
    .sgpr_spill_count: 0
    .symbol:         _ZN7rocprim17ROCPRIM_400000_NS6detail17trampoline_kernelINS0_14default_configENS1_29reduce_by_key_config_selectorIjsN6thrust23THRUST_200600_302600_NS4plusIsEEEEZZNS1_33reduce_by_key_impl_wrapped_configILNS1_25lookback_scan_determinismE0ES3_S9_NS6_6detail15normal_iteratorINS6_10device_ptrIjEEEENSD_INSE_IsEEEENS6_16discard_iteratorINS6_11use_defaultEEESI_PmS8_NS6_8equal_toIjEEEE10hipError_tPvRmT2_T3_mT4_T5_T6_T7_T8_P12ihipStream_tbENKUlT_T0_E_clISt17integral_constantIbLb1EES16_EEDaS11_S12_EUlS11_E_NS1_11comp_targetILNS1_3genE5ELNS1_11target_archE942ELNS1_3gpuE9ELNS1_3repE0EEENS1_30default_config_static_selectorELNS0_4arch9wavefront6targetE1EEEvT1_.kd
    .uniform_work_group_size: 1
    .uses_dynamic_stack: false
    .vgpr_count:     0
    .vgpr_spill_count: 0
    .wavefront_size: 64
  - .agpr_count:     0
    .args:
      - .offset:         0
        .size:           128
        .value_kind:     by_value
    .group_segment_fixed_size: 15360
    .kernarg_segment_align: 8
    .kernarg_segment_size: 128
    .language:       OpenCL C
    .language_version:
      - 2
      - 0
    .max_flat_workgroup_size: 256
    .name:           _ZN7rocprim17ROCPRIM_400000_NS6detail17trampoline_kernelINS0_14default_configENS1_29reduce_by_key_config_selectorIjsN6thrust23THRUST_200600_302600_NS4plusIsEEEEZZNS1_33reduce_by_key_impl_wrapped_configILNS1_25lookback_scan_determinismE0ES3_S9_NS6_6detail15normal_iteratorINS6_10device_ptrIjEEEENSD_INSE_IsEEEENS6_16discard_iteratorINS6_11use_defaultEEESI_PmS8_NS6_8equal_toIjEEEE10hipError_tPvRmT2_T3_mT4_T5_T6_T7_T8_P12ihipStream_tbENKUlT_T0_E_clISt17integral_constantIbLb1EES16_EEDaS11_S12_EUlS11_E_NS1_11comp_targetILNS1_3genE4ELNS1_11target_archE910ELNS1_3gpuE8ELNS1_3repE0EEENS1_30default_config_static_selectorELNS0_4arch9wavefront6targetE1EEEvT1_
    .private_segment_fixed_size: 0
    .sgpr_count:     68
    .sgpr_spill_count: 0
    .symbol:         _ZN7rocprim17ROCPRIM_400000_NS6detail17trampoline_kernelINS0_14default_configENS1_29reduce_by_key_config_selectorIjsN6thrust23THRUST_200600_302600_NS4plusIsEEEEZZNS1_33reduce_by_key_impl_wrapped_configILNS1_25lookback_scan_determinismE0ES3_S9_NS6_6detail15normal_iteratorINS6_10device_ptrIjEEEENSD_INSE_IsEEEENS6_16discard_iteratorINS6_11use_defaultEEESI_PmS8_NS6_8equal_toIjEEEE10hipError_tPvRmT2_T3_mT4_T5_T6_T7_T8_P12ihipStream_tbENKUlT_T0_E_clISt17integral_constantIbLb1EES16_EEDaS11_S12_EUlS11_E_NS1_11comp_targetILNS1_3genE4ELNS1_11target_archE910ELNS1_3gpuE8ELNS1_3repE0EEENS1_30default_config_static_selectorELNS0_4arch9wavefront6targetE1EEEvT1_.kd
    .uniform_work_group_size: 1
    .uses_dynamic_stack: false
    .vgpr_count:     87
    .vgpr_spill_count: 0
    .wavefront_size: 64
  - .agpr_count:     0
    .args:
      - .offset:         0
        .size:           128
        .value_kind:     by_value
    .group_segment_fixed_size: 0
    .kernarg_segment_align: 8
    .kernarg_segment_size: 128
    .language:       OpenCL C
    .language_version:
      - 2
      - 0
    .max_flat_workgroup_size: 256
    .name:           _ZN7rocprim17ROCPRIM_400000_NS6detail17trampoline_kernelINS0_14default_configENS1_29reduce_by_key_config_selectorIjsN6thrust23THRUST_200600_302600_NS4plusIsEEEEZZNS1_33reduce_by_key_impl_wrapped_configILNS1_25lookback_scan_determinismE0ES3_S9_NS6_6detail15normal_iteratorINS6_10device_ptrIjEEEENSD_INSE_IsEEEENS6_16discard_iteratorINS6_11use_defaultEEESI_PmS8_NS6_8equal_toIjEEEE10hipError_tPvRmT2_T3_mT4_T5_T6_T7_T8_P12ihipStream_tbENKUlT_T0_E_clISt17integral_constantIbLb1EES16_EEDaS11_S12_EUlS11_E_NS1_11comp_targetILNS1_3genE3ELNS1_11target_archE908ELNS1_3gpuE7ELNS1_3repE0EEENS1_30default_config_static_selectorELNS0_4arch9wavefront6targetE1EEEvT1_
    .private_segment_fixed_size: 0
    .sgpr_count:     4
    .sgpr_spill_count: 0
    .symbol:         _ZN7rocprim17ROCPRIM_400000_NS6detail17trampoline_kernelINS0_14default_configENS1_29reduce_by_key_config_selectorIjsN6thrust23THRUST_200600_302600_NS4plusIsEEEEZZNS1_33reduce_by_key_impl_wrapped_configILNS1_25lookback_scan_determinismE0ES3_S9_NS6_6detail15normal_iteratorINS6_10device_ptrIjEEEENSD_INSE_IsEEEENS6_16discard_iteratorINS6_11use_defaultEEESI_PmS8_NS6_8equal_toIjEEEE10hipError_tPvRmT2_T3_mT4_T5_T6_T7_T8_P12ihipStream_tbENKUlT_T0_E_clISt17integral_constantIbLb1EES16_EEDaS11_S12_EUlS11_E_NS1_11comp_targetILNS1_3genE3ELNS1_11target_archE908ELNS1_3gpuE7ELNS1_3repE0EEENS1_30default_config_static_selectorELNS0_4arch9wavefront6targetE1EEEvT1_.kd
    .uniform_work_group_size: 1
    .uses_dynamic_stack: false
    .vgpr_count:     0
    .vgpr_spill_count: 0
    .wavefront_size: 64
  - .agpr_count:     0
    .args:
      - .offset:         0
        .size:           128
        .value_kind:     by_value
    .group_segment_fixed_size: 0
    .kernarg_segment_align: 8
    .kernarg_segment_size: 128
    .language:       OpenCL C
    .language_version:
      - 2
      - 0
    .max_flat_workgroup_size: 256
    .name:           _ZN7rocprim17ROCPRIM_400000_NS6detail17trampoline_kernelINS0_14default_configENS1_29reduce_by_key_config_selectorIjsN6thrust23THRUST_200600_302600_NS4plusIsEEEEZZNS1_33reduce_by_key_impl_wrapped_configILNS1_25lookback_scan_determinismE0ES3_S9_NS6_6detail15normal_iteratorINS6_10device_ptrIjEEEENSD_INSE_IsEEEENS6_16discard_iteratorINS6_11use_defaultEEESI_PmS8_NS6_8equal_toIjEEEE10hipError_tPvRmT2_T3_mT4_T5_T6_T7_T8_P12ihipStream_tbENKUlT_T0_E_clISt17integral_constantIbLb1EES16_EEDaS11_S12_EUlS11_E_NS1_11comp_targetILNS1_3genE2ELNS1_11target_archE906ELNS1_3gpuE6ELNS1_3repE0EEENS1_30default_config_static_selectorELNS0_4arch9wavefront6targetE1EEEvT1_
    .private_segment_fixed_size: 0
    .sgpr_count:     4
    .sgpr_spill_count: 0
    .symbol:         _ZN7rocprim17ROCPRIM_400000_NS6detail17trampoline_kernelINS0_14default_configENS1_29reduce_by_key_config_selectorIjsN6thrust23THRUST_200600_302600_NS4plusIsEEEEZZNS1_33reduce_by_key_impl_wrapped_configILNS1_25lookback_scan_determinismE0ES3_S9_NS6_6detail15normal_iteratorINS6_10device_ptrIjEEEENSD_INSE_IsEEEENS6_16discard_iteratorINS6_11use_defaultEEESI_PmS8_NS6_8equal_toIjEEEE10hipError_tPvRmT2_T3_mT4_T5_T6_T7_T8_P12ihipStream_tbENKUlT_T0_E_clISt17integral_constantIbLb1EES16_EEDaS11_S12_EUlS11_E_NS1_11comp_targetILNS1_3genE2ELNS1_11target_archE906ELNS1_3gpuE6ELNS1_3repE0EEENS1_30default_config_static_selectorELNS0_4arch9wavefront6targetE1EEEvT1_.kd
    .uniform_work_group_size: 1
    .uses_dynamic_stack: false
    .vgpr_count:     0
    .vgpr_spill_count: 0
    .wavefront_size: 64
  - .agpr_count:     0
    .args:
      - .offset:         0
        .size:           128
        .value_kind:     by_value
    .group_segment_fixed_size: 0
    .kernarg_segment_align: 8
    .kernarg_segment_size: 128
    .language:       OpenCL C
    .language_version:
      - 2
      - 0
    .max_flat_workgroup_size: 256
    .name:           _ZN7rocprim17ROCPRIM_400000_NS6detail17trampoline_kernelINS0_14default_configENS1_29reduce_by_key_config_selectorIjsN6thrust23THRUST_200600_302600_NS4plusIsEEEEZZNS1_33reduce_by_key_impl_wrapped_configILNS1_25lookback_scan_determinismE0ES3_S9_NS6_6detail15normal_iteratorINS6_10device_ptrIjEEEENSD_INSE_IsEEEENS6_16discard_iteratorINS6_11use_defaultEEESI_PmS8_NS6_8equal_toIjEEEE10hipError_tPvRmT2_T3_mT4_T5_T6_T7_T8_P12ihipStream_tbENKUlT_T0_E_clISt17integral_constantIbLb1EES16_EEDaS11_S12_EUlS11_E_NS1_11comp_targetILNS1_3genE10ELNS1_11target_archE1201ELNS1_3gpuE5ELNS1_3repE0EEENS1_30default_config_static_selectorELNS0_4arch9wavefront6targetE1EEEvT1_
    .private_segment_fixed_size: 0
    .sgpr_count:     4
    .sgpr_spill_count: 0
    .symbol:         _ZN7rocprim17ROCPRIM_400000_NS6detail17trampoline_kernelINS0_14default_configENS1_29reduce_by_key_config_selectorIjsN6thrust23THRUST_200600_302600_NS4plusIsEEEEZZNS1_33reduce_by_key_impl_wrapped_configILNS1_25lookback_scan_determinismE0ES3_S9_NS6_6detail15normal_iteratorINS6_10device_ptrIjEEEENSD_INSE_IsEEEENS6_16discard_iteratorINS6_11use_defaultEEESI_PmS8_NS6_8equal_toIjEEEE10hipError_tPvRmT2_T3_mT4_T5_T6_T7_T8_P12ihipStream_tbENKUlT_T0_E_clISt17integral_constantIbLb1EES16_EEDaS11_S12_EUlS11_E_NS1_11comp_targetILNS1_3genE10ELNS1_11target_archE1201ELNS1_3gpuE5ELNS1_3repE0EEENS1_30default_config_static_selectorELNS0_4arch9wavefront6targetE1EEEvT1_.kd
    .uniform_work_group_size: 1
    .uses_dynamic_stack: false
    .vgpr_count:     0
    .vgpr_spill_count: 0
    .wavefront_size: 64
  - .agpr_count:     0
    .args:
      - .offset:         0
        .size:           128
        .value_kind:     by_value
    .group_segment_fixed_size: 0
    .kernarg_segment_align: 8
    .kernarg_segment_size: 128
    .language:       OpenCL C
    .language_version:
      - 2
      - 0
    .max_flat_workgroup_size: 256
    .name:           _ZN7rocprim17ROCPRIM_400000_NS6detail17trampoline_kernelINS0_14default_configENS1_29reduce_by_key_config_selectorIjsN6thrust23THRUST_200600_302600_NS4plusIsEEEEZZNS1_33reduce_by_key_impl_wrapped_configILNS1_25lookback_scan_determinismE0ES3_S9_NS6_6detail15normal_iteratorINS6_10device_ptrIjEEEENSD_INSE_IsEEEENS6_16discard_iteratorINS6_11use_defaultEEESI_PmS8_NS6_8equal_toIjEEEE10hipError_tPvRmT2_T3_mT4_T5_T6_T7_T8_P12ihipStream_tbENKUlT_T0_E_clISt17integral_constantIbLb1EES16_EEDaS11_S12_EUlS11_E_NS1_11comp_targetILNS1_3genE10ELNS1_11target_archE1200ELNS1_3gpuE4ELNS1_3repE0EEENS1_30default_config_static_selectorELNS0_4arch9wavefront6targetE1EEEvT1_
    .private_segment_fixed_size: 0
    .sgpr_count:     4
    .sgpr_spill_count: 0
    .symbol:         _ZN7rocprim17ROCPRIM_400000_NS6detail17trampoline_kernelINS0_14default_configENS1_29reduce_by_key_config_selectorIjsN6thrust23THRUST_200600_302600_NS4plusIsEEEEZZNS1_33reduce_by_key_impl_wrapped_configILNS1_25lookback_scan_determinismE0ES3_S9_NS6_6detail15normal_iteratorINS6_10device_ptrIjEEEENSD_INSE_IsEEEENS6_16discard_iteratorINS6_11use_defaultEEESI_PmS8_NS6_8equal_toIjEEEE10hipError_tPvRmT2_T3_mT4_T5_T6_T7_T8_P12ihipStream_tbENKUlT_T0_E_clISt17integral_constantIbLb1EES16_EEDaS11_S12_EUlS11_E_NS1_11comp_targetILNS1_3genE10ELNS1_11target_archE1200ELNS1_3gpuE4ELNS1_3repE0EEENS1_30default_config_static_selectorELNS0_4arch9wavefront6targetE1EEEvT1_.kd
    .uniform_work_group_size: 1
    .uses_dynamic_stack: false
    .vgpr_count:     0
    .vgpr_spill_count: 0
    .wavefront_size: 64
  - .agpr_count:     0
    .args:
      - .offset:         0
        .size:           128
        .value_kind:     by_value
    .group_segment_fixed_size: 0
    .kernarg_segment_align: 8
    .kernarg_segment_size: 128
    .language:       OpenCL C
    .language_version:
      - 2
      - 0
    .max_flat_workgroup_size: 256
    .name:           _ZN7rocprim17ROCPRIM_400000_NS6detail17trampoline_kernelINS0_14default_configENS1_29reduce_by_key_config_selectorIjsN6thrust23THRUST_200600_302600_NS4plusIsEEEEZZNS1_33reduce_by_key_impl_wrapped_configILNS1_25lookback_scan_determinismE0ES3_S9_NS6_6detail15normal_iteratorINS6_10device_ptrIjEEEENSD_INSE_IsEEEENS6_16discard_iteratorINS6_11use_defaultEEESI_PmS8_NS6_8equal_toIjEEEE10hipError_tPvRmT2_T3_mT4_T5_T6_T7_T8_P12ihipStream_tbENKUlT_T0_E_clISt17integral_constantIbLb1EES16_EEDaS11_S12_EUlS11_E_NS1_11comp_targetILNS1_3genE9ELNS1_11target_archE1100ELNS1_3gpuE3ELNS1_3repE0EEENS1_30default_config_static_selectorELNS0_4arch9wavefront6targetE1EEEvT1_
    .private_segment_fixed_size: 0
    .sgpr_count:     4
    .sgpr_spill_count: 0
    .symbol:         _ZN7rocprim17ROCPRIM_400000_NS6detail17trampoline_kernelINS0_14default_configENS1_29reduce_by_key_config_selectorIjsN6thrust23THRUST_200600_302600_NS4plusIsEEEEZZNS1_33reduce_by_key_impl_wrapped_configILNS1_25lookback_scan_determinismE0ES3_S9_NS6_6detail15normal_iteratorINS6_10device_ptrIjEEEENSD_INSE_IsEEEENS6_16discard_iteratorINS6_11use_defaultEEESI_PmS8_NS6_8equal_toIjEEEE10hipError_tPvRmT2_T3_mT4_T5_T6_T7_T8_P12ihipStream_tbENKUlT_T0_E_clISt17integral_constantIbLb1EES16_EEDaS11_S12_EUlS11_E_NS1_11comp_targetILNS1_3genE9ELNS1_11target_archE1100ELNS1_3gpuE3ELNS1_3repE0EEENS1_30default_config_static_selectorELNS0_4arch9wavefront6targetE1EEEvT1_.kd
    .uniform_work_group_size: 1
    .uses_dynamic_stack: false
    .vgpr_count:     0
    .vgpr_spill_count: 0
    .wavefront_size: 64
  - .agpr_count:     0
    .args:
      - .offset:         0
        .size:           128
        .value_kind:     by_value
    .group_segment_fixed_size: 0
    .kernarg_segment_align: 8
    .kernarg_segment_size: 128
    .language:       OpenCL C
    .language_version:
      - 2
      - 0
    .max_flat_workgroup_size: 256
    .name:           _ZN7rocprim17ROCPRIM_400000_NS6detail17trampoline_kernelINS0_14default_configENS1_29reduce_by_key_config_selectorIjsN6thrust23THRUST_200600_302600_NS4plusIsEEEEZZNS1_33reduce_by_key_impl_wrapped_configILNS1_25lookback_scan_determinismE0ES3_S9_NS6_6detail15normal_iteratorINS6_10device_ptrIjEEEENSD_INSE_IsEEEENS6_16discard_iteratorINS6_11use_defaultEEESI_PmS8_NS6_8equal_toIjEEEE10hipError_tPvRmT2_T3_mT4_T5_T6_T7_T8_P12ihipStream_tbENKUlT_T0_E_clISt17integral_constantIbLb1EES16_EEDaS11_S12_EUlS11_E_NS1_11comp_targetILNS1_3genE8ELNS1_11target_archE1030ELNS1_3gpuE2ELNS1_3repE0EEENS1_30default_config_static_selectorELNS0_4arch9wavefront6targetE1EEEvT1_
    .private_segment_fixed_size: 0
    .sgpr_count:     4
    .sgpr_spill_count: 0
    .symbol:         _ZN7rocprim17ROCPRIM_400000_NS6detail17trampoline_kernelINS0_14default_configENS1_29reduce_by_key_config_selectorIjsN6thrust23THRUST_200600_302600_NS4plusIsEEEEZZNS1_33reduce_by_key_impl_wrapped_configILNS1_25lookback_scan_determinismE0ES3_S9_NS6_6detail15normal_iteratorINS6_10device_ptrIjEEEENSD_INSE_IsEEEENS6_16discard_iteratorINS6_11use_defaultEEESI_PmS8_NS6_8equal_toIjEEEE10hipError_tPvRmT2_T3_mT4_T5_T6_T7_T8_P12ihipStream_tbENKUlT_T0_E_clISt17integral_constantIbLb1EES16_EEDaS11_S12_EUlS11_E_NS1_11comp_targetILNS1_3genE8ELNS1_11target_archE1030ELNS1_3gpuE2ELNS1_3repE0EEENS1_30default_config_static_selectorELNS0_4arch9wavefront6targetE1EEEvT1_.kd
    .uniform_work_group_size: 1
    .uses_dynamic_stack: false
    .vgpr_count:     0
    .vgpr_spill_count: 0
    .wavefront_size: 64
  - .agpr_count:     0
    .args:
      - .offset:         0
        .size:           128
        .value_kind:     by_value
    .group_segment_fixed_size: 0
    .kernarg_segment_align: 8
    .kernarg_segment_size: 128
    .language:       OpenCL C
    .language_version:
      - 2
      - 0
    .max_flat_workgroup_size: 256
    .name:           _ZN7rocprim17ROCPRIM_400000_NS6detail17trampoline_kernelINS0_14default_configENS1_29reduce_by_key_config_selectorIjsN6thrust23THRUST_200600_302600_NS4plusIsEEEEZZNS1_33reduce_by_key_impl_wrapped_configILNS1_25lookback_scan_determinismE0ES3_S9_NS6_6detail15normal_iteratorINS6_10device_ptrIjEEEENSD_INSE_IsEEEENS6_16discard_iteratorINS6_11use_defaultEEESI_PmS8_NS6_8equal_toIjEEEE10hipError_tPvRmT2_T3_mT4_T5_T6_T7_T8_P12ihipStream_tbENKUlT_T0_E_clISt17integral_constantIbLb1EES15_IbLb0EEEEDaS11_S12_EUlS11_E_NS1_11comp_targetILNS1_3genE0ELNS1_11target_archE4294967295ELNS1_3gpuE0ELNS1_3repE0EEENS1_30default_config_static_selectorELNS0_4arch9wavefront6targetE1EEEvT1_
    .private_segment_fixed_size: 0
    .sgpr_count:     4
    .sgpr_spill_count: 0
    .symbol:         _ZN7rocprim17ROCPRIM_400000_NS6detail17trampoline_kernelINS0_14default_configENS1_29reduce_by_key_config_selectorIjsN6thrust23THRUST_200600_302600_NS4plusIsEEEEZZNS1_33reduce_by_key_impl_wrapped_configILNS1_25lookback_scan_determinismE0ES3_S9_NS6_6detail15normal_iteratorINS6_10device_ptrIjEEEENSD_INSE_IsEEEENS6_16discard_iteratorINS6_11use_defaultEEESI_PmS8_NS6_8equal_toIjEEEE10hipError_tPvRmT2_T3_mT4_T5_T6_T7_T8_P12ihipStream_tbENKUlT_T0_E_clISt17integral_constantIbLb1EES15_IbLb0EEEEDaS11_S12_EUlS11_E_NS1_11comp_targetILNS1_3genE0ELNS1_11target_archE4294967295ELNS1_3gpuE0ELNS1_3repE0EEENS1_30default_config_static_selectorELNS0_4arch9wavefront6targetE1EEEvT1_.kd
    .uniform_work_group_size: 1
    .uses_dynamic_stack: false
    .vgpr_count:     0
    .vgpr_spill_count: 0
    .wavefront_size: 64
  - .agpr_count:     0
    .args:
      - .offset:         0
        .size:           128
        .value_kind:     by_value
    .group_segment_fixed_size: 0
    .kernarg_segment_align: 8
    .kernarg_segment_size: 128
    .language:       OpenCL C
    .language_version:
      - 2
      - 0
    .max_flat_workgroup_size: 256
    .name:           _ZN7rocprim17ROCPRIM_400000_NS6detail17trampoline_kernelINS0_14default_configENS1_29reduce_by_key_config_selectorIjsN6thrust23THRUST_200600_302600_NS4plusIsEEEEZZNS1_33reduce_by_key_impl_wrapped_configILNS1_25lookback_scan_determinismE0ES3_S9_NS6_6detail15normal_iteratorINS6_10device_ptrIjEEEENSD_INSE_IsEEEENS6_16discard_iteratorINS6_11use_defaultEEESI_PmS8_NS6_8equal_toIjEEEE10hipError_tPvRmT2_T3_mT4_T5_T6_T7_T8_P12ihipStream_tbENKUlT_T0_E_clISt17integral_constantIbLb1EES15_IbLb0EEEEDaS11_S12_EUlS11_E_NS1_11comp_targetILNS1_3genE5ELNS1_11target_archE942ELNS1_3gpuE9ELNS1_3repE0EEENS1_30default_config_static_selectorELNS0_4arch9wavefront6targetE1EEEvT1_
    .private_segment_fixed_size: 0
    .sgpr_count:     4
    .sgpr_spill_count: 0
    .symbol:         _ZN7rocprim17ROCPRIM_400000_NS6detail17trampoline_kernelINS0_14default_configENS1_29reduce_by_key_config_selectorIjsN6thrust23THRUST_200600_302600_NS4plusIsEEEEZZNS1_33reduce_by_key_impl_wrapped_configILNS1_25lookback_scan_determinismE0ES3_S9_NS6_6detail15normal_iteratorINS6_10device_ptrIjEEEENSD_INSE_IsEEEENS6_16discard_iteratorINS6_11use_defaultEEESI_PmS8_NS6_8equal_toIjEEEE10hipError_tPvRmT2_T3_mT4_T5_T6_T7_T8_P12ihipStream_tbENKUlT_T0_E_clISt17integral_constantIbLb1EES15_IbLb0EEEEDaS11_S12_EUlS11_E_NS1_11comp_targetILNS1_3genE5ELNS1_11target_archE942ELNS1_3gpuE9ELNS1_3repE0EEENS1_30default_config_static_selectorELNS0_4arch9wavefront6targetE1EEEvT1_.kd
    .uniform_work_group_size: 1
    .uses_dynamic_stack: false
    .vgpr_count:     0
    .vgpr_spill_count: 0
    .wavefront_size: 64
  - .agpr_count:     0
    .args:
      - .offset:         0
        .size:           128
        .value_kind:     by_value
    .group_segment_fixed_size: 15360
    .kernarg_segment_align: 8
    .kernarg_segment_size: 128
    .language:       OpenCL C
    .language_version:
      - 2
      - 0
    .max_flat_workgroup_size: 256
    .name:           _ZN7rocprim17ROCPRIM_400000_NS6detail17trampoline_kernelINS0_14default_configENS1_29reduce_by_key_config_selectorIjsN6thrust23THRUST_200600_302600_NS4plusIsEEEEZZNS1_33reduce_by_key_impl_wrapped_configILNS1_25lookback_scan_determinismE0ES3_S9_NS6_6detail15normal_iteratorINS6_10device_ptrIjEEEENSD_INSE_IsEEEENS6_16discard_iteratorINS6_11use_defaultEEESI_PmS8_NS6_8equal_toIjEEEE10hipError_tPvRmT2_T3_mT4_T5_T6_T7_T8_P12ihipStream_tbENKUlT_T0_E_clISt17integral_constantIbLb1EES15_IbLb0EEEEDaS11_S12_EUlS11_E_NS1_11comp_targetILNS1_3genE4ELNS1_11target_archE910ELNS1_3gpuE8ELNS1_3repE0EEENS1_30default_config_static_selectorELNS0_4arch9wavefront6targetE1EEEvT1_
    .private_segment_fixed_size: 0
    .sgpr_count:     64
    .sgpr_spill_count: 0
    .symbol:         _ZN7rocprim17ROCPRIM_400000_NS6detail17trampoline_kernelINS0_14default_configENS1_29reduce_by_key_config_selectorIjsN6thrust23THRUST_200600_302600_NS4plusIsEEEEZZNS1_33reduce_by_key_impl_wrapped_configILNS1_25lookback_scan_determinismE0ES3_S9_NS6_6detail15normal_iteratorINS6_10device_ptrIjEEEENSD_INSE_IsEEEENS6_16discard_iteratorINS6_11use_defaultEEESI_PmS8_NS6_8equal_toIjEEEE10hipError_tPvRmT2_T3_mT4_T5_T6_T7_T8_P12ihipStream_tbENKUlT_T0_E_clISt17integral_constantIbLb1EES15_IbLb0EEEEDaS11_S12_EUlS11_E_NS1_11comp_targetILNS1_3genE4ELNS1_11target_archE910ELNS1_3gpuE8ELNS1_3repE0EEENS1_30default_config_static_selectorELNS0_4arch9wavefront6targetE1EEEvT1_.kd
    .uniform_work_group_size: 1
    .uses_dynamic_stack: false
    .vgpr_count:     87
    .vgpr_spill_count: 0
    .wavefront_size: 64
  - .agpr_count:     0
    .args:
      - .offset:         0
        .size:           128
        .value_kind:     by_value
    .group_segment_fixed_size: 0
    .kernarg_segment_align: 8
    .kernarg_segment_size: 128
    .language:       OpenCL C
    .language_version:
      - 2
      - 0
    .max_flat_workgroup_size: 256
    .name:           _ZN7rocprim17ROCPRIM_400000_NS6detail17trampoline_kernelINS0_14default_configENS1_29reduce_by_key_config_selectorIjsN6thrust23THRUST_200600_302600_NS4plusIsEEEEZZNS1_33reduce_by_key_impl_wrapped_configILNS1_25lookback_scan_determinismE0ES3_S9_NS6_6detail15normal_iteratorINS6_10device_ptrIjEEEENSD_INSE_IsEEEENS6_16discard_iteratorINS6_11use_defaultEEESI_PmS8_NS6_8equal_toIjEEEE10hipError_tPvRmT2_T3_mT4_T5_T6_T7_T8_P12ihipStream_tbENKUlT_T0_E_clISt17integral_constantIbLb1EES15_IbLb0EEEEDaS11_S12_EUlS11_E_NS1_11comp_targetILNS1_3genE3ELNS1_11target_archE908ELNS1_3gpuE7ELNS1_3repE0EEENS1_30default_config_static_selectorELNS0_4arch9wavefront6targetE1EEEvT1_
    .private_segment_fixed_size: 0
    .sgpr_count:     4
    .sgpr_spill_count: 0
    .symbol:         _ZN7rocprim17ROCPRIM_400000_NS6detail17trampoline_kernelINS0_14default_configENS1_29reduce_by_key_config_selectorIjsN6thrust23THRUST_200600_302600_NS4plusIsEEEEZZNS1_33reduce_by_key_impl_wrapped_configILNS1_25lookback_scan_determinismE0ES3_S9_NS6_6detail15normal_iteratorINS6_10device_ptrIjEEEENSD_INSE_IsEEEENS6_16discard_iteratorINS6_11use_defaultEEESI_PmS8_NS6_8equal_toIjEEEE10hipError_tPvRmT2_T3_mT4_T5_T6_T7_T8_P12ihipStream_tbENKUlT_T0_E_clISt17integral_constantIbLb1EES15_IbLb0EEEEDaS11_S12_EUlS11_E_NS1_11comp_targetILNS1_3genE3ELNS1_11target_archE908ELNS1_3gpuE7ELNS1_3repE0EEENS1_30default_config_static_selectorELNS0_4arch9wavefront6targetE1EEEvT1_.kd
    .uniform_work_group_size: 1
    .uses_dynamic_stack: false
    .vgpr_count:     0
    .vgpr_spill_count: 0
    .wavefront_size: 64
  - .agpr_count:     0
    .args:
      - .offset:         0
        .size:           128
        .value_kind:     by_value
    .group_segment_fixed_size: 0
    .kernarg_segment_align: 8
    .kernarg_segment_size: 128
    .language:       OpenCL C
    .language_version:
      - 2
      - 0
    .max_flat_workgroup_size: 256
    .name:           _ZN7rocprim17ROCPRIM_400000_NS6detail17trampoline_kernelINS0_14default_configENS1_29reduce_by_key_config_selectorIjsN6thrust23THRUST_200600_302600_NS4plusIsEEEEZZNS1_33reduce_by_key_impl_wrapped_configILNS1_25lookback_scan_determinismE0ES3_S9_NS6_6detail15normal_iteratorINS6_10device_ptrIjEEEENSD_INSE_IsEEEENS6_16discard_iteratorINS6_11use_defaultEEESI_PmS8_NS6_8equal_toIjEEEE10hipError_tPvRmT2_T3_mT4_T5_T6_T7_T8_P12ihipStream_tbENKUlT_T0_E_clISt17integral_constantIbLb1EES15_IbLb0EEEEDaS11_S12_EUlS11_E_NS1_11comp_targetILNS1_3genE2ELNS1_11target_archE906ELNS1_3gpuE6ELNS1_3repE0EEENS1_30default_config_static_selectorELNS0_4arch9wavefront6targetE1EEEvT1_
    .private_segment_fixed_size: 0
    .sgpr_count:     4
    .sgpr_spill_count: 0
    .symbol:         _ZN7rocprim17ROCPRIM_400000_NS6detail17trampoline_kernelINS0_14default_configENS1_29reduce_by_key_config_selectorIjsN6thrust23THRUST_200600_302600_NS4plusIsEEEEZZNS1_33reduce_by_key_impl_wrapped_configILNS1_25lookback_scan_determinismE0ES3_S9_NS6_6detail15normal_iteratorINS6_10device_ptrIjEEEENSD_INSE_IsEEEENS6_16discard_iteratorINS6_11use_defaultEEESI_PmS8_NS6_8equal_toIjEEEE10hipError_tPvRmT2_T3_mT4_T5_T6_T7_T8_P12ihipStream_tbENKUlT_T0_E_clISt17integral_constantIbLb1EES15_IbLb0EEEEDaS11_S12_EUlS11_E_NS1_11comp_targetILNS1_3genE2ELNS1_11target_archE906ELNS1_3gpuE6ELNS1_3repE0EEENS1_30default_config_static_selectorELNS0_4arch9wavefront6targetE1EEEvT1_.kd
    .uniform_work_group_size: 1
    .uses_dynamic_stack: false
    .vgpr_count:     0
    .vgpr_spill_count: 0
    .wavefront_size: 64
  - .agpr_count:     0
    .args:
      - .offset:         0
        .size:           128
        .value_kind:     by_value
    .group_segment_fixed_size: 0
    .kernarg_segment_align: 8
    .kernarg_segment_size: 128
    .language:       OpenCL C
    .language_version:
      - 2
      - 0
    .max_flat_workgroup_size: 256
    .name:           _ZN7rocprim17ROCPRIM_400000_NS6detail17trampoline_kernelINS0_14default_configENS1_29reduce_by_key_config_selectorIjsN6thrust23THRUST_200600_302600_NS4plusIsEEEEZZNS1_33reduce_by_key_impl_wrapped_configILNS1_25lookback_scan_determinismE0ES3_S9_NS6_6detail15normal_iteratorINS6_10device_ptrIjEEEENSD_INSE_IsEEEENS6_16discard_iteratorINS6_11use_defaultEEESI_PmS8_NS6_8equal_toIjEEEE10hipError_tPvRmT2_T3_mT4_T5_T6_T7_T8_P12ihipStream_tbENKUlT_T0_E_clISt17integral_constantIbLb1EES15_IbLb0EEEEDaS11_S12_EUlS11_E_NS1_11comp_targetILNS1_3genE10ELNS1_11target_archE1201ELNS1_3gpuE5ELNS1_3repE0EEENS1_30default_config_static_selectorELNS0_4arch9wavefront6targetE1EEEvT1_
    .private_segment_fixed_size: 0
    .sgpr_count:     4
    .sgpr_spill_count: 0
    .symbol:         _ZN7rocprim17ROCPRIM_400000_NS6detail17trampoline_kernelINS0_14default_configENS1_29reduce_by_key_config_selectorIjsN6thrust23THRUST_200600_302600_NS4plusIsEEEEZZNS1_33reduce_by_key_impl_wrapped_configILNS1_25lookback_scan_determinismE0ES3_S9_NS6_6detail15normal_iteratorINS6_10device_ptrIjEEEENSD_INSE_IsEEEENS6_16discard_iteratorINS6_11use_defaultEEESI_PmS8_NS6_8equal_toIjEEEE10hipError_tPvRmT2_T3_mT4_T5_T6_T7_T8_P12ihipStream_tbENKUlT_T0_E_clISt17integral_constantIbLb1EES15_IbLb0EEEEDaS11_S12_EUlS11_E_NS1_11comp_targetILNS1_3genE10ELNS1_11target_archE1201ELNS1_3gpuE5ELNS1_3repE0EEENS1_30default_config_static_selectorELNS0_4arch9wavefront6targetE1EEEvT1_.kd
    .uniform_work_group_size: 1
    .uses_dynamic_stack: false
    .vgpr_count:     0
    .vgpr_spill_count: 0
    .wavefront_size: 64
  - .agpr_count:     0
    .args:
      - .offset:         0
        .size:           128
        .value_kind:     by_value
    .group_segment_fixed_size: 0
    .kernarg_segment_align: 8
    .kernarg_segment_size: 128
    .language:       OpenCL C
    .language_version:
      - 2
      - 0
    .max_flat_workgroup_size: 256
    .name:           _ZN7rocprim17ROCPRIM_400000_NS6detail17trampoline_kernelINS0_14default_configENS1_29reduce_by_key_config_selectorIjsN6thrust23THRUST_200600_302600_NS4plusIsEEEEZZNS1_33reduce_by_key_impl_wrapped_configILNS1_25lookback_scan_determinismE0ES3_S9_NS6_6detail15normal_iteratorINS6_10device_ptrIjEEEENSD_INSE_IsEEEENS6_16discard_iteratorINS6_11use_defaultEEESI_PmS8_NS6_8equal_toIjEEEE10hipError_tPvRmT2_T3_mT4_T5_T6_T7_T8_P12ihipStream_tbENKUlT_T0_E_clISt17integral_constantIbLb1EES15_IbLb0EEEEDaS11_S12_EUlS11_E_NS1_11comp_targetILNS1_3genE10ELNS1_11target_archE1200ELNS1_3gpuE4ELNS1_3repE0EEENS1_30default_config_static_selectorELNS0_4arch9wavefront6targetE1EEEvT1_
    .private_segment_fixed_size: 0
    .sgpr_count:     4
    .sgpr_spill_count: 0
    .symbol:         _ZN7rocprim17ROCPRIM_400000_NS6detail17trampoline_kernelINS0_14default_configENS1_29reduce_by_key_config_selectorIjsN6thrust23THRUST_200600_302600_NS4plusIsEEEEZZNS1_33reduce_by_key_impl_wrapped_configILNS1_25lookback_scan_determinismE0ES3_S9_NS6_6detail15normal_iteratorINS6_10device_ptrIjEEEENSD_INSE_IsEEEENS6_16discard_iteratorINS6_11use_defaultEEESI_PmS8_NS6_8equal_toIjEEEE10hipError_tPvRmT2_T3_mT4_T5_T6_T7_T8_P12ihipStream_tbENKUlT_T0_E_clISt17integral_constantIbLb1EES15_IbLb0EEEEDaS11_S12_EUlS11_E_NS1_11comp_targetILNS1_3genE10ELNS1_11target_archE1200ELNS1_3gpuE4ELNS1_3repE0EEENS1_30default_config_static_selectorELNS0_4arch9wavefront6targetE1EEEvT1_.kd
    .uniform_work_group_size: 1
    .uses_dynamic_stack: false
    .vgpr_count:     0
    .vgpr_spill_count: 0
    .wavefront_size: 64
  - .agpr_count:     0
    .args:
      - .offset:         0
        .size:           128
        .value_kind:     by_value
    .group_segment_fixed_size: 0
    .kernarg_segment_align: 8
    .kernarg_segment_size: 128
    .language:       OpenCL C
    .language_version:
      - 2
      - 0
    .max_flat_workgroup_size: 256
    .name:           _ZN7rocprim17ROCPRIM_400000_NS6detail17trampoline_kernelINS0_14default_configENS1_29reduce_by_key_config_selectorIjsN6thrust23THRUST_200600_302600_NS4plusIsEEEEZZNS1_33reduce_by_key_impl_wrapped_configILNS1_25lookback_scan_determinismE0ES3_S9_NS6_6detail15normal_iteratorINS6_10device_ptrIjEEEENSD_INSE_IsEEEENS6_16discard_iteratorINS6_11use_defaultEEESI_PmS8_NS6_8equal_toIjEEEE10hipError_tPvRmT2_T3_mT4_T5_T6_T7_T8_P12ihipStream_tbENKUlT_T0_E_clISt17integral_constantIbLb1EES15_IbLb0EEEEDaS11_S12_EUlS11_E_NS1_11comp_targetILNS1_3genE9ELNS1_11target_archE1100ELNS1_3gpuE3ELNS1_3repE0EEENS1_30default_config_static_selectorELNS0_4arch9wavefront6targetE1EEEvT1_
    .private_segment_fixed_size: 0
    .sgpr_count:     4
    .sgpr_spill_count: 0
    .symbol:         _ZN7rocprim17ROCPRIM_400000_NS6detail17trampoline_kernelINS0_14default_configENS1_29reduce_by_key_config_selectorIjsN6thrust23THRUST_200600_302600_NS4plusIsEEEEZZNS1_33reduce_by_key_impl_wrapped_configILNS1_25lookback_scan_determinismE0ES3_S9_NS6_6detail15normal_iteratorINS6_10device_ptrIjEEEENSD_INSE_IsEEEENS6_16discard_iteratorINS6_11use_defaultEEESI_PmS8_NS6_8equal_toIjEEEE10hipError_tPvRmT2_T3_mT4_T5_T6_T7_T8_P12ihipStream_tbENKUlT_T0_E_clISt17integral_constantIbLb1EES15_IbLb0EEEEDaS11_S12_EUlS11_E_NS1_11comp_targetILNS1_3genE9ELNS1_11target_archE1100ELNS1_3gpuE3ELNS1_3repE0EEENS1_30default_config_static_selectorELNS0_4arch9wavefront6targetE1EEEvT1_.kd
    .uniform_work_group_size: 1
    .uses_dynamic_stack: false
    .vgpr_count:     0
    .vgpr_spill_count: 0
    .wavefront_size: 64
  - .agpr_count:     0
    .args:
      - .offset:         0
        .size:           128
        .value_kind:     by_value
    .group_segment_fixed_size: 0
    .kernarg_segment_align: 8
    .kernarg_segment_size: 128
    .language:       OpenCL C
    .language_version:
      - 2
      - 0
    .max_flat_workgroup_size: 256
    .name:           _ZN7rocprim17ROCPRIM_400000_NS6detail17trampoline_kernelINS0_14default_configENS1_29reduce_by_key_config_selectorIjsN6thrust23THRUST_200600_302600_NS4plusIsEEEEZZNS1_33reduce_by_key_impl_wrapped_configILNS1_25lookback_scan_determinismE0ES3_S9_NS6_6detail15normal_iteratorINS6_10device_ptrIjEEEENSD_INSE_IsEEEENS6_16discard_iteratorINS6_11use_defaultEEESI_PmS8_NS6_8equal_toIjEEEE10hipError_tPvRmT2_T3_mT4_T5_T6_T7_T8_P12ihipStream_tbENKUlT_T0_E_clISt17integral_constantIbLb1EES15_IbLb0EEEEDaS11_S12_EUlS11_E_NS1_11comp_targetILNS1_3genE8ELNS1_11target_archE1030ELNS1_3gpuE2ELNS1_3repE0EEENS1_30default_config_static_selectorELNS0_4arch9wavefront6targetE1EEEvT1_
    .private_segment_fixed_size: 0
    .sgpr_count:     4
    .sgpr_spill_count: 0
    .symbol:         _ZN7rocprim17ROCPRIM_400000_NS6detail17trampoline_kernelINS0_14default_configENS1_29reduce_by_key_config_selectorIjsN6thrust23THRUST_200600_302600_NS4plusIsEEEEZZNS1_33reduce_by_key_impl_wrapped_configILNS1_25lookback_scan_determinismE0ES3_S9_NS6_6detail15normal_iteratorINS6_10device_ptrIjEEEENSD_INSE_IsEEEENS6_16discard_iteratorINS6_11use_defaultEEESI_PmS8_NS6_8equal_toIjEEEE10hipError_tPvRmT2_T3_mT4_T5_T6_T7_T8_P12ihipStream_tbENKUlT_T0_E_clISt17integral_constantIbLb1EES15_IbLb0EEEEDaS11_S12_EUlS11_E_NS1_11comp_targetILNS1_3genE8ELNS1_11target_archE1030ELNS1_3gpuE2ELNS1_3repE0EEENS1_30default_config_static_selectorELNS0_4arch9wavefront6targetE1EEEvT1_.kd
    .uniform_work_group_size: 1
    .uses_dynamic_stack: false
    .vgpr_count:     0
    .vgpr_spill_count: 0
    .wavefront_size: 64
  - .agpr_count:     0
    .args:
      - .offset:         0
        .size:           128
        .value_kind:     by_value
    .group_segment_fixed_size: 0
    .kernarg_segment_align: 8
    .kernarg_segment_size: 128
    .language:       OpenCL C
    .language_version:
      - 2
      - 0
    .max_flat_workgroup_size: 256
    .name:           _ZN7rocprim17ROCPRIM_400000_NS6detail17trampoline_kernelINS0_14default_configENS1_29reduce_by_key_config_selectorIjsN6thrust23THRUST_200600_302600_NS4plusIsEEEEZZNS1_33reduce_by_key_impl_wrapped_configILNS1_25lookback_scan_determinismE0ES3_S9_NS6_6detail15normal_iteratorINS6_10device_ptrIjEEEENSD_INSE_IsEEEENS6_16discard_iteratorINS6_11use_defaultEEESI_PmS8_NS6_8equal_toIjEEEE10hipError_tPvRmT2_T3_mT4_T5_T6_T7_T8_P12ihipStream_tbENKUlT_T0_E_clISt17integral_constantIbLb0EES15_IbLb1EEEEDaS11_S12_EUlS11_E_NS1_11comp_targetILNS1_3genE0ELNS1_11target_archE4294967295ELNS1_3gpuE0ELNS1_3repE0EEENS1_30default_config_static_selectorELNS0_4arch9wavefront6targetE1EEEvT1_
    .private_segment_fixed_size: 0
    .sgpr_count:     4
    .sgpr_spill_count: 0
    .symbol:         _ZN7rocprim17ROCPRIM_400000_NS6detail17trampoline_kernelINS0_14default_configENS1_29reduce_by_key_config_selectorIjsN6thrust23THRUST_200600_302600_NS4plusIsEEEEZZNS1_33reduce_by_key_impl_wrapped_configILNS1_25lookback_scan_determinismE0ES3_S9_NS6_6detail15normal_iteratorINS6_10device_ptrIjEEEENSD_INSE_IsEEEENS6_16discard_iteratorINS6_11use_defaultEEESI_PmS8_NS6_8equal_toIjEEEE10hipError_tPvRmT2_T3_mT4_T5_T6_T7_T8_P12ihipStream_tbENKUlT_T0_E_clISt17integral_constantIbLb0EES15_IbLb1EEEEDaS11_S12_EUlS11_E_NS1_11comp_targetILNS1_3genE0ELNS1_11target_archE4294967295ELNS1_3gpuE0ELNS1_3repE0EEENS1_30default_config_static_selectorELNS0_4arch9wavefront6targetE1EEEvT1_.kd
    .uniform_work_group_size: 1
    .uses_dynamic_stack: false
    .vgpr_count:     0
    .vgpr_spill_count: 0
    .wavefront_size: 64
  - .agpr_count:     0
    .args:
      - .offset:         0
        .size:           128
        .value_kind:     by_value
    .group_segment_fixed_size: 0
    .kernarg_segment_align: 8
    .kernarg_segment_size: 128
    .language:       OpenCL C
    .language_version:
      - 2
      - 0
    .max_flat_workgroup_size: 256
    .name:           _ZN7rocprim17ROCPRIM_400000_NS6detail17trampoline_kernelINS0_14default_configENS1_29reduce_by_key_config_selectorIjsN6thrust23THRUST_200600_302600_NS4plusIsEEEEZZNS1_33reduce_by_key_impl_wrapped_configILNS1_25lookback_scan_determinismE0ES3_S9_NS6_6detail15normal_iteratorINS6_10device_ptrIjEEEENSD_INSE_IsEEEENS6_16discard_iteratorINS6_11use_defaultEEESI_PmS8_NS6_8equal_toIjEEEE10hipError_tPvRmT2_T3_mT4_T5_T6_T7_T8_P12ihipStream_tbENKUlT_T0_E_clISt17integral_constantIbLb0EES15_IbLb1EEEEDaS11_S12_EUlS11_E_NS1_11comp_targetILNS1_3genE5ELNS1_11target_archE942ELNS1_3gpuE9ELNS1_3repE0EEENS1_30default_config_static_selectorELNS0_4arch9wavefront6targetE1EEEvT1_
    .private_segment_fixed_size: 0
    .sgpr_count:     4
    .sgpr_spill_count: 0
    .symbol:         _ZN7rocprim17ROCPRIM_400000_NS6detail17trampoline_kernelINS0_14default_configENS1_29reduce_by_key_config_selectorIjsN6thrust23THRUST_200600_302600_NS4plusIsEEEEZZNS1_33reduce_by_key_impl_wrapped_configILNS1_25lookback_scan_determinismE0ES3_S9_NS6_6detail15normal_iteratorINS6_10device_ptrIjEEEENSD_INSE_IsEEEENS6_16discard_iteratorINS6_11use_defaultEEESI_PmS8_NS6_8equal_toIjEEEE10hipError_tPvRmT2_T3_mT4_T5_T6_T7_T8_P12ihipStream_tbENKUlT_T0_E_clISt17integral_constantIbLb0EES15_IbLb1EEEEDaS11_S12_EUlS11_E_NS1_11comp_targetILNS1_3genE5ELNS1_11target_archE942ELNS1_3gpuE9ELNS1_3repE0EEENS1_30default_config_static_selectorELNS0_4arch9wavefront6targetE1EEEvT1_.kd
    .uniform_work_group_size: 1
    .uses_dynamic_stack: false
    .vgpr_count:     0
    .vgpr_spill_count: 0
    .wavefront_size: 64
  - .agpr_count:     0
    .args:
      - .offset:         0
        .size:           128
        .value_kind:     by_value
    .group_segment_fixed_size: 15360
    .kernarg_segment_align: 8
    .kernarg_segment_size: 128
    .language:       OpenCL C
    .language_version:
      - 2
      - 0
    .max_flat_workgroup_size: 256
    .name:           _ZN7rocprim17ROCPRIM_400000_NS6detail17trampoline_kernelINS0_14default_configENS1_29reduce_by_key_config_selectorIjsN6thrust23THRUST_200600_302600_NS4plusIsEEEEZZNS1_33reduce_by_key_impl_wrapped_configILNS1_25lookback_scan_determinismE0ES3_S9_NS6_6detail15normal_iteratorINS6_10device_ptrIjEEEENSD_INSE_IsEEEENS6_16discard_iteratorINS6_11use_defaultEEESI_PmS8_NS6_8equal_toIjEEEE10hipError_tPvRmT2_T3_mT4_T5_T6_T7_T8_P12ihipStream_tbENKUlT_T0_E_clISt17integral_constantIbLb0EES15_IbLb1EEEEDaS11_S12_EUlS11_E_NS1_11comp_targetILNS1_3genE4ELNS1_11target_archE910ELNS1_3gpuE8ELNS1_3repE0EEENS1_30default_config_static_selectorELNS0_4arch9wavefront6targetE1EEEvT1_
    .private_segment_fixed_size: 0
    .sgpr_count:     68
    .sgpr_spill_count: 0
    .symbol:         _ZN7rocprim17ROCPRIM_400000_NS6detail17trampoline_kernelINS0_14default_configENS1_29reduce_by_key_config_selectorIjsN6thrust23THRUST_200600_302600_NS4plusIsEEEEZZNS1_33reduce_by_key_impl_wrapped_configILNS1_25lookback_scan_determinismE0ES3_S9_NS6_6detail15normal_iteratorINS6_10device_ptrIjEEEENSD_INSE_IsEEEENS6_16discard_iteratorINS6_11use_defaultEEESI_PmS8_NS6_8equal_toIjEEEE10hipError_tPvRmT2_T3_mT4_T5_T6_T7_T8_P12ihipStream_tbENKUlT_T0_E_clISt17integral_constantIbLb0EES15_IbLb1EEEEDaS11_S12_EUlS11_E_NS1_11comp_targetILNS1_3genE4ELNS1_11target_archE910ELNS1_3gpuE8ELNS1_3repE0EEENS1_30default_config_static_selectorELNS0_4arch9wavefront6targetE1EEEvT1_.kd
    .uniform_work_group_size: 1
    .uses_dynamic_stack: false
    .vgpr_count:     87
    .vgpr_spill_count: 0
    .wavefront_size: 64
  - .agpr_count:     0
    .args:
      - .offset:         0
        .size:           128
        .value_kind:     by_value
    .group_segment_fixed_size: 0
    .kernarg_segment_align: 8
    .kernarg_segment_size: 128
    .language:       OpenCL C
    .language_version:
      - 2
      - 0
    .max_flat_workgroup_size: 256
    .name:           _ZN7rocprim17ROCPRIM_400000_NS6detail17trampoline_kernelINS0_14default_configENS1_29reduce_by_key_config_selectorIjsN6thrust23THRUST_200600_302600_NS4plusIsEEEEZZNS1_33reduce_by_key_impl_wrapped_configILNS1_25lookback_scan_determinismE0ES3_S9_NS6_6detail15normal_iteratorINS6_10device_ptrIjEEEENSD_INSE_IsEEEENS6_16discard_iteratorINS6_11use_defaultEEESI_PmS8_NS6_8equal_toIjEEEE10hipError_tPvRmT2_T3_mT4_T5_T6_T7_T8_P12ihipStream_tbENKUlT_T0_E_clISt17integral_constantIbLb0EES15_IbLb1EEEEDaS11_S12_EUlS11_E_NS1_11comp_targetILNS1_3genE3ELNS1_11target_archE908ELNS1_3gpuE7ELNS1_3repE0EEENS1_30default_config_static_selectorELNS0_4arch9wavefront6targetE1EEEvT1_
    .private_segment_fixed_size: 0
    .sgpr_count:     4
    .sgpr_spill_count: 0
    .symbol:         _ZN7rocprim17ROCPRIM_400000_NS6detail17trampoline_kernelINS0_14default_configENS1_29reduce_by_key_config_selectorIjsN6thrust23THRUST_200600_302600_NS4plusIsEEEEZZNS1_33reduce_by_key_impl_wrapped_configILNS1_25lookback_scan_determinismE0ES3_S9_NS6_6detail15normal_iteratorINS6_10device_ptrIjEEEENSD_INSE_IsEEEENS6_16discard_iteratorINS6_11use_defaultEEESI_PmS8_NS6_8equal_toIjEEEE10hipError_tPvRmT2_T3_mT4_T5_T6_T7_T8_P12ihipStream_tbENKUlT_T0_E_clISt17integral_constantIbLb0EES15_IbLb1EEEEDaS11_S12_EUlS11_E_NS1_11comp_targetILNS1_3genE3ELNS1_11target_archE908ELNS1_3gpuE7ELNS1_3repE0EEENS1_30default_config_static_selectorELNS0_4arch9wavefront6targetE1EEEvT1_.kd
    .uniform_work_group_size: 1
    .uses_dynamic_stack: false
    .vgpr_count:     0
    .vgpr_spill_count: 0
    .wavefront_size: 64
  - .agpr_count:     0
    .args:
      - .offset:         0
        .size:           128
        .value_kind:     by_value
    .group_segment_fixed_size: 0
    .kernarg_segment_align: 8
    .kernarg_segment_size: 128
    .language:       OpenCL C
    .language_version:
      - 2
      - 0
    .max_flat_workgroup_size: 256
    .name:           _ZN7rocprim17ROCPRIM_400000_NS6detail17trampoline_kernelINS0_14default_configENS1_29reduce_by_key_config_selectorIjsN6thrust23THRUST_200600_302600_NS4plusIsEEEEZZNS1_33reduce_by_key_impl_wrapped_configILNS1_25lookback_scan_determinismE0ES3_S9_NS6_6detail15normal_iteratorINS6_10device_ptrIjEEEENSD_INSE_IsEEEENS6_16discard_iteratorINS6_11use_defaultEEESI_PmS8_NS6_8equal_toIjEEEE10hipError_tPvRmT2_T3_mT4_T5_T6_T7_T8_P12ihipStream_tbENKUlT_T0_E_clISt17integral_constantIbLb0EES15_IbLb1EEEEDaS11_S12_EUlS11_E_NS1_11comp_targetILNS1_3genE2ELNS1_11target_archE906ELNS1_3gpuE6ELNS1_3repE0EEENS1_30default_config_static_selectorELNS0_4arch9wavefront6targetE1EEEvT1_
    .private_segment_fixed_size: 0
    .sgpr_count:     4
    .sgpr_spill_count: 0
    .symbol:         _ZN7rocprim17ROCPRIM_400000_NS6detail17trampoline_kernelINS0_14default_configENS1_29reduce_by_key_config_selectorIjsN6thrust23THRUST_200600_302600_NS4plusIsEEEEZZNS1_33reduce_by_key_impl_wrapped_configILNS1_25lookback_scan_determinismE0ES3_S9_NS6_6detail15normal_iteratorINS6_10device_ptrIjEEEENSD_INSE_IsEEEENS6_16discard_iteratorINS6_11use_defaultEEESI_PmS8_NS6_8equal_toIjEEEE10hipError_tPvRmT2_T3_mT4_T5_T6_T7_T8_P12ihipStream_tbENKUlT_T0_E_clISt17integral_constantIbLb0EES15_IbLb1EEEEDaS11_S12_EUlS11_E_NS1_11comp_targetILNS1_3genE2ELNS1_11target_archE906ELNS1_3gpuE6ELNS1_3repE0EEENS1_30default_config_static_selectorELNS0_4arch9wavefront6targetE1EEEvT1_.kd
    .uniform_work_group_size: 1
    .uses_dynamic_stack: false
    .vgpr_count:     0
    .vgpr_spill_count: 0
    .wavefront_size: 64
  - .agpr_count:     0
    .args:
      - .offset:         0
        .size:           128
        .value_kind:     by_value
    .group_segment_fixed_size: 0
    .kernarg_segment_align: 8
    .kernarg_segment_size: 128
    .language:       OpenCL C
    .language_version:
      - 2
      - 0
    .max_flat_workgroup_size: 256
    .name:           _ZN7rocprim17ROCPRIM_400000_NS6detail17trampoline_kernelINS0_14default_configENS1_29reduce_by_key_config_selectorIjsN6thrust23THRUST_200600_302600_NS4plusIsEEEEZZNS1_33reduce_by_key_impl_wrapped_configILNS1_25lookback_scan_determinismE0ES3_S9_NS6_6detail15normal_iteratorINS6_10device_ptrIjEEEENSD_INSE_IsEEEENS6_16discard_iteratorINS6_11use_defaultEEESI_PmS8_NS6_8equal_toIjEEEE10hipError_tPvRmT2_T3_mT4_T5_T6_T7_T8_P12ihipStream_tbENKUlT_T0_E_clISt17integral_constantIbLb0EES15_IbLb1EEEEDaS11_S12_EUlS11_E_NS1_11comp_targetILNS1_3genE10ELNS1_11target_archE1201ELNS1_3gpuE5ELNS1_3repE0EEENS1_30default_config_static_selectorELNS0_4arch9wavefront6targetE1EEEvT1_
    .private_segment_fixed_size: 0
    .sgpr_count:     4
    .sgpr_spill_count: 0
    .symbol:         _ZN7rocprim17ROCPRIM_400000_NS6detail17trampoline_kernelINS0_14default_configENS1_29reduce_by_key_config_selectorIjsN6thrust23THRUST_200600_302600_NS4plusIsEEEEZZNS1_33reduce_by_key_impl_wrapped_configILNS1_25lookback_scan_determinismE0ES3_S9_NS6_6detail15normal_iteratorINS6_10device_ptrIjEEEENSD_INSE_IsEEEENS6_16discard_iteratorINS6_11use_defaultEEESI_PmS8_NS6_8equal_toIjEEEE10hipError_tPvRmT2_T3_mT4_T5_T6_T7_T8_P12ihipStream_tbENKUlT_T0_E_clISt17integral_constantIbLb0EES15_IbLb1EEEEDaS11_S12_EUlS11_E_NS1_11comp_targetILNS1_3genE10ELNS1_11target_archE1201ELNS1_3gpuE5ELNS1_3repE0EEENS1_30default_config_static_selectorELNS0_4arch9wavefront6targetE1EEEvT1_.kd
    .uniform_work_group_size: 1
    .uses_dynamic_stack: false
    .vgpr_count:     0
    .vgpr_spill_count: 0
    .wavefront_size: 64
  - .agpr_count:     0
    .args:
      - .offset:         0
        .size:           128
        .value_kind:     by_value
    .group_segment_fixed_size: 0
    .kernarg_segment_align: 8
    .kernarg_segment_size: 128
    .language:       OpenCL C
    .language_version:
      - 2
      - 0
    .max_flat_workgroup_size: 256
    .name:           _ZN7rocprim17ROCPRIM_400000_NS6detail17trampoline_kernelINS0_14default_configENS1_29reduce_by_key_config_selectorIjsN6thrust23THRUST_200600_302600_NS4plusIsEEEEZZNS1_33reduce_by_key_impl_wrapped_configILNS1_25lookback_scan_determinismE0ES3_S9_NS6_6detail15normal_iteratorINS6_10device_ptrIjEEEENSD_INSE_IsEEEENS6_16discard_iteratorINS6_11use_defaultEEESI_PmS8_NS6_8equal_toIjEEEE10hipError_tPvRmT2_T3_mT4_T5_T6_T7_T8_P12ihipStream_tbENKUlT_T0_E_clISt17integral_constantIbLb0EES15_IbLb1EEEEDaS11_S12_EUlS11_E_NS1_11comp_targetILNS1_3genE10ELNS1_11target_archE1200ELNS1_3gpuE4ELNS1_3repE0EEENS1_30default_config_static_selectorELNS0_4arch9wavefront6targetE1EEEvT1_
    .private_segment_fixed_size: 0
    .sgpr_count:     4
    .sgpr_spill_count: 0
    .symbol:         _ZN7rocprim17ROCPRIM_400000_NS6detail17trampoline_kernelINS0_14default_configENS1_29reduce_by_key_config_selectorIjsN6thrust23THRUST_200600_302600_NS4plusIsEEEEZZNS1_33reduce_by_key_impl_wrapped_configILNS1_25lookback_scan_determinismE0ES3_S9_NS6_6detail15normal_iteratorINS6_10device_ptrIjEEEENSD_INSE_IsEEEENS6_16discard_iteratorINS6_11use_defaultEEESI_PmS8_NS6_8equal_toIjEEEE10hipError_tPvRmT2_T3_mT4_T5_T6_T7_T8_P12ihipStream_tbENKUlT_T0_E_clISt17integral_constantIbLb0EES15_IbLb1EEEEDaS11_S12_EUlS11_E_NS1_11comp_targetILNS1_3genE10ELNS1_11target_archE1200ELNS1_3gpuE4ELNS1_3repE0EEENS1_30default_config_static_selectorELNS0_4arch9wavefront6targetE1EEEvT1_.kd
    .uniform_work_group_size: 1
    .uses_dynamic_stack: false
    .vgpr_count:     0
    .vgpr_spill_count: 0
    .wavefront_size: 64
  - .agpr_count:     0
    .args:
      - .offset:         0
        .size:           128
        .value_kind:     by_value
    .group_segment_fixed_size: 0
    .kernarg_segment_align: 8
    .kernarg_segment_size: 128
    .language:       OpenCL C
    .language_version:
      - 2
      - 0
    .max_flat_workgroup_size: 256
    .name:           _ZN7rocprim17ROCPRIM_400000_NS6detail17trampoline_kernelINS0_14default_configENS1_29reduce_by_key_config_selectorIjsN6thrust23THRUST_200600_302600_NS4plusIsEEEEZZNS1_33reduce_by_key_impl_wrapped_configILNS1_25lookback_scan_determinismE0ES3_S9_NS6_6detail15normal_iteratorINS6_10device_ptrIjEEEENSD_INSE_IsEEEENS6_16discard_iteratorINS6_11use_defaultEEESI_PmS8_NS6_8equal_toIjEEEE10hipError_tPvRmT2_T3_mT4_T5_T6_T7_T8_P12ihipStream_tbENKUlT_T0_E_clISt17integral_constantIbLb0EES15_IbLb1EEEEDaS11_S12_EUlS11_E_NS1_11comp_targetILNS1_3genE9ELNS1_11target_archE1100ELNS1_3gpuE3ELNS1_3repE0EEENS1_30default_config_static_selectorELNS0_4arch9wavefront6targetE1EEEvT1_
    .private_segment_fixed_size: 0
    .sgpr_count:     4
    .sgpr_spill_count: 0
    .symbol:         _ZN7rocprim17ROCPRIM_400000_NS6detail17trampoline_kernelINS0_14default_configENS1_29reduce_by_key_config_selectorIjsN6thrust23THRUST_200600_302600_NS4plusIsEEEEZZNS1_33reduce_by_key_impl_wrapped_configILNS1_25lookback_scan_determinismE0ES3_S9_NS6_6detail15normal_iteratorINS6_10device_ptrIjEEEENSD_INSE_IsEEEENS6_16discard_iteratorINS6_11use_defaultEEESI_PmS8_NS6_8equal_toIjEEEE10hipError_tPvRmT2_T3_mT4_T5_T6_T7_T8_P12ihipStream_tbENKUlT_T0_E_clISt17integral_constantIbLb0EES15_IbLb1EEEEDaS11_S12_EUlS11_E_NS1_11comp_targetILNS1_3genE9ELNS1_11target_archE1100ELNS1_3gpuE3ELNS1_3repE0EEENS1_30default_config_static_selectorELNS0_4arch9wavefront6targetE1EEEvT1_.kd
    .uniform_work_group_size: 1
    .uses_dynamic_stack: false
    .vgpr_count:     0
    .vgpr_spill_count: 0
    .wavefront_size: 64
  - .agpr_count:     0
    .args:
      - .offset:         0
        .size:           128
        .value_kind:     by_value
    .group_segment_fixed_size: 0
    .kernarg_segment_align: 8
    .kernarg_segment_size: 128
    .language:       OpenCL C
    .language_version:
      - 2
      - 0
    .max_flat_workgroup_size: 256
    .name:           _ZN7rocprim17ROCPRIM_400000_NS6detail17trampoline_kernelINS0_14default_configENS1_29reduce_by_key_config_selectorIjsN6thrust23THRUST_200600_302600_NS4plusIsEEEEZZNS1_33reduce_by_key_impl_wrapped_configILNS1_25lookback_scan_determinismE0ES3_S9_NS6_6detail15normal_iteratorINS6_10device_ptrIjEEEENSD_INSE_IsEEEENS6_16discard_iteratorINS6_11use_defaultEEESI_PmS8_NS6_8equal_toIjEEEE10hipError_tPvRmT2_T3_mT4_T5_T6_T7_T8_P12ihipStream_tbENKUlT_T0_E_clISt17integral_constantIbLb0EES15_IbLb1EEEEDaS11_S12_EUlS11_E_NS1_11comp_targetILNS1_3genE8ELNS1_11target_archE1030ELNS1_3gpuE2ELNS1_3repE0EEENS1_30default_config_static_selectorELNS0_4arch9wavefront6targetE1EEEvT1_
    .private_segment_fixed_size: 0
    .sgpr_count:     4
    .sgpr_spill_count: 0
    .symbol:         _ZN7rocprim17ROCPRIM_400000_NS6detail17trampoline_kernelINS0_14default_configENS1_29reduce_by_key_config_selectorIjsN6thrust23THRUST_200600_302600_NS4plusIsEEEEZZNS1_33reduce_by_key_impl_wrapped_configILNS1_25lookback_scan_determinismE0ES3_S9_NS6_6detail15normal_iteratorINS6_10device_ptrIjEEEENSD_INSE_IsEEEENS6_16discard_iteratorINS6_11use_defaultEEESI_PmS8_NS6_8equal_toIjEEEE10hipError_tPvRmT2_T3_mT4_T5_T6_T7_T8_P12ihipStream_tbENKUlT_T0_E_clISt17integral_constantIbLb0EES15_IbLb1EEEEDaS11_S12_EUlS11_E_NS1_11comp_targetILNS1_3genE8ELNS1_11target_archE1030ELNS1_3gpuE2ELNS1_3repE0EEENS1_30default_config_static_selectorELNS0_4arch9wavefront6targetE1EEEvT1_.kd
    .uniform_work_group_size: 1
    .uses_dynamic_stack: false
    .vgpr_count:     0
    .vgpr_spill_count: 0
    .wavefront_size: 64
  - .agpr_count:     0
    .args:
      - .offset:         0
        .size:           16
        .value_kind:     by_value
      - .offset:         16
        .size:           8
        .value_kind:     by_value
      - .offset:         24
        .size:           8
        .value_kind:     by_value
    .group_segment_fixed_size: 0
    .kernarg_segment_align: 8
    .kernarg_segment_size: 32
    .language:       OpenCL C
    .language_version:
      - 2
      - 0
    .max_flat_workgroup_size: 256
    .name:           _ZN6thrust23THRUST_200600_302600_NS11hip_rocprim14__parallel_for6kernelILj256ENS1_20__uninitialized_fill7functorINS0_10device_ptrIiEEiEEmLj1EEEvT0_T1_SA_
    .private_segment_fixed_size: 0
    .sgpr_count:     16
    .sgpr_spill_count: 0
    .symbol:         _ZN6thrust23THRUST_200600_302600_NS11hip_rocprim14__parallel_for6kernelILj256ENS1_20__uninitialized_fill7functorINS0_10device_ptrIiEEiEEmLj1EEEvT0_T1_SA_.kd
    .uniform_work_group_size: 1
    .uses_dynamic_stack: false
    .vgpr_count:     4
    .vgpr_spill_count: 0
    .wavefront_size: 64
  - .agpr_count:     0
    .args:
      - .offset:         0
        .size:           120
        .value_kind:     by_value
    .group_segment_fixed_size: 0
    .kernarg_segment_align: 8
    .kernarg_segment_size: 120
    .language:       OpenCL C
    .language_version:
      - 2
      - 0
    .max_flat_workgroup_size: 256
    .name:           _ZN7rocprim17ROCPRIM_400000_NS6detail17trampoline_kernelINS0_14default_configENS1_29reduce_by_key_config_selectorIiiN6thrust23THRUST_200600_302600_NS4plusIiEEEEZZNS1_33reduce_by_key_impl_wrapped_configILNS1_25lookback_scan_determinismE0ES3_S9_NS6_10device_ptrIiEESD_SD_SD_PmS8_NS6_8equal_toIiEEEE10hipError_tPvRmT2_T3_mT4_T5_T6_T7_T8_P12ihipStream_tbENKUlT_T0_E_clISt17integral_constantIbLb0EESY_EEDaST_SU_EUlST_E_NS1_11comp_targetILNS1_3genE0ELNS1_11target_archE4294967295ELNS1_3gpuE0ELNS1_3repE0EEENS1_30default_config_static_selectorELNS0_4arch9wavefront6targetE1EEEvT1_
    .private_segment_fixed_size: 0
    .sgpr_count:     4
    .sgpr_spill_count: 0
    .symbol:         _ZN7rocprim17ROCPRIM_400000_NS6detail17trampoline_kernelINS0_14default_configENS1_29reduce_by_key_config_selectorIiiN6thrust23THRUST_200600_302600_NS4plusIiEEEEZZNS1_33reduce_by_key_impl_wrapped_configILNS1_25lookback_scan_determinismE0ES3_S9_NS6_10device_ptrIiEESD_SD_SD_PmS8_NS6_8equal_toIiEEEE10hipError_tPvRmT2_T3_mT4_T5_T6_T7_T8_P12ihipStream_tbENKUlT_T0_E_clISt17integral_constantIbLb0EESY_EEDaST_SU_EUlST_E_NS1_11comp_targetILNS1_3genE0ELNS1_11target_archE4294967295ELNS1_3gpuE0ELNS1_3repE0EEENS1_30default_config_static_selectorELNS0_4arch9wavefront6targetE1EEEvT1_.kd
    .uniform_work_group_size: 1
    .uses_dynamic_stack: false
    .vgpr_count:     0
    .vgpr_spill_count: 0
    .wavefront_size: 64
  - .agpr_count:     0
    .args:
      - .offset:         0
        .size:           120
        .value_kind:     by_value
    .group_segment_fixed_size: 0
    .kernarg_segment_align: 8
    .kernarg_segment_size: 120
    .language:       OpenCL C
    .language_version:
      - 2
      - 0
    .max_flat_workgroup_size: 256
    .name:           _ZN7rocprim17ROCPRIM_400000_NS6detail17trampoline_kernelINS0_14default_configENS1_29reduce_by_key_config_selectorIiiN6thrust23THRUST_200600_302600_NS4plusIiEEEEZZNS1_33reduce_by_key_impl_wrapped_configILNS1_25lookback_scan_determinismE0ES3_S9_NS6_10device_ptrIiEESD_SD_SD_PmS8_NS6_8equal_toIiEEEE10hipError_tPvRmT2_T3_mT4_T5_T6_T7_T8_P12ihipStream_tbENKUlT_T0_E_clISt17integral_constantIbLb0EESY_EEDaST_SU_EUlST_E_NS1_11comp_targetILNS1_3genE5ELNS1_11target_archE942ELNS1_3gpuE9ELNS1_3repE0EEENS1_30default_config_static_selectorELNS0_4arch9wavefront6targetE1EEEvT1_
    .private_segment_fixed_size: 0
    .sgpr_count:     4
    .sgpr_spill_count: 0
    .symbol:         _ZN7rocprim17ROCPRIM_400000_NS6detail17trampoline_kernelINS0_14default_configENS1_29reduce_by_key_config_selectorIiiN6thrust23THRUST_200600_302600_NS4plusIiEEEEZZNS1_33reduce_by_key_impl_wrapped_configILNS1_25lookback_scan_determinismE0ES3_S9_NS6_10device_ptrIiEESD_SD_SD_PmS8_NS6_8equal_toIiEEEE10hipError_tPvRmT2_T3_mT4_T5_T6_T7_T8_P12ihipStream_tbENKUlT_T0_E_clISt17integral_constantIbLb0EESY_EEDaST_SU_EUlST_E_NS1_11comp_targetILNS1_3genE5ELNS1_11target_archE942ELNS1_3gpuE9ELNS1_3repE0EEENS1_30default_config_static_selectorELNS0_4arch9wavefront6targetE1EEEvT1_.kd
    .uniform_work_group_size: 1
    .uses_dynamic_stack: false
    .vgpr_count:     0
    .vgpr_spill_count: 0
    .wavefront_size: 64
  - .agpr_count:     0
    .args:
      - .offset:         0
        .size:           120
        .value_kind:     by_value
    .group_segment_fixed_size: 15360
    .kernarg_segment_align: 8
    .kernarg_segment_size: 120
    .language:       OpenCL C
    .language_version:
      - 2
      - 0
    .max_flat_workgroup_size: 256
    .name:           _ZN7rocprim17ROCPRIM_400000_NS6detail17trampoline_kernelINS0_14default_configENS1_29reduce_by_key_config_selectorIiiN6thrust23THRUST_200600_302600_NS4plusIiEEEEZZNS1_33reduce_by_key_impl_wrapped_configILNS1_25lookback_scan_determinismE0ES3_S9_NS6_10device_ptrIiEESD_SD_SD_PmS8_NS6_8equal_toIiEEEE10hipError_tPvRmT2_T3_mT4_T5_T6_T7_T8_P12ihipStream_tbENKUlT_T0_E_clISt17integral_constantIbLb0EESY_EEDaST_SU_EUlST_E_NS1_11comp_targetILNS1_3genE4ELNS1_11target_archE910ELNS1_3gpuE8ELNS1_3repE0EEENS1_30default_config_static_selectorELNS0_4arch9wavefront6targetE1EEEvT1_
    .private_segment_fixed_size: 0
    .sgpr_count:     68
    .sgpr_spill_count: 0
    .symbol:         _ZN7rocprim17ROCPRIM_400000_NS6detail17trampoline_kernelINS0_14default_configENS1_29reduce_by_key_config_selectorIiiN6thrust23THRUST_200600_302600_NS4plusIiEEEEZZNS1_33reduce_by_key_impl_wrapped_configILNS1_25lookback_scan_determinismE0ES3_S9_NS6_10device_ptrIiEESD_SD_SD_PmS8_NS6_8equal_toIiEEEE10hipError_tPvRmT2_T3_mT4_T5_T6_T7_T8_P12ihipStream_tbENKUlT_T0_E_clISt17integral_constantIbLb0EESY_EEDaST_SU_EUlST_E_NS1_11comp_targetILNS1_3genE4ELNS1_11target_archE910ELNS1_3gpuE8ELNS1_3repE0EEENS1_30default_config_static_selectorELNS0_4arch9wavefront6targetE1EEEvT1_.kd
    .uniform_work_group_size: 1
    .uses_dynamic_stack: false
    .vgpr_count:     106
    .vgpr_spill_count: 0
    .wavefront_size: 64
  - .agpr_count:     0
    .args:
      - .offset:         0
        .size:           120
        .value_kind:     by_value
    .group_segment_fixed_size: 0
    .kernarg_segment_align: 8
    .kernarg_segment_size: 120
    .language:       OpenCL C
    .language_version:
      - 2
      - 0
    .max_flat_workgroup_size: 256
    .name:           _ZN7rocprim17ROCPRIM_400000_NS6detail17trampoline_kernelINS0_14default_configENS1_29reduce_by_key_config_selectorIiiN6thrust23THRUST_200600_302600_NS4plusIiEEEEZZNS1_33reduce_by_key_impl_wrapped_configILNS1_25lookback_scan_determinismE0ES3_S9_NS6_10device_ptrIiEESD_SD_SD_PmS8_NS6_8equal_toIiEEEE10hipError_tPvRmT2_T3_mT4_T5_T6_T7_T8_P12ihipStream_tbENKUlT_T0_E_clISt17integral_constantIbLb0EESY_EEDaST_SU_EUlST_E_NS1_11comp_targetILNS1_3genE3ELNS1_11target_archE908ELNS1_3gpuE7ELNS1_3repE0EEENS1_30default_config_static_selectorELNS0_4arch9wavefront6targetE1EEEvT1_
    .private_segment_fixed_size: 0
    .sgpr_count:     4
    .sgpr_spill_count: 0
    .symbol:         _ZN7rocprim17ROCPRIM_400000_NS6detail17trampoline_kernelINS0_14default_configENS1_29reduce_by_key_config_selectorIiiN6thrust23THRUST_200600_302600_NS4plusIiEEEEZZNS1_33reduce_by_key_impl_wrapped_configILNS1_25lookback_scan_determinismE0ES3_S9_NS6_10device_ptrIiEESD_SD_SD_PmS8_NS6_8equal_toIiEEEE10hipError_tPvRmT2_T3_mT4_T5_T6_T7_T8_P12ihipStream_tbENKUlT_T0_E_clISt17integral_constantIbLb0EESY_EEDaST_SU_EUlST_E_NS1_11comp_targetILNS1_3genE3ELNS1_11target_archE908ELNS1_3gpuE7ELNS1_3repE0EEENS1_30default_config_static_selectorELNS0_4arch9wavefront6targetE1EEEvT1_.kd
    .uniform_work_group_size: 1
    .uses_dynamic_stack: false
    .vgpr_count:     0
    .vgpr_spill_count: 0
    .wavefront_size: 64
  - .agpr_count:     0
    .args:
      - .offset:         0
        .size:           120
        .value_kind:     by_value
    .group_segment_fixed_size: 0
    .kernarg_segment_align: 8
    .kernarg_segment_size: 120
    .language:       OpenCL C
    .language_version:
      - 2
      - 0
    .max_flat_workgroup_size: 256
    .name:           _ZN7rocprim17ROCPRIM_400000_NS6detail17trampoline_kernelINS0_14default_configENS1_29reduce_by_key_config_selectorIiiN6thrust23THRUST_200600_302600_NS4plusIiEEEEZZNS1_33reduce_by_key_impl_wrapped_configILNS1_25lookback_scan_determinismE0ES3_S9_NS6_10device_ptrIiEESD_SD_SD_PmS8_NS6_8equal_toIiEEEE10hipError_tPvRmT2_T3_mT4_T5_T6_T7_T8_P12ihipStream_tbENKUlT_T0_E_clISt17integral_constantIbLb0EESY_EEDaST_SU_EUlST_E_NS1_11comp_targetILNS1_3genE2ELNS1_11target_archE906ELNS1_3gpuE6ELNS1_3repE0EEENS1_30default_config_static_selectorELNS0_4arch9wavefront6targetE1EEEvT1_
    .private_segment_fixed_size: 0
    .sgpr_count:     4
    .sgpr_spill_count: 0
    .symbol:         _ZN7rocprim17ROCPRIM_400000_NS6detail17trampoline_kernelINS0_14default_configENS1_29reduce_by_key_config_selectorIiiN6thrust23THRUST_200600_302600_NS4plusIiEEEEZZNS1_33reduce_by_key_impl_wrapped_configILNS1_25lookback_scan_determinismE0ES3_S9_NS6_10device_ptrIiEESD_SD_SD_PmS8_NS6_8equal_toIiEEEE10hipError_tPvRmT2_T3_mT4_T5_T6_T7_T8_P12ihipStream_tbENKUlT_T0_E_clISt17integral_constantIbLb0EESY_EEDaST_SU_EUlST_E_NS1_11comp_targetILNS1_3genE2ELNS1_11target_archE906ELNS1_3gpuE6ELNS1_3repE0EEENS1_30default_config_static_selectorELNS0_4arch9wavefront6targetE1EEEvT1_.kd
    .uniform_work_group_size: 1
    .uses_dynamic_stack: false
    .vgpr_count:     0
    .vgpr_spill_count: 0
    .wavefront_size: 64
  - .agpr_count:     0
    .args:
      - .offset:         0
        .size:           120
        .value_kind:     by_value
    .group_segment_fixed_size: 0
    .kernarg_segment_align: 8
    .kernarg_segment_size: 120
    .language:       OpenCL C
    .language_version:
      - 2
      - 0
    .max_flat_workgroup_size: 256
    .name:           _ZN7rocprim17ROCPRIM_400000_NS6detail17trampoline_kernelINS0_14default_configENS1_29reduce_by_key_config_selectorIiiN6thrust23THRUST_200600_302600_NS4plusIiEEEEZZNS1_33reduce_by_key_impl_wrapped_configILNS1_25lookback_scan_determinismE0ES3_S9_NS6_10device_ptrIiEESD_SD_SD_PmS8_NS6_8equal_toIiEEEE10hipError_tPvRmT2_T3_mT4_T5_T6_T7_T8_P12ihipStream_tbENKUlT_T0_E_clISt17integral_constantIbLb0EESY_EEDaST_SU_EUlST_E_NS1_11comp_targetILNS1_3genE10ELNS1_11target_archE1201ELNS1_3gpuE5ELNS1_3repE0EEENS1_30default_config_static_selectorELNS0_4arch9wavefront6targetE1EEEvT1_
    .private_segment_fixed_size: 0
    .sgpr_count:     4
    .sgpr_spill_count: 0
    .symbol:         _ZN7rocprim17ROCPRIM_400000_NS6detail17trampoline_kernelINS0_14default_configENS1_29reduce_by_key_config_selectorIiiN6thrust23THRUST_200600_302600_NS4plusIiEEEEZZNS1_33reduce_by_key_impl_wrapped_configILNS1_25lookback_scan_determinismE0ES3_S9_NS6_10device_ptrIiEESD_SD_SD_PmS8_NS6_8equal_toIiEEEE10hipError_tPvRmT2_T3_mT4_T5_T6_T7_T8_P12ihipStream_tbENKUlT_T0_E_clISt17integral_constantIbLb0EESY_EEDaST_SU_EUlST_E_NS1_11comp_targetILNS1_3genE10ELNS1_11target_archE1201ELNS1_3gpuE5ELNS1_3repE0EEENS1_30default_config_static_selectorELNS0_4arch9wavefront6targetE1EEEvT1_.kd
    .uniform_work_group_size: 1
    .uses_dynamic_stack: false
    .vgpr_count:     0
    .vgpr_spill_count: 0
    .wavefront_size: 64
  - .agpr_count:     0
    .args:
      - .offset:         0
        .size:           120
        .value_kind:     by_value
    .group_segment_fixed_size: 0
    .kernarg_segment_align: 8
    .kernarg_segment_size: 120
    .language:       OpenCL C
    .language_version:
      - 2
      - 0
    .max_flat_workgroup_size: 256
    .name:           _ZN7rocprim17ROCPRIM_400000_NS6detail17trampoline_kernelINS0_14default_configENS1_29reduce_by_key_config_selectorIiiN6thrust23THRUST_200600_302600_NS4plusIiEEEEZZNS1_33reduce_by_key_impl_wrapped_configILNS1_25lookback_scan_determinismE0ES3_S9_NS6_10device_ptrIiEESD_SD_SD_PmS8_NS6_8equal_toIiEEEE10hipError_tPvRmT2_T3_mT4_T5_T6_T7_T8_P12ihipStream_tbENKUlT_T0_E_clISt17integral_constantIbLb0EESY_EEDaST_SU_EUlST_E_NS1_11comp_targetILNS1_3genE10ELNS1_11target_archE1200ELNS1_3gpuE4ELNS1_3repE0EEENS1_30default_config_static_selectorELNS0_4arch9wavefront6targetE1EEEvT1_
    .private_segment_fixed_size: 0
    .sgpr_count:     4
    .sgpr_spill_count: 0
    .symbol:         _ZN7rocprim17ROCPRIM_400000_NS6detail17trampoline_kernelINS0_14default_configENS1_29reduce_by_key_config_selectorIiiN6thrust23THRUST_200600_302600_NS4plusIiEEEEZZNS1_33reduce_by_key_impl_wrapped_configILNS1_25lookback_scan_determinismE0ES3_S9_NS6_10device_ptrIiEESD_SD_SD_PmS8_NS6_8equal_toIiEEEE10hipError_tPvRmT2_T3_mT4_T5_T6_T7_T8_P12ihipStream_tbENKUlT_T0_E_clISt17integral_constantIbLb0EESY_EEDaST_SU_EUlST_E_NS1_11comp_targetILNS1_3genE10ELNS1_11target_archE1200ELNS1_3gpuE4ELNS1_3repE0EEENS1_30default_config_static_selectorELNS0_4arch9wavefront6targetE1EEEvT1_.kd
    .uniform_work_group_size: 1
    .uses_dynamic_stack: false
    .vgpr_count:     0
    .vgpr_spill_count: 0
    .wavefront_size: 64
  - .agpr_count:     0
    .args:
      - .offset:         0
        .size:           120
        .value_kind:     by_value
    .group_segment_fixed_size: 0
    .kernarg_segment_align: 8
    .kernarg_segment_size: 120
    .language:       OpenCL C
    .language_version:
      - 2
      - 0
    .max_flat_workgroup_size: 256
    .name:           _ZN7rocprim17ROCPRIM_400000_NS6detail17trampoline_kernelINS0_14default_configENS1_29reduce_by_key_config_selectorIiiN6thrust23THRUST_200600_302600_NS4plusIiEEEEZZNS1_33reduce_by_key_impl_wrapped_configILNS1_25lookback_scan_determinismE0ES3_S9_NS6_10device_ptrIiEESD_SD_SD_PmS8_NS6_8equal_toIiEEEE10hipError_tPvRmT2_T3_mT4_T5_T6_T7_T8_P12ihipStream_tbENKUlT_T0_E_clISt17integral_constantIbLb0EESY_EEDaST_SU_EUlST_E_NS1_11comp_targetILNS1_3genE9ELNS1_11target_archE1100ELNS1_3gpuE3ELNS1_3repE0EEENS1_30default_config_static_selectorELNS0_4arch9wavefront6targetE1EEEvT1_
    .private_segment_fixed_size: 0
    .sgpr_count:     4
    .sgpr_spill_count: 0
    .symbol:         _ZN7rocprim17ROCPRIM_400000_NS6detail17trampoline_kernelINS0_14default_configENS1_29reduce_by_key_config_selectorIiiN6thrust23THRUST_200600_302600_NS4plusIiEEEEZZNS1_33reduce_by_key_impl_wrapped_configILNS1_25lookback_scan_determinismE0ES3_S9_NS6_10device_ptrIiEESD_SD_SD_PmS8_NS6_8equal_toIiEEEE10hipError_tPvRmT2_T3_mT4_T5_T6_T7_T8_P12ihipStream_tbENKUlT_T0_E_clISt17integral_constantIbLb0EESY_EEDaST_SU_EUlST_E_NS1_11comp_targetILNS1_3genE9ELNS1_11target_archE1100ELNS1_3gpuE3ELNS1_3repE0EEENS1_30default_config_static_selectorELNS0_4arch9wavefront6targetE1EEEvT1_.kd
    .uniform_work_group_size: 1
    .uses_dynamic_stack: false
    .vgpr_count:     0
    .vgpr_spill_count: 0
    .wavefront_size: 64
  - .agpr_count:     0
    .args:
      - .offset:         0
        .size:           120
        .value_kind:     by_value
    .group_segment_fixed_size: 0
    .kernarg_segment_align: 8
    .kernarg_segment_size: 120
    .language:       OpenCL C
    .language_version:
      - 2
      - 0
    .max_flat_workgroup_size: 256
    .name:           _ZN7rocprim17ROCPRIM_400000_NS6detail17trampoline_kernelINS0_14default_configENS1_29reduce_by_key_config_selectorIiiN6thrust23THRUST_200600_302600_NS4plusIiEEEEZZNS1_33reduce_by_key_impl_wrapped_configILNS1_25lookback_scan_determinismE0ES3_S9_NS6_10device_ptrIiEESD_SD_SD_PmS8_NS6_8equal_toIiEEEE10hipError_tPvRmT2_T3_mT4_T5_T6_T7_T8_P12ihipStream_tbENKUlT_T0_E_clISt17integral_constantIbLb0EESY_EEDaST_SU_EUlST_E_NS1_11comp_targetILNS1_3genE8ELNS1_11target_archE1030ELNS1_3gpuE2ELNS1_3repE0EEENS1_30default_config_static_selectorELNS0_4arch9wavefront6targetE1EEEvT1_
    .private_segment_fixed_size: 0
    .sgpr_count:     4
    .sgpr_spill_count: 0
    .symbol:         _ZN7rocprim17ROCPRIM_400000_NS6detail17trampoline_kernelINS0_14default_configENS1_29reduce_by_key_config_selectorIiiN6thrust23THRUST_200600_302600_NS4plusIiEEEEZZNS1_33reduce_by_key_impl_wrapped_configILNS1_25lookback_scan_determinismE0ES3_S9_NS6_10device_ptrIiEESD_SD_SD_PmS8_NS6_8equal_toIiEEEE10hipError_tPvRmT2_T3_mT4_T5_T6_T7_T8_P12ihipStream_tbENKUlT_T0_E_clISt17integral_constantIbLb0EESY_EEDaST_SU_EUlST_E_NS1_11comp_targetILNS1_3genE8ELNS1_11target_archE1030ELNS1_3gpuE2ELNS1_3repE0EEENS1_30default_config_static_selectorELNS0_4arch9wavefront6targetE1EEEvT1_.kd
    .uniform_work_group_size: 1
    .uses_dynamic_stack: false
    .vgpr_count:     0
    .vgpr_spill_count: 0
    .wavefront_size: 64
  - .agpr_count:     0
    .args:
      - .offset:         0
        .size:           120
        .value_kind:     by_value
    .group_segment_fixed_size: 0
    .kernarg_segment_align: 8
    .kernarg_segment_size: 120
    .language:       OpenCL C
    .language_version:
      - 2
      - 0
    .max_flat_workgroup_size: 256
    .name:           _ZN7rocprim17ROCPRIM_400000_NS6detail17trampoline_kernelINS0_14default_configENS1_29reduce_by_key_config_selectorIiiN6thrust23THRUST_200600_302600_NS4plusIiEEEEZZNS1_33reduce_by_key_impl_wrapped_configILNS1_25lookback_scan_determinismE0ES3_S9_NS6_10device_ptrIiEESD_SD_SD_PmS8_NS6_8equal_toIiEEEE10hipError_tPvRmT2_T3_mT4_T5_T6_T7_T8_P12ihipStream_tbENKUlT_T0_E_clISt17integral_constantIbLb1EESY_EEDaST_SU_EUlST_E_NS1_11comp_targetILNS1_3genE0ELNS1_11target_archE4294967295ELNS1_3gpuE0ELNS1_3repE0EEENS1_30default_config_static_selectorELNS0_4arch9wavefront6targetE1EEEvT1_
    .private_segment_fixed_size: 0
    .sgpr_count:     4
    .sgpr_spill_count: 0
    .symbol:         _ZN7rocprim17ROCPRIM_400000_NS6detail17trampoline_kernelINS0_14default_configENS1_29reduce_by_key_config_selectorIiiN6thrust23THRUST_200600_302600_NS4plusIiEEEEZZNS1_33reduce_by_key_impl_wrapped_configILNS1_25lookback_scan_determinismE0ES3_S9_NS6_10device_ptrIiEESD_SD_SD_PmS8_NS6_8equal_toIiEEEE10hipError_tPvRmT2_T3_mT4_T5_T6_T7_T8_P12ihipStream_tbENKUlT_T0_E_clISt17integral_constantIbLb1EESY_EEDaST_SU_EUlST_E_NS1_11comp_targetILNS1_3genE0ELNS1_11target_archE4294967295ELNS1_3gpuE0ELNS1_3repE0EEENS1_30default_config_static_selectorELNS0_4arch9wavefront6targetE1EEEvT1_.kd
    .uniform_work_group_size: 1
    .uses_dynamic_stack: false
    .vgpr_count:     0
    .vgpr_spill_count: 0
    .wavefront_size: 64
  - .agpr_count:     0
    .args:
      - .offset:         0
        .size:           120
        .value_kind:     by_value
    .group_segment_fixed_size: 0
    .kernarg_segment_align: 8
    .kernarg_segment_size: 120
    .language:       OpenCL C
    .language_version:
      - 2
      - 0
    .max_flat_workgroup_size: 256
    .name:           _ZN7rocprim17ROCPRIM_400000_NS6detail17trampoline_kernelINS0_14default_configENS1_29reduce_by_key_config_selectorIiiN6thrust23THRUST_200600_302600_NS4plusIiEEEEZZNS1_33reduce_by_key_impl_wrapped_configILNS1_25lookback_scan_determinismE0ES3_S9_NS6_10device_ptrIiEESD_SD_SD_PmS8_NS6_8equal_toIiEEEE10hipError_tPvRmT2_T3_mT4_T5_T6_T7_T8_P12ihipStream_tbENKUlT_T0_E_clISt17integral_constantIbLb1EESY_EEDaST_SU_EUlST_E_NS1_11comp_targetILNS1_3genE5ELNS1_11target_archE942ELNS1_3gpuE9ELNS1_3repE0EEENS1_30default_config_static_selectorELNS0_4arch9wavefront6targetE1EEEvT1_
    .private_segment_fixed_size: 0
    .sgpr_count:     4
    .sgpr_spill_count: 0
    .symbol:         _ZN7rocprim17ROCPRIM_400000_NS6detail17trampoline_kernelINS0_14default_configENS1_29reduce_by_key_config_selectorIiiN6thrust23THRUST_200600_302600_NS4plusIiEEEEZZNS1_33reduce_by_key_impl_wrapped_configILNS1_25lookback_scan_determinismE0ES3_S9_NS6_10device_ptrIiEESD_SD_SD_PmS8_NS6_8equal_toIiEEEE10hipError_tPvRmT2_T3_mT4_T5_T6_T7_T8_P12ihipStream_tbENKUlT_T0_E_clISt17integral_constantIbLb1EESY_EEDaST_SU_EUlST_E_NS1_11comp_targetILNS1_3genE5ELNS1_11target_archE942ELNS1_3gpuE9ELNS1_3repE0EEENS1_30default_config_static_selectorELNS0_4arch9wavefront6targetE1EEEvT1_.kd
    .uniform_work_group_size: 1
    .uses_dynamic_stack: false
    .vgpr_count:     0
    .vgpr_spill_count: 0
    .wavefront_size: 64
  - .agpr_count:     0
    .args:
      - .offset:         0
        .size:           120
        .value_kind:     by_value
    .group_segment_fixed_size: 15360
    .kernarg_segment_align: 8
    .kernarg_segment_size: 120
    .language:       OpenCL C
    .language_version:
      - 2
      - 0
    .max_flat_workgroup_size: 256
    .name:           _ZN7rocprim17ROCPRIM_400000_NS6detail17trampoline_kernelINS0_14default_configENS1_29reduce_by_key_config_selectorIiiN6thrust23THRUST_200600_302600_NS4plusIiEEEEZZNS1_33reduce_by_key_impl_wrapped_configILNS1_25lookback_scan_determinismE0ES3_S9_NS6_10device_ptrIiEESD_SD_SD_PmS8_NS6_8equal_toIiEEEE10hipError_tPvRmT2_T3_mT4_T5_T6_T7_T8_P12ihipStream_tbENKUlT_T0_E_clISt17integral_constantIbLb1EESY_EEDaST_SU_EUlST_E_NS1_11comp_targetILNS1_3genE4ELNS1_11target_archE910ELNS1_3gpuE8ELNS1_3repE0EEENS1_30default_config_static_selectorELNS0_4arch9wavefront6targetE1EEEvT1_
    .private_segment_fixed_size: 0
    .sgpr_count:     70
    .sgpr_spill_count: 0
    .symbol:         _ZN7rocprim17ROCPRIM_400000_NS6detail17trampoline_kernelINS0_14default_configENS1_29reduce_by_key_config_selectorIiiN6thrust23THRUST_200600_302600_NS4plusIiEEEEZZNS1_33reduce_by_key_impl_wrapped_configILNS1_25lookback_scan_determinismE0ES3_S9_NS6_10device_ptrIiEESD_SD_SD_PmS8_NS6_8equal_toIiEEEE10hipError_tPvRmT2_T3_mT4_T5_T6_T7_T8_P12ihipStream_tbENKUlT_T0_E_clISt17integral_constantIbLb1EESY_EEDaST_SU_EUlST_E_NS1_11comp_targetILNS1_3genE4ELNS1_11target_archE910ELNS1_3gpuE8ELNS1_3repE0EEENS1_30default_config_static_selectorELNS0_4arch9wavefront6targetE1EEEvT1_.kd
    .uniform_work_group_size: 1
    .uses_dynamic_stack: false
    .vgpr_count:     106
    .vgpr_spill_count: 0
    .wavefront_size: 64
  - .agpr_count:     0
    .args:
      - .offset:         0
        .size:           120
        .value_kind:     by_value
    .group_segment_fixed_size: 0
    .kernarg_segment_align: 8
    .kernarg_segment_size: 120
    .language:       OpenCL C
    .language_version:
      - 2
      - 0
    .max_flat_workgroup_size: 256
    .name:           _ZN7rocprim17ROCPRIM_400000_NS6detail17trampoline_kernelINS0_14default_configENS1_29reduce_by_key_config_selectorIiiN6thrust23THRUST_200600_302600_NS4plusIiEEEEZZNS1_33reduce_by_key_impl_wrapped_configILNS1_25lookback_scan_determinismE0ES3_S9_NS6_10device_ptrIiEESD_SD_SD_PmS8_NS6_8equal_toIiEEEE10hipError_tPvRmT2_T3_mT4_T5_T6_T7_T8_P12ihipStream_tbENKUlT_T0_E_clISt17integral_constantIbLb1EESY_EEDaST_SU_EUlST_E_NS1_11comp_targetILNS1_3genE3ELNS1_11target_archE908ELNS1_3gpuE7ELNS1_3repE0EEENS1_30default_config_static_selectorELNS0_4arch9wavefront6targetE1EEEvT1_
    .private_segment_fixed_size: 0
    .sgpr_count:     4
    .sgpr_spill_count: 0
    .symbol:         _ZN7rocprim17ROCPRIM_400000_NS6detail17trampoline_kernelINS0_14default_configENS1_29reduce_by_key_config_selectorIiiN6thrust23THRUST_200600_302600_NS4plusIiEEEEZZNS1_33reduce_by_key_impl_wrapped_configILNS1_25lookback_scan_determinismE0ES3_S9_NS6_10device_ptrIiEESD_SD_SD_PmS8_NS6_8equal_toIiEEEE10hipError_tPvRmT2_T3_mT4_T5_T6_T7_T8_P12ihipStream_tbENKUlT_T0_E_clISt17integral_constantIbLb1EESY_EEDaST_SU_EUlST_E_NS1_11comp_targetILNS1_3genE3ELNS1_11target_archE908ELNS1_3gpuE7ELNS1_3repE0EEENS1_30default_config_static_selectorELNS0_4arch9wavefront6targetE1EEEvT1_.kd
    .uniform_work_group_size: 1
    .uses_dynamic_stack: false
    .vgpr_count:     0
    .vgpr_spill_count: 0
    .wavefront_size: 64
  - .agpr_count:     0
    .args:
      - .offset:         0
        .size:           120
        .value_kind:     by_value
    .group_segment_fixed_size: 0
    .kernarg_segment_align: 8
    .kernarg_segment_size: 120
    .language:       OpenCL C
    .language_version:
      - 2
      - 0
    .max_flat_workgroup_size: 256
    .name:           _ZN7rocprim17ROCPRIM_400000_NS6detail17trampoline_kernelINS0_14default_configENS1_29reduce_by_key_config_selectorIiiN6thrust23THRUST_200600_302600_NS4plusIiEEEEZZNS1_33reduce_by_key_impl_wrapped_configILNS1_25lookback_scan_determinismE0ES3_S9_NS6_10device_ptrIiEESD_SD_SD_PmS8_NS6_8equal_toIiEEEE10hipError_tPvRmT2_T3_mT4_T5_T6_T7_T8_P12ihipStream_tbENKUlT_T0_E_clISt17integral_constantIbLb1EESY_EEDaST_SU_EUlST_E_NS1_11comp_targetILNS1_3genE2ELNS1_11target_archE906ELNS1_3gpuE6ELNS1_3repE0EEENS1_30default_config_static_selectorELNS0_4arch9wavefront6targetE1EEEvT1_
    .private_segment_fixed_size: 0
    .sgpr_count:     4
    .sgpr_spill_count: 0
    .symbol:         _ZN7rocprim17ROCPRIM_400000_NS6detail17trampoline_kernelINS0_14default_configENS1_29reduce_by_key_config_selectorIiiN6thrust23THRUST_200600_302600_NS4plusIiEEEEZZNS1_33reduce_by_key_impl_wrapped_configILNS1_25lookback_scan_determinismE0ES3_S9_NS6_10device_ptrIiEESD_SD_SD_PmS8_NS6_8equal_toIiEEEE10hipError_tPvRmT2_T3_mT4_T5_T6_T7_T8_P12ihipStream_tbENKUlT_T0_E_clISt17integral_constantIbLb1EESY_EEDaST_SU_EUlST_E_NS1_11comp_targetILNS1_3genE2ELNS1_11target_archE906ELNS1_3gpuE6ELNS1_3repE0EEENS1_30default_config_static_selectorELNS0_4arch9wavefront6targetE1EEEvT1_.kd
    .uniform_work_group_size: 1
    .uses_dynamic_stack: false
    .vgpr_count:     0
    .vgpr_spill_count: 0
    .wavefront_size: 64
  - .agpr_count:     0
    .args:
      - .offset:         0
        .size:           120
        .value_kind:     by_value
    .group_segment_fixed_size: 0
    .kernarg_segment_align: 8
    .kernarg_segment_size: 120
    .language:       OpenCL C
    .language_version:
      - 2
      - 0
    .max_flat_workgroup_size: 256
    .name:           _ZN7rocprim17ROCPRIM_400000_NS6detail17trampoline_kernelINS0_14default_configENS1_29reduce_by_key_config_selectorIiiN6thrust23THRUST_200600_302600_NS4plusIiEEEEZZNS1_33reduce_by_key_impl_wrapped_configILNS1_25lookback_scan_determinismE0ES3_S9_NS6_10device_ptrIiEESD_SD_SD_PmS8_NS6_8equal_toIiEEEE10hipError_tPvRmT2_T3_mT4_T5_T6_T7_T8_P12ihipStream_tbENKUlT_T0_E_clISt17integral_constantIbLb1EESY_EEDaST_SU_EUlST_E_NS1_11comp_targetILNS1_3genE10ELNS1_11target_archE1201ELNS1_3gpuE5ELNS1_3repE0EEENS1_30default_config_static_selectorELNS0_4arch9wavefront6targetE1EEEvT1_
    .private_segment_fixed_size: 0
    .sgpr_count:     4
    .sgpr_spill_count: 0
    .symbol:         _ZN7rocprim17ROCPRIM_400000_NS6detail17trampoline_kernelINS0_14default_configENS1_29reduce_by_key_config_selectorIiiN6thrust23THRUST_200600_302600_NS4plusIiEEEEZZNS1_33reduce_by_key_impl_wrapped_configILNS1_25lookback_scan_determinismE0ES3_S9_NS6_10device_ptrIiEESD_SD_SD_PmS8_NS6_8equal_toIiEEEE10hipError_tPvRmT2_T3_mT4_T5_T6_T7_T8_P12ihipStream_tbENKUlT_T0_E_clISt17integral_constantIbLb1EESY_EEDaST_SU_EUlST_E_NS1_11comp_targetILNS1_3genE10ELNS1_11target_archE1201ELNS1_3gpuE5ELNS1_3repE0EEENS1_30default_config_static_selectorELNS0_4arch9wavefront6targetE1EEEvT1_.kd
    .uniform_work_group_size: 1
    .uses_dynamic_stack: false
    .vgpr_count:     0
    .vgpr_spill_count: 0
    .wavefront_size: 64
  - .agpr_count:     0
    .args:
      - .offset:         0
        .size:           120
        .value_kind:     by_value
    .group_segment_fixed_size: 0
    .kernarg_segment_align: 8
    .kernarg_segment_size: 120
    .language:       OpenCL C
    .language_version:
      - 2
      - 0
    .max_flat_workgroup_size: 256
    .name:           _ZN7rocprim17ROCPRIM_400000_NS6detail17trampoline_kernelINS0_14default_configENS1_29reduce_by_key_config_selectorIiiN6thrust23THRUST_200600_302600_NS4plusIiEEEEZZNS1_33reduce_by_key_impl_wrapped_configILNS1_25lookback_scan_determinismE0ES3_S9_NS6_10device_ptrIiEESD_SD_SD_PmS8_NS6_8equal_toIiEEEE10hipError_tPvRmT2_T3_mT4_T5_T6_T7_T8_P12ihipStream_tbENKUlT_T0_E_clISt17integral_constantIbLb1EESY_EEDaST_SU_EUlST_E_NS1_11comp_targetILNS1_3genE10ELNS1_11target_archE1200ELNS1_3gpuE4ELNS1_3repE0EEENS1_30default_config_static_selectorELNS0_4arch9wavefront6targetE1EEEvT1_
    .private_segment_fixed_size: 0
    .sgpr_count:     4
    .sgpr_spill_count: 0
    .symbol:         _ZN7rocprim17ROCPRIM_400000_NS6detail17trampoline_kernelINS0_14default_configENS1_29reduce_by_key_config_selectorIiiN6thrust23THRUST_200600_302600_NS4plusIiEEEEZZNS1_33reduce_by_key_impl_wrapped_configILNS1_25lookback_scan_determinismE0ES3_S9_NS6_10device_ptrIiEESD_SD_SD_PmS8_NS6_8equal_toIiEEEE10hipError_tPvRmT2_T3_mT4_T5_T6_T7_T8_P12ihipStream_tbENKUlT_T0_E_clISt17integral_constantIbLb1EESY_EEDaST_SU_EUlST_E_NS1_11comp_targetILNS1_3genE10ELNS1_11target_archE1200ELNS1_3gpuE4ELNS1_3repE0EEENS1_30default_config_static_selectorELNS0_4arch9wavefront6targetE1EEEvT1_.kd
    .uniform_work_group_size: 1
    .uses_dynamic_stack: false
    .vgpr_count:     0
    .vgpr_spill_count: 0
    .wavefront_size: 64
  - .agpr_count:     0
    .args:
      - .offset:         0
        .size:           120
        .value_kind:     by_value
    .group_segment_fixed_size: 0
    .kernarg_segment_align: 8
    .kernarg_segment_size: 120
    .language:       OpenCL C
    .language_version:
      - 2
      - 0
    .max_flat_workgroup_size: 256
    .name:           _ZN7rocprim17ROCPRIM_400000_NS6detail17trampoline_kernelINS0_14default_configENS1_29reduce_by_key_config_selectorIiiN6thrust23THRUST_200600_302600_NS4plusIiEEEEZZNS1_33reduce_by_key_impl_wrapped_configILNS1_25lookback_scan_determinismE0ES3_S9_NS6_10device_ptrIiEESD_SD_SD_PmS8_NS6_8equal_toIiEEEE10hipError_tPvRmT2_T3_mT4_T5_T6_T7_T8_P12ihipStream_tbENKUlT_T0_E_clISt17integral_constantIbLb1EESY_EEDaST_SU_EUlST_E_NS1_11comp_targetILNS1_3genE9ELNS1_11target_archE1100ELNS1_3gpuE3ELNS1_3repE0EEENS1_30default_config_static_selectorELNS0_4arch9wavefront6targetE1EEEvT1_
    .private_segment_fixed_size: 0
    .sgpr_count:     4
    .sgpr_spill_count: 0
    .symbol:         _ZN7rocprim17ROCPRIM_400000_NS6detail17trampoline_kernelINS0_14default_configENS1_29reduce_by_key_config_selectorIiiN6thrust23THRUST_200600_302600_NS4plusIiEEEEZZNS1_33reduce_by_key_impl_wrapped_configILNS1_25lookback_scan_determinismE0ES3_S9_NS6_10device_ptrIiEESD_SD_SD_PmS8_NS6_8equal_toIiEEEE10hipError_tPvRmT2_T3_mT4_T5_T6_T7_T8_P12ihipStream_tbENKUlT_T0_E_clISt17integral_constantIbLb1EESY_EEDaST_SU_EUlST_E_NS1_11comp_targetILNS1_3genE9ELNS1_11target_archE1100ELNS1_3gpuE3ELNS1_3repE0EEENS1_30default_config_static_selectorELNS0_4arch9wavefront6targetE1EEEvT1_.kd
    .uniform_work_group_size: 1
    .uses_dynamic_stack: false
    .vgpr_count:     0
    .vgpr_spill_count: 0
    .wavefront_size: 64
  - .agpr_count:     0
    .args:
      - .offset:         0
        .size:           120
        .value_kind:     by_value
    .group_segment_fixed_size: 0
    .kernarg_segment_align: 8
    .kernarg_segment_size: 120
    .language:       OpenCL C
    .language_version:
      - 2
      - 0
    .max_flat_workgroup_size: 256
    .name:           _ZN7rocprim17ROCPRIM_400000_NS6detail17trampoline_kernelINS0_14default_configENS1_29reduce_by_key_config_selectorIiiN6thrust23THRUST_200600_302600_NS4plusIiEEEEZZNS1_33reduce_by_key_impl_wrapped_configILNS1_25lookback_scan_determinismE0ES3_S9_NS6_10device_ptrIiEESD_SD_SD_PmS8_NS6_8equal_toIiEEEE10hipError_tPvRmT2_T3_mT4_T5_T6_T7_T8_P12ihipStream_tbENKUlT_T0_E_clISt17integral_constantIbLb1EESY_EEDaST_SU_EUlST_E_NS1_11comp_targetILNS1_3genE8ELNS1_11target_archE1030ELNS1_3gpuE2ELNS1_3repE0EEENS1_30default_config_static_selectorELNS0_4arch9wavefront6targetE1EEEvT1_
    .private_segment_fixed_size: 0
    .sgpr_count:     4
    .sgpr_spill_count: 0
    .symbol:         _ZN7rocprim17ROCPRIM_400000_NS6detail17trampoline_kernelINS0_14default_configENS1_29reduce_by_key_config_selectorIiiN6thrust23THRUST_200600_302600_NS4plusIiEEEEZZNS1_33reduce_by_key_impl_wrapped_configILNS1_25lookback_scan_determinismE0ES3_S9_NS6_10device_ptrIiEESD_SD_SD_PmS8_NS6_8equal_toIiEEEE10hipError_tPvRmT2_T3_mT4_T5_T6_T7_T8_P12ihipStream_tbENKUlT_T0_E_clISt17integral_constantIbLb1EESY_EEDaST_SU_EUlST_E_NS1_11comp_targetILNS1_3genE8ELNS1_11target_archE1030ELNS1_3gpuE2ELNS1_3repE0EEENS1_30default_config_static_selectorELNS0_4arch9wavefront6targetE1EEEvT1_.kd
    .uniform_work_group_size: 1
    .uses_dynamic_stack: false
    .vgpr_count:     0
    .vgpr_spill_count: 0
    .wavefront_size: 64
  - .agpr_count:     0
    .args:
      - .offset:         0
        .size:           120
        .value_kind:     by_value
    .group_segment_fixed_size: 0
    .kernarg_segment_align: 8
    .kernarg_segment_size: 120
    .language:       OpenCL C
    .language_version:
      - 2
      - 0
    .max_flat_workgroup_size: 256
    .name:           _ZN7rocprim17ROCPRIM_400000_NS6detail17trampoline_kernelINS0_14default_configENS1_29reduce_by_key_config_selectorIiiN6thrust23THRUST_200600_302600_NS4plusIiEEEEZZNS1_33reduce_by_key_impl_wrapped_configILNS1_25lookback_scan_determinismE0ES3_S9_NS6_10device_ptrIiEESD_SD_SD_PmS8_NS6_8equal_toIiEEEE10hipError_tPvRmT2_T3_mT4_T5_T6_T7_T8_P12ihipStream_tbENKUlT_T0_E_clISt17integral_constantIbLb1EESX_IbLb0EEEEDaST_SU_EUlST_E_NS1_11comp_targetILNS1_3genE0ELNS1_11target_archE4294967295ELNS1_3gpuE0ELNS1_3repE0EEENS1_30default_config_static_selectorELNS0_4arch9wavefront6targetE1EEEvT1_
    .private_segment_fixed_size: 0
    .sgpr_count:     4
    .sgpr_spill_count: 0
    .symbol:         _ZN7rocprim17ROCPRIM_400000_NS6detail17trampoline_kernelINS0_14default_configENS1_29reduce_by_key_config_selectorIiiN6thrust23THRUST_200600_302600_NS4plusIiEEEEZZNS1_33reduce_by_key_impl_wrapped_configILNS1_25lookback_scan_determinismE0ES3_S9_NS6_10device_ptrIiEESD_SD_SD_PmS8_NS6_8equal_toIiEEEE10hipError_tPvRmT2_T3_mT4_T5_T6_T7_T8_P12ihipStream_tbENKUlT_T0_E_clISt17integral_constantIbLb1EESX_IbLb0EEEEDaST_SU_EUlST_E_NS1_11comp_targetILNS1_3genE0ELNS1_11target_archE4294967295ELNS1_3gpuE0ELNS1_3repE0EEENS1_30default_config_static_selectorELNS0_4arch9wavefront6targetE1EEEvT1_.kd
    .uniform_work_group_size: 1
    .uses_dynamic_stack: false
    .vgpr_count:     0
    .vgpr_spill_count: 0
    .wavefront_size: 64
  - .agpr_count:     0
    .args:
      - .offset:         0
        .size:           120
        .value_kind:     by_value
    .group_segment_fixed_size: 0
    .kernarg_segment_align: 8
    .kernarg_segment_size: 120
    .language:       OpenCL C
    .language_version:
      - 2
      - 0
    .max_flat_workgroup_size: 256
    .name:           _ZN7rocprim17ROCPRIM_400000_NS6detail17trampoline_kernelINS0_14default_configENS1_29reduce_by_key_config_selectorIiiN6thrust23THRUST_200600_302600_NS4plusIiEEEEZZNS1_33reduce_by_key_impl_wrapped_configILNS1_25lookback_scan_determinismE0ES3_S9_NS6_10device_ptrIiEESD_SD_SD_PmS8_NS6_8equal_toIiEEEE10hipError_tPvRmT2_T3_mT4_T5_T6_T7_T8_P12ihipStream_tbENKUlT_T0_E_clISt17integral_constantIbLb1EESX_IbLb0EEEEDaST_SU_EUlST_E_NS1_11comp_targetILNS1_3genE5ELNS1_11target_archE942ELNS1_3gpuE9ELNS1_3repE0EEENS1_30default_config_static_selectorELNS0_4arch9wavefront6targetE1EEEvT1_
    .private_segment_fixed_size: 0
    .sgpr_count:     4
    .sgpr_spill_count: 0
    .symbol:         _ZN7rocprim17ROCPRIM_400000_NS6detail17trampoline_kernelINS0_14default_configENS1_29reduce_by_key_config_selectorIiiN6thrust23THRUST_200600_302600_NS4plusIiEEEEZZNS1_33reduce_by_key_impl_wrapped_configILNS1_25lookback_scan_determinismE0ES3_S9_NS6_10device_ptrIiEESD_SD_SD_PmS8_NS6_8equal_toIiEEEE10hipError_tPvRmT2_T3_mT4_T5_T6_T7_T8_P12ihipStream_tbENKUlT_T0_E_clISt17integral_constantIbLb1EESX_IbLb0EEEEDaST_SU_EUlST_E_NS1_11comp_targetILNS1_3genE5ELNS1_11target_archE942ELNS1_3gpuE9ELNS1_3repE0EEENS1_30default_config_static_selectorELNS0_4arch9wavefront6targetE1EEEvT1_.kd
    .uniform_work_group_size: 1
    .uses_dynamic_stack: false
    .vgpr_count:     0
    .vgpr_spill_count: 0
    .wavefront_size: 64
  - .agpr_count:     0
    .args:
      - .offset:         0
        .size:           120
        .value_kind:     by_value
    .group_segment_fixed_size: 15360
    .kernarg_segment_align: 8
    .kernarg_segment_size: 120
    .language:       OpenCL C
    .language_version:
      - 2
      - 0
    .max_flat_workgroup_size: 256
    .name:           _ZN7rocprim17ROCPRIM_400000_NS6detail17trampoline_kernelINS0_14default_configENS1_29reduce_by_key_config_selectorIiiN6thrust23THRUST_200600_302600_NS4plusIiEEEEZZNS1_33reduce_by_key_impl_wrapped_configILNS1_25lookback_scan_determinismE0ES3_S9_NS6_10device_ptrIiEESD_SD_SD_PmS8_NS6_8equal_toIiEEEE10hipError_tPvRmT2_T3_mT4_T5_T6_T7_T8_P12ihipStream_tbENKUlT_T0_E_clISt17integral_constantIbLb1EESX_IbLb0EEEEDaST_SU_EUlST_E_NS1_11comp_targetILNS1_3genE4ELNS1_11target_archE910ELNS1_3gpuE8ELNS1_3repE0EEENS1_30default_config_static_selectorELNS0_4arch9wavefront6targetE1EEEvT1_
    .private_segment_fixed_size: 0
    .sgpr_count:     68
    .sgpr_spill_count: 0
    .symbol:         _ZN7rocprim17ROCPRIM_400000_NS6detail17trampoline_kernelINS0_14default_configENS1_29reduce_by_key_config_selectorIiiN6thrust23THRUST_200600_302600_NS4plusIiEEEEZZNS1_33reduce_by_key_impl_wrapped_configILNS1_25lookback_scan_determinismE0ES3_S9_NS6_10device_ptrIiEESD_SD_SD_PmS8_NS6_8equal_toIiEEEE10hipError_tPvRmT2_T3_mT4_T5_T6_T7_T8_P12ihipStream_tbENKUlT_T0_E_clISt17integral_constantIbLb1EESX_IbLb0EEEEDaST_SU_EUlST_E_NS1_11comp_targetILNS1_3genE4ELNS1_11target_archE910ELNS1_3gpuE8ELNS1_3repE0EEENS1_30default_config_static_selectorELNS0_4arch9wavefront6targetE1EEEvT1_.kd
    .uniform_work_group_size: 1
    .uses_dynamic_stack: false
    .vgpr_count:     106
    .vgpr_spill_count: 0
    .wavefront_size: 64
  - .agpr_count:     0
    .args:
      - .offset:         0
        .size:           120
        .value_kind:     by_value
    .group_segment_fixed_size: 0
    .kernarg_segment_align: 8
    .kernarg_segment_size: 120
    .language:       OpenCL C
    .language_version:
      - 2
      - 0
    .max_flat_workgroup_size: 256
    .name:           _ZN7rocprim17ROCPRIM_400000_NS6detail17trampoline_kernelINS0_14default_configENS1_29reduce_by_key_config_selectorIiiN6thrust23THRUST_200600_302600_NS4plusIiEEEEZZNS1_33reduce_by_key_impl_wrapped_configILNS1_25lookback_scan_determinismE0ES3_S9_NS6_10device_ptrIiEESD_SD_SD_PmS8_NS6_8equal_toIiEEEE10hipError_tPvRmT2_T3_mT4_T5_T6_T7_T8_P12ihipStream_tbENKUlT_T0_E_clISt17integral_constantIbLb1EESX_IbLb0EEEEDaST_SU_EUlST_E_NS1_11comp_targetILNS1_3genE3ELNS1_11target_archE908ELNS1_3gpuE7ELNS1_3repE0EEENS1_30default_config_static_selectorELNS0_4arch9wavefront6targetE1EEEvT1_
    .private_segment_fixed_size: 0
    .sgpr_count:     4
    .sgpr_spill_count: 0
    .symbol:         _ZN7rocprim17ROCPRIM_400000_NS6detail17trampoline_kernelINS0_14default_configENS1_29reduce_by_key_config_selectorIiiN6thrust23THRUST_200600_302600_NS4plusIiEEEEZZNS1_33reduce_by_key_impl_wrapped_configILNS1_25lookback_scan_determinismE0ES3_S9_NS6_10device_ptrIiEESD_SD_SD_PmS8_NS6_8equal_toIiEEEE10hipError_tPvRmT2_T3_mT4_T5_T6_T7_T8_P12ihipStream_tbENKUlT_T0_E_clISt17integral_constantIbLb1EESX_IbLb0EEEEDaST_SU_EUlST_E_NS1_11comp_targetILNS1_3genE3ELNS1_11target_archE908ELNS1_3gpuE7ELNS1_3repE0EEENS1_30default_config_static_selectorELNS0_4arch9wavefront6targetE1EEEvT1_.kd
    .uniform_work_group_size: 1
    .uses_dynamic_stack: false
    .vgpr_count:     0
    .vgpr_spill_count: 0
    .wavefront_size: 64
  - .agpr_count:     0
    .args:
      - .offset:         0
        .size:           120
        .value_kind:     by_value
    .group_segment_fixed_size: 0
    .kernarg_segment_align: 8
    .kernarg_segment_size: 120
    .language:       OpenCL C
    .language_version:
      - 2
      - 0
    .max_flat_workgroup_size: 256
    .name:           _ZN7rocprim17ROCPRIM_400000_NS6detail17trampoline_kernelINS0_14default_configENS1_29reduce_by_key_config_selectorIiiN6thrust23THRUST_200600_302600_NS4plusIiEEEEZZNS1_33reduce_by_key_impl_wrapped_configILNS1_25lookback_scan_determinismE0ES3_S9_NS6_10device_ptrIiEESD_SD_SD_PmS8_NS6_8equal_toIiEEEE10hipError_tPvRmT2_T3_mT4_T5_T6_T7_T8_P12ihipStream_tbENKUlT_T0_E_clISt17integral_constantIbLb1EESX_IbLb0EEEEDaST_SU_EUlST_E_NS1_11comp_targetILNS1_3genE2ELNS1_11target_archE906ELNS1_3gpuE6ELNS1_3repE0EEENS1_30default_config_static_selectorELNS0_4arch9wavefront6targetE1EEEvT1_
    .private_segment_fixed_size: 0
    .sgpr_count:     4
    .sgpr_spill_count: 0
    .symbol:         _ZN7rocprim17ROCPRIM_400000_NS6detail17trampoline_kernelINS0_14default_configENS1_29reduce_by_key_config_selectorIiiN6thrust23THRUST_200600_302600_NS4plusIiEEEEZZNS1_33reduce_by_key_impl_wrapped_configILNS1_25lookback_scan_determinismE0ES3_S9_NS6_10device_ptrIiEESD_SD_SD_PmS8_NS6_8equal_toIiEEEE10hipError_tPvRmT2_T3_mT4_T5_T6_T7_T8_P12ihipStream_tbENKUlT_T0_E_clISt17integral_constantIbLb1EESX_IbLb0EEEEDaST_SU_EUlST_E_NS1_11comp_targetILNS1_3genE2ELNS1_11target_archE906ELNS1_3gpuE6ELNS1_3repE0EEENS1_30default_config_static_selectorELNS0_4arch9wavefront6targetE1EEEvT1_.kd
    .uniform_work_group_size: 1
    .uses_dynamic_stack: false
    .vgpr_count:     0
    .vgpr_spill_count: 0
    .wavefront_size: 64
  - .agpr_count:     0
    .args:
      - .offset:         0
        .size:           120
        .value_kind:     by_value
    .group_segment_fixed_size: 0
    .kernarg_segment_align: 8
    .kernarg_segment_size: 120
    .language:       OpenCL C
    .language_version:
      - 2
      - 0
    .max_flat_workgroup_size: 256
    .name:           _ZN7rocprim17ROCPRIM_400000_NS6detail17trampoline_kernelINS0_14default_configENS1_29reduce_by_key_config_selectorIiiN6thrust23THRUST_200600_302600_NS4plusIiEEEEZZNS1_33reduce_by_key_impl_wrapped_configILNS1_25lookback_scan_determinismE0ES3_S9_NS6_10device_ptrIiEESD_SD_SD_PmS8_NS6_8equal_toIiEEEE10hipError_tPvRmT2_T3_mT4_T5_T6_T7_T8_P12ihipStream_tbENKUlT_T0_E_clISt17integral_constantIbLb1EESX_IbLb0EEEEDaST_SU_EUlST_E_NS1_11comp_targetILNS1_3genE10ELNS1_11target_archE1201ELNS1_3gpuE5ELNS1_3repE0EEENS1_30default_config_static_selectorELNS0_4arch9wavefront6targetE1EEEvT1_
    .private_segment_fixed_size: 0
    .sgpr_count:     4
    .sgpr_spill_count: 0
    .symbol:         _ZN7rocprim17ROCPRIM_400000_NS6detail17trampoline_kernelINS0_14default_configENS1_29reduce_by_key_config_selectorIiiN6thrust23THRUST_200600_302600_NS4plusIiEEEEZZNS1_33reduce_by_key_impl_wrapped_configILNS1_25lookback_scan_determinismE0ES3_S9_NS6_10device_ptrIiEESD_SD_SD_PmS8_NS6_8equal_toIiEEEE10hipError_tPvRmT2_T3_mT4_T5_T6_T7_T8_P12ihipStream_tbENKUlT_T0_E_clISt17integral_constantIbLb1EESX_IbLb0EEEEDaST_SU_EUlST_E_NS1_11comp_targetILNS1_3genE10ELNS1_11target_archE1201ELNS1_3gpuE5ELNS1_3repE0EEENS1_30default_config_static_selectorELNS0_4arch9wavefront6targetE1EEEvT1_.kd
    .uniform_work_group_size: 1
    .uses_dynamic_stack: false
    .vgpr_count:     0
    .vgpr_spill_count: 0
    .wavefront_size: 64
  - .agpr_count:     0
    .args:
      - .offset:         0
        .size:           120
        .value_kind:     by_value
    .group_segment_fixed_size: 0
    .kernarg_segment_align: 8
    .kernarg_segment_size: 120
    .language:       OpenCL C
    .language_version:
      - 2
      - 0
    .max_flat_workgroup_size: 256
    .name:           _ZN7rocprim17ROCPRIM_400000_NS6detail17trampoline_kernelINS0_14default_configENS1_29reduce_by_key_config_selectorIiiN6thrust23THRUST_200600_302600_NS4plusIiEEEEZZNS1_33reduce_by_key_impl_wrapped_configILNS1_25lookback_scan_determinismE0ES3_S9_NS6_10device_ptrIiEESD_SD_SD_PmS8_NS6_8equal_toIiEEEE10hipError_tPvRmT2_T3_mT4_T5_T6_T7_T8_P12ihipStream_tbENKUlT_T0_E_clISt17integral_constantIbLb1EESX_IbLb0EEEEDaST_SU_EUlST_E_NS1_11comp_targetILNS1_3genE10ELNS1_11target_archE1200ELNS1_3gpuE4ELNS1_3repE0EEENS1_30default_config_static_selectorELNS0_4arch9wavefront6targetE1EEEvT1_
    .private_segment_fixed_size: 0
    .sgpr_count:     4
    .sgpr_spill_count: 0
    .symbol:         _ZN7rocprim17ROCPRIM_400000_NS6detail17trampoline_kernelINS0_14default_configENS1_29reduce_by_key_config_selectorIiiN6thrust23THRUST_200600_302600_NS4plusIiEEEEZZNS1_33reduce_by_key_impl_wrapped_configILNS1_25lookback_scan_determinismE0ES3_S9_NS6_10device_ptrIiEESD_SD_SD_PmS8_NS6_8equal_toIiEEEE10hipError_tPvRmT2_T3_mT4_T5_T6_T7_T8_P12ihipStream_tbENKUlT_T0_E_clISt17integral_constantIbLb1EESX_IbLb0EEEEDaST_SU_EUlST_E_NS1_11comp_targetILNS1_3genE10ELNS1_11target_archE1200ELNS1_3gpuE4ELNS1_3repE0EEENS1_30default_config_static_selectorELNS0_4arch9wavefront6targetE1EEEvT1_.kd
    .uniform_work_group_size: 1
    .uses_dynamic_stack: false
    .vgpr_count:     0
    .vgpr_spill_count: 0
    .wavefront_size: 64
  - .agpr_count:     0
    .args:
      - .offset:         0
        .size:           120
        .value_kind:     by_value
    .group_segment_fixed_size: 0
    .kernarg_segment_align: 8
    .kernarg_segment_size: 120
    .language:       OpenCL C
    .language_version:
      - 2
      - 0
    .max_flat_workgroup_size: 256
    .name:           _ZN7rocprim17ROCPRIM_400000_NS6detail17trampoline_kernelINS0_14default_configENS1_29reduce_by_key_config_selectorIiiN6thrust23THRUST_200600_302600_NS4plusIiEEEEZZNS1_33reduce_by_key_impl_wrapped_configILNS1_25lookback_scan_determinismE0ES3_S9_NS6_10device_ptrIiEESD_SD_SD_PmS8_NS6_8equal_toIiEEEE10hipError_tPvRmT2_T3_mT4_T5_T6_T7_T8_P12ihipStream_tbENKUlT_T0_E_clISt17integral_constantIbLb1EESX_IbLb0EEEEDaST_SU_EUlST_E_NS1_11comp_targetILNS1_3genE9ELNS1_11target_archE1100ELNS1_3gpuE3ELNS1_3repE0EEENS1_30default_config_static_selectorELNS0_4arch9wavefront6targetE1EEEvT1_
    .private_segment_fixed_size: 0
    .sgpr_count:     4
    .sgpr_spill_count: 0
    .symbol:         _ZN7rocprim17ROCPRIM_400000_NS6detail17trampoline_kernelINS0_14default_configENS1_29reduce_by_key_config_selectorIiiN6thrust23THRUST_200600_302600_NS4plusIiEEEEZZNS1_33reduce_by_key_impl_wrapped_configILNS1_25lookback_scan_determinismE0ES3_S9_NS6_10device_ptrIiEESD_SD_SD_PmS8_NS6_8equal_toIiEEEE10hipError_tPvRmT2_T3_mT4_T5_T6_T7_T8_P12ihipStream_tbENKUlT_T0_E_clISt17integral_constantIbLb1EESX_IbLb0EEEEDaST_SU_EUlST_E_NS1_11comp_targetILNS1_3genE9ELNS1_11target_archE1100ELNS1_3gpuE3ELNS1_3repE0EEENS1_30default_config_static_selectorELNS0_4arch9wavefront6targetE1EEEvT1_.kd
    .uniform_work_group_size: 1
    .uses_dynamic_stack: false
    .vgpr_count:     0
    .vgpr_spill_count: 0
    .wavefront_size: 64
  - .agpr_count:     0
    .args:
      - .offset:         0
        .size:           120
        .value_kind:     by_value
    .group_segment_fixed_size: 0
    .kernarg_segment_align: 8
    .kernarg_segment_size: 120
    .language:       OpenCL C
    .language_version:
      - 2
      - 0
    .max_flat_workgroup_size: 256
    .name:           _ZN7rocprim17ROCPRIM_400000_NS6detail17trampoline_kernelINS0_14default_configENS1_29reduce_by_key_config_selectorIiiN6thrust23THRUST_200600_302600_NS4plusIiEEEEZZNS1_33reduce_by_key_impl_wrapped_configILNS1_25lookback_scan_determinismE0ES3_S9_NS6_10device_ptrIiEESD_SD_SD_PmS8_NS6_8equal_toIiEEEE10hipError_tPvRmT2_T3_mT4_T5_T6_T7_T8_P12ihipStream_tbENKUlT_T0_E_clISt17integral_constantIbLb1EESX_IbLb0EEEEDaST_SU_EUlST_E_NS1_11comp_targetILNS1_3genE8ELNS1_11target_archE1030ELNS1_3gpuE2ELNS1_3repE0EEENS1_30default_config_static_selectorELNS0_4arch9wavefront6targetE1EEEvT1_
    .private_segment_fixed_size: 0
    .sgpr_count:     4
    .sgpr_spill_count: 0
    .symbol:         _ZN7rocprim17ROCPRIM_400000_NS6detail17trampoline_kernelINS0_14default_configENS1_29reduce_by_key_config_selectorIiiN6thrust23THRUST_200600_302600_NS4plusIiEEEEZZNS1_33reduce_by_key_impl_wrapped_configILNS1_25lookback_scan_determinismE0ES3_S9_NS6_10device_ptrIiEESD_SD_SD_PmS8_NS6_8equal_toIiEEEE10hipError_tPvRmT2_T3_mT4_T5_T6_T7_T8_P12ihipStream_tbENKUlT_T0_E_clISt17integral_constantIbLb1EESX_IbLb0EEEEDaST_SU_EUlST_E_NS1_11comp_targetILNS1_3genE8ELNS1_11target_archE1030ELNS1_3gpuE2ELNS1_3repE0EEENS1_30default_config_static_selectorELNS0_4arch9wavefront6targetE1EEEvT1_.kd
    .uniform_work_group_size: 1
    .uses_dynamic_stack: false
    .vgpr_count:     0
    .vgpr_spill_count: 0
    .wavefront_size: 64
  - .agpr_count:     0
    .args:
      - .offset:         0
        .size:           120
        .value_kind:     by_value
    .group_segment_fixed_size: 0
    .kernarg_segment_align: 8
    .kernarg_segment_size: 120
    .language:       OpenCL C
    .language_version:
      - 2
      - 0
    .max_flat_workgroup_size: 256
    .name:           _ZN7rocprim17ROCPRIM_400000_NS6detail17trampoline_kernelINS0_14default_configENS1_29reduce_by_key_config_selectorIiiN6thrust23THRUST_200600_302600_NS4plusIiEEEEZZNS1_33reduce_by_key_impl_wrapped_configILNS1_25lookback_scan_determinismE0ES3_S9_NS6_10device_ptrIiEESD_SD_SD_PmS8_NS6_8equal_toIiEEEE10hipError_tPvRmT2_T3_mT4_T5_T6_T7_T8_P12ihipStream_tbENKUlT_T0_E_clISt17integral_constantIbLb0EESX_IbLb1EEEEDaST_SU_EUlST_E_NS1_11comp_targetILNS1_3genE0ELNS1_11target_archE4294967295ELNS1_3gpuE0ELNS1_3repE0EEENS1_30default_config_static_selectorELNS0_4arch9wavefront6targetE1EEEvT1_
    .private_segment_fixed_size: 0
    .sgpr_count:     4
    .sgpr_spill_count: 0
    .symbol:         _ZN7rocprim17ROCPRIM_400000_NS6detail17trampoline_kernelINS0_14default_configENS1_29reduce_by_key_config_selectorIiiN6thrust23THRUST_200600_302600_NS4plusIiEEEEZZNS1_33reduce_by_key_impl_wrapped_configILNS1_25lookback_scan_determinismE0ES3_S9_NS6_10device_ptrIiEESD_SD_SD_PmS8_NS6_8equal_toIiEEEE10hipError_tPvRmT2_T3_mT4_T5_T6_T7_T8_P12ihipStream_tbENKUlT_T0_E_clISt17integral_constantIbLb0EESX_IbLb1EEEEDaST_SU_EUlST_E_NS1_11comp_targetILNS1_3genE0ELNS1_11target_archE4294967295ELNS1_3gpuE0ELNS1_3repE0EEENS1_30default_config_static_selectorELNS0_4arch9wavefront6targetE1EEEvT1_.kd
    .uniform_work_group_size: 1
    .uses_dynamic_stack: false
    .vgpr_count:     0
    .vgpr_spill_count: 0
    .wavefront_size: 64
  - .agpr_count:     0
    .args:
      - .offset:         0
        .size:           120
        .value_kind:     by_value
    .group_segment_fixed_size: 0
    .kernarg_segment_align: 8
    .kernarg_segment_size: 120
    .language:       OpenCL C
    .language_version:
      - 2
      - 0
    .max_flat_workgroup_size: 256
    .name:           _ZN7rocprim17ROCPRIM_400000_NS6detail17trampoline_kernelINS0_14default_configENS1_29reduce_by_key_config_selectorIiiN6thrust23THRUST_200600_302600_NS4plusIiEEEEZZNS1_33reduce_by_key_impl_wrapped_configILNS1_25lookback_scan_determinismE0ES3_S9_NS6_10device_ptrIiEESD_SD_SD_PmS8_NS6_8equal_toIiEEEE10hipError_tPvRmT2_T3_mT4_T5_T6_T7_T8_P12ihipStream_tbENKUlT_T0_E_clISt17integral_constantIbLb0EESX_IbLb1EEEEDaST_SU_EUlST_E_NS1_11comp_targetILNS1_3genE5ELNS1_11target_archE942ELNS1_3gpuE9ELNS1_3repE0EEENS1_30default_config_static_selectorELNS0_4arch9wavefront6targetE1EEEvT1_
    .private_segment_fixed_size: 0
    .sgpr_count:     4
    .sgpr_spill_count: 0
    .symbol:         _ZN7rocprim17ROCPRIM_400000_NS6detail17trampoline_kernelINS0_14default_configENS1_29reduce_by_key_config_selectorIiiN6thrust23THRUST_200600_302600_NS4plusIiEEEEZZNS1_33reduce_by_key_impl_wrapped_configILNS1_25lookback_scan_determinismE0ES3_S9_NS6_10device_ptrIiEESD_SD_SD_PmS8_NS6_8equal_toIiEEEE10hipError_tPvRmT2_T3_mT4_T5_T6_T7_T8_P12ihipStream_tbENKUlT_T0_E_clISt17integral_constantIbLb0EESX_IbLb1EEEEDaST_SU_EUlST_E_NS1_11comp_targetILNS1_3genE5ELNS1_11target_archE942ELNS1_3gpuE9ELNS1_3repE0EEENS1_30default_config_static_selectorELNS0_4arch9wavefront6targetE1EEEvT1_.kd
    .uniform_work_group_size: 1
    .uses_dynamic_stack: false
    .vgpr_count:     0
    .vgpr_spill_count: 0
    .wavefront_size: 64
  - .agpr_count:     0
    .args:
      - .offset:         0
        .size:           120
        .value_kind:     by_value
    .group_segment_fixed_size: 15360
    .kernarg_segment_align: 8
    .kernarg_segment_size: 120
    .language:       OpenCL C
    .language_version:
      - 2
      - 0
    .max_flat_workgroup_size: 256
    .name:           _ZN7rocprim17ROCPRIM_400000_NS6detail17trampoline_kernelINS0_14default_configENS1_29reduce_by_key_config_selectorIiiN6thrust23THRUST_200600_302600_NS4plusIiEEEEZZNS1_33reduce_by_key_impl_wrapped_configILNS1_25lookback_scan_determinismE0ES3_S9_NS6_10device_ptrIiEESD_SD_SD_PmS8_NS6_8equal_toIiEEEE10hipError_tPvRmT2_T3_mT4_T5_T6_T7_T8_P12ihipStream_tbENKUlT_T0_E_clISt17integral_constantIbLb0EESX_IbLb1EEEEDaST_SU_EUlST_E_NS1_11comp_targetILNS1_3genE4ELNS1_11target_archE910ELNS1_3gpuE8ELNS1_3repE0EEENS1_30default_config_static_selectorELNS0_4arch9wavefront6targetE1EEEvT1_
    .private_segment_fixed_size: 0
    .sgpr_count:     70
    .sgpr_spill_count: 0
    .symbol:         _ZN7rocprim17ROCPRIM_400000_NS6detail17trampoline_kernelINS0_14default_configENS1_29reduce_by_key_config_selectorIiiN6thrust23THRUST_200600_302600_NS4plusIiEEEEZZNS1_33reduce_by_key_impl_wrapped_configILNS1_25lookback_scan_determinismE0ES3_S9_NS6_10device_ptrIiEESD_SD_SD_PmS8_NS6_8equal_toIiEEEE10hipError_tPvRmT2_T3_mT4_T5_T6_T7_T8_P12ihipStream_tbENKUlT_T0_E_clISt17integral_constantIbLb0EESX_IbLb1EEEEDaST_SU_EUlST_E_NS1_11comp_targetILNS1_3genE4ELNS1_11target_archE910ELNS1_3gpuE8ELNS1_3repE0EEENS1_30default_config_static_selectorELNS0_4arch9wavefront6targetE1EEEvT1_.kd
    .uniform_work_group_size: 1
    .uses_dynamic_stack: false
    .vgpr_count:     106
    .vgpr_spill_count: 0
    .wavefront_size: 64
  - .agpr_count:     0
    .args:
      - .offset:         0
        .size:           120
        .value_kind:     by_value
    .group_segment_fixed_size: 0
    .kernarg_segment_align: 8
    .kernarg_segment_size: 120
    .language:       OpenCL C
    .language_version:
      - 2
      - 0
    .max_flat_workgroup_size: 256
    .name:           _ZN7rocprim17ROCPRIM_400000_NS6detail17trampoline_kernelINS0_14default_configENS1_29reduce_by_key_config_selectorIiiN6thrust23THRUST_200600_302600_NS4plusIiEEEEZZNS1_33reduce_by_key_impl_wrapped_configILNS1_25lookback_scan_determinismE0ES3_S9_NS6_10device_ptrIiEESD_SD_SD_PmS8_NS6_8equal_toIiEEEE10hipError_tPvRmT2_T3_mT4_T5_T6_T7_T8_P12ihipStream_tbENKUlT_T0_E_clISt17integral_constantIbLb0EESX_IbLb1EEEEDaST_SU_EUlST_E_NS1_11comp_targetILNS1_3genE3ELNS1_11target_archE908ELNS1_3gpuE7ELNS1_3repE0EEENS1_30default_config_static_selectorELNS0_4arch9wavefront6targetE1EEEvT1_
    .private_segment_fixed_size: 0
    .sgpr_count:     4
    .sgpr_spill_count: 0
    .symbol:         _ZN7rocprim17ROCPRIM_400000_NS6detail17trampoline_kernelINS0_14default_configENS1_29reduce_by_key_config_selectorIiiN6thrust23THRUST_200600_302600_NS4plusIiEEEEZZNS1_33reduce_by_key_impl_wrapped_configILNS1_25lookback_scan_determinismE0ES3_S9_NS6_10device_ptrIiEESD_SD_SD_PmS8_NS6_8equal_toIiEEEE10hipError_tPvRmT2_T3_mT4_T5_T6_T7_T8_P12ihipStream_tbENKUlT_T0_E_clISt17integral_constantIbLb0EESX_IbLb1EEEEDaST_SU_EUlST_E_NS1_11comp_targetILNS1_3genE3ELNS1_11target_archE908ELNS1_3gpuE7ELNS1_3repE0EEENS1_30default_config_static_selectorELNS0_4arch9wavefront6targetE1EEEvT1_.kd
    .uniform_work_group_size: 1
    .uses_dynamic_stack: false
    .vgpr_count:     0
    .vgpr_spill_count: 0
    .wavefront_size: 64
  - .agpr_count:     0
    .args:
      - .offset:         0
        .size:           120
        .value_kind:     by_value
    .group_segment_fixed_size: 0
    .kernarg_segment_align: 8
    .kernarg_segment_size: 120
    .language:       OpenCL C
    .language_version:
      - 2
      - 0
    .max_flat_workgroup_size: 256
    .name:           _ZN7rocprim17ROCPRIM_400000_NS6detail17trampoline_kernelINS0_14default_configENS1_29reduce_by_key_config_selectorIiiN6thrust23THRUST_200600_302600_NS4plusIiEEEEZZNS1_33reduce_by_key_impl_wrapped_configILNS1_25lookback_scan_determinismE0ES3_S9_NS6_10device_ptrIiEESD_SD_SD_PmS8_NS6_8equal_toIiEEEE10hipError_tPvRmT2_T3_mT4_T5_T6_T7_T8_P12ihipStream_tbENKUlT_T0_E_clISt17integral_constantIbLb0EESX_IbLb1EEEEDaST_SU_EUlST_E_NS1_11comp_targetILNS1_3genE2ELNS1_11target_archE906ELNS1_3gpuE6ELNS1_3repE0EEENS1_30default_config_static_selectorELNS0_4arch9wavefront6targetE1EEEvT1_
    .private_segment_fixed_size: 0
    .sgpr_count:     4
    .sgpr_spill_count: 0
    .symbol:         _ZN7rocprim17ROCPRIM_400000_NS6detail17trampoline_kernelINS0_14default_configENS1_29reduce_by_key_config_selectorIiiN6thrust23THRUST_200600_302600_NS4plusIiEEEEZZNS1_33reduce_by_key_impl_wrapped_configILNS1_25lookback_scan_determinismE0ES3_S9_NS6_10device_ptrIiEESD_SD_SD_PmS8_NS6_8equal_toIiEEEE10hipError_tPvRmT2_T3_mT4_T5_T6_T7_T8_P12ihipStream_tbENKUlT_T0_E_clISt17integral_constantIbLb0EESX_IbLb1EEEEDaST_SU_EUlST_E_NS1_11comp_targetILNS1_3genE2ELNS1_11target_archE906ELNS1_3gpuE6ELNS1_3repE0EEENS1_30default_config_static_selectorELNS0_4arch9wavefront6targetE1EEEvT1_.kd
    .uniform_work_group_size: 1
    .uses_dynamic_stack: false
    .vgpr_count:     0
    .vgpr_spill_count: 0
    .wavefront_size: 64
  - .agpr_count:     0
    .args:
      - .offset:         0
        .size:           120
        .value_kind:     by_value
    .group_segment_fixed_size: 0
    .kernarg_segment_align: 8
    .kernarg_segment_size: 120
    .language:       OpenCL C
    .language_version:
      - 2
      - 0
    .max_flat_workgroup_size: 256
    .name:           _ZN7rocprim17ROCPRIM_400000_NS6detail17trampoline_kernelINS0_14default_configENS1_29reduce_by_key_config_selectorIiiN6thrust23THRUST_200600_302600_NS4plusIiEEEEZZNS1_33reduce_by_key_impl_wrapped_configILNS1_25lookback_scan_determinismE0ES3_S9_NS6_10device_ptrIiEESD_SD_SD_PmS8_NS6_8equal_toIiEEEE10hipError_tPvRmT2_T3_mT4_T5_T6_T7_T8_P12ihipStream_tbENKUlT_T0_E_clISt17integral_constantIbLb0EESX_IbLb1EEEEDaST_SU_EUlST_E_NS1_11comp_targetILNS1_3genE10ELNS1_11target_archE1201ELNS1_3gpuE5ELNS1_3repE0EEENS1_30default_config_static_selectorELNS0_4arch9wavefront6targetE1EEEvT1_
    .private_segment_fixed_size: 0
    .sgpr_count:     4
    .sgpr_spill_count: 0
    .symbol:         _ZN7rocprim17ROCPRIM_400000_NS6detail17trampoline_kernelINS0_14default_configENS1_29reduce_by_key_config_selectorIiiN6thrust23THRUST_200600_302600_NS4plusIiEEEEZZNS1_33reduce_by_key_impl_wrapped_configILNS1_25lookback_scan_determinismE0ES3_S9_NS6_10device_ptrIiEESD_SD_SD_PmS8_NS6_8equal_toIiEEEE10hipError_tPvRmT2_T3_mT4_T5_T6_T7_T8_P12ihipStream_tbENKUlT_T0_E_clISt17integral_constantIbLb0EESX_IbLb1EEEEDaST_SU_EUlST_E_NS1_11comp_targetILNS1_3genE10ELNS1_11target_archE1201ELNS1_3gpuE5ELNS1_3repE0EEENS1_30default_config_static_selectorELNS0_4arch9wavefront6targetE1EEEvT1_.kd
    .uniform_work_group_size: 1
    .uses_dynamic_stack: false
    .vgpr_count:     0
    .vgpr_spill_count: 0
    .wavefront_size: 64
  - .agpr_count:     0
    .args:
      - .offset:         0
        .size:           120
        .value_kind:     by_value
    .group_segment_fixed_size: 0
    .kernarg_segment_align: 8
    .kernarg_segment_size: 120
    .language:       OpenCL C
    .language_version:
      - 2
      - 0
    .max_flat_workgroup_size: 256
    .name:           _ZN7rocprim17ROCPRIM_400000_NS6detail17trampoline_kernelINS0_14default_configENS1_29reduce_by_key_config_selectorIiiN6thrust23THRUST_200600_302600_NS4plusIiEEEEZZNS1_33reduce_by_key_impl_wrapped_configILNS1_25lookback_scan_determinismE0ES3_S9_NS6_10device_ptrIiEESD_SD_SD_PmS8_NS6_8equal_toIiEEEE10hipError_tPvRmT2_T3_mT4_T5_T6_T7_T8_P12ihipStream_tbENKUlT_T0_E_clISt17integral_constantIbLb0EESX_IbLb1EEEEDaST_SU_EUlST_E_NS1_11comp_targetILNS1_3genE10ELNS1_11target_archE1200ELNS1_3gpuE4ELNS1_3repE0EEENS1_30default_config_static_selectorELNS0_4arch9wavefront6targetE1EEEvT1_
    .private_segment_fixed_size: 0
    .sgpr_count:     4
    .sgpr_spill_count: 0
    .symbol:         _ZN7rocprim17ROCPRIM_400000_NS6detail17trampoline_kernelINS0_14default_configENS1_29reduce_by_key_config_selectorIiiN6thrust23THRUST_200600_302600_NS4plusIiEEEEZZNS1_33reduce_by_key_impl_wrapped_configILNS1_25lookback_scan_determinismE0ES3_S9_NS6_10device_ptrIiEESD_SD_SD_PmS8_NS6_8equal_toIiEEEE10hipError_tPvRmT2_T3_mT4_T5_T6_T7_T8_P12ihipStream_tbENKUlT_T0_E_clISt17integral_constantIbLb0EESX_IbLb1EEEEDaST_SU_EUlST_E_NS1_11comp_targetILNS1_3genE10ELNS1_11target_archE1200ELNS1_3gpuE4ELNS1_3repE0EEENS1_30default_config_static_selectorELNS0_4arch9wavefront6targetE1EEEvT1_.kd
    .uniform_work_group_size: 1
    .uses_dynamic_stack: false
    .vgpr_count:     0
    .vgpr_spill_count: 0
    .wavefront_size: 64
  - .agpr_count:     0
    .args:
      - .offset:         0
        .size:           120
        .value_kind:     by_value
    .group_segment_fixed_size: 0
    .kernarg_segment_align: 8
    .kernarg_segment_size: 120
    .language:       OpenCL C
    .language_version:
      - 2
      - 0
    .max_flat_workgroup_size: 256
    .name:           _ZN7rocprim17ROCPRIM_400000_NS6detail17trampoline_kernelINS0_14default_configENS1_29reduce_by_key_config_selectorIiiN6thrust23THRUST_200600_302600_NS4plusIiEEEEZZNS1_33reduce_by_key_impl_wrapped_configILNS1_25lookback_scan_determinismE0ES3_S9_NS6_10device_ptrIiEESD_SD_SD_PmS8_NS6_8equal_toIiEEEE10hipError_tPvRmT2_T3_mT4_T5_T6_T7_T8_P12ihipStream_tbENKUlT_T0_E_clISt17integral_constantIbLb0EESX_IbLb1EEEEDaST_SU_EUlST_E_NS1_11comp_targetILNS1_3genE9ELNS1_11target_archE1100ELNS1_3gpuE3ELNS1_3repE0EEENS1_30default_config_static_selectorELNS0_4arch9wavefront6targetE1EEEvT1_
    .private_segment_fixed_size: 0
    .sgpr_count:     4
    .sgpr_spill_count: 0
    .symbol:         _ZN7rocprim17ROCPRIM_400000_NS6detail17trampoline_kernelINS0_14default_configENS1_29reduce_by_key_config_selectorIiiN6thrust23THRUST_200600_302600_NS4plusIiEEEEZZNS1_33reduce_by_key_impl_wrapped_configILNS1_25lookback_scan_determinismE0ES3_S9_NS6_10device_ptrIiEESD_SD_SD_PmS8_NS6_8equal_toIiEEEE10hipError_tPvRmT2_T3_mT4_T5_T6_T7_T8_P12ihipStream_tbENKUlT_T0_E_clISt17integral_constantIbLb0EESX_IbLb1EEEEDaST_SU_EUlST_E_NS1_11comp_targetILNS1_3genE9ELNS1_11target_archE1100ELNS1_3gpuE3ELNS1_3repE0EEENS1_30default_config_static_selectorELNS0_4arch9wavefront6targetE1EEEvT1_.kd
    .uniform_work_group_size: 1
    .uses_dynamic_stack: false
    .vgpr_count:     0
    .vgpr_spill_count: 0
    .wavefront_size: 64
  - .agpr_count:     0
    .args:
      - .offset:         0
        .size:           120
        .value_kind:     by_value
    .group_segment_fixed_size: 0
    .kernarg_segment_align: 8
    .kernarg_segment_size: 120
    .language:       OpenCL C
    .language_version:
      - 2
      - 0
    .max_flat_workgroup_size: 256
    .name:           _ZN7rocprim17ROCPRIM_400000_NS6detail17trampoline_kernelINS0_14default_configENS1_29reduce_by_key_config_selectorIiiN6thrust23THRUST_200600_302600_NS4plusIiEEEEZZNS1_33reduce_by_key_impl_wrapped_configILNS1_25lookback_scan_determinismE0ES3_S9_NS6_10device_ptrIiEESD_SD_SD_PmS8_NS6_8equal_toIiEEEE10hipError_tPvRmT2_T3_mT4_T5_T6_T7_T8_P12ihipStream_tbENKUlT_T0_E_clISt17integral_constantIbLb0EESX_IbLb1EEEEDaST_SU_EUlST_E_NS1_11comp_targetILNS1_3genE8ELNS1_11target_archE1030ELNS1_3gpuE2ELNS1_3repE0EEENS1_30default_config_static_selectorELNS0_4arch9wavefront6targetE1EEEvT1_
    .private_segment_fixed_size: 0
    .sgpr_count:     4
    .sgpr_spill_count: 0
    .symbol:         _ZN7rocprim17ROCPRIM_400000_NS6detail17trampoline_kernelINS0_14default_configENS1_29reduce_by_key_config_selectorIiiN6thrust23THRUST_200600_302600_NS4plusIiEEEEZZNS1_33reduce_by_key_impl_wrapped_configILNS1_25lookback_scan_determinismE0ES3_S9_NS6_10device_ptrIiEESD_SD_SD_PmS8_NS6_8equal_toIiEEEE10hipError_tPvRmT2_T3_mT4_T5_T6_T7_T8_P12ihipStream_tbENKUlT_T0_E_clISt17integral_constantIbLb0EESX_IbLb1EEEEDaST_SU_EUlST_E_NS1_11comp_targetILNS1_3genE8ELNS1_11target_archE1030ELNS1_3gpuE2ELNS1_3repE0EEENS1_30default_config_static_selectorELNS0_4arch9wavefront6targetE1EEEvT1_.kd
    .uniform_work_group_size: 1
    .uses_dynamic_stack: false
    .vgpr_count:     0
    .vgpr_spill_count: 0
    .wavefront_size: 64
  - .agpr_count:     0
    .args:
      - .offset:         0
        .size:           16
        .value_kind:     by_value
      - .offset:         16
        .size:           8
        .value_kind:     by_value
      - .offset:         24
        .size:           8
        .value_kind:     by_value
    .group_segment_fixed_size: 0
    .kernarg_segment_align: 8
    .kernarg_segment_size: 32
    .language:       OpenCL C
    .language_version:
      - 2
      - 0
    .max_flat_workgroup_size: 256
    .name:           _ZN6thrust23THRUST_200600_302600_NS11hip_rocprim14__parallel_for6kernelILj256ENS1_20__uninitialized_fill7functorINS0_10device_ptrIlEElEEmLj1EEEvT0_T1_SA_
    .private_segment_fixed_size: 0
    .sgpr_count:     20
    .sgpr_spill_count: 0
    .symbol:         _ZN6thrust23THRUST_200600_302600_NS11hip_rocprim14__parallel_for6kernelILj256ENS1_20__uninitialized_fill7functorINS0_10device_ptrIlEElEEmLj1EEEvT0_T1_SA_.kd
    .uniform_work_group_size: 1
    .uses_dynamic_stack: false
    .vgpr_count:     5
    .vgpr_spill_count: 0
    .wavefront_size: 64
  - .agpr_count:     0
    .args:
      - .offset:         0
        .size:           24
        .value_kind:     by_value
      - .offset:         24
        .size:           4
        .value_kind:     by_value
      - .offset:         28
        .size:           1
        .value_kind:     by_value
      - .offset:         32
        .size:           4
        .value_kind:     by_value
      - .address_space:  global
        .offset:         40
        .size:           8
        .value_kind:     global_buffer
      - .address_space:  global
        .offset:         48
        .size:           8
        .value_kind:     global_buffer
      - .offset:         56
        .size:           1
        .value_kind:     by_value
      - .offset:         64
        .size:           4
        .value_kind:     hidden_block_count_x
      - .offset:         68
        .size:           4
        .value_kind:     hidden_block_count_y
      - .offset:         72
        .size:           4
        .value_kind:     hidden_block_count_z
      - .offset:         76
        .size:           2
        .value_kind:     hidden_group_size_x
      - .offset:         78
        .size:           2
        .value_kind:     hidden_group_size_y
      - .offset:         80
        .size:           2
        .value_kind:     hidden_group_size_z
      - .offset:         82
        .size:           2
        .value_kind:     hidden_remainder_x
      - .offset:         84
        .size:           2
        .value_kind:     hidden_remainder_y
      - .offset:         86
        .size:           2
        .value_kind:     hidden_remainder_z
      - .offset:         104
        .size:           8
        .value_kind:     hidden_global_offset_x
      - .offset:         112
        .size:           8
        .value_kind:     hidden_global_offset_y
      - .offset:         120
        .size:           8
        .value_kind:     hidden_global_offset_z
      - .offset:         128
        .size:           2
        .value_kind:     hidden_grid_dims
    .group_segment_fixed_size: 0
    .kernarg_segment_align: 8
    .kernarg_segment_size: 320
    .language:       OpenCL C
    .language_version:
      - 2
      - 0
    .max_flat_workgroup_size: 256
    .name:           _ZN7rocprim17ROCPRIM_400000_NS6detail25reduce_by_key_init_kernelINS1_19lookback_scan_stateINS0_5tupleIJjlEEELb0ELb0EEElNS1_16block_id_wrapperIjLb0EEEEEvT_jbjPmPT0_T1_
    .private_segment_fixed_size: 0
    .sgpr_count:     22
    .sgpr_spill_count: 0
    .symbol:         _ZN7rocprim17ROCPRIM_400000_NS6detail25reduce_by_key_init_kernelINS1_19lookback_scan_stateINS0_5tupleIJjlEEELb0ELb0EEElNS1_16block_id_wrapperIjLb0EEEEEvT_jbjPmPT0_T1_.kd
    .uniform_work_group_size: 1
    .uses_dynamic_stack: false
    .vgpr_count:     7
    .vgpr_spill_count: 0
    .wavefront_size: 64
  - .agpr_count:     0
    .args:
      - .offset:         0
        .size:           152
        .value_kind:     by_value
    .group_segment_fixed_size: 0
    .kernarg_segment_align: 8
    .kernarg_segment_size: 152
    .language:       OpenCL C
    .language_version:
      - 2
      - 0
    .max_flat_workgroup_size: 256
    .name:           _ZN7rocprim17ROCPRIM_400000_NS6detail17trampoline_kernelINS0_14default_configENS1_29reduce_by_key_config_selectorIllN6thrust23THRUST_200600_302600_NS4plusIlEEEEZZNS1_33reduce_by_key_impl_wrapped_configILNS1_25lookback_scan_determinismE0ES3_S9_NS6_18transform_iteratorI6div_opNS6_17counting_iteratorIlNS6_11use_defaultESF_SF_EESF_SF_EENSC_I6mod_opSG_SF_SF_EENS6_6detail15normal_iteratorINS6_10device_ptrIlEEEESO_PmS8_NS6_8equal_toIlEEEE10hipError_tPvRmT2_T3_mT4_T5_T6_T7_T8_P12ihipStream_tbENKUlT_T0_E_clISt17integral_constantIbLb0EES19_EEDaS14_S15_EUlS14_E_NS1_11comp_targetILNS1_3genE0ELNS1_11target_archE4294967295ELNS1_3gpuE0ELNS1_3repE0EEENS1_30default_config_static_selectorELNS0_4arch9wavefront6targetE1EEEvT1_
    .private_segment_fixed_size: 0
    .sgpr_count:     4
    .sgpr_spill_count: 0
    .symbol:         _ZN7rocprim17ROCPRIM_400000_NS6detail17trampoline_kernelINS0_14default_configENS1_29reduce_by_key_config_selectorIllN6thrust23THRUST_200600_302600_NS4plusIlEEEEZZNS1_33reduce_by_key_impl_wrapped_configILNS1_25lookback_scan_determinismE0ES3_S9_NS6_18transform_iteratorI6div_opNS6_17counting_iteratorIlNS6_11use_defaultESF_SF_EESF_SF_EENSC_I6mod_opSG_SF_SF_EENS6_6detail15normal_iteratorINS6_10device_ptrIlEEEESO_PmS8_NS6_8equal_toIlEEEE10hipError_tPvRmT2_T3_mT4_T5_T6_T7_T8_P12ihipStream_tbENKUlT_T0_E_clISt17integral_constantIbLb0EES19_EEDaS14_S15_EUlS14_E_NS1_11comp_targetILNS1_3genE0ELNS1_11target_archE4294967295ELNS1_3gpuE0ELNS1_3repE0EEENS1_30default_config_static_selectorELNS0_4arch9wavefront6targetE1EEEvT1_.kd
    .uniform_work_group_size: 1
    .uses_dynamic_stack: false
    .vgpr_count:     0
    .vgpr_spill_count: 0
    .wavefront_size: 64
  - .agpr_count:     0
    .args:
      - .offset:         0
        .size:           152
        .value_kind:     by_value
    .group_segment_fixed_size: 0
    .kernarg_segment_align: 8
    .kernarg_segment_size: 152
    .language:       OpenCL C
    .language_version:
      - 2
      - 0
    .max_flat_workgroup_size: 256
    .name:           _ZN7rocprim17ROCPRIM_400000_NS6detail17trampoline_kernelINS0_14default_configENS1_29reduce_by_key_config_selectorIllN6thrust23THRUST_200600_302600_NS4plusIlEEEEZZNS1_33reduce_by_key_impl_wrapped_configILNS1_25lookback_scan_determinismE0ES3_S9_NS6_18transform_iteratorI6div_opNS6_17counting_iteratorIlNS6_11use_defaultESF_SF_EESF_SF_EENSC_I6mod_opSG_SF_SF_EENS6_6detail15normal_iteratorINS6_10device_ptrIlEEEESO_PmS8_NS6_8equal_toIlEEEE10hipError_tPvRmT2_T3_mT4_T5_T6_T7_T8_P12ihipStream_tbENKUlT_T0_E_clISt17integral_constantIbLb0EES19_EEDaS14_S15_EUlS14_E_NS1_11comp_targetILNS1_3genE5ELNS1_11target_archE942ELNS1_3gpuE9ELNS1_3repE0EEENS1_30default_config_static_selectorELNS0_4arch9wavefront6targetE1EEEvT1_
    .private_segment_fixed_size: 0
    .sgpr_count:     4
    .sgpr_spill_count: 0
    .symbol:         _ZN7rocprim17ROCPRIM_400000_NS6detail17trampoline_kernelINS0_14default_configENS1_29reduce_by_key_config_selectorIllN6thrust23THRUST_200600_302600_NS4plusIlEEEEZZNS1_33reduce_by_key_impl_wrapped_configILNS1_25lookback_scan_determinismE0ES3_S9_NS6_18transform_iteratorI6div_opNS6_17counting_iteratorIlNS6_11use_defaultESF_SF_EESF_SF_EENSC_I6mod_opSG_SF_SF_EENS6_6detail15normal_iteratorINS6_10device_ptrIlEEEESO_PmS8_NS6_8equal_toIlEEEE10hipError_tPvRmT2_T3_mT4_T5_T6_T7_T8_P12ihipStream_tbENKUlT_T0_E_clISt17integral_constantIbLb0EES19_EEDaS14_S15_EUlS14_E_NS1_11comp_targetILNS1_3genE5ELNS1_11target_archE942ELNS1_3gpuE9ELNS1_3repE0EEENS1_30default_config_static_selectorELNS0_4arch9wavefront6targetE1EEEvT1_.kd
    .uniform_work_group_size: 1
    .uses_dynamic_stack: false
    .vgpr_count:     0
    .vgpr_spill_count: 0
    .wavefront_size: 64
  - .agpr_count:     0
    .args:
      - .offset:         0
        .size:           152
        .value_kind:     by_value
    .group_segment_fixed_size: 30720
    .kernarg_segment_align: 8
    .kernarg_segment_size: 152
    .language:       OpenCL C
    .language_version:
      - 2
      - 0
    .max_flat_workgroup_size: 256
    .name:           _ZN7rocprim17ROCPRIM_400000_NS6detail17trampoline_kernelINS0_14default_configENS1_29reduce_by_key_config_selectorIllN6thrust23THRUST_200600_302600_NS4plusIlEEEEZZNS1_33reduce_by_key_impl_wrapped_configILNS1_25lookback_scan_determinismE0ES3_S9_NS6_18transform_iteratorI6div_opNS6_17counting_iteratorIlNS6_11use_defaultESF_SF_EESF_SF_EENSC_I6mod_opSG_SF_SF_EENS6_6detail15normal_iteratorINS6_10device_ptrIlEEEESO_PmS8_NS6_8equal_toIlEEEE10hipError_tPvRmT2_T3_mT4_T5_T6_T7_T8_P12ihipStream_tbENKUlT_T0_E_clISt17integral_constantIbLb0EES19_EEDaS14_S15_EUlS14_E_NS1_11comp_targetILNS1_3genE4ELNS1_11target_archE910ELNS1_3gpuE8ELNS1_3repE0EEENS1_30default_config_static_selectorELNS0_4arch9wavefront6targetE1EEEvT1_
    .private_segment_fixed_size: 0
    .sgpr_count:     81
    .sgpr_spill_count: 0
    .symbol:         _ZN7rocprim17ROCPRIM_400000_NS6detail17trampoline_kernelINS0_14default_configENS1_29reduce_by_key_config_selectorIllN6thrust23THRUST_200600_302600_NS4plusIlEEEEZZNS1_33reduce_by_key_impl_wrapped_configILNS1_25lookback_scan_determinismE0ES3_S9_NS6_18transform_iteratorI6div_opNS6_17counting_iteratorIlNS6_11use_defaultESF_SF_EESF_SF_EENSC_I6mod_opSG_SF_SF_EENS6_6detail15normal_iteratorINS6_10device_ptrIlEEEESO_PmS8_NS6_8equal_toIlEEEE10hipError_tPvRmT2_T3_mT4_T5_T6_T7_T8_P12ihipStream_tbENKUlT_T0_E_clISt17integral_constantIbLb0EES19_EEDaS14_S15_EUlS14_E_NS1_11comp_targetILNS1_3genE4ELNS1_11target_archE910ELNS1_3gpuE8ELNS1_3repE0EEENS1_30default_config_static_selectorELNS0_4arch9wavefront6targetE1EEEvT1_.kd
    .uniform_work_group_size: 1
    .uses_dynamic_stack: false
    .vgpr_count:     118
    .vgpr_spill_count: 0
    .wavefront_size: 64
  - .agpr_count:     0
    .args:
      - .offset:         0
        .size:           152
        .value_kind:     by_value
    .group_segment_fixed_size: 0
    .kernarg_segment_align: 8
    .kernarg_segment_size: 152
    .language:       OpenCL C
    .language_version:
      - 2
      - 0
    .max_flat_workgroup_size: 256
    .name:           _ZN7rocprim17ROCPRIM_400000_NS6detail17trampoline_kernelINS0_14default_configENS1_29reduce_by_key_config_selectorIllN6thrust23THRUST_200600_302600_NS4plusIlEEEEZZNS1_33reduce_by_key_impl_wrapped_configILNS1_25lookback_scan_determinismE0ES3_S9_NS6_18transform_iteratorI6div_opNS6_17counting_iteratorIlNS6_11use_defaultESF_SF_EESF_SF_EENSC_I6mod_opSG_SF_SF_EENS6_6detail15normal_iteratorINS6_10device_ptrIlEEEESO_PmS8_NS6_8equal_toIlEEEE10hipError_tPvRmT2_T3_mT4_T5_T6_T7_T8_P12ihipStream_tbENKUlT_T0_E_clISt17integral_constantIbLb0EES19_EEDaS14_S15_EUlS14_E_NS1_11comp_targetILNS1_3genE3ELNS1_11target_archE908ELNS1_3gpuE7ELNS1_3repE0EEENS1_30default_config_static_selectorELNS0_4arch9wavefront6targetE1EEEvT1_
    .private_segment_fixed_size: 0
    .sgpr_count:     4
    .sgpr_spill_count: 0
    .symbol:         _ZN7rocprim17ROCPRIM_400000_NS6detail17trampoline_kernelINS0_14default_configENS1_29reduce_by_key_config_selectorIllN6thrust23THRUST_200600_302600_NS4plusIlEEEEZZNS1_33reduce_by_key_impl_wrapped_configILNS1_25lookback_scan_determinismE0ES3_S9_NS6_18transform_iteratorI6div_opNS6_17counting_iteratorIlNS6_11use_defaultESF_SF_EESF_SF_EENSC_I6mod_opSG_SF_SF_EENS6_6detail15normal_iteratorINS6_10device_ptrIlEEEESO_PmS8_NS6_8equal_toIlEEEE10hipError_tPvRmT2_T3_mT4_T5_T6_T7_T8_P12ihipStream_tbENKUlT_T0_E_clISt17integral_constantIbLb0EES19_EEDaS14_S15_EUlS14_E_NS1_11comp_targetILNS1_3genE3ELNS1_11target_archE908ELNS1_3gpuE7ELNS1_3repE0EEENS1_30default_config_static_selectorELNS0_4arch9wavefront6targetE1EEEvT1_.kd
    .uniform_work_group_size: 1
    .uses_dynamic_stack: false
    .vgpr_count:     0
    .vgpr_spill_count: 0
    .wavefront_size: 64
  - .agpr_count:     0
    .args:
      - .offset:         0
        .size:           152
        .value_kind:     by_value
    .group_segment_fixed_size: 0
    .kernarg_segment_align: 8
    .kernarg_segment_size: 152
    .language:       OpenCL C
    .language_version:
      - 2
      - 0
    .max_flat_workgroup_size: 256
    .name:           _ZN7rocprim17ROCPRIM_400000_NS6detail17trampoline_kernelINS0_14default_configENS1_29reduce_by_key_config_selectorIllN6thrust23THRUST_200600_302600_NS4plusIlEEEEZZNS1_33reduce_by_key_impl_wrapped_configILNS1_25lookback_scan_determinismE0ES3_S9_NS6_18transform_iteratorI6div_opNS6_17counting_iteratorIlNS6_11use_defaultESF_SF_EESF_SF_EENSC_I6mod_opSG_SF_SF_EENS6_6detail15normal_iteratorINS6_10device_ptrIlEEEESO_PmS8_NS6_8equal_toIlEEEE10hipError_tPvRmT2_T3_mT4_T5_T6_T7_T8_P12ihipStream_tbENKUlT_T0_E_clISt17integral_constantIbLb0EES19_EEDaS14_S15_EUlS14_E_NS1_11comp_targetILNS1_3genE2ELNS1_11target_archE906ELNS1_3gpuE6ELNS1_3repE0EEENS1_30default_config_static_selectorELNS0_4arch9wavefront6targetE1EEEvT1_
    .private_segment_fixed_size: 0
    .sgpr_count:     4
    .sgpr_spill_count: 0
    .symbol:         _ZN7rocprim17ROCPRIM_400000_NS6detail17trampoline_kernelINS0_14default_configENS1_29reduce_by_key_config_selectorIllN6thrust23THRUST_200600_302600_NS4plusIlEEEEZZNS1_33reduce_by_key_impl_wrapped_configILNS1_25lookback_scan_determinismE0ES3_S9_NS6_18transform_iteratorI6div_opNS6_17counting_iteratorIlNS6_11use_defaultESF_SF_EESF_SF_EENSC_I6mod_opSG_SF_SF_EENS6_6detail15normal_iteratorINS6_10device_ptrIlEEEESO_PmS8_NS6_8equal_toIlEEEE10hipError_tPvRmT2_T3_mT4_T5_T6_T7_T8_P12ihipStream_tbENKUlT_T0_E_clISt17integral_constantIbLb0EES19_EEDaS14_S15_EUlS14_E_NS1_11comp_targetILNS1_3genE2ELNS1_11target_archE906ELNS1_3gpuE6ELNS1_3repE0EEENS1_30default_config_static_selectorELNS0_4arch9wavefront6targetE1EEEvT1_.kd
    .uniform_work_group_size: 1
    .uses_dynamic_stack: false
    .vgpr_count:     0
    .vgpr_spill_count: 0
    .wavefront_size: 64
  - .agpr_count:     0
    .args:
      - .offset:         0
        .size:           152
        .value_kind:     by_value
    .group_segment_fixed_size: 0
    .kernarg_segment_align: 8
    .kernarg_segment_size: 152
    .language:       OpenCL C
    .language_version:
      - 2
      - 0
    .max_flat_workgroup_size: 256
    .name:           _ZN7rocprim17ROCPRIM_400000_NS6detail17trampoline_kernelINS0_14default_configENS1_29reduce_by_key_config_selectorIllN6thrust23THRUST_200600_302600_NS4plusIlEEEEZZNS1_33reduce_by_key_impl_wrapped_configILNS1_25lookback_scan_determinismE0ES3_S9_NS6_18transform_iteratorI6div_opNS6_17counting_iteratorIlNS6_11use_defaultESF_SF_EESF_SF_EENSC_I6mod_opSG_SF_SF_EENS6_6detail15normal_iteratorINS6_10device_ptrIlEEEESO_PmS8_NS6_8equal_toIlEEEE10hipError_tPvRmT2_T3_mT4_T5_T6_T7_T8_P12ihipStream_tbENKUlT_T0_E_clISt17integral_constantIbLb0EES19_EEDaS14_S15_EUlS14_E_NS1_11comp_targetILNS1_3genE10ELNS1_11target_archE1201ELNS1_3gpuE5ELNS1_3repE0EEENS1_30default_config_static_selectorELNS0_4arch9wavefront6targetE1EEEvT1_
    .private_segment_fixed_size: 0
    .sgpr_count:     4
    .sgpr_spill_count: 0
    .symbol:         _ZN7rocprim17ROCPRIM_400000_NS6detail17trampoline_kernelINS0_14default_configENS1_29reduce_by_key_config_selectorIllN6thrust23THRUST_200600_302600_NS4plusIlEEEEZZNS1_33reduce_by_key_impl_wrapped_configILNS1_25lookback_scan_determinismE0ES3_S9_NS6_18transform_iteratorI6div_opNS6_17counting_iteratorIlNS6_11use_defaultESF_SF_EESF_SF_EENSC_I6mod_opSG_SF_SF_EENS6_6detail15normal_iteratorINS6_10device_ptrIlEEEESO_PmS8_NS6_8equal_toIlEEEE10hipError_tPvRmT2_T3_mT4_T5_T6_T7_T8_P12ihipStream_tbENKUlT_T0_E_clISt17integral_constantIbLb0EES19_EEDaS14_S15_EUlS14_E_NS1_11comp_targetILNS1_3genE10ELNS1_11target_archE1201ELNS1_3gpuE5ELNS1_3repE0EEENS1_30default_config_static_selectorELNS0_4arch9wavefront6targetE1EEEvT1_.kd
    .uniform_work_group_size: 1
    .uses_dynamic_stack: false
    .vgpr_count:     0
    .vgpr_spill_count: 0
    .wavefront_size: 64
  - .agpr_count:     0
    .args:
      - .offset:         0
        .size:           152
        .value_kind:     by_value
    .group_segment_fixed_size: 0
    .kernarg_segment_align: 8
    .kernarg_segment_size: 152
    .language:       OpenCL C
    .language_version:
      - 2
      - 0
    .max_flat_workgroup_size: 256
    .name:           _ZN7rocprim17ROCPRIM_400000_NS6detail17trampoline_kernelINS0_14default_configENS1_29reduce_by_key_config_selectorIllN6thrust23THRUST_200600_302600_NS4plusIlEEEEZZNS1_33reduce_by_key_impl_wrapped_configILNS1_25lookback_scan_determinismE0ES3_S9_NS6_18transform_iteratorI6div_opNS6_17counting_iteratorIlNS6_11use_defaultESF_SF_EESF_SF_EENSC_I6mod_opSG_SF_SF_EENS6_6detail15normal_iteratorINS6_10device_ptrIlEEEESO_PmS8_NS6_8equal_toIlEEEE10hipError_tPvRmT2_T3_mT4_T5_T6_T7_T8_P12ihipStream_tbENKUlT_T0_E_clISt17integral_constantIbLb0EES19_EEDaS14_S15_EUlS14_E_NS1_11comp_targetILNS1_3genE10ELNS1_11target_archE1200ELNS1_3gpuE4ELNS1_3repE0EEENS1_30default_config_static_selectorELNS0_4arch9wavefront6targetE1EEEvT1_
    .private_segment_fixed_size: 0
    .sgpr_count:     4
    .sgpr_spill_count: 0
    .symbol:         _ZN7rocprim17ROCPRIM_400000_NS6detail17trampoline_kernelINS0_14default_configENS1_29reduce_by_key_config_selectorIllN6thrust23THRUST_200600_302600_NS4plusIlEEEEZZNS1_33reduce_by_key_impl_wrapped_configILNS1_25lookback_scan_determinismE0ES3_S9_NS6_18transform_iteratorI6div_opNS6_17counting_iteratorIlNS6_11use_defaultESF_SF_EESF_SF_EENSC_I6mod_opSG_SF_SF_EENS6_6detail15normal_iteratorINS6_10device_ptrIlEEEESO_PmS8_NS6_8equal_toIlEEEE10hipError_tPvRmT2_T3_mT4_T5_T6_T7_T8_P12ihipStream_tbENKUlT_T0_E_clISt17integral_constantIbLb0EES19_EEDaS14_S15_EUlS14_E_NS1_11comp_targetILNS1_3genE10ELNS1_11target_archE1200ELNS1_3gpuE4ELNS1_3repE0EEENS1_30default_config_static_selectorELNS0_4arch9wavefront6targetE1EEEvT1_.kd
    .uniform_work_group_size: 1
    .uses_dynamic_stack: false
    .vgpr_count:     0
    .vgpr_spill_count: 0
    .wavefront_size: 64
  - .agpr_count:     0
    .args:
      - .offset:         0
        .size:           152
        .value_kind:     by_value
    .group_segment_fixed_size: 0
    .kernarg_segment_align: 8
    .kernarg_segment_size: 152
    .language:       OpenCL C
    .language_version:
      - 2
      - 0
    .max_flat_workgroup_size: 256
    .name:           _ZN7rocprim17ROCPRIM_400000_NS6detail17trampoline_kernelINS0_14default_configENS1_29reduce_by_key_config_selectorIllN6thrust23THRUST_200600_302600_NS4plusIlEEEEZZNS1_33reduce_by_key_impl_wrapped_configILNS1_25lookback_scan_determinismE0ES3_S9_NS6_18transform_iteratorI6div_opNS6_17counting_iteratorIlNS6_11use_defaultESF_SF_EESF_SF_EENSC_I6mod_opSG_SF_SF_EENS6_6detail15normal_iteratorINS6_10device_ptrIlEEEESO_PmS8_NS6_8equal_toIlEEEE10hipError_tPvRmT2_T3_mT4_T5_T6_T7_T8_P12ihipStream_tbENKUlT_T0_E_clISt17integral_constantIbLb0EES19_EEDaS14_S15_EUlS14_E_NS1_11comp_targetILNS1_3genE9ELNS1_11target_archE1100ELNS1_3gpuE3ELNS1_3repE0EEENS1_30default_config_static_selectorELNS0_4arch9wavefront6targetE1EEEvT1_
    .private_segment_fixed_size: 0
    .sgpr_count:     4
    .sgpr_spill_count: 0
    .symbol:         _ZN7rocprim17ROCPRIM_400000_NS6detail17trampoline_kernelINS0_14default_configENS1_29reduce_by_key_config_selectorIllN6thrust23THRUST_200600_302600_NS4plusIlEEEEZZNS1_33reduce_by_key_impl_wrapped_configILNS1_25lookback_scan_determinismE0ES3_S9_NS6_18transform_iteratorI6div_opNS6_17counting_iteratorIlNS6_11use_defaultESF_SF_EESF_SF_EENSC_I6mod_opSG_SF_SF_EENS6_6detail15normal_iteratorINS6_10device_ptrIlEEEESO_PmS8_NS6_8equal_toIlEEEE10hipError_tPvRmT2_T3_mT4_T5_T6_T7_T8_P12ihipStream_tbENKUlT_T0_E_clISt17integral_constantIbLb0EES19_EEDaS14_S15_EUlS14_E_NS1_11comp_targetILNS1_3genE9ELNS1_11target_archE1100ELNS1_3gpuE3ELNS1_3repE0EEENS1_30default_config_static_selectorELNS0_4arch9wavefront6targetE1EEEvT1_.kd
    .uniform_work_group_size: 1
    .uses_dynamic_stack: false
    .vgpr_count:     0
    .vgpr_spill_count: 0
    .wavefront_size: 64
  - .agpr_count:     0
    .args:
      - .offset:         0
        .size:           152
        .value_kind:     by_value
    .group_segment_fixed_size: 0
    .kernarg_segment_align: 8
    .kernarg_segment_size: 152
    .language:       OpenCL C
    .language_version:
      - 2
      - 0
    .max_flat_workgroup_size: 256
    .name:           _ZN7rocprim17ROCPRIM_400000_NS6detail17trampoline_kernelINS0_14default_configENS1_29reduce_by_key_config_selectorIllN6thrust23THRUST_200600_302600_NS4plusIlEEEEZZNS1_33reduce_by_key_impl_wrapped_configILNS1_25lookback_scan_determinismE0ES3_S9_NS6_18transform_iteratorI6div_opNS6_17counting_iteratorIlNS6_11use_defaultESF_SF_EESF_SF_EENSC_I6mod_opSG_SF_SF_EENS6_6detail15normal_iteratorINS6_10device_ptrIlEEEESO_PmS8_NS6_8equal_toIlEEEE10hipError_tPvRmT2_T3_mT4_T5_T6_T7_T8_P12ihipStream_tbENKUlT_T0_E_clISt17integral_constantIbLb0EES19_EEDaS14_S15_EUlS14_E_NS1_11comp_targetILNS1_3genE8ELNS1_11target_archE1030ELNS1_3gpuE2ELNS1_3repE0EEENS1_30default_config_static_selectorELNS0_4arch9wavefront6targetE1EEEvT1_
    .private_segment_fixed_size: 0
    .sgpr_count:     4
    .sgpr_spill_count: 0
    .symbol:         _ZN7rocprim17ROCPRIM_400000_NS6detail17trampoline_kernelINS0_14default_configENS1_29reduce_by_key_config_selectorIllN6thrust23THRUST_200600_302600_NS4plusIlEEEEZZNS1_33reduce_by_key_impl_wrapped_configILNS1_25lookback_scan_determinismE0ES3_S9_NS6_18transform_iteratorI6div_opNS6_17counting_iteratorIlNS6_11use_defaultESF_SF_EESF_SF_EENSC_I6mod_opSG_SF_SF_EENS6_6detail15normal_iteratorINS6_10device_ptrIlEEEESO_PmS8_NS6_8equal_toIlEEEE10hipError_tPvRmT2_T3_mT4_T5_T6_T7_T8_P12ihipStream_tbENKUlT_T0_E_clISt17integral_constantIbLb0EES19_EEDaS14_S15_EUlS14_E_NS1_11comp_targetILNS1_3genE8ELNS1_11target_archE1030ELNS1_3gpuE2ELNS1_3repE0EEENS1_30default_config_static_selectorELNS0_4arch9wavefront6targetE1EEEvT1_.kd
    .uniform_work_group_size: 1
    .uses_dynamic_stack: false
    .vgpr_count:     0
    .vgpr_spill_count: 0
    .wavefront_size: 64
  - .agpr_count:     0
    .args:
      - .offset:         0
        .size:           24
        .value_kind:     by_value
      - .offset:         24
        .size:           4
        .value_kind:     by_value
      - .offset:         28
        .size:           1
        .value_kind:     by_value
      - .offset:         32
        .size:           4
        .value_kind:     by_value
      - .address_space:  global
        .offset:         40
        .size:           8
        .value_kind:     global_buffer
      - .address_space:  global
        .offset:         48
        .size:           8
        .value_kind:     global_buffer
      - .address_space:  global
        .offset:         56
        .size:           8
        .value_kind:     global_buffer
      - .offset:         64
        .size:           4
        .value_kind:     hidden_block_count_x
      - .offset:         68
        .size:           4
        .value_kind:     hidden_block_count_y
      - .offset:         72
        .size:           4
        .value_kind:     hidden_block_count_z
      - .offset:         76
        .size:           2
        .value_kind:     hidden_group_size_x
      - .offset:         78
        .size:           2
        .value_kind:     hidden_group_size_y
      - .offset:         80
        .size:           2
        .value_kind:     hidden_group_size_z
      - .offset:         82
        .size:           2
        .value_kind:     hidden_remainder_x
      - .offset:         84
        .size:           2
        .value_kind:     hidden_remainder_y
      - .offset:         86
        .size:           2
        .value_kind:     hidden_remainder_z
      - .offset:         104
        .size:           8
        .value_kind:     hidden_global_offset_x
      - .offset:         112
        .size:           8
        .value_kind:     hidden_global_offset_y
      - .offset:         120
        .size:           8
        .value_kind:     hidden_global_offset_z
      - .offset:         128
        .size:           2
        .value_kind:     hidden_grid_dims
    .group_segment_fixed_size: 0
    .kernarg_segment_align: 8
    .kernarg_segment_size: 320
    .language:       OpenCL C
    .language_version:
      - 2
      - 0
    .max_flat_workgroup_size: 256
    .name:           _ZN7rocprim17ROCPRIM_400000_NS6detail25reduce_by_key_init_kernelINS1_19lookback_scan_stateINS0_5tupleIJjlEEELb1ELb0EEElNS1_16block_id_wrapperIjLb1EEEEEvT_jbjPmPT0_T1_
    .private_segment_fixed_size: 0
    .sgpr_count:     26
    .sgpr_spill_count: 0
    .symbol:         _ZN7rocprim17ROCPRIM_400000_NS6detail25reduce_by_key_init_kernelINS1_19lookback_scan_stateINS0_5tupleIJjlEEELb1ELb0EEElNS1_16block_id_wrapperIjLb1EEEEEvT_jbjPmPT0_T1_.kd
    .uniform_work_group_size: 1
    .uses_dynamic_stack: false
    .vgpr_count:     7
    .vgpr_spill_count: 0
    .wavefront_size: 64
  - .agpr_count:     0
    .args:
      - .offset:         0
        .size:           152
        .value_kind:     by_value
    .group_segment_fixed_size: 0
    .kernarg_segment_align: 8
    .kernarg_segment_size: 152
    .language:       OpenCL C
    .language_version:
      - 2
      - 0
    .max_flat_workgroup_size: 256
    .name:           _ZN7rocprim17ROCPRIM_400000_NS6detail17trampoline_kernelINS0_14default_configENS1_29reduce_by_key_config_selectorIllN6thrust23THRUST_200600_302600_NS4plusIlEEEEZZNS1_33reduce_by_key_impl_wrapped_configILNS1_25lookback_scan_determinismE0ES3_S9_NS6_18transform_iteratorI6div_opNS6_17counting_iteratorIlNS6_11use_defaultESF_SF_EESF_SF_EENSC_I6mod_opSG_SF_SF_EENS6_6detail15normal_iteratorINS6_10device_ptrIlEEEESO_PmS8_NS6_8equal_toIlEEEE10hipError_tPvRmT2_T3_mT4_T5_T6_T7_T8_P12ihipStream_tbENKUlT_T0_E_clISt17integral_constantIbLb1EES19_EEDaS14_S15_EUlS14_E_NS1_11comp_targetILNS1_3genE0ELNS1_11target_archE4294967295ELNS1_3gpuE0ELNS1_3repE0EEENS1_30default_config_static_selectorELNS0_4arch9wavefront6targetE1EEEvT1_
    .private_segment_fixed_size: 0
    .sgpr_count:     4
    .sgpr_spill_count: 0
    .symbol:         _ZN7rocprim17ROCPRIM_400000_NS6detail17trampoline_kernelINS0_14default_configENS1_29reduce_by_key_config_selectorIllN6thrust23THRUST_200600_302600_NS4plusIlEEEEZZNS1_33reduce_by_key_impl_wrapped_configILNS1_25lookback_scan_determinismE0ES3_S9_NS6_18transform_iteratorI6div_opNS6_17counting_iteratorIlNS6_11use_defaultESF_SF_EESF_SF_EENSC_I6mod_opSG_SF_SF_EENS6_6detail15normal_iteratorINS6_10device_ptrIlEEEESO_PmS8_NS6_8equal_toIlEEEE10hipError_tPvRmT2_T3_mT4_T5_T6_T7_T8_P12ihipStream_tbENKUlT_T0_E_clISt17integral_constantIbLb1EES19_EEDaS14_S15_EUlS14_E_NS1_11comp_targetILNS1_3genE0ELNS1_11target_archE4294967295ELNS1_3gpuE0ELNS1_3repE0EEENS1_30default_config_static_selectorELNS0_4arch9wavefront6targetE1EEEvT1_.kd
    .uniform_work_group_size: 1
    .uses_dynamic_stack: false
    .vgpr_count:     0
    .vgpr_spill_count: 0
    .wavefront_size: 64
  - .agpr_count:     0
    .args:
      - .offset:         0
        .size:           152
        .value_kind:     by_value
    .group_segment_fixed_size: 0
    .kernarg_segment_align: 8
    .kernarg_segment_size: 152
    .language:       OpenCL C
    .language_version:
      - 2
      - 0
    .max_flat_workgroup_size: 256
    .name:           _ZN7rocprim17ROCPRIM_400000_NS6detail17trampoline_kernelINS0_14default_configENS1_29reduce_by_key_config_selectorIllN6thrust23THRUST_200600_302600_NS4plusIlEEEEZZNS1_33reduce_by_key_impl_wrapped_configILNS1_25lookback_scan_determinismE0ES3_S9_NS6_18transform_iteratorI6div_opNS6_17counting_iteratorIlNS6_11use_defaultESF_SF_EESF_SF_EENSC_I6mod_opSG_SF_SF_EENS6_6detail15normal_iteratorINS6_10device_ptrIlEEEESO_PmS8_NS6_8equal_toIlEEEE10hipError_tPvRmT2_T3_mT4_T5_T6_T7_T8_P12ihipStream_tbENKUlT_T0_E_clISt17integral_constantIbLb1EES19_EEDaS14_S15_EUlS14_E_NS1_11comp_targetILNS1_3genE5ELNS1_11target_archE942ELNS1_3gpuE9ELNS1_3repE0EEENS1_30default_config_static_selectorELNS0_4arch9wavefront6targetE1EEEvT1_
    .private_segment_fixed_size: 0
    .sgpr_count:     4
    .sgpr_spill_count: 0
    .symbol:         _ZN7rocprim17ROCPRIM_400000_NS6detail17trampoline_kernelINS0_14default_configENS1_29reduce_by_key_config_selectorIllN6thrust23THRUST_200600_302600_NS4plusIlEEEEZZNS1_33reduce_by_key_impl_wrapped_configILNS1_25lookback_scan_determinismE0ES3_S9_NS6_18transform_iteratorI6div_opNS6_17counting_iteratorIlNS6_11use_defaultESF_SF_EESF_SF_EENSC_I6mod_opSG_SF_SF_EENS6_6detail15normal_iteratorINS6_10device_ptrIlEEEESO_PmS8_NS6_8equal_toIlEEEE10hipError_tPvRmT2_T3_mT4_T5_T6_T7_T8_P12ihipStream_tbENKUlT_T0_E_clISt17integral_constantIbLb1EES19_EEDaS14_S15_EUlS14_E_NS1_11comp_targetILNS1_3genE5ELNS1_11target_archE942ELNS1_3gpuE9ELNS1_3repE0EEENS1_30default_config_static_selectorELNS0_4arch9wavefront6targetE1EEEvT1_.kd
    .uniform_work_group_size: 1
    .uses_dynamic_stack: false
    .vgpr_count:     0
    .vgpr_spill_count: 0
    .wavefront_size: 64
  - .agpr_count:     0
    .args:
      - .offset:         0
        .size:           152
        .value_kind:     by_value
    .group_segment_fixed_size: 30720
    .kernarg_segment_align: 8
    .kernarg_segment_size: 152
    .language:       OpenCL C
    .language_version:
      - 2
      - 0
    .max_flat_workgroup_size: 256
    .name:           _ZN7rocprim17ROCPRIM_400000_NS6detail17trampoline_kernelINS0_14default_configENS1_29reduce_by_key_config_selectorIllN6thrust23THRUST_200600_302600_NS4plusIlEEEEZZNS1_33reduce_by_key_impl_wrapped_configILNS1_25lookback_scan_determinismE0ES3_S9_NS6_18transform_iteratorI6div_opNS6_17counting_iteratorIlNS6_11use_defaultESF_SF_EESF_SF_EENSC_I6mod_opSG_SF_SF_EENS6_6detail15normal_iteratorINS6_10device_ptrIlEEEESO_PmS8_NS6_8equal_toIlEEEE10hipError_tPvRmT2_T3_mT4_T5_T6_T7_T8_P12ihipStream_tbENKUlT_T0_E_clISt17integral_constantIbLb1EES19_EEDaS14_S15_EUlS14_E_NS1_11comp_targetILNS1_3genE4ELNS1_11target_archE910ELNS1_3gpuE8ELNS1_3repE0EEENS1_30default_config_static_selectorELNS0_4arch9wavefront6targetE1EEEvT1_
    .private_segment_fixed_size: 0
    .sgpr_count:     85
    .sgpr_spill_count: 0
    .symbol:         _ZN7rocprim17ROCPRIM_400000_NS6detail17trampoline_kernelINS0_14default_configENS1_29reduce_by_key_config_selectorIllN6thrust23THRUST_200600_302600_NS4plusIlEEEEZZNS1_33reduce_by_key_impl_wrapped_configILNS1_25lookback_scan_determinismE0ES3_S9_NS6_18transform_iteratorI6div_opNS6_17counting_iteratorIlNS6_11use_defaultESF_SF_EESF_SF_EENSC_I6mod_opSG_SF_SF_EENS6_6detail15normal_iteratorINS6_10device_ptrIlEEEESO_PmS8_NS6_8equal_toIlEEEE10hipError_tPvRmT2_T3_mT4_T5_T6_T7_T8_P12ihipStream_tbENKUlT_T0_E_clISt17integral_constantIbLb1EES19_EEDaS14_S15_EUlS14_E_NS1_11comp_targetILNS1_3genE4ELNS1_11target_archE910ELNS1_3gpuE8ELNS1_3repE0EEENS1_30default_config_static_selectorELNS0_4arch9wavefront6targetE1EEEvT1_.kd
    .uniform_work_group_size: 1
    .uses_dynamic_stack: false
    .vgpr_count:     118
    .vgpr_spill_count: 0
    .wavefront_size: 64
  - .agpr_count:     0
    .args:
      - .offset:         0
        .size:           152
        .value_kind:     by_value
    .group_segment_fixed_size: 0
    .kernarg_segment_align: 8
    .kernarg_segment_size: 152
    .language:       OpenCL C
    .language_version:
      - 2
      - 0
    .max_flat_workgroup_size: 256
    .name:           _ZN7rocprim17ROCPRIM_400000_NS6detail17trampoline_kernelINS0_14default_configENS1_29reduce_by_key_config_selectorIllN6thrust23THRUST_200600_302600_NS4plusIlEEEEZZNS1_33reduce_by_key_impl_wrapped_configILNS1_25lookback_scan_determinismE0ES3_S9_NS6_18transform_iteratorI6div_opNS6_17counting_iteratorIlNS6_11use_defaultESF_SF_EESF_SF_EENSC_I6mod_opSG_SF_SF_EENS6_6detail15normal_iteratorINS6_10device_ptrIlEEEESO_PmS8_NS6_8equal_toIlEEEE10hipError_tPvRmT2_T3_mT4_T5_T6_T7_T8_P12ihipStream_tbENKUlT_T0_E_clISt17integral_constantIbLb1EES19_EEDaS14_S15_EUlS14_E_NS1_11comp_targetILNS1_3genE3ELNS1_11target_archE908ELNS1_3gpuE7ELNS1_3repE0EEENS1_30default_config_static_selectorELNS0_4arch9wavefront6targetE1EEEvT1_
    .private_segment_fixed_size: 0
    .sgpr_count:     4
    .sgpr_spill_count: 0
    .symbol:         _ZN7rocprim17ROCPRIM_400000_NS6detail17trampoline_kernelINS0_14default_configENS1_29reduce_by_key_config_selectorIllN6thrust23THRUST_200600_302600_NS4plusIlEEEEZZNS1_33reduce_by_key_impl_wrapped_configILNS1_25lookback_scan_determinismE0ES3_S9_NS6_18transform_iteratorI6div_opNS6_17counting_iteratorIlNS6_11use_defaultESF_SF_EESF_SF_EENSC_I6mod_opSG_SF_SF_EENS6_6detail15normal_iteratorINS6_10device_ptrIlEEEESO_PmS8_NS6_8equal_toIlEEEE10hipError_tPvRmT2_T3_mT4_T5_T6_T7_T8_P12ihipStream_tbENKUlT_T0_E_clISt17integral_constantIbLb1EES19_EEDaS14_S15_EUlS14_E_NS1_11comp_targetILNS1_3genE3ELNS1_11target_archE908ELNS1_3gpuE7ELNS1_3repE0EEENS1_30default_config_static_selectorELNS0_4arch9wavefront6targetE1EEEvT1_.kd
    .uniform_work_group_size: 1
    .uses_dynamic_stack: false
    .vgpr_count:     0
    .vgpr_spill_count: 0
    .wavefront_size: 64
  - .agpr_count:     0
    .args:
      - .offset:         0
        .size:           152
        .value_kind:     by_value
    .group_segment_fixed_size: 0
    .kernarg_segment_align: 8
    .kernarg_segment_size: 152
    .language:       OpenCL C
    .language_version:
      - 2
      - 0
    .max_flat_workgroup_size: 256
    .name:           _ZN7rocprim17ROCPRIM_400000_NS6detail17trampoline_kernelINS0_14default_configENS1_29reduce_by_key_config_selectorIllN6thrust23THRUST_200600_302600_NS4plusIlEEEEZZNS1_33reduce_by_key_impl_wrapped_configILNS1_25lookback_scan_determinismE0ES3_S9_NS6_18transform_iteratorI6div_opNS6_17counting_iteratorIlNS6_11use_defaultESF_SF_EESF_SF_EENSC_I6mod_opSG_SF_SF_EENS6_6detail15normal_iteratorINS6_10device_ptrIlEEEESO_PmS8_NS6_8equal_toIlEEEE10hipError_tPvRmT2_T3_mT4_T5_T6_T7_T8_P12ihipStream_tbENKUlT_T0_E_clISt17integral_constantIbLb1EES19_EEDaS14_S15_EUlS14_E_NS1_11comp_targetILNS1_3genE2ELNS1_11target_archE906ELNS1_3gpuE6ELNS1_3repE0EEENS1_30default_config_static_selectorELNS0_4arch9wavefront6targetE1EEEvT1_
    .private_segment_fixed_size: 0
    .sgpr_count:     4
    .sgpr_spill_count: 0
    .symbol:         _ZN7rocprim17ROCPRIM_400000_NS6detail17trampoline_kernelINS0_14default_configENS1_29reduce_by_key_config_selectorIllN6thrust23THRUST_200600_302600_NS4plusIlEEEEZZNS1_33reduce_by_key_impl_wrapped_configILNS1_25lookback_scan_determinismE0ES3_S9_NS6_18transform_iteratorI6div_opNS6_17counting_iteratorIlNS6_11use_defaultESF_SF_EESF_SF_EENSC_I6mod_opSG_SF_SF_EENS6_6detail15normal_iteratorINS6_10device_ptrIlEEEESO_PmS8_NS6_8equal_toIlEEEE10hipError_tPvRmT2_T3_mT4_T5_T6_T7_T8_P12ihipStream_tbENKUlT_T0_E_clISt17integral_constantIbLb1EES19_EEDaS14_S15_EUlS14_E_NS1_11comp_targetILNS1_3genE2ELNS1_11target_archE906ELNS1_3gpuE6ELNS1_3repE0EEENS1_30default_config_static_selectorELNS0_4arch9wavefront6targetE1EEEvT1_.kd
    .uniform_work_group_size: 1
    .uses_dynamic_stack: false
    .vgpr_count:     0
    .vgpr_spill_count: 0
    .wavefront_size: 64
  - .agpr_count:     0
    .args:
      - .offset:         0
        .size:           152
        .value_kind:     by_value
    .group_segment_fixed_size: 0
    .kernarg_segment_align: 8
    .kernarg_segment_size: 152
    .language:       OpenCL C
    .language_version:
      - 2
      - 0
    .max_flat_workgroup_size: 256
    .name:           _ZN7rocprim17ROCPRIM_400000_NS6detail17trampoline_kernelINS0_14default_configENS1_29reduce_by_key_config_selectorIllN6thrust23THRUST_200600_302600_NS4plusIlEEEEZZNS1_33reduce_by_key_impl_wrapped_configILNS1_25lookback_scan_determinismE0ES3_S9_NS6_18transform_iteratorI6div_opNS6_17counting_iteratorIlNS6_11use_defaultESF_SF_EESF_SF_EENSC_I6mod_opSG_SF_SF_EENS6_6detail15normal_iteratorINS6_10device_ptrIlEEEESO_PmS8_NS6_8equal_toIlEEEE10hipError_tPvRmT2_T3_mT4_T5_T6_T7_T8_P12ihipStream_tbENKUlT_T0_E_clISt17integral_constantIbLb1EES19_EEDaS14_S15_EUlS14_E_NS1_11comp_targetILNS1_3genE10ELNS1_11target_archE1201ELNS1_3gpuE5ELNS1_3repE0EEENS1_30default_config_static_selectorELNS0_4arch9wavefront6targetE1EEEvT1_
    .private_segment_fixed_size: 0
    .sgpr_count:     4
    .sgpr_spill_count: 0
    .symbol:         _ZN7rocprim17ROCPRIM_400000_NS6detail17trampoline_kernelINS0_14default_configENS1_29reduce_by_key_config_selectorIllN6thrust23THRUST_200600_302600_NS4plusIlEEEEZZNS1_33reduce_by_key_impl_wrapped_configILNS1_25lookback_scan_determinismE0ES3_S9_NS6_18transform_iteratorI6div_opNS6_17counting_iteratorIlNS6_11use_defaultESF_SF_EESF_SF_EENSC_I6mod_opSG_SF_SF_EENS6_6detail15normal_iteratorINS6_10device_ptrIlEEEESO_PmS8_NS6_8equal_toIlEEEE10hipError_tPvRmT2_T3_mT4_T5_T6_T7_T8_P12ihipStream_tbENKUlT_T0_E_clISt17integral_constantIbLb1EES19_EEDaS14_S15_EUlS14_E_NS1_11comp_targetILNS1_3genE10ELNS1_11target_archE1201ELNS1_3gpuE5ELNS1_3repE0EEENS1_30default_config_static_selectorELNS0_4arch9wavefront6targetE1EEEvT1_.kd
    .uniform_work_group_size: 1
    .uses_dynamic_stack: false
    .vgpr_count:     0
    .vgpr_spill_count: 0
    .wavefront_size: 64
  - .agpr_count:     0
    .args:
      - .offset:         0
        .size:           152
        .value_kind:     by_value
    .group_segment_fixed_size: 0
    .kernarg_segment_align: 8
    .kernarg_segment_size: 152
    .language:       OpenCL C
    .language_version:
      - 2
      - 0
    .max_flat_workgroup_size: 256
    .name:           _ZN7rocprim17ROCPRIM_400000_NS6detail17trampoline_kernelINS0_14default_configENS1_29reduce_by_key_config_selectorIllN6thrust23THRUST_200600_302600_NS4plusIlEEEEZZNS1_33reduce_by_key_impl_wrapped_configILNS1_25lookback_scan_determinismE0ES3_S9_NS6_18transform_iteratorI6div_opNS6_17counting_iteratorIlNS6_11use_defaultESF_SF_EESF_SF_EENSC_I6mod_opSG_SF_SF_EENS6_6detail15normal_iteratorINS6_10device_ptrIlEEEESO_PmS8_NS6_8equal_toIlEEEE10hipError_tPvRmT2_T3_mT4_T5_T6_T7_T8_P12ihipStream_tbENKUlT_T0_E_clISt17integral_constantIbLb1EES19_EEDaS14_S15_EUlS14_E_NS1_11comp_targetILNS1_3genE10ELNS1_11target_archE1200ELNS1_3gpuE4ELNS1_3repE0EEENS1_30default_config_static_selectorELNS0_4arch9wavefront6targetE1EEEvT1_
    .private_segment_fixed_size: 0
    .sgpr_count:     4
    .sgpr_spill_count: 0
    .symbol:         _ZN7rocprim17ROCPRIM_400000_NS6detail17trampoline_kernelINS0_14default_configENS1_29reduce_by_key_config_selectorIllN6thrust23THRUST_200600_302600_NS4plusIlEEEEZZNS1_33reduce_by_key_impl_wrapped_configILNS1_25lookback_scan_determinismE0ES3_S9_NS6_18transform_iteratorI6div_opNS6_17counting_iteratorIlNS6_11use_defaultESF_SF_EESF_SF_EENSC_I6mod_opSG_SF_SF_EENS6_6detail15normal_iteratorINS6_10device_ptrIlEEEESO_PmS8_NS6_8equal_toIlEEEE10hipError_tPvRmT2_T3_mT4_T5_T6_T7_T8_P12ihipStream_tbENKUlT_T0_E_clISt17integral_constantIbLb1EES19_EEDaS14_S15_EUlS14_E_NS1_11comp_targetILNS1_3genE10ELNS1_11target_archE1200ELNS1_3gpuE4ELNS1_3repE0EEENS1_30default_config_static_selectorELNS0_4arch9wavefront6targetE1EEEvT1_.kd
    .uniform_work_group_size: 1
    .uses_dynamic_stack: false
    .vgpr_count:     0
    .vgpr_spill_count: 0
    .wavefront_size: 64
  - .agpr_count:     0
    .args:
      - .offset:         0
        .size:           152
        .value_kind:     by_value
    .group_segment_fixed_size: 0
    .kernarg_segment_align: 8
    .kernarg_segment_size: 152
    .language:       OpenCL C
    .language_version:
      - 2
      - 0
    .max_flat_workgroup_size: 256
    .name:           _ZN7rocprim17ROCPRIM_400000_NS6detail17trampoline_kernelINS0_14default_configENS1_29reduce_by_key_config_selectorIllN6thrust23THRUST_200600_302600_NS4plusIlEEEEZZNS1_33reduce_by_key_impl_wrapped_configILNS1_25lookback_scan_determinismE0ES3_S9_NS6_18transform_iteratorI6div_opNS6_17counting_iteratorIlNS6_11use_defaultESF_SF_EESF_SF_EENSC_I6mod_opSG_SF_SF_EENS6_6detail15normal_iteratorINS6_10device_ptrIlEEEESO_PmS8_NS6_8equal_toIlEEEE10hipError_tPvRmT2_T3_mT4_T5_T6_T7_T8_P12ihipStream_tbENKUlT_T0_E_clISt17integral_constantIbLb1EES19_EEDaS14_S15_EUlS14_E_NS1_11comp_targetILNS1_3genE9ELNS1_11target_archE1100ELNS1_3gpuE3ELNS1_3repE0EEENS1_30default_config_static_selectorELNS0_4arch9wavefront6targetE1EEEvT1_
    .private_segment_fixed_size: 0
    .sgpr_count:     4
    .sgpr_spill_count: 0
    .symbol:         _ZN7rocprim17ROCPRIM_400000_NS6detail17trampoline_kernelINS0_14default_configENS1_29reduce_by_key_config_selectorIllN6thrust23THRUST_200600_302600_NS4plusIlEEEEZZNS1_33reduce_by_key_impl_wrapped_configILNS1_25lookback_scan_determinismE0ES3_S9_NS6_18transform_iteratorI6div_opNS6_17counting_iteratorIlNS6_11use_defaultESF_SF_EESF_SF_EENSC_I6mod_opSG_SF_SF_EENS6_6detail15normal_iteratorINS6_10device_ptrIlEEEESO_PmS8_NS6_8equal_toIlEEEE10hipError_tPvRmT2_T3_mT4_T5_T6_T7_T8_P12ihipStream_tbENKUlT_T0_E_clISt17integral_constantIbLb1EES19_EEDaS14_S15_EUlS14_E_NS1_11comp_targetILNS1_3genE9ELNS1_11target_archE1100ELNS1_3gpuE3ELNS1_3repE0EEENS1_30default_config_static_selectorELNS0_4arch9wavefront6targetE1EEEvT1_.kd
    .uniform_work_group_size: 1
    .uses_dynamic_stack: false
    .vgpr_count:     0
    .vgpr_spill_count: 0
    .wavefront_size: 64
  - .agpr_count:     0
    .args:
      - .offset:         0
        .size:           152
        .value_kind:     by_value
    .group_segment_fixed_size: 0
    .kernarg_segment_align: 8
    .kernarg_segment_size: 152
    .language:       OpenCL C
    .language_version:
      - 2
      - 0
    .max_flat_workgroup_size: 256
    .name:           _ZN7rocprim17ROCPRIM_400000_NS6detail17trampoline_kernelINS0_14default_configENS1_29reduce_by_key_config_selectorIllN6thrust23THRUST_200600_302600_NS4plusIlEEEEZZNS1_33reduce_by_key_impl_wrapped_configILNS1_25lookback_scan_determinismE0ES3_S9_NS6_18transform_iteratorI6div_opNS6_17counting_iteratorIlNS6_11use_defaultESF_SF_EESF_SF_EENSC_I6mod_opSG_SF_SF_EENS6_6detail15normal_iteratorINS6_10device_ptrIlEEEESO_PmS8_NS6_8equal_toIlEEEE10hipError_tPvRmT2_T3_mT4_T5_T6_T7_T8_P12ihipStream_tbENKUlT_T0_E_clISt17integral_constantIbLb1EES19_EEDaS14_S15_EUlS14_E_NS1_11comp_targetILNS1_3genE8ELNS1_11target_archE1030ELNS1_3gpuE2ELNS1_3repE0EEENS1_30default_config_static_selectorELNS0_4arch9wavefront6targetE1EEEvT1_
    .private_segment_fixed_size: 0
    .sgpr_count:     4
    .sgpr_spill_count: 0
    .symbol:         _ZN7rocprim17ROCPRIM_400000_NS6detail17trampoline_kernelINS0_14default_configENS1_29reduce_by_key_config_selectorIllN6thrust23THRUST_200600_302600_NS4plusIlEEEEZZNS1_33reduce_by_key_impl_wrapped_configILNS1_25lookback_scan_determinismE0ES3_S9_NS6_18transform_iteratorI6div_opNS6_17counting_iteratorIlNS6_11use_defaultESF_SF_EESF_SF_EENSC_I6mod_opSG_SF_SF_EENS6_6detail15normal_iteratorINS6_10device_ptrIlEEEESO_PmS8_NS6_8equal_toIlEEEE10hipError_tPvRmT2_T3_mT4_T5_T6_T7_T8_P12ihipStream_tbENKUlT_T0_E_clISt17integral_constantIbLb1EES19_EEDaS14_S15_EUlS14_E_NS1_11comp_targetILNS1_3genE8ELNS1_11target_archE1030ELNS1_3gpuE2ELNS1_3repE0EEENS1_30default_config_static_selectorELNS0_4arch9wavefront6targetE1EEEvT1_.kd
    .uniform_work_group_size: 1
    .uses_dynamic_stack: false
    .vgpr_count:     0
    .vgpr_spill_count: 0
    .wavefront_size: 64
  - .agpr_count:     0
    .args:
      - .offset:         0
        .size:           24
        .value_kind:     by_value
      - .offset:         24
        .size:           4
        .value_kind:     by_value
      - .offset:         28
        .size:           1
        .value_kind:     by_value
      - .offset:         32
        .size:           4
        .value_kind:     by_value
      - .address_space:  global
        .offset:         40
        .size:           8
        .value_kind:     global_buffer
      - .address_space:  global
        .offset:         48
        .size:           8
        .value_kind:     global_buffer
      - .offset:         56
        .size:           1
        .value_kind:     by_value
      - .offset:         64
        .size:           4
        .value_kind:     hidden_block_count_x
      - .offset:         68
        .size:           4
        .value_kind:     hidden_block_count_y
      - .offset:         72
        .size:           4
        .value_kind:     hidden_block_count_z
      - .offset:         76
        .size:           2
        .value_kind:     hidden_group_size_x
      - .offset:         78
        .size:           2
        .value_kind:     hidden_group_size_y
      - .offset:         80
        .size:           2
        .value_kind:     hidden_group_size_z
      - .offset:         82
        .size:           2
        .value_kind:     hidden_remainder_x
      - .offset:         84
        .size:           2
        .value_kind:     hidden_remainder_y
      - .offset:         86
        .size:           2
        .value_kind:     hidden_remainder_z
      - .offset:         104
        .size:           8
        .value_kind:     hidden_global_offset_x
      - .offset:         112
        .size:           8
        .value_kind:     hidden_global_offset_y
      - .offset:         120
        .size:           8
        .value_kind:     hidden_global_offset_z
      - .offset:         128
        .size:           2
        .value_kind:     hidden_grid_dims
    .group_segment_fixed_size: 0
    .kernarg_segment_align: 8
    .kernarg_segment_size: 320
    .language:       OpenCL C
    .language_version:
      - 2
      - 0
    .max_flat_workgroup_size: 256
    .name:           _ZN7rocprim17ROCPRIM_400000_NS6detail25reduce_by_key_init_kernelINS1_19lookback_scan_stateINS0_5tupleIJjlEEELb1ELb0EEElNS1_16block_id_wrapperIjLb0EEEEEvT_jbjPmPT0_T1_
    .private_segment_fixed_size: 0
    .sgpr_count:     24
    .sgpr_spill_count: 0
    .symbol:         _ZN7rocprim17ROCPRIM_400000_NS6detail25reduce_by_key_init_kernelINS1_19lookback_scan_stateINS0_5tupleIJjlEEELb1ELb0EEElNS1_16block_id_wrapperIjLb0EEEEEvT_jbjPmPT0_T1_.kd
    .uniform_work_group_size: 1
    .uses_dynamic_stack: false
    .vgpr_count:     7
    .vgpr_spill_count: 0
    .wavefront_size: 64
  - .agpr_count:     0
    .args:
      - .offset:         0
        .size:           152
        .value_kind:     by_value
    .group_segment_fixed_size: 0
    .kernarg_segment_align: 8
    .kernarg_segment_size: 152
    .language:       OpenCL C
    .language_version:
      - 2
      - 0
    .max_flat_workgroup_size: 256
    .name:           _ZN7rocprim17ROCPRIM_400000_NS6detail17trampoline_kernelINS0_14default_configENS1_29reduce_by_key_config_selectorIllN6thrust23THRUST_200600_302600_NS4plusIlEEEEZZNS1_33reduce_by_key_impl_wrapped_configILNS1_25lookback_scan_determinismE0ES3_S9_NS6_18transform_iteratorI6div_opNS6_17counting_iteratorIlNS6_11use_defaultESF_SF_EESF_SF_EENSC_I6mod_opSG_SF_SF_EENS6_6detail15normal_iteratorINS6_10device_ptrIlEEEESO_PmS8_NS6_8equal_toIlEEEE10hipError_tPvRmT2_T3_mT4_T5_T6_T7_T8_P12ihipStream_tbENKUlT_T0_E_clISt17integral_constantIbLb1EES18_IbLb0EEEEDaS14_S15_EUlS14_E_NS1_11comp_targetILNS1_3genE0ELNS1_11target_archE4294967295ELNS1_3gpuE0ELNS1_3repE0EEENS1_30default_config_static_selectorELNS0_4arch9wavefront6targetE1EEEvT1_
    .private_segment_fixed_size: 0
    .sgpr_count:     4
    .sgpr_spill_count: 0
    .symbol:         _ZN7rocprim17ROCPRIM_400000_NS6detail17trampoline_kernelINS0_14default_configENS1_29reduce_by_key_config_selectorIllN6thrust23THRUST_200600_302600_NS4plusIlEEEEZZNS1_33reduce_by_key_impl_wrapped_configILNS1_25lookback_scan_determinismE0ES3_S9_NS6_18transform_iteratorI6div_opNS6_17counting_iteratorIlNS6_11use_defaultESF_SF_EESF_SF_EENSC_I6mod_opSG_SF_SF_EENS6_6detail15normal_iteratorINS6_10device_ptrIlEEEESO_PmS8_NS6_8equal_toIlEEEE10hipError_tPvRmT2_T3_mT4_T5_T6_T7_T8_P12ihipStream_tbENKUlT_T0_E_clISt17integral_constantIbLb1EES18_IbLb0EEEEDaS14_S15_EUlS14_E_NS1_11comp_targetILNS1_3genE0ELNS1_11target_archE4294967295ELNS1_3gpuE0ELNS1_3repE0EEENS1_30default_config_static_selectorELNS0_4arch9wavefront6targetE1EEEvT1_.kd
    .uniform_work_group_size: 1
    .uses_dynamic_stack: false
    .vgpr_count:     0
    .vgpr_spill_count: 0
    .wavefront_size: 64
  - .agpr_count:     0
    .args:
      - .offset:         0
        .size:           152
        .value_kind:     by_value
    .group_segment_fixed_size: 0
    .kernarg_segment_align: 8
    .kernarg_segment_size: 152
    .language:       OpenCL C
    .language_version:
      - 2
      - 0
    .max_flat_workgroup_size: 256
    .name:           _ZN7rocprim17ROCPRIM_400000_NS6detail17trampoline_kernelINS0_14default_configENS1_29reduce_by_key_config_selectorIllN6thrust23THRUST_200600_302600_NS4plusIlEEEEZZNS1_33reduce_by_key_impl_wrapped_configILNS1_25lookback_scan_determinismE0ES3_S9_NS6_18transform_iteratorI6div_opNS6_17counting_iteratorIlNS6_11use_defaultESF_SF_EESF_SF_EENSC_I6mod_opSG_SF_SF_EENS6_6detail15normal_iteratorINS6_10device_ptrIlEEEESO_PmS8_NS6_8equal_toIlEEEE10hipError_tPvRmT2_T3_mT4_T5_T6_T7_T8_P12ihipStream_tbENKUlT_T0_E_clISt17integral_constantIbLb1EES18_IbLb0EEEEDaS14_S15_EUlS14_E_NS1_11comp_targetILNS1_3genE5ELNS1_11target_archE942ELNS1_3gpuE9ELNS1_3repE0EEENS1_30default_config_static_selectorELNS0_4arch9wavefront6targetE1EEEvT1_
    .private_segment_fixed_size: 0
    .sgpr_count:     4
    .sgpr_spill_count: 0
    .symbol:         _ZN7rocprim17ROCPRIM_400000_NS6detail17trampoline_kernelINS0_14default_configENS1_29reduce_by_key_config_selectorIllN6thrust23THRUST_200600_302600_NS4plusIlEEEEZZNS1_33reduce_by_key_impl_wrapped_configILNS1_25lookback_scan_determinismE0ES3_S9_NS6_18transform_iteratorI6div_opNS6_17counting_iteratorIlNS6_11use_defaultESF_SF_EESF_SF_EENSC_I6mod_opSG_SF_SF_EENS6_6detail15normal_iteratorINS6_10device_ptrIlEEEESO_PmS8_NS6_8equal_toIlEEEE10hipError_tPvRmT2_T3_mT4_T5_T6_T7_T8_P12ihipStream_tbENKUlT_T0_E_clISt17integral_constantIbLb1EES18_IbLb0EEEEDaS14_S15_EUlS14_E_NS1_11comp_targetILNS1_3genE5ELNS1_11target_archE942ELNS1_3gpuE9ELNS1_3repE0EEENS1_30default_config_static_selectorELNS0_4arch9wavefront6targetE1EEEvT1_.kd
    .uniform_work_group_size: 1
    .uses_dynamic_stack: false
    .vgpr_count:     0
    .vgpr_spill_count: 0
    .wavefront_size: 64
  - .agpr_count:     0
    .args:
      - .offset:         0
        .size:           152
        .value_kind:     by_value
    .group_segment_fixed_size: 30720
    .kernarg_segment_align: 8
    .kernarg_segment_size: 152
    .language:       OpenCL C
    .language_version:
      - 2
      - 0
    .max_flat_workgroup_size: 256
    .name:           _ZN7rocprim17ROCPRIM_400000_NS6detail17trampoline_kernelINS0_14default_configENS1_29reduce_by_key_config_selectorIllN6thrust23THRUST_200600_302600_NS4plusIlEEEEZZNS1_33reduce_by_key_impl_wrapped_configILNS1_25lookback_scan_determinismE0ES3_S9_NS6_18transform_iteratorI6div_opNS6_17counting_iteratorIlNS6_11use_defaultESF_SF_EESF_SF_EENSC_I6mod_opSG_SF_SF_EENS6_6detail15normal_iteratorINS6_10device_ptrIlEEEESO_PmS8_NS6_8equal_toIlEEEE10hipError_tPvRmT2_T3_mT4_T5_T6_T7_T8_P12ihipStream_tbENKUlT_T0_E_clISt17integral_constantIbLb1EES18_IbLb0EEEEDaS14_S15_EUlS14_E_NS1_11comp_targetILNS1_3genE4ELNS1_11target_archE910ELNS1_3gpuE8ELNS1_3repE0EEENS1_30default_config_static_selectorELNS0_4arch9wavefront6targetE1EEEvT1_
    .private_segment_fixed_size: 0
    .sgpr_count:     81
    .sgpr_spill_count: 0
    .symbol:         _ZN7rocprim17ROCPRIM_400000_NS6detail17trampoline_kernelINS0_14default_configENS1_29reduce_by_key_config_selectorIllN6thrust23THRUST_200600_302600_NS4plusIlEEEEZZNS1_33reduce_by_key_impl_wrapped_configILNS1_25lookback_scan_determinismE0ES3_S9_NS6_18transform_iteratorI6div_opNS6_17counting_iteratorIlNS6_11use_defaultESF_SF_EESF_SF_EENSC_I6mod_opSG_SF_SF_EENS6_6detail15normal_iteratorINS6_10device_ptrIlEEEESO_PmS8_NS6_8equal_toIlEEEE10hipError_tPvRmT2_T3_mT4_T5_T6_T7_T8_P12ihipStream_tbENKUlT_T0_E_clISt17integral_constantIbLb1EES18_IbLb0EEEEDaS14_S15_EUlS14_E_NS1_11comp_targetILNS1_3genE4ELNS1_11target_archE910ELNS1_3gpuE8ELNS1_3repE0EEENS1_30default_config_static_selectorELNS0_4arch9wavefront6targetE1EEEvT1_.kd
    .uniform_work_group_size: 1
    .uses_dynamic_stack: false
    .vgpr_count:     118
    .vgpr_spill_count: 0
    .wavefront_size: 64
  - .agpr_count:     0
    .args:
      - .offset:         0
        .size:           152
        .value_kind:     by_value
    .group_segment_fixed_size: 0
    .kernarg_segment_align: 8
    .kernarg_segment_size: 152
    .language:       OpenCL C
    .language_version:
      - 2
      - 0
    .max_flat_workgroup_size: 256
    .name:           _ZN7rocprim17ROCPRIM_400000_NS6detail17trampoline_kernelINS0_14default_configENS1_29reduce_by_key_config_selectorIllN6thrust23THRUST_200600_302600_NS4plusIlEEEEZZNS1_33reduce_by_key_impl_wrapped_configILNS1_25lookback_scan_determinismE0ES3_S9_NS6_18transform_iteratorI6div_opNS6_17counting_iteratorIlNS6_11use_defaultESF_SF_EESF_SF_EENSC_I6mod_opSG_SF_SF_EENS6_6detail15normal_iteratorINS6_10device_ptrIlEEEESO_PmS8_NS6_8equal_toIlEEEE10hipError_tPvRmT2_T3_mT4_T5_T6_T7_T8_P12ihipStream_tbENKUlT_T0_E_clISt17integral_constantIbLb1EES18_IbLb0EEEEDaS14_S15_EUlS14_E_NS1_11comp_targetILNS1_3genE3ELNS1_11target_archE908ELNS1_3gpuE7ELNS1_3repE0EEENS1_30default_config_static_selectorELNS0_4arch9wavefront6targetE1EEEvT1_
    .private_segment_fixed_size: 0
    .sgpr_count:     4
    .sgpr_spill_count: 0
    .symbol:         _ZN7rocprim17ROCPRIM_400000_NS6detail17trampoline_kernelINS0_14default_configENS1_29reduce_by_key_config_selectorIllN6thrust23THRUST_200600_302600_NS4plusIlEEEEZZNS1_33reduce_by_key_impl_wrapped_configILNS1_25lookback_scan_determinismE0ES3_S9_NS6_18transform_iteratorI6div_opNS6_17counting_iteratorIlNS6_11use_defaultESF_SF_EESF_SF_EENSC_I6mod_opSG_SF_SF_EENS6_6detail15normal_iteratorINS6_10device_ptrIlEEEESO_PmS8_NS6_8equal_toIlEEEE10hipError_tPvRmT2_T3_mT4_T5_T6_T7_T8_P12ihipStream_tbENKUlT_T0_E_clISt17integral_constantIbLb1EES18_IbLb0EEEEDaS14_S15_EUlS14_E_NS1_11comp_targetILNS1_3genE3ELNS1_11target_archE908ELNS1_3gpuE7ELNS1_3repE0EEENS1_30default_config_static_selectorELNS0_4arch9wavefront6targetE1EEEvT1_.kd
    .uniform_work_group_size: 1
    .uses_dynamic_stack: false
    .vgpr_count:     0
    .vgpr_spill_count: 0
    .wavefront_size: 64
  - .agpr_count:     0
    .args:
      - .offset:         0
        .size:           152
        .value_kind:     by_value
    .group_segment_fixed_size: 0
    .kernarg_segment_align: 8
    .kernarg_segment_size: 152
    .language:       OpenCL C
    .language_version:
      - 2
      - 0
    .max_flat_workgroup_size: 256
    .name:           _ZN7rocprim17ROCPRIM_400000_NS6detail17trampoline_kernelINS0_14default_configENS1_29reduce_by_key_config_selectorIllN6thrust23THRUST_200600_302600_NS4plusIlEEEEZZNS1_33reduce_by_key_impl_wrapped_configILNS1_25lookback_scan_determinismE0ES3_S9_NS6_18transform_iteratorI6div_opNS6_17counting_iteratorIlNS6_11use_defaultESF_SF_EESF_SF_EENSC_I6mod_opSG_SF_SF_EENS6_6detail15normal_iteratorINS6_10device_ptrIlEEEESO_PmS8_NS6_8equal_toIlEEEE10hipError_tPvRmT2_T3_mT4_T5_T6_T7_T8_P12ihipStream_tbENKUlT_T0_E_clISt17integral_constantIbLb1EES18_IbLb0EEEEDaS14_S15_EUlS14_E_NS1_11comp_targetILNS1_3genE2ELNS1_11target_archE906ELNS1_3gpuE6ELNS1_3repE0EEENS1_30default_config_static_selectorELNS0_4arch9wavefront6targetE1EEEvT1_
    .private_segment_fixed_size: 0
    .sgpr_count:     4
    .sgpr_spill_count: 0
    .symbol:         _ZN7rocprim17ROCPRIM_400000_NS6detail17trampoline_kernelINS0_14default_configENS1_29reduce_by_key_config_selectorIllN6thrust23THRUST_200600_302600_NS4plusIlEEEEZZNS1_33reduce_by_key_impl_wrapped_configILNS1_25lookback_scan_determinismE0ES3_S9_NS6_18transform_iteratorI6div_opNS6_17counting_iteratorIlNS6_11use_defaultESF_SF_EESF_SF_EENSC_I6mod_opSG_SF_SF_EENS6_6detail15normal_iteratorINS6_10device_ptrIlEEEESO_PmS8_NS6_8equal_toIlEEEE10hipError_tPvRmT2_T3_mT4_T5_T6_T7_T8_P12ihipStream_tbENKUlT_T0_E_clISt17integral_constantIbLb1EES18_IbLb0EEEEDaS14_S15_EUlS14_E_NS1_11comp_targetILNS1_3genE2ELNS1_11target_archE906ELNS1_3gpuE6ELNS1_3repE0EEENS1_30default_config_static_selectorELNS0_4arch9wavefront6targetE1EEEvT1_.kd
    .uniform_work_group_size: 1
    .uses_dynamic_stack: false
    .vgpr_count:     0
    .vgpr_spill_count: 0
    .wavefront_size: 64
  - .agpr_count:     0
    .args:
      - .offset:         0
        .size:           152
        .value_kind:     by_value
    .group_segment_fixed_size: 0
    .kernarg_segment_align: 8
    .kernarg_segment_size: 152
    .language:       OpenCL C
    .language_version:
      - 2
      - 0
    .max_flat_workgroup_size: 256
    .name:           _ZN7rocprim17ROCPRIM_400000_NS6detail17trampoline_kernelINS0_14default_configENS1_29reduce_by_key_config_selectorIllN6thrust23THRUST_200600_302600_NS4plusIlEEEEZZNS1_33reduce_by_key_impl_wrapped_configILNS1_25lookback_scan_determinismE0ES3_S9_NS6_18transform_iteratorI6div_opNS6_17counting_iteratorIlNS6_11use_defaultESF_SF_EESF_SF_EENSC_I6mod_opSG_SF_SF_EENS6_6detail15normal_iteratorINS6_10device_ptrIlEEEESO_PmS8_NS6_8equal_toIlEEEE10hipError_tPvRmT2_T3_mT4_T5_T6_T7_T8_P12ihipStream_tbENKUlT_T0_E_clISt17integral_constantIbLb1EES18_IbLb0EEEEDaS14_S15_EUlS14_E_NS1_11comp_targetILNS1_3genE10ELNS1_11target_archE1201ELNS1_3gpuE5ELNS1_3repE0EEENS1_30default_config_static_selectorELNS0_4arch9wavefront6targetE1EEEvT1_
    .private_segment_fixed_size: 0
    .sgpr_count:     4
    .sgpr_spill_count: 0
    .symbol:         _ZN7rocprim17ROCPRIM_400000_NS6detail17trampoline_kernelINS0_14default_configENS1_29reduce_by_key_config_selectorIllN6thrust23THRUST_200600_302600_NS4plusIlEEEEZZNS1_33reduce_by_key_impl_wrapped_configILNS1_25lookback_scan_determinismE0ES3_S9_NS6_18transform_iteratorI6div_opNS6_17counting_iteratorIlNS6_11use_defaultESF_SF_EESF_SF_EENSC_I6mod_opSG_SF_SF_EENS6_6detail15normal_iteratorINS6_10device_ptrIlEEEESO_PmS8_NS6_8equal_toIlEEEE10hipError_tPvRmT2_T3_mT4_T5_T6_T7_T8_P12ihipStream_tbENKUlT_T0_E_clISt17integral_constantIbLb1EES18_IbLb0EEEEDaS14_S15_EUlS14_E_NS1_11comp_targetILNS1_3genE10ELNS1_11target_archE1201ELNS1_3gpuE5ELNS1_3repE0EEENS1_30default_config_static_selectorELNS0_4arch9wavefront6targetE1EEEvT1_.kd
    .uniform_work_group_size: 1
    .uses_dynamic_stack: false
    .vgpr_count:     0
    .vgpr_spill_count: 0
    .wavefront_size: 64
  - .agpr_count:     0
    .args:
      - .offset:         0
        .size:           152
        .value_kind:     by_value
    .group_segment_fixed_size: 0
    .kernarg_segment_align: 8
    .kernarg_segment_size: 152
    .language:       OpenCL C
    .language_version:
      - 2
      - 0
    .max_flat_workgroup_size: 256
    .name:           _ZN7rocprim17ROCPRIM_400000_NS6detail17trampoline_kernelINS0_14default_configENS1_29reduce_by_key_config_selectorIllN6thrust23THRUST_200600_302600_NS4plusIlEEEEZZNS1_33reduce_by_key_impl_wrapped_configILNS1_25lookback_scan_determinismE0ES3_S9_NS6_18transform_iteratorI6div_opNS6_17counting_iteratorIlNS6_11use_defaultESF_SF_EESF_SF_EENSC_I6mod_opSG_SF_SF_EENS6_6detail15normal_iteratorINS6_10device_ptrIlEEEESO_PmS8_NS6_8equal_toIlEEEE10hipError_tPvRmT2_T3_mT4_T5_T6_T7_T8_P12ihipStream_tbENKUlT_T0_E_clISt17integral_constantIbLb1EES18_IbLb0EEEEDaS14_S15_EUlS14_E_NS1_11comp_targetILNS1_3genE10ELNS1_11target_archE1200ELNS1_3gpuE4ELNS1_3repE0EEENS1_30default_config_static_selectorELNS0_4arch9wavefront6targetE1EEEvT1_
    .private_segment_fixed_size: 0
    .sgpr_count:     4
    .sgpr_spill_count: 0
    .symbol:         _ZN7rocprim17ROCPRIM_400000_NS6detail17trampoline_kernelINS0_14default_configENS1_29reduce_by_key_config_selectorIllN6thrust23THRUST_200600_302600_NS4plusIlEEEEZZNS1_33reduce_by_key_impl_wrapped_configILNS1_25lookback_scan_determinismE0ES3_S9_NS6_18transform_iteratorI6div_opNS6_17counting_iteratorIlNS6_11use_defaultESF_SF_EESF_SF_EENSC_I6mod_opSG_SF_SF_EENS6_6detail15normal_iteratorINS6_10device_ptrIlEEEESO_PmS8_NS6_8equal_toIlEEEE10hipError_tPvRmT2_T3_mT4_T5_T6_T7_T8_P12ihipStream_tbENKUlT_T0_E_clISt17integral_constantIbLb1EES18_IbLb0EEEEDaS14_S15_EUlS14_E_NS1_11comp_targetILNS1_3genE10ELNS1_11target_archE1200ELNS1_3gpuE4ELNS1_3repE0EEENS1_30default_config_static_selectorELNS0_4arch9wavefront6targetE1EEEvT1_.kd
    .uniform_work_group_size: 1
    .uses_dynamic_stack: false
    .vgpr_count:     0
    .vgpr_spill_count: 0
    .wavefront_size: 64
  - .agpr_count:     0
    .args:
      - .offset:         0
        .size:           152
        .value_kind:     by_value
    .group_segment_fixed_size: 0
    .kernarg_segment_align: 8
    .kernarg_segment_size: 152
    .language:       OpenCL C
    .language_version:
      - 2
      - 0
    .max_flat_workgroup_size: 256
    .name:           _ZN7rocprim17ROCPRIM_400000_NS6detail17trampoline_kernelINS0_14default_configENS1_29reduce_by_key_config_selectorIllN6thrust23THRUST_200600_302600_NS4plusIlEEEEZZNS1_33reduce_by_key_impl_wrapped_configILNS1_25lookback_scan_determinismE0ES3_S9_NS6_18transform_iteratorI6div_opNS6_17counting_iteratorIlNS6_11use_defaultESF_SF_EESF_SF_EENSC_I6mod_opSG_SF_SF_EENS6_6detail15normal_iteratorINS6_10device_ptrIlEEEESO_PmS8_NS6_8equal_toIlEEEE10hipError_tPvRmT2_T3_mT4_T5_T6_T7_T8_P12ihipStream_tbENKUlT_T0_E_clISt17integral_constantIbLb1EES18_IbLb0EEEEDaS14_S15_EUlS14_E_NS1_11comp_targetILNS1_3genE9ELNS1_11target_archE1100ELNS1_3gpuE3ELNS1_3repE0EEENS1_30default_config_static_selectorELNS0_4arch9wavefront6targetE1EEEvT1_
    .private_segment_fixed_size: 0
    .sgpr_count:     4
    .sgpr_spill_count: 0
    .symbol:         _ZN7rocprim17ROCPRIM_400000_NS6detail17trampoline_kernelINS0_14default_configENS1_29reduce_by_key_config_selectorIllN6thrust23THRUST_200600_302600_NS4plusIlEEEEZZNS1_33reduce_by_key_impl_wrapped_configILNS1_25lookback_scan_determinismE0ES3_S9_NS6_18transform_iteratorI6div_opNS6_17counting_iteratorIlNS6_11use_defaultESF_SF_EESF_SF_EENSC_I6mod_opSG_SF_SF_EENS6_6detail15normal_iteratorINS6_10device_ptrIlEEEESO_PmS8_NS6_8equal_toIlEEEE10hipError_tPvRmT2_T3_mT4_T5_T6_T7_T8_P12ihipStream_tbENKUlT_T0_E_clISt17integral_constantIbLb1EES18_IbLb0EEEEDaS14_S15_EUlS14_E_NS1_11comp_targetILNS1_3genE9ELNS1_11target_archE1100ELNS1_3gpuE3ELNS1_3repE0EEENS1_30default_config_static_selectorELNS0_4arch9wavefront6targetE1EEEvT1_.kd
    .uniform_work_group_size: 1
    .uses_dynamic_stack: false
    .vgpr_count:     0
    .vgpr_spill_count: 0
    .wavefront_size: 64
  - .agpr_count:     0
    .args:
      - .offset:         0
        .size:           152
        .value_kind:     by_value
    .group_segment_fixed_size: 0
    .kernarg_segment_align: 8
    .kernarg_segment_size: 152
    .language:       OpenCL C
    .language_version:
      - 2
      - 0
    .max_flat_workgroup_size: 256
    .name:           _ZN7rocprim17ROCPRIM_400000_NS6detail17trampoline_kernelINS0_14default_configENS1_29reduce_by_key_config_selectorIllN6thrust23THRUST_200600_302600_NS4plusIlEEEEZZNS1_33reduce_by_key_impl_wrapped_configILNS1_25lookback_scan_determinismE0ES3_S9_NS6_18transform_iteratorI6div_opNS6_17counting_iteratorIlNS6_11use_defaultESF_SF_EESF_SF_EENSC_I6mod_opSG_SF_SF_EENS6_6detail15normal_iteratorINS6_10device_ptrIlEEEESO_PmS8_NS6_8equal_toIlEEEE10hipError_tPvRmT2_T3_mT4_T5_T6_T7_T8_P12ihipStream_tbENKUlT_T0_E_clISt17integral_constantIbLb1EES18_IbLb0EEEEDaS14_S15_EUlS14_E_NS1_11comp_targetILNS1_3genE8ELNS1_11target_archE1030ELNS1_3gpuE2ELNS1_3repE0EEENS1_30default_config_static_selectorELNS0_4arch9wavefront6targetE1EEEvT1_
    .private_segment_fixed_size: 0
    .sgpr_count:     4
    .sgpr_spill_count: 0
    .symbol:         _ZN7rocprim17ROCPRIM_400000_NS6detail17trampoline_kernelINS0_14default_configENS1_29reduce_by_key_config_selectorIllN6thrust23THRUST_200600_302600_NS4plusIlEEEEZZNS1_33reduce_by_key_impl_wrapped_configILNS1_25lookback_scan_determinismE0ES3_S9_NS6_18transform_iteratorI6div_opNS6_17counting_iteratorIlNS6_11use_defaultESF_SF_EESF_SF_EENSC_I6mod_opSG_SF_SF_EENS6_6detail15normal_iteratorINS6_10device_ptrIlEEEESO_PmS8_NS6_8equal_toIlEEEE10hipError_tPvRmT2_T3_mT4_T5_T6_T7_T8_P12ihipStream_tbENKUlT_T0_E_clISt17integral_constantIbLb1EES18_IbLb0EEEEDaS14_S15_EUlS14_E_NS1_11comp_targetILNS1_3genE8ELNS1_11target_archE1030ELNS1_3gpuE2ELNS1_3repE0EEENS1_30default_config_static_selectorELNS0_4arch9wavefront6targetE1EEEvT1_.kd
    .uniform_work_group_size: 1
    .uses_dynamic_stack: false
    .vgpr_count:     0
    .vgpr_spill_count: 0
    .wavefront_size: 64
  - .agpr_count:     0
    .args:
      - .offset:         0
        .size:           24
        .value_kind:     by_value
      - .offset:         24
        .size:           4
        .value_kind:     by_value
      - .offset:         28
        .size:           1
        .value_kind:     by_value
      - .offset:         32
        .size:           4
        .value_kind:     by_value
      - .address_space:  global
        .offset:         40
        .size:           8
        .value_kind:     global_buffer
      - .address_space:  global
        .offset:         48
        .size:           8
        .value_kind:     global_buffer
      - .address_space:  global
        .offset:         56
        .size:           8
        .value_kind:     global_buffer
      - .offset:         64
        .size:           4
        .value_kind:     hidden_block_count_x
      - .offset:         68
        .size:           4
        .value_kind:     hidden_block_count_y
      - .offset:         72
        .size:           4
        .value_kind:     hidden_block_count_z
      - .offset:         76
        .size:           2
        .value_kind:     hidden_group_size_x
      - .offset:         78
        .size:           2
        .value_kind:     hidden_group_size_y
      - .offset:         80
        .size:           2
        .value_kind:     hidden_group_size_z
      - .offset:         82
        .size:           2
        .value_kind:     hidden_remainder_x
      - .offset:         84
        .size:           2
        .value_kind:     hidden_remainder_y
      - .offset:         86
        .size:           2
        .value_kind:     hidden_remainder_z
      - .offset:         104
        .size:           8
        .value_kind:     hidden_global_offset_x
      - .offset:         112
        .size:           8
        .value_kind:     hidden_global_offset_y
      - .offset:         120
        .size:           8
        .value_kind:     hidden_global_offset_z
      - .offset:         128
        .size:           2
        .value_kind:     hidden_grid_dims
    .group_segment_fixed_size: 0
    .kernarg_segment_align: 8
    .kernarg_segment_size: 320
    .language:       OpenCL C
    .language_version:
      - 2
      - 0
    .max_flat_workgroup_size: 256
    .name:           _ZN7rocprim17ROCPRIM_400000_NS6detail25reduce_by_key_init_kernelINS1_19lookback_scan_stateINS0_5tupleIJjlEEELb0ELb0EEElNS1_16block_id_wrapperIjLb1EEEEEvT_jbjPmPT0_T1_
    .private_segment_fixed_size: 0
    .sgpr_count:     24
    .sgpr_spill_count: 0
    .symbol:         _ZN7rocprim17ROCPRIM_400000_NS6detail25reduce_by_key_init_kernelINS1_19lookback_scan_stateINS0_5tupleIJjlEEELb0ELb0EEElNS1_16block_id_wrapperIjLb1EEEEEvT_jbjPmPT0_T1_.kd
    .uniform_work_group_size: 1
    .uses_dynamic_stack: false
    .vgpr_count:     7
    .vgpr_spill_count: 0
    .wavefront_size: 64
  - .agpr_count:     0
    .args:
      - .offset:         0
        .size:           152
        .value_kind:     by_value
    .group_segment_fixed_size: 0
    .kernarg_segment_align: 8
    .kernarg_segment_size: 152
    .language:       OpenCL C
    .language_version:
      - 2
      - 0
    .max_flat_workgroup_size: 256
    .name:           _ZN7rocprim17ROCPRIM_400000_NS6detail17trampoline_kernelINS0_14default_configENS1_29reduce_by_key_config_selectorIllN6thrust23THRUST_200600_302600_NS4plusIlEEEEZZNS1_33reduce_by_key_impl_wrapped_configILNS1_25lookback_scan_determinismE0ES3_S9_NS6_18transform_iteratorI6div_opNS6_17counting_iteratorIlNS6_11use_defaultESF_SF_EESF_SF_EENSC_I6mod_opSG_SF_SF_EENS6_6detail15normal_iteratorINS6_10device_ptrIlEEEESO_PmS8_NS6_8equal_toIlEEEE10hipError_tPvRmT2_T3_mT4_T5_T6_T7_T8_P12ihipStream_tbENKUlT_T0_E_clISt17integral_constantIbLb0EES18_IbLb1EEEEDaS14_S15_EUlS14_E_NS1_11comp_targetILNS1_3genE0ELNS1_11target_archE4294967295ELNS1_3gpuE0ELNS1_3repE0EEENS1_30default_config_static_selectorELNS0_4arch9wavefront6targetE1EEEvT1_
    .private_segment_fixed_size: 0
    .sgpr_count:     4
    .sgpr_spill_count: 0
    .symbol:         _ZN7rocprim17ROCPRIM_400000_NS6detail17trampoline_kernelINS0_14default_configENS1_29reduce_by_key_config_selectorIllN6thrust23THRUST_200600_302600_NS4plusIlEEEEZZNS1_33reduce_by_key_impl_wrapped_configILNS1_25lookback_scan_determinismE0ES3_S9_NS6_18transform_iteratorI6div_opNS6_17counting_iteratorIlNS6_11use_defaultESF_SF_EESF_SF_EENSC_I6mod_opSG_SF_SF_EENS6_6detail15normal_iteratorINS6_10device_ptrIlEEEESO_PmS8_NS6_8equal_toIlEEEE10hipError_tPvRmT2_T3_mT4_T5_T6_T7_T8_P12ihipStream_tbENKUlT_T0_E_clISt17integral_constantIbLb0EES18_IbLb1EEEEDaS14_S15_EUlS14_E_NS1_11comp_targetILNS1_3genE0ELNS1_11target_archE4294967295ELNS1_3gpuE0ELNS1_3repE0EEENS1_30default_config_static_selectorELNS0_4arch9wavefront6targetE1EEEvT1_.kd
    .uniform_work_group_size: 1
    .uses_dynamic_stack: false
    .vgpr_count:     0
    .vgpr_spill_count: 0
    .wavefront_size: 64
  - .agpr_count:     0
    .args:
      - .offset:         0
        .size:           152
        .value_kind:     by_value
    .group_segment_fixed_size: 0
    .kernarg_segment_align: 8
    .kernarg_segment_size: 152
    .language:       OpenCL C
    .language_version:
      - 2
      - 0
    .max_flat_workgroup_size: 256
    .name:           _ZN7rocprim17ROCPRIM_400000_NS6detail17trampoline_kernelINS0_14default_configENS1_29reduce_by_key_config_selectorIllN6thrust23THRUST_200600_302600_NS4plusIlEEEEZZNS1_33reduce_by_key_impl_wrapped_configILNS1_25lookback_scan_determinismE0ES3_S9_NS6_18transform_iteratorI6div_opNS6_17counting_iteratorIlNS6_11use_defaultESF_SF_EESF_SF_EENSC_I6mod_opSG_SF_SF_EENS6_6detail15normal_iteratorINS6_10device_ptrIlEEEESO_PmS8_NS6_8equal_toIlEEEE10hipError_tPvRmT2_T3_mT4_T5_T6_T7_T8_P12ihipStream_tbENKUlT_T0_E_clISt17integral_constantIbLb0EES18_IbLb1EEEEDaS14_S15_EUlS14_E_NS1_11comp_targetILNS1_3genE5ELNS1_11target_archE942ELNS1_3gpuE9ELNS1_3repE0EEENS1_30default_config_static_selectorELNS0_4arch9wavefront6targetE1EEEvT1_
    .private_segment_fixed_size: 0
    .sgpr_count:     4
    .sgpr_spill_count: 0
    .symbol:         _ZN7rocprim17ROCPRIM_400000_NS6detail17trampoline_kernelINS0_14default_configENS1_29reduce_by_key_config_selectorIllN6thrust23THRUST_200600_302600_NS4plusIlEEEEZZNS1_33reduce_by_key_impl_wrapped_configILNS1_25lookback_scan_determinismE0ES3_S9_NS6_18transform_iteratorI6div_opNS6_17counting_iteratorIlNS6_11use_defaultESF_SF_EESF_SF_EENSC_I6mod_opSG_SF_SF_EENS6_6detail15normal_iteratorINS6_10device_ptrIlEEEESO_PmS8_NS6_8equal_toIlEEEE10hipError_tPvRmT2_T3_mT4_T5_T6_T7_T8_P12ihipStream_tbENKUlT_T0_E_clISt17integral_constantIbLb0EES18_IbLb1EEEEDaS14_S15_EUlS14_E_NS1_11comp_targetILNS1_3genE5ELNS1_11target_archE942ELNS1_3gpuE9ELNS1_3repE0EEENS1_30default_config_static_selectorELNS0_4arch9wavefront6targetE1EEEvT1_.kd
    .uniform_work_group_size: 1
    .uses_dynamic_stack: false
    .vgpr_count:     0
    .vgpr_spill_count: 0
    .wavefront_size: 64
  - .agpr_count:     0
    .args:
      - .offset:         0
        .size:           152
        .value_kind:     by_value
    .group_segment_fixed_size: 30720
    .kernarg_segment_align: 8
    .kernarg_segment_size: 152
    .language:       OpenCL C
    .language_version:
      - 2
      - 0
    .max_flat_workgroup_size: 256
    .name:           _ZN7rocprim17ROCPRIM_400000_NS6detail17trampoline_kernelINS0_14default_configENS1_29reduce_by_key_config_selectorIllN6thrust23THRUST_200600_302600_NS4plusIlEEEEZZNS1_33reduce_by_key_impl_wrapped_configILNS1_25lookback_scan_determinismE0ES3_S9_NS6_18transform_iteratorI6div_opNS6_17counting_iteratorIlNS6_11use_defaultESF_SF_EESF_SF_EENSC_I6mod_opSG_SF_SF_EENS6_6detail15normal_iteratorINS6_10device_ptrIlEEEESO_PmS8_NS6_8equal_toIlEEEE10hipError_tPvRmT2_T3_mT4_T5_T6_T7_T8_P12ihipStream_tbENKUlT_T0_E_clISt17integral_constantIbLb0EES18_IbLb1EEEEDaS14_S15_EUlS14_E_NS1_11comp_targetILNS1_3genE4ELNS1_11target_archE910ELNS1_3gpuE8ELNS1_3repE0EEENS1_30default_config_static_selectorELNS0_4arch9wavefront6targetE1EEEvT1_
    .private_segment_fixed_size: 0
    .sgpr_count:     85
    .sgpr_spill_count: 0
    .symbol:         _ZN7rocprim17ROCPRIM_400000_NS6detail17trampoline_kernelINS0_14default_configENS1_29reduce_by_key_config_selectorIllN6thrust23THRUST_200600_302600_NS4plusIlEEEEZZNS1_33reduce_by_key_impl_wrapped_configILNS1_25lookback_scan_determinismE0ES3_S9_NS6_18transform_iteratorI6div_opNS6_17counting_iteratorIlNS6_11use_defaultESF_SF_EESF_SF_EENSC_I6mod_opSG_SF_SF_EENS6_6detail15normal_iteratorINS6_10device_ptrIlEEEESO_PmS8_NS6_8equal_toIlEEEE10hipError_tPvRmT2_T3_mT4_T5_T6_T7_T8_P12ihipStream_tbENKUlT_T0_E_clISt17integral_constantIbLb0EES18_IbLb1EEEEDaS14_S15_EUlS14_E_NS1_11comp_targetILNS1_3genE4ELNS1_11target_archE910ELNS1_3gpuE8ELNS1_3repE0EEENS1_30default_config_static_selectorELNS0_4arch9wavefront6targetE1EEEvT1_.kd
    .uniform_work_group_size: 1
    .uses_dynamic_stack: false
    .vgpr_count:     118
    .vgpr_spill_count: 0
    .wavefront_size: 64
  - .agpr_count:     0
    .args:
      - .offset:         0
        .size:           152
        .value_kind:     by_value
    .group_segment_fixed_size: 0
    .kernarg_segment_align: 8
    .kernarg_segment_size: 152
    .language:       OpenCL C
    .language_version:
      - 2
      - 0
    .max_flat_workgroup_size: 256
    .name:           _ZN7rocprim17ROCPRIM_400000_NS6detail17trampoline_kernelINS0_14default_configENS1_29reduce_by_key_config_selectorIllN6thrust23THRUST_200600_302600_NS4plusIlEEEEZZNS1_33reduce_by_key_impl_wrapped_configILNS1_25lookback_scan_determinismE0ES3_S9_NS6_18transform_iteratorI6div_opNS6_17counting_iteratorIlNS6_11use_defaultESF_SF_EESF_SF_EENSC_I6mod_opSG_SF_SF_EENS6_6detail15normal_iteratorINS6_10device_ptrIlEEEESO_PmS8_NS6_8equal_toIlEEEE10hipError_tPvRmT2_T3_mT4_T5_T6_T7_T8_P12ihipStream_tbENKUlT_T0_E_clISt17integral_constantIbLb0EES18_IbLb1EEEEDaS14_S15_EUlS14_E_NS1_11comp_targetILNS1_3genE3ELNS1_11target_archE908ELNS1_3gpuE7ELNS1_3repE0EEENS1_30default_config_static_selectorELNS0_4arch9wavefront6targetE1EEEvT1_
    .private_segment_fixed_size: 0
    .sgpr_count:     4
    .sgpr_spill_count: 0
    .symbol:         _ZN7rocprim17ROCPRIM_400000_NS6detail17trampoline_kernelINS0_14default_configENS1_29reduce_by_key_config_selectorIllN6thrust23THRUST_200600_302600_NS4plusIlEEEEZZNS1_33reduce_by_key_impl_wrapped_configILNS1_25lookback_scan_determinismE0ES3_S9_NS6_18transform_iteratorI6div_opNS6_17counting_iteratorIlNS6_11use_defaultESF_SF_EESF_SF_EENSC_I6mod_opSG_SF_SF_EENS6_6detail15normal_iteratorINS6_10device_ptrIlEEEESO_PmS8_NS6_8equal_toIlEEEE10hipError_tPvRmT2_T3_mT4_T5_T6_T7_T8_P12ihipStream_tbENKUlT_T0_E_clISt17integral_constantIbLb0EES18_IbLb1EEEEDaS14_S15_EUlS14_E_NS1_11comp_targetILNS1_3genE3ELNS1_11target_archE908ELNS1_3gpuE7ELNS1_3repE0EEENS1_30default_config_static_selectorELNS0_4arch9wavefront6targetE1EEEvT1_.kd
    .uniform_work_group_size: 1
    .uses_dynamic_stack: false
    .vgpr_count:     0
    .vgpr_spill_count: 0
    .wavefront_size: 64
  - .agpr_count:     0
    .args:
      - .offset:         0
        .size:           152
        .value_kind:     by_value
    .group_segment_fixed_size: 0
    .kernarg_segment_align: 8
    .kernarg_segment_size: 152
    .language:       OpenCL C
    .language_version:
      - 2
      - 0
    .max_flat_workgroup_size: 256
    .name:           _ZN7rocprim17ROCPRIM_400000_NS6detail17trampoline_kernelINS0_14default_configENS1_29reduce_by_key_config_selectorIllN6thrust23THRUST_200600_302600_NS4plusIlEEEEZZNS1_33reduce_by_key_impl_wrapped_configILNS1_25lookback_scan_determinismE0ES3_S9_NS6_18transform_iteratorI6div_opNS6_17counting_iteratorIlNS6_11use_defaultESF_SF_EESF_SF_EENSC_I6mod_opSG_SF_SF_EENS6_6detail15normal_iteratorINS6_10device_ptrIlEEEESO_PmS8_NS6_8equal_toIlEEEE10hipError_tPvRmT2_T3_mT4_T5_T6_T7_T8_P12ihipStream_tbENKUlT_T0_E_clISt17integral_constantIbLb0EES18_IbLb1EEEEDaS14_S15_EUlS14_E_NS1_11comp_targetILNS1_3genE2ELNS1_11target_archE906ELNS1_3gpuE6ELNS1_3repE0EEENS1_30default_config_static_selectorELNS0_4arch9wavefront6targetE1EEEvT1_
    .private_segment_fixed_size: 0
    .sgpr_count:     4
    .sgpr_spill_count: 0
    .symbol:         _ZN7rocprim17ROCPRIM_400000_NS6detail17trampoline_kernelINS0_14default_configENS1_29reduce_by_key_config_selectorIllN6thrust23THRUST_200600_302600_NS4plusIlEEEEZZNS1_33reduce_by_key_impl_wrapped_configILNS1_25lookback_scan_determinismE0ES3_S9_NS6_18transform_iteratorI6div_opNS6_17counting_iteratorIlNS6_11use_defaultESF_SF_EESF_SF_EENSC_I6mod_opSG_SF_SF_EENS6_6detail15normal_iteratorINS6_10device_ptrIlEEEESO_PmS8_NS6_8equal_toIlEEEE10hipError_tPvRmT2_T3_mT4_T5_T6_T7_T8_P12ihipStream_tbENKUlT_T0_E_clISt17integral_constantIbLb0EES18_IbLb1EEEEDaS14_S15_EUlS14_E_NS1_11comp_targetILNS1_3genE2ELNS1_11target_archE906ELNS1_3gpuE6ELNS1_3repE0EEENS1_30default_config_static_selectorELNS0_4arch9wavefront6targetE1EEEvT1_.kd
    .uniform_work_group_size: 1
    .uses_dynamic_stack: false
    .vgpr_count:     0
    .vgpr_spill_count: 0
    .wavefront_size: 64
  - .agpr_count:     0
    .args:
      - .offset:         0
        .size:           152
        .value_kind:     by_value
    .group_segment_fixed_size: 0
    .kernarg_segment_align: 8
    .kernarg_segment_size: 152
    .language:       OpenCL C
    .language_version:
      - 2
      - 0
    .max_flat_workgroup_size: 256
    .name:           _ZN7rocprim17ROCPRIM_400000_NS6detail17trampoline_kernelINS0_14default_configENS1_29reduce_by_key_config_selectorIllN6thrust23THRUST_200600_302600_NS4plusIlEEEEZZNS1_33reduce_by_key_impl_wrapped_configILNS1_25lookback_scan_determinismE0ES3_S9_NS6_18transform_iteratorI6div_opNS6_17counting_iteratorIlNS6_11use_defaultESF_SF_EESF_SF_EENSC_I6mod_opSG_SF_SF_EENS6_6detail15normal_iteratorINS6_10device_ptrIlEEEESO_PmS8_NS6_8equal_toIlEEEE10hipError_tPvRmT2_T3_mT4_T5_T6_T7_T8_P12ihipStream_tbENKUlT_T0_E_clISt17integral_constantIbLb0EES18_IbLb1EEEEDaS14_S15_EUlS14_E_NS1_11comp_targetILNS1_3genE10ELNS1_11target_archE1201ELNS1_3gpuE5ELNS1_3repE0EEENS1_30default_config_static_selectorELNS0_4arch9wavefront6targetE1EEEvT1_
    .private_segment_fixed_size: 0
    .sgpr_count:     4
    .sgpr_spill_count: 0
    .symbol:         _ZN7rocprim17ROCPRIM_400000_NS6detail17trampoline_kernelINS0_14default_configENS1_29reduce_by_key_config_selectorIllN6thrust23THRUST_200600_302600_NS4plusIlEEEEZZNS1_33reduce_by_key_impl_wrapped_configILNS1_25lookback_scan_determinismE0ES3_S9_NS6_18transform_iteratorI6div_opNS6_17counting_iteratorIlNS6_11use_defaultESF_SF_EESF_SF_EENSC_I6mod_opSG_SF_SF_EENS6_6detail15normal_iteratorINS6_10device_ptrIlEEEESO_PmS8_NS6_8equal_toIlEEEE10hipError_tPvRmT2_T3_mT4_T5_T6_T7_T8_P12ihipStream_tbENKUlT_T0_E_clISt17integral_constantIbLb0EES18_IbLb1EEEEDaS14_S15_EUlS14_E_NS1_11comp_targetILNS1_3genE10ELNS1_11target_archE1201ELNS1_3gpuE5ELNS1_3repE0EEENS1_30default_config_static_selectorELNS0_4arch9wavefront6targetE1EEEvT1_.kd
    .uniform_work_group_size: 1
    .uses_dynamic_stack: false
    .vgpr_count:     0
    .vgpr_spill_count: 0
    .wavefront_size: 64
  - .agpr_count:     0
    .args:
      - .offset:         0
        .size:           152
        .value_kind:     by_value
    .group_segment_fixed_size: 0
    .kernarg_segment_align: 8
    .kernarg_segment_size: 152
    .language:       OpenCL C
    .language_version:
      - 2
      - 0
    .max_flat_workgroup_size: 256
    .name:           _ZN7rocprim17ROCPRIM_400000_NS6detail17trampoline_kernelINS0_14default_configENS1_29reduce_by_key_config_selectorIllN6thrust23THRUST_200600_302600_NS4plusIlEEEEZZNS1_33reduce_by_key_impl_wrapped_configILNS1_25lookback_scan_determinismE0ES3_S9_NS6_18transform_iteratorI6div_opNS6_17counting_iteratorIlNS6_11use_defaultESF_SF_EESF_SF_EENSC_I6mod_opSG_SF_SF_EENS6_6detail15normal_iteratorINS6_10device_ptrIlEEEESO_PmS8_NS6_8equal_toIlEEEE10hipError_tPvRmT2_T3_mT4_T5_T6_T7_T8_P12ihipStream_tbENKUlT_T0_E_clISt17integral_constantIbLb0EES18_IbLb1EEEEDaS14_S15_EUlS14_E_NS1_11comp_targetILNS1_3genE10ELNS1_11target_archE1200ELNS1_3gpuE4ELNS1_3repE0EEENS1_30default_config_static_selectorELNS0_4arch9wavefront6targetE1EEEvT1_
    .private_segment_fixed_size: 0
    .sgpr_count:     4
    .sgpr_spill_count: 0
    .symbol:         _ZN7rocprim17ROCPRIM_400000_NS6detail17trampoline_kernelINS0_14default_configENS1_29reduce_by_key_config_selectorIllN6thrust23THRUST_200600_302600_NS4plusIlEEEEZZNS1_33reduce_by_key_impl_wrapped_configILNS1_25lookback_scan_determinismE0ES3_S9_NS6_18transform_iteratorI6div_opNS6_17counting_iteratorIlNS6_11use_defaultESF_SF_EESF_SF_EENSC_I6mod_opSG_SF_SF_EENS6_6detail15normal_iteratorINS6_10device_ptrIlEEEESO_PmS8_NS6_8equal_toIlEEEE10hipError_tPvRmT2_T3_mT4_T5_T6_T7_T8_P12ihipStream_tbENKUlT_T0_E_clISt17integral_constantIbLb0EES18_IbLb1EEEEDaS14_S15_EUlS14_E_NS1_11comp_targetILNS1_3genE10ELNS1_11target_archE1200ELNS1_3gpuE4ELNS1_3repE0EEENS1_30default_config_static_selectorELNS0_4arch9wavefront6targetE1EEEvT1_.kd
    .uniform_work_group_size: 1
    .uses_dynamic_stack: false
    .vgpr_count:     0
    .vgpr_spill_count: 0
    .wavefront_size: 64
  - .agpr_count:     0
    .args:
      - .offset:         0
        .size:           152
        .value_kind:     by_value
    .group_segment_fixed_size: 0
    .kernarg_segment_align: 8
    .kernarg_segment_size: 152
    .language:       OpenCL C
    .language_version:
      - 2
      - 0
    .max_flat_workgroup_size: 256
    .name:           _ZN7rocprim17ROCPRIM_400000_NS6detail17trampoline_kernelINS0_14default_configENS1_29reduce_by_key_config_selectorIllN6thrust23THRUST_200600_302600_NS4plusIlEEEEZZNS1_33reduce_by_key_impl_wrapped_configILNS1_25lookback_scan_determinismE0ES3_S9_NS6_18transform_iteratorI6div_opNS6_17counting_iteratorIlNS6_11use_defaultESF_SF_EESF_SF_EENSC_I6mod_opSG_SF_SF_EENS6_6detail15normal_iteratorINS6_10device_ptrIlEEEESO_PmS8_NS6_8equal_toIlEEEE10hipError_tPvRmT2_T3_mT4_T5_T6_T7_T8_P12ihipStream_tbENKUlT_T0_E_clISt17integral_constantIbLb0EES18_IbLb1EEEEDaS14_S15_EUlS14_E_NS1_11comp_targetILNS1_3genE9ELNS1_11target_archE1100ELNS1_3gpuE3ELNS1_3repE0EEENS1_30default_config_static_selectorELNS0_4arch9wavefront6targetE1EEEvT1_
    .private_segment_fixed_size: 0
    .sgpr_count:     4
    .sgpr_spill_count: 0
    .symbol:         _ZN7rocprim17ROCPRIM_400000_NS6detail17trampoline_kernelINS0_14default_configENS1_29reduce_by_key_config_selectorIllN6thrust23THRUST_200600_302600_NS4plusIlEEEEZZNS1_33reduce_by_key_impl_wrapped_configILNS1_25lookback_scan_determinismE0ES3_S9_NS6_18transform_iteratorI6div_opNS6_17counting_iteratorIlNS6_11use_defaultESF_SF_EESF_SF_EENSC_I6mod_opSG_SF_SF_EENS6_6detail15normal_iteratorINS6_10device_ptrIlEEEESO_PmS8_NS6_8equal_toIlEEEE10hipError_tPvRmT2_T3_mT4_T5_T6_T7_T8_P12ihipStream_tbENKUlT_T0_E_clISt17integral_constantIbLb0EES18_IbLb1EEEEDaS14_S15_EUlS14_E_NS1_11comp_targetILNS1_3genE9ELNS1_11target_archE1100ELNS1_3gpuE3ELNS1_3repE0EEENS1_30default_config_static_selectorELNS0_4arch9wavefront6targetE1EEEvT1_.kd
    .uniform_work_group_size: 1
    .uses_dynamic_stack: false
    .vgpr_count:     0
    .vgpr_spill_count: 0
    .wavefront_size: 64
  - .agpr_count:     0
    .args:
      - .offset:         0
        .size:           152
        .value_kind:     by_value
    .group_segment_fixed_size: 0
    .kernarg_segment_align: 8
    .kernarg_segment_size: 152
    .language:       OpenCL C
    .language_version:
      - 2
      - 0
    .max_flat_workgroup_size: 256
    .name:           _ZN7rocprim17ROCPRIM_400000_NS6detail17trampoline_kernelINS0_14default_configENS1_29reduce_by_key_config_selectorIllN6thrust23THRUST_200600_302600_NS4plusIlEEEEZZNS1_33reduce_by_key_impl_wrapped_configILNS1_25lookback_scan_determinismE0ES3_S9_NS6_18transform_iteratorI6div_opNS6_17counting_iteratorIlNS6_11use_defaultESF_SF_EESF_SF_EENSC_I6mod_opSG_SF_SF_EENS6_6detail15normal_iteratorINS6_10device_ptrIlEEEESO_PmS8_NS6_8equal_toIlEEEE10hipError_tPvRmT2_T3_mT4_T5_T6_T7_T8_P12ihipStream_tbENKUlT_T0_E_clISt17integral_constantIbLb0EES18_IbLb1EEEEDaS14_S15_EUlS14_E_NS1_11comp_targetILNS1_3genE8ELNS1_11target_archE1030ELNS1_3gpuE2ELNS1_3repE0EEENS1_30default_config_static_selectorELNS0_4arch9wavefront6targetE1EEEvT1_
    .private_segment_fixed_size: 0
    .sgpr_count:     4
    .sgpr_spill_count: 0
    .symbol:         _ZN7rocprim17ROCPRIM_400000_NS6detail17trampoline_kernelINS0_14default_configENS1_29reduce_by_key_config_selectorIllN6thrust23THRUST_200600_302600_NS4plusIlEEEEZZNS1_33reduce_by_key_impl_wrapped_configILNS1_25lookback_scan_determinismE0ES3_S9_NS6_18transform_iteratorI6div_opNS6_17counting_iteratorIlNS6_11use_defaultESF_SF_EESF_SF_EENSC_I6mod_opSG_SF_SF_EENS6_6detail15normal_iteratorINS6_10device_ptrIlEEEESO_PmS8_NS6_8equal_toIlEEEE10hipError_tPvRmT2_T3_mT4_T5_T6_T7_T8_P12ihipStream_tbENKUlT_T0_E_clISt17integral_constantIbLb0EES18_IbLb1EEEEDaS14_S15_EUlS14_E_NS1_11comp_targetILNS1_3genE8ELNS1_11target_archE1030ELNS1_3gpuE2ELNS1_3repE0EEENS1_30default_config_static_selectorELNS0_4arch9wavefront6targetE1EEEvT1_.kd
    .uniform_work_group_size: 1
    .uses_dynamic_stack: false
    .vgpr_count:     0
    .vgpr_spill_count: 0
    .wavefront_size: 64
  - .agpr_count:     0
    .args:
      - .offset:         0
        .size:           72
        .value_kind:     by_value
    .group_segment_fixed_size: 0
    .kernarg_segment_align: 8
    .kernarg_segment_size: 72
    .language:       OpenCL C
    .language_version:
      - 2
      - 0
    .max_flat_workgroup_size: 128
    .name:           _ZN7rocprim17ROCPRIM_400000_NS6detail17trampoline_kernelINS0_14default_configENS1_22reduce_config_selectorIN6thrust23THRUST_200600_302600_NS5tupleIblNS6_9null_typeES8_S8_S8_S8_S8_S8_S8_EEEEZNS1_11reduce_implILb1ES3_PS9_SC_S9_NS6_11hip_rocprim9__find_if7functorIS9_EEEE10hipError_tPvRmT1_T2_T3_mT4_P12ihipStream_tbEUlT_E0_NS1_11comp_targetILNS1_3genE0ELNS1_11target_archE4294967295ELNS1_3gpuE0ELNS1_3repE0EEENS1_30default_config_static_selectorELNS0_4arch9wavefront6targetE1EEEvSK_
    .private_segment_fixed_size: 0
    .sgpr_count:     4
    .sgpr_spill_count: 0
    .symbol:         _ZN7rocprim17ROCPRIM_400000_NS6detail17trampoline_kernelINS0_14default_configENS1_22reduce_config_selectorIN6thrust23THRUST_200600_302600_NS5tupleIblNS6_9null_typeES8_S8_S8_S8_S8_S8_S8_EEEEZNS1_11reduce_implILb1ES3_PS9_SC_S9_NS6_11hip_rocprim9__find_if7functorIS9_EEEE10hipError_tPvRmT1_T2_T3_mT4_P12ihipStream_tbEUlT_E0_NS1_11comp_targetILNS1_3genE0ELNS1_11target_archE4294967295ELNS1_3gpuE0ELNS1_3repE0EEENS1_30default_config_static_selectorELNS0_4arch9wavefront6targetE1EEEvSK_.kd
    .uniform_work_group_size: 1
    .uses_dynamic_stack: false
    .vgpr_count:     0
    .vgpr_spill_count: 0
    .wavefront_size: 64
  - .agpr_count:     0
    .args:
      - .offset:         0
        .size:           72
        .value_kind:     by_value
    .group_segment_fixed_size: 0
    .kernarg_segment_align: 8
    .kernarg_segment_size: 72
    .language:       OpenCL C
    .language_version:
      - 2
      - 0
    .max_flat_workgroup_size: 256
    .name:           _ZN7rocprim17ROCPRIM_400000_NS6detail17trampoline_kernelINS0_14default_configENS1_22reduce_config_selectorIN6thrust23THRUST_200600_302600_NS5tupleIblNS6_9null_typeES8_S8_S8_S8_S8_S8_S8_EEEEZNS1_11reduce_implILb1ES3_PS9_SC_S9_NS6_11hip_rocprim9__find_if7functorIS9_EEEE10hipError_tPvRmT1_T2_T3_mT4_P12ihipStream_tbEUlT_E0_NS1_11comp_targetILNS1_3genE5ELNS1_11target_archE942ELNS1_3gpuE9ELNS1_3repE0EEENS1_30default_config_static_selectorELNS0_4arch9wavefront6targetE1EEEvSK_
    .private_segment_fixed_size: 0
    .sgpr_count:     4
    .sgpr_spill_count: 0
    .symbol:         _ZN7rocprim17ROCPRIM_400000_NS6detail17trampoline_kernelINS0_14default_configENS1_22reduce_config_selectorIN6thrust23THRUST_200600_302600_NS5tupleIblNS6_9null_typeES8_S8_S8_S8_S8_S8_S8_EEEEZNS1_11reduce_implILb1ES3_PS9_SC_S9_NS6_11hip_rocprim9__find_if7functorIS9_EEEE10hipError_tPvRmT1_T2_T3_mT4_P12ihipStream_tbEUlT_E0_NS1_11comp_targetILNS1_3genE5ELNS1_11target_archE942ELNS1_3gpuE9ELNS1_3repE0EEENS1_30default_config_static_selectorELNS0_4arch9wavefront6targetE1EEEvSK_.kd
    .uniform_work_group_size: 1
    .uses_dynamic_stack: false
    .vgpr_count:     0
    .vgpr_spill_count: 0
    .wavefront_size: 64
  - .agpr_count:     0
    .args:
      - .offset:         0
        .size:           72
        .value_kind:     by_value
    .group_segment_fixed_size: 128
    .kernarg_segment_align: 8
    .kernarg_segment_size: 72
    .language:       OpenCL C
    .language_version:
      - 2
      - 0
    .max_flat_workgroup_size: 256
    .name:           _ZN7rocprim17ROCPRIM_400000_NS6detail17trampoline_kernelINS0_14default_configENS1_22reduce_config_selectorIN6thrust23THRUST_200600_302600_NS5tupleIblNS6_9null_typeES8_S8_S8_S8_S8_S8_S8_EEEEZNS1_11reduce_implILb1ES3_PS9_SC_S9_NS6_11hip_rocprim9__find_if7functorIS9_EEEE10hipError_tPvRmT1_T2_T3_mT4_P12ihipStream_tbEUlT_E0_NS1_11comp_targetILNS1_3genE4ELNS1_11target_archE910ELNS1_3gpuE8ELNS1_3repE0EEENS1_30default_config_static_selectorELNS0_4arch9wavefront6targetE1EEEvSK_
    .private_segment_fixed_size: 0
    .sgpr_count:     26
    .sgpr_spill_count: 0
    .symbol:         _ZN7rocprim17ROCPRIM_400000_NS6detail17trampoline_kernelINS0_14default_configENS1_22reduce_config_selectorIN6thrust23THRUST_200600_302600_NS5tupleIblNS6_9null_typeES8_S8_S8_S8_S8_S8_S8_EEEEZNS1_11reduce_implILb1ES3_PS9_SC_S9_NS6_11hip_rocprim9__find_if7functorIS9_EEEE10hipError_tPvRmT1_T2_T3_mT4_P12ihipStream_tbEUlT_E0_NS1_11comp_targetILNS1_3genE4ELNS1_11target_archE910ELNS1_3gpuE8ELNS1_3repE0EEENS1_30default_config_static_selectorELNS0_4arch9wavefront6targetE1EEEvSK_.kd
    .uniform_work_group_size: 1
    .uses_dynamic_stack: false
    .vgpr_count:     12
    .vgpr_spill_count: 0
    .wavefront_size: 64
  - .agpr_count:     0
    .args:
      - .offset:         0
        .size:           72
        .value_kind:     by_value
    .group_segment_fixed_size: 0
    .kernarg_segment_align: 8
    .kernarg_segment_size: 72
    .language:       OpenCL C
    .language_version:
      - 2
      - 0
    .max_flat_workgroup_size: 128
    .name:           _ZN7rocprim17ROCPRIM_400000_NS6detail17trampoline_kernelINS0_14default_configENS1_22reduce_config_selectorIN6thrust23THRUST_200600_302600_NS5tupleIblNS6_9null_typeES8_S8_S8_S8_S8_S8_S8_EEEEZNS1_11reduce_implILb1ES3_PS9_SC_S9_NS6_11hip_rocprim9__find_if7functorIS9_EEEE10hipError_tPvRmT1_T2_T3_mT4_P12ihipStream_tbEUlT_E0_NS1_11comp_targetILNS1_3genE3ELNS1_11target_archE908ELNS1_3gpuE7ELNS1_3repE0EEENS1_30default_config_static_selectorELNS0_4arch9wavefront6targetE1EEEvSK_
    .private_segment_fixed_size: 0
    .sgpr_count:     4
    .sgpr_spill_count: 0
    .symbol:         _ZN7rocprim17ROCPRIM_400000_NS6detail17trampoline_kernelINS0_14default_configENS1_22reduce_config_selectorIN6thrust23THRUST_200600_302600_NS5tupleIblNS6_9null_typeES8_S8_S8_S8_S8_S8_S8_EEEEZNS1_11reduce_implILb1ES3_PS9_SC_S9_NS6_11hip_rocprim9__find_if7functorIS9_EEEE10hipError_tPvRmT1_T2_T3_mT4_P12ihipStream_tbEUlT_E0_NS1_11comp_targetILNS1_3genE3ELNS1_11target_archE908ELNS1_3gpuE7ELNS1_3repE0EEENS1_30default_config_static_selectorELNS0_4arch9wavefront6targetE1EEEvSK_.kd
    .uniform_work_group_size: 1
    .uses_dynamic_stack: false
    .vgpr_count:     0
    .vgpr_spill_count: 0
    .wavefront_size: 64
  - .agpr_count:     0
    .args:
      - .offset:         0
        .size:           72
        .value_kind:     by_value
    .group_segment_fixed_size: 0
    .kernarg_segment_align: 8
    .kernarg_segment_size: 72
    .language:       OpenCL C
    .language_version:
      - 2
      - 0
    .max_flat_workgroup_size: 128
    .name:           _ZN7rocprim17ROCPRIM_400000_NS6detail17trampoline_kernelINS0_14default_configENS1_22reduce_config_selectorIN6thrust23THRUST_200600_302600_NS5tupleIblNS6_9null_typeES8_S8_S8_S8_S8_S8_S8_EEEEZNS1_11reduce_implILb1ES3_PS9_SC_S9_NS6_11hip_rocprim9__find_if7functorIS9_EEEE10hipError_tPvRmT1_T2_T3_mT4_P12ihipStream_tbEUlT_E0_NS1_11comp_targetILNS1_3genE2ELNS1_11target_archE906ELNS1_3gpuE6ELNS1_3repE0EEENS1_30default_config_static_selectorELNS0_4arch9wavefront6targetE1EEEvSK_
    .private_segment_fixed_size: 0
    .sgpr_count:     4
    .sgpr_spill_count: 0
    .symbol:         _ZN7rocprim17ROCPRIM_400000_NS6detail17trampoline_kernelINS0_14default_configENS1_22reduce_config_selectorIN6thrust23THRUST_200600_302600_NS5tupleIblNS6_9null_typeES8_S8_S8_S8_S8_S8_S8_EEEEZNS1_11reduce_implILb1ES3_PS9_SC_S9_NS6_11hip_rocprim9__find_if7functorIS9_EEEE10hipError_tPvRmT1_T2_T3_mT4_P12ihipStream_tbEUlT_E0_NS1_11comp_targetILNS1_3genE2ELNS1_11target_archE906ELNS1_3gpuE6ELNS1_3repE0EEENS1_30default_config_static_selectorELNS0_4arch9wavefront6targetE1EEEvSK_.kd
    .uniform_work_group_size: 1
    .uses_dynamic_stack: false
    .vgpr_count:     0
    .vgpr_spill_count: 0
    .wavefront_size: 64
  - .agpr_count:     0
    .args:
      - .offset:         0
        .size:           72
        .value_kind:     by_value
    .group_segment_fixed_size: 0
    .kernarg_segment_align: 8
    .kernarg_segment_size: 72
    .language:       OpenCL C
    .language_version:
      - 2
      - 0
    .max_flat_workgroup_size: 256
    .name:           _ZN7rocprim17ROCPRIM_400000_NS6detail17trampoline_kernelINS0_14default_configENS1_22reduce_config_selectorIN6thrust23THRUST_200600_302600_NS5tupleIblNS6_9null_typeES8_S8_S8_S8_S8_S8_S8_EEEEZNS1_11reduce_implILb1ES3_PS9_SC_S9_NS6_11hip_rocprim9__find_if7functorIS9_EEEE10hipError_tPvRmT1_T2_T3_mT4_P12ihipStream_tbEUlT_E0_NS1_11comp_targetILNS1_3genE10ELNS1_11target_archE1201ELNS1_3gpuE5ELNS1_3repE0EEENS1_30default_config_static_selectorELNS0_4arch9wavefront6targetE1EEEvSK_
    .private_segment_fixed_size: 0
    .sgpr_count:     4
    .sgpr_spill_count: 0
    .symbol:         _ZN7rocprim17ROCPRIM_400000_NS6detail17trampoline_kernelINS0_14default_configENS1_22reduce_config_selectorIN6thrust23THRUST_200600_302600_NS5tupleIblNS6_9null_typeES8_S8_S8_S8_S8_S8_S8_EEEEZNS1_11reduce_implILb1ES3_PS9_SC_S9_NS6_11hip_rocprim9__find_if7functorIS9_EEEE10hipError_tPvRmT1_T2_T3_mT4_P12ihipStream_tbEUlT_E0_NS1_11comp_targetILNS1_3genE10ELNS1_11target_archE1201ELNS1_3gpuE5ELNS1_3repE0EEENS1_30default_config_static_selectorELNS0_4arch9wavefront6targetE1EEEvSK_.kd
    .uniform_work_group_size: 1
    .uses_dynamic_stack: false
    .vgpr_count:     0
    .vgpr_spill_count: 0
    .wavefront_size: 64
  - .agpr_count:     0
    .args:
      - .offset:         0
        .size:           72
        .value_kind:     by_value
    .group_segment_fixed_size: 0
    .kernarg_segment_align: 8
    .kernarg_segment_size: 72
    .language:       OpenCL C
    .language_version:
      - 2
      - 0
    .max_flat_workgroup_size: 256
    .name:           _ZN7rocprim17ROCPRIM_400000_NS6detail17trampoline_kernelINS0_14default_configENS1_22reduce_config_selectorIN6thrust23THRUST_200600_302600_NS5tupleIblNS6_9null_typeES8_S8_S8_S8_S8_S8_S8_EEEEZNS1_11reduce_implILb1ES3_PS9_SC_S9_NS6_11hip_rocprim9__find_if7functorIS9_EEEE10hipError_tPvRmT1_T2_T3_mT4_P12ihipStream_tbEUlT_E0_NS1_11comp_targetILNS1_3genE10ELNS1_11target_archE1200ELNS1_3gpuE4ELNS1_3repE0EEENS1_30default_config_static_selectorELNS0_4arch9wavefront6targetE1EEEvSK_
    .private_segment_fixed_size: 0
    .sgpr_count:     4
    .sgpr_spill_count: 0
    .symbol:         _ZN7rocprim17ROCPRIM_400000_NS6detail17trampoline_kernelINS0_14default_configENS1_22reduce_config_selectorIN6thrust23THRUST_200600_302600_NS5tupleIblNS6_9null_typeES8_S8_S8_S8_S8_S8_S8_EEEEZNS1_11reduce_implILb1ES3_PS9_SC_S9_NS6_11hip_rocprim9__find_if7functorIS9_EEEE10hipError_tPvRmT1_T2_T3_mT4_P12ihipStream_tbEUlT_E0_NS1_11comp_targetILNS1_3genE10ELNS1_11target_archE1200ELNS1_3gpuE4ELNS1_3repE0EEENS1_30default_config_static_selectorELNS0_4arch9wavefront6targetE1EEEvSK_.kd
    .uniform_work_group_size: 1
    .uses_dynamic_stack: false
    .vgpr_count:     0
    .vgpr_spill_count: 0
    .wavefront_size: 64
  - .agpr_count:     0
    .args:
      - .offset:         0
        .size:           72
        .value_kind:     by_value
    .group_segment_fixed_size: 0
    .kernarg_segment_align: 8
    .kernarg_segment_size: 72
    .language:       OpenCL C
    .language_version:
      - 2
      - 0
    .max_flat_workgroup_size: 256
    .name:           _ZN7rocprim17ROCPRIM_400000_NS6detail17trampoline_kernelINS0_14default_configENS1_22reduce_config_selectorIN6thrust23THRUST_200600_302600_NS5tupleIblNS6_9null_typeES8_S8_S8_S8_S8_S8_S8_EEEEZNS1_11reduce_implILb1ES3_PS9_SC_S9_NS6_11hip_rocprim9__find_if7functorIS9_EEEE10hipError_tPvRmT1_T2_T3_mT4_P12ihipStream_tbEUlT_E0_NS1_11comp_targetILNS1_3genE9ELNS1_11target_archE1100ELNS1_3gpuE3ELNS1_3repE0EEENS1_30default_config_static_selectorELNS0_4arch9wavefront6targetE1EEEvSK_
    .private_segment_fixed_size: 0
    .sgpr_count:     4
    .sgpr_spill_count: 0
    .symbol:         _ZN7rocprim17ROCPRIM_400000_NS6detail17trampoline_kernelINS0_14default_configENS1_22reduce_config_selectorIN6thrust23THRUST_200600_302600_NS5tupleIblNS6_9null_typeES8_S8_S8_S8_S8_S8_S8_EEEEZNS1_11reduce_implILb1ES3_PS9_SC_S9_NS6_11hip_rocprim9__find_if7functorIS9_EEEE10hipError_tPvRmT1_T2_T3_mT4_P12ihipStream_tbEUlT_E0_NS1_11comp_targetILNS1_3genE9ELNS1_11target_archE1100ELNS1_3gpuE3ELNS1_3repE0EEENS1_30default_config_static_selectorELNS0_4arch9wavefront6targetE1EEEvSK_.kd
    .uniform_work_group_size: 1
    .uses_dynamic_stack: false
    .vgpr_count:     0
    .vgpr_spill_count: 0
    .wavefront_size: 64
  - .agpr_count:     0
    .args:
      - .offset:         0
        .size:           72
        .value_kind:     by_value
    .group_segment_fixed_size: 0
    .kernarg_segment_align: 8
    .kernarg_segment_size: 72
    .language:       OpenCL C
    .language_version:
      - 2
      - 0
    .max_flat_workgroup_size: 256
    .name:           _ZN7rocprim17ROCPRIM_400000_NS6detail17trampoline_kernelINS0_14default_configENS1_22reduce_config_selectorIN6thrust23THRUST_200600_302600_NS5tupleIblNS6_9null_typeES8_S8_S8_S8_S8_S8_S8_EEEEZNS1_11reduce_implILb1ES3_PS9_SC_S9_NS6_11hip_rocprim9__find_if7functorIS9_EEEE10hipError_tPvRmT1_T2_T3_mT4_P12ihipStream_tbEUlT_E0_NS1_11comp_targetILNS1_3genE8ELNS1_11target_archE1030ELNS1_3gpuE2ELNS1_3repE0EEENS1_30default_config_static_selectorELNS0_4arch9wavefront6targetE1EEEvSK_
    .private_segment_fixed_size: 0
    .sgpr_count:     4
    .sgpr_spill_count: 0
    .symbol:         _ZN7rocprim17ROCPRIM_400000_NS6detail17trampoline_kernelINS0_14default_configENS1_22reduce_config_selectorIN6thrust23THRUST_200600_302600_NS5tupleIblNS6_9null_typeES8_S8_S8_S8_S8_S8_S8_EEEEZNS1_11reduce_implILb1ES3_PS9_SC_S9_NS6_11hip_rocprim9__find_if7functorIS9_EEEE10hipError_tPvRmT1_T2_T3_mT4_P12ihipStream_tbEUlT_E0_NS1_11comp_targetILNS1_3genE8ELNS1_11target_archE1030ELNS1_3gpuE2ELNS1_3repE0EEENS1_30default_config_static_selectorELNS0_4arch9wavefront6targetE1EEEvSK_.kd
    .uniform_work_group_size: 1
    .uses_dynamic_stack: false
    .vgpr_count:     0
    .vgpr_spill_count: 0
    .wavefront_size: 64
  - .agpr_count:     0
    .args:
      - .offset:         0
        .size:           56
        .value_kind:     by_value
    .group_segment_fixed_size: 0
    .kernarg_segment_align: 8
    .kernarg_segment_size: 56
    .language:       OpenCL C
    .language_version:
      - 2
      - 0
    .max_flat_workgroup_size: 128
    .name:           _ZN7rocprim17ROCPRIM_400000_NS6detail17trampoline_kernelINS0_14default_configENS1_22reduce_config_selectorIN6thrust23THRUST_200600_302600_NS5tupleIblNS6_9null_typeES8_S8_S8_S8_S8_S8_S8_EEEEZNS1_11reduce_implILb1ES3_PS9_SC_S9_NS6_11hip_rocprim9__find_if7functorIS9_EEEE10hipError_tPvRmT1_T2_T3_mT4_P12ihipStream_tbEUlT_E1_NS1_11comp_targetILNS1_3genE0ELNS1_11target_archE4294967295ELNS1_3gpuE0ELNS1_3repE0EEENS1_30default_config_static_selectorELNS0_4arch9wavefront6targetE1EEEvSK_
    .private_segment_fixed_size: 0
    .sgpr_count:     4
    .sgpr_spill_count: 0
    .symbol:         _ZN7rocprim17ROCPRIM_400000_NS6detail17trampoline_kernelINS0_14default_configENS1_22reduce_config_selectorIN6thrust23THRUST_200600_302600_NS5tupleIblNS6_9null_typeES8_S8_S8_S8_S8_S8_S8_EEEEZNS1_11reduce_implILb1ES3_PS9_SC_S9_NS6_11hip_rocprim9__find_if7functorIS9_EEEE10hipError_tPvRmT1_T2_T3_mT4_P12ihipStream_tbEUlT_E1_NS1_11comp_targetILNS1_3genE0ELNS1_11target_archE4294967295ELNS1_3gpuE0ELNS1_3repE0EEENS1_30default_config_static_selectorELNS0_4arch9wavefront6targetE1EEEvSK_.kd
    .uniform_work_group_size: 1
    .uses_dynamic_stack: false
    .vgpr_count:     0
    .vgpr_spill_count: 0
    .wavefront_size: 64
  - .agpr_count:     0
    .args:
      - .offset:         0
        .size:           56
        .value_kind:     by_value
    .group_segment_fixed_size: 0
    .kernarg_segment_align: 8
    .kernarg_segment_size: 56
    .language:       OpenCL C
    .language_version:
      - 2
      - 0
    .max_flat_workgroup_size: 256
    .name:           _ZN7rocprim17ROCPRIM_400000_NS6detail17trampoline_kernelINS0_14default_configENS1_22reduce_config_selectorIN6thrust23THRUST_200600_302600_NS5tupleIblNS6_9null_typeES8_S8_S8_S8_S8_S8_S8_EEEEZNS1_11reduce_implILb1ES3_PS9_SC_S9_NS6_11hip_rocprim9__find_if7functorIS9_EEEE10hipError_tPvRmT1_T2_T3_mT4_P12ihipStream_tbEUlT_E1_NS1_11comp_targetILNS1_3genE5ELNS1_11target_archE942ELNS1_3gpuE9ELNS1_3repE0EEENS1_30default_config_static_selectorELNS0_4arch9wavefront6targetE1EEEvSK_
    .private_segment_fixed_size: 0
    .sgpr_count:     4
    .sgpr_spill_count: 0
    .symbol:         _ZN7rocprim17ROCPRIM_400000_NS6detail17trampoline_kernelINS0_14default_configENS1_22reduce_config_selectorIN6thrust23THRUST_200600_302600_NS5tupleIblNS6_9null_typeES8_S8_S8_S8_S8_S8_S8_EEEEZNS1_11reduce_implILb1ES3_PS9_SC_S9_NS6_11hip_rocprim9__find_if7functorIS9_EEEE10hipError_tPvRmT1_T2_T3_mT4_P12ihipStream_tbEUlT_E1_NS1_11comp_targetILNS1_3genE5ELNS1_11target_archE942ELNS1_3gpuE9ELNS1_3repE0EEENS1_30default_config_static_selectorELNS0_4arch9wavefront6targetE1EEEvSK_.kd
    .uniform_work_group_size: 1
    .uses_dynamic_stack: false
    .vgpr_count:     0
    .vgpr_spill_count: 0
    .wavefront_size: 64
  - .agpr_count:     0
    .args:
      - .offset:         0
        .size:           56
        .value_kind:     by_value
    .group_segment_fixed_size: 320
    .kernarg_segment_align: 8
    .kernarg_segment_size: 56
    .language:       OpenCL C
    .language_version:
      - 2
      - 0
    .max_flat_workgroup_size: 256
    .name:           _ZN7rocprim17ROCPRIM_400000_NS6detail17trampoline_kernelINS0_14default_configENS1_22reduce_config_selectorIN6thrust23THRUST_200600_302600_NS5tupleIblNS6_9null_typeES8_S8_S8_S8_S8_S8_S8_EEEEZNS1_11reduce_implILb1ES3_PS9_SC_S9_NS6_11hip_rocprim9__find_if7functorIS9_EEEE10hipError_tPvRmT1_T2_T3_mT4_P12ihipStream_tbEUlT_E1_NS1_11comp_targetILNS1_3genE4ELNS1_11target_archE910ELNS1_3gpuE8ELNS1_3repE0EEENS1_30default_config_static_selectorELNS0_4arch9wavefront6targetE1EEEvSK_
    .private_segment_fixed_size: 0
    .sgpr_count:     35
    .sgpr_spill_count: 0
    .symbol:         _ZN7rocprim17ROCPRIM_400000_NS6detail17trampoline_kernelINS0_14default_configENS1_22reduce_config_selectorIN6thrust23THRUST_200600_302600_NS5tupleIblNS6_9null_typeES8_S8_S8_S8_S8_S8_S8_EEEEZNS1_11reduce_implILb1ES3_PS9_SC_S9_NS6_11hip_rocprim9__find_if7functorIS9_EEEE10hipError_tPvRmT1_T2_T3_mT4_P12ihipStream_tbEUlT_E1_NS1_11comp_targetILNS1_3genE4ELNS1_11target_archE910ELNS1_3gpuE8ELNS1_3repE0EEENS1_30default_config_static_selectorELNS0_4arch9wavefront6targetE1EEEvSK_.kd
    .uniform_work_group_size: 1
    .uses_dynamic_stack: false
    .vgpr_count:     30
    .vgpr_spill_count: 0
    .wavefront_size: 64
  - .agpr_count:     0
    .args:
      - .offset:         0
        .size:           56
        .value_kind:     by_value
    .group_segment_fixed_size: 0
    .kernarg_segment_align: 8
    .kernarg_segment_size: 56
    .language:       OpenCL C
    .language_version:
      - 2
      - 0
    .max_flat_workgroup_size: 128
    .name:           _ZN7rocprim17ROCPRIM_400000_NS6detail17trampoline_kernelINS0_14default_configENS1_22reduce_config_selectorIN6thrust23THRUST_200600_302600_NS5tupleIblNS6_9null_typeES8_S8_S8_S8_S8_S8_S8_EEEEZNS1_11reduce_implILb1ES3_PS9_SC_S9_NS6_11hip_rocprim9__find_if7functorIS9_EEEE10hipError_tPvRmT1_T2_T3_mT4_P12ihipStream_tbEUlT_E1_NS1_11comp_targetILNS1_3genE3ELNS1_11target_archE908ELNS1_3gpuE7ELNS1_3repE0EEENS1_30default_config_static_selectorELNS0_4arch9wavefront6targetE1EEEvSK_
    .private_segment_fixed_size: 0
    .sgpr_count:     4
    .sgpr_spill_count: 0
    .symbol:         _ZN7rocprim17ROCPRIM_400000_NS6detail17trampoline_kernelINS0_14default_configENS1_22reduce_config_selectorIN6thrust23THRUST_200600_302600_NS5tupleIblNS6_9null_typeES8_S8_S8_S8_S8_S8_S8_EEEEZNS1_11reduce_implILb1ES3_PS9_SC_S9_NS6_11hip_rocprim9__find_if7functorIS9_EEEE10hipError_tPvRmT1_T2_T3_mT4_P12ihipStream_tbEUlT_E1_NS1_11comp_targetILNS1_3genE3ELNS1_11target_archE908ELNS1_3gpuE7ELNS1_3repE0EEENS1_30default_config_static_selectorELNS0_4arch9wavefront6targetE1EEEvSK_.kd
    .uniform_work_group_size: 1
    .uses_dynamic_stack: false
    .vgpr_count:     0
    .vgpr_spill_count: 0
    .wavefront_size: 64
  - .agpr_count:     0
    .args:
      - .offset:         0
        .size:           56
        .value_kind:     by_value
    .group_segment_fixed_size: 0
    .kernarg_segment_align: 8
    .kernarg_segment_size: 56
    .language:       OpenCL C
    .language_version:
      - 2
      - 0
    .max_flat_workgroup_size: 128
    .name:           _ZN7rocprim17ROCPRIM_400000_NS6detail17trampoline_kernelINS0_14default_configENS1_22reduce_config_selectorIN6thrust23THRUST_200600_302600_NS5tupleIblNS6_9null_typeES8_S8_S8_S8_S8_S8_S8_EEEEZNS1_11reduce_implILb1ES3_PS9_SC_S9_NS6_11hip_rocprim9__find_if7functorIS9_EEEE10hipError_tPvRmT1_T2_T3_mT4_P12ihipStream_tbEUlT_E1_NS1_11comp_targetILNS1_3genE2ELNS1_11target_archE906ELNS1_3gpuE6ELNS1_3repE0EEENS1_30default_config_static_selectorELNS0_4arch9wavefront6targetE1EEEvSK_
    .private_segment_fixed_size: 0
    .sgpr_count:     4
    .sgpr_spill_count: 0
    .symbol:         _ZN7rocprim17ROCPRIM_400000_NS6detail17trampoline_kernelINS0_14default_configENS1_22reduce_config_selectorIN6thrust23THRUST_200600_302600_NS5tupleIblNS6_9null_typeES8_S8_S8_S8_S8_S8_S8_EEEEZNS1_11reduce_implILb1ES3_PS9_SC_S9_NS6_11hip_rocprim9__find_if7functorIS9_EEEE10hipError_tPvRmT1_T2_T3_mT4_P12ihipStream_tbEUlT_E1_NS1_11comp_targetILNS1_3genE2ELNS1_11target_archE906ELNS1_3gpuE6ELNS1_3repE0EEENS1_30default_config_static_selectorELNS0_4arch9wavefront6targetE1EEEvSK_.kd
    .uniform_work_group_size: 1
    .uses_dynamic_stack: false
    .vgpr_count:     0
    .vgpr_spill_count: 0
    .wavefront_size: 64
  - .agpr_count:     0
    .args:
      - .offset:         0
        .size:           56
        .value_kind:     by_value
    .group_segment_fixed_size: 0
    .kernarg_segment_align: 8
    .kernarg_segment_size: 56
    .language:       OpenCL C
    .language_version:
      - 2
      - 0
    .max_flat_workgroup_size: 256
    .name:           _ZN7rocprim17ROCPRIM_400000_NS6detail17trampoline_kernelINS0_14default_configENS1_22reduce_config_selectorIN6thrust23THRUST_200600_302600_NS5tupleIblNS6_9null_typeES8_S8_S8_S8_S8_S8_S8_EEEEZNS1_11reduce_implILb1ES3_PS9_SC_S9_NS6_11hip_rocprim9__find_if7functorIS9_EEEE10hipError_tPvRmT1_T2_T3_mT4_P12ihipStream_tbEUlT_E1_NS1_11comp_targetILNS1_3genE10ELNS1_11target_archE1201ELNS1_3gpuE5ELNS1_3repE0EEENS1_30default_config_static_selectorELNS0_4arch9wavefront6targetE1EEEvSK_
    .private_segment_fixed_size: 0
    .sgpr_count:     4
    .sgpr_spill_count: 0
    .symbol:         _ZN7rocprim17ROCPRIM_400000_NS6detail17trampoline_kernelINS0_14default_configENS1_22reduce_config_selectorIN6thrust23THRUST_200600_302600_NS5tupleIblNS6_9null_typeES8_S8_S8_S8_S8_S8_S8_EEEEZNS1_11reduce_implILb1ES3_PS9_SC_S9_NS6_11hip_rocprim9__find_if7functorIS9_EEEE10hipError_tPvRmT1_T2_T3_mT4_P12ihipStream_tbEUlT_E1_NS1_11comp_targetILNS1_3genE10ELNS1_11target_archE1201ELNS1_3gpuE5ELNS1_3repE0EEENS1_30default_config_static_selectorELNS0_4arch9wavefront6targetE1EEEvSK_.kd
    .uniform_work_group_size: 1
    .uses_dynamic_stack: false
    .vgpr_count:     0
    .vgpr_spill_count: 0
    .wavefront_size: 64
  - .agpr_count:     0
    .args:
      - .offset:         0
        .size:           56
        .value_kind:     by_value
    .group_segment_fixed_size: 0
    .kernarg_segment_align: 8
    .kernarg_segment_size: 56
    .language:       OpenCL C
    .language_version:
      - 2
      - 0
    .max_flat_workgroup_size: 256
    .name:           _ZN7rocprim17ROCPRIM_400000_NS6detail17trampoline_kernelINS0_14default_configENS1_22reduce_config_selectorIN6thrust23THRUST_200600_302600_NS5tupleIblNS6_9null_typeES8_S8_S8_S8_S8_S8_S8_EEEEZNS1_11reduce_implILb1ES3_PS9_SC_S9_NS6_11hip_rocprim9__find_if7functorIS9_EEEE10hipError_tPvRmT1_T2_T3_mT4_P12ihipStream_tbEUlT_E1_NS1_11comp_targetILNS1_3genE10ELNS1_11target_archE1200ELNS1_3gpuE4ELNS1_3repE0EEENS1_30default_config_static_selectorELNS0_4arch9wavefront6targetE1EEEvSK_
    .private_segment_fixed_size: 0
    .sgpr_count:     4
    .sgpr_spill_count: 0
    .symbol:         _ZN7rocprim17ROCPRIM_400000_NS6detail17trampoline_kernelINS0_14default_configENS1_22reduce_config_selectorIN6thrust23THRUST_200600_302600_NS5tupleIblNS6_9null_typeES8_S8_S8_S8_S8_S8_S8_EEEEZNS1_11reduce_implILb1ES3_PS9_SC_S9_NS6_11hip_rocprim9__find_if7functorIS9_EEEE10hipError_tPvRmT1_T2_T3_mT4_P12ihipStream_tbEUlT_E1_NS1_11comp_targetILNS1_3genE10ELNS1_11target_archE1200ELNS1_3gpuE4ELNS1_3repE0EEENS1_30default_config_static_selectorELNS0_4arch9wavefront6targetE1EEEvSK_.kd
    .uniform_work_group_size: 1
    .uses_dynamic_stack: false
    .vgpr_count:     0
    .vgpr_spill_count: 0
    .wavefront_size: 64
  - .agpr_count:     0
    .args:
      - .offset:         0
        .size:           56
        .value_kind:     by_value
    .group_segment_fixed_size: 0
    .kernarg_segment_align: 8
    .kernarg_segment_size: 56
    .language:       OpenCL C
    .language_version:
      - 2
      - 0
    .max_flat_workgroup_size: 256
    .name:           _ZN7rocprim17ROCPRIM_400000_NS6detail17trampoline_kernelINS0_14default_configENS1_22reduce_config_selectorIN6thrust23THRUST_200600_302600_NS5tupleIblNS6_9null_typeES8_S8_S8_S8_S8_S8_S8_EEEEZNS1_11reduce_implILb1ES3_PS9_SC_S9_NS6_11hip_rocprim9__find_if7functorIS9_EEEE10hipError_tPvRmT1_T2_T3_mT4_P12ihipStream_tbEUlT_E1_NS1_11comp_targetILNS1_3genE9ELNS1_11target_archE1100ELNS1_3gpuE3ELNS1_3repE0EEENS1_30default_config_static_selectorELNS0_4arch9wavefront6targetE1EEEvSK_
    .private_segment_fixed_size: 0
    .sgpr_count:     4
    .sgpr_spill_count: 0
    .symbol:         _ZN7rocprim17ROCPRIM_400000_NS6detail17trampoline_kernelINS0_14default_configENS1_22reduce_config_selectorIN6thrust23THRUST_200600_302600_NS5tupleIblNS6_9null_typeES8_S8_S8_S8_S8_S8_S8_EEEEZNS1_11reduce_implILb1ES3_PS9_SC_S9_NS6_11hip_rocprim9__find_if7functorIS9_EEEE10hipError_tPvRmT1_T2_T3_mT4_P12ihipStream_tbEUlT_E1_NS1_11comp_targetILNS1_3genE9ELNS1_11target_archE1100ELNS1_3gpuE3ELNS1_3repE0EEENS1_30default_config_static_selectorELNS0_4arch9wavefront6targetE1EEEvSK_.kd
    .uniform_work_group_size: 1
    .uses_dynamic_stack: false
    .vgpr_count:     0
    .vgpr_spill_count: 0
    .wavefront_size: 64
  - .agpr_count:     0
    .args:
      - .offset:         0
        .size:           56
        .value_kind:     by_value
    .group_segment_fixed_size: 0
    .kernarg_segment_align: 8
    .kernarg_segment_size: 56
    .language:       OpenCL C
    .language_version:
      - 2
      - 0
    .max_flat_workgroup_size: 256
    .name:           _ZN7rocprim17ROCPRIM_400000_NS6detail17trampoline_kernelINS0_14default_configENS1_22reduce_config_selectorIN6thrust23THRUST_200600_302600_NS5tupleIblNS6_9null_typeES8_S8_S8_S8_S8_S8_S8_EEEEZNS1_11reduce_implILb1ES3_PS9_SC_S9_NS6_11hip_rocprim9__find_if7functorIS9_EEEE10hipError_tPvRmT1_T2_T3_mT4_P12ihipStream_tbEUlT_E1_NS1_11comp_targetILNS1_3genE8ELNS1_11target_archE1030ELNS1_3gpuE2ELNS1_3repE0EEENS1_30default_config_static_selectorELNS0_4arch9wavefront6targetE1EEEvSK_
    .private_segment_fixed_size: 0
    .sgpr_count:     4
    .sgpr_spill_count: 0
    .symbol:         _ZN7rocprim17ROCPRIM_400000_NS6detail17trampoline_kernelINS0_14default_configENS1_22reduce_config_selectorIN6thrust23THRUST_200600_302600_NS5tupleIblNS6_9null_typeES8_S8_S8_S8_S8_S8_S8_EEEEZNS1_11reduce_implILb1ES3_PS9_SC_S9_NS6_11hip_rocprim9__find_if7functorIS9_EEEE10hipError_tPvRmT1_T2_T3_mT4_P12ihipStream_tbEUlT_E1_NS1_11comp_targetILNS1_3genE8ELNS1_11target_archE1030ELNS1_3gpuE2ELNS1_3repE0EEENS1_30default_config_static_selectorELNS0_4arch9wavefront6targetE1EEEvSK_.kd
    .uniform_work_group_size: 1
    .uses_dynamic_stack: false
    .vgpr_count:     0
    .vgpr_spill_count: 0
    .wavefront_size: 64
  - .agpr_count:     0
    .args:
      - .offset:         0
        .size:           104
        .value_kind:     by_value
    .group_segment_fixed_size: 0
    .kernarg_segment_align: 8
    .kernarg_segment_size: 104
    .language:       OpenCL C
    .language_version:
      - 2
      - 0
    .max_flat_workgroup_size: 128
    .name:           _ZN7rocprim17ROCPRIM_400000_NS6detail17trampoline_kernelINS0_14default_configENS1_22reduce_config_selectorIN6thrust23THRUST_200600_302600_NS5tupleIblNS6_9null_typeES8_S8_S8_S8_S8_S8_S8_EEEEZNS1_11reduce_implILb1ES3_NS6_12zip_iteratorINS7_INS6_11hip_rocprim26transform_input_iterator_tIbNSD_35transform_pair_of_input_iterators_tIbNS6_6detail15normal_iteratorINS6_10device_ptrIlEEEENS6_17counting_iteratorIlNS6_11use_defaultESM_SM_EENS6_8equal_toIlEEEENSG_9not_fun_tINSD_8identityEEEEENSD_19counting_iterator_tIlEES8_S8_S8_S8_S8_S8_S8_S8_EEEEPS9_S9_NSD_9__find_if7functorIS9_EEEE10hipError_tPvRmT1_T2_T3_mT4_P12ihipStream_tbEUlT_E0_NS1_11comp_targetILNS1_3genE0ELNS1_11target_archE4294967295ELNS1_3gpuE0ELNS1_3repE0EEENS1_30default_config_static_selectorELNS0_4arch9wavefront6targetE1EEEvS16_
    .private_segment_fixed_size: 0
    .sgpr_count:     4
    .sgpr_spill_count: 0
    .symbol:         _ZN7rocprim17ROCPRIM_400000_NS6detail17trampoline_kernelINS0_14default_configENS1_22reduce_config_selectorIN6thrust23THRUST_200600_302600_NS5tupleIblNS6_9null_typeES8_S8_S8_S8_S8_S8_S8_EEEEZNS1_11reduce_implILb1ES3_NS6_12zip_iteratorINS7_INS6_11hip_rocprim26transform_input_iterator_tIbNSD_35transform_pair_of_input_iterators_tIbNS6_6detail15normal_iteratorINS6_10device_ptrIlEEEENS6_17counting_iteratorIlNS6_11use_defaultESM_SM_EENS6_8equal_toIlEEEENSG_9not_fun_tINSD_8identityEEEEENSD_19counting_iterator_tIlEES8_S8_S8_S8_S8_S8_S8_S8_EEEEPS9_S9_NSD_9__find_if7functorIS9_EEEE10hipError_tPvRmT1_T2_T3_mT4_P12ihipStream_tbEUlT_E0_NS1_11comp_targetILNS1_3genE0ELNS1_11target_archE4294967295ELNS1_3gpuE0ELNS1_3repE0EEENS1_30default_config_static_selectorELNS0_4arch9wavefront6targetE1EEEvS16_.kd
    .uniform_work_group_size: 1
    .uses_dynamic_stack: false
    .vgpr_count:     0
    .vgpr_spill_count: 0
    .wavefront_size: 64
  - .agpr_count:     0
    .args:
      - .offset:         0
        .size:           104
        .value_kind:     by_value
    .group_segment_fixed_size: 0
    .kernarg_segment_align: 8
    .kernarg_segment_size: 104
    .language:       OpenCL C
    .language_version:
      - 2
      - 0
    .max_flat_workgroup_size: 256
    .name:           _ZN7rocprim17ROCPRIM_400000_NS6detail17trampoline_kernelINS0_14default_configENS1_22reduce_config_selectorIN6thrust23THRUST_200600_302600_NS5tupleIblNS6_9null_typeES8_S8_S8_S8_S8_S8_S8_EEEEZNS1_11reduce_implILb1ES3_NS6_12zip_iteratorINS7_INS6_11hip_rocprim26transform_input_iterator_tIbNSD_35transform_pair_of_input_iterators_tIbNS6_6detail15normal_iteratorINS6_10device_ptrIlEEEENS6_17counting_iteratorIlNS6_11use_defaultESM_SM_EENS6_8equal_toIlEEEENSG_9not_fun_tINSD_8identityEEEEENSD_19counting_iterator_tIlEES8_S8_S8_S8_S8_S8_S8_S8_EEEEPS9_S9_NSD_9__find_if7functorIS9_EEEE10hipError_tPvRmT1_T2_T3_mT4_P12ihipStream_tbEUlT_E0_NS1_11comp_targetILNS1_3genE5ELNS1_11target_archE942ELNS1_3gpuE9ELNS1_3repE0EEENS1_30default_config_static_selectorELNS0_4arch9wavefront6targetE1EEEvS16_
    .private_segment_fixed_size: 0
    .sgpr_count:     4
    .sgpr_spill_count: 0
    .symbol:         _ZN7rocprim17ROCPRIM_400000_NS6detail17trampoline_kernelINS0_14default_configENS1_22reduce_config_selectorIN6thrust23THRUST_200600_302600_NS5tupleIblNS6_9null_typeES8_S8_S8_S8_S8_S8_S8_EEEEZNS1_11reduce_implILb1ES3_NS6_12zip_iteratorINS7_INS6_11hip_rocprim26transform_input_iterator_tIbNSD_35transform_pair_of_input_iterators_tIbNS6_6detail15normal_iteratorINS6_10device_ptrIlEEEENS6_17counting_iteratorIlNS6_11use_defaultESM_SM_EENS6_8equal_toIlEEEENSG_9not_fun_tINSD_8identityEEEEENSD_19counting_iterator_tIlEES8_S8_S8_S8_S8_S8_S8_S8_EEEEPS9_S9_NSD_9__find_if7functorIS9_EEEE10hipError_tPvRmT1_T2_T3_mT4_P12ihipStream_tbEUlT_E0_NS1_11comp_targetILNS1_3genE5ELNS1_11target_archE942ELNS1_3gpuE9ELNS1_3repE0EEENS1_30default_config_static_selectorELNS0_4arch9wavefront6targetE1EEEvS16_.kd
    .uniform_work_group_size: 1
    .uses_dynamic_stack: false
    .vgpr_count:     0
    .vgpr_spill_count: 0
    .wavefront_size: 64
  - .agpr_count:     0
    .args:
      - .offset:         0
        .size:           104
        .value_kind:     by_value
    .group_segment_fixed_size: 128
    .kernarg_segment_align: 8
    .kernarg_segment_size: 104
    .language:       OpenCL C
    .language_version:
      - 2
      - 0
    .max_flat_workgroup_size: 256
    .name:           _ZN7rocprim17ROCPRIM_400000_NS6detail17trampoline_kernelINS0_14default_configENS1_22reduce_config_selectorIN6thrust23THRUST_200600_302600_NS5tupleIblNS6_9null_typeES8_S8_S8_S8_S8_S8_S8_EEEEZNS1_11reduce_implILb1ES3_NS6_12zip_iteratorINS7_INS6_11hip_rocprim26transform_input_iterator_tIbNSD_35transform_pair_of_input_iterators_tIbNS6_6detail15normal_iteratorINS6_10device_ptrIlEEEENS6_17counting_iteratorIlNS6_11use_defaultESM_SM_EENS6_8equal_toIlEEEENSG_9not_fun_tINSD_8identityEEEEENSD_19counting_iterator_tIlEES8_S8_S8_S8_S8_S8_S8_S8_EEEEPS9_S9_NSD_9__find_if7functorIS9_EEEE10hipError_tPvRmT1_T2_T3_mT4_P12ihipStream_tbEUlT_E0_NS1_11comp_targetILNS1_3genE4ELNS1_11target_archE910ELNS1_3gpuE8ELNS1_3repE0EEENS1_30default_config_static_selectorELNS0_4arch9wavefront6targetE1EEEvS16_
    .private_segment_fixed_size: 0
    .sgpr_count:     30
    .sgpr_spill_count: 0
    .symbol:         _ZN7rocprim17ROCPRIM_400000_NS6detail17trampoline_kernelINS0_14default_configENS1_22reduce_config_selectorIN6thrust23THRUST_200600_302600_NS5tupleIblNS6_9null_typeES8_S8_S8_S8_S8_S8_S8_EEEEZNS1_11reduce_implILb1ES3_NS6_12zip_iteratorINS7_INS6_11hip_rocprim26transform_input_iterator_tIbNSD_35transform_pair_of_input_iterators_tIbNS6_6detail15normal_iteratorINS6_10device_ptrIlEEEENS6_17counting_iteratorIlNS6_11use_defaultESM_SM_EENS6_8equal_toIlEEEENSG_9not_fun_tINSD_8identityEEEEENSD_19counting_iterator_tIlEES8_S8_S8_S8_S8_S8_S8_S8_EEEEPS9_S9_NSD_9__find_if7functorIS9_EEEE10hipError_tPvRmT1_T2_T3_mT4_P12ihipStream_tbEUlT_E0_NS1_11comp_targetILNS1_3genE4ELNS1_11target_archE910ELNS1_3gpuE8ELNS1_3repE0EEENS1_30default_config_static_selectorELNS0_4arch9wavefront6targetE1EEEvS16_.kd
    .uniform_work_group_size: 1
    .uses_dynamic_stack: false
    .vgpr_count:     14
    .vgpr_spill_count: 0
    .wavefront_size: 64
  - .agpr_count:     0
    .args:
      - .offset:         0
        .size:           104
        .value_kind:     by_value
    .group_segment_fixed_size: 0
    .kernarg_segment_align: 8
    .kernarg_segment_size: 104
    .language:       OpenCL C
    .language_version:
      - 2
      - 0
    .max_flat_workgroup_size: 128
    .name:           _ZN7rocprim17ROCPRIM_400000_NS6detail17trampoline_kernelINS0_14default_configENS1_22reduce_config_selectorIN6thrust23THRUST_200600_302600_NS5tupleIblNS6_9null_typeES8_S8_S8_S8_S8_S8_S8_EEEEZNS1_11reduce_implILb1ES3_NS6_12zip_iteratorINS7_INS6_11hip_rocprim26transform_input_iterator_tIbNSD_35transform_pair_of_input_iterators_tIbNS6_6detail15normal_iteratorINS6_10device_ptrIlEEEENS6_17counting_iteratorIlNS6_11use_defaultESM_SM_EENS6_8equal_toIlEEEENSG_9not_fun_tINSD_8identityEEEEENSD_19counting_iterator_tIlEES8_S8_S8_S8_S8_S8_S8_S8_EEEEPS9_S9_NSD_9__find_if7functorIS9_EEEE10hipError_tPvRmT1_T2_T3_mT4_P12ihipStream_tbEUlT_E0_NS1_11comp_targetILNS1_3genE3ELNS1_11target_archE908ELNS1_3gpuE7ELNS1_3repE0EEENS1_30default_config_static_selectorELNS0_4arch9wavefront6targetE1EEEvS16_
    .private_segment_fixed_size: 0
    .sgpr_count:     4
    .sgpr_spill_count: 0
    .symbol:         _ZN7rocprim17ROCPRIM_400000_NS6detail17trampoline_kernelINS0_14default_configENS1_22reduce_config_selectorIN6thrust23THRUST_200600_302600_NS5tupleIblNS6_9null_typeES8_S8_S8_S8_S8_S8_S8_EEEEZNS1_11reduce_implILb1ES3_NS6_12zip_iteratorINS7_INS6_11hip_rocprim26transform_input_iterator_tIbNSD_35transform_pair_of_input_iterators_tIbNS6_6detail15normal_iteratorINS6_10device_ptrIlEEEENS6_17counting_iteratorIlNS6_11use_defaultESM_SM_EENS6_8equal_toIlEEEENSG_9not_fun_tINSD_8identityEEEEENSD_19counting_iterator_tIlEES8_S8_S8_S8_S8_S8_S8_S8_EEEEPS9_S9_NSD_9__find_if7functorIS9_EEEE10hipError_tPvRmT1_T2_T3_mT4_P12ihipStream_tbEUlT_E0_NS1_11comp_targetILNS1_3genE3ELNS1_11target_archE908ELNS1_3gpuE7ELNS1_3repE0EEENS1_30default_config_static_selectorELNS0_4arch9wavefront6targetE1EEEvS16_.kd
    .uniform_work_group_size: 1
    .uses_dynamic_stack: false
    .vgpr_count:     0
    .vgpr_spill_count: 0
    .wavefront_size: 64
  - .agpr_count:     0
    .args:
      - .offset:         0
        .size:           104
        .value_kind:     by_value
    .group_segment_fixed_size: 0
    .kernarg_segment_align: 8
    .kernarg_segment_size: 104
    .language:       OpenCL C
    .language_version:
      - 2
      - 0
    .max_flat_workgroup_size: 128
    .name:           _ZN7rocprim17ROCPRIM_400000_NS6detail17trampoline_kernelINS0_14default_configENS1_22reduce_config_selectorIN6thrust23THRUST_200600_302600_NS5tupleIblNS6_9null_typeES8_S8_S8_S8_S8_S8_S8_EEEEZNS1_11reduce_implILb1ES3_NS6_12zip_iteratorINS7_INS6_11hip_rocprim26transform_input_iterator_tIbNSD_35transform_pair_of_input_iterators_tIbNS6_6detail15normal_iteratorINS6_10device_ptrIlEEEENS6_17counting_iteratorIlNS6_11use_defaultESM_SM_EENS6_8equal_toIlEEEENSG_9not_fun_tINSD_8identityEEEEENSD_19counting_iterator_tIlEES8_S8_S8_S8_S8_S8_S8_S8_EEEEPS9_S9_NSD_9__find_if7functorIS9_EEEE10hipError_tPvRmT1_T2_T3_mT4_P12ihipStream_tbEUlT_E0_NS1_11comp_targetILNS1_3genE2ELNS1_11target_archE906ELNS1_3gpuE6ELNS1_3repE0EEENS1_30default_config_static_selectorELNS0_4arch9wavefront6targetE1EEEvS16_
    .private_segment_fixed_size: 0
    .sgpr_count:     4
    .sgpr_spill_count: 0
    .symbol:         _ZN7rocprim17ROCPRIM_400000_NS6detail17trampoline_kernelINS0_14default_configENS1_22reduce_config_selectorIN6thrust23THRUST_200600_302600_NS5tupleIblNS6_9null_typeES8_S8_S8_S8_S8_S8_S8_EEEEZNS1_11reduce_implILb1ES3_NS6_12zip_iteratorINS7_INS6_11hip_rocprim26transform_input_iterator_tIbNSD_35transform_pair_of_input_iterators_tIbNS6_6detail15normal_iteratorINS6_10device_ptrIlEEEENS6_17counting_iteratorIlNS6_11use_defaultESM_SM_EENS6_8equal_toIlEEEENSG_9not_fun_tINSD_8identityEEEEENSD_19counting_iterator_tIlEES8_S8_S8_S8_S8_S8_S8_S8_EEEEPS9_S9_NSD_9__find_if7functorIS9_EEEE10hipError_tPvRmT1_T2_T3_mT4_P12ihipStream_tbEUlT_E0_NS1_11comp_targetILNS1_3genE2ELNS1_11target_archE906ELNS1_3gpuE6ELNS1_3repE0EEENS1_30default_config_static_selectorELNS0_4arch9wavefront6targetE1EEEvS16_.kd
    .uniform_work_group_size: 1
    .uses_dynamic_stack: false
    .vgpr_count:     0
    .vgpr_spill_count: 0
    .wavefront_size: 64
  - .agpr_count:     0
    .args:
      - .offset:         0
        .size:           104
        .value_kind:     by_value
    .group_segment_fixed_size: 0
    .kernarg_segment_align: 8
    .kernarg_segment_size: 104
    .language:       OpenCL C
    .language_version:
      - 2
      - 0
    .max_flat_workgroup_size: 256
    .name:           _ZN7rocprim17ROCPRIM_400000_NS6detail17trampoline_kernelINS0_14default_configENS1_22reduce_config_selectorIN6thrust23THRUST_200600_302600_NS5tupleIblNS6_9null_typeES8_S8_S8_S8_S8_S8_S8_EEEEZNS1_11reduce_implILb1ES3_NS6_12zip_iteratorINS7_INS6_11hip_rocprim26transform_input_iterator_tIbNSD_35transform_pair_of_input_iterators_tIbNS6_6detail15normal_iteratorINS6_10device_ptrIlEEEENS6_17counting_iteratorIlNS6_11use_defaultESM_SM_EENS6_8equal_toIlEEEENSG_9not_fun_tINSD_8identityEEEEENSD_19counting_iterator_tIlEES8_S8_S8_S8_S8_S8_S8_S8_EEEEPS9_S9_NSD_9__find_if7functorIS9_EEEE10hipError_tPvRmT1_T2_T3_mT4_P12ihipStream_tbEUlT_E0_NS1_11comp_targetILNS1_3genE10ELNS1_11target_archE1201ELNS1_3gpuE5ELNS1_3repE0EEENS1_30default_config_static_selectorELNS0_4arch9wavefront6targetE1EEEvS16_
    .private_segment_fixed_size: 0
    .sgpr_count:     4
    .sgpr_spill_count: 0
    .symbol:         _ZN7rocprim17ROCPRIM_400000_NS6detail17trampoline_kernelINS0_14default_configENS1_22reduce_config_selectorIN6thrust23THRUST_200600_302600_NS5tupleIblNS6_9null_typeES8_S8_S8_S8_S8_S8_S8_EEEEZNS1_11reduce_implILb1ES3_NS6_12zip_iteratorINS7_INS6_11hip_rocprim26transform_input_iterator_tIbNSD_35transform_pair_of_input_iterators_tIbNS6_6detail15normal_iteratorINS6_10device_ptrIlEEEENS6_17counting_iteratorIlNS6_11use_defaultESM_SM_EENS6_8equal_toIlEEEENSG_9not_fun_tINSD_8identityEEEEENSD_19counting_iterator_tIlEES8_S8_S8_S8_S8_S8_S8_S8_EEEEPS9_S9_NSD_9__find_if7functorIS9_EEEE10hipError_tPvRmT1_T2_T3_mT4_P12ihipStream_tbEUlT_E0_NS1_11comp_targetILNS1_3genE10ELNS1_11target_archE1201ELNS1_3gpuE5ELNS1_3repE0EEENS1_30default_config_static_selectorELNS0_4arch9wavefront6targetE1EEEvS16_.kd
    .uniform_work_group_size: 1
    .uses_dynamic_stack: false
    .vgpr_count:     0
    .vgpr_spill_count: 0
    .wavefront_size: 64
  - .agpr_count:     0
    .args:
      - .offset:         0
        .size:           104
        .value_kind:     by_value
    .group_segment_fixed_size: 0
    .kernarg_segment_align: 8
    .kernarg_segment_size: 104
    .language:       OpenCL C
    .language_version:
      - 2
      - 0
    .max_flat_workgroup_size: 256
    .name:           _ZN7rocprim17ROCPRIM_400000_NS6detail17trampoline_kernelINS0_14default_configENS1_22reduce_config_selectorIN6thrust23THRUST_200600_302600_NS5tupleIblNS6_9null_typeES8_S8_S8_S8_S8_S8_S8_EEEEZNS1_11reduce_implILb1ES3_NS6_12zip_iteratorINS7_INS6_11hip_rocprim26transform_input_iterator_tIbNSD_35transform_pair_of_input_iterators_tIbNS6_6detail15normal_iteratorINS6_10device_ptrIlEEEENS6_17counting_iteratorIlNS6_11use_defaultESM_SM_EENS6_8equal_toIlEEEENSG_9not_fun_tINSD_8identityEEEEENSD_19counting_iterator_tIlEES8_S8_S8_S8_S8_S8_S8_S8_EEEEPS9_S9_NSD_9__find_if7functorIS9_EEEE10hipError_tPvRmT1_T2_T3_mT4_P12ihipStream_tbEUlT_E0_NS1_11comp_targetILNS1_3genE10ELNS1_11target_archE1200ELNS1_3gpuE4ELNS1_3repE0EEENS1_30default_config_static_selectorELNS0_4arch9wavefront6targetE1EEEvS16_
    .private_segment_fixed_size: 0
    .sgpr_count:     4
    .sgpr_spill_count: 0
    .symbol:         _ZN7rocprim17ROCPRIM_400000_NS6detail17trampoline_kernelINS0_14default_configENS1_22reduce_config_selectorIN6thrust23THRUST_200600_302600_NS5tupleIblNS6_9null_typeES8_S8_S8_S8_S8_S8_S8_EEEEZNS1_11reduce_implILb1ES3_NS6_12zip_iteratorINS7_INS6_11hip_rocprim26transform_input_iterator_tIbNSD_35transform_pair_of_input_iterators_tIbNS6_6detail15normal_iteratorINS6_10device_ptrIlEEEENS6_17counting_iteratorIlNS6_11use_defaultESM_SM_EENS6_8equal_toIlEEEENSG_9not_fun_tINSD_8identityEEEEENSD_19counting_iterator_tIlEES8_S8_S8_S8_S8_S8_S8_S8_EEEEPS9_S9_NSD_9__find_if7functorIS9_EEEE10hipError_tPvRmT1_T2_T3_mT4_P12ihipStream_tbEUlT_E0_NS1_11comp_targetILNS1_3genE10ELNS1_11target_archE1200ELNS1_3gpuE4ELNS1_3repE0EEENS1_30default_config_static_selectorELNS0_4arch9wavefront6targetE1EEEvS16_.kd
    .uniform_work_group_size: 1
    .uses_dynamic_stack: false
    .vgpr_count:     0
    .vgpr_spill_count: 0
    .wavefront_size: 64
  - .agpr_count:     0
    .args:
      - .offset:         0
        .size:           104
        .value_kind:     by_value
    .group_segment_fixed_size: 0
    .kernarg_segment_align: 8
    .kernarg_segment_size: 104
    .language:       OpenCL C
    .language_version:
      - 2
      - 0
    .max_flat_workgroup_size: 256
    .name:           _ZN7rocprim17ROCPRIM_400000_NS6detail17trampoline_kernelINS0_14default_configENS1_22reduce_config_selectorIN6thrust23THRUST_200600_302600_NS5tupleIblNS6_9null_typeES8_S8_S8_S8_S8_S8_S8_EEEEZNS1_11reduce_implILb1ES3_NS6_12zip_iteratorINS7_INS6_11hip_rocprim26transform_input_iterator_tIbNSD_35transform_pair_of_input_iterators_tIbNS6_6detail15normal_iteratorINS6_10device_ptrIlEEEENS6_17counting_iteratorIlNS6_11use_defaultESM_SM_EENS6_8equal_toIlEEEENSG_9not_fun_tINSD_8identityEEEEENSD_19counting_iterator_tIlEES8_S8_S8_S8_S8_S8_S8_S8_EEEEPS9_S9_NSD_9__find_if7functorIS9_EEEE10hipError_tPvRmT1_T2_T3_mT4_P12ihipStream_tbEUlT_E0_NS1_11comp_targetILNS1_3genE9ELNS1_11target_archE1100ELNS1_3gpuE3ELNS1_3repE0EEENS1_30default_config_static_selectorELNS0_4arch9wavefront6targetE1EEEvS16_
    .private_segment_fixed_size: 0
    .sgpr_count:     4
    .sgpr_spill_count: 0
    .symbol:         _ZN7rocprim17ROCPRIM_400000_NS6detail17trampoline_kernelINS0_14default_configENS1_22reduce_config_selectorIN6thrust23THRUST_200600_302600_NS5tupleIblNS6_9null_typeES8_S8_S8_S8_S8_S8_S8_EEEEZNS1_11reduce_implILb1ES3_NS6_12zip_iteratorINS7_INS6_11hip_rocprim26transform_input_iterator_tIbNSD_35transform_pair_of_input_iterators_tIbNS6_6detail15normal_iteratorINS6_10device_ptrIlEEEENS6_17counting_iteratorIlNS6_11use_defaultESM_SM_EENS6_8equal_toIlEEEENSG_9not_fun_tINSD_8identityEEEEENSD_19counting_iterator_tIlEES8_S8_S8_S8_S8_S8_S8_S8_EEEEPS9_S9_NSD_9__find_if7functorIS9_EEEE10hipError_tPvRmT1_T2_T3_mT4_P12ihipStream_tbEUlT_E0_NS1_11comp_targetILNS1_3genE9ELNS1_11target_archE1100ELNS1_3gpuE3ELNS1_3repE0EEENS1_30default_config_static_selectorELNS0_4arch9wavefront6targetE1EEEvS16_.kd
    .uniform_work_group_size: 1
    .uses_dynamic_stack: false
    .vgpr_count:     0
    .vgpr_spill_count: 0
    .wavefront_size: 64
  - .agpr_count:     0
    .args:
      - .offset:         0
        .size:           104
        .value_kind:     by_value
    .group_segment_fixed_size: 0
    .kernarg_segment_align: 8
    .kernarg_segment_size: 104
    .language:       OpenCL C
    .language_version:
      - 2
      - 0
    .max_flat_workgroup_size: 256
    .name:           _ZN7rocprim17ROCPRIM_400000_NS6detail17trampoline_kernelINS0_14default_configENS1_22reduce_config_selectorIN6thrust23THRUST_200600_302600_NS5tupleIblNS6_9null_typeES8_S8_S8_S8_S8_S8_S8_EEEEZNS1_11reduce_implILb1ES3_NS6_12zip_iteratorINS7_INS6_11hip_rocprim26transform_input_iterator_tIbNSD_35transform_pair_of_input_iterators_tIbNS6_6detail15normal_iteratorINS6_10device_ptrIlEEEENS6_17counting_iteratorIlNS6_11use_defaultESM_SM_EENS6_8equal_toIlEEEENSG_9not_fun_tINSD_8identityEEEEENSD_19counting_iterator_tIlEES8_S8_S8_S8_S8_S8_S8_S8_EEEEPS9_S9_NSD_9__find_if7functorIS9_EEEE10hipError_tPvRmT1_T2_T3_mT4_P12ihipStream_tbEUlT_E0_NS1_11comp_targetILNS1_3genE8ELNS1_11target_archE1030ELNS1_3gpuE2ELNS1_3repE0EEENS1_30default_config_static_selectorELNS0_4arch9wavefront6targetE1EEEvS16_
    .private_segment_fixed_size: 0
    .sgpr_count:     4
    .sgpr_spill_count: 0
    .symbol:         _ZN7rocprim17ROCPRIM_400000_NS6detail17trampoline_kernelINS0_14default_configENS1_22reduce_config_selectorIN6thrust23THRUST_200600_302600_NS5tupleIblNS6_9null_typeES8_S8_S8_S8_S8_S8_S8_EEEEZNS1_11reduce_implILb1ES3_NS6_12zip_iteratorINS7_INS6_11hip_rocprim26transform_input_iterator_tIbNSD_35transform_pair_of_input_iterators_tIbNS6_6detail15normal_iteratorINS6_10device_ptrIlEEEENS6_17counting_iteratorIlNS6_11use_defaultESM_SM_EENS6_8equal_toIlEEEENSG_9not_fun_tINSD_8identityEEEEENSD_19counting_iterator_tIlEES8_S8_S8_S8_S8_S8_S8_S8_EEEEPS9_S9_NSD_9__find_if7functorIS9_EEEE10hipError_tPvRmT1_T2_T3_mT4_P12ihipStream_tbEUlT_E0_NS1_11comp_targetILNS1_3genE8ELNS1_11target_archE1030ELNS1_3gpuE2ELNS1_3repE0EEENS1_30default_config_static_selectorELNS0_4arch9wavefront6targetE1EEEvS16_.kd
    .uniform_work_group_size: 1
    .uses_dynamic_stack: false
    .vgpr_count:     0
    .vgpr_spill_count: 0
    .wavefront_size: 64
  - .agpr_count:     0
    .args:
      - .offset:         0
        .size:           88
        .value_kind:     by_value
    .group_segment_fixed_size: 0
    .kernarg_segment_align: 8
    .kernarg_segment_size: 88
    .language:       OpenCL C
    .language_version:
      - 2
      - 0
    .max_flat_workgroup_size: 128
    .name:           _ZN7rocprim17ROCPRIM_400000_NS6detail17trampoline_kernelINS0_14default_configENS1_22reduce_config_selectorIN6thrust23THRUST_200600_302600_NS5tupleIblNS6_9null_typeES8_S8_S8_S8_S8_S8_S8_EEEEZNS1_11reduce_implILb1ES3_NS6_12zip_iteratorINS7_INS6_11hip_rocprim26transform_input_iterator_tIbNSD_35transform_pair_of_input_iterators_tIbNS6_6detail15normal_iteratorINS6_10device_ptrIlEEEENS6_17counting_iteratorIlNS6_11use_defaultESM_SM_EENS6_8equal_toIlEEEENSG_9not_fun_tINSD_8identityEEEEENSD_19counting_iterator_tIlEES8_S8_S8_S8_S8_S8_S8_S8_EEEEPS9_S9_NSD_9__find_if7functorIS9_EEEE10hipError_tPvRmT1_T2_T3_mT4_P12ihipStream_tbEUlT_E1_NS1_11comp_targetILNS1_3genE0ELNS1_11target_archE4294967295ELNS1_3gpuE0ELNS1_3repE0EEENS1_30default_config_static_selectorELNS0_4arch9wavefront6targetE1EEEvS16_
    .private_segment_fixed_size: 0
    .sgpr_count:     4
    .sgpr_spill_count: 0
    .symbol:         _ZN7rocprim17ROCPRIM_400000_NS6detail17trampoline_kernelINS0_14default_configENS1_22reduce_config_selectorIN6thrust23THRUST_200600_302600_NS5tupleIblNS6_9null_typeES8_S8_S8_S8_S8_S8_S8_EEEEZNS1_11reduce_implILb1ES3_NS6_12zip_iteratorINS7_INS6_11hip_rocprim26transform_input_iterator_tIbNSD_35transform_pair_of_input_iterators_tIbNS6_6detail15normal_iteratorINS6_10device_ptrIlEEEENS6_17counting_iteratorIlNS6_11use_defaultESM_SM_EENS6_8equal_toIlEEEENSG_9not_fun_tINSD_8identityEEEEENSD_19counting_iterator_tIlEES8_S8_S8_S8_S8_S8_S8_S8_EEEEPS9_S9_NSD_9__find_if7functorIS9_EEEE10hipError_tPvRmT1_T2_T3_mT4_P12ihipStream_tbEUlT_E1_NS1_11comp_targetILNS1_3genE0ELNS1_11target_archE4294967295ELNS1_3gpuE0ELNS1_3repE0EEENS1_30default_config_static_selectorELNS0_4arch9wavefront6targetE1EEEvS16_.kd
    .uniform_work_group_size: 1
    .uses_dynamic_stack: false
    .vgpr_count:     0
    .vgpr_spill_count: 0
    .wavefront_size: 64
  - .agpr_count:     0
    .args:
      - .offset:         0
        .size:           88
        .value_kind:     by_value
    .group_segment_fixed_size: 0
    .kernarg_segment_align: 8
    .kernarg_segment_size: 88
    .language:       OpenCL C
    .language_version:
      - 2
      - 0
    .max_flat_workgroup_size: 256
    .name:           _ZN7rocprim17ROCPRIM_400000_NS6detail17trampoline_kernelINS0_14default_configENS1_22reduce_config_selectorIN6thrust23THRUST_200600_302600_NS5tupleIblNS6_9null_typeES8_S8_S8_S8_S8_S8_S8_EEEEZNS1_11reduce_implILb1ES3_NS6_12zip_iteratorINS7_INS6_11hip_rocprim26transform_input_iterator_tIbNSD_35transform_pair_of_input_iterators_tIbNS6_6detail15normal_iteratorINS6_10device_ptrIlEEEENS6_17counting_iteratorIlNS6_11use_defaultESM_SM_EENS6_8equal_toIlEEEENSG_9not_fun_tINSD_8identityEEEEENSD_19counting_iterator_tIlEES8_S8_S8_S8_S8_S8_S8_S8_EEEEPS9_S9_NSD_9__find_if7functorIS9_EEEE10hipError_tPvRmT1_T2_T3_mT4_P12ihipStream_tbEUlT_E1_NS1_11comp_targetILNS1_3genE5ELNS1_11target_archE942ELNS1_3gpuE9ELNS1_3repE0EEENS1_30default_config_static_selectorELNS0_4arch9wavefront6targetE1EEEvS16_
    .private_segment_fixed_size: 0
    .sgpr_count:     4
    .sgpr_spill_count: 0
    .symbol:         _ZN7rocprim17ROCPRIM_400000_NS6detail17trampoline_kernelINS0_14default_configENS1_22reduce_config_selectorIN6thrust23THRUST_200600_302600_NS5tupleIblNS6_9null_typeES8_S8_S8_S8_S8_S8_S8_EEEEZNS1_11reduce_implILb1ES3_NS6_12zip_iteratorINS7_INS6_11hip_rocprim26transform_input_iterator_tIbNSD_35transform_pair_of_input_iterators_tIbNS6_6detail15normal_iteratorINS6_10device_ptrIlEEEENS6_17counting_iteratorIlNS6_11use_defaultESM_SM_EENS6_8equal_toIlEEEENSG_9not_fun_tINSD_8identityEEEEENSD_19counting_iterator_tIlEES8_S8_S8_S8_S8_S8_S8_S8_EEEEPS9_S9_NSD_9__find_if7functorIS9_EEEE10hipError_tPvRmT1_T2_T3_mT4_P12ihipStream_tbEUlT_E1_NS1_11comp_targetILNS1_3genE5ELNS1_11target_archE942ELNS1_3gpuE9ELNS1_3repE0EEENS1_30default_config_static_selectorELNS0_4arch9wavefront6targetE1EEEvS16_.kd
    .uniform_work_group_size: 1
    .uses_dynamic_stack: false
    .vgpr_count:     0
    .vgpr_spill_count: 0
    .wavefront_size: 64
  - .agpr_count:     0
    .args:
      - .offset:         0
        .size:           88
        .value_kind:     by_value
    .group_segment_fixed_size: 320
    .kernarg_segment_align: 8
    .kernarg_segment_size: 88
    .language:       OpenCL C
    .language_version:
      - 2
      - 0
    .max_flat_workgroup_size: 256
    .name:           _ZN7rocprim17ROCPRIM_400000_NS6detail17trampoline_kernelINS0_14default_configENS1_22reduce_config_selectorIN6thrust23THRUST_200600_302600_NS5tupleIblNS6_9null_typeES8_S8_S8_S8_S8_S8_S8_EEEEZNS1_11reduce_implILb1ES3_NS6_12zip_iteratorINS7_INS6_11hip_rocprim26transform_input_iterator_tIbNSD_35transform_pair_of_input_iterators_tIbNS6_6detail15normal_iteratorINS6_10device_ptrIlEEEENS6_17counting_iteratorIlNS6_11use_defaultESM_SM_EENS6_8equal_toIlEEEENSG_9not_fun_tINSD_8identityEEEEENSD_19counting_iterator_tIlEES8_S8_S8_S8_S8_S8_S8_S8_EEEEPS9_S9_NSD_9__find_if7functorIS9_EEEE10hipError_tPvRmT1_T2_T3_mT4_P12ihipStream_tbEUlT_E1_NS1_11comp_targetILNS1_3genE4ELNS1_11target_archE910ELNS1_3gpuE8ELNS1_3repE0EEENS1_30default_config_static_selectorELNS0_4arch9wavefront6targetE1EEEvS16_
    .private_segment_fixed_size: 0
    .sgpr_count:     44
    .sgpr_spill_count: 0
    .symbol:         _ZN7rocprim17ROCPRIM_400000_NS6detail17trampoline_kernelINS0_14default_configENS1_22reduce_config_selectorIN6thrust23THRUST_200600_302600_NS5tupleIblNS6_9null_typeES8_S8_S8_S8_S8_S8_S8_EEEEZNS1_11reduce_implILb1ES3_NS6_12zip_iteratorINS7_INS6_11hip_rocprim26transform_input_iterator_tIbNSD_35transform_pair_of_input_iterators_tIbNS6_6detail15normal_iteratorINS6_10device_ptrIlEEEENS6_17counting_iteratorIlNS6_11use_defaultESM_SM_EENS6_8equal_toIlEEEENSG_9not_fun_tINSD_8identityEEEEENSD_19counting_iterator_tIlEES8_S8_S8_S8_S8_S8_S8_S8_EEEEPS9_S9_NSD_9__find_if7functorIS9_EEEE10hipError_tPvRmT1_T2_T3_mT4_P12ihipStream_tbEUlT_E1_NS1_11comp_targetILNS1_3genE4ELNS1_11target_archE910ELNS1_3gpuE8ELNS1_3repE0EEENS1_30default_config_static_selectorELNS0_4arch9wavefront6targetE1EEEvS16_.kd
    .uniform_work_group_size: 1
    .uses_dynamic_stack: false
    .vgpr_count:     37
    .vgpr_spill_count: 0
    .wavefront_size: 64
  - .agpr_count:     0
    .args:
      - .offset:         0
        .size:           88
        .value_kind:     by_value
    .group_segment_fixed_size: 0
    .kernarg_segment_align: 8
    .kernarg_segment_size: 88
    .language:       OpenCL C
    .language_version:
      - 2
      - 0
    .max_flat_workgroup_size: 128
    .name:           _ZN7rocprim17ROCPRIM_400000_NS6detail17trampoline_kernelINS0_14default_configENS1_22reduce_config_selectorIN6thrust23THRUST_200600_302600_NS5tupleIblNS6_9null_typeES8_S8_S8_S8_S8_S8_S8_EEEEZNS1_11reduce_implILb1ES3_NS6_12zip_iteratorINS7_INS6_11hip_rocprim26transform_input_iterator_tIbNSD_35transform_pair_of_input_iterators_tIbNS6_6detail15normal_iteratorINS6_10device_ptrIlEEEENS6_17counting_iteratorIlNS6_11use_defaultESM_SM_EENS6_8equal_toIlEEEENSG_9not_fun_tINSD_8identityEEEEENSD_19counting_iterator_tIlEES8_S8_S8_S8_S8_S8_S8_S8_EEEEPS9_S9_NSD_9__find_if7functorIS9_EEEE10hipError_tPvRmT1_T2_T3_mT4_P12ihipStream_tbEUlT_E1_NS1_11comp_targetILNS1_3genE3ELNS1_11target_archE908ELNS1_3gpuE7ELNS1_3repE0EEENS1_30default_config_static_selectorELNS0_4arch9wavefront6targetE1EEEvS16_
    .private_segment_fixed_size: 0
    .sgpr_count:     4
    .sgpr_spill_count: 0
    .symbol:         _ZN7rocprim17ROCPRIM_400000_NS6detail17trampoline_kernelINS0_14default_configENS1_22reduce_config_selectorIN6thrust23THRUST_200600_302600_NS5tupleIblNS6_9null_typeES8_S8_S8_S8_S8_S8_S8_EEEEZNS1_11reduce_implILb1ES3_NS6_12zip_iteratorINS7_INS6_11hip_rocprim26transform_input_iterator_tIbNSD_35transform_pair_of_input_iterators_tIbNS6_6detail15normal_iteratorINS6_10device_ptrIlEEEENS6_17counting_iteratorIlNS6_11use_defaultESM_SM_EENS6_8equal_toIlEEEENSG_9not_fun_tINSD_8identityEEEEENSD_19counting_iterator_tIlEES8_S8_S8_S8_S8_S8_S8_S8_EEEEPS9_S9_NSD_9__find_if7functorIS9_EEEE10hipError_tPvRmT1_T2_T3_mT4_P12ihipStream_tbEUlT_E1_NS1_11comp_targetILNS1_3genE3ELNS1_11target_archE908ELNS1_3gpuE7ELNS1_3repE0EEENS1_30default_config_static_selectorELNS0_4arch9wavefront6targetE1EEEvS16_.kd
    .uniform_work_group_size: 1
    .uses_dynamic_stack: false
    .vgpr_count:     0
    .vgpr_spill_count: 0
    .wavefront_size: 64
  - .agpr_count:     0
    .args:
      - .offset:         0
        .size:           88
        .value_kind:     by_value
    .group_segment_fixed_size: 0
    .kernarg_segment_align: 8
    .kernarg_segment_size: 88
    .language:       OpenCL C
    .language_version:
      - 2
      - 0
    .max_flat_workgroup_size: 128
    .name:           _ZN7rocprim17ROCPRIM_400000_NS6detail17trampoline_kernelINS0_14default_configENS1_22reduce_config_selectorIN6thrust23THRUST_200600_302600_NS5tupleIblNS6_9null_typeES8_S8_S8_S8_S8_S8_S8_EEEEZNS1_11reduce_implILb1ES3_NS6_12zip_iteratorINS7_INS6_11hip_rocprim26transform_input_iterator_tIbNSD_35transform_pair_of_input_iterators_tIbNS6_6detail15normal_iteratorINS6_10device_ptrIlEEEENS6_17counting_iteratorIlNS6_11use_defaultESM_SM_EENS6_8equal_toIlEEEENSG_9not_fun_tINSD_8identityEEEEENSD_19counting_iterator_tIlEES8_S8_S8_S8_S8_S8_S8_S8_EEEEPS9_S9_NSD_9__find_if7functorIS9_EEEE10hipError_tPvRmT1_T2_T3_mT4_P12ihipStream_tbEUlT_E1_NS1_11comp_targetILNS1_3genE2ELNS1_11target_archE906ELNS1_3gpuE6ELNS1_3repE0EEENS1_30default_config_static_selectorELNS0_4arch9wavefront6targetE1EEEvS16_
    .private_segment_fixed_size: 0
    .sgpr_count:     4
    .sgpr_spill_count: 0
    .symbol:         _ZN7rocprim17ROCPRIM_400000_NS6detail17trampoline_kernelINS0_14default_configENS1_22reduce_config_selectorIN6thrust23THRUST_200600_302600_NS5tupleIblNS6_9null_typeES8_S8_S8_S8_S8_S8_S8_EEEEZNS1_11reduce_implILb1ES3_NS6_12zip_iteratorINS7_INS6_11hip_rocprim26transform_input_iterator_tIbNSD_35transform_pair_of_input_iterators_tIbNS6_6detail15normal_iteratorINS6_10device_ptrIlEEEENS6_17counting_iteratorIlNS6_11use_defaultESM_SM_EENS6_8equal_toIlEEEENSG_9not_fun_tINSD_8identityEEEEENSD_19counting_iterator_tIlEES8_S8_S8_S8_S8_S8_S8_S8_EEEEPS9_S9_NSD_9__find_if7functorIS9_EEEE10hipError_tPvRmT1_T2_T3_mT4_P12ihipStream_tbEUlT_E1_NS1_11comp_targetILNS1_3genE2ELNS1_11target_archE906ELNS1_3gpuE6ELNS1_3repE0EEENS1_30default_config_static_selectorELNS0_4arch9wavefront6targetE1EEEvS16_.kd
    .uniform_work_group_size: 1
    .uses_dynamic_stack: false
    .vgpr_count:     0
    .vgpr_spill_count: 0
    .wavefront_size: 64
  - .agpr_count:     0
    .args:
      - .offset:         0
        .size:           88
        .value_kind:     by_value
    .group_segment_fixed_size: 0
    .kernarg_segment_align: 8
    .kernarg_segment_size: 88
    .language:       OpenCL C
    .language_version:
      - 2
      - 0
    .max_flat_workgroup_size: 256
    .name:           _ZN7rocprim17ROCPRIM_400000_NS6detail17trampoline_kernelINS0_14default_configENS1_22reduce_config_selectorIN6thrust23THRUST_200600_302600_NS5tupleIblNS6_9null_typeES8_S8_S8_S8_S8_S8_S8_EEEEZNS1_11reduce_implILb1ES3_NS6_12zip_iteratorINS7_INS6_11hip_rocprim26transform_input_iterator_tIbNSD_35transform_pair_of_input_iterators_tIbNS6_6detail15normal_iteratorINS6_10device_ptrIlEEEENS6_17counting_iteratorIlNS6_11use_defaultESM_SM_EENS6_8equal_toIlEEEENSG_9not_fun_tINSD_8identityEEEEENSD_19counting_iterator_tIlEES8_S8_S8_S8_S8_S8_S8_S8_EEEEPS9_S9_NSD_9__find_if7functorIS9_EEEE10hipError_tPvRmT1_T2_T3_mT4_P12ihipStream_tbEUlT_E1_NS1_11comp_targetILNS1_3genE10ELNS1_11target_archE1201ELNS1_3gpuE5ELNS1_3repE0EEENS1_30default_config_static_selectorELNS0_4arch9wavefront6targetE1EEEvS16_
    .private_segment_fixed_size: 0
    .sgpr_count:     4
    .sgpr_spill_count: 0
    .symbol:         _ZN7rocprim17ROCPRIM_400000_NS6detail17trampoline_kernelINS0_14default_configENS1_22reduce_config_selectorIN6thrust23THRUST_200600_302600_NS5tupleIblNS6_9null_typeES8_S8_S8_S8_S8_S8_S8_EEEEZNS1_11reduce_implILb1ES3_NS6_12zip_iteratorINS7_INS6_11hip_rocprim26transform_input_iterator_tIbNSD_35transform_pair_of_input_iterators_tIbNS6_6detail15normal_iteratorINS6_10device_ptrIlEEEENS6_17counting_iteratorIlNS6_11use_defaultESM_SM_EENS6_8equal_toIlEEEENSG_9not_fun_tINSD_8identityEEEEENSD_19counting_iterator_tIlEES8_S8_S8_S8_S8_S8_S8_S8_EEEEPS9_S9_NSD_9__find_if7functorIS9_EEEE10hipError_tPvRmT1_T2_T3_mT4_P12ihipStream_tbEUlT_E1_NS1_11comp_targetILNS1_3genE10ELNS1_11target_archE1201ELNS1_3gpuE5ELNS1_3repE0EEENS1_30default_config_static_selectorELNS0_4arch9wavefront6targetE1EEEvS16_.kd
    .uniform_work_group_size: 1
    .uses_dynamic_stack: false
    .vgpr_count:     0
    .vgpr_spill_count: 0
    .wavefront_size: 64
  - .agpr_count:     0
    .args:
      - .offset:         0
        .size:           88
        .value_kind:     by_value
    .group_segment_fixed_size: 0
    .kernarg_segment_align: 8
    .kernarg_segment_size: 88
    .language:       OpenCL C
    .language_version:
      - 2
      - 0
    .max_flat_workgroup_size: 256
    .name:           _ZN7rocprim17ROCPRIM_400000_NS6detail17trampoline_kernelINS0_14default_configENS1_22reduce_config_selectorIN6thrust23THRUST_200600_302600_NS5tupleIblNS6_9null_typeES8_S8_S8_S8_S8_S8_S8_EEEEZNS1_11reduce_implILb1ES3_NS6_12zip_iteratorINS7_INS6_11hip_rocprim26transform_input_iterator_tIbNSD_35transform_pair_of_input_iterators_tIbNS6_6detail15normal_iteratorINS6_10device_ptrIlEEEENS6_17counting_iteratorIlNS6_11use_defaultESM_SM_EENS6_8equal_toIlEEEENSG_9not_fun_tINSD_8identityEEEEENSD_19counting_iterator_tIlEES8_S8_S8_S8_S8_S8_S8_S8_EEEEPS9_S9_NSD_9__find_if7functorIS9_EEEE10hipError_tPvRmT1_T2_T3_mT4_P12ihipStream_tbEUlT_E1_NS1_11comp_targetILNS1_3genE10ELNS1_11target_archE1200ELNS1_3gpuE4ELNS1_3repE0EEENS1_30default_config_static_selectorELNS0_4arch9wavefront6targetE1EEEvS16_
    .private_segment_fixed_size: 0
    .sgpr_count:     4
    .sgpr_spill_count: 0
    .symbol:         _ZN7rocprim17ROCPRIM_400000_NS6detail17trampoline_kernelINS0_14default_configENS1_22reduce_config_selectorIN6thrust23THRUST_200600_302600_NS5tupleIblNS6_9null_typeES8_S8_S8_S8_S8_S8_S8_EEEEZNS1_11reduce_implILb1ES3_NS6_12zip_iteratorINS7_INS6_11hip_rocprim26transform_input_iterator_tIbNSD_35transform_pair_of_input_iterators_tIbNS6_6detail15normal_iteratorINS6_10device_ptrIlEEEENS6_17counting_iteratorIlNS6_11use_defaultESM_SM_EENS6_8equal_toIlEEEENSG_9not_fun_tINSD_8identityEEEEENSD_19counting_iterator_tIlEES8_S8_S8_S8_S8_S8_S8_S8_EEEEPS9_S9_NSD_9__find_if7functorIS9_EEEE10hipError_tPvRmT1_T2_T3_mT4_P12ihipStream_tbEUlT_E1_NS1_11comp_targetILNS1_3genE10ELNS1_11target_archE1200ELNS1_3gpuE4ELNS1_3repE0EEENS1_30default_config_static_selectorELNS0_4arch9wavefront6targetE1EEEvS16_.kd
    .uniform_work_group_size: 1
    .uses_dynamic_stack: false
    .vgpr_count:     0
    .vgpr_spill_count: 0
    .wavefront_size: 64
  - .agpr_count:     0
    .args:
      - .offset:         0
        .size:           88
        .value_kind:     by_value
    .group_segment_fixed_size: 0
    .kernarg_segment_align: 8
    .kernarg_segment_size: 88
    .language:       OpenCL C
    .language_version:
      - 2
      - 0
    .max_flat_workgroup_size: 256
    .name:           _ZN7rocprim17ROCPRIM_400000_NS6detail17trampoline_kernelINS0_14default_configENS1_22reduce_config_selectorIN6thrust23THRUST_200600_302600_NS5tupleIblNS6_9null_typeES8_S8_S8_S8_S8_S8_S8_EEEEZNS1_11reduce_implILb1ES3_NS6_12zip_iteratorINS7_INS6_11hip_rocprim26transform_input_iterator_tIbNSD_35transform_pair_of_input_iterators_tIbNS6_6detail15normal_iteratorINS6_10device_ptrIlEEEENS6_17counting_iteratorIlNS6_11use_defaultESM_SM_EENS6_8equal_toIlEEEENSG_9not_fun_tINSD_8identityEEEEENSD_19counting_iterator_tIlEES8_S8_S8_S8_S8_S8_S8_S8_EEEEPS9_S9_NSD_9__find_if7functorIS9_EEEE10hipError_tPvRmT1_T2_T3_mT4_P12ihipStream_tbEUlT_E1_NS1_11comp_targetILNS1_3genE9ELNS1_11target_archE1100ELNS1_3gpuE3ELNS1_3repE0EEENS1_30default_config_static_selectorELNS0_4arch9wavefront6targetE1EEEvS16_
    .private_segment_fixed_size: 0
    .sgpr_count:     4
    .sgpr_spill_count: 0
    .symbol:         _ZN7rocprim17ROCPRIM_400000_NS6detail17trampoline_kernelINS0_14default_configENS1_22reduce_config_selectorIN6thrust23THRUST_200600_302600_NS5tupleIblNS6_9null_typeES8_S8_S8_S8_S8_S8_S8_EEEEZNS1_11reduce_implILb1ES3_NS6_12zip_iteratorINS7_INS6_11hip_rocprim26transform_input_iterator_tIbNSD_35transform_pair_of_input_iterators_tIbNS6_6detail15normal_iteratorINS6_10device_ptrIlEEEENS6_17counting_iteratorIlNS6_11use_defaultESM_SM_EENS6_8equal_toIlEEEENSG_9not_fun_tINSD_8identityEEEEENSD_19counting_iterator_tIlEES8_S8_S8_S8_S8_S8_S8_S8_EEEEPS9_S9_NSD_9__find_if7functorIS9_EEEE10hipError_tPvRmT1_T2_T3_mT4_P12ihipStream_tbEUlT_E1_NS1_11comp_targetILNS1_3genE9ELNS1_11target_archE1100ELNS1_3gpuE3ELNS1_3repE0EEENS1_30default_config_static_selectorELNS0_4arch9wavefront6targetE1EEEvS16_.kd
    .uniform_work_group_size: 1
    .uses_dynamic_stack: false
    .vgpr_count:     0
    .vgpr_spill_count: 0
    .wavefront_size: 64
  - .agpr_count:     0
    .args:
      - .offset:         0
        .size:           88
        .value_kind:     by_value
    .group_segment_fixed_size: 0
    .kernarg_segment_align: 8
    .kernarg_segment_size: 88
    .language:       OpenCL C
    .language_version:
      - 2
      - 0
    .max_flat_workgroup_size: 256
    .name:           _ZN7rocprim17ROCPRIM_400000_NS6detail17trampoline_kernelINS0_14default_configENS1_22reduce_config_selectorIN6thrust23THRUST_200600_302600_NS5tupleIblNS6_9null_typeES8_S8_S8_S8_S8_S8_S8_EEEEZNS1_11reduce_implILb1ES3_NS6_12zip_iteratorINS7_INS6_11hip_rocprim26transform_input_iterator_tIbNSD_35transform_pair_of_input_iterators_tIbNS6_6detail15normal_iteratorINS6_10device_ptrIlEEEENS6_17counting_iteratorIlNS6_11use_defaultESM_SM_EENS6_8equal_toIlEEEENSG_9not_fun_tINSD_8identityEEEEENSD_19counting_iterator_tIlEES8_S8_S8_S8_S8_S8_S8_S8_EEEEPS9_S9_NSD_9__find_if7functorIS9_EEEE10hipError_tPvRmT1_T2_T3_mT4_P12ihipStream_tbEUlT_E1_NS1_11comp_targetILNS1_3genE8ELNS1_11target_archE1030ELNS1_3gpuE2ELNS1_3repE0EEENS1_30default_config_static_selectorELNS0_4arch9wavefront6targetE1EEEvS16_
    .private_segment_fixed_size: 0
    .sgpr_count:     4
    .sgpr_spill_count: 0
    .symbol:         _ZN7rocprim17ROCPRIM_400000_NS6detail17trampoline_kernelINS0_14default_configENS1_22reduce_config_selectorIN6thrust23THRUST_200600_302600_NS5tupleIblNS6_9null_typeES8_S8_S8_S8_S8_S8_S8_EEEEZNS1_11reduce_implILb1ES3_NS6_12zip_iteratorINS7_INS6_11hip_rocprim26transform_input_iterator_tIbNSD_35transform_pair_of_input_iterators_tIbNS6_6detail15normal_iteratorINS6_10device_ptrIlEEEENS6_17counting_iteratorIlNS6_11use_defaultESM_SM_EENS6_8equal_toIlEEEENSG_9not_fun_tINSD_8identityEEEEENSD_19counting_iterator_tIlEES8_S8_S8_S8_S8_S8_S8_S8_EEEEPS9_S9_NSD_9__find_if7functorIS9_EEEE10hipError_tPvRmT1_T2_T3_mT4_P12ihipStream_tbEUlT_E1_NS1_11comp_targetILNS1_3genE8ELNS1_11target_archE1030ELNS1_3gpuE2ELNS1_3repE0EEENS1_30default_config_static_selectorELNS0_4arch9wavefront6targetE1EEEvS16_.kd
    .uniform_work_group_size: 1
    .uses_dynamic_stack: false
    .vgpr_count:     0
    .vgpr_spill_count: 0
    .wavefront_size: 64
  - .agpr_count:     0
    .args:
      - .offset:         0
        .size:           16
        .value_kind:     by_value
      - .offset:         16
        .size:           8
        .value_kind:     by_value
      - .offset:         24
        .size:           8
        .value_kind:     by_value
    .group_segment_fixed_size: 0
    .kernarg_segment_align: 8
    .kernarg_segment_size: 32
    .language:       OpenCL C
    .language_version:
      - 2
      - 0
    .max_flat_workgroup_size: 256
    .name:           _ZN6thrust23THRUST_200600_302600_NS11hip_rocprim14__parallel_for6kernelILj256ENS1_10for_each_fINS0_7pointerINS0_5tupleIblNS0_9null_typeES7_S7_S7_S7_S7_S7_S7_EENS1_3tagENS0_11use_defaultESA_EENS0_6detail16wrapped_functionINSC_23allocator_traits_detail24construct1_via_allocatorINSC_18no_throw_allocatorINSC_19temporary_allocatorIS8_S9_EEEEEEvEEEEmLj1EEEvT0_T1_SO_
    .private_segment_fixed_size: 0
    .sgpr_count:     16
    .sgpr_spill_count: 0
    .symbol:         _ZN6thrust23THRUST_200600_302600_NS11hip_rocprim14__parallel_for6kernelILj256ENS1_10for_each_fINS0_7pointerINS0_5tupleIblNS0_9null_typeES7_S7_S7_S7_S7_S7_S7_EENS1_3tagENS0_11use_defaultESA_EENS0_6detail16wrapped_functionINSC_23allocator_traits_detail24construct1_via_allocatorINSC_18no_throw_allocatorINSC_19temporary_allocatorIS8_S9_EEEEEEvEEEEmLj1EEEvT0_T1_SO_.kd
    .uniform_work_group_size: 1
    .uses_dynamic_stack: false
    .vgpr_count:     4
    .vgpr_spill_count: 0
    .wavefront_size: 64
  - .agpr_count:     0
    .args:
      - .offset:         0
        .size:           16
        .value_kind:     by_value
      - .offset:         16
        .size:           8
        .value_kind:     by_value
      - .offset:         24
        .size:           8
        .value_kind:     by_value
    .group_segment_fixed_size: 0
    .kernarg_segment_align: 8
    .kernarg_segment_size: 32
    .language:       OpenCL C
    .language_version:
      - 2
      - 0
    .max_flat_workgroup_size: 256
    .name:           _ZN6thrust23THRUST_200600_302600_NS11hip_rocprim14__parallel_for6kernelILj256ENS1_10for_each_fINS0_7pointerINS0_5tupleIblNS0_9null_typeES7_S7_S7_S7_S7_S7_S7_EENS1_3tagENS0_11use_defaultESA_EENS0_6detail16wrapped_functionINSC_23allocator_traits_detail5gozerEvEEEElLj1EEEvT0_T1_SJ_
    .private_segment_fixed_size: 0
    .sgpr_count:     4
    .sgpr_spill_count: 0
    .symbol:         _ZN6thrust23THRUST_200600_302600_NS11hip_rocprim14__parallel_for6kernelILj256ENS1_10for_each_fINS0_7pointerINS0_5tupleIblNS0_9null_typeES7_S7_S7_S7_S7_S7_S7_EENS1_3tagENS0_11use_defaultESA_EENS0_6detail16wrapped_functionINSC_23allocator_traits_detail5gozerEvEEEElLj1EEEvT0_T1_SJ_.kd
    .uniform_work_group_size: 1
    .uses_dynamic_stack: false
    .vgpr_count:     0
    .vgpr_spill_count: 0
    .wavefront_size: 64
  - .agpr_count:     0
    .args:
      - .offset:         0
        .size:           16
        .value_kind:     by_value
      - .offset:         16
        .size:           8
        .value_kind:     by_value
      - .offset:         24
        .size:           8
        .value_kind:     by_value
    .group_segment_fixed_size: 0
    .kernarg_segment_align: 8
    .kernarg_segment_size: 32
    .language:       OpenCL C
    .language_version:
      - 2
      - 0
    .max_flat_workgroup_size: 256
    .name:           _ZN6thrust23THRUST_200600_302600_NS11hip_rocprim14__parallel_for6kernelILj256ENS1_20__uninitialized_copy7functorIPNS0_5tupleIblNS0_9null_typeES7_S7_S7_S7_S7_S7_S7_EENS0_7pointerIS8_NS1_3tagENS0_11use_defaultESC_EEEEmLj1EEEvT0_T1_SG_
    .private_segment_fixed_size: 0
    .sgpr_count:     20
    .sgpr_spill_count: 0
    .symbol:         _ZN6thrust23THRUST_200600_302600_NS11hip_rocprim14__parallel_for6kernelILj256ENS1_20__uninitialized_copy7functorIPNS0_5tupleIblNS0_9null_typeES7_S7_S7_S7_S7_S7_S7_EENS0_7pointerIS8_NS1_3tagENS0_11use_defaultESC_EEEEmLj1EEEvT0_T1_SG_.kd
    .uniform_work_group_size: 1
    .uses_dynamic_stack: false
    .vgpr_count:     8
    .vgpr_spill_count: 0
    .wavefront_size: 64
amdhsa.target:   amdgcn-amd-amdhsa--gfx90a
amdhsa.version:
  - 1
  - 2
...

	.end_amdgpu_metadata
